;; amdgpu-corpus repo=vllm-project/vllm kind=compiled arch=gfx942 opt=O3
	.text
	.amdgcn_target "amdgcn-amd-amdhsa--gfx942"
	.amdhsa_code_object_version 6
	.section	.text._ZN4vllm25paged_attention_v2_kernelIffLi32ELi8ELi128ELNS_18Fp8KVCacheDataTypeE0ELb1ELi512EEEvPfS2_PT_PKS3_PKT0_S9_ifPKiSB_iPKfiiiSD_SD_iiiii,"axG",@progbits,_ZN4vllm25paged_attention_v2_kernelIffLi32ELi8ELi128ELNS_18Fp8KVCacheDataTypeE0ELb1ELi512EEEvPfS2_PT_PKS3_PKT0_S9_ifPKiSB_iPKfiiiSD_SD_iiiii,comdat
	.protected	_ZN4vllm25paged_attention_v2_kernelIffLi32ELi8ELi128ELNS_18Fp8KVCacheDataTypeE0ELb1ELi512EEEvPfS2_PT_PKS3_PKT0_S9_ifPKiSB_iPKfiiiSD_SD_iiiii ; -- Begin function _ZN4vllm25paged_attention_v2_kernelIffLi32ELi8ELi128ELNS_18Fp8KVCacheDataTypeE0ELb1ELi512EEEvPfS2_PT_PKS3_PKT0_S9_ifPKiSB_iPKfiiiSD_SD_iiiii
	.globl	_ZN4vllm25paged_attention_v2_kernelIffLi32ELi8ELi128ELNS_18Fp8KVCacheDataTypeE0ELb1ELi512EEEvPfS2_PT_PKS3_PKT0_S9_ifPKiSB_iPKfiiiSD_SD_iiiii
	.p2align	8
	.type	_ZN4vllm25paged_attention_v2_kernelIffLi32ELi8ELi128ELNS_18Fp8KVCacheDataTypeE0ELb1ELi512EEEvPfS2_PT_PKS3_PKT0_S9_ifPKiSB_iPKfiiiSD_SD_iiiii,@function
_ZN4vllm25paged_attention_v2_kernelIffLi32ELi8ELi128ELNS_18Fp8KVCacheDataTypeE0ELb1ELi512EEEvPfS2_PT_PKS3_PKT0_S9_ifPKiSB_iPKfiiiSD_SD_iiiii: ; @_ZN4vllm25paged_attention_v2_kernelIffLi32ELi8ELi128ELNS_18Fp8KVCacheDataTypeE0ELb1ELi512EEEvPfS2_PT_PKS3_PKT0_S9_ifPKiSB_iPKfiiiSD_SD_iiiii
; %bb.0:
	s_load_dwordx2 s[6:7], s[0:1], 0x40
	s_mov_b32 s28, s3
	s_ashr_i32 s29, s3, 31
	s_lshl_b64 s[8:9], s[28:29], 2
	s_waitcnt lgkmcnt(0)
	s_add_u32 s6, s6, s8
	s_addc_u32 s7, s7, s9
	s_load_dword s29, s[6:7], 0x0
	s_lshl_b32 s49, s4, 9
	s_waitcnt lgkmcnt(0)
	s_cmp_ge_i32 s49, s29
	s_cbranch_scc1 .LBB0_61
; %bb.1:
	s_load_dword s5, s[0:1], 0x90
	s_load_dwordx2 s[38:39], s[0:1], 0x30
	s_waitcnt lgkmcnt(0)
	s_abs_i32 s7, s5
	s_abs_i32 s3, s38
	v_cvt_f32_u32_e32 v1, s3
	s_sub_i32 s8, 0, s3
	s_xor_b32 s6, s5, s38
	s_ashr_i32 s6, s6, 31
	v_rcp_iflag_f32_e32 v1, v1
	s_nop 0
	v_mul_f32_e32 v1, 0x4f7ffffe, v1
	v_cvt_u32_f32_e32 v1, v1
	s_nop 0
	v_readfirstlane_b32 s9, v1
	s_mul_i32 s8, s8, s9
	s_mul_hi_u32 s8, s9, s8
	s_add_i32 s9, s9, s8
	s_mul_hi_u32 s8, s7, s9
	s_mul_i32 s9, s8, s3
	s_sub_i32 s7, s7, s9
	s_add_i32 s10, s8, 1
	s_sub_i32 s9, s7, s3
	s_cmp_ge_u32 s7, s3
	s_cselect_b32 s8, s10, s8
	s_cselect_b32 s7, s9, s7
	s_add_i32 s9, s8, 1
	s_cmp_ge_u32 s7, s3
	s_cselect_b32 s3, s9, s8
	s_xor_b32 s3, s3, s6
	s_sub_i32 s11, s3, s6
	s_abs_i32 s8, s11
	v_cvt_f32_u32_e32 v1, s8
	s_load_dwordx2 s[6:7], s[0:1], 0x50
	s_sub_i32 s10, 0, s8
	s_abs_i32 s9, s2
	v_rcp_iflag_f32_e32 v1, v1
	s_mov_b32 s3, 0
	v_mul_f32_e32 v1, 0x4f7ffffe, v1
	v_cvt_u32_f32_e32 v1, v1
	s_nop 0
	v_readfirstlane_b32 s12, v1
	s_mul_i32 s10, s10, s12
	s_mul_hi_u32 s10, s12, s10
	s_add_i32 s12, s12, s10
	s_waitcnt lgkmcnt(0)
	s_cmp_eq_u64 s[6:7], 0
	s_mul_hi_u32 s10, s9, s12
	s_cbranch_scc1 .LBB0_3
; %bb.2:
	s_ashr_i32 s3, s2, 31
	s_lshl_b64 s[12:13], s[2:3], 2
	s_add_u32 s6, s6, s12
	s_addc_u32 s7, s7, s13
	s_load_dword s3, s[6:7], 0x0
.LBB0_3:
	s_load_dwordx4 s[12:15], s[0:1], 0x58
	s_ashr_i32 s16, s2, 31
	s_ashr_i32 s11, s11, 31
	v_and_b32_e32 v2, 7, v0
	s_lshl_b32 s24, s2, 5
	v_cmp_gt_u32_e32 vcc, 32, v0
	v_lshlrev_b32_e32 v6, 2, v0
	s_and_saveexec_b64 s[6:7], vcc
	s_cbranch_execz .LBB0_5
; %bb.4:
	s_load_dwordx2 s[18:19], s[0:1], 0x18
	s_waitcnt lgkmcnt(0)
	s_mul_i32 s20, s28, s12
	s_ashr_i32 s21, s20, 31
	s_lshl_b64 s[20:21], s[20:21], 2
	v_lshrrev_b32_e32 v3, 1, v0
	s_add_u32 s12, s18, s20
	s_addc_u32 s15, s19, s21
	s_ashr_i32 s25, s24, 31
	s_lshl_b64 s[18:19], s[24:25], 2
	s_add_u32 s18, s12, s18
	s_addc_u32 s19, s15, s19
	global_load_dword v1, v6, s[18:19]
	v_and_b32_e32 v3, 0x1fc, v3
	v_lshl_add_u32 v3, v2, 4, v3
	s_waitcnt vmcnt(0)
	ds_write_b32 v3, v1
.LBB0_5:
	s_or_b64 exec, exec, s[6:7]
	s_mul_i32 s7, s10, s8
	s_sub_i32 s7, s9, s7
	s_xor_b32 s6, s16, s11
	s_add_i32 s9, s10, 1
	s_sub_i32 s11, s7, s8
	s_load_dwordx4 s[16:19], s[0:1], 0x78
	s_cmp_ge_u32 s7, s8
	s_cselect_b32 s9, s9, s10
	s_cselect_b32 s7, s11, s7
	s_load_dword s11, s[0:1], 0x88
	s_add_i32 s10, s9, 1
	s_cmp_ge_u32 s7, s8
	s_cselect_b32 s7, s10, s9
	s_waitcnt lgkmcnt(0)
	s_abs_i32 s12, s19
	v_cvt_f32_u32_e32 v1, s12
	s_xor_b32 s7, s7, s6
	s_sub_i32 s8, s7, s6
	s_sub_i32 s6, 0, s12
	v_rcp_iflag_f32_e32 v1, v1
	s_add_i32 s15, s29, -1
	s_abs_i32 s9, s15
	v_mul_f32_e32 v1, 0x4f7ffffe, v1
	v_cvt_u32_f32_e32 v1, v1
	s_barrier
	v_readfirstlane_b32 s25, v1
	s_mul_i32 s6, s6, s25
	s_mul_hi_u32 s6, s25, s6
	s_add_i32 s25, s25, s6
	s_cmp_lt_i32 s11, 0
	s_mul_hi_u32 s10, s9, s25
	s_cbranch_scc0 .LBB0_7
; %bb.6:
	s_mul_i32 s6, s16, s38
	s_add_i32 s6, s8, s6
	s_mul_i32 s6, s6, s11
	s_sub_i32 s33, 1, s6
	s_mov_b64 s[6:7], 0
	s_branch .LBB0_8
.LBB0_7:
	s_mov_b64 s[6:7], -1
                                        ; implicit-def: $sgpr33
.LBB0_8:
	s_load_dwordx2 s[30:31], s[0:1], 0x38
	s_ashr_i32 s15, s15, 31
	s_andn2_b64 vcc, exec, s[6:7]
	s_ashr_i32 s19, s19, 31
	s_cbranch_vccnz .LBB0_10
; %bb.9:
	s_mul_i32 s6, s5, s16
	s_add_i32 s6, s6, s2
	s_mul_i32 s6, s6, s11
	s_add_i32 s33, s6, 1
.LBB0_10:
	s_load_dword s6, s[0:1], 0x48
	s_load_dwordx2 s[36:37], s[0:1], 0x28
	s_load_dword s16, s[0:1], 0x98
	s_load_dwordx4 s[20:23], s[0:1], 0x0
	s_load_dwordx2 s[26:27], s[0:1], 0x10
	s_mul_i32 s7, s10, s12
	s_waitcnt lgkmcnt(0)
	s_mul_i32 s34, s28, s6
	s_sub_i32 s7, s9, s7
	s_ashr_i32 s35, s34, 31
	s_xor_b32 s6, s15, s19
	s_add_i32 s9, s10, 1
	s_sub_i32 s11, s7, s12
	s_cmp_ge_u32 s7, s12
	s_cselect_b32 s9, s9, s10
	s_cselect_b32 s7, s11, s7
	s_add_i32 s10, s9, 1
	s_cmp_ge_u32 s7, s12
	s_cselect_b32 s7, s10, s9
	s_xor_b32 s7, s7, s6
	s_sub_i32 s48, s7, s6
	s_add_i32 s6, s29, 7
	s_ashr_i32 s7, s6, 31
	s_lshr_b32 s7, s7, 29
	s_add_i32 s6, s6, s7
	s_lshl_b32 s38, s4, 6
	s_ashr_i32 s47, s6, 3
	s_add_i32 s6, s38, 64
	v_lshrrev_b32_e32 v7, 6, v0
	s_min_i32 s46, s6, s47
	v_or_b32_e32 v10, s38, v7
	v_cmp_gt_i32_e64 s[6:7], s46, v10
	v_mov_b32_e32 v14, 0xff7fffff
	s_mul_i32 s14, s8, s14
	v_ashrrev_i32_e32 v11, 31, v10
	v_lshl_add_u32 v1, v7, 3, s49
	v_mbcnt_lo_u32_b32 v8, -1, 0
	s_and_saveexec_b64 s[40:41], s[6:7]
	s_cbranch_execz .LBB0_20
; %bb.11:
	s_load_dwordx2 s[0:1], s[0:1], 0x20
	s_ashr_i32 s15, s14, 31
	s_sub_i32 s50, s48, s17
	s_lshl_b64 s[8:9], s[14:15], 2
	v_bfe_u32 v9, v0, 3, 3
	s_waitcnt lgkmcnt(0)
	s_add_u32 s0, s0, s8
	s_addc_u32 s1, s1, s9
	s_abs_i32 s15, s18
	v_cvt_f32_u32_e32 v3, s15
	v_lshlrev_b32_e32 v4, 4, v9
	v_mov_b32_e32 v5, 0
	v_lshl_add_u64 v[12:13], s[0:1], 0, v[4:5]
	v_rcp_iflag_f32_e32 v3, v3
	v_and_b32_e32 v4, 3, v0
	v_lshlrev_b32_e32 v4, 2, v4
	s_sub_i32 s8, 0, s15
	v_mul_f32_e32 v3, 0x4f7ffffe, v3
	v_cvt_u32_f32_e32 v3, v3
	v_cmp_eq_u32_e32 vcc, 0, v2
	v_lshl_add_u64 v[14:15], v[12:13], 0, v[4:5]
	v_lshlrev_b32_e32 v12, 4, v2
	v_mul_lo_u32 v2, s8, v3
	v_mul_hi_u32 v2, v3, v2
	v_add_u32_e32 v13, v3, v2
	v_lshlrev_b32_e32 v2, 5, v0
	v_lshlrev_b32_e32 v16, 2, v9
	v_and_b32_e32 v4, 0x80, v2
	v_lshl_add_u64 v[2:3], v[14:15], 0, v[4:5]
	s_lshl_b64 s[8:9], s[34:35], 2
	v_lshl_or_b32 v14, v7, 5, v16
	s_add_u32 s8, s30, s8
	v_add_u32_e32 v16, 0x90, v14
	v_subrev_u32_e32 v14, s29, v9
	v_mbcnt_hi_u32_b32 v19, -1, v8
	s_addc_u32 s9, s31, s9
	v_add_u32_e32 v17, 1, v14
	v_and_b32_e32 v14, 64, v19
	s_mov_b32 s51, s13
	v_cmp_neq_f32_e64 s[0:1], s3, 0
	v_lshl_add_u64 v[4:5], v[10:11], 2, s[8:9]
	v_lshl_add_u32 v15, v7, 3, s49
	s_mov_b64 s[42:43], 0
	v_mov_b32_e32 v18, 0xff7fffff
	v_add_u32_e32 v20, 64, v14
	v_xor_b32_e32 v21, 4, v19
	v_xor_b32_e32 v22, 2, v19
	;; [unrolled: 1-line block ×3, first 2 shown]
	v_mov_b32_e32 v14, 0xff7fffff
	v_mov_b32_e32 v24, v10
	s_branch .LBB0_14
.LBB0_12:                               ;   in Loop: Header=BB0_14 Depth=1
	s_or_b64 exec, exec, s[44:45]
.LBB0_13:                               ;   in Loop: Header=BB0_14 Depth=1
	s_or_b64 exec, exec, s[10:11]
	v_add_u32_e32 v24, 2, v24
	v_cmp_le_i32_e64 s[8:9], s46, v24
	v_lshl_add_u64 v[4:5], v[4:5], 0, 8
	v_add_u32_e32 v15, 16, v15
	s_or_b64 s[42:43], s[8:9], s[42:43]
	v_add_u32_e32 v16, 64, v16
	s_andn2_b64 exec, exec, s[42:43]
	s_cbranch_execz .LBB0_19
.LBB0_14:                               ; =>This Inner Loop Header: Depth=1
	s_waitcnt lgkmcnt(0)
	v_sub_u32_e32 v26, 0, v15
	v_max_i32_e32 v26, v15, v26
	v_mul_hi_u32 v27, v26, s25
	v_mul_lo_u32 v28, v27, s12
	v_sub_u32_e32 v26, v26, v28
	v_add_u32_e32 v28, 1, v27
	v_cmp_le_u32_e64 s[8:9], s12, v26
	v_ashrrev_i32_e32 v25, 31, v15
	v_xor_b32_e32 v25, s19, v25
	v_cndmask_b32_e64 v27, v27, v28, s[8:9]
	v_subrev_u32_e32 v28, s12, v26
	v_cndmask_b32_e64 v26, v26, v28, s[8:9]
	v_add_u32_e32 v28, 1, v27
	v_cmp_le_u32_e64 s[8:9], s12, v26
	s_nop 1
	v_cndmask_b32_e64 v26, v27, v28, s[8:9]
	v_xor_b32_e32 v26, v26, v25
	v_sub_u32_e32 v25, v26, v25
	v_add_u32_e32 v26, s33, v25
	v_sub_u32_e32 v28, 0, v26
	v_ashrrev_i32_e32 v27, 31, v26
	v_max_i32_e32 v26, v26, v28
	v_mul_hi_u32 v28, v26, v13
	v_mul_lo_u32 v28, v28, s15
	v_sub_u32_e32 v26, v26, v28
	v_subrev_u32_e32 v28, s15, v26
	v_cmp_le_u32_e64 s[8:9], s15, v26
	v_cmp_ge_i32_e64 s[10:11], s50, v25
	s_nop 0
	v_cndmask_b32_e64 v26, v26, v28, s[8:9]
	v_subrev_u32_e32 v28, s15, v26
	v_cmp_le_u32_e64 s[8:9], s15, v26
	s_nop 1
	v_cndmask_b32_e64 v26, v26, v28, s[8:9]
	v_xor_b32_e32 v26, v26, v27
	v_sub_u32_e32 v26, v26, v27
	v_cmp_ne_u32_e64 s[8:9], 0, v26
	s_and_b64 s[8:9], s[8:9], s[10:11]
	s_and_b64 s[44:45], vcc, s[8:9]
	s_and_saveexec_b64 s[10:11], s[44:45]
	s_cbranch_execz .LBB0_16
; %bb.15:                               ;   in Loop: Header=BB0_14 Depth=1
	ds_write_b32 v16, v18
.LBB0_16:                               ;   in Loop: Header=BB0_14 Depth=1
	s_or_b64 exec, exec, s[10:11]
	s_xor_b64 s[8:9], s[8:9], -1
	s_and_saveexec_b64 s[10:11], s[8:9]
	s_cbranch_execz .LBB0_13
; %bb.17:                               ;   in Loop: Header=BB0_14 Depth=1
	global_load_dword v25, v[4:5], off
	s_waitcnt vmcnt(0)
	v_mad_i64_i32 v[26:27], s[8:9], v25, s51, 0
	v_lshl_add_u64 v[26:27], v[26:27], 2, v[2:3]
	global_load_dword v25, v[26:27], off offset:256
	global_load_dword v30, v[26:27], off
	global_load_dword v31, v[26:27], off offset:512
	global_load_dword v32, v[26:27], off offset:768
	ds_read_b128 v[26:29], v12
	v_cmp_lt_i32_e64 s[8:9], v21, v20
	s_waitcnt vmcnt(3) lgkmcnt(0)
	v_mul_f32_e32 v25, v27, v25
	s_waitcnt vmcnt(2)
	v_fmac_f32_e32 v25, v26, v30
	v_cndmask_b32_e64 v33, v19, v21, s[8:9]
	s_waitcnt vmcnt(1)
	v_fmac_f32_e32 v25, v28, v31
	v_lshlrev_b32_e32 v33, 2, v33
	s_waitcnt vmcnt(0)
	v_fmac_f32_e32 v25, v29, v32
	ds_bpermute_b32 v26, v33, v25
	v_cmp_lt_i32_e64 s[8:9], v22, v20
	s_waitcnt lgkmcnt(0)
	v_add_f32_e32 v25, v25, v26
	v_cndmask_b32_e64 v27, v19, v22, s[8:9]
	v_lshlrev_b32_e32 v27, 2, v27
	ds_bpermute_b32 v26, v27, v25
	v_cmp_lt_i32_e64 s[8:9], v23, v20
	s_waitcnt lgkmcnt(0)
	v_add_f32_e32 v25, v25, v26
	v_cndmask_b32_e64 v27, v19, v23, s[8:9]
	v_lshlrev_b32_e32 v27, 2, v27
	ds_bpermute_b32 v26, v27, v25
	s_and_saveexec_b64 s[44:45], vcc
	s_cbranch_execz .LBB0_12
; %bb.18:                               ;   in Loop: Header=BB0_14 Depth=1
	v_add_u32_e32 v27, v17, v15
	v_cvt_f32_i32_e32 v27, v27
	s_waitcnt lgkmcnt(0)
	v_add_f32_e32 v25, v25, v26
	v_add_u32_e32 v28, v9, v15
	v_cmp_gt_i32_e64 s[8:9], s29, v28
	v_mul_f32_e32 v26, s3, v27
	v_cndmask_b32_e64 v26, 0, v26, s[0:1]
	v_fmac_f32_e32 v26, s39, v25
	v_cndmask_b32_e64 v25, 0, v26, s[8:9]
	ds_write_b32 v16, v25
	v_max_f32_e32 v25, v14, v14
	v_max_f32_e32 v25, v25, v26
	v_cndmask_b32_e64 v14, v14, v25, s[8:9]
	s_branch .LBB0_12
.LBB0_19:
	s_or_b64 exec, exec, s[42:43]
.LBB0_20:
	s_or_b64 exec, exec, s[40:41]
	v_mbcnt_hi_u32_b32 v2, -1, v8
	v_and_b32_e32 v3, 64, v2
	v_add_u32_e32 v3, 64, v3
	v_xor_b32_e32 v4, 32, v2
	v_cmp_lt_i32_e32 vcc, v4, v3
	v_xor_b32_e32 v9, 16, v2
	v_max_f32_e32 v5, v14, v14
	v_cndmask_b32_e32 v4, v2, v4, vcc
	v_lshlrev_b32_e32 v8, 2, v4
	ds_bpermute_b32 v4, v8, v14
	v_cmp_lt_i32_e32 vcc, v9, v3
	v_and_b32_e32 v18, 63, v0
	s_waitcnt lgkmcnt(0)
	v_max_f32_e32 v4, v4, v4
	v_max_f32_e32 v4, v5, v4
	v_cndmask_b32_e32 v5, v2, v9, vcc
	v_lshlrev_b32_e32 v12, 2, v5
	ds_bpermute_b32 v5, v12, v4
	v_xor_b32_e32 v9, 8, v2
	v_cmp_lt_i32_e32 vcc, v9, v3
	s_waitcnt lgkmcnt(0)
	v_max_f32_e32 v5, v5, v5
	v_max_f32_e32 v4, v4, v5
	v_cndmask_b32_e32 v5, v2, v9, vcc
	v_lshlrev_b32_e32 v13, 2, v5
	ds_bpermute_b32 v9, v13, v4
	v_cmp_eq_u32_e32 vcc, 0, v18
	v_lshlrev_b32_e32 v5, 2, v7
	s_and_saveexec_b64 s[0:1], vcc
	s_cbranch_execz .LBB0_22
; %bb.21:
	s_waitcnt lgkmcnt(0)
	v_max_f32_e32 v9, v9, v9
	v_max_f32_e32 v4, v4, v4
	;; [unrolled: 1-line block ×3, first 2 shown]
	ds_write_b32 v5, v4 offset:128
.LBB0_22:
	s_or_b64 exec, exec, s[0:1]
	v_cmp_gt_u32_e64 s[0:1], 2, v18
	v_mov_b32_e32 v4, 0xff7fffff
	s_waitcnt lgkmcnt(0)
	v_lshlrev_b32_e32 v9, 2, v18
	s_barrier
	s_and_saveexec_b64 s[8:9], s[0:1]
	s_cbranch_execz .LBB0_24
; %bb.23:
	ds_read_b32 v4, v9 offset:128
.LBB0_24:
	s_or_b64 exec, exec, s[8:9]
	v_xor_b32_e32 v14, 1, v2
	v_cmp_lt_i32_e64 s[8:9], v14, v3
	s_sub_i32 s3, s46, s38
	s_lshl_b32 s3, s3, 3
	v_cndmask_b32_e64 v14, v2, v14, s[8:9]
	v_lshlrev_b32_e32 v19, 2, v14
	s_waitcnt lgkmcnt(0)
	ds_bpermute_b32 v14, v19, v4
	v_max_f32_e32 v4, v4, v4
	s_add_i32 s3, s3, s49
	s_min_i32 s15, s3, s29
	s_sub_i32 s3, s15, s49
	s_waitcnt lgkmcnt(0)
	v_max_f32_e32 v14, v14, v14
	v_max_f32_e32 v4, v4, v14
	v_lshlrev_b32_e32 v14, 2, v2
	v_and_b32_e32 v14, 0x100, v14
	ds_bpermute_b32 v4, v14, v4
	v_cmp_gt_i32_e64 s[8:9], s3, v0
	v_mov_b32_e32 v15, 0
	s_and_saveexec_b64 s[38:39], s[8:9]
	s_cbranch_execz .LBB0_28
; %bb.25:
	v_mov_b32_e32 v15, 0x90
	v_lshl_add_u32 v16, v0, 2, v15
	s_mov_b64 s[40:41], 0
	v_mov_b32_e32 v15, 0
	v_mov_b32_e32 v17, v0
.LBB0_26:                               ; =>This Inner Loop Header: Depth=1
	ds_read_b32 v20, v16
	v_add_u32_e32 v17, 0x80, v17
	v_cmp_le_i32_e64 s[10:11], s3, v17
	s_or_b64 s[40:41], s[10:11], s[40:41]
	s_waitcnt lgkmcnt(0)
	v_sub_f32_e32 v20, v20, v4
	v_mul_f32_e32 v20, 0x3fb8aa3b, v20
	v_exp_f32_e32 v20, v20
	ds_write_b32 v16, v20
	v_add_f32_e32 v15, v15, v20
	v_add_u32_e32 v16, 0x200, v16
	s_andn2_b64 exec, exec, s[40:41]
	s_cbranch_execnz .LBB0_26
; %bb.27:
	s_or_b64 exec, exec, s[40:41]
.LBB0_28:
	s_or_b64 exec, exec, s[38:39]
	ds_bpermute_b32 v8, v8, v15
	s_waitcnt lgkmcnt(0)
	v_add_f32_e32 v8, v15, v8
	ds_bpermute_b32 v12, v12, v8
	s_waitcnt lgkmcnt(0)
	v_add_f32_e32 v8, v8, v12
	ds_bpermute_b32 v12, v13, v8
	v_xor_b32_e32 v13, 4, v2
	v_cmp_lt_i32_e64 s[10:11], v13, v3
	s_waitcnt lgkmcnt(0)
	v_add_f32_e32 v8, v8, v12
	v_cndmask_b32_e64 v13, v2, v13, s[10:11]
	v_lshlrev_b32_e32 v13, 2, v13
	ds_bpermute_b32 v12, v13, v8
	v_xor_b32_e32 v13, 2, v2
	v_cmp_lt_i32_e64 s[10:11], v13, v3
	s_waitcnt lgkmcnt(0)
	v_add_f32_e32 v3, v8, v12
	v_cndmask_b32_e64 v2, v2, v13, s[10:11]
	v_lshlrev_b32_e32 v2, 2, v2
	ds_bpermute_b32 v2, v2, v3
	s_waitcnt lgkmcnt(0)
	v_add_f32_e32 v2, v3, v2
	ds_bpermute_b32 v3, v19, v2
	s_waitcnt lgkmcnt(0)
	v_add_f32_e32 v2, v2, v3
	s_and_saveexec_b64 s[10:11], vcc
	s_cbranch_execz .LBB0_30
; %bb.29:
	ds_write_b32 v5, v2 offset:136
.LBB0_30:
	s_or_b64 exec, exec, s[10:11]
	s_waitcnt lgkmcnt(0)
	s_barrier
	s_and_saveexec_b64 s[10:11], s[0:1]
	s_cbranch_execz .LBB0_32
; %bb.31:
	ds_read_b32 v2, v9 offset:136
.LBB0_32:
	s_or_b64 exec, exec, s[10:11]
	s_waitcnt lgkmcnt(0)
	ds_bpermute_b32 v3, v19, v2
	s_waitcnt lgkmcnt(0)
	v_add_f32_e32 v2, v2, v3
	ds_bpermute_b32 v5, v14, v2
	s_and_saveexec_b64 s[0:1], s[8:9]
	s_cbranch_execz .LBB0_45
; %bb.33:
	s_waitcnt lgkmcnt(0)
	v_add_f32_e32 v2, 0x358637bd, v5
	v_div_scale_f32 v3, s[8:9], v2, v2, 1.0
	v_rcp_f32_e32 v8, v3
	v_div_scale_f32 v9, vcc, 1.0, v2, 1.0
	s_movk_i32 s8, 0x7f
	v_fma_f32 v12, -v3, v8, 1.0
	v_fmac_f32_e32 v8, v12, v8
	v_mul_f32_e32 v12, v9, v8
	v_fma_f32 v13, -v3, v12, v9
	v_fmac_f32_e32 v12, v13, v8
	v_fma_f32 v3, -v3, v12, v9
	v_div_fmas_f32 v3, v3, v8, v12
	v_div_fixup_f32 v2, v3, v2, 1.0
	v_xad_u32 v3, v0, -1, s15
	v_subrev_u32_e32 v8, s49, v3
	v_cmp_lt_u32_e32 vcc, s8, v8
	s_mov_b64 s[10:11], -1
	v_mov_b32_e32 v3, v0
	s_and_saveexec_b64 s[8:9], vcc
	s_cbranch_execz .LBB0_42
; %bb.34:
	v_lshrrev_b32_e32 v8, 7, v8
	v_add_u32_e32 v12, -1, v8
	v_lshrrev_b32_e32 v9, 1, v12
	v_mov_b32_e32 v3, v2
	v_add_u32_e32 v9, 1, v9
	v_cmp_lt_u32_e32 vcc, 13, v12
	v_mov_b32_e32 v14, 0
	s_and_saveexec_b64 s[10:11], vcc
	s_cbranch_execz .LBB0_38
; %bb.35:
	v_mov_b32_e32 v13, 0x90
	v_and_b32_e32 v12, -8, v9
	v_lshl_add_u32 v13, v0, 2, v13
	s_mov_b32 s15, 0
	s_mov_b64 s[38:39], 0
.LBB0_36:                               ; =>This Inner Loop Header: Depth=1
	ds_read2st64_b32 v[14:15], v13 offset1:2
	ds_read2st64_b32 v[16:17], v13 offset0:4 offset1:6
	ds_read2st64_b32 v[20:21], v13 offset0:8 offset1:10
	;; [unrolled: 1-line block ×3, first 2 shown]
	v_add_u32_e32 v12, -8, v12
	s_waitcnt lgkmcnt(3)
	v_pk_mul_f32 v[14:15], v[2:3], v[14:15]
	s_waitcnt lgkmcnt(2)
	v_pk_mul_f32 v[16:17], v[2:3], v[16:17]
	ds_write2st64_b32 v13, v14, v15 offset1:2
	ds_write2st64_b32 v13, v16, v17 offset0:4 offset1:6
	ds_read2st64_b32 v[16:17], v13 offset0:16 offset1:18
	s_waitcnt lgkmcnt(4)
	v_pk_mul_f32 v[14:15], v[2:3], v[20:21]
	ds_write2st64_b32 v13, v14, v15 offset0:8 offset1:10
	s_waitcnt lgkmcnt(4)
	v_pk_mul_f32 v[14:15], v[2:3], v[22:23]
	ds_write2st64_b32 v13, v14, v15 offset0:12 offset1:14
	ds_read2st64_b32 v[14:15], v13 offset0:20 offset1:22
	s_waitcnt lgkmcnt(3)
	v_pk_mul_f32 v[16:17], v[2:3], v[16:17]
	ds_read2st64_b32 v[20:21], v13 offset0:24 offset1:26
	ds_write2st64_b32 v13, v16, v17 offset0:16 offset1:18
	ds_read2st64_b32 v[16:17], v13 offset0:28 offset1:30
	s_waitcnt lgkmcnt(3)
	v_pk_mul_f32 v[14:15], v[2:3], v[14:15]
	ds_write2st64_b32 v13, v14, v15 offset0:20 offset1:22
	s_waitcnt lgkmcnt(3)
	v_pk_mul_f32 v[14:15], v[2:3], v[20:21]
	ds_write2st64_b32 v13, v14, v15 offset0:24 offset1:26
	s_waitcnt lgkmcnt(2)
	v_pk_mul_f32 v[14:15], v[2:3], v[16:17]
	s_add_i32 s15, s15, 16
	v_cmp_eq_u32_e32 vcc, 0, v12
	ds_write2st64_b32 v13, v14, v15 offset0:28 offset1:30
	v_add_u32_e32 v13, 0x2000, v13
	s_or_b64 s[38:39], vcc, s[38:39]
	v_mov_b32_e32 v14, s15
	s_andn2_b64 exec, exec, s[38:39]
	s_cbranch_execnz .LBB0_36
; %bb.37:
	s_or_b64 exec, exec, s[38:39]
.LBB0_38:
	s_or_b64 exec, exec, s[10:11]
	v_and_b32_e32 v9, 7, v9
	v_cmp_ne_u32_e32 vcc, 0, v9
	s_and_saveexec_b64 s[10:11], vcc
	s_cbranch_execz .LBB0_41
; %bb.39:
	v_lshlrev_b32_e32 v12, 9, v14
	s_movk_i32 s15, 0x90
	v_add3_u32 v12, v12, v6, s15
	s_mov_b64 s[38:39], 0
.LBB0_40:                               ; =>This Inner Loop Header: Depth=1
	ds_read2st64_b32 v[14:15], v12 offset1:2
	v_add_u32_e32 v9, -1, v9
	v_cmp_eq_u32_e32 vcc, 0, v9
	s_or_b64 s[38:39], vcc, s[38:39]
	s_waitcnt lgkmcnt(0)
	v_pk_mul_f32 v[14:15], v[2:3], v[14:15]
	ds_write2st64_b32 v12, v14, v15 offset1:2
	v_add_u32_e32 v12, 0x400, v12
	s_andn2_b64 exec, exec, s[38:39]
	s_cbranch_execnz .LBB0_40
.LBB0_41:
	s_or_b64 exec, exec, s[10:11]
	v_add_u32_e32 v8, 1, v8
	v_and_b32_e32 v9, 0x3fffffe, v8
	v_cmp_ne_u32_e32 vcc, v8, v9
	v_lshl_add_u32 v3, v9, 7, v0
	s_orn2_b64 s[10:11], vcc, exec
.LBB0_42:
	s_or_b64 exec, exec, s[8:9]
	s_and_b64 exec, exec, s[10:11]
	s_cbranch_execz .LBB0_45
; %bb.43:
	v_mov_b32_e32 v8, 0x90
	v_lshl_add_u32 v8, v3, 2, v8
	s_mov_b64 s[8:9], 0
.LBB0_44:                               ; =>This Inner Loop Header: Depth=1
	ds_read_b32 v9, v8
	v_add_u32_e32 v3, 0x80, v3
	v_cmp_le_i32_e32 vcc, s3, v3
	s_or_b64 s[8:9], vcc, s[8:9]
	s_waitcnt lgkmcnt(0)
	v_mul_f32_e32 v9, v2, v9
	ds_write_b32 v8, v9
	v_add_u32_e32 v8, 0x200, v8
	s_andn2_b64 exec, exec, s[8:9]
	s_cbranch_execnz .LBB0_44
.LBB0_45:
	s_or_b64 exec, exec, s[0:1]
	s_mul_i32 s0, s16, s28
	v_cmp_eq_u32_e32 vcc, 0, v0
	s_mul_i32 s8, s0, s5
	s_waitcnt lgkmcnt(0)
	s_barrier
	s_and_saveexec_b64 s[0:1], vcc
	s_cbranch_execz .LBB0_47
; %bb.46:
	s_ashr_i32 s9, s8, 31
	s_lshl_b64 s[10:11], s[8:9], 2
	s_add_u32 s5, s22, s10
	s_mul_i32 s2, s16, s2
	s_addc_u32 s9, s23, s11
	s_ashr_i32 s3, s2, 31
	s_lshl_b64 s[2:3], s[2:3], 2
	s_add_u32 s15, s5, s2
	s_addc_u32 s9, s9, s3
	s_ashr_i32 s5, s4, 31
	s_lshl_b64 s[22:23], s[4:5], 2
	s_add_u32 s38, s15, s22
	s_addc_u32 s39, s9, s23
	s_add_u32 s5, s20, s10
	s_addc_u32 s9, s21, s11
	;; [unrolled: 2-line block ×3, first 2 shown]
	s_add_u32 s2, s2, s22
	v_mov_b32_e32 v2, 0
	s_addc_u32 s3, s3, s23
	global_store_dword v2, v4, s[38:39]
	global_store_dword v2, v5, s[2:3]
.LBB0_47:
	s_or_b64 exec, exec, s[0:1]
	v_mov_b32_e32 v13, 0
	s_and_saveexec_b64 s[2:3], s[6:7]
	s_cbranch_execz .LBB0_55
; %bb.48:
	s_ashr_i32 s15, s14, 31
	s_sub_i32 s5, s48, s17
	s_lshl_b64 s[0:1], s[14:15], 2
	s_add_u32 s0, s36, s0
	s_addc_u32 s1, s37, s1
	s_abs_i32 s9, s18
	v_cvt_f32_u32_e32 v2, s9
	v_lshlrev_b32_e32 v3, 4, v0
	v_and_b32_e32 v12, 0x3f0, v3
	v_mov_b32_e32 v13, 0
	v_rcp_iflag_f32_e32 v2, v2
	v_lshl_add_u64 v[14:15], s[0:1], 0, v[12:13]
	s_sub_i32 s0, 0, s9
	s_add_i32 s47, s47, -1
	v_mul_f32_e32 v2, 0x4f7ffffe, v2
	v_cvt_u32_f32_e32 v2, v2
	v_and_b32_e32 v20, 4, v6
	s_mov_b64 s[6:7], 0
	v_mul_lo_u32 v3, s0, v2
	v_mul_hi_u32 v3, v2, v3
	v_add_u32_e32 v12, v2, v3
	s_lshl_b64 s[0:1], s[34:35], 2
	v_and_b32_e32 v2, 1, v0
	s_add_u32 s0, s30, s0
	v_lshlrev_b32_e32 v2, 4, v2
	s_addc_u32 s1, s31, s1
	v_lshl_or_b32 v2, v7, 5, v2
	v_lshl_add_u64 v[16:17], v[10:11], 2, s[0:1]
	v_add_u32_e32 v11, 0x90, v2
	s_branch .LBB0_51
.LBB0_49:                               ;   in Loop: Header=BB0_51 Depth=1
	s_or_b64 exec, exec, s[10:11]
	s_waitcnt vmcnt(0) lgkmcnt(0)
	v_mul_f32_e32 v3, v7, v3
	v_fmac_f32_e32 v3, v6, v2
	v_fmac_f32_e32 v3, v8, v4
	;; [unrolled: 1-line block ×3, first 2 shown]
	v_add_f32_e32 v13, v13, v3
.LBB0_50:                               ;   in Loop: Header=BB0_51 Depth=1
	s_or_b64 exec, exec, s[0:1]
	v_add_u32_e32 v10, 2, v10
	v_cmp_le_i32_e32 vcc, s46, v10
	v_lshl_add_u64 v[16:17], v[16:17], 0, 8
	v_add_u32_e32 v1, 16, v1
	s_or_b64 s[6:7], vcc, s[6:7]
	v_add_u32_e32 v11, 64, v11
	s_andn2_b64 exec, exec, s[6:7]
	s_cbranch_execz .LBB0_54
.LBB0_51:                               ; =>This Inner Loop Header: Depth=1
	v_sub_u32_e32 v3, 0, v1
	v_max_i32_e32 v3, v1, v3
	v_mul_hi_u32 v4, v3, s25
	v_mul_lo_u32 v5, v4, s12
	v_sub_u32_e32 v3, v3, v5
	v_add_u32_e32 v5, 1, v4
	v_cmp_le_u32_e32 vcc, s12, v3
	v_ashrrev_i32_e32 v2, 31, v1
	v_xor_b32_e32 v2, s19, v2
	v_cndmask_b32_e32 v4, v4, v5, vcc
	v_subrev_u32_e32 v5, s12, v3
	v_cndmask_b32_e32 v3, v3, v5, vcc
	v_add_u32_e32 v5, 1, v4
	v_cmp_le_u32_e32 vcc, s12, v3
	s_nop 1
	v_cndmask_b32_e32 v3, v4, v5, vcc
	v_xor_b32_e32 v3, v3, v2
	v_sub_u32_e32 v2, v3, v2
	v_add_u32_e32 v3, s33, v2
	v_sub_u32_e32 v5, 0, v3
	v_ashrrev_i32_e32 v4, 31, v3
	v_max_i32_e32 v3, v3, v5
	v_mul_hi_u32 v5, v3, v12
	v_mul_lo_u32 v5, v5, s9
	v_sub_u32_e32 v3, v3, v5
	v_subrev_u32_e32 v5, s9, v3
	v_cmp_le_u32_e32 vcc, s9, v3
	v_cmp_lt_i32_e64 s[0:1], s5, v2
	s_nop 0
	v_cndmask_b32_e32 v3, v3, v5, vcc
	v_subrev_u32_e32 v5, s9, v3
	v_cmp_le_u32_e32 vcc, s9, v3
	s_nop 1
	v_cndmask_b32_e32 v3, v3, v5, vcc
	v_xor_b32_e32 v3, v3, v4
	v_sub_u32_e32 v3, v3, v4
	v_cmp_eq_u32_e32 vcc, 0, v3
	s_or_b64 s[10:11], vcc, s[0:1]
	s_and_saveexec_b64 s[0:1], s[10:11]
	s_cbranch_execz .LBB0_50
; %bb.52:                               ;   in Loop: Header=BB0_51 Depth=1
	global_load_dword v2, v[16:17], off
	ds_read_b128 v[6:9], v11
	v_cmp_eq_u32_e32 vcc, s47, v10
	s_waitcnt vmcnt(0)
	v_mad_i64_i32 v[2:3], s[10:11], v2, s13, 0
	v_lshl_add_u64 v[2:3], v[2:3], 2, v[14:15]
	global_load_dwordx4 v[2:5], v[2:3], off
	s_and_saveexec_b64 s[10:11], vcc
	s_cbranch_execz .LBB0_49
; %bb.53:                               ;   in Loop: Header=BB0_51 Depth=1
	v_add_u32_e32 v21, v20, v1
	v_cmp_gt_i32_e32 vcc, s29, v21
	v_add_u32_e32 v22, 1, v21
	s_waitcnt vmcnt(0)
	v_cndmask_b32_e32 v2, 0, v2, vcc
	v_cmp_gt_i32_e32 vcc, s29, v22
	v_add_u32_e32 v22, 2, v21
	v_add_u32_e32 v21, 3, v21
	v_cndmask_b32_e32 v3, 0, v3, vcc
	v_cmp_gt_i32_e32 vcc, s29, v22
	s_nop 1
	v_cndmask_b32_e32 v4, 0, v4, vcc
	v_cmp_gt_i32_e32 vcc, s29, v21
	s_nop 1
	v_cndmask_b32_e32 v5, 0, v5, vcc
	s_branch .LBB0_49
.LBB0_54:
	s_or_b64 exec, exec, s[6:7]
.LBB0_55:
	s_or_b64 exec, exec, s[2:3]
	ds_bpermute_b32 v1, v19, v13
	v_and_b32_e32 v2, 0x3c1, v0
	v_cmp_eq_u32_e32 vcc, 64, v2
	s_waitcnt lgkmcnt(0)
	s_barrier
	v_add_f32_e32 v1, v13, v1
	s_and_saveexec_b64 s[0:1], vcc
	s_cbranch_execz .LBB0_57
; %bb.56:
	v_mov_b32_e32 v3, 0x90
	v_lshl_add_u32 v3, v18, 1, v3
	ds_write_b32 v3, v1
.LBB0_57:
	s_or_b64 exec, exec, s[0:1]
	v_cmp_eq_u32_e32 vcc, 0, v2
	s_waitcnt lgkmcnt(0)
	s_barrier
	s_and_saveexec_b64 s[0:1], vcc
	s_cbranch_execz .LBB0_59
; %bb.58:
	v_mov_b32_e32 v2, 0x90
	v_lshl_add_u32 v2, v0, 1, v2
	ds_read_b32 v2, v2
	s_waitcnt lgkmcnt(0)
	v_add_f32_e32 v1, v1, v2
.LBB0_59:
	s_or_b64 exec, exec, s[0:1]
	s_barrier
	s_and_saveexec_b64 s[0:1], vcc
	s_cbranch_execz .LBB0_61
; %bb.60:
	s_lshl_b32 s0, s8, 5
	s_ashr_i32 s1, s0, 31
	s_lshl_b64 s[0:1], s[0:1], 2
	s_add_u32 s2, s26, s0
	s_mul_i32 s0, s16, s24
	s_addc_u32 s3, s27, s1
	s_ashr_i32 s1, s0, 31
	s_lshl_b64 s[0:1], s[0:1], 2
	s_add_u32 s2, s2, s0
	s_addc_u32 s3, s3, s1
	s_lshl_b32 s0, s4, 5
	s_ashr_i32 s1, s0, 31
	s_lshl_b64 s[0:1], s[0:1], 2
	s_add_u32 s0, s2, s0
	s_addc_u32 s1, s3, s1
	v_lshlrev_b32_e32 v0, 1, v0
	global_store_dword v0, v1, s[0:1]
.LBB0_61:
	s_endpgm
	.section	.rodata,"a",@progbits
	.p2align	6, 0x0
	.amdhsa_kernel _ZN4vllm25paged_attention_v2_kernelIffLi32ELi8ELi128ELNS_18Fp8KVCacheDataTypeE0ELb1ELi512EEEvPfS2_PT_PKS3_PKT0_S9_ifPKiSB_iPKfiiiSD_SD_iiiii
		.amdhsa_group_segment_fixed_size 144
		.amdhsa_private_segment_fixed_size 0
		.amdhsa_kernarg_size 400
		.amdhsa_user_sgpr_count 2
		.amdhsa_user_sgpr_dispatch_ptr 0
		.amdhsa_user_sgpr_queue_ptr 0
		.amdhsa_user_sgpr_kernarg_segment_ptr 1
		.amdhsa_user_sgpr_dispatch_id 0
		.amdhsa_user_sgpr_kernarg_preload_length 0
		.amdhsa_user_sgpr_kernarg_preload_offset 0
		.amdhsa_user_sgpr_private_segment_size 0
		.amdhsa_uses_dynamic_stack 0
		.amdhsa_enable_private_segment 0
		.amdhsa_system_sgpr_workgroup_id_x 1
		.amdhsa_system_sgpr_workgroup_id_y 1
		.amdhsa_system_sgpr_workgroup_id_z 1
		.amdhsa_system_sgpr_workgroup_info 0
		.amdhsa_system_vgpr_workitem_id 0
		.amdhsa_next_free_vgpr 34
		.amdhsa_next_free_sgpr 52
		.amdhsa_accum_offset 36
		.amdhsa_reserve_vcc 1
		.amdhsa_float_round_mode_32 0
		.amdhsa_float_round_mode_16_64 0
		.amdhsa_float_denorm_mode_32 3
		.amdhsa_float_denorm_mode_16_64 3
		.amdhsa_dx10_clamp 1
		.amdhsa_ieee_mode 1
		.amdhsa_fp16_overflow 0
		.amdhsa_tg_split 0
		.amdhsa_exception_fp_ieee_invalid_op 0
		.amdhsa_exception_fp_denorm_src 0
		.amdhsa_exception_fp_ieee_div_zero 0
		.amdhsa_exception_fp_ieee_overflow 0
		.amdhsa_exception_fp_ieee_underflow 0
		.amdhsa_exception_fp_ieee_inexact 0
		.amdhsa_exception_int_div_zero 0
	.end_amdhsa_kernel
	.section	.text._ZN4vllm25paged_attention_v2_kernelIffLi32ELi8ELi128ELNS_18Fp8KVCacheDataTypeE0ELb1ELi512EEEvPfS2_PT_PKS3_PKT0_S9_ifPKiSB_iPKfiiiSD_SD_iiiii,"axG",@progbits,_ZN4vllm25paged_attention_v2_kernelIffLi32ELi8ELi128ELNS_18Fp8KVCacheDataTypeE0ELb1ELi512EEEvPfS2_PT_PKS3_PKT0_S9_ifPKiSB_iPKfiiiSD_SD_iiiii,comdat
.Lfunc_end0:
	.size	_ZN4vllm25paged_attention_v2_kernelIffLi32ELi8ELi128ELNS_18Fp8KVCacheDataTypeE0ELb1ELi512EEEvPfS2_PT_PKS3_PKT0_S9_ifPKiSB_iPKfiiiSD_SD_iiiii, .Lfunc_end0-_ZN4vllm25paged_attention_v2_kernelIffLi32ELi8ELi128ELNS_18Fp8KVCacheDataTypeE0ELb1ELi512EEEvPfS2_PT_PKS3_PKT0_S9_ifPKiSB_iPKfiiiSD_SD_iiiii
                                        ; -- End function
	.section	.AMDGPU.csdata,"",@progbits
; Kernel info:
; codeLenInByte = 3908
; NumSgprs: 58
; NumVgprs: 34
; NumAgprs: 0
; TotalNumVgprs: 34
; ScratchSize: 0
; MemoryBound: 0
; FloatMode: 240
; IeeeMode: 1
; LDSByteSize: 144 bytes/workgroup (compile time only)
; SGPRBlocks: 7
; VGPRBlocks: 4
; NumSGPRsForWavesPerEU: 58
; NumVGPRsForWavesPerEU: 34
; AccumOffset: 36
; Occupancy: 8
; WaveLimiterHint : 1
; COMPUTE_PGM_RSRC2:SCRATCH_EN: 0
; COMPUTE_PGM_RSRC2:USER_SGPR: 2
; COMPUTE_PGM_RSRC2:TRAP_HANDLER: 0
; COMPUTE_PGM_RSRC2:TGID_X_EN: 1
; COMPUTE_PGM_RSRC2:TGID_Y_EN: 1
; COMPUTE_PGM_RSRC2:TGID_Z_EN: 1
; COMPUTE_PGM_RSRC2:TIDIG_COMP_CNT: 0
; COMPUTE_PGM_RSRC3_GFX90A:ACCUM_OFFSET: 8
; COMPUTE_PGM_RSRC3_GFX90A:TG_SPLIT: 0
	.section	.text._ZN4vllm32paged_attention_v2_reduce_kernelIfLi32ELi128ELi512EEEvPT_PKfS4_PKS1_PKii,"axG",@progbits,_ZN4vllm32paged_attention_v2_reduce_kernelIfLi32ELi128ELi512EEEvPT_PKfS4_PKS1_PKii,comdat
	.protected	_ZN4vllm32paged_attention_v2_reduce_kernelIfLi32ELi128ELi512EEEvPT_PKfS4_PKS1_PKii ; -- Begin function _ZN4vllm32paged_attention_v2_reduce_kernelIfLi32ELi128ELi512EEEvPT_PKfS4_PKS1_PKii
	.globl	_ZN4vllm32paged_attention_v2_reduce_kernelIfLi32ELi128ELi512EEEvPT_PKfS4_PKS1_PKii
	.p2align	8
	.type	_ZN4vllm32paged_attention_v2_reduce_kernelIfLi32ELi128ELi512EEEvPT_PKfS4_PKS1_PKii,@function
_ZN4vllm32paged_attention_v2_reduce_kernelIfLi32ELi128ELi512EEEvPT_PKfS4_PKS1_PKii: ; @_ZN4vllm32paged_attention_v2_reduce_kernelIfLi32ELi128ELi512EEEvPT_PKfS4_PKS1_PKii
; %bb.0:
	s_load_dwordx4 s[8:11], s[0:1], 0x18
	s_add_u32 s6, s0, 48
	s_mov_b32 s12, s3
	s_addc_u32 s7, s1, 0
	s_ashr_i32 s13, s3, 31
	s_lshl_b64 s[4:5], s[12:13], 2
	s_waitcnt lgkmcnt(0)
	s_add_u32 s4, s10, s4
	s_addc_u32 s5, s11, s5
	s_load_dword s26, s[4:5], 0x0
	s_load_dwordx2 s[10:11], s[0:1], 0x0
	s_load_dword s3, s[0:1], 0x28
	s_load_dword s13, s[0:1], 0x30
	s_waitcnt lgkmcnt(0)
	s_add_i32 s4, s26, -1
	s_cmpk_gt_u32 s4, 0x1ff
	s_mov_b64 s[4:5], -1
	s_cbranch_scc0 .LBB1_25
; %bb.1:
	s_add_i32 s4, s26, 0x1ff
	s_load_dwordx2 s[18:19], s[0:1], 0x8
	s_ashr_i32 s5, s4, 31
	s_lshr_b32 s5, s5, 23
	s_add_i32 s4, s4, s5
	s_mul_i32 s24, s13, s12
	s_ashr_i32 s25, s4, 9
	s_mul_i32 s14, s24, s3
	s_mul_i32 s16, s2, s3
	s_ashr_i32 s15, s14, 31
	s_ashr_i32 s17, s16, 31
	v_cmp_gt_i32_e32 vcc, s25, v0
	v_mov_b32_e32 v4, 0xff7fffff
	s_and_saveexec_b64 s[4:5], vcc
	s_cbranch_execz .LBB1_5
; %bb.2:
	s_load_dword s20, s[6:7], 0xc
	s_load_dwordx2 s[22:23], s[0:1], 0x10
	s_lshl_b64 s[0:1], s[14:15], 2
	s_lshl_b64 s[28:29], s[16:17], 2
	v_lshlrev_b32_e32 v4, 2, v0
	s_waitcnt lgkmcnt(0)
	s_and_b32 s27, s20, 0xffff
	s_add_u32 s0, s0, s28
	s_addc_u32 s1, s1, s29
	s_add_u32 s0, s22, s0
	v_mov_b32_e32 v5, 0
	s_addc_u32 s1, s23, s1
	s_mov_b32 s21, 0
	v_lshl_add_u64 v[2:3], s[0:1], 0, v[4:5]
	s_lshl_b32 s20, s27, 2
	v_add_u32_e32 v1, 16, v4
	s_mov_b64 s[22:23], 0
	v_mov_b32_e32 v4, 0xff7fffff
	v_mov_b32_e32 v5, v0
.LBB1_3:                                ; =>This Inner Loop Header: Depth=1
	global_load_dword v6, v[2:3], off
	v_add_u32_e32 v5, s27, v5
	v_max_f32_e32 v4, v4, v4
	v_cmp_le_i32_e64 s[0:1], s25, v5
	v_lshl_add_u64 v[2:3], v[2:3], 0, s[20:21]
	s_or_b64 s[22:23], s[0:1], s[22:23]
	s_waitcnt vmcnt(0)
	ds_write_b32 v1, v6
	v_max_f32_e32 v6, v6, v6
	v_add_u32_e32 v1, s20, v1
	v_max_f32_e32 v4, v4, v6
	s_andn2_b64 exec, exec, s[22:23]
	s_cbranch_execnz .LBB1_3
; %bb.4:
	s_or_b64 exec, exec, s[22:23]
.LBB1_5:
	s_or_b64 exec, exec, s[4:5]
	v_mbcnt_lo_u32_b32 v1, -1, 0
	v_mbcnt_hi_u32_b32 v2, -1, v1
	v_and_b32_e32 v1, 64, v2
	v_add_u32_e32 v5, 64, v1
	v_xor_b32_e32 v1, 32, v2
	v_cmp_lt_i32_e64 s[0:1], v1, v5
	v_xor_b32_e32 v6, 16, v2
	v_xor_b32_e32 v7, 8, v2
	v_cndmask_b32_e64 v1, v2, v1, s[0:1]
	v_lshlrev_b32_e32 v1, 2, v1
	ds_bpermute_b32 v3, v1, v4
	v_max_f32_e32 v4, v4, v4
	v_cmp_lt_i32_e64 s[0:1], v6, v5
	v_lshrrev_b32_e32 v11, 6, v0
	v_lshlrev_b32_e32 v11, 2, v11
	s_waitcnt lgkmcnt(0)
	v_max_f32_e32 v3, v3, v3
	v_max_f32_e32 v3, v4, v3
	v_cndmask_b32_e64 v4, v2, v6, s[0:1]
	v_lshlrev_b32_e32 v6, 2, v4
	ds_bpermute_b32 v4, v6, v3
	v_cmp_lt_i32_e64 s[0:1], v7, v5
	s_waitcnt lgkmcnt(0)
	s_barrier
	v_max_f32_e32 v4, v4, v4
	v_max_f32_e32 v3, v3, v4
	v_cndmask_b32_e64 v4, v2, v7, s[0:1]
	v_lshlrev_b32_e32 v8, 2, v4
	ds_bpermute_b32 v4, v8, v3
	v_xor_b32_e32 v7, 4, v2
	v_cmp_lt_i32_e64 s[0:1], v7, v5
	s_waitcnt lgkmcnt(0)
	v_max_f32_e32 v4, v4, v4
	v_max_f32_e32 v3, v3, v4
	v_cndmask_b32_e64 v4, v2, v7, s[0:1]
	v_lshlrev_b32_e32 v9, 2, v4
	ds_bpermute_b32 v4, v9, v3
	v_xor_b32_e32 v7, 2, v2
	v_cmp_lt_i32_e64 s[0:1], v7, v5
	s_waitcnt lgkmcnt(0)
	v_max_f32_e32 v4, v4, v4
	v_max_f32_e32 v4, v3, v4
	v_cndmask_b32_e64 v3, v2, v7, s[0:1]
	v_lshlrev_b32_e32 v10, 2, v3
	ds_bpermute_b32 v7, v10, v4
	v_and_b32_e32 v3, 63, v0
	s_waitcnt lgkmcnt(0)
	v_max_f32_e32 v7, v7, v7
	v_max_f32_e32 v4, v4, v7
	v_xor_b32_e32 v7, 1, v2
	v_cmp_lt_i32_e64 s[0:1], v7, v5
	s_nop 1
	v_cndmask_b32_e64 v5, v2, v7, s[0:1]
	v_lshlrev_b32_e32 v7, 2, v5
	ds_bpermute_b32 v5, v7, v4
	v_cmp_eq_u32_e64 s[0:1], 0, v3
	s_and_saveexec_b64 s[4:5], s[0:1]
	s_cbranch_execz .LBB1_7
; %bb.6:
	s_waitcnt lgkmcnt(0)
	v_max_f32_e32 v5, v5, v5
	v_max_f32_e32 v4, v4, v4
	;; [unrolled: 1-line block ×3, first 2 shown]
	ds_write_b32 v11, v4
.LBB1_7:
	s_or_b64 exec, exec, s[4:5]
	v_cmp_gt_u32_e64 s[4:5], 2, v3
	v_mov_b32_e32 v4, 0xff7fffff
	v_lshlrev_b32_e32 v12, 2, v3
	s_waitcnt lgkmcnt(0)
	s_barrier
	s_and_saveexec_b64 s[20:21], s[4:5]
	s_cbranch_execz .LBB1_9
; %bb.8:
	ds_read_b32 v4, v12
.LBB1_9:
	s_or_b64 exec, exec, s[20:21]
	s_waitcnt lgkmcnt(0)
	ds_bpermute_b32 v3, v7, v4
	v_max_f32_e32 v4, v4, v4
	v_lshlrev_b32_e32 v2, 2, v2
	v_and_b32_e32 v13, 0x100, v2
	s_lshl_b32 s27, s25, 2
	s_waitcnt lgkmcnt(0)
	v_max_f32_e32 v3, v3, v3
	v_max_f32_e32 v3, v4, v3
	ds_bpermute_b32 v14, v13, v3
	v_mov_b32_e32 v3, 0
	s_and_saveexec_b64 s[20:21], vcc
	s_cbranch_execz .LBB1_13
; %bb.10:
	s_load_dword s22, s[6:7], 0xc
	s_lshl_b64 s[28:29], s[14:15], 2
	s_lshl_b64 s[30:31], s[16:17], 2
	v_lshlrev_b32_e32 v2, 2, v0
	v_mov_b32_e32 v3, 0
	s_waitcnt lgkmcnt(0)
	s_and_b32 s15, s22, 0xffff
	s_add_u32 s17, s28, s30
	s_addc_u32 s22, s29, s31
	s_add_u32 s18, s18, s17
	s_addc_u32 s19, s19, s22
	s_mov_b32 s23, 0
	v_lshl_add_u64 v[4:5], s[18:19], 0, v[2:3]
	s_lshl_b32 s22, s15, 2
	v_add_u32_e32 v2, 16, v2
	s_mov_b64 s[18:19], 0
	s_mov_b32 s17, 0x3fb8aa3b
	s_mov_b32 s28, 0xc2ce8ed0
	;; [unrolled: 1-line block ×3, first 2 shown]
	v_mov_b32_e32 v15, 0x7f800000
	v_mov_b32_e32 v16, v0
.LBB1_11:                               ; =>This Inner Loop Header: Depth=1
	global_load_dword v17, v[4:5], off
	ds_read_b32 v18, v2
	v_add_u32_e32 v16, s15, v16
	v_cmp_le_i32_e32 vcc, s25, v16
	s_or_b64 s[18:19], vcc, s[18:19]
	v_add_u32_e32 v19, s27, v2
	s_waitcnt lgkmcnt(0)
	v_sub_f32_e32 v18, v18, v14
	v_mul_f32_e32 v20, 0x3fb8aa3b, v18
	v_fma_f32 v21, v18, s17, -v20
	v_rndne_f32_e32 v22, v20
	v_fmac_f32_e32 v21, 0x32a5705f, v18
	v_sub_f32_e32 v20, v20, v22
	v_add_f32_e32 v20, v20, v21
	v_cvt_i32_f32_e32 v22, v22
	v_exp_f32_e32 v20, v20
	v_cmp_ngt_f32_e32 vcc, s28, v18
	v_lshl_add_u64 v[4:5], v[4:5], 0, s[22:23]
	v_add_u32_e32 v2, s22, v2
	v_ldexp_f32 v20, v20, v22
	v_cndmask_b32_e32 v20, 0, v20, vcc
	v_cmp_nlt_f32_e32 vcc, s29, v18
	s_nop 1
	v_cndmask_b32_e32 v18, v15, v20, vcc
	s_waitcnt vmcnt(0)
	v_mul_f32_e32 v20, v17, v18
	v_fmac_f32_e32 v3, v17, v18
	ds_write_b32 v19, v20
	s_andn2_b64 exec, exec, s[18:19]
	s_cbranch_execnz .LBB1_11
; %bb.12:
	s_or_b64 exec, exec, s[18:19]
.LBB1_13:
	s_or_b64 exec, exec, s[20:21]
	ds_bpermute_b32 v1, v1, v3
	s_waitcnt lgkmcnt(0)
	s_barrier
	v_add_f32_e32 v1, v3, v1
	ds_bpermute_b32 v2, v6, v1
	s_waitcnt lgkmcnt(0)
	v_add_f32_e32 v1, v1, v2
	ds_bpermute_b32 v2, v8, v1
	s_waitcnt lgkmcnt(0)
	;; [unrolled: 3-line block ×5, first 2 shown]
	v_add_f32_e32 v1, v1, v2
	s_and_saveexec_b64 s[18:19], s[0:1]
	s_cbranch_execz .LBB1_15
; %bb.14:
	ds_write_b32 v11, v1 offset:8
.LBB1_15:
	s_or_b64 exec, exec, s[18:19]
	s_waitcnt lgkmcnt(0)
	s_barrier
	s_and_saveexec_b64 s[0:1], s[4:5]
	s_cbranch_execz .LBB1_17
; %bb.16:
	ds_read_b32 v1, v12 offset:8
.LBB1_17:
	s_or_b64 exec, exec, s[0:1]
	s_waitcnt lgkmcnt(0)
	ds_bpermute_b32 v2, v7, v1
	v_cmp_gt_u32_e32 vcc, 32, v0
	s_waitcnt lgkmcnt(0)
	v_add_f32_e32 v1, v1, v2
	ds_bpermute_b32 v2, v13, v1
	s_and_saveexec_b64 s[0:1], vcc
	s_cbranch_execz .LBB1_24
; %bb.18:
	s_cmp_gt_i32 s26, 0
	s_mov_b32 s15, 0
	s_cbranch_scc1 .LBB1_20
; %bb.19:
	v_mov_b32_e32 v1, 0
	v_mov_b32_e32 v4, s15
	s_cbranch_execz .LBB1_21
	s_branch .LBB1_23
.LBB1_20:
                                        ; implicit-def: $sgpr15
	v_mov_b32_e32 v4, s15
.LBB1_21:
	s_waitcnt lgkmcnt(0)
	v_add_f32_e32 v1, 0x358637bd, v2
	v_div_scale_f32 v2, s[4:5], v1, v1, 1.0
	v_rcp_f32_e32 v3, v2
	s_lshl_b32 s4, s14, 5
	s_lshl_b32 s16, s16, 5
	s_ashr_i32 s5, s4, 31
	v_fma_f32 v4, -v2, v3, 1.0
	v_fmac_f32_e32 v3, v4, v3
	v_div_scale_f32 v4, vcc, 1.0, v1, 1.0
	v_mul_f32_e32 v5, v4, v3
	v_fma_f32 v6, -v2, v5, v4
	s_ashr_i32 s17, s16, 31
	s_max_i32 s15, s25, 1
	v_fmac_f32_e32 v5, v6, v3
	s_add_i32 s14, s27, 16
	s_lshl_b64 s[4:5], s[4:5], 2
	s_lshl_b64 s[16:17], s[16:17], 2
	v_fma_f32 v2, -v2, v5, v4
	s_add_u32 s4, s4, s16
	v_div_fmas_f32 v2, v2, v3, v5
	s_addc_u32 s5, s5, s17
	v_div_fixup_f32 v5, v2, v1, 1.0
	v_mov_b32_e32 v1, 0
	s_add_u32 s4, s8, s4
	v_lshlrev_b32_e32 v2, 2, v0
	v_mov_b32_e32 v3, v1
	s_addc_u32 s5, s9, s5
	v_lshl_add_u64 v[2:3], s[4:5], 0, v[2:3]
	s_mov_b64 s[4:5], 0x80
	v_mov_b32_e32 v4, v1
.LBB1_22:                               ; =>This Inner Loop Header: Depth=1
	global_load_dword v6, v[2:3], off
	v_mov_b32_e32 v7, s14
	ds_read_b32 v7, v7
	s_add_i32 s15, s15, -1
	s_add_i32 s14, s14, 4
	v_lshl_add_u64 v[2:3], v[2:3], 0, s[4:5]
	s_cmp_eq_u32 s15, 0
	s_waitcnt vmcnt(0) lgkmcnt(0)
	v_mul_f32_e32 v6, v6, v7
	v_fmac_f32_e32 v4, v5, v6
	s_cbranch_scc0 .LBB1_22
.LBB1_23:
	s_lshl_b32 s4, s24, 5
	s_ashr_i32 s5, s4, 31
	s_lshl_b64 s[4:5], s[4:5], 2
	s_add_u32 s14, s10, s4
	s_addc_u32 s15, s11, s5
	s_lshl_b32 s4, s2, 5
	s_ashr_i32 s5, s4, 31
	s_lshl_b64 s[4:5], s[4:5], 2
	s_add_u32 s4, s14, s4
	s_addc_u32 s5, s15, s5
	s_waitcnt lgkmcnt(0)
	v_lshl_add_u64 v[2:3], v[0:1], 2, s[4:5]
	global_store_dword v[2:3], v4, off
.LBB1_24:
	s_or_b64 exec, exec, s[0:1]
	s_mov_b64 s[4:5], 0
.LBB1_25:
	s_and_b64 vcc, exec, s[4:5]
	s_cbranch_vccz .LBB1_34
; %bb.26:
	v_cmp_gt_u32_e32 vcc, 32, v0
	s_and_saveexec_b64 s[0:1], vcc
	s_cbranch_execz .LBB1_34
; %bb.27:
	s_mul_i32 s13, s13, s12
	s_lshl_b32 s0, s13, 5
	s_ashr_i32 s1, s0, 31
	s_lshl_b64 s[0:1], s[0:1], 2
	s_add_u32 s4, s10, s0
	s_addc_u32 s5, s11, s1
	s_lshl_b32 s0, s2, 5
	s_ashr_i32 s1, s0, 31
	s_lshl_b64 s[0:1], s[0:1], 2
	s_add_u32 s4, s4, s0
	s_mul_i32 s0, s3, s13
	s_addc_u32 s5, s5, s1
	s_lshl_b32 s0, s0, 5
	s_ashr_i32 s1, s0, 31
	s_lshl_b64 s[0:1], s[0:1], 2
	s_add_u32 s8, s8, s0
	s_mul_i32 s2, s2, s3
	s_load_dword s6, s[6:7], 0xc
	s_addc_u32 s9, s9, s1
	s_lshl_b32 s0, s2, 5
	s_ashr_i32 s1, s0, 31
	s_lshl_b64 s[0:1], s[0:1], 2
	s_add_u32 s2, s8, s0
	s_addc_u32 s3, s9, s1
	s_waitcnt lgkmcnt(0)
	s_and_b32 s8, s6, 0xffff
	v_cvt_f32_u32_e32 v1, s8
	v_add_u32_e32 v2, s8, v0
	v_mov_b32_e32 v4, s8
	v_cmp_gt_u32_e32 vcc, 32, v2
	v_rcp_iflag_f32_e32 v1, v1
	s_cmp_eq_u32 s8, 1
	v_max_u32_e32 v3, 32, v2
	v_addc_co_u32_e64 v2, s[0:1], v0, v4, vcc
	v_mul_f32_e32 v1, 0x4f7ffffe, v1
	v_cvt_u32_f32_e32 v1, v1
	s_cselect_b64 s[6:7], -1, 0
	s_sub_i32 s0, 0, s8
	v_sub_u32_e32 v2, v3, v2
	v_mul_lo_u32 v3, s0, v1
	v_mul_hi_u32 v3, v1, v3
	v_add_u32_e32 v1, v1, v3
	v_mul_hi_u32 v1, v2, v1
	v_mul_lo_u32 v3, v1, s8
	v_sub_u32_e32 v2, v2, v3
	v_add_u32_e32 v3, 1, v1
	v_cmp_le_u32_e64 s[0:1], s8, v2
	s_nop 1
	v_cndmask_b32_e64 v1, v1, v3, s[0:1]
	v_subrev_u32_e32 v3, s8, v2
	v_cndmask_b32_e64 v2, v2, v3, s[0:1]
	v_add_u32_e32 v3, 1, v1
	v_cmp_le_u32_e64 s[0:1], s8, v2
	s_nop 1
	v_cndmask_b32_e64 v1, v1, v3, s[0:1]
	v_addc_co_u32_e32 v1, vcc, 1, v1, vcc
	v_cmp_lt_u32_e32 vcc, 3, v1
	s_and_b64 s[10:11], vcc, s[6:7]
	s_mov_b64 s[6:7], -1
	s_and_saveexec_b64 s[0:1], s[10:11]
	s_cbranch_execz .LBB1_31
; %bb.28:
	v_and_b32_e32 v4, -4, v1
	s_mov_b64 s[6:7], 0
	v_mov_b32_e32 v3, 0
	v_mov_b32_e32 v2, v0
	;; [unrolled: 1-line block ×3, first 2 shown]
.LBB1_29:                               ; =>This Inner Loop Header: Depth=1
	v_lshlrev_b64 v[10:11], 2, v[2:3]
	v_lshl_add_u64 v[6:7], s[2:3], 0, v[10:11]
	global_load_dwordx4 v[6:9], v[6:7], off
	v_add_u32_e32 v5, -4, v5
	v_cmp_eq_u32_e32 vcc, 0, v5
	v_add_u32_e32 v2, 4, v2
	v_lshl_add_u64 v[10:11], s[4:5], 0, v[10:11]
	s_or_b64 s[6:7], vcc, s[6:7]
	s_waitcnt vmcnt(0)
	global_store_dwordx4 v[10:11], v[6:9], off
	s_andn2_b64 exec, exec, s[6:7]
	s_cbranch_execnz .LBB1_29
; %bb.30:
	s_or_b64 exec, exec, s[6:7]
	v_cmp_ne_u32_e32 vcc, v1, v4
	v_add_u32_e32 v0, v0, v4
	s_orn2_b64 s[6:7], vcc, exec
.LBB1_31:
	s_or_b64 exec, exec, s[0:1]
	s_and_b64 exec, exec, s[6:7]
	s_cbranch_execz .LBB1_34
; %bb.32:
	v_mov_b32_e32 v1, 0
	s_mov_b32 s1, 0
	v_lshlrev_b64 v[2:3], 2, v[0:1]
	s_lshl_b32 s0, s8, 2
	s_mov_b64 s[6:7], 0
.LBB1_33:                               ; =>This Inner Loop Header: Depth=1
	v_lshl_add_u64 v[4:5], s[2:3], 0, v[2:3]
	global_load_dword v1, v[4:5], off
	v_add_u32_e32 v0, s8, v0
	v_cmp_lt_u32_e32 vcc, 31, v0
	v_lshl_add_u64 v[4:5], s[4:5], 0, v[2:3]
	v_lshl_add_u64 v[2:3], v[2:3], 0, s[0:1]
	s_or_b64 s[6:7], vcc, s[6:7]
	s_waitcnt vmcnt(0)
	global_store_dword v[4:5], v1, off
	s_andn2_b64 exec, exec, s[6:7]
	s_cbranch_execnz .LBB1_33
.LBB1_34:
	s_endpgm
	.section	.rodata,"a",@progbits
	.p2align	6, 0x0
	.amdhsa_kernel _ZN4vllm32paged_attention_v2_reduce_kernelIfLi32ELi128ELi512EEEvPT_PKfS4_PKS1_PKii
		.amdhsa_group_segment_fixed_size 16
		.amdhsa_private_segment_fixed_size 0
		.amdhsa_kernarg_size 304
		.amdhsa_user_sgpr_count 2
		.amdhsa_user_sgpr_dispatch_ptr 0
		.amdhsa_user_sgpr_queue_ptr 0
		.amdhsa_user_sgpr_kernarg_segment_ptr 1
		.amdhsa_user_sgpr_dispatch_id 0
		.amdhsa_user_sgpr_kernarg_preload_length 0
		.amdhsa_user_sgpr_kernarg_preload_offset 0
		.amdhsa_user_sgpr_private_segment_size 0
		.amdhsa_uses_dynamic_stack 0
		.amdhsa_enable_private_segment 0
		.amdhsa_system_sgpr_workgroup_id_x 1
		.amdhsa_system_sgpr_workgroup_id_y 1
		.amdhsa_system_sgpr_workgroup_id_z 0
		.amdhsa_system_sgpr_workgroup_info 0
		.amdhsa_system_vgpr_workitem_id 0
		.amdhsa_next_free_vgpr 23
		.amdhsa_next_free_sgpr 32
		.amdhsa_accum_offset 24
		.amdhsa_reserve_vcc 1
		.amdhsa_float_round_mode_32 0
		.amdhsa_float_round_mode_16_64 0
		.amdhsa_float_denorm_mode_32 3
		.amdhsa_float_denorm_mode_16_64 3
		.amdhsa_dx10_clamp 1
		.amdhsa_ieee_mode 1
		.amdhsa_fp16_overflow 0
		.amdhsa_tg_split 0
		.amdhsa_exception_fp_ieee_invalid_op 0
		.amdhsa_exception_fp_denorm_src 0
		.amdhsa_exception_fp_ieee_div_zero 0
		.amdhsa_exception_fp_ieee_overflow 0
		.amdhsa_exception_fp_ieee_underflow 0
		.amdhsa_exception_fp_ieee_inexact 0
		.amdhsa_exception_int_div_zero 0
	.end_amdhsa_kernel
	.section	.text._ZN4vllm32paged_attention_v2_reduce_kernelIfLi32ELi128ELi512EEEvPT_PKfS4_PKS1_PKii,"axG",@progbits,_ZN4vllm32paged_attention_v2_reduce_kernelIfLi32ELi128ELi512EEEvPT_PKfS4_PKS1_PKii,comdat
.Lfunc_end1:
	.size	_ZN4vllm32paged_attention_v2_reduce_kernelIfLi32ELi128ELi512EEEvPT_PKfS4_PKS1_PKii, .Lfunc_end1-_ZN4vllm32paged_attention_v2_reduce_kernelIfLi32ELi128ELi512EEEvPT_PKfS4_PKS1_PKii
                                        ; -- End function
	.section	.AMDGPU.csdata,"",@progbits
; Kernel info:
; codeLenInByte = 2096
; NumSgprs: 38
; NumVgprs: 23
; NumAgprs: 0
; TotalNumVgprs: 23
; ScratchSize: 0
; MemoryBound: 0
; FloatMode: 240
; IeeeMode: 1
; LDSByteSize: 16 bytes/workgroup (compile time only)
; SGPRBlocks: 4
; VGPRBlocks: 2
; NumSGPRsForWavesPerEU: 38
; NumVGPRsForWavesPerEU: 23
; AccumOffset: 24
; Occupancy: 8
; WaveLimiterHint : 0
; COMPUTE_PGM_RSRC2:SCRATCH_EN: 0
; COMPUTE_PGM_RSRC2:USER_SGPR: 2
; COMPUTE_PGM_RSRC2:TRAP_HANDLER: 0
; COMPUTE_PGM_RSRC2:TGID_X_EN: 1
; COMPUTE_PGM_RSRC2:TGID_Y_EN: 1
; COMPUTE_PGM_RSRC2:TGID_Z_EN: 0
; COMPUTE_PGM_RSRC2:TIDIG_COMP_CNT: 0
; COMPUTE_PGM_RSRC3_GFX90A:ACCUM_OFFSET: 5
; COMPUTE_PGM_RSRC3_GFX90A:TG_SPLIT: 0
	.section	.text._ZN4vllm25paged_attention_v2_kernelIffLi64ELi8ELi128ELNS_18Fp8KVCacheDataTypeE0ELb1ELi512EEEvPfS2_PT_PKS3_PKT0_S9_ifPKiSB_iPKfiiiSD_SD_iiiii,"axG",@progbits,_ZN4vllm25paged_attention_v2_kernelIffLi64ELi8ELi128ELNS_18Fp8KVCacheDataTypeE0ELb1ELi512EEEvPfS2_PT_PKS3_PKT0_S9_ifPKiSB_iPKfiiiSD_SD_iiiii,comdat
	.protected	_ZN4vllm25paged_attention_v2_kernelIffLi64ELi8ELi128ELNS_18Fp8KVCacheDataTypeE0ELb1ELi512EEEvPfS2_PT_PKS3_PKT0_S9_ifPKiSB_iPKfiiiSD_SD_iiiii ; -- Begin function _ZN4vllm25paged_attention_v2_kernelIffLi64ELi8ELi128ELNS_18Fp8KVCacheDataTypeE0ELb1ELi512EEEvPfS2_PT_PKS3_PKT0_S9_ifPKiSB_iPKfiiiSD_SD_iiiii
	.globl	_ZN4vllm25paged_attention_v2_kernelIffLi64ELi8ELi128ELNS_18Fp8KVCacheDataTypeE0ELb1ELi512EEEvPfS2_PT_PKS3_PKT0_S9_ifPKiSB_iPKfiiiSD_SD_iiiii
	.p2align	8
	.type	_ZN4vllm25paged_attention_v2_kernelIffLi64ELi8ELi128ELNS_18Fp8KVCacheDataTypeE0ELb1ELi512EEEvPfS2_PT_PKS3_PKT0_S9_ifPKiSB_iPKfiiiSD_SD_iiiii,@function
_ZN4vllm25paged_attention_v2_kernelIffLi64ELi8ELi128ELNS_18Fp8KVCacheDataTypeE0ELb1ELi512EEEvPfS2_PT_PKS3_PKT0_S9_ifPKiSB_iPKfiiiSD_SD_iiiii: ; @_ZN4vllm25paged_attention_v2_kernelIffLi64ELi8ELi128ELNS_18Fp8KVCacheDataTypeE0ELb1ELi512EEEvPfS2_PT_PKS3_PKT0_S9_ifPKiSB_iPKfiiiSD_SD_iiiii
; %bb.0:
	s_load_dwordx2 s[6:7], s[0:1], 0x40
	s_mov_b32 s30, s3
	s_ashr_i32 s31, s3, 31
	s_lshl_b64 s[8:9], s[30:31], 2
	s_waitcnt lgkmcnt(0)
	s_add_u32 s6, s6, s8
	s_addc_u32 s7, s7, s9
	s_load_dword s31, s[6:7], 0x0
	s_lshl_b32 s52, s4, 9
	s_waitcnt lgkmcnt(0)
	s_cmp_ge_i32 s52, s31
	s_cbranch_scc1 .LBB2_67
; %bb.1:
	s_load_dword s5, s[0:1], 0x90
	s_load_dwordx2 s[40:41], s[0:1], 0x30
	s_waitcnt lgkmcnt(0)
	s_abs_i32 s7, s5
	s_abs_i32 s3, s40
	v_cvt_f32_u32_e32 v1, s3
	s_sub_i32 s8, 0, s3
	s_xor_b32 s6, s5, s40
	s_ashr_i32 s6, s6, 31
	v_rcp_iflag_f32_e32 v1, v1
	s_nop 0
	v_mul_f32_e32 v1, 0x4f7ffffe, v1
	v_cvt_u32_f32_e32 v1, v1
	s_nop 0
	v_readfirstlane_b32 s9, v1
	s_mul_i32 s8, s8, s9
	s_mul_hi_u32 s8, s9, s8
	s_add_i32 s9, s9, s8
	s_mul_hi_u32 s8, s7, s9
	s_mul_i32 s9, s8, s3
	s_sub_i32 s7, s7, s9
	s_add_i32 s10, s8, 1
	s_sub_i32 s9, s7, s3
	s_cmp_ge_u32 s7, s3
	s_cselect_b32 s8, s10, s8
	s_cselect_b32 s7, s9, s7
	s_add_i32 s9, s8, 1
	s_cmp_ge_u32 s7, s3
	s_cselect_b32 s3, s9, s8
	s_xor_b32 s3, s3, s6
	s_sub_i32 s8, s3, s6
	s_abs_i32 s10, s8
	v_cvt_f32_u32_e32 v1, s10
	s_load_dwordx2 s[6:7], s[0:1], 0x50
	s_sub_i32 s9, 0, s10
	s_abs_i32 s11, s2
	v_rcp_iflag_f32_e32 v1, v1
	s_mov_b32 s3, 0
	v_mul_f32_e32 v1, 0x4f7ffffe, v1
	v_cvt_u32_f32_e32 v1, v1
	s_nop 0
	v_readfirstlane_b32 s12, v1
	s_mul_i32 s9, s9, s12
	s_mul_hi_u32 s9, s12, s9
	s_add_i32 s12, s12, s9
	s_waitcnt lgkmcnt(0)
	s_cmp_eq_u64 s[6:7], 0
	s_mul_hi_u32 s12, s11, s12
	s_cbranch_scc1 .LBB2_3
; %bb.2:
	s_ashr_i32 s3, s2, 31
	s_lshl_b64 s[14:15], s[2:3], 2
	s_add_u32 s6, s6, s14
	s_addc_u32 s7, s7, s15
	s_load_dword s3, s[6:7], 0x0
.LBB2_3:
	s_load_dwordx4 s[16:19], s[0:1], 0x58
	s_ashr_i32 s13, s2, 31
	s_ashr_i32 s20, s8, 31
	v_and_b32_e32 v2, 7, v0
	s_lshl_b32 s14, s2, 6
	v_cmp_gt_u32_e64 s[8:9], 64, v0
	v_lshlrev_b32_e32 v6, 2, v0
	v_lshrrev_b32_e32 v1, 1, v0
	s_and_saveexec_b64 s[6:7], s[8:9]
	s_cbranch_execz .LBB2_5
; %bb.4:
	s_load_dwordx2 s[22:23], s[0:1], 0x18
	s_waitcnt lgkmcnt(0)
	s_mul_i32 s24, s30, s16
	s_ashr_i32 s25, s24, 31
	s_lshl_b64 s[24:25], s[24:25], 2
	v_and_b32_e32 v4, 0x1fc, v1
	s_add_u32 s16, s22, s24
	s_addc_u32 s19, s23, s25
	s_ashr_i32 s15, s14, 31
	s_lshl_b64 s[22:23], s[14:15], 2
	s_add_u32 s22, s16, s22
	s_addc_u32 s23, s19, s23
	global_load_dword v3, v6, s[22:23]
	v_lshl_add_u32 v4, v2, 5, v4
	s_waitcnt vmcnt(0)
	ds_write_b32 v4, v3
.LBB2_5:
	s_or_b64 exec, exec, s[6:7]
	s_mul_i32 s7, s12, s10
	s_sub_i32 s7, s11, s7
	s_xor_b32 s6, s13, s20
	s_add_i32 s11, s12, 1
	s_sub_i32 s13, s7, s10
	s_load_dwordx4 s[20:23], s[0:1], 0x78
	s_cmp_ge_u32 s7, s10
	s_cselect_b32 s11, s11, s12
	s_cselect_b32 s7, s13, s7
	s_load_dword s13, s[0:1], 0x88
	s_add_i32 s12, s11, 1
	s_cmp_ge_u32 s7, s10
	s_cselect_b32 s7, s12, s11
	s_waitcnt lgkmcnt(0)
	s_abs_i32 s33, s23
	v_cvt_f32_u32_e32 v3, s33
	s_xor_b32 s7, s7, s6
	s_sub_i32 s10, s7, s6
	s_sub_i32 s6, 0, s33
	v_rcp_iflag_f32_e32 v3, v3
	s_add_i32 s15, s31, -1
	s_abs_i32 s11, s15
	v_mul_f32_e32 v3, 0x4f7ffffe, v3
	v_cvt_u32_f32_e32 v3, v3
	s_barrier
	v_readfirstlane_b32 s48, v3
	s_mul_i32 s6, s6, s48
	s_mul_hi_u32 s6, s48, s6
	s_add_i32 s48, s48, s6
	s_cmp_lt_i32 s13, 0
	s_mul_hi_u32 s12, s11, s48
	s_cbranch_scc0 .LBB2_7
; %bb.6:
	s_mul_i32 s6, s20, s40
	s_add_i32 s6, s10, s6
	s_mul_i32 s6, s6, s13
	s_sub_i32 s49, 1, s6
	s_mov_b64 s[6:7], 0
	s_branch .LBB2_8
.LBB2_7:
	s_mov_b64 s[6:7], -1
                                        ; implicit-def: $sgpr49
.LBB2_8:
	s_load_dwordx2 s[34:35], s[0:1], 0x38
	s_ashr_i32 s16, s15, 31
	s_andn2_b64 vcc, exec, s[6:7]
	s_ashr_i32 s23, s23, 31
	s_cbranch_vccnz .LBB2_10
; %bb.9:
	s_mul_i32 s6, s5, s20
	s_add_i32 s6, s6, s2
	s_mul_i32 s6, s6, s13
	s_add_i32 s49, s6, 1
.LBB2_10:
	s_load_dword s6, s[0:1], 0x48
	s_load_dwordx2 s[38:39], s[0:1], 0x28
	s_load_dword s15, s[0:1], 0x98
	s_load_dwordx4 s[24:27], s[0:1], 0x0
	s_load_dwordx2 s[28:29], s[0:1], 0x10
	s_mul_i32 s7, s12, s33
	s_waitcnt lgkmcnt(0)
	s_mul_i32 s36, s30, s6
	s_sub_i32 s7, s11, s7
	s_ashr_i32 s37, s36, 31
	s_xor_b32 s6, s16, s23
	s_add_i32 s11, s12, 1
	s_sub_i32 s13, s7, s33
	s_cmp_ge_u32 s7, s33
	s_cselect_b32 s11, s11, s12
	s_cselect_b32 s7, s13, s7
	s_add_i32 s12, s11, 1
	s_cmp_ge_u32 s7, s33
	s_cselect_b32 s7, s12, s11
	s_xor_b32 s7, s7, s6
	s_sub_i32 s51, s7, s6
	s_add_i32 s6, s31, 7
	s_ashr_i32 s7, s6, 31
	s_lshr_b32 s7, s7, 29
	s_add_i32 s6, s6, s7
	s_lshl_b32 s16, s4, 6
	s_ashr_i32 s50, s6, 3
	s_add_i32 s6, s16, 64
	v_lshrrev_b32_e32 v7, 6, v0
	s_min_i32 s20, s6, s50
	v_or_b32_e32 v14, s16, v7
	v_cmp_gt_i32_e64 s[6:7], s20, v14
	v_mov_b32_e32 v12, 0xff7fffff
	s_mul_i32 s18, s10, s18
	v_ashrrev_i32_e32 v15, 31, v14
	v_lshl_add_u32 v22, v7, 3, s52
	v_mbcnt_lo_u32_b32 v8, -1, 0
	s_and_saveexec_b64 s[42:43], s[6:7]
	s_cbranch_execz .LBB2_20
; %bb.11:
	s_load_dwordx2 s[0:1], s[0:1], 0x20
	s_ashr_i32 s19, s18, 31
	s_sub_i32 s40, s51, s21
	s_lshl_b64 s[10:11], s[18:19], 2
	v_bfe_u32 v9, v0, 3, 3
	s_waitcnt lgkmcnt(0)
	s_add_u32 s0, s0, s10
	s_addc_u32 s1, s1, s11
	s_abs_i32 s19, s22
	v_cvt_f32_u32_e32 v3, s19
	v_lshlrev_b32_e32 v4, 4, v9
	v_mov_b32_e32 v5, 0
	v_lshl_add_u64 v[10:11], s[0:1], 0, v[4:5]
	v_rcp_iflag_f32_e32 v3, v3
	v_and_b32_e32 v4, 3, v0
	v_lshlrev_b32_e32 v4, 2, v4
	s_sub_i32 s10, 0, s19
	v_mul_f32_e32 v3, 0x4f7ffffe, v3
	v_cvt_u32_f32_e32 v3, v3
	v_cmp_eq_u32_e32 vcc, 0, v2
	v_lshl_add_u64 v[12:13], v[10:11], 0, v[4:5]
	v_lshlrev_b32_e32 v10, 5, v2
	v_mul_lo_u32 v2, s10, v3
	v_mul_hi_u32 v2, v3, v2
	v_add_u32_e32 v11, v3, v2
	v_lshlrev_b32_e32 v2, 5, v0
	v_lshlrev_b32_e32 v16, 2, v9
	v_and_b32_e32 v4, 0x80, v2
	v_lshl_add_u64 v[2:3], v[12:13], 0, v[4:5]
	s_lshl_b64 s[10:11], s[36:37], 2
	v_lshl_or_b32 v12, v7, 5, v16
	s_add_u32 s10, s34, s10
	v_add_u32_e32 v16, 0x110, v12
	v_subrev_u32_e32 v12, s31, v9
	v_mbcnt_hi_u32_b32 v19, -1, v8
	s_addc_u32 s11, s35, s11
	v_add_u32_e32 v17, 1, v12
	v_and_b32_e32 v12, 64, v19
	s_mov_b32 s53, s17
	v_cmp_neq_f32_e64 s[0:1], s3, 0
	v_lshl_add_u64 v[4:5], v[14:15], 2, s[10:11]
	v_lshl_add_u32 v13, v7, 3, s52
	s_mov_b64 s[44:45], 0
	v_mov_b32_e32 v18, 0xff7fffff
	v_add_u32_e32 v20, 64, v12
	v_xor_b32_e32 v21, 4, v19
	v_xor_b32_e32 v23, 2, v19
	;; [unrolled: 1-line block ×3, first 2 shown]
	v_mov_b32_e32 v12, 0xff7fffff
	v_mov_b32_e32 v25, v14
	s_branch .LBB2_14
.LBB2_12:                               ;   in Loop: Header=BB2_14 Depth=1
	s_or_b64 exec, exec, s[46:47]
.LBB2_13:                               ;   in Loop: Header=BB2_14 Depth=1
	s_or_b64 exec, exec, s[12:13]
	v_add_u32_e32 v25, 2, v25
	v_cmp_le_i32_e64 s[10:11], s20, v25
	v_lshl_add_u64 v[4:5], v[4:5], 0, 8
	v_add_u32_e32 v13, 16, v13
	s_or_b64 s[44:45], s[10:11], s[44:45]
	v_add_u32_e32 v16, 64, v16
	s_andn2_b64 exec, exec, s[44:45]
	s_cbranch_execz .LBB2_19
.LBB2_14:                               ; =>This Inner Loop Header: Depth=1
	s_waitcnt lgkmcnt(0)
	v_sub_u32_e32 v27, 0, v13
	v_max_i32_e32 v27, v13, v27
	v_mul_hi_u32 v28, v27, s48
	v_mul_lo_u32 v29, v28, s33
	v_sub_u32_e32 v27, v27, v29
	v_add_u32_e32 v29, 1, v28
	v_cmp_le_u32_e64 s[10:11], s33, v27
	v_ashrrev_i32_e32 v26, 31, v13
	v_xor_b32_e32 v26, s23, v26
	v_cndmask_b32_e64 v28, v28, v29, s[10:11]
	v_subrev_u32_e32 v29, s33, v27
	v_cndmask_b32_e64 v27, v27, v29, s[10:11]
	v_add_u32_e32 v29, 1, v28
	v_cmp_le_u32_e64 s[10:11], s33, v27
	s_nop 1
	v_cndmask_b32_e64 v27, v28, v29, s[10:11]
	v_xor_b32_e32 v27, v27, v26
	v_sub_u32_e32 v26, v27, v26
	v_add_u32_e32 v27, s49, v26
	v_sub_u32_e32 v29, 0, v27
	v_ashrrev_i32_e32 v28, 31, v27
	v_max_i32_e32 v27, v27, v29
	v_mul_hi_u32 v29, v27, v11
	v_mul_lo_u32 v29, v29, s19
	v_sub_u32_e32 v27, v27, v29
	v_subrev_u32_e32 v29, s19, v27
	v_cmp_le_u32_e64 s[10:11], s19, v27
	v_cmp_ge_i32_e64 s[12:13], s40, v26
	s_nop 0
	v_cndmask_b32_e64 v27, v27, v29, s[10:11]
	v_subrev_u32_e32 v29, s19, v27
	v_cmp_le_u32_e64 s[10:11], s19, v27
	s_nop 1
	v_cndmask_b32_e64 v27, v27, v29, s[10:11]
	v_xor_b32_e32 v27, v27, v28
	v_sub_u32_e32 v27, v27, v28
	v_cmp_ne_u32_e64 s[10:11], 0, v27
	s_and_b64 s[10:11], s[10:11], s[12:13]
	s_and_b64 s[46:47], vcc, s[10:11]
	s_and_saveexec_b64 s[12:13], s[46:47]
	s_cbranch_execz .LBB2_16
; %bb.15:                               ;   in Loop: Header=BB2_14 Depth=1
	ds_write_b32 v16, v18
.LBB2_16:                               ;   in Loop: Header=BB2_14 Depth=1
	s_or_b64 exec, exec, s[12:13]
	s_xor_b64 s[10:11], s[10:11], -1
	s_and_saveexec_b64 s[12:13], s[10:11]
	s_cbranch_execz .LBB2_13
; %bb.17:                               ;   in Loop: Header=BB2_14 Depth=1
	global_load_dword v26, v[4:5], off
	s_waitcnt vmcnt(0)
	v_mad_i64_i32 v[26:27], s[10:11], v26, s53, 0
	v_lshl_add_u64 v[26:27], v[26:27], 2, v[2:3]
	global_load_dword v34, v[26:27], off offset:256
	global_load_dword v35, v[26:27], off
	global_load_dword v36, v[26:27], off offset:512
	global_load_dword v37, v[26:27], off offset:768
	;; [unrolled: 1-line block ×6, first 2 shown]
	ds_read_b128 v[26:29], v10
	ds_read_b128 v[30:33], v10 offset:16
	v_cmp_lt_i32_e64 s[10:11], v21, v20
	s_waitcnt vmcnt(7) lgkmcnt(1)
	v_mul_f32_e32 v27, v27, v34
	s_waitcnt vmcnt(6)
	v_fmac_f32_e32 v27, v26, v35
	s_waitcnt vmcnt(5)
	v_fmac_f32_e32 v27, v28, v36
	;; [unrolled: 2-line block ×3, first 2 shown]
	s_waitcnt vmcnt(3) lgkmcnt(0)
	v_fmac_f32_e32 v27, v30, v38
	s_waitcnt vmcnt(2)
	v_fmac_f32_e32 v27, v31, v39
	v_cndmask_b32_e64 v42, v19, v21, s[10:11]
	s_waitcnt vmcnt(1)
	v_fmac_f32_e32 v27, v32, v40
	v_lshlrev_b32_e32 v42, 2, v42
	s_waitcnt vmcnt(0)
	v_fmac_f32_e32 v27, v33, v41
	ds_bpermute_b32 v26, v42, v27
	v_cmp_lt_i32_e64 s[10:11], v23, v20
	s_waitcnt lgkmcnt(0)
	v_add_f32_e32 v26, v27, v26
	v_cndmask_b32_e64 v28, v19, v23, s[10:11]
	v_lshlrev_b32_e32 v28, 2, v28
	ds_bpermute_b32 v27, v28, v26
	v_cmp_lt_i32_e64 s[10:11], v24, v20
	s_waitcnt lgkmcnt(0)
	v_add_f32_e32 v26, v26, v27
	v_cndmask_b32_e64 v28, v19, v24, s[10:11]
	v_lshlrev_b32_e32 v28, 2, v28
	ds_bpermute_b32 v27, v28, v26
	s_and_saveexec_b64 s[46:47], vcc
	s_cbranch_execz .LBB2_12
; %bb.18:                               ;   in Loop: Header=BB2_14 Depth=1
	v_add_u32_e32 v28, v17, v13
	v_cvt_f32_i32_e32 v28, v28
	s_waitcnt lgkmcnt(0)
	v_add_f32_e32 v26, v26, v27
	v_add_u32_e32 v29, v9, v13
	v_cmp_gt_i32_e64 s[10:11], s31, v29
	v_mul_f32_e32 v27, s3, v28
	v_cndmask_b32_e64 v27, 0, v27, s[0:1]
	v_fmac_f32_e32 v27, s41, v26
	v_cndmask_b32_e64 v26, 0, v27, s[10:11]
	ds_write_b32 v16, v26
	v_max_f32_e32 v26, v12, v12
	v_max_f32_e32 v26, v26, v27
	v_cndmask_b32_e64 v12, v12, v26, s[10:11]
	s_branch .LBB2_12
.LBB2_19:
	s_or_b64 exec, exec, s[44:45]
.LBB2_20:
	s_or_b64 exec, exec, s[42:43]
	v_mbcnt_hi_u32_b32 v2, -1, v8
	v_and_b32_e32 v3, 64, v2
	v_add_u32_e32 v3, 64, v3
	v_xor_b32_e32 v4, 32, v2
	v_cmp_lt_i32_e32 vcc, v4, v3
	v_xor_b32_e32 v9, 16, v2
	v_max_f32_e32 v5, v12, v12
	v_cndmask_b32_e32 v4, v2, v4, vcc
	v_lshlrev_b32_e32 v8, 2, v4
	ds_bpermute_b32 v4, v8, v12
	v_cmp_lt_i32_e32 vcc, v9, v3
	v_and_b32_e32 v23, 63, v0
	s_waitcnt lgkmcnt(0)
	v_max_f32_e32 v4, v4, v4
	v_max_f32_e32 v4, v5, v4
	v_cndmask_b32_e32 v5, v2, v9, vcc
	v_lshlrev_b32_e32 v10, 2, v5
	ds_bpermute_b32 v5, v10, v4
	v_xor_b32_e32 v9, 8, v2
	v_cmp_lt_i32_e32 vcc, v9, v3
	s_waitcnt lgkmcnt(0)
	v_max_f32_e32 v5, v5, v5
	v_max_f32_e32 v4, v4, v5
	v_cndmask_b32_e32 v5, v2, v9, vcc
	v_lshlrev_b32_e32 v11, 2, v5
	ds_bpermute_b32 v9, v11, v4
	v_cmp_eq_u32_e32 vcc, 0, v23
	v_lshlrev_b32_e32 v5, 2, v7
	s_and_saveexec_b64 s[0:1], vcc
	s_cbranch_execz .LBB2_22
; %bb.21:
	s_waitcnt lgkmcnt(0)
	v_max_f32_e32 v9, v9, v9
	v_max_f32_e32 v4, v4, v4
	;; [unrolled: 1-line block ×3, first 2 shown]
	ds_write_b32 v5, v4 offset:256
.LBB2_22:
	s_or_b64 exec, exec, s[0:1]
	v_cmp_gt_u32_e64 s[0:1], 2, v23
	v_mov_b32_e32 v4, 0xff7fffff
	s_waitcnt lgkmcnt(0)
	v_lshlrev_b32_e32 v9, 2, v23
	s_barrier
	s_and_saveexec_b64 s[10:11], s[0:1]
	s_cbranch_execz .LBB2_24
; %bb.23:
	ds_read_b32 v4, v9 offset:256
.LBB2_24:
	s_or_b64 exec, exec, s[10:11]
	v_xor_b32_e32 v12, 1, v2
	v_cmp_lt_i32_e64 s[10:11], v12, v3
	s_sub_i32 s3, s20, s16
	s_lshl_b32 s3, s3, 3
	v_cndmask_b32_e64 v12, v2, v12, s[10:11]
	v_lshlrev_b32_e32 v24, 2, v12
	s_waitcnt lgkmcnt(0)
	ds_bpermute_b32 v12, v24, v4
	v_max_f32_e32 v4, v4, v4
	s_add_i32 s3, s3, s52
	s_min_i32 s19, s3, s31
	s_sub_i32 s3, s19, s52
	s_waitcnt lgkmcnt(0)
	v_max_f32_e32 v12, v12, v12
	v_max_f32_e32 v4, v4, v12
	v_lshlrev_b32_e32 v12, 2, v2
	v_and_b32_e32 v12, 0x100, v12
	ds_bpermute_b32 v4, v12, v4
	v_cmp_gt_i32_e64 s[10:11], s3, v0
	v_mov_b32_e32 v13, 0
	s_and_saveexec_b64 s[40:41], s[10:11]
	s_cbranch_execz .LBB2_28
; %bb.25:
	v_mov_b32_e32 v13, 0x110
	v_lshl_add_u32 v16, v0, 2, v13
	s_mov_b64 s[42:43], 0
	v_mov_b32_e32 v13, 0
	v_mov_b32_e32 v17, v0
.LBB2_26:                               ; =>This Inner Loop Header: Depth=1
	ds_read_b32 v18, v16
	v_add_u32_e32 v17, 0x80, v17
	v_cmp_le_i32_e64 s[12:13], s3, v17
	s_or_b64 s[42:43], s[12:13], s[42:43]
	s_waitcnt lgkmcnt(0)
	v_sub_f32_e32 v18, v18, v4
	v_mul_f32_e32 v18, 0x3fb8aa3b, v18
	v_exp_f32_e32 v18, v18
	ds_write_b32 v16, v18
	v_add_f32_e32 v13, v13, v18
	v_add_u32_e32 v16, 0x200, v16
	s_andn2_b64 exec, exec, s[42:43]
	s_cbranch_execnz .LBB2_26
; %bb.27:
	s_or_b64 exec, exec, s[42:43]
.LBB2_28:
	s_or_b64 exec, exec, s[40:41]
	ds_bpermute_b32 v8, v8, v13
	s_waitcnt lgkmcnt(0)
	v_add_f32_e32 v8, v13, v8
	ds_bpermute_b32 v10, v10, v8
	s_waitcnt lgkmcnt(0)
	v_add_f32_e32 v8, v8, v10
	ds_bpermute_b32 v10, v11, v8
	v_xor_b32_e32 v11, 4, v2
	v_cmp_lt_i32_e64 s[12:13], v11, v3
	s_waitcnt lgkmcnt(0)
	v_add_f32_e32 v8, v8, v10
	v_cndmask_b32_e64 v11, v2, v11, s[12:13]
	v_lshlrev_b32_e32 v11, 2, v11
	ds_bpermute_b32 v10, v11, v8
	v_xor_b32_e32 v11, 2, v2
	v_cmp_lt_i32_e64 s[12:13], v11, v3
	s_waitcnt lgkmcnt(0)
	v_add_f32_e32 v3, v8, v10
	v_cndmask_b32_e64 v2, v2, v11, s[12:13]
	v_lshlrev_b32_e32 v2, 2, v2
	ds_bpermute_b32 v2, v2, v3
	s_waitcnt lgkmcnt(0)
	v_add_f32_e32 v2, v3, v2
	ds_bpermute_b32 v3, v24, v2
	s_waitcnt lgkmcnt(0)
	v_add_f32_e32 v2, v2, v3
	s_and_saveexec_b64 s[12:13], vcc
	s_cbranch_execz .LBB2_30
; %bb.29:
	ds_write_b32 v5, v2 offset:264
.LBB2_30:
	s_or_b64 exec, exec, s[12:13]
	s_waitcnt lgkmcnt(0)
	s_barrier
	s_and_saveexec_b64 s[12:13], s[0:1]
	s_cbranch_execz .LBB2_32
; %bb.31:
	ds_read_b32 v2, v9 offset:264
.LBB2_32:
	s_or_b64 exec, exec, s[12:13]
	s_waitcnt lgkmcnt(0)
	ds_bpermute_b32 v3, v24, v2
	s_waitcnt lgkmcnt(0)
	v_add_f32_e32 v2, v2, v3
	ds_bpermute_b32 v5, v12, v2
	s_and_saveexec_b64 s[0:1], s[10:11]
	s_cbranch_execz .LBB2_45
; %bb.33:
	s_waitcnt lgkmcnt(0)
	v_add_f32_e32 v2, 0x358637bd, v5
	v_div_scale_f32 v3, s[10:11], v2, v2, 1.0
	v_rcp_f32_e32 v8, v3
	v_div_scale_f32 v9, vcc, 1.0, v2, 1.0
	s_movk_i32 s10, 0x7f
	v_fma_f32 v10, -v3, v8, 1.0
	v_fmac_f32_e32 v8, v10, v8
	v_mul_f32_e32 v10, v9, v8
	v_fma_f32 v11, -v3, v10, v9
	v_fmac_f32_e32 v10, v11, v8
	v_fma_f32 v3, -v3, v10, v9
	v_div_fmas_f32 v3, v3, v8, v10
	v_div_fixup_f32 v2, v3, v2, 1.0
	v_xad_u32 v3, v0, -1, s19
	v_subrev_u32_e32 v8, s52, v3
	v_cmp_lt_u32_e32 vcc, s10, v8
	s_mov_b64 s[12:13], -1
	v_mov_b32_e32 v3, v0
	s_and_saveexec_b64 s[10:11], vcc
	s_cbranch_execz .LBB2_42
; %bb.34:
	v_lshrrev_b32_e32 v8, 7, v8
	v_add_u32_e32 v10, -1, v8
	v_lshrrev_b32_e32 v9, 1, v10
	v_mov_b32_e32 v3, v2
	v_add_u32_e32 v9, 1, v9
	v_cmp_lt_u32_e32 vcc, 13, v10
	v_mov_b32_e32 v12, 0
	s_and_saveexec_b64 s[12:13], vcc
	s_cbranch_execz .LBB2_38
; %bb.35:
	v_mov_b32_e32 v11, 0x110
	v_and_b32_e32 v10, -8, v9
	v_lshl_add_u32 v11, v0, 2, v11
	s_mov_b32 s19, 0
	s_mov_b64 s[40:41], 0
.LBB2_36:                               ; =>This Inner Loop Header: Depth=1
	ds_read2st64_b32 v[12:13], v11 offset1:2
	ds_read2st64_b32 v[16:17], v11 offset0:4 offset1:6
	ds_read2st64_b32 v[18:19], v11 offset0:8 offset1:10
	;; [unrolled: 1-line block ×3, first 2 shown]
	v_add_u32_e32 v10, -8, v10
	s_waitcnt lgkmcnt(3)
	v_pk_mul_f32 v[12:13], v[2:3], v[12:13]
	s_waitcnt lgkmcnt(2)
	v_pk_mul_f32 v[16:17], v[2:3], v[16:17]
	ds_write2st64_b32 v11, v12, v13 offset1:2
	ds_write2st64_b32 v11, v16, v17 offset0:4 offset1:6
	ds_read2st64_b32 v[16:17], v11 offset0:16 offset1:18
	s_waitcnt lgkmcnt(4)
	v_pk_mul_f32 v[12:13], v[2:3], v[18:19]
	ds_write2st64_b32 v11, v12, v13 offset0:8 offset1:10
	s_waitcnt lgkmcnt(4)
	v_pk_mul_f32 v[12:13], v[2:3], v[20:21]
	ds_write2st64_b32 v11, v12, v13 offset0:12 offset1:14
	ds_read2st64_b32 v[12:13], v11 offset0:20 offset1:22
	s_waitcnt lgkmcnt(3)
	v_pk_mul_f32 v[16:17], v[2:3], v[16:17]
	ds_read2st64_b32 v[18:19], v11 offset0:24 offset1:26
	ds_write2st64_b32 v11, v16, v17 offset0:16 offset1:18
	ds_read2st64_b32 v[16:17], v11 offset0:28 offset1:30
	s_waitcnt lgkmcnt(3)
	v_pk_mul_f32 v[12:13], v[2:3], v[12:13]
	ds_write2st64_b32 v11, v12, v13 offset0:20 offset1:22
	s_waitcnt lgkmcnt(3)
	v_pk_mul_f32 v[12:13], v[2:3], v[18:19]
	ds_write2st64_b32 v11, v12, v13 offset0:24 offset1:26
	s_waitcnt lgkmcnt(2)
	v_pk_mul_f32 v[12:13], v[2:3], v[16:17]
	s_add_i32 s19, s19, 16
	v_cmp_eq_u32_e32 vcc, 0, v10
	ds_write2st64_b32 v11, v12, v13 offset0:28 offset1:30
	v_add_u32_e32 v11, 0x2000, v11
	s_or_b64 s[40:41], vcc, s[40:41]
	v_mov_b32_e32 v12, s19
	s_andn2_b64 exec, exec, s[40:41]
	s_cbranch_execnz .LBB2_36
; %bb.37:
	s_or_b64 exec, exec, s[40:41]
.LBB2_38:
	s_or_b64 exec, exec, s[12:13]
	v_and_b32_e32 v9, 7, v9
	v_cmp_ne_u32_e32 vcc, 0, v9
	s_and_saveexec_b64 s[12:13], vcc
	s_cbranch_execz .LBB2_41
; %bb.39:
	v_lshlrev_b32_e32 v10, 9, v12
	s_movk_i32 s19, 0x110
	v_add3_u32 v10, v10, v6, s19
	s_mov_b64 s[40:41], 0
.LBB2_40:                               ; =>This Inner Loop Header: Depth=1
	ds_read2st64_b32 v[12:13], v10 offset1:2
	v_add_u32_e32 v9, -1, v9
	v_cmp_eq_u32_e32 vcc, 0, v9
	s_or_b64 s[40:41], vcc, s[40:41]
	s_waitcnt lgkmcnt(0)
	v_pk_mul_f32 v[12:13], v[2:3], v[12:13]
	ds_write2st64_b32 v10, v12, v13 offset1:2
	v_add_u32_e32 v10, 0x400, v10
	s_andn2_b64 exec, exec, s[40:41]
	s_cbranch_execnz .LBB2_40
.LBB2_41:
	s_or_b64 exec, exec, s[12:13]
	v_add_u32_e32 v8, 1, v8
	v_and_b32_e32 v9, 0x3fffffe, v8
	v_cmp_ne_u32_e32 vcc, v8, v9
	v_lshl_add_u32 v3, v9, 7, v0
	s_orn2_b64 s[12:13], vcc, exec
.LBB2_42:
	s_or_b64 exec, exec, s[10:11]
	s_and_b64 exec, exec, s[12:13]
	s_cbranch_execz .LBB2_45
; %bb.43:
	v_mov_b32_e32 v8, 0x110
	v_lshl_add_u32 v8, v3, 2, v8
	s_mov_b64 s[10:11], 0
.LBB2_44:                               ; =>This Inner Loop Header: Depth=1
	ds_read_b32 v9, v8
	v_add_u32_e32 v3, 0x80, v3
	v_cmp_le_i32_e32 vcc, s3, v3
	s_or_b64 s[10:11], vcc, s[10:11]
	s_waitcnt lgkmcnt(0)
	v_mul_f32_e32 v9, v2, v9
	ds_write_b32 v8, v9
	v_add_u32_e32 v8, 0x200, v8
	s_andn2_b64 exec, exec, s[10:11]
	s_cbranch_execnz .LBB2_44
.LBB2_45:
	s_or_b64 exec, exec, s[0:1]
	s_mul_i32 s0, s15, s30
	v_cmp_eq_u32_e32 vcc, 0, v0
	s_mul_i32 s10, s0, s5
	s_waitcnt lgkmcnt(0)
	s_barrier
	s_and_saveexec_b64 s[0:1], vcc
	s_cbranch_execz .LBB2_47
; %bb.46:
	s_ashr_i32 s11, s10, 31
	s_lshl_b64 s[12:13], s[10:11], 2
	s_add_u32 s5, s26, s12
	s_mul_i32 s2, s15, s2
	s_addc_u32 s11, s27, s13
	s_ashr_i32 s3, s2, 31
	s_lshl_b64 s[2:3], s[2:3], 2
	s_add_u32 s19, s5, s2
	s_addc_u32 s11, s11, s3
	s_ashr_i32 s5, s4, 31
	s_lshl_b64 s[4:5], s[4:5], 2
	s_add_u32 s26, s19, s4
	s_addc_u32 s27, s11, s5
	s_add_u32 s11, s24, s12
	s_addc_u32 s12, s25, s13
	;; [unrolled: 2-line block ×3, first 2 shown]
	s_add_u32 s2, s2, s4
	v_mov_b32_e32 v2, 0
	s_addc_u32 s3, s3, s5
	global_store_dword v2, v4, s[26:27]
	global_store_dword v2, v5, s[2:3]
.LBB2_47:
	s_or_b64 exec, exec, s[0:1]
	v_mov_b32_e32 v17, 0
	v_and_b32_e32 v25, 1, v0
	v_mov_b32_e32 v16, 0
	s_and_saveexec_b64 s[2:3], s[6:7]
	s_cbranch_execz .LBB2_57
; %bb.48:
	s_ashr_i32 s19, s18, 31
	s_sub_i32 s11, s51, s21
	s_lshl_b64 s[0:1], s[18:19], 2
	s_add_u32 s0, s38, s0
	s_addc_u32 s1, s39, s1
	s_abs_i32 s18, s22
	v_cvt_f32_u32_e32 v2, s18
	v_lshlrev_b32_e32 v3, 4, v0
	s_sub_i32 s4, 0, s18
	v_mov_b32_e32 v17, 0
	v_rcp_iflag_f32_e32 v2, v2
	v_and_b32_e32 v16, 0x3f0, v3
	s_add_i32 s50, s50, -1
	v_lshl_add_u64 v[18:19], s[0:1], 0, v[16:17]
	v_mul_f32_e32 v2, 0x4f7ffffe, v2
	v_cvt_u32_f32_e32 v2, v2
	s_lshl_b64 s[0:1], s[36:37], 2
	s_add_u32 s0, s34, s0
	s_addc_u32 s1, s35, s1
	v_mul_lo_u32 v3, s4, v2
	v_mul_hi_u32 v3, v2, v3
	v_add_u32_e32 v27, v2, v3
	v_lshlrev_b32_e32 v2, 4, v25
	v_lshl_or_b32 v2, v7, 5, v2
	v_and_b32_e32 v26, 4, v6
	v_lshl_add_u64 v[20:21], v[14:15], 2, s[0:1]
	v_add_u32_e32 v15, 0x110, v2
	s_mov_b64 s[4:5], 0
	v_mov_b32_e32 v16, v17
	s_branch .LBB2_51
.LBB2_49:                               ;   in Loop: Header=BB2_51 Depth=1
	s_or_b64 exec, exec, s[0:1]
	s_waitcnt vmcnt(1) lgkmcnt(0)
	v_mul_f32_e32 v7, v3, v7
	s_waitcnt vmcnt(0)
	v_mul_f32_e32 v3, v3, v11
	v_fmac_f32_e32 v7, v2, v6
	v_fmac_f32_e32 v3, v2, v10
	;; [unrolled: 1-line block ×6, first 2 shown]
	v_add_f32_e32 v16, v16, v7
	v_add_f32_e32 v17, v17, v3
.LBB2_50:                               ;   in Loop: Header=BB2_51 Depth=1
	s_or_b64 exec, exec, s[6:7]
	v_add_u32_e32 v14, 2, v14
	v_cmp_le_i32_e32 vcc, s20, v14
	v_lshl_add_u64 v[20:21], v[20:21], 0, 8
	v_add_u32_e32 v22, 16, v22
	s_or_b64 s[4:5], vcc, s[4:5]
	v_add_u32_e32 v15, 64, v15
	s_andn2_b64 exec, exec, s[4:5]
	s_cbranch_execz .LBB2_56
.LBB2_51:                               ; =>This Inner Loop Header: Depth=1
	v_sub_u32_e32 v3, 0, v22
	v_max_i32_e32 v3, v22, v3
	v_mul_hi_u32 v4, v3, s48
	v_mul_lo_u32 v5, v4, s33
	v_sub_u32_e32 v3, v3, v5
	v_add_u32_e32 v5, 1, v4
	v_cmp_le_u32_e32 vcc, s33, v3
	v_ashrrev_i32_e32 v2, 31, v22
	v_xor_b32_e32 v2, s23, v2
	v_cndmask_b32_e32 v4, v4, v5, vcc
	v_subrev_u32_e32 v5, s33, v3
	v_cndmask_b32_e32 v3, v3, v5, vcc
	v_add_u32_e32 v5, 1, v4
	v_cmp_le_u32_e32 vcc, s33, v3
	s_nop 1
	v_cndmask_b32_e32 v3, v4, v5, vcc
	v_xor_b32_e32 v3, v3, v2
	v_sub_u32_e32 v2, v3, v2
	v_add_u32_e32 v3, s49, v2
	v_sub_u32_e32 v5, 0, v3
	v_ashrrev_i32_e32 v4, 31, v3
	v_max_i32_e32 v3, v3, v5
	v_mul_hi_u32 v5, v3, v27
	v_mul_lo_u32 v5, v5, s18
	v_sub_u32_e32 v3, v3, v5
	v_subrev_u32_e32 v5, s18, v3
	v_cmp_le_u32_e32 vcc, s18, v3
	v_cmp_lt_i32_e64 s[0:1], s11, v2
	s_nop 0
	v_cndmask_b32_e32 v3, v3, v5, vcc
	v_subrev_u32_e32 v5, s18, v3
	v_cmp_le_u32_e32 vcc, s18, v3
	s_nop 1
	v_cndmask_b32_e32 v3, v3, v5, vcc
	v_xor_b32_e32 v3, v3, v4
	v_sub_u32_e32 v3, v3, v4
	v_cmp_eq_u32_e32 vcc, 0, v3
	s_or_b64 s[0:1], vcc, s[0:1]
	s_and_saveexec_b64 s[6:7], s[0:1]
	s_cbranch_execz .LBB2_50
; %bb.52:                               ;   in Loop: Header=BB2_51 Depth=1
	global_load_dword v2, v[20:21], off
	v_add_u32_e32 v28, v26, v22
	v_cmp_eq_u32_e32 vcc, s50, v14
	v_add_u32_e32 v31, 1, v28
	v_add_u32_e32 v30, 2, v28
	;; [unrolled: 1-line block ×3, first 2 shown]
	s_waitcnt vmcnt(0)
	v_mad_i64_i32 v[2:3], s[0:1], v2, s17, 0
	v_lshl_add_u64 v[10:11], v[2:3], 2, v[18:19]
	global_load_dwordx4 v[6:9], v[10:11], off
	ds_read_b128 v[2:5], v15
	s_and_saveexec_b64 s[12:13], vcc
	s_cbranch_execz .LBB2_54
; %bb.53:                               ;   in Loop: Header=BB2_51 Depth=1
	v_cmp_gt_i32_e64 s[0:1], s31, v28
	s_waitcnt vmcnt(0)
	s_nop 0
	v_cndmask_b32_e64 v6, 0, v6, s[0:1]
	v_cmp_gt_i32_e64 s[0:1], s31, v31
	s_nop 1
	v_cndmask_b32_e64 v7, 0, v7, s[0:1]
	v_cmp_gt_i32_e64 s[0:1], s31, v30
	;; [unrolled: 3-line block ×3, first 2 shown]
	s_nop 1
	v_cndmask_b32_e64 v9, 0, v9, s[0:1]
.LBB2_54:                               ;   in Loop: Header=BB2_51 Depth=1
	s_or_b64 exec, exec, s[12:13]
	global_load_dwordx4 v[10:13], v[10:11], off offset:1024
	s_and_saveexec_b64 s[0:1], vcc
	s_cbranch_execz .LBB2_49
; %bb.55:                               ;   in Loop: Header=BB2_51 Depth=1
	v_cmp_gt_i32_e32 vcc, s31, v28
	s_waitcnt vmcnt(0)
	s_nop 0
	v_cndmask_b32_e32 v10, 0, v10, vcc
	v_cmp_gt_i32_e32 vcc, s31, v31
	s_nop 1
	v_cndmask_b32_e32 v11, 0, v11, vcc
	v_cmp_gt_i32_e32 vcc, s31, v30
	;; [unrolled: 3-line block ×3, first 2 shown]
	s_nop 1
	v_cndmask_b32_e32 v13, 0, v13, vcc
	s_branch .LBB2_49
.LBB2_56:
	s_or_b64 exec, exec, s[4:5]
.LBB2_57:
	s_or_b64 exec, exec, s[2:3]
	ds_bpermute_b32 v2, v24, v16
	ds_bpermute_b32 v3, v24, v17
	v_and_b32_e32 v4, 0x3c1, v0
	v_cmp_eq_u32_e32 vcc, 64, v4
	s_waitcnt lgkmcnt(0)
	s_barrier
	v_pk_add_f32 v[2:3], v[16:17], v[2:3]
	s_and_saveexec_b64 s[0:1], vcc
	s_cbranch_execz .LBB2_59
; %bb.58:
	v_mov_b32_e32 v5, 0x110
	v_lshl_add_u32 v5, v23, 1, v5
	ds_write2_b32 v5, v2, v3 offset1:32
.LBB2_59:
	s_or_b64 exec, exec, s[0:1]
	s_waitcnt lgkmcnt(0)
	s_barrier
	s_and_saveexec_b64 s[0:1], s[8:9]
	s_cbranch_execz .LBB2_65
; %bb.60:
	v_cmp_eq_u32_e32 vcc, 0, v25
	s_and_saveexec_b64 s[2:3], vcc
	s_cbranch_execz .LBB2_62
; %bb.61:
	v_mov_b32_e32 v5, 0x110
	v_lshl_add_u32 v5, v1, 2, v5
	ds_read_b32 v5, v5
	s_waitcnt lgkmcnt(0)
	v_add_f32_e32 v2, v2, v5
.LBB2_62:
	s_or_b64 exec, exec, s[2:3]
	s_and_saveexec_b64 s[2:3], vcc
	s_cbranch_execz .LBB2_64
; %bb.63:
	v_mov_b32_e32 v5, 0x110
	v_lshl_add_u32 v1, v1, 2, v5
	ds_read_b32 v1, v1 offset:128
	s_waitcnt lgkmcnt(0)
	v_add_f32_e32 v3, v3, v1
.LBB2_64:
	s_or_b64 exec, exec, s[2:3]
.LBB2_65:
	s_or_b64 exec, exec, s[0:1]
	v_cmp_eq_u32_e32 vcc, 0, v4
	s_barrier
	s_and_saveexec_b64 s[0:1], vcc
	s_cbranch_execz .LBB2_67
; %bb.66:
	s_lshl_b32 s0, s10, 6
	s_ashr_i32 s1, s0, 31
	s_lshl_b64 s[0:1], s[0:1], 2
	s_add_u32 s2, s28, s0
	s_mul_i32 s0, s15, s14
	s_addc_u32 s3, s29, s1
	s_ashr_i32 s1, s0, 31
	s_lshl_b64 s[0:1], s[0:1], 2
	s_add_u32 s2, s2, s0
	s_addc_u32 s3, s3, s1
	s_ashr_i32 s17, s16, 31
	s_lshl_b64 s[0:1], s[16:17], 2
	s_add_u32 s0, s2, s0
	s_addc_u32 s1, s3, s1
	v_lshlrev_b32_e32 v0, 1, v0
	global_store_dword v0, v2, s[0:1]
	global_store_dword v0, v3, s[0:1] offset:128
.LBB2_67:
	s_endpgm
	.section	.rodata,"a",@progbits
	.p2align	6, 0x0
	.amdhsa_kernel _ZN4vllm25paged_attention_v2_kernelIffLi64ELi8ELi128ELNS_18Fp8KVCacheDataTypeE0ELb1ELi512EEEvPfS2_PT_PKS3_PKT0_S9_ifPKiSB_iPKfiiiSD_SD_iiiii
		.amdhsa_group_segment_fixed_size 272
		.amdhsa_private_segment_fixed_size 0
		.amdhsa_kernarg_size 400
		.amdhsa_user_sgpr_count 2
		.amdhsa_user_sgpr_dispatch_ptr 0
		.amdhsa_user_sgpr_queue_ptr 0
		.amdhsa_user_sgpr_kernarg_segment_ptr 1
		.amdhsa_user_sgpr_dispatch_id 0
		.amdhsa_user_sgpr_kernarg_preload_length 0
		.amdhsa_user_sgpr_kernarg_preload_offset 0
		.amdhsa_user_sgpr_private_segment_size 0
		.amdhsa_uses_dynamic_stack 0
		.amdhsa_enable_private_segment 0
		.amdhsa_system_sgpr_workgroup_id_x 1
		.amdhsa_system_sgpr_workgroup_id_y 1
		.amdhsa_system_sgpr_workgroup_id_z 1
		.amdhsa_system_sgpr_workgroup_info 0
		.amdhsa_system_vgpr_workitem_id 0
		.amdhsa_next_free_vgpr 43
		.amdhsa_next_free_sgpr 54
		.amdhsa_accum_offset 44
		.amdhsa_reserve_vcc 1
		.amdhsa_float_round_mode_32 0
		.amdhsa_float_round_mode_16_64 0
		.amdhsa_float_denorm_mode_32 3
		.amdhsa_float_denorm_mode_16_64 3
		.amdhsa_dx10_clamp 1
		.amdhsa_ieee_mode 1
		.amdhsa_fp16_overflow 0
		.amdhsa_tg_split 0
		.amdhsa_exception_fp_ieee_invalid_op 0
		.amdhsa_exception_fp_denorm_src 0
		.amdhsa_exception_fp_ieee_div_zero 0
		.amdhsa_exception_fp_ieee_overflow 0
		.amdhsa_exception_fp_ieee_underflow 0
		.amdhsa_exception_fp_ieee_inexact 0
		.amdhsa_exception_int_div_zero 0
	.end_amdhsa_kernel
	.section	.text._ZN4vllm25paged_attention_v2_kernelIffLi64ELi8ELi128ELNS_18Fp8KVCacheDataTypeE0ELb1ELi512EEEvPfS2_PT_PKS3_PKT0_S9_ifPKiSB_iPKfiiiSD_SD_iiiii,"axG",@progbits,_ZN4vllm25paged_attention_v2_kernelIffLi64ELi8ELi128ELNS_18Fp8KVCacheDataTypeE0ELb1ELi512EEEvPfS2_PT_PKS3_PKT0_S9_ifPKiSB_iPKfiiiSD_SD_iiiii,comdat
.Lfunc_end2:
	.size	_ZN4vllm25paged_attention_v2_kernelIffLi64ELi8ELi128ELNS_18Fp8KVCacheDataTypeE0ELb1ELi512EEEvPfS2_PT_PKS3_PKT0_S9_ifPKiSB_iPKfiiiSD_SD_iiiii, .Lfunc_end2-_ZN4vllm25paged_attention_v2_kernelIffLi64ELi8ELi128ELNS_18Fp8KVCacheDataTypeE0ELb1ELi512EEEvPfS2_PT_PKS3_PKT0_S9_ifPKiSB_iPKfiiiSD_SD_iiiii
                                        ; -- End function
	.section	.AMDGPU.csdata,"",@progbits
; Kernel info:
; codeLenInByte = 4204
; NumSgprs: 60
; NumVgprs: 43
; NumAgprs: 0
; TotalNumVgprs: 43
; ScratchSize: 0
; MemoryBound: 0
; FloatMode: 240
; IeeeMode: 1
; LDSByteSize: 272 bytes/workgroup (compile time only)
; SGPRBlocks: 7
; VGPRBlocks: 5
; NumSGPRsForWavesPerEU: 60
; NumVGPRsForWavesPerEU: 43
; AccumOffset: 44
; Occupancy: 8
; WaveLimiterHint : 1
; COMPUTE_PGM_RSRC2:SCRATCH_EN: 0
; COMPUTE_PGM_RSRC2:USER_SGPR: 2
; COMPUTE_PGM_RSRC2:TRAP_HANDLER: 0
; COMPUTE_PGM_RSRC2:TGID_X_EN: 1
; COMPUTE_PGM_RSRC2:TGID_Y_EN: 1
; COMPUTE_PGM_RSRC2:TGID_Z_EN: 1
; COMPUTE_PGM_RSRC2:TIDIG_COMP_CNT: 0
; COMPUTE_PGM_RSRC3_GFX90A:ACCUM_OFFSET: 10
; COMPUTE_PGM_RSRC3_GFX90A:TG_SPLIT: 0
	.section	.text._ZN4vllm32paged_attention_v2_reduce_kernelIfLi64ELi128ELi512EEEvPT_PKfS4_PKS1_PKii,"axG",@progbits,_ZN4vllm32paged_attention_v2_reduce_kernelIfLi64ELi128ELi512EEEvPT_PKfS4_PKS1_PKii,comdat
	.protected	_ZN4vllm32paged_attention_v2_reduce_kernelIfLi64ELi128ELi512EEEvPT_PKfS4_PKS1_PKii ; -- Begin function _ZN4vllm32paged_attention_v2_reduce_kernelIfLi64ELi128ELi512EEEvPT_PKfS4_PKS1_PKii
	.globl	_ZN4vllm32paged_attention_v2_reduce_kernelIfLi64ELi128ELi512EEEvPT_PKfS4_PKS1_PKii
	.p2align	8
	.type	_ZN4vllm32paged_attention_v2_reduce_kernelIfLi64ELi128ELi512EEEvPT_PKfS4_PKS1_PKii,@function
_ZN4vllm32paged_attention_v2_reduce_kernelIfLi64ELi128ELi512EEEvPT_PKfS4_PKS1_PKii: ; @_ZN4vllm32paged_attention_v2_reduce_kernelIfLi64ELi128ELi512EEEvPT_PKfS4_PKS1_PKii
; %bb.0:
	s_load_dwordx4 s[8:11], s[0:1], 0x18
	s_add_u32 s6, s0, 48
	s_mov_b32 s12, s3
	s_addc_u32 s7, s1, 0
	s_ashr_i32 s13, s3, 31
	s_lshl_b64 s[4:5], s[12:13], 2
	s_waitcnt lgkmcnt(0)
	s_add_u32 s4, s10, s4
	s_addc_u32 s5, s11, s5
	s_load_dword s26, s[4:5], 0x0
	s_load_dwordx2 s[10:11], s[0:1], 0x0
	s_load_dword s3, s[0:1], 0x28
	s_load_dword s13, s[0:1], 0x30
	s_waitcnt lgkmcnt(0)
	s_add_i32 s4, s26, -1
	s_cmpk_gt_u32 s4, 0x1ff
	s_mov_b64 s[4:5], -1
	s_cbranch_scc0 .LBB3_25
; %bb.1:
	s_add_i32 s4, s26, 0x1ff
	s_load_dwordx2 s[18:19], s[0:1], 0x8
	s_ashr_i32 s5, s4, 31
	s_lshr_b32 s5, s5, 23
	s_add_i32 s4, s4, s5
	s_mul_i32 s24, s13, s12
	s_ashr_i32 s25, s4, 9
	s_mul_i32 s14, s24, s3
	s_mul_i32 s16, s2, s3
	s_ashr_i32 s15, s14, 31
	s_ashr_i32 s17, s16, 31
	v_cmp_gt_i32_e32 vcc, s25, v0
	v_mov_b32_e32 v4, 0xff7fffff
	s_and_saveexec_b64 s[4:5], vcc
	s_cbranch_execz .LBB3_5
; %bb.2:
	s_load_dword s20, s[6:7], 0xc
	s_load_dwordx2 s[22:23], s[0:1], 0x10
	s_lshl_b64 s[0:1], s[14:15], 2
	s_lshl_b64 s[28:29], s[16:17], 2
	v_lshlrev_b32_e32 v4, 2, v0
	s_waitcnt lgkmcnt(0)
	s_and_b32 s27, s20, 0xffff
	s_add_u32 s0, s0, s28
	s_addc_u32 s1, s1, s29
	s_add_u32 s0, s22, s0
	v_mov_b32_e32 v5, 0
	s_addc_u32 s1, s23, s1
	s_mov_b32 s21, 0
	v_lshl_add_u64 v[2:3], s[0:1], 0, v[4:5]
	s_lshl_b32 s20, s27, 2
	v_add_u32_e32 v1, 16, v4
	s_mov_b64 s[22:23], 0
	v_mov_b32_e32 v4, 0xff7fffff
	v_mov_b32_e32 v5, v0
.LBB3_3:                                ; =>This Inner Loop Header: Depth=1
	global_load_dword v6, v[2:3], off
	v_add_u32_e32 v5, s27, v5
	v_max_f32_e32 v4, v4, v4
	v_cmp_le_i32_e64 s[0:1], s25, v5
	v_lshl_add_u64 v[2:3], v[2:3], 0, s[20:21]
	s_or_b64 s[22:23], s[0:1], s[22:23]
	s_waitcnt vmcnt(0)
	ds_write_b32 v1, v6
	v_max_f32_e32 v6, v6, v6
	v_add_u32_e32 v1, s20, v1
	v_max_f32_e32 v4, v4, v6
	s_andn2_b64 exec, exec, s[22:23]
	s_cbranch_execnz .LBB3_3
; %bb.4:
	s_or_b64 exec, exec, s[22:23]
.LBB3_5:
	s_or_b64 exec, exec, s[4:5]
	v_mbcnt_lo_u32_b32 v1, -1, 0
	v_mbcnt_hi_u32_b32 v2, -1, v1
	v_and_b32_e32 v1, 64, v2
	v_add_u32_e32 v5, 64, v1
	v_xor_b32_e32 v1, 32, v2
	v_cmp_lt_i32_e64 s[0:1], v1, v5
	v_xor_b32_e32 v6, 16, v2
	v_xor_b32_e32 v7, 8, v2
	v_cndmask_b32_e64 v1, v2, v1, s[0:1]
	v_lshlrev_b32_e32 v1, 2, v1
	ds_bpermute_b32 v3, v1, v4
	v_max_f32_e32 v4, v4, v4
	v_cmp_lt_i32_e64 s[0:1], v6, v5
	v_lshrrev_b32_e32 v11, 6, v0
	v_lshlrev_b32_e32 v11, 2, v11
	s_waitcnt lgkmcnt(0)
	v_max_f32_e32 v3, v3, v3
	v_max_f32_e32 v3, v4, v3
	v_cndmask_b32_e64 v4, v2, v6, s[0:1]
	v_lshlrev_b32_e32 v6, 2, v4
	ds_bpermute_b32 v4, v6, v3
	v_cmp_lt_i32_e64 s[0:1], v7, v5
	s_waitcnt lgkmcnt(0)
	s_barrier
	v_max_f32_e32 v4, v4, v4
	v_max_f32_e32 v3, v3, v4
	v_cndmask_b32_e64 v4, v2, v7, s[0:1]
	v_lshlrev_b32_e32 v8, 2, v4
	ds_bpermute_b32 v4, v8, v3
	v_xor_b32_e32 v7, 4, v2
	v_cmp_lt_i32_e64 s[0:1], v7, v5
	s_waitcnt lgkmcnt(0)
	v_max_f32_e32 v4, v4, v4
	v_max_f32_e32 v3, v3, v4
	v_cndmask_b32_e64 v4, v2, v7, s[0:1]
	v_lshlrev_b32_e32 v9, 2, v4
	ds_bpermute_b32 v4, v9, v3
	v_xor_b32_e32 v7, 2, v2
	v_cmp_lt_i32_e64 s[0:1], v7, v5
	s_waitcnt lgkmcnt(0)
	v_max_f32_e32 v4, v4, v4
	v_max_f32_e32 v4, v3, v4
	v_cndmask_b32_e64 v3, v2, v7, s[0:1]
	v_lshlrev_b32_e32 v10, 2, v3
	ds_bpermute_b32 v7, v10, v4
	v_and_b32_e32 v3, 63, v0
	s_waitcnt lgkmcnt(0)
	v_max_f32_e32 v7, v7, v7
	v_max_f32_e32 v4, v4, v7
	v_xor_b32_e32 v7, 1, v2
	v_cmp_lt_i32_e64 s[0:1], v7, v5
	s_nop 1
	v_cndmask_b32_e64 v5, v2, v7, s[0:1]
	v_lshlrev_b32_e32 v7, 2, v5
	ds_bpermute_b32 v5, v7, v4
	v_cmp_eq_u32_e64 s[0:1], 0, v3
	s_and_saveexec_b64 s[4:5], s[0:1]
	s_cbranch_execz .LBB3_7
; %bb.6:
	s_waitcnt lgkmcnt(0)
	v_max_f32_e32 v5, v5, v5
	v_max_f32_e32 v4, v4, v4
	;; [unrolled: 1-line block ×3, first 2 shown]
	ds_write_b32 v11, v4
.LBB3_7:
	s_or_b64 exec, exec, s[4:5]
	v_cmp_gt_u32_e64 s[4:5], 2, v3
	v_mov_b32_e32 v4, 0xff7fffff
	v_lshlrev_b32_e32 v12, 2, v3
	s_waitcnt lgkmcnt(0)
	s_barrier
	s_and_saveexec_b64 s[20:21], s[4:5]
	s_cbranch_execz .LBB3_9
; %bb.8:
	ds_read_b32 v4, v12
.LBB3_9:
	s_or_b64 exec, exec, s[20:21]
	s_waitcnt lgkmcnt(0)
	ds_bpermute_b32 v3, v7, v4
	v_max_f32_e32 v4, v4, v4
	v_lshlrev_b32_e32 v2, 2, v2
	v_and_b32_e32 v13, 0x100, v2
	s_lshl_b32 s27, s25, 2
	s_waitcnt lgkmcnt(0)
	v_max_f32_e32 v3, v3, v3
	v_max_f32_e32 v3, v4, v3
	ds_bpermute_b32 v14, v13, v3
	v_mov_b32_e32 v3, 0
	s_and_saveexec_b64 s[20:21], vcc
	s_cbranch_execz .LBB3_13
; %bb.10:
	s_load_dword s22, s[6:7], 0xc
	s_lshl_b64 s[28:29], s[14:15], 2
	s_lshl_b64 s[30:31], s[16:17], 2
	v_lshlrev_b32_e32 v2, 2, v0
	v_mov_b32_e32 v3, 0
	s_waitcnt lgkmcnt(0)
	s_and_b32 s15, s22, 0xffff
	s_add_u32 s17, s28, s30
	s_addc_u32 s22, s29, s31
	s_add_u32 s18, s18, s17
	s_addc_u32 s19, s19, s22
	s_mov_b32 s23, 0
	v_lshl_add_u64 v[4:5], s[18:19], 0, v[2:3]
	s_lshl_b32 s22, s15, 2
	v_add_u32_e32 v2, 16, v2
	s_mov_b64 s[18:19], 0
	s_mov_b32 s17, 0x3fb8aa3b
	s_mov_b32 s28, 0xc2ce8ed0
	;; [unrolled: 1-line block ×3, first 2 shown]
	v_mov_b32_e32 v15, 0x7f800000
	v_mov_b32_e32 v16, v0
.LBB3_11:                               ; =>This Inner Loop Header: Depth=1
	global_load_dword v17, v[4:5], off
	ds_read_b32 v18, v2
	v_add_u32_e32 v16, s15, v16
	v_cmp_le_i32_e32 vcc, s25, v16
	s_or_b64 s[18:19], vcc, s[18:19]
	v_add_u32_e32 v19, s27, v2
	s_waitcnt lgkmcnt(0)
	v_sub_f32_e32 v18, v18, v14
	v_mul_f32_e32 v20, 0x3fb8aa3b, v18
	v_fma_f32 v21, v18, s17, -v20
	v_rndne_f32_e32 v22, v20
	v_fmac_f32_e32 v21, 0x32a5705f, v18
	v_sub_f32_e32 v20, v20, v22
	v_add_f32_e32 v20, v20, v21
	v_cvt_i32_f32_e32 v22, v22
	v_exp_f32_e32 v20, v20
	v_cmp_ngt_f32_e32 vcc, s28, v18
	v_lshl_add_u64 v[4:5], v[4:5], 0, s[22:23]
	v_add_u32_e32 v2, s22, v2
	v_ldexp_f32 v20, v20, v22
	v_cndmask_b32_e32 v20, 0, v20, vcc
	v_cmp_nlt_f32_e32 vcc, s29, v18
	s_nop 1
	v_cndmask_b32_e32 v18, v15, v20, vcc
	s_waitcnt vmcnt(0)
	v_mul_f32_e32 v20, v17, v18
	v_fmac_f32_e32 v3, v17, v18
	ds_write_b32 v19, v20
	s_andn2_b64 exec, exec, s[18:19]
	s_cbranch_execnz .LBB3_11
; %bb.12:
	s_or_b64 exec, exec, s[18:19]
.LBB3_13:
	s_or_b64 exec, exec, s[20:21]
	ds_bpermute_b32 v1, v1, v3
	s_waitcnt lgkmcnt(0)
	s_barrier
	v_add_f32_e32 v1, v3, v1
	ds_bpermute_b32 v2, v6, v1
	s_waitcnt lgkmcnt(0)
	v_add_f32_e32 v1, v1, v2
	ds_bpermute_b32 v2, v8, v1
	s_waitcnt lgkmcnt(0)
	;; [unrolled: 3-line block ×5, first 2 shown]
	v_add_f32_e32 v1, v1, v2
	s_and_saveexec_b64 s[18:19], s[0:1]
	s_cbranch_execz .LBB3_15
; %bb.14:
	ds_write_b32 v11, v1 offset:8
.LBB3_15:
	s_or_b64 exec, exec, s[18:19]
	s_waitcnt lgkmcnt(0)
	s_barrier
	s_and_saveexec_b64 s[0:1], s[4:5]
	s_cbranch_execz .LBB3_17
; %bb.16:
	ds_read_b32 v1, v12 offset:8
.LBB3_17:
	s_or_b64 exec, exec, s[0:1]
	s_waitcnt lgkmcnt(0)
	ds_bpermute_b32 v2, v7, v1
	v_cmp_gt_u32_e32 vcc, 64, v0
	s_waitcnt lgkmcnt(0)
	v_add_f32_e32 v1, v1, v2
	ds_bpermute_b32 v2, v13, v1
	s_and_saveexec_b64 s[0:1], vcc
	s_cbranch_execz .LBB3_24
; %bb.18:
	s_cmp_gt_i32 s26, 0
	s_mov_b32 s15, 0
	s_cbranch_scc1 .LBB3_20
; %bb.19:
	v_mov_b32_e32 v1, 0
	v_mov_b32_e32 v4, s15
	s_cbranch_execz .LBB3_21
	s_branch .LBB3_23
.LBB3_20:
                                        ; implicit-def: $sgpr15
	v_mov_b32_e32 v4, s15
.LBB3_21:
	s_waitcnt lgkmcnt(0)
	v_add_f32_e32 v1, 0x358637bd, v2
	v_div_scale_f32 v2, s[4:5], v1, v1, 1.0
	v_rcp_f32_e32 v3, v2
	s_lshl_b32 s4, s14, 6
	s_lshl_b32 s16, s16, 6
	s_ashr_i32 s5, s4, 31
	v_fma_f32 v4, -v2, v3, 1.0
	v_fmac_f32_e32 v3, v4, v3
	v_div_scale_f32 v4, vcc, 1.0, v1, 1.0
	v_mul_f32_e32 v5, v4, v3
	v_fma_f32 v6, -v2, v5, v4
	s_ashr_i32 s17, s16, 31
	s_max_i32 s15, s25, 1
	v_fmac_f32_e32 v5, v6, v3
	s_add_i32 s14, s27, 16
	s_lshl_b64 s[4:5], s[4:5], 2
	s_lshl_b64 s[16:17], s[16:17], 2
	v_fma_f32 v2, -v2, v5, v4
	s_add_u32 s4, s4, s16
	v_div_fmas_f32 v2, v2, v3, v5
	s_addc_u32 s5, s5, s17
	v_div_fixup_f32 v5, v2, v1, 1.0
	v_mov_b32_e32 v1, 0
	s_add_u32 s4, s8, s4
	v_lshlrev_b32_e32 v2, 2, v0
	v_mov_b32_e32 v3, v1
	s_addc_u32 s5, s9, s5
	v_lshl_add_u64 v[2:3], s[4:5], 0, v[2:3]
	s_mov_b64 s[4:5], 0x100
	v_mov_b32_e32 v4, v1
.LBB3_22:                               ; =>This Inner Loop Header: Depth=1
	global_load_dword v6, v[2:3], off
	v_mov_b32_e32 v7, s14
	ds_read_b32 v7, v7
	s_add_i32 s15, s15, -1
	s_add_i32 s14, s14, 4
	v_lshl_add_u64 v[2:3], v[2:3], 0, s[4:5]
	s_cmp_eq_u32 s15, 0
	s_waitcnt vmcnt(0) lgkmcnt(0)
	v_mul_f32_e32 v6, v6, v7
	v_fmac_f32_e32 v4, v5, v6
	s_cbranch_scc0 .LBB3_22
.LBB3_23:
	s_lshl_b32 s4, s24, 6
	s_ashr_i32 s5, s4, 31
	s_lshl_b64 s[4:5], s[4:5], 2
	s_add_u32 s14, s10, s4
	s_addc_u32 s15, s11, s5
	s_lshl_b32 s4, s2, 6
	s_ashr_i32 s5, s4, 31
	s_lshl_b64 s[4:5], s[4:5], 2
	s_add_u32 s4, s14, s4
	s_addc_u32 s5, s15, s5
	s_waitcnt lgkmcnt(0)
	v_lshl_add_u64 v[2:3], v[0:1], 2, s[4:5]
	global_store_dword v[2:3], v4, off
.LBB3_24:
	s_or_b64 exec, exec, s[0:1]
	s_mov_b64 s[4:5], 0
.LBB3_25:
	s_and_b64 vcc, exec, s[4:5]
	s_cbranch_vccz .LBB3_34
; %bb.26:
	v_cmp_gt_u32_e32 vcc, 64, v0
	s_and_saveexec_b64 s[0:1], vcc
	s_cbranch_execz .LBB3_34
; %bb.27:
	s_mul_i32 s13, s13, s12
	s_lshl_b32 s0, s13, 6
	s_ashr_i32 s1, s0, 31
	s_lshl_b64 s[0:1], s[0:1], 2
	s_add_u32 s4, s10, s0
	s_addc_u32 s5, s11, s1
	s_lshl_b32 s0, s2, 6
	s_ashr_i32 s1, s0, 31
	s_lshl_b64 s[0:1], s[0:1], 2
	s_add_u32 s4, s4, s0
	s_mul_i32 s0, s3, s13
	s_addc_u32 s5, s5, s1
	s_lshl_b32 s0, s0, 6
	s_ashr_i32 s1, s0, 31
	s_lshl_b64 s[0:1], s[0:1], 2
	s_add_u32 s8, s8, s0
	s_mul_i32 s2, s2, s3
	s_load_dword s6, s[6:7], 0xc
	s_addc_u32 s9, s9, s1
	s_lshl_b32 s0, s2, 6
	s_ashr_i32 s1, s0, 31
	s_lshl_b64 s[0:1], s[0:1], 2
	s_add_u32 s2, s8, s0
	s_addc_u32 s3, s9, s1
	s_waitcnt lgkmcnt(0)
	s_and_b32 s8, s6, 0xffff
	v_cvt_f32_u32_e32 v1, s8
	v_add_u32_e32 v2, s8, v0
	v_mov_b32_e32 v4, s8
	v_cmp_gt_u32_e32 vcc, 64, v2
	v_rcp_iflag_f32_e32 v1, v1
	s_cmp_eq_u32 s8, 1
	v_max_u32_e32 v3, 64, v2
	v_addc_co_u32_e64 v2, s[0:1], v0, v4, vcc
	v_mul_f32_e32 v1, 0x4f7ffffe, v1
	v_cvt_u32_f32_e32 v1, v1
	s_cselect_b64 s[6:7], -1, 0
	s_sub_i32 s0, 0, s8
	v_sub_u32_e32 v2, v3, v2
	v_mul_lo_u32 v3, s0, v1
	v_mul_hi_u32 v3, v1, v3
	v_add_u32_e32 v1, v1, v3
	v_mul_hi_u32 v1, v2, v1
	v_mul_lo_u32 v3, v1, s8
	v_sub_u32_e32 v2, v2, v3
	v_add_u32_e32 v3, 1, v1
	v_cmp_le_u32_e64 s[0:1], s8, v2
	s_nop 1
	v_cndmask_b32_e64 v1, v1, v3, s[0:1]
	v_subrev_u32_e32 v3, s8, v2
	v_cndmask_b32_e64 v2, v2, v3, s[0:1]
	v_add_u32_e32 v3, 1, v1
	v_cmp_le_u32_e64 s[0:1], s8, v2
	s_nop 1
	v_cndmask_b32_e64 v1, v1, v3, s[0:1]
	v_addc_co_u32_e32 v1, vcc, 1, v1, vcc
	v_cmp_lt_u32_e32 vcc, 3, v1
	s_and_b64 s[10:11], vcc, s[6:7]
	s_mov_b64 s[6:7], -1
	s_and_saveexec_b64 s[0:1], s[10:11]
	s_cbranch_execz .LBB3_31
; %bb.28:
	v_and_b32_e32 v4, -4, v1
	s_mov_b64 s[6:7], 0
	v_mov_b32_e32 v3, 0
	v_mov_b32_e32 v2, v0
	v_mov_b32_e32 v5, v4
.LBB3_29:                               ; =>This Inner Loop Header: Depth=1
	v_lshlrev_b64 v[10:11], 2, v[2:3]
	v_lshl_add_u64 v[6:7], s[2:3], 0, v[10:11]
	global_load_dwordx4 v[6:9], v[6:7], off
	v_add_u32_e32 v5, -4, v5
	v_cmp_eq_u32_e32 vcc, 0, v5
	v_add_u32_e32 v2, 4, v2
	v_lshl_add_u64 v[10:11], s[4:5], 0, v[10:11]
	s_or_b64 s[6:7], vcc, s[6:7]
	s_waitcnt vmcnt(0)
	global_store_dwordx4 v[10:11], v[6:9], off
	s_andn2_b64 exec, exec, s[6:7]
	s_cbranch_execnz .LBB3_29
; %bb.30:
	s_or_b64 exec, exec, s[6:7]
	v_cmp_ne_u32_e32 vcc, v1, v4
	v_add_u32_e32 v0, v0, v4
	s_orn2_b64 s[6:7], vcc, exec
.LBB3_31:
	s_or_b64 exec, exec, s[0:1]
	s_and_b64 exec, exec, s[6:7]
	s_cbranch_execz .LBB3_34
; %bb.32:
	v_mov_b32_e32 v1, 0
	s_mov_b32 s1, 0
	v_lshlrev_b64 v[2:3], 2, v[0:1]
	s_lshl_b32 s0, s8, 2
	s_mov_b64 s[6:7], 0
.LBB3_33:                               ; =>This Inner Loop Header: Depth=1
	v_lshl_add_u64 v[4:5], s[2:3], 0, v[2:3]
	global_load_dword v1, v[4:5], off
	v_add_u32_e32 v0, s8, v0
	v_cmp_lt_u32_e32 vcc, 63, v0
	v_lshl_add_u64 v[4:5], s[4:5], 0, v[2:3]
	v_lshl_add_u64 v[2:3], v[2:3], 0, s[0:1]
	s_or_b64 s[6:7], vcc, s[6:7]
	s_waitcnt vmcnt(0)
	global_store_dword v[4:5], v1, off
	s_andn2_b64 exec, exec, s[6:7]
	s_cbranch_execnz .LBB3_33
.LBB3_34:
	s_endpgm
	.section	.rodata,"a",@progbits
	.p2align	6, 0x0
	.amdhsa_kernel _ZN4vllm32paged_attention_v2_reduce_kernelIfLi64ELi128ELi512EEEvPT_PKfS4_PKS1_PKii
		.amdhsa_group_segment_fixed_size 16
		.amdhsa_private_segment_fixed_size 0
		.amdhsa_kernarg_size 304
		.amdhsa_user_sgpr_count 2
		.amdhsa_user_sgpr_dispatch_ptr 0
		.amdhsa_user_sgpr_queue_ptr 0
		.amdhsa_user_sgpr_kernarg_segment_ptr 1
		.amdhsa_user_sgpr_dispatch_id 0
		.amdhsa_user_sgpr_kernarg_preload_length 0
		.amdhsa_user_sgpr_kernarg_preload_offset 0
		.amdhsa_user_sgpr_private_segment_size 0
		.amdhsa_uses_dynamic_stack 0
		.amdhsa_enable_private_segment 0
		.amdhsa_system_sgpr_workgroup_id_x 1
		.amdhsa_system_sgpr_workgroup_id_y 1
		.amdhsa_system_sgpr_workgroup_id_z 0
		.amdhsa_system_sgpr_workgroup_info 0
		.amdhsa_system_vgpr_workitem_id 0
		.amdhsa_next_free_vgpr 23
		.amdhsa_next_free_sgpr 32
		.amdhsa_accum_offset 24
		.amdhsa_reserve_vcc 1
		.amdhsa_float_round_mode_32 0
		.amdhsa_float_round_mode_16_64 0
		.amdhsa_float_denorm_mode_32 3
		.amdhsa_float_denorm_mode_16_64 3
		.amdhsa_dx10_clamp 1
		.amdhsa_ieee_mode 1
		.amdhsa_fp16_overflow 0
		.amdhsa_tg_split 0
		.amdhsa_exception_fp_ieee_invalid_op 0
		.amdhsa_exception_fp_denorm_src 0
		.amdhsa_exception_fp_ieee_div_zero 0
		.amdhsa_exception_fp_ieee_overflow 0
		.amdhsa_exception_fp_ieee_underflow 0
		.amdhsa_exception_fp_ieee_inexact 0
		.amdhsa_exception_int_div_zero 0
	.end_amdhsa_kernel
	.section	.text._ZN4vllm32paged_attention_v2_reduce_kernelIfLi64ELi128ELi512EEEvPT_PKfS4_PKS1_PKii,"axG",@progbits,_ZN4vllm32paged_attention_v2_reduce_kernelIfLi64ELi128ELi512EEEvPT_PKfS4_PKS1_PKii,comdat
.Lfunc_end3:
	.size	_ZN4vllm32paged_attention_v2_reduce_kernelIfLi64ELi128ELi512EEEvPT_PKfS4_PKS1_PKii, .Lfunc_end3-_ZN4vllm32paged_attention_v2_reduce_kernelIfLi64ELi128ELi512EEEvPT_PKfS4_PKS1_PKii
                                        ; -- End function
	.section	.AMDGPU.csdata,"",@progbits
; Kernel info:
; codeLenInByte = 2096
; NumSgprs: 38
; NumVgprs: 23
; NumAgprs: 0
; TotalNumVgprs: 23
; ScratchSize: 0
; MemoryBound: 0
; FloatMode: 240
; IeeeMode: 1
; LDSByteSize: 16 bytes/workgroup (compile time only)
; SGPRBlocks: 4
; VGPRBlocks: 2
; NumSGPRsForWavesPerEU: 38
; NumVGPRsForWavesPerEU: 23
; AccumOffset: 24
; Occupancy: 8
; WaveLimiterHint : 0
; COMPUTE_PGM_RSRC2:SCRATCH_EN: 0
; COMPUTE_PGM_RSRC2:USER_SGPR: 2
; COMPUTE_PGM_RSRC2:TRAP_HANDLER: 0
; COMPUTE_PGM_RSRC2:TGID_X_EN: 1
; COMPUTE_PGM_RSRC2:TGID_Y_EN: 1
; COMPUTE_PGM_RSRC2:TGID_Z_EN: 0
; COMPUTE_PGM_RSRC2:TIDIG_COMP_CNT: 0
; COMPUTE_PGM_RSRC3_GFX90A:ACCUM_OFFSET: 5
; COMPUTE_PGM_RSRC3_GFX90A:TG_SPLIT: 0
	.section	.text._ZN4vllm25paged_attention_v2_kernelIffLi80ELi8ELi128ELNS_18Fp8KVCacheDataTypeE0ELb1ELi512EEEvPfS2_PT_PKS3_PKT0_S9_ifPKiSB_iPKfiiiSD_SD_iiiii,"axG",@progbits,_ZN4vllm25paged_attention_v2_kernelIffLi80ELi8ELi128ELNS_18Fp8KVCacheDataTypeE0ELb1ELi512EEEvPfS2_PT_PKS3_PKT0_S9_ifPKiSB_iPKfiiiSD_SD_iiiii,comdat
	.protected	_ZN4vllm25paged_attention_v2_kernelIffLi80ELi8ELi128ELNS_18Fp8KVCacheDataTypeE0ELb1ELi512EEEvPfS2_PT_PKS3_PKT0_S9_ifPKiSB_iPKfiiiSD_SD_iiiii ; -- Begin function _ZN4vllm25paged_attention_v2_kernelIffLi80ELi8ELi128ELNS_18Fp8KVCacheDataTypeE0ELb1ELi512EEEvPfS2_PT_PKS3_PKT0_S9_ifPKiSB_iPKfiiiSD_SD_iiiii
	.globl	_ZN4vllm25paged_attention_v2_kernelIffLi80ELi8ELi128ELNS_18Fp8KVCacheDataTypeE0ELb1ELi512EEEvPfS2_PT_PKS3_PKT0_S9_ifPKiSB_iPKfiiiSD_SD_iiiii
	.p2align	8
	.type	_ZN4vllm25paged_attention_v2_kernelIffLi80ELi8ELi128ELNS_18Fp8KVCacheDataTypeE0ELb1ELi512EEEvPfS2_PT_PKS3_PKT0_S9_ifPKiSB_iPKfiiiSD_SD_iiiii,@function
_ZN4vllm25paged_attention_v2_kernelIffLi80ELi8ELi128ELNS_18Fp8KVCacheDataTypeE0ELb1ELi512EEEvPfS2_PT_PKS3_PKT0_S9_ifPKiSB_iPKfiiiSD_SD_iiiii: ; @_ZN4vllm25paged_attention_v2_kernelIffLi80ELi8ELi128ELNS_18Fp8KVCacheDataTypeE0ELb1ELi512EEEvPfS2_PT_PKS3_PKT0_S9_ifPKiSB_iPKfiiiSD_SD_iiiii
; %bb.0:
	s_load_dwordx2 s[6:7], s[0:1], 0x40
	s_mov_b32 s28, s3
	s_ashr_i32 s29, s3, 31
	s_lshl_b64 s[8:9], s[28:29], 2
	s_waitcnt lgkmcnt(0)
	s_add_u32 s6, s6, s8
	s_addc_u32 s7, s7, s9
	s_load_dword s29, s[6:7], 0x0
	s_lshl_b32 s49, s4, 9
	s_waitcnt lgkmcnt(0)
	s_cmp_ge_i32 s49, s29
	s_cbranch_scc1 .LBB4_79
; %bb.1:
	s_load_dword s5, s[0:1], 0x90
	s_load_dwordx2 s[38:39], s[0:1], 0x30
	s_mov_b32 s50, 0
	s_waitcnt lgkmcnt(0)
	s_abs_i32 s7, s5
	s_abs_i32 s3, s38
	v_cvt_f32_u32_e32 v1, s3
	s_sub_i32 s8, 0, s3
	s_xor_b32 s6, s5, s38
	s_ashr_i32 s6, s6, 31
	v_rcp_iflag_f32_e32 v1, v1
	s_nop 0
	v_mul_f32_e32 v1, 0x4f7ffffe, v1
	v_cvt_u32_f32_e32 v1, v1
	s_nop 0
	v_readfirstlane_b32 s9, v1
	s_mul_i32 s8, s8, s9
	s_mul_hi_u32 s8, s9, s8
	s_add_i32 s9, s9, s8
	s_mul_hi_u32 s8, s7, s9
	s_mul_i32 s9, s8, s3
	s_sub_i32 s7, s7, s9
	s_add_i32 s10, s8, 1
	s_sub_i32 s9, s7, s3
	s_cmp_ge_u32 s7, s3
	s_cselect_b32 s8, s10, s8
	s_cselect_b32 s7, s9, s7
	s_add_i32 s9, s8, 1
	s_cmp_ge_u32 s7, s3
	s_cselect_b32 s3, s9, s8
	s_xor_b32 s3, s3, s6
	s_sub_i32 s11, s3, s6
	s_abs_i32 s8, s11
	v_cvt_f32_u32_e32 v1, s8
	s_load_dwordx2 s[6:7], s[0:1], 0x50
	s_sub_i32 s3, 0, s8
	s_abs_i32 s9, s2
	v_rcp_iflag_f32_e32 v1, v1
	s_nop 0
	v_mul_f32_e32 v1, 0x4f7ffffe, v1
	v_cvt_u32_f32_e32 v1, v1
	s_nop 0
	v_readfirstlane_b32 s10, v1
	s_mul_i32 s3, s3, s10
	s_mul_hi_u32 s3, s10, s3
	s_add_i32 s10, s10, s3
	s_waitcnt lgkmcnt(0)
	s_cmp_eq_u64 s[6:7], 0
	s_mul_hi_u32 s10, s9, s10
	s_cbranch_scc1 .LBB4_3
; %bb.2:
	s_ashr_i32 s3, s2, 31
	s_lshl_b64 s[12:13], s[2:3], 2
	s_add_u32 s6, s6, s12
	s_addc_u32 s7, s7, s13
	s_load_dword s50, s[6:7], 0x0
.LBB4_3:
	s_load_dwordx4 s[12:15], s[0:1], 0x58
	s_movk_i32 s6, 0x50
	s_ashr_i32 s3, s2, 31
	s_ashr_i32 s11, s11, 31
	v_and_b32_e32 v2, 7, v0
	s_mul_i32 s24, s2, 0x50
	v_cmp_gt_u32_e32 vcc, s6, v0
	v_lshlrev_b32_e32 v6, 2, v0
	v_lshrrev_b32_e32 v1, 1, v0
	s_and_saveexec_b64 s[6:7], vcc
	s_cbranch_execz .LBB4_5
; %bb.4:
	s_load_dwordx2 s[16:17], s[0:1], 0x18
	s_waitcnt lgkmcnt(0)
	s_mul_i32 s18, s28, s12
	s_ashr_i32 s19, s18, 31
	s_lshl_b64 s[18:19], s[18:19], 2
	v_and_b32_e32 v4, 0x1fc, v1
	s_add_u32 s12, s16, s18
	s_addc_u32 s15, s17, s19
	s_ashr_i32 s25, s24, 31
	s_lshl_b64 s[16:17], s[24:25], 2
	s_add_u32 s16, s12, s16
	s_addc_u32 s17, s15, s17
	global_load_dword v3, v6, s[16:17]
	v_mad_u32_u24 v4, v2, 40, v4
	s_waitcnt vmcnt(0)
	ds_write_b32 v4, v3
.LBB4_5:
	s_or_b64 exec, exec, s[6:7]
	s_mul_i32 s6, s10, s8
	s_sub_i32 s6, s9, s6
	s_xor_b32 s3, s3, s11
	s_add_i32 s7, s10, 1
	s_sub_i32 s9, s6, s8
	s_load_dwordx4 s[16:19], s[0:1], 0x78
	s_cmp_ge_u32 s6, s8
	s_cselect_b32 s7, s7, s10
	s_load_dword s10, s[0:1], 0x88
	s_cselect_b32 s6, s9, s6
	s_add_i32 s9, s7, 1
	s_cmp_ge_u32 s6, s8
	s_cselect_b32 s6, s9, s7
	s_waitcnt lgkmcnt(0)
	s_abs_i32 s25, s19
	v_cvt_f32_u32_e32 v3, s25
	s_xor_b32 s6, s6, s3
	s_sub_i32 s8, s6, s3
	s_sub_i32 s6, 0, s25
	v_rcp_iflag_f32_e32 v3, v3
	s_add_i32 s11, s29, -1
	s_abs_i32 s3, s11
	v_mul_f32_e32 v3, 0x4f7ffffe, v3
	v_cvt_u32_f32_e32 v3, v3
	s_barrier
	v_readfirstlane_b32 s33, v3
	s_mul_i32 s6, s6, s33
	s_mul_hi_u32 s6, s33, s6
	s_add_i32 s33, s33, s6
	s_cmp_lt_i32 s10, 0
	s_mul_hi_u32 s9, s3, s33
	s_cbranch_scc0 .LBB4_7
; %bb.6:
	s_mul_i32 s6, s16, s38
	s_add_i32 s6, s8, s6
	s_mul_i32 s6, s6, s10
	s_sub_i32 s46, 1, s6
	s_mov_b64 s[6:7], 0
	s_branch .LBB4_8
.LBB4_7:
	s_mov_b64 s[6:7], -1
                                        ; implicit-def: $sgpr46
.LBB4_8:
	s_load_dwordx2 s[30:31], s[0:1], 0x38
	s_ashr_i32 s11, s11, 31
	s_andn2_b64 vcc, exec, s[6:7]
	s_ashr_i32 s47, s19, 31
	s_cbranch_vccnz .LBB4_10
; %bb.9:
	s_mul_i32 s6, s5, s16
	s_add_i32 s6, s6, s2
	s_mul_i32 s6, s6, s10
	s_add_i32 s46, s6, 1
.LBB4_10:
	s_load_dword s6, s[0:1], 0x48
	s_load_dwordx2 s[36:37], s[0:1], 0x28
	s_load_dword s19, s[0:1], 0x98
	s_load_dwordx4 s[20:23], s[0:1], 0x0
	s_load_dwordx2 s[26:27], s[0:1], 0x10
	s_mul_i32 s7, s9, s25
	s_waitcnt lgkmcnt(0)
	s_mul_i32 s34, s28, s6
	s_sub_i32 s3, s3, s7
	s_ashr_i32 s35, s34, 31
	s_xor_b32 s6, s11, s47
	s_add_i32 s7, s9, 1
	s_sub_i32 s10, s3, s25
	s_cmp_ge_u32 s3, s25
	s_cselect_b32 s7, s7, s9
	s_cselect_b32 s3, s10, s3
	s_add_i32 s9, s7, 1
	s_cmp_ge_u32 s3, s25
	s_cselect_b32 s3, s9, s7
	s_xor_b32 s3, s3, s6
	s_sub_i32 s12, s3, s6
	s_add_i32 s3, s29, 7
	s_ashr_i32 s6, s3, 31
	s_lshr_b32 s6, s6, 29
	s_add_i32 s3, s3, s6
	s_lshl_b32 s16, s4, 6
	s_ashr_i32 s3, s3, 3
	s_add_i32 s6, s16, 64
	v_lshrrev_b32_e32 v7, 6, v0
	s_min_i32 s48, s6, s3
	v_or_b32_e32 v18, s16, v7
	v_cmp_gt_i32_e64 s[6:7], s48, v18
	v_mov_b32_e32 v12, 0xff7fffff
	s_mul_i32 s14, s8, s14
	v_ashrrev_i32_e32 v19, 31, v18
	v_lshl_add_u32 v17, v7, 3, s49
	v_mbcnt_lo_u32_b32 v8, -1, 0
	s_and_saveexec_b64 s[40:41], s[6:7]
	s_cbranch_execz .LBB4_20
; %bb.11:
	s_load_dwordx2 s[0:1], s[0:1], 0x20
	s_ashr_i32 s15, s14, 31
	s_sub_i32 s38, s12, s17
	s_lshl_b64 s[8:9], s[14:15], 2
	v_bfe_u32 v9, v0, 3, 3
	s_waitcnt lgkmcnt(0)
	s_add_u32 s0, s0, s8
	s_addc_u32 s1, s1, s9
	s_abs_i32 s15, s18
	v_cvt_f32_u32_e32 v3, s15
	v_lshlrev_b32_e32 v4, 4, v9
	v_mov_b32_e32 v5, 0
	v_lshl_add_u64 v[10:11], s[0:1], 0, v[4:5]
	v_rcp_iflag_f32_e32 v3, v3
	v_and_b32_e32 v4, 3, v0
	v_lshlrev_b32_e32 v4, 2, v4
	s_sub_i32 s8, 0, s15
	v_mul_f32_e32 v3, 0x4f7ffffe, v3
	v_cvt_u32_f32_e32 v3, v3
	v_cmp_eq_u32_e32 vcc, 0, v2
	v_lshl_add_u64 v[12:13], v[10:11], 0, v[4:5]
	v_mul_u32_u24_e32 v10, 40, v2
	v_mul_lo_u32 v2, s8, v3
	v_mul_hi_u32 v2, v3, v2
	v_add_u32_e32 v11, v3, v2
	v_lshlrev_b32_e32 v2, 5, v0
	v_lshlrev_b32_e32 v14, 2, v9
	v_and_b32_e32 v4, 0x80, v2
	v_lshl_add_u64 v[2:3], v[12:13], 0, v[4:5]
	s_lshl_b64 s[8:9], s[34:35], 2
	v_lshl_or_b32 v12, v7, 5, v14
	s_add_u32 s8, s30, s8
	v_add_u32_e32 v14, 0x150, v12
	v_subrev_u32_e32 v12, s29, v9
	v_mbcnt_hi_u32_b32 v20, -1, v8
	s_addc_u32 s9, s31, s9
	v_add_u32_e32 v15, 1, v12
	v_and_b32_e32 v12, 64, v20
	s_mov_b32 s51, s13
	v_cmp_neq_f32_e64 s[0:1], s50, 0
	v_lshl_add_u64 v[4:5], v[18:19], 2, s[8:9]
	v_lshl_add_u32 v13, v7, 3, s49
	s_mov_b64 s[42:43], 0
	v_mov_b32_e32 v16, 0xff7fffff
	v_add_u32_e32 v21, 64, v12
	v_xor_b32_e32 v22, 4, v20
	v_xor_b32_e32 v23, 2, v20
	;; [unrolled: 1-line block ×3, first 2 shown]
	v_mov_b32_e32 v12, 0xff7fffff
	v_mov_b32_e32 v25, v18
	s_branch .LBB4_14
.LBB4_12:                               ;   in Loop: Header=BB4_14 Depth=1
	s_or_b64 exec, exec, s[44:45]
.LBB4_13:                               ;   in Loop: Header=BB4_14 Depth=1
	s_or_b64 exec, exec, s[10:11]
	v_add_u32_e32 v25, 2, v25
	v_cmp_le_i32_e64 s[8:9], s48, v25
	v_lshl_add_u64 v[4:5], v[4:5], 0, 8
	v_add_u32_e32 v13, 16, v13
	s_or_b64 s[42:43], s[8:9], s[42:43]
	v_add_u32_e32 v14, 64, v14
	s_andn2_b64 exec, exec, s[42:43]
	s_cbranch_execz .LBB4_19
.LBB4_14:                               ; =>This Inner Loop Header: Depth=1
	s_waitcnt lgkmcnt(0)
	v_sub_u32_e32 v27, 0, v13
	v_max_i32_e32 v27, v13, v27
	v_mul_hi_u32 v28, v27, s33
	v_mul_lo_u32 v29, v28, s25
	v_sub_u32_e32 v27, v27, v29
	v_add_u32_e32 v29, 1, v28
	v_cmp_le_u32_e64 s[8:9], s25, v27
	v_ashrrev_i32_e32 v26, 31, v13
	v_xor_b32_e32 v26, s47, v26
	v_cndmask_b32_e64 v28, v28, v29, s[8:9]
	v_subrev_u32_e32 v29, s25, v27
	v_cndmask_b32_e64 v27, v27, v29, s[8:9]
	v_add_u32_e32 v29, 1, v28
	v_cmp_le_u32_e64 s[8:9], s25, v27
	s_nop 1
	v_cndmask_b32_e64 v27, v28, v29, s[8:9]
	v_xor_b32_e32 v27, v27, v26
	v_sub_u32_e32 v26, v27, v26
	v_add_u32_e32 v27, s46, v26
	v_sub_u32_e32 v29, 0, v27
	v_ashrrev_i32_e32 v28, 31, v27
	v_max_i32_e32 v27, v27, v29
	v_mul_hi_u32 v29, v27, v11
	v_mul_lo_u32 v29, v29, s15
	v_sub_u32_e32 v27, v27, v29
	v_subrev_u32_e32 v29, s15, v27
	v_cmp_le_u32_e64 s[8:9], s15, v27
	v_cmp_ge_i32_e64 s[10:11], s38, v26
	s_nop 0
	v_cndmask_b32_e64 v27, v27, v29, s[8:9]
	v_subrev_u32_e32 v29, s15, v27
	v_cmp_le_u32_e64 s[8:9], s15, v27
	s_nop 1
	v_cndmask_b32_e64 v27, v27, v29, s[8:9]
	v_xor_b32_e32 v27, v27, v28
	v_sub_u32_e32 v27, v27, v28
	v_cmp_ne_u32_e64 s[8:9], 0, v27
	s_and_b64 s[8:9], s[8:9], s[10:11]
	s_and_b64 s[44:45], vcc, s[8:9]
	s_and_saveexec_b64 s[10:11], s[44:45]
	s_cbranch_execz .LBB4_16
; %bb.15:                               ;   in Loop: Header=BB4_14 Depth=1
	ds_write_b32 v14, v16
.LBB4_16:                               ;   in Loop: Header=BB4_14 Depth=1
	s_or_b64 exec, exec, s[10:11]
	s_xor_b64 s[8:9], s[8:9], -1
	s_and_saveexec_b64 s[10:11], s[8:9]
	s_cbranch_execz .LBB4_13
; %bb.17:                               ;   in Loop: Header=BB4_14 Depth=1
	global_load_dword v26, v[4:5], off
	s_waitcnt vmcnt(0)
	v_mad_i64_i32 v[26:27], s[8:9], v26, s51, 0
	v_lshl_add_u64 v[26:27], v[26:27], 2, v[2:3]
	global_load_dword v36, v[26:27], off offset:256
	global_load_dword v37, v[26:27], off
	global_load_dword v38, v[26:27], off offset:512
	global_load_dword v39, v[26:27], off offset:768
	;; [unrolled: 1-line block ×8, first 2 shown]
	ds_read2_b64 v[26:29], v10 offset1:1
	ds_read2_b64 v[30:33], v10 offset0:2 offset1:3
	ds_read_b64 v[34:35], v10 offset:32
	v_cmp_lt_i32_e64 s[8:9], v22, v21
	s_waitcnt vmcnt(9) lgkmcnt(2)
	v_mul_f32_e32 v27, v27, v36
	s_waitcnt vmcnt(8)
	v_fmac_f32_e32 v27, v26, v37
	s_waitcnt vmcnt(7)
	v_fmac_f32_e32 v27, v28, v38
	;; [unrolled: 2-line block ×3, first 2 shown]
	s_waitcnt vmcnt(5) lgkmcnt(1)
	v_fmac_f32_e32 v27, v30, v40
	s_waitcnt vmcnt(4)
	v_fmac_f32_e32 v27, v31, v41
	s_waitcnt vmcnt(3)
	;; [unrolled: 2-line block ×3, first 2 shown]
	v_fmac_f32_e32 v27, v33, v43
	v_cndmask_b32_e64 v46, v20, v22, s[8:9]
	s_waitcnt vmcnt(1) lgkmcnt(0)
	v_fmac_f32_e32 v27, v34, v44
	v_lshlrev_b32_e32 v46, 2, v46
	s_waitcnt vmcnt(0)
	v_fmac_f32_e32 v27, v35, v45
	ds_bpermute_b32 v26, v46, v27
	v_cmp_lt_i32_e64 s[8:9], v23, v21
	s_waitcnt lgkmcnt(0)
	v_add_f32_e32 v26, v27, v26
	v_cndmask_b32_e64 v28, v20, v23, s[8:9]
	v_lshlrev_b32_e32 v28, 2, v28
	ds_bpermute_b32 v27, v28, v26
	v_cmp_lt_i32_e64 s[8:9], v24, v21
	s_waitcnt lgkmcnt(0)
	v_add_f32_e32 v26, v26, v27
	v_cndmask_b32_e64 v28, v20, v24, s[8:9]
	v_lshlrev_b32_e32 v28, 2, v28
	ds_bpermute_b32 v27, v28, v26
	s_and_saveexec_b64 s[44:45], vcc
	s_cbranch_execz .LBB4_12
; %bb.18:                               ;   in Loop: Header=BB4_14 Depth=1
	v_add_u32_e32 v28, v15, v13
	v_cvt_f32_i32_e32 v28, v28
	s_waitcnt lgkmcnt(0)
	v_add_f32_e32 v26, v26, v27
	v_add_u32_e32 v29, v9, v13
	v_cmp_gt_i32_e64 s[8:9], s29, v29
	v_mul_f32_e32 v27, s50, v28
	v_cndmask_b32_e64 v27, 0, v27, s[0:1]
	v_fmac_f32_e32 v27, s39, v26
	v_cndmask_b32_e64 v26, 0, v27, s[8:9]
	ds_write_b32 v14, v26
	v_max_f32_e32 v26, v12, v12
	v_max_f32_e32 v26, v26, v27
	v_cndmask_b32_e64 v12, v12, v26, s[8:9]
	s_branch .LBB4_12
.LBB4_19:
	s_or_b64 exec, exec, s[42:43]
.LBB4_20:
	s_or_b64 exec, exec, s[40:41]
	v_mbcnt_hi_u32_b32 v2, -1, v8
	v_and_b32_e32 v3, 64, v2
	v_add_u32_e32 v3, 64, v3
	v_xor_b32_e32 v4, 32, v2
	v_cmp_lt_i32_e32 vcc, v4, v3
	v_xor_b32_e32 v8, 16, v2
	v_max_f32_e32 v5, v12, v12
	v_cndmask_b32_e32 v4, v2, v4, vcc
	v_lshlrev_b32_e32 v9, 2, v4
	ds_bpermute_b32 v4, v9, v12
	v_cmp_lt_i32_e32 vcc, v8, v3
	s_waitcnt lgkmcnt(0)
	v_max_f32_e32 v4, v4, v4
	v_max_f32_e32 v4, v5, v4
	v_cndmask_b32_e32 v5, v2, v8, vcc
	v_lshlrev_b32_e32 v11, 2, v5
	ds_bpermute_b32 v5, v11, v4
	v_xor_b32_e32 v8, 8, v2
	v_cmp_lt_i32_e32 vcc, v8, v3
	s_waitcnt lgkmcnt(0)
	v_max_f32_e32 v5, v5, v5
	v_max_f32_e32 v5, v4, v5
	v_cndmask_b32_e32 v4, v2, v8, vcc
	v_lshlrev_b32_e32 v12, 2, v4
	ds_bpermute_b32 v10, v12, v5
	v_and_b32_e32 v4, 63, v0
	v_cmp_eq_u32_e32 vcc, 0, v4
	v_lshlrev_b32_e32 v8, 2, v7
	s_and_saveexec_b64 s[0:1], vcc
	s_cbranch_execz .LBB4_22
; %bb.21:
	s_waitcnt lgkmcnt(0)
	v_max_f32_e32 v10, v10, v10
	v_max_f32_e32 v5, v5, v5
	v_max_f32_e32 v5, v5, v10
	ds_write_b32 v8, v5 offset:320
.LBB4_22:
	s_or_b64 exec, exec, s[0:1]
	v_cmp_gt_u32_e64 s[0:1], 2, v4
	v_mov_b32_e32 v5, 0xff7fffff
	s_waitcnt lgkmcnt(0)
	v_lshlrev_b32_e32 v10, 2, v4
	s_barrier
	s_and_saveexec_b64 s[8:9], s[0:1]
	s_cbranch_execz .LBB4_24
; %bb.23:
	ds_read_b32 v5, v10 offset:320
.LBB4_24:
	s_or_b64 exec, exec, s[8:9]
	v_xor_b32_e32 v13, 1, v2
	v_cmp_lt_i32_e64 s[8:9], v13, v3
	v_mov_b32_e32 v14, 0
	s_nop 0
	v_cndmask_b32_e64 v13, v2, v13, s[8:9]
	v_lshlrev_b32_e32 v28, 2, v13
	s_waitcnt lgkmcnt(0)
	ds_bpermute_b32 v13, v28, v5
	v_max_f32_e32 v5, v5, v5
	s_sub_i32 s8, s48, s16
	s_lshl_b32 s8, s8, 3
	s_add_i32 s8, s8, s49
	s_waitcnt lgkmcnt(0)
	v_max_f32_e32 v13, v13, v13
	v_max_f32_e32 v5, v5, v13
	v_lshlrev_b32_e32 v13, 2, v2
	v_and_b32_e32 v13, 0x100, v13
	ds_bpermute_b32 v5, v13, v5
	s_min_i32 s16, s8, s29
	s_sub_i32 s15, s16, s49
	v_cmp_gt_i32_e64 s[8:9], s15, v0
	s_and_saveexec_b64 s[38:39], s[8:9]
	s_cbranch_execz .LBB4_28
; %bb.25:
	v_mov_b32_e32 v14, 0x150
	v_lshl_add_u32 v15, v0, 2, v14
	s_mov_b64 s[40:41], 0
	v_mov_b32_e32 v14, 0
	v_mov_b32_e32 v16, v0
.LBB4_26:                               ; =>This Inner Loop Header: Depth=1
	ds_read_b32 v20, v15
	v_add_u32_e32 v16, 0x80, v16
	v_cmp_le_i32_e64 s[10:11], s15, v16
	s_or_b64 s[40:41], s[10:11], s[40:41]
	s_waitcnt lgkmcnt(0)
	v_sub_f32_e32 v20, v20, v5
	v_mul_f32_e32 v20, 0x3fb8aa3b, v20
	v_exp_f32_e32 v20, v20
	ds_write_b32 v15, v20
	v_add_f32_e32 v14, v14, v20
	v_add_u32_e32 v15, 0x200, v15
	s_andn2_b64 exec, exec, s[40:41]
	s_cbranch_execnz .LBB4_26
; %bb.27:
	s_or_b64 exec, exec, s[40:41]
.LBB4_28:
	s_or_b64 exec, exec, s[38:39]
	ds_bpermute_b32 v9, v9, v14
	s_waitcnt lgkmcnt(0)
	v_add_f32_e32 v9, v14, v9
	ds_bpermute_b32 v11, v11, v9
	s_waitcnt lgkmcnt(0)
	v_add_f32_e32 v9, v9, v11
	ds_bpermute_b32 v11, v12, v9
	v_xor_b32_e32 v12, 4, v2
	v_cmp_lt_i32_e64 s[10:11], v12, v3
	s_waitcnt lgkmcnt(0)
	v_add_f32_e32 v9, v9, v11
	v_cndmask_b32_e64 v12, v2, v12, s[10:11]
	v_lshlrev_b32_e32 v12, 2, v12
	ds_bpermute_b32 v11, v12, v9
	v_xor_b32_e32 v12, 2, v2
	v_cmp_lt_i32_e64 s[10:11], v12, v3
	s_waitcnt lgkmcnt(0)
	v_add_f32_e32 v3, v9, v11
	v_cndmask_b32_e64 v2, v2, v12, s[10:11]
	v_lshlrev_b32_e32 v2, 2, v2
	ds_bpermute_b32 v2, v2, v3
	s_waitcnt lgkmcnt(0)
	v_add_f32_e32 v2, v3, v2
	ds_bpermute_b32 v3, v28, v2
	s_waitcnt lgkmcnt(0)
	v_add_f32_e32 v2, v2, v3
	s_and_saveexec_b64 s[10:11], vcc
	s_cbranch_execz .LBB4_30
; %bb.29:
	ds_write_b32 v8, v2 offset:328
.LBB4_30:
	s_or_b64 exec, exec, s[10:11]
	s_waitcnt lgkmcnt(0)
	s_barrier
	s_and_saveexec_b64 s[10:11], s[0:1]
	s_cbranch_execz .LBB4_32
; %bb.31:
	ds_read_b32 v2, v10 offset:328
.LBB4_32:
	s_or_b64 exec, exec, s[10:11]
	s_waitcnt lgkmcnt(0)
	ds_bpermute_b32 v3, v28, v2
	s_waitcnt lgkmcnt(0)
	v_add_f32_e32 v2, v2, v3
	ds_bpermute_b32 v8, v13, v2
	s_and_saveexec_b64 s[0:1], s[8:9]
	s_cbranch_execz .LBB4_45
; %bb.33:
	s_waitcnt lgkmcnt(0)
	v_add_f32_e32 v2, 0x358637bd, v8
	v_div_scale_f32 v3, s[8:9], v2, v2, 1.0
	v_rcp_f32_e32 v9, v3
	v_div_scale_f32 v10, vcc, 1.0, v2, 1.0
	s_movk_i32 s8, 0x7f
	v_fma_f32 v11, -v3, v9, 1.0
	v_fmac_f32_e32 v9, v11, v9
	v_mul_f32_e32 v11, v10, v9
	v_fma_f32 v12, -v3, v11, v10
	v_fmac_f32_e32 v11, v12, v9
	v_fma_f32 v3, -v3, v11, v10
	v_div_fmas_f32 v3, v3, v9, v11
	v_div_fixup_f32 v2, v3, v2, 1.0
	v_xad_u32 v3, v0, -1, s16
	v_subrev_u32_e32 v9, s49, v3
	v_cmp_lt_u32_e32 vcc, s8, v9
	s_mov_b64 s[10:11], -1
	v_mov_b32_e32 v3, v0
	s_and_saveexec_b64 s[8:9], vcc
	s_cbranch_execz .LBB4_42
; %bb.34:
	v_lshrrev_b32_e32 v9, 7, v9
	v_add_u32_e32 v11, -1, v9
	v_lshrrev_b32_e32 v10, 1, v11
	v_mov_b32_e32 v3, v2
	v_add_u32_e32 v10, 1, v10
	v_cmp_lt_u32_e32 vcc, 13, v11
	v_mov_b32_e32 v13, 0
	s_and_saveexec_b64 s[10:11], vcc
	s_cbranch_execz .LBB4_38
; %bb.35:
	v_mov_b32_e32 v12, 0x150
	v_and_b32_e32 v11, -8, v10
	v_lshl_add_u32 v12, v0, 2, v12
	s_mov_b32 s16, 0
	s_mov_b64 s[38:39], 0
.LBB4_36:                               ; =>This Inner Loop Header: Depth=1
	ds_read2st64_b32 v[14:15], v12 offset1:2
	ds_read2st64_b32 v[20:21], v12 offset0:4 offset1:6
	ds_read2st64_b32 v[22:23], v12 offset0:8 offset1:10
	ds_read2st64_b32 v[24:25], v12 offset0:12 offset1:14
	v_add_u32_e32 v11, -8, v11
	s_waitcnt lgkmcnt(3)
	v_pk_mul_f32 v[14:15], v[2:3], v[14:15]
	s_waitcnt lgkmcnt(2)
	v_pk_mul_f32 v[20:21], v[2:3], v[20:21]
	ds_write2st64_b32 v12, v14, v15 offset1:2
	ds_write2st64_b32 v12, v20, v21 offset0:4 offset1:6
	ds_read2st64_b32 v[20:21], v12 offset0:16 offset1:18
	s_waitcnt lgkmcnt(4)
	v_pk_mul_f32 v[14:15], v[2:3], v[22:23]
	ds_write2st64_b32 v12, v14, v15 offset0:8 offset1:10
	s_waitcnt lgkmcnt(4)
	v_pk_mul_f32 v[14:15], v[2:3], v[24:25]
	ds_write2st64_b32 v12, v14, v15 offset0:12 offset1:14
	ds_read2st64_b32 v[14:15], v12 offset0:20 offset1:22
	s_waitcnt lgkmcnt(3)
	v_pk_mul_f32 v[20:21], v[2:3], v[20:21]
	ds_read2st64_b32 v[22:23], v12 offset0:24 offset1:26
	ds_write2st64_b32 v12, v20, v21 offset0:16 offset1:18
	ds_read2st64_b32 v[20:21], v12 offset0:28 offset1:30
	s_waitcnt lgkmcnt(3)
	v_pk_mul_f32 v[14:15], v[2:3], v[14:15]
	ds_write2st64_b32 v12, v14, v15 offset0:20 offset1:22
	s_waitcnt lgkmcnt(3)
	v_pk_mul_f32 v[14:15], v[2:3], v[22:23]
	ds_write2st64_b32 v12, v14, v15 offset0:24 offset1:26
	s_waitcnt lgkmcnt(2)
	v_pk_mul_f32 v[14:15], v[2:3], v[20:21]
	s_add_i32 s16, s16, 16
	v_cmp_eq_u32_e32 vcc, 0, v11
	ds_write2st64_b32 v12, v14, v15 offset0:28 offset1:30
	v_add_u32_e32 v12, 0x2000, v12
	s_or_b64 s[38:39], vcc, s[38:39]
	v_mov_b32_e32 v13, s16
	s_andn2_b64 exec, exec, s[38:39]
	s_cbranch_execnz .LBB4_36
; %bb.37:
	s_or_b64 exec, exec, s[38:39]
.LBB4_38:
	s_or_b64 exec, exec, s[10:11]
	v_and_b32_e32 v10, 7, v10
	v_cmp_ne_u32_e32 vcc, 0, v10
	s_and_saveexec_b64 s[10:11], vcc
	s_cbranch_execz .LBB4_41
; %bb.39:
	v_lshlrev_b32_e32 v11, 9, v13
	s_movk_i32 s16, 0x150
	v_add3_u32 v11, v11, v6, s16
	s_mov_b64 s[38:39], 0
.LBB4_40:                               ; =>This Inner Loop Header: Depth=1
	ds_read2st64_b32 v[12:13], v11 offset1:2
	v_add_u32_e32 v10, -1, v10
	v_cmp_eq_u32_e32 vcc, 0, v10
	s_or_b64 s[38:39], vcc, s[38:39]
	s_waitcnt lgkmcnt(0)
	v_pk_mul_f32 v[12:13], v[2:3], v[12:13]
	ds_write2st64_b32 v11, v12, v13 offset1:2
	v_add_u32_e32 v11, 0x400, v11
	s_andn2_b64 exec, exec, s[38:39]
	s_cbranch_execnz .LBB4_40
.LBB4_41:
	s_or_b64 exec, exec, s[10:11]
	v_add_u32_e32 v9, 1, v9
	v_and_b32_e32 v10, 0x3fffffe, v9
	v_cmp_ne_u32_e32 vcc, v9, v10
	v_lshl_add_u32 v3, v10, 7, v0
	s_orn2_b64 s[10:11], vcc, exec
.LBB4_42:
	s_or_b64 exec, exec, s[8:9]
	s_and_b64 exec, exec, s[10:11]
	s_cbranch_execz .LBB4_45
; %bb.43:
	v_mov_b32_e32 v9, 0x150
	v_lshl_add_u32 v9, v3, 2, v9
	s_mov_b64 s[8:9], 0
.LBB4_44:                               ; =>This Inner Loop Header: Depth=1
	ds_read_b32 v10, v9
	v_add_u32_e32 v3, 0x80, v3
	v_cmp_le_i32_e32 vcc, s15, v3
	s_or_b64 s[8:9], vcc, s[8:9]
	s_waitcnt lgkmcnt(0)
	v_mul_f32_e32 v10, v2, v10
	ds_write_b32 v9, v10
	v_add_u32_e32 v9, 0x200, v9
	s_andn2_b64 exec, exec, s[8:9]
	s_cbranch_execnz .LBB4_44
.LBB4_45:
	s_or_b64 exec, exec, s[0:1]
	s_mul_i32 s0, s19, s28
	v_cmp_eq_u32_e32 vcc, 0, v0
	s_mul_i32 s8, s0, s5
	s_waitcnt lgkmcnt(0)
	s_barrier
	s_and_saveexec_b64 s[0:1], vcc
	s_cbranch_execz .LBB4_47
; %bb.46:
	s_ashr_i32 s9, s8, 31
	s_lshl_b64 s[10:11], s[8:9], 2
	s_add_u32 s5, s22, s10
	s_mul_i32 s22, s19, s2
	s_addc_u32 s9, s23, s11
	s_ashr_i32 s23, s22, 31
	s_lshl_b64 s[22:23], s[22:23], 2
	s_add_u32 s2, s5, s22
	s_addc_u32 s9, s9, s23
	s_ashr_i32 s5, s4, 31
	s_lshl_b64 s[38:39], s[4:5], 2
	s_add_u32 s40, s2, s38
	s_addc_u32 s41, s9, s39
	s_add_u32 s2, s20, s10
	s_addc_u32 s5, s21, s11
	s_add_u32 s2, s2, s22
	s_addc_u32 s5, s5, s23
	s_add_u32 s10, s2, s38
	v_mov_b32_e32 v2, 0
	s_addc_u32 s11, s5, s39
	global_store_dword v2, v5, s[40:41]
	global_store_dword v2, v8, s[10:11]
.LBB4_47:
	s_or_b64 exec, exec, s[0:1]
	s_mov_b32 s0, 0
	v_mov_b32_e32 v16, 0
	v_lshrrev_b32_e32 v30, 1, v4
	v_and_b32_e32 v29, 1, v0
	v_mov_b32_e32 v15, 0
	v_mov_b32_e32 v14, 0
	s_and_saveexec_b64 s[10:11], s[6:7]
	s_cbranch_execz .LBB4_61
; %bb.48:
	s_ashr_i32 s15, s14, 31
	s_sub_i32 s5, s12, s17
	s_lshl_b64 s[6:7], s[14:15], 2
	s_add_u32 s6, s36, s6
	s_addc_u32 s7, s37, s7
	s_abs_i32 s9, s18
	v_cvt_f32_u32_e32 v3, s9
	v_or_b32_e32 v4, 64, v30
	s_movk_i32 s1, 0x50
	s_add_i32 s20, s3, -1
	v_rcp_iflag_f32_e32 v3, v3
	v_cmp_gt_u32_e32 vcc, s1, v4
	s_sub_i32 s1, 0, s9
	s_lshl_b64 s[2:3], s[34:35], 2
	v_mul_f32_e32 v3, 0x4f7ffffe, v3
	v_cvt_u32_f32_e32 v3, v3
	s_add_u32 s2, s30, s2
	s_addc_u32 s3, s31, s3
	v_and_b32_e32 v31, 4, v6
	v_mul_lo_u32 v5, s1, v3
	v_mul_hi_u32 v5, v3, v5
	v_add_u32_e32 v32, v3, v5
	v_lshl_add_u64 v[22:23], v[18:19], 2, s[2:3]
	v_lshlrev_b32_e32 v3, 4, v29
	s_mov_b32 s2, s0
	v_lshl_or_b32 v2, v30, 3, v31
	v_lshl_or_b32 v4, v4, 3, v31
	v_lshl_or_b32 v3, v7, 5, v3
	s_mov_b32 s1, s0
	v_mov_b32_e32 v16, s2
	s_mov_b32 s18, s13
	v_mov_b32_e32 v21, 0
	v_add_u32_e32 v19, 0x150, v3
	s_mov_b64 s[12:13], 0
	v_mov_b32_e32 v15, s1
	v_mov_b32_e32 v14, s0
	v_lshlrev_b32_e32 v20, 2, v2
	v_lshlrev_b32_e32 v24, 2, v4
	s_branch .LBB4_52
.LBB4_49:                               ;   in Loop: Header=BB4_52 Depth=1
	s_or_b64 exec, exec, s[16:17]
	s_waitcnt vmcnt(0)
	v_mul_f32_e32 v3, v3, v7
	v_fmac_f32_e32 v3, v2, v6
	v_fmac_f32_e32 v3, v4, v8
	;; [unrolled: 1-line block ×3, first 2 shown]
	v_add_f32_e32 v16, v16, v3
.LBB4_50:                               ;   in Loop: Header=BB4_52 Depth=1
	s_or_b64 exec, exec, s[2:3]
.LBB4_51:                               ;   in Loop: Header=BB4_52 Depth=1
	s_or_b64 exec, exec, s[14:15]
	v_add_u32_e32 v18, 2, v18
	v_cmp_le_i32_e64 s[0:1], s48, v18
	v_lshl_add_u64 v[22:23], v[22:23], 0, 8
	v_add_u32_e32 v17, 16, v17
	s_or_b64 s[12:13], s[0:1], s[12:13]
	v_add_u32_e32 v19, 64, v19
	s_andn2_b64 exec, exec, s[12:13]
	s_cbranch_execz .LBB4_60
.LBB4_52:                               ; =>This Inner Loop Header: Depth=1
	v_sub_u32_e32 v3, 0, v17
	v_max_i32_e32 v3, v17, v3
	v_mul_hi_u32 v4, v3, s33
	v_mul_lo_u32 v5, v4, s25
	v_sub_u32_e32 v3, v3, v5
	v_add_u32_e32 v5, 1, v4
	v_cmp_le_u32_e64 s[0:1], s25, v3
	v_ashrrev_i32_e32 v2, 31, v17
	v_xor_b32_e32 v2, s47, v2
	v_cndmask_b32_e64 v4, v4, v5, s[0:1]
	v_subrev_u32_e32 v5, s25, v3
	v_cndmask_b32_e64 v3, v3, v5, s[0:1]
	v_add_u32_e32 v5, 1, v4
	v_cmp_le_u32_e64 s[0:1], s25, v3
	s_nop 1
	v_cndmask_b32_e64 v3, v4, v5, s[0:1]
	v_xor_b32_e32 v3, v3, v2
	v_sub_u32_e32 v2, v3, v2
	v_add_u32_e32 v3, s46, v2
	v_sub_u32_e32 v5, 0, v3
	v_ashrrev_i32_e32 v4, 31, v3
	v_max_i32_e32 v3, v3, v5
	v_mul_hi_u32 v5, v3, v32
	v_mul_lo_u32 v5, v5, s9
	v_sub_u32_e32 v3, v3, v5
	v_subrev_u32_e32 v5, s9, v3
	v_cmp_le_u32_e64 s[0:1], s9, v3
	v_cmp_lt_i32_e64 s[2:3], s5, v2
	s_nop 0
	v_cndmask_b32_e64 v3, v3, v5, s[0:1]
	v_subrev_u32_e32 v5, s9, v3
	v_cmp_le_u32_e64 s[0:1], s9, v3
	s_nop 1
	v_cndmask_b32_e64 v3, v3, v5, s[0:1]
	v_xor_b32_e32 v3, v3, v4
	v_sub_u32_e32 v3, v3, v4
	v_cmp_eq_u32_e64 s[0:1], 0, v3
	s_or_b64 s[0:1], s[0:1], s[2:3]
	s_and_saveexec_b64 s[14:15], s[0:1]
	s_cbranch_execz .LBB4_51
; %bb.53:                               ;   in Loop: Header=BB4_52 Depth=1
	global_load_dword v2, v[22:23], off
	v_add_u32_e32 v33, v31, v17
	s_waitcnt vmcnt(0)
	v_mad_i64_i32 v[2:3], s[0:1], v2, s18, 0
	v_lshl_add_u64 v[26:27], v[2:3], 2, s[6:7]
	v_lshl_add_u64 v[10:11], v[26:27], 0, v[20:21]
	global_load_dwordx4 v[6:9], v[10:11], off
	ds_read_b128 v[2:5], v19
	v_cmp_eq_u32_e64 s[0:1], s20, v18
	s_and_saveexec_b64 s[16:17], s[0:1]
	s_cbranch_execz .LBB4_55
; %bb.54:                               ;   in Loop: Header=BB4_52 Depth=1
	v_cmp_gt_i32_e64 s[2:3], s29, v33
	v_add_u32_e32 v12, 1, v33
	s_waitcnt vmcnt(0)
	v_cndmask_b32_e64 v6, 0, v6, s[2:3]
	v_cmp_gt_i32_e64 s[2:3], s29, v12
	v_add_u32_e32 v12, 2, v33
	s_nop 0
	v_cndmask_b32_e64 v7, 0, v7, s[2:3]
	v_cmp_gt_i32_e64 s[2:3], s29, v12
	v_add_u32_e32 v12, 3, v33
	s_nop 0
	v_cndmask_b32_e64 v8, 0, v8, s[2:3]
	v_cmp_gt_i32_e64 s[2:3], s29, v12
	s_nop 1
	v_cndmask_b32_e64 v9, 0, v9, s[2:3]
.LBB4_55:                               ;   in Loop: Header=BB4_52 Depth=1
	s_or_b64 exec, exec, s[16:17]
	global_load_dwordx4 v[10:13], v[10:11], off offset:1024
	s_and_saveexec_b64 s[16:17], s[0:1]
	s_cbranch_execz .LBB4_57
; %bb.56:                               ;   in Loop: Header=BB4_52 Depth=1
	v_cmp_gt_i32_e64 s[2:3], s29, v33
	v_add_u32_e32 v25, 1, v33
	s_waitcnt vmcnt(0)
	v_cndmask_b32_e64 v10, 0, v10, s[2:3]
	v_cmp_gt_i32_e64 s[2:3], s29, v25
	v_add_u32_e32 v25, 2, v33
	s_nop 0
	v_cndmask_b32_e64 v11, 0, v11, s[2:3]
	v_cmp_gt_i32_e64 s[2:3], s29, v25
	v_add_u32_e32 v25, 3, v33
	s_nop 0
	v_cndmask_b32_e64 v12, 0, v12, s[2:3]
	v_cmp_gt_i32_e64 s[2:3], s29, v25
	s_nop 1
	v_cndmask_b32_e64 v13, 0, v13, s[2:3]
.LBB4_57:                               ;   in Loop: Header=BB4_52 Depth=1
	s_or_b64 exec, exec, s[16:17]
	s_waitcnt vmcnt(1) lgkmcnt(0)
	v_mul_f32_e32 v7, v3, v7
	v_fmac_f32_e32 v7, v2, v6
	s_waitcnt vmcnt(0)
	v_mul_f32_e32 v6, v3, v11
	v_fmac_f32_e32 v6, v2, v10
	v_fmac_f32_e32 v7, v4, v8
	;; [unrolled: 1-line block ×5, first 2 shown]
	v_add_f32_e32 v14, v14, v7
	v_add_f32_e32 v15, v15, v6
	s_and_saveexec_b64 s[2:3], vcc
	s_cbranch_execz .LBB4_50
; %bb.58:                               ;   in Loop: Header=BB4_52 Depth=1
	v_mov_b32_e32 v25, v21
	v_lshl_add_u64 v[6:7], v[26:27], 0, v[24:25]
	global_load_dwordx4 v[6:9], v[6:7], off
	s_and_saveexec_b64 s[16:17], s[0:1]
	s_cbranch_execz .LBB4_49
; %bb.59:                               ;   in Loop: Header=BB4_52 Depth=1
	v_cmp_gt_i32_e64 s[0:1], s29, v33
	v_add_u32_e32 v10, 1, v33
	s_waitcnt vmcnt(0)
	v_cndmask_b32_e64 v6, 0, v6, s[0:1]
	v_cmp_gt_i32_e64 s[0:1], s29, v10
	v_add_u32_e32 v10, 2, v33
	s_nop 0
	v_cndmask_b32_e64 v7, 0, v7, s[0:1]
	v_cmp_gt_i32_e64 s[0:1], s29, v10
	v_add_u32_e32 v10, 3, v33
	s_nop 0
	v_cndmask_b32_e64 v8, 0, v8, s[0:1]
	v_cmp_gt_i32_e64 s[0:1], s29, v10
	s_nop 1
	v_cndmask_b32_e64 v9, 0, v9, s[0:1]
	s_branch .LBB4_49
.LBB4_60:
	s_or_b64 exec, exec, s[12:13]
.LBB4_61:
	s_or_b64 exec, exec, s[10:11]
	ds_bpermute_b32 v2, v28, v14
	ds_bpermute_b32 v3, v28, v15
	;; [unrolled: 1-line block ×3, first 2 shown]
	v_and_b32_e32 v5, 0x3c0, v0
	v_cmp_eq_u32_e32 vcc, 64, v5
	s_waitcnt lgkmcnt(0)
	v_pk_add_f32 v[2:3], v[14:15], v[2:3]
	v_add_f32_e32 v4, v16, v4
	s_barrier
	s_and_saveexec_b64 s[2:3], vcc
	s_cbranch_execz .LBB4_66
; %bb.62:
	v_cmp_eq_u32_e32 vcc, 0, v29
	s_and_saveexec_b64 s[0:1], vcc
	s_cbranch_execz .LBB4_64
; %bb.63:
	v_mov_b32_e32 v5, 0x150
	v_lshl_add_u32 v5, v30, 2, v5
	ds_write2_b32 v5, v2, v3 offset1:32
.LBB4_64:
	s_or_b64 exec, exec, s[0:1]
	v_or_b32_e32 v5, 64, v30
	s_movk_i32 s0, 0x50
	v_cmp_gt_u32_e64 s[0:1], s0, v5
	s_and_b64 s[0:1], vcc, s[0:1]
	s_and_b64 exec, exec, s[0:1]
	s_cbranch_execz .LBB4_66
; %bb.65:
	v_mov_b32_e32 v5, 0x150
	v_lshl_add_u32 v5, v30, 2, v5
	ds_write_b32 v5, v4 offset:256
.LBB4_66:
	s_or_b64 exec, exec, s[2:3]
	v_cmp_gt_u32_e32 vcc, 64, v0
	s_waitcnt lgkmcnt(0)
	s_barrier
	s_and_saveexec_b64 s[6:7], vcc
	s_cbranch_execz .LBB4_74
; %bb.67:
	v_cmp_eq_u32_e64 s[0:1], 0, v29
	s_and_saveexec_b64 s[2:3], s[0:1]
	s_cbranch_execz .LBB4_69
; %bb.68:
	v_mov_b32_e32 v0, 0x150
	v_lshl_add_u32 v0, v1, 2, v0
	ds_read_b32 v0, v0
	s_waitcnt lgkmcnt(0)
	v_add_f32_e32 v2, v2, v0
.LBB4_69:
	s_or_b64 exec, exec, s[2:3]
	s_and_saveexec_b64 s[2:3], s[0:1]
	s_cbranch_execz .LBB4_71
; %bb.70:
	v_mov_b32_e32 v0, 0x150
	v_lshl_add_u32 v0, v1, 2, v0
	ds_read_b32 v0, v0 offset:128
	s_waitcnt lgkmcnt(0)
	v_add_f32_e32 v3, v3, v0
.LBB4_71:
	s_or_b64 exec, exec, s[2:3]
	v_or_b32_e32 v0, 64, v1
	s_movk_i32 s2, 0x50
	v_cmp_gt_u32_e64 s[2:3], s2, v0
	s_and_b64 s[2:3], s[0:1], s[2:3]
	s_and_saveexec_b64 s[0:1], s[2:3]
	s_cbranch_execz .LBB4_73
; %bb.72:
	v_mov_b32_e32 v0, 0x150
	v_lshl_add_u32 v0, v1, 2, v0
	ds_read_b32 v0, v0 offset:256
	s_waitcnt lgkmcnt(0)
	v_add_f32_e32 v4, v4, v0
.LBB4_73:
	s_or_b64 exec, exec, s[0:1]
.LBB4_74:
	s_or_b64 exec, exec, s[6:7]
	s_barrier
	s_and_saveexec_b64 s[0:1], vcc
	s_cbranch_execz .LBB4_79
; %bb.75:
	s_mul_i32 s0, s8, 0x50
	s_ashr_i32 s1, s0, 31
	s_lshl_b64 s[0:1], s[0:1], 2
	s_add_u32 s2, s26, s0
	s_mul_i32 s0, s19, s24
	s_addc_u32 s3, s27, s1
	s_ashr_i32 s1, s0, 31
	s_lshl_b64 s[0:1], s[0:1], 2
	s_add_u32 s2, s2, s0
	s_mul_i32 s0, s4, 0x50
	s_addc_u32 s3, s3, s1
	s_ashr_i32 s1, s0, 31
	s_lshl_b64 s[0:1], s[0:1], 2
	s_add_u32 s2, s2, s0
	s_movk_i32 s5, 0x50
	s_addc_u32 s3, s3, s1
	v_cmp_eq_u32_e32 vcc, 0, v29
	v_lshlrev_b32_e32 v0, 2, v1
	s_and_saveexec_b64 s[0:1], vcc
	s_cbranch_execz .LBB4_77
; %bb.76:
	global_store_dword v0, v2, s[2:3]
	global_store_dword v0, v3, s[2:3] offset:128
.LBB4_77:
	s_or_b64 exec, exec, s[0:1]
	v_or_b32_e32 v1, 64, v1
	v_cmp_gt_u32_e64 s[0:1], s5, v1
	s_and_b64 s[0:1], vcc, s[0:1]
	s_and_b64 exec, exec, s[0:1]
	s_cbranch_execz .LBB4_79
; %bb.78:
	global_store_dword v0, v4, s[2:3] offset:256
.LBB4_79:
	s_endpgm
	.section	.rodata,"a",@progbits
	.p2align	6, 0x0
	.amdhsa_kernel _ZN4vllm25paged_attention_v2_kernelIffLi80ELi8ELi128ELNS_18Fp8KVCacheDataTypeE0ELb1ELi512EEEvPfS2_PT_PKS3_PKT0_S9_ifPKiSB_iPKfiiiSD_SD_iiiii
		.amdhsa_group_segment_fixed_size 336
		.amdhsa_private_segment_fixed_size 0
		.amdhsa_kernarg_size 400
		.amdhsa_user_sgpr_count 2
		.amdhsa_user_sgpr_dispatch_ptr 0
		.amdhsa_user_sgpr_queue_ptr 0
		.amdhsa_user_sgpr_kernarg_segment_ptr 1
		.amdhsa_user_sgpr_dispatch_id 0
		.amdhsa_user_sgpr_kernarg_preload_length 0
		.amdhsa_user_sgpr_kernarg_preload_offset 0
		.amdhsa_user_sgpr_private_segment_size 0
		.amdhsa_uses_dynamic_stack 0
		.amdhsa_enable_private_segment 0
		.amdhsa_system_sgpr_workgroup_id_x 1
		.amdhsa_system_sgpr_workgroup_id_y 1
		.amdhsa_system_sgpr_workgroup_id_z 1
		.amdhsa_system_sgpr_workgroup_info 0
		.amdhsa_system_vgpr_workitem_id 0
		.amdhsa_next_free_vgpr 47
		.amdhsa_next_free_sgpr 52
		.amdhsa_accum_offset 48
		.amdhsa_reserve_vcc 1
		.amdhsa_float_round_mode_32 0
		.amdhsa_float_round_mode_16_64 0
		.amdhsa_float_denorm_mode_32 3
		.amdhsa_float_denorm_mode_16_64 3
		.amdhsa_dx10_clamp 1
		.amdhsa_ieee_mode 1
		.amdhsa_fp16_overflow 0
		.amdhsa_tg_split 0
		.amdhsa_exception_fp_ieee_invalid_op 0
		.amdhsa_exception_fp_denorm_src 0
		.amdhsa_exception_fp_ieee_div_zero 0
		.amdhsa_exception_fp_ieee_overflow 0
		.amdhsa_exception_fp_ieee_underflow 0
		.amdhsa_exception_fp_ieee_inexact 0
		.amdhsa_exception_int_div_zero 0
	.end_amdhsa_kernel
	.section	.text._ZN4vllm25paged_attention_v2_kernelIffLi80ELi8ELi128ELNS_18Fp8KVCacheDataTypeE0ELb1ELi512EEEvPfS2_PT_PKS3_PKT0_S9_ifPKiSB_iPKfiiiSD_SD_iiiii,"axG",@progbits,_ZN4vllm25paged_attention_v2_kernelIffLi80ELi8ELi128ELNS_18Fp8KVCacheDataTypeE0ELb1ELi512EEEvPfS2_PT_PKS3_PKT0_S9_ifPKiSB_iPKfiiiSD_SD_iiiii,comdat
.Lfunc_end4:
	.size	_ZN4vllm25paged_attention_v2_kernelIffLi80ELi8ELi128ELNS_18Fp8KVCacheDataTypeE0ELb1ELi512EEEvPfS2_PT_PKS3_PKT0_S9_ifPKiSB_iPKfiiiSD_SD_iiiii, .Lfunc_end4-_ZN4vllm25paged_attention_v2_kernelIffLi80ELi8ELi128ELNS_18Fp8KVCacheDataTypeE0ELb1ELi512EEEvPfS2_PT_PKS3_PKT0_S9_ifPKiSB_iPKfiiiSD_SD_iiiii
                                        ; -- End function
	.section	.AMDGPU.csdata,"",@progbits
; Kernel info:
; codeLenInByte = 4768
; NumSgprs: 58
; NumVgprs: 47
; NumAgprs: 0
; TotalNumVgprs: 47
; ScratchSize: 0
; MemoryBound: 0
; FloatMode: 240
; IeeeMode: 1
; LDSByteSize: 336 bytes/workgroup (compile time only)
; SGPRBlocks: 7
; VGPRBlocks: 5
; NumSGPRsForWavesPerEU: 58
; NumVGPRsForWavesPerEU: 47
; AccumOffset: 48
; Occupancy: 8
; WaveLimiterHint : 1
; COMPUTE_PGM_RSRC2:SCRATCH_EN: 0
; COMPUTE_PGM_RSRC2:USER_SGPR: 2
; COMPUTE_PGM_RSRC2:TRAP_HANDLER: 0
; COMPUTE_PGM_RSRC2:TGID_X_EN: 1
; COMPUTE_PGM_RSRC2:TGID_Y_EN: 1
; COMPUTE_PGM_RSRC2:TGID_Z_EN: 1
; COMPUTE_PGM_RSRC2:TIDIG_COMP_CNT: 0
; COMPUTE_PGM_RSRC3_GFX90A:ACCUM_OFFSET: 11
; COMPUTE_PGM_RSRC3_GFX90A:TG_SPLIT: 0
	.section	.text._ZN4vllm32paged_attention_v2_reduce_kernelIfLi80ELi128ELi512EEEvPT_PKfS4_PKS1_PKii,"axG",@progbits,_ZN4vllm32paged_attention_v2_reduce_kernelIfLi80ELi128ELi512EEEvPT_PKfS4_PKS1_PKii,comdat
	.protected	_ZN4vllm32paged_attention_v2_reduce_kernelIfLi80ELi128ELi512EEEvPT_PKfS4_PKS1_PKii ; -- Begin function _ZN4vllm32paged_attention_v2_reduce_kernelIfLi80ELi128ELi512EEEvPT_PKfS4_PKS1_PKii
	.globl	_ZN4vllm32paged_attention_v2_reduce_kernelIfLi80ELi128ELi512EEEvPT_PKfS4_PKS1_PKii
	.p2align	8
	.type	_ZN4vllm32paged_attention_v2_reduce_kernelIfLi80ELi128ELi512EEEvPT_PKfS4_PKS1_PKii,@function
_ZN4vllm32paged_attention_v2_reduce_kernelIfLi80ELi128ELi512EEEvPT_PKfS4_PKS1_PKii: ; @_ZN4vllm32paged_attention_v2_reduce_kernelIfLi80ELi128ELi512EEEvPT_PKfS4_PKS1_PKii
; %bb.0:
	s_load_dwordx4 s[8:11], s[0:1], 0x18
	s_add_u32 s6, s0, 48
	s_mov_b32 s12, s3
	s_addc_u32 s7, s1, 0
	s_ashr_i32 s13, s3, 31
	s_lshl_b64 s[4:5], s[12:13], 2
	s_waitcnt lgkmcnt(0)
	s_add_u32 s4, s10, s4
	s_addc_u32 s5, s11, s5
	s_load_dword s26, s[4:5], 0x0
	s_load_dwordx2 s[10:11], s[0:1], 0x0
	s_load_dword s13, s[0:1], 0x28
	s_load_dword s3, s[0:1], 0x30
	s_waitcnt lgkmcnt(0)
	s_add_i32 s4, s26, -1
	s_cmpk_gt_u32 s4, 0x1ff
	s_mov_b64 s[4:5], -1
	s_cbranch_scc0 .LBB5_25
; %bb.1:
	s_add_i32 s4, s26, 0x1ff
	s_load_dwordx2 s[18:19], s[0:1], 0x8
	s_ashr_i32 s5, s4, 31
	s_lshr_b32 s5, s5, 23
	s_add_i32 s4, s4, s5
	s_mul_i32 s24, s3, s12
	s_ashr_i32 s25, s4, 9
	s_mul_i32 s14, s24, s13
	s_mul_i32 s16, s2, s13
	s_ashr_i32 s15, s14, 31
	s_ashr_i32 s17, s16, 31
	v_cmp_gt_i32_e32 vcc, s25, v0
	v_mov_b32_e32 v4, 0xff7fffff
	s_and_saveexec_b64 s[4:5], vcc
	s_cbranch_execz .LBB5_5
; %bb.2:
	s_load_dword s20, s[6:7], 0xc
	s_load_dwordx2 s[22:23], s[0:1], 0x10
	s_lshl_b64 s[0:1], s[14:15], 2
	s_lshl_b64 s[28:29], s[16:17], 2
	v_lshlrev_b32_e32 v4, 2, v0
	s_waitcnt lgkmcnt(0)
	s_and_b32 s27, s20, 0xffff
	s_add_u32 s0, s0, s28
	s_addc_u32 s1, s1, s29
	s_add_u32 s0, s22, s0
	v_mov_b32_e32 v5, 0
	s_addc_u32 s1, s23, s1
	s_mov_b32 s21, 0
	v_lshl_add_u64 v[2:3], s[0:1], 0, v[4:5]
	s_lshl_b32 s20, s27, 2
	v_add_u32_e32 v1, 16, v4
	s_mov_b64 s[22:23], 0
	v_mov_b32_e32 v4, 0xff7fffff
	v_mov_b32_e32 v5, v0
.LBB5_3:                                ; =>This Inner Loop Header: Depth=1
	global_load_dword v6, v[2:3], off
	v_add_u32_e32 v5, s27, v5
	v_max_f32_e32 v4, v4, v4
	v_cmp_le_i32_e64 s[0:1], s25, v5
	v_lshl_add_u64 v[2:3], v[2:3], 0, s[20:21]
	s_or_b64 s[22:23], s[0:1], s[22:23]
	s_waitcnt vmcnt(0)
	ds_write_b32 v1, v6
	v_max_f32_e32 v6, v6, v6
	v_add_u32_e32 v1, s20, v1
	v_max_f32_e32 v4, v4, v6
	s_andn2_b64 exec, exec, s[22:23]
	s_cbranch_execnz .LBB5_3
; %bb.4:
	s_or_b64 exec, exec, s[22:23]
.LBB5_5:
	s_or_b64 exec, exec, s[4:5]
	v_mbcnt_lo_u32_b32 v1, -1, 0
	v_mbcnt_hi_u32_b32 v2, -1, v1
	v_and_b32_e32 v1, 64, v2
	v_add_u32_e32 v5, 64, v1
	v_xor_b32_e32 v1, 32, v2
	v_cmp_lt_i32_e64 s[0:1], v1, v5
	v_xor_b32_e32 v6, 16, v2
	v_xor_b32_e32 v7, 8, v2
	v_cndmask_b32_e64 v1, v2, v1, s[0:1]
	v_lshlrev_b32_e32 v1, 2, v1
	ds_bpermute_b32 v3, v1, v4
	v_max_f32_e32 v4, v4, v4
	v_cmp_lt_i32_e64 s[0:1], v6, v5
	v_lshrrev_b32_e32 v11, 6, v0
	v_lshlrev_b32_e32 v11, 2, v11
	s_waitcnt lgkmcnt(0)
	v_max_f32_e32 v3, v3, v3
	v_max_f32_e32 v3, v4, v3
	v_cndmask_b32_e64 v4, v2, v6, s[0:1]
	v_lshlrev_b32_e32 v6, 2, v4
	ds_bpermute_b32 v4, v6, v3
	v_cmp_lt_i32_e64 s[0:1], v7, v5
	s_waitcnt lgkmcnt(0)
	s_barrier
	v_max_f32_e32 v4, v4, v4
	v_max_f32_e32 v3, v3, v4
	v_cndmask_b32_e64 v4, v2, v7, s[0:1]
	v_lshlrev_b32_e32 v8, 2, v4
	ds_bpermute_b32 v4, v8, v3
	v_xor_b32_e32 v7, 4, v2
	v_cmp_lt_i32_e64 s[0:1], v7, v5
	s_waitcnt lgkmcnt(0)
	v_max_f32_e32 v4, v4, v4
	v_max_f32_e32 v3, v3, v4
	v_cndmask_b32_e64 v4, v2, v7, s[0:1]
	v_lshlrev_b32_e32 v9, 2, v4
	ds_bpermute_b32 v4, v9, v3
	v_xor_b32_e32 v7, 2, v2
	v_cmp_lt_i32_e64 s[0:1], v7, v5
	s_waitcnt lgkmcnt(0)
	v_max_f32_e32 v4, v4, v4
	v_max_f32_e32 v4, v3, v4
	v_cndmask_b32_e64 v3, v2, v7, s[0:1]
	v_lshlrev_b32_e32 v10, 2, v3
	ds_bpermute_b32 v7, v10, v4
	v_and_b32_e32 v3, 63, v0
	s_waitcnt lgkmcnt(0)
	v_max_f32_e32 v7, v7, v7
	v_max_f32_e32 v4, v4, v7
	v_xor_b32_e32 v7, 1, v2
	v_cmp_lt_i32_e64 s[0:1], v7, v5
	s_nop 1
	v_cndmask_b32_e64 v5, v2, v7, s[0:1]
	v_lshlrev_b32_e32 v7, 2, v5
	ds_bpermute_b32 v5, v7, v4
	v_cmp_eq_u32_e64 s[0:1], 0, v3
	s_and_saveexec_b64 s[4:5], s[0:1]
	s_cbranch_execz .LBB5_7
; %bb.6:
	s_waitcnt lgkmcnt(0)
	v_max_f32_e32 v5, v5, v5
	v_max_f32_e32 v4, v4, v4
	;; [unrolled: 1-line block ×3, first 2 shown]
	ds_write_b32 v11, v4
.LBB5_7:
	s_or_b64 exec, exec, s[4:5]
	v_cmp_gt_u32_e64 s[4:5], 2, v3
	v_mov_b32_e32 v4, 0xff7fffff
	v_lshlrev_b32_e32 v12, 2, v3
	s_waitcnt lgkmcnt(0)
	s_barrier
	s_and_saveexec_b64 s[20:21], s[4:5]
	s_cbranch_execz .LBB5_9
; %bb.8:
	ds_read_b32 v4, v12
.LBB5_9:
	s_or_b64 exec, exec, s[20:21]
	s_waitcnt lgkmcnt(0)
	ds_bpermute_b32 v3, v7, v4
	v_max_f32_e32 v4, v4, v4
	v_lshlrev_b32_e32 v2, 2, v2
	v_and_b32_e32 v13, 0x100, v2
	s_lshl_b32 s27, s25, 2
	s_waitcnt lgkmcnt(0)
	v_max_f32_e32 v3, v3, v3
	v_max_f32_e32 v3, v4, v3
	ds_bpermute_b32 v14, v13, v3
	v_mov_b32_e32 v3, 0
	s_and_saveexec_b64 s[20:21], vcc
	s_cbranch_execz .LBB5_13
; %bb.10:
	s_load_dword s22, s[6:7], 0xc
	s_lshl_b64 s[28:29], s[14:15], 2
	s_lshl_b64 s[30:31], s[16:17], 2
	v_lshlrev_b32_e32 v2, 2, v0
	v_mov_b32_e32 v3, 0
	s_waitcnt lgkmcnt(0)
	s_and_b32 s15, s22, 0xffff
	s_add_u32 s17, s28, s30
	s_addc_u32 s22, s29, s31
	s_add_u32 s18, s18, s17
	s_addc_u32 s19, s19, s22
	s_mov_b32 s23, 0
	v_lshl_add_u64 v[4:5], s[18:19], 0, v[2:3]
	s_lshl_b32 s22, s15, 2
	v_add_u32_e32 v2, 16, v2
	s_mov_b64 s[18:19], 0
	s_mov_b32 s17, 0x3fb8aa3b
	s_mov_b32 s28, 0xc2ce8ed0
	;; [unrolled: 1-line block ×3, first 2 shown]
	v_mov_b32_e32 v15, 0x7f800000
	v_mov_b32_e32 v16, v0
.LBB5_11:                               ; =>This Inner Loop Header: Depth=1
	global_load_dword v17, v[4:5], off
	ds_read_b32 v18, v2
	v_add_u32_e32 v16, s15, v16
	v_cmp_le_i32_e32 vcc, s25, v16
	s_or_b64 s[18:19], vcc, s[18:19]
	v_add_u32_e32 v19, s27, v2
	s_waitcnt lgkmcnt(0)
	v_sub_f32_e32 v18, v18, v14
	v_mul_f32_e32 v20, 0x3fb8aa3b, v18
	v_fma_f32 v21, v18, s17, -v20
	v_rndne_f32_e32 v22, v20
	v_fmac_f32_e32 v21, 0x32a5705f, v18
	v_sub_f32_e32 v20, v20, v22
	v_add_f32_e32 v20, v20, v21
	v_cvt_i32_f32_e32 v22, v22
	v_exp_f32_e32 v20, v20
	v_cmp_ngt_f32_e32 vcc, s28, v18
	v_lshl_add_u64 v[4:5], v[4:5], 0, s[22:23]
	v_add_u32_e32 v2, s22, v2
	v_ldexp_f32 v20, v20, v22
	v_cndmask_b32_e32 v20, 0, v20, vcc
	v_cmp_nlt_f32_e32 vcc, s29, v18
	s_nop 1
	v_cndmask_b32_e32 v18, v15, v20, vcc
	s_waitcnt vmcnt(0)
	v_mul_f32_e32 v20, v17, v18
	v_fmac_f32_e32 v3, v17, v18
	ds_write_b32 v19, v20
	s_andn2_b64 exec, exec, s[18:19]
	s_cbranch_execnz .LBB5_11
; %bb.12:
	s_or_b64 exec, exec, s[18:19]
.LBB5_13:
	s_or_b64 exec, exec, s[20:21]
	ds_bpermute_b32 v1, v1, v3
	s_waitcnt lgkmcnt(0)
	s_barrier
	v_add_f32_e32 v1, v3, v1
	ds_bpermute_b32 v2, v6, v1
	s_waitcnt lgkmcnt(0)
	v_add_f32_e32 v1, v1, v2
	ds_bpermute_b32 v2, v8, v1
	s_waitcnt lgkmcnt(0)
	;; [unrolled: 3-line block ×5, first 2 shown]
	v_add_f32_e32 v1, v1, v2
	s_and_saveexec_b64 s[18:19], s[0:1]
	s_cbranch_execz .LBB5_15
; %bb.14:
	ds_write_b32 v11, v1 offset:8
.LBB5_15:
	s_or_b64 exec, exec, s[18:19]
	s_waitcnt lgkmcnt(0)
	s_barrier
	s_and_saveexec_b64 s[0:1], s[4:5]
	s_cbranch_execz .LBB5_17
; %bb.16:
	ds_read_b32 v1, v12 offset:8
.LBB5_17:
	s_or_b64 exec, exec, s[0:1]
	s_waitcnt lgkmcnt(0)
	ds_bpermute_b32 v2, v7, v1
	s_movk_i32 s0, 0x50
	v_cmp_gt_u32_e32 vcc, s0, v0
	s_waitcnt lgkmcnt(0)
	v_add_f32_e32 v1, v1, v2
	ds_bpermute_b32 v2, v13, v1
	s_and_saveexec_b64 s[0:1], vcc
	s_cbranch_execz .LBB5_24
; %bb.18:
	s_cmp_gt_i32 s26, 0
	s_mov_b32 s15, 0
	s_cbranch_scc1 .LBB5_20
; %bb.19:
	v_mov_b32_e32 v1, 0
	v_mov_b32_e32 v4, s15
	s_cbranch_execz .LBB5_21
	s_branch .LBB5_23
.LBB5_20:
                                        ; implicit-def: $sgpr15
	v_mov_b32_e32 v4, s15
.LBB5_21:
	s_waitcnt lgkmcnt(0)
	v_add_f32_e32 v1, 0x358637bd, v2
	v_div_scale_f32 v2, s[4:5], v1, v1, 1.0
	v_rcp_f32_e32 v3, v2
	s_mul_i32 s4, s14, 0x50
	s_mulk_i32 s16, 0x50
	s_ashr_i32 s5, s4, 31
	v_fma_f32 v4, -v2, v3, 1.0
	v_fmac_f32_e32 v3, v4, v3
	v_div_scale_f32 v4, vcc, 1.0, v1, 1.0
	v_mul_f32_e32 v5, v4, v3
	v_fma_f32 v6, -v2, v5, v4
	s_ashr_i32 s17, s16, 31
	s_max_i32 s15, s25, 1
	v_fmac_f32_e32 v5, v6, v3
	s_add_i32 s14, s27, 16
	s_lshl_b64 s[4:5], s[4:5], 2
	s_lshl_b64 s[16:17], s[16:17], 2
	v_fma_f32 v2, -v2, v5, v4
	s_add_u32 s4, s4, s16
	v_div_fmas_f32 v2, v2, v3, v5
	s_addc_u32 s5, s5, s17
	v_div_fixup_f32 v5, v2, v1, 1.0
	v_mov_b32_e32 v1, 0
	s_add_u32 s4, s8, s4
	v_lshlrev_b32_e32 v2, 2, v0
	v_mov_b32_e32 v3, v1
	s_addc_u32 s5, s9, s5
	v_lshl_add_u64 v[2:3], s[4:5], 0, v[2:3]
	s_mov_b64 s[4:5], 0x140
	v_mov_b32_e32 v4, v1
.LBB5_22:                               ; =>This Inner Loop Header: Depth=1
	global_load_dword v6, v[2:3], off
	v_mov_b32_e32 v7, s14
	ds_read_b32 v7, v7
	s_add_i32 s15, s15, -1
	s_add_i32 s14, s14, 4
	v_lshl_add_u64 v[2:3], v[2:3], 0, s[4:5]
	s_cmp_eq_u32 s15, 0
	s_waitcnt vmcnt(0) lgkmcnt(0)
	v_mul_f32_e32 v6, v6, v7
	v_fmac_f32_e32 v4, v5, v6
	s_cbranch_scc0 .LBB5_22
.LBB5_23:
	s_mul_i32 s4, s24, 0x50
	s_ashr_i32 s5, s4, 31
	s_lshl_b64 s[4:5], s[4:5], 2
	s_add_u32 s14, s10, s4
	s_mul_i32 s4, s2, 0x50
	s_addc_u32 s15, s11, s5
	s_ashr_i32 s5, s4, 31
	s_lshl_b64 s[4:5], s[4:5], 2
	s_add_u32 s4, s14, s4
	s_addc_u32 s5, s15, s5
	s_waitcnt lgkmcnt(0)
	v_lshl_add_u64 v[2:3], v[0:1], 2, s[4:5]
	global_store_dword v[2:3], v4, off
.LBB5_24:
	s_or_b64 exec, exec, s[0:1]
	s_mov_b64 s[4:5], 0
.LBB5_25:
	s_and_b64 vcc, exec, s[4:5]
	s_cbranch_vccz .LBB5_34
; %bb.26:
	s_movk_i32 s0, 0x50
	v_cmp_gt_u32_e32 vcc, s0, v0
	s_and_saveexec_b64 s[4:5], vcc
	s_cbranch_execz .LBB5_34
; %bb.27:
	s_mul_i32 s1, s3, s12
	s_mul_i32 s4, s1, 0x50
	s_ashr_i32 s5, s4, 31
	s_lshl_b64 s[14:15], s[4:5], 2
	s_add_u32 s1, s10, s14
	s_mul_i32 s10, s2, 0x50
	s_addc_u32 s5, s11, s15
	s_ashr_i32 s11, s10, 31
	s_lshl_b64 s[2:3], s[10:11], 2
	s_add_u32 s2, s1, s2
	s_mul_i32 s4, s4, s13
	s_addc_u32 s3, s5, s3
	s_ashr_i32 s5, s4, 31
	s_lshl_b64 s[4:5], s[4:5], 2
	s_load_dword s6, s[6:7], 0xc
	s_add_u32 s1, s8, s4
	s_mul_i32 s4, s10, s13
	s_addc_u32 s8, s9, s5
	s_ashr_i32 s5, s4, 31
	s_lshl_b64 s[4:5], s[4:5], 2
	s_add_u32 s4, s1, s4
	s_addc_u32 s5, s8, s5
	s_waitcnt lgkmcnt(0)
	s_and_b32 s8, s6, 0xffff
	v_cvt_f32_u32_e32 v1, s8
	v_add_u32_e32 v2, s8, v0
	v_mov_b32_e32 v4, s8
	v_cmp_gt_u32_e32 vcc, s0, v2
	v_rcp_iflag_f32_e32 v1, v1
	s_cmp_eq_u32 s8, 1
	v_max_u32_e32 v3, 0x50, v2
	v_addc_co_u32_e64 v2, s[0:1], v0, v4, vcc
	v_mul_f32_e32 v1, 0x4f7ffffe, v1
	v_cvt_u32_f32_e32 v1, v1
	s_cselect_b64 s[6:7], -1, 0
	s_sub_i32 s0, 0, s8
	v_sub_u32_e32 v2, v3, v2
	v_mul_lo_u32 v3, s0, v1
	v_mul_hi_u32 v3, v1, v3
	v_add_u32_e32 v1, v1, v3
	v_mul_hi_u32 v1, v2, v1
	v_mul_lo_u32 v3, v1, s8
	v_sub_u32_e32 v2, v2, v3
	v_add_u32_e32 v3, 1, v1
	v_cmp_le_u32_e64 s[0:1], s8, v2
	s_nop 1
	v_cndmask_b32_e64 v1, v1, v3, s[0:1]
	v_subrev_u32_e32 v3, s8, v2
	v_cndmask_b32_e64 v2, v2, v3, s[0:1]
	v_add_u32_e32 v3, 1, v1
	v_cmp_le_u32_e64 s[0:1], s8, v2
	s_nop 1
	v_cndmask_b32_e64 v1, v1, v3, s[0:1]
	v_addc_co_u32_e32 v1, vcc, 1, v1, vcc
	v_cmp_lt_u32_e32 vcc, 3, v1
	s_and_b64 s[10:11], vcc, s[6:7]
	s_mov_b64 s[6:7], -1
	s_and_saveexec_b64 s[0:1], s[10:11]
	s_cbranch_execz .LBB5_31
; %bb.28:
	v_and_b32_e32 v4, -4, v1
	s_mov_b64 s[6:7], 0
	v_mov_b32_e32 v3, 0
	v_mov_b32_e32 v2, v0
	;; [unrolled: 1-line block ×3, first 2 shown]
.LBB5_29:                               ; =>This Inner Loop Header: Depth=1
	v_lshlrev_b64 v[10:11], 2, v[2:3]
	v_lshl_add_u64 v[6:7], s[4:5], 0, v[10:11]
	global_load_dwordx4 v[6:9], v[6:7], off
	v_add_u32_e32 v5, -4, v5
	v_cmp_eq_u32_e32 vcc, 0, v5
	v_add_u32_e32 v2, 4, v2
	v_lshl_add_u64 v[10:11], s[2:3], 0, v[10:11]
	s_or_b64 s[6:7], vcc, s[6:7]
	s_waitcnt vmcnt(0)
	global_store_dwordx4 v[10:11], v[6:9], off
	s_andn2_b64 exec, exec, s[6:7]
	s_cbranch_execnz .LBB5_29
; %bb.30:
	s_or_b64 exec, exec, s[6:7]
	v_cmp_ne_u32_e32 vcc, v1, v4
	v_add_u32_e32 v0, v0, v4
	s_orn2_b64 s[6:7], vcc, exec
.LBB5_31:
	s_or_b64 exec, exec, s[0:1]
	s_and_b64 exec, exec, s[6:7]
	s_cbranch_execz .LBB5_34
; %bb.32:
	v_mov_b32_e32 v1, 0
	s_mov_b32 s1, 0
	v_lshlrev_b64 v[2:3], 2, v[0:1]
	s_lshl_b32 s0, s8, 2
	s_mov_b64 s[6:7], 0
	s_movk_i32 s9, 0x4f
.LBB5_33:                               ; =>This Inner Loop Header: Depth=1
	v_lshl_add_u64 v[4:5], s[4:5], 0, v[2:3]
	global_load_dword v1, v[4:5], off
	v_add_u32_e32 v0, s8, v0
	v_cmp_lt_u32_e32 vcc, s9, v0
	v_lshl_add_u64 v[4:5], s[2:3], 0, v[2:3]
	v_lshl_add_u64 v[2:3], v[2:3], 0, s[0:1]
	s_or_b64 s[6:7], vcc, s[6:7]
	s_waitcnt vmcnt(0)
	global_store_dword v[4:5], v1, off
	s_andn2_b64 exec, exec, s[6:7]
	s_cbranch_execnz .LBB5_33
.LBB5_34:
	s_endpgm
	.section	.rodata,"a",@progbits
	.p2align	6, 0x0
	.amdhsa_kernel _ZN4vllm32paged_attention_v2_reduce_kernelIfLi80ELi128ELi512EEEvPT_PKfS4_PKS1_PKii
		.amdhsa_group_segment_fixed_size 16
		.amdhsa_private_segment_fixed_size 0
		.amdhsa_kernarg_size 304
		.amdhsa_user_sgpr_count 2
		.amdhsa_user_sgpr_dispatch_ptr 0
		.amdhsa_user_sgpr_queue_ptr 0
		.amdhsa_user_sgpr_kernarg_segment_ptr 1
		.amdhsa_user_sgpr_dispatch_id 0
		.amdhsa_user_sgpr_kernarg_preload_length 0
		.amdhsa_user_sgpr_kernarg_preload_offset 0
		.amdhsa_user_sgpr_private_segment_size 0
		.amdhsa_uses_dynamic_stack 0
		.amdhsa_enable_private_segment 0
		.amdhsa_system_sgpr_workgroup_id_x 1
		.amdhsa_system_sgpr_workgroup_id_y 1
		.amdhsa_system_sgpr_workgroup_id_z 0
		.amdhsa_system_sgpr_workgroup_info 0
		.amdhsa_system_vgpr_workitem_id 0
		.amdhsa_next_free_vgpr 23
		.amdhsa_next_free_sgpr 32
		.amdhsa_accum_offset 24
		.amdhsa_reserve_vcc 1
		.amdhsa_float_round_mode_32 0
		.amdhsa_float_round_mode_16_64 0
		.amdhsa_float_denorm_mode_32 3
		.amdhsa_float_denorm_mode_16_64 3
		.amdhsa_dx10_clamp 1
		.amdhsa_ieee_mode 1
		.amdhsa_fp16_overflow 0
		.amdhsa_tg_split 0
		.amdhsa_exception_fp_ieee_invalid_op 0
		.amdhsa_exception_fp_denorm_src 0
		.amdhsa_exception_fp_ieee_div_zero 0
		.amdhsa_exception_fp_ieee_overflow 0
		.amdhsa_exception_fp_ieee_underflow 0
		.amdhsa_exception_fp_ieee_inexact 0
		.amdhsa_exception_int_div_zero 0
	.end_amdhsa_kernel
	.section	.text._ZN4vllm32paged_attention_v2_reduce_kernelIfLi80ELi128ELi512EEEvPT_PKfS4_PKS1_PKii,"axG",@progbits,_ZN4vllm32paged_attention_v2_reduce_kernelIfLi80ELi128ELi512EEEvPT_PKfS4_PKS1_PKii,comdat
.Lfunc_end5:
	.size	_ZN4vllm32paged_attention_v2_reduce_kernelIfLi80ELi128ELi512EEEvPT_PKfS4_PKS1_PKii, .Lfunc_end5-_ZN4vllm32paged_attention_v2_reduce_kernelIfLi80ELi128ELi512EEEvPT_PKfS4_PKS1_PKii
                                        ; -- End function
	.section	.AMDGPU.csdata,"",@progbits
; Kernel info:
; codeLenInByte = 2124
; NumSgprs: 38
; NumVgprs: 23
; NumAgprs: 0
; TotalNumVgprs: 23
; ScratchSize: 0
; MemoryBound: 0
; FloatMode: 240
; IeeeMode: 1
; LDSByteSize: 16 bytes/workgroup (compile time only)
; SGPRBlocks: 4
; VGPRBlocks: 2
; NumSGPRsForWavesPerEU: 38
; NumVGPRsForWavesPerEU: 23
; AccumOffset: 24
; Occupancy: 8
; WaveLimiterHint : 0
; COMPUTE_PGM_RSRC2:SCRATCH_EN: 0
; COMPUTE_PGM_RSRC2:USER_SGPR: 2
; COMPUTE_PGM_RSRC2:TRAP_HANDLER: 0
; COMPUTE_PGM_RSRC2:TGID_X_EN: 1
; COMPUTE_PGM_RSRC2:TGID_Y_EN: 1
; COMPUTE_PGM_RSRC2:TGID_Z_EN: 0
; COMPUTE_PGM_RSRC2:TIDIG_COMP_CNT: 0
; COMPUTE_PGM_RSRC3_GFX90A:ACCUM_OFFSET: 5
; COMPUTE_PGM_RSRC3_GFX90A:TG_SPLIT: 0
	.section	.text._ZN4vllm25paged_attention_v2_kernelIffLi96ELi8ELi128ELNS_18Fp8KVCacheDataTypeE0ELb1ELi512EEEvPfS2_PT_PKS3_PKT0_S9_ifPKiSB_iPKfiiiSD_SD_iiiii,"axG",@progbits,_ZN4vllm25paged_attention_v2_kernelIffLi96ELi8ELi128ELNS_18Fp8KVCacheDataTypeE0ELb1ELi512EEEvPfS2_PT_PKS3_PKT0_S9_ifPKiSB_iPKfiiiSD_SD_iiiii,comdat
	.protected	_ZN4vllm25paged_attention_v2_kernelIffLi96ELi8ELi128ELNS_18Fp8KVCacheDataTypeE0ELb1ELi512EEEvPfS2_PT_PKS3_PKT0_S9_ifPKiSB_iPKfiiiSD_SD_iiiii ; -- Begin function _ZN4vllm25paged_attention_v2_kernelIffLi96ELi8ELi128ELNS_18Fp8KVCacheDataTypeE0ELb1ELi512EEEvPfS2_PT_PKS3_PKT0_S9_ifPKiSB_iPKfiiiSD_SD_iiiii
	.globl	_ZN4vllm25paged_attention_v2_kernelIffLi96ELi8ELi128ELNS_18Fp8KVCacheDataTypeE0ELb1ELi512EEEvPfS2_PT_PKS3_PKT0_S9_ifPKiSB_iPKfiiiSD_SD_iiiii
	.p2align	8
	.type	_ZN4vllm25paged_attention_v2_kernelIffLi96ELi8ELi128ELNS_18Fp8KVCacheDataTypeE0ELb1ELi512EEEvPfS2_PT_PKS3_PKT0_S9_ifPKiSB_iPKfiiiSD_SD_iiiii,@function
_ZN4vllm25paged_attention_v2_kernelIffLi96ELi8ELi128ELNS_18Fp8KVCacheDataTypeE0ELb1ELi512EEEvPfS2_PT_PKS3_PKT0_S9_ifPKiSB_iPKfiiiSD_SD_iiiii: ; @_ZN4vllm25paged_attention_v2_kernelIffLi96ELi8ELi128ELNS_18Fp8KVCacheDataTypeE0ELb1ELi512EEEvPfS2_PT_PKS3_PKT0_S9_ifPKiSB_iPKfiiiSD_SD_iiiii
; %bb.0:
	s_load_dwordx2 s[6:7], s[0:1], 0x40
	s_mov_b32 s28, s3
	s_ashr_i32 s29, s3, 31
	s_lshl_b64 s[8:9], s[28:29], 2
	s_waitcnt lgkmcnt(0)
	s_add_u32 s6, s6, s8
	s_addc_u32 s7, s7, s9
	s_load_dword s29, s[6:7], 0x0
	s_lshl_b32 s49, s4, 9
	s_waitcnt lgkmcnt(0)
	s_cmp_ge_i32 s49, s29
	s_cbranch_scc1 .LBB6_69
; %bb.1:
	s_load_dword s5, s[0:1], 0x90
	s_load_dwordx2 s[38:39], s[0:1], 0x30
	s_waitcnt lgkmcnt(0)
	s_abs_i32 s7, s5
	s_abs_i32 s3, s38
	v_cvt_f32_u32_e32 v1, s3
	s_sub_i32 s8, 0, s3
	s_xor_b32 s6, s5, s38
	s_ashr_i32 s6, s6, 31
	v_rcp_iflag_f32_e32 v1, v1
	s_nop 0
	v_mul_f32_e32 v1, 0x4f7ffffe, v1
	v_cvt_u32_f32_e32 v1, v1
	s_nop 0
	v_readfirstlane_b32 s9, v1
	s_mul_i32 s8, s8, s9
	s_mul_hi_u32 s8, s9, s8
	s_add_i32 s9, s9, s8
	s_mul_hi_u32 s8, s7, s9
	s_mul_i32 s9, s8, s3
	s_sub_i32 s7, s7, s9
	s_add_i32 s10, s8, 1
	s_sub_i32 s9, s7, s3
	s_cmp_ge_u32 s7, s3
	s_cselect_b32 s8, s10, s8
	s_cselect_b32 s7, s9, s7
	s_add_i32 s9, s8, 1
	s_cmp_ge_u32 s7, s3
	s_cselect_b32 s3, s9, s8
	s_xor_b32 s3, s3, s6
	s_sub_i32 s12, s3, s6
	s_abs_i32 s8, s12
	v_cvt_f32_u32_e32 v1, s8
	s_load_dwordx2 s[6:7], s[0:1], 0x50
	s_sub_i32 s10, 0, s8
	s_abs_i32 s9, s2
	v_rcp_iflag_f32_e32 v1, v1
	s_mov_b32 s3, 0
	v_mul_f32_e32 v1, 0x4f7ffffe, v1
	v_cvt_u32_f32_e32 v1, v1
	s_nop 0
	v_readfirstlane_b32 s11, v1
	s_mul_i32 s10, s10, s11
	s_mul_hi_u32 s10, s11, s10
	s_add_i32 s11, s11, s10
	s_waitcnt lgkmcnt(0)
	s_cmp_eq_u64 s[6:7], 0
	s_mul_hi_u32 s10, s9, s11
	s_cbranch_scc1 .LBB6_3
; %bb.2:
	s_ashr_i32 s3, s2, 31
	s_lshl_b64 s[14:15], s[2:3], 2
	s_add_u32 s6, s6, s14
	s_addc_u32 s7, s7, s15
	s_load_dword s3, s[6:7], 0x0
.LBB6_3:
	s_ashr_i32 s16, s12, 31
	s_load_dwordx4 s[12:15], s[0:1], 0x58
	s_movk_i32 s6, 0x60
	s_ashr_i32 s11, s2, 31
	v_and_b32_e32 v2, 7, v0
	s_mul_i32 s24, s2, 0x60
	v_cmp_gt_u32_e32 vcc, s6, v0
	v_lshlrev_b32_e32 v6, 2, v0
	v_lshrrev_b32_e32 v1, 1, v0
	s_and_saveexec_b64 s[6:7], vcc
	s_cbranch_execz .LBB6_5
; %bb.4:
	s_load_dwordx2 s[18:19], s[0:1], 0x18
	s_waitcnt lgkmcnt(0)
	s_mul_i32 s20, s28, s12
	s_ashr_i32 s21, s20, 31
	s_lshl_b64 s[20:21], s[20:21], 2
	v_and_b32_e32 v4, 0x1fc, v1
	s_add_u32 s12, s18, s20
	s_addc_u32 s15, s19, s21
	s_ashr_i32 s25, s24, 31
	s_lshl_b64 s[18:19], s[24:25], 2
	s_add_u32 s18, s12, s18
	s_addc_u32 s19, s15, s19
	global_load_dword v3, v6, s[18:19]
	v_mad_u32_u24 v4, v2, 48, v4
	s_waitcnt vmcnt(0)
	ds_write_b32 v4, v3
.LBB6_5:
	s_or_b64 exec, exec, s[6:7]
	s_mul_i32 s7, s10, s8
	s_sub_i32 s7, s9, s7
	s_xor_b32 s6, s11, s16
	s_add_i32 s9, s10, 1
	s_sub_i32 s11, s7, s8
	s_load_dwordx4 s[16:19], s[0:1], 0x78
	s_cmp_ge_u32 s7, s8
	s_cselect_b32 s9, s9, s10
	s_cselect_b32 s7, s11, s7
	s_load_dword s11, s[0:1], 0x88
	s_add_i32 s10, s9, 1
	s_cmp_ge_u32 s7, s8
	s_cselect_b32 s7, s10, s9
	s_waitcnt lgkmcnt(0)
	s_abs_i32 s25, s19
	v_cvt_f32_u32_e32 v3, s25
	s_xor_b32 s7, s7, s6
	s_sub_i32 s8, s7, s6
	s_sub_i32 s6, 0, s25
	v_rcp_iflag_f32_e32 v3, v3
	s_add_i32 s12, s29, -1
	s_abs_i32 s9, s12
	v_mul_f32_e32 v3, 0x4f7ffffe, v3
	v_cvt_u32_f32_e32 v3, v3
	s_barrier
	v_readfirstlane_b32 s33, v3
	s_mul_i32 s6, s6, s33
	s_mul_hi_u32 s6, s33, s6
	s_add_i32 s33, s33, s6
	s_cmp_lt_i32 s11, 0
	s_mul_hi_u32 s10, s9, s33
	s_cbranch_scc0 .LBB6_7
; %bb.6:
	s_mul_i32 s6, s16, s38
	s_add_i32 s6, s8, s6
	s_mul_i32 s6, s6, s11
	s_sub_i32 s46, 1, s6
	s_mov_b64 s[6:7], 0
	s_branch .LBB6_8
.LBB6_7:
	s_mov_b64 s[6:7], -1
                                        ; implicit-def: $sgpr46
.LBB6_8:
	s_load_dwordx2 s[30:31], s[0:1], 0x38
	s_ashr_i32 s12, s12, 31
	s_andn2_b64 vcc, exec, s[6:7]
	s_ashr_i32 s19, s19, 31
	s_cbranch_vccnz .LBB6_10
; %bb.9:
	s_mul_i32 s6, s5, s16
	s_add_i32 s6, s6, s2
	s_mul_i32 s6, s6, s11
	s_add_i32 s46, s6, 1
.LBB6_10:
	s_load_dword s6, s[0:1], 0x48
	s_load_dwordx2 s[36:37], s[0:1], 0x28
	s_load_dword s16, s[0:1], 0x98
	s_load_dwordx4 s[20:23], s[0:1], 0x0
	s_load_dwordx2 s[26:27], s[0:1], 0x10
	s_mul_i32 s7, s10, s25
	s_waitcnt lgkmcnt(0)
	s_mul_i32 s34, s28, s6
	s_sub_i32 s7, s9, s7
	s_ashr_i32 s35, s34, 31
	s_xor_b32 s6, s12, s19
	s_add_i32 s9, s10, 1
	s_sub_i32 s11, s7, s25
	s_cmp_ge_u32 s7, s25
	s_cselect_b32 s9, s9, s10
	s_cselect_b32 s7, s11, s7
	s_add_i32 s10, s9, 1
	s_cmp_ge_u32 s7, s25
	s_cselect_b32 s7, s10, s9
	s_xor_b32 s7, s7, s6
	s_sub_i32 s48, s7, s6
	s_add_i32 s6, s29, 7
	s_ashr_i32 s7, s6, 31
	s_lshr_b32 s7, s7, 29
	s_add_i32 s6, s6, s7
	s_lshl_b32 s38, s4, 6
	s_ashr_i32 s12, s6, 3
	s_add_i32 s6, s38, 64
	v_lshrrev_b32_e32 v7, 6, v0
	s_min_i32 s47, s6, s12
	v_or_b32_e32 v22, s38, v7
	v_cmp_gt_i32_e64 s[6:7], s47, v22
	v_mov_b32_e32 v12, 0xff7fffff
	s_mul_i32 s14, s8, s14
	v_ashrrev_i32_e32 v23, 31, v22
	v_lshl_add_u32 v21, v7, 3, s49
	v_mbcnt_lo_u32_b32 v8, -1, 0
	s_and_saveexec_b64 s[40:41], s[6:7]
	s_cbranch_execz .LBB6_20
; %bb.11:
	s_load_dwordx2 s[0:1], s[0:1], 0x20
	s_ashr_i32 s15, s14, 31
	s_sub_i32 s50, s48, s17
	s_lshl_b64 s[8:9], s[14:15], 2
	v_bfe_u32 v9, v0, 3, 3
	s_waitcnt lgkmcnt(0)
	s_add_u32 s0, s0, s8
	s_addc_u32 s1, s1, s9
	s_abs_i32 s15, s18
	v_cvt_f32_u32_e32 v3, s15
	v_lshlrev_b32_e32 v4, 4, v9
	v_mov_b32_e32 v5, 0
	v_lshl_add_u64 v[10:11], s[0:1], 0, v[4:5]
	v_rcp_iflag_f32_e32 v3, v3
	v_and_b32_e32 v4, 3, v0
	v_lshlrev_b32_e32 v4, 2, v4
	s_sub_i32 s8, 0, s15
	v_mul_f32_e32 v3, 0x4f7ffffe, v3
	v_cvt_u32_f32_e32 v3, v3
	v_cmp_eq_u32_e32 vcc, 0, v2
	v_lshl_add_u64 v[12:13], v[10:11], 0, v[4:5]
	v_mul_u32_u24_e32 v10, 48, v2
	v_mul_lo_u32 v2, s8, v3
	v_mul_hi_u32 v2, v3, v2
	v_add_u32_e32 v11, v3, v2
	v_lshlrev_b32_e32 v2, 5, v0
	v_lshlrev_b32_e32 v14, 2, v9
	v_and_b32_e32 v4, 0x80, v2
	v_lshl_add_u64 v[2:3], v[12:13], 0, v[4:5]
	s_lshl_b64 s[8:9], s[34:35], 2
	v_lshl_or_b32 v12, v7, 5, v14
	s_add_u32 s8, s30, s8
	v_add_u32_e32 v14, 0x190, v12
	v_subrev_u32_e32 v12, s29, v9
	v_mbcnt_hi_u32_b32 v17, -1, v8
	s_addc_u32 s9, s31, s9
	v_add_u32_e32 v15, 1, v12
	v_and_b32_e32 v12, 64, v17
	s_mov_b32 s51, s13
	v_cmp_neq_f32_e64 s[0:1], s3, 0
	v_lshl_add_u64 v[4:5], v[22:23], 2, s[8:9]
	v_lshl_add_u32 v13, v7, 3, s49
	s_mov_b64 s[42:43], 0
	v_mov_b32_e32 v16, 0xff7fffff
	v_add_u32_e32 v18, 64, v12
	v_xor_b32_e32 v19, 4, v17
	v_xor_b32_e32 v20, 2, v17
	v_xor_b32_e32 v24, 1, v17
	v_mov_b32_e32 v12, 0xff7fffff
	v_mov_b32_e32 v25, v22
	s_branch .LBB6_14
.LBB6_12:                               ;   in Loop: Header=BB6_14 Depth=1
	s_or_b64 exec, exec, s[44:45]
.LBB6_13:                               ;   in Loop: Header=BB6_14 Depth=1
	s_or_b64 exec, exec, s[10:11]
	v_add_u32_e32 v25, 2, v25
	v_cmp_le_i32_e64 s[8:9], s47, v25
	v_lshl_add_u64 v[4:5], v[4:5], 0, 8
	v_add_u32_e32 v13, 16, v13
	s_or_b64 s[42:43], s[8:9], s[42:43]
	v_add_u32_e32 v14, 64, v14
	s_andn2_b64 exec, exec, s[42:43]
	s_cbranch_execz .LBB6_19
.LBB6_14:                               ; =>This Inner Loop Header: Depth=1
	s_waitcnt lgkmcnt(0)
	v_sub_u32_e32 v27, 0, v13
	v_max_i32_e32 v27, v13, v27
	v_mul_hi_u32 v28, v27, s33
	v_mul_lo_u32 v29, v28, s25
	v_sub_u32_e32 v27, v27, v29
	v_add_u32_e32 v29, 1, v28
	v_cmp_le_u32_e64 s[8:9], s25, v27
	v_ashrrev_i32_e32 v26, 31, v13
	v_xor_b32_e32 v26, s19, v26
	v_cndmask_b32_e64 v28, v28, v29, s[8:9]
	v_subrev_u32_e32 v29, s25, v27
	v_cndmask_b32_e64 v27, v27, v29, s[8:9]
	v_add_u32_e32 v29, 1, v28
	v_cmp_le_u32_e64 s[8:9], s25, v27
	s_nop 1
	v_cndmask_b32_e64 v27, v28, v29, s[8:9]
	v_xor_b32_e32 v27, v27, v26
	v_sub_u32_e32 v26, v27, v26
	v_add_u32_e32 v27, s46, v26
	v_sub_u32_e32 v29, 0, v27
	v_ashrrev_i32_e32 v28, 31, v27
	v_max_i32_e32 v27, v27, v29
	v_mul_hi_u32 v29, v27, v11
	v_mul_lo_u32 v29, v29, s15
	v_sub_u32_e32 v27, v27, v29
	v_subrev_u32_e32 v29, s15, v27
	v_cmp_le_u32_e64 s[8:9], s15, v27
	v_cmp_ge_i32_e64 s[10:11], s50, v26
	s_nop 0
	v_cndmask_b32_e64 v27, v27, v29, s[8:9]
	v_subrev_u32_e32 v29, s15, v27
	v_cmp_le_u32_e64 s[8:9], s15, v27
	s_nop 1
	v_cndmask_b32_e64 v27, v27, v29, s[8:9]
	v_xor_b32_e32 v27, v27, v28
	v_sub_u32_e32 v27, v27, v28
	v_cmp_ne_u32_e64 s[8:9], 0, v27
	s_and_b64 s[8:9], s[8:9], s[10:11]
	s_and_b64 s[44:45], vcc, s[8:9]
	s_and_saveexec_b64 s[10:11], s[44:45]
	s_cbranch_execz .LBB6_16
; %bb.15:                               ;   in Loop: Header=BB6_14 Depth=1
	ds_write_b32 v14, v16
.LBB6_16:                               ;   in Loop: Header=BB6_14 Depth=1
	s_or_b64 exec, exec, s[10:11]
	s_xor_b64 s[8:9], s[8:9], -1
	s_and_saveexec_b64 s[10:11], s[8:9]
	s_cbranch_execz .LBB6_13
; %bb.17:                               ;   in Loop: Header=BB6_14 Depth=1
	global_load_dword v26, v[4:5], off
	s_waitcnt vmcnt(0)
	v_mad_i64_i32 v[26:27], s[8:9], v26, s51, 0
	v_lshl_add_u64 v[26:27], v[26:27], 2, v[2:3]
	global_load_dword v38, v[26:27], off offset:256
	global_load_dword v39, v[26:27], off
	global_load_dword v40, v[26:27], off offset:512
	global_load_dword v41, v[26:27], off offset:768
	global_load_dword v42, v[26:27], off offset:1024
	global_load_dword v43, v[26:27], off offset:1280
	global_load_dword v44, v[26:27], off offset:1536
	global_load_dword v45, v[26:27], off offset:1792
	global_load_dword v46, v[26:27], off offset:2048
	global_load_dword v47, v[26:27], off offset:2304
	global_load_dword v48, v[26:27], off offset:2560
	global_load_dword v49, v[26:27], off offset:2816
	ds_read_b128 v[26:29], v10
	ds_read_b128 v[30:33], v10 offset:16
	ds_read_b128 v[34:37], v10 offset:32
	v_cmp_lt_i32_e64 s[8:9], v19, v18
	s_waitcnt vmcnt(11) lgkmcnt(2)
	v_mul_f32_e32 v27, v27, v38
	s_waitcnt vmcnt(10)
	v_fmac_f32_e32 v27, v26, v39
	s_waitcnt vmcnt(9)
	v_fmac_f32_e32 v27, v28, v40
	;; [unrolled: 2-line block ×3, first 2 shown]
	s_waitcnt vmcnt(7) lgkmcnt(1)
	v_fmac_f32_e32 v27, v30, v42
	s_waitcnt vmcnt(6)
	v_fmac_f32_e32 v27, v31, v43
	s_waitcnt vmcnt(5)
	;; [unrolled: 2-line block ×3, first 2 shown]
	v_fmac_f32_e32 v27, v33, v45
	s_waitcnt vmcnt(3) lgkmcnt(0)
	v_fmac_f32_e32 v27, v34, v46
	s_waitcnt vmcnt(2)
	v_fmac_f32_e32 v27, v35, v47
	v_cndmask_b32_e64 v50, v17, v19, s[8:9]
	s_waitcnt vmcnt(1)
	v_fmac_f32_e32 v27, v36, v48
	v_lshlrev_b32_e32 v50, 2, v50
	s_waitcnt vmcnt(0)
	v_fmac_f32_e32 v27, v37, v49
	ds_bpermute_b32 v26, v50, v27
	v_cmp_lt_i32_e64 s[8:9], v20, v18
	s_waitcnt lgkmcnt(0)
	v_add_f32_e32 v26, v27, v26
	v_cndmask_b32_e64 v28, v17, v20, s[8:9]
	v_lshlrev_b32_e32 v28, 2, v28
	ds_bpermute_b32 v27, v28, v26
	v_cmp_lt_i32_e64 s[8:9], v24, v18
	s_waitcnt lgkmcnt(0)
	v_add_f32_e32 v26, v26, v27
	v_cndmask_b32_e64 v28, v17, v24, s[8:9]
	v_lshlrev_b32_e32 v28, 2, v28
	ds_bpermute_b32 v27, v28, v26
	s_and_saveexec_b64 s[44:45], vcc
	s_cbranch_execz .LBB6_12
; %bb.18:                               ;   in Loop: Header=BB6_14 Depth=1
	v_add_u32_e32 v28, v15, v13
	v_cvt_f32_i32_e32 v28, v28
	s_waitcnt lgkmcnt(0)
	v_add_f32_e32 v26, v26, v27
	v_add_u32_e32 v29, v9, v13
	v_cmp_gt_i32_e64 s[8:9], s29, v29
	v_mul_f32_e32 v27, s3, v28
	v_cndmask_b32_e64 v27, 0, v27, s[0:1]
	v_fmac_f32_e32 v27, s39, v26
	v_cndmask_b32_e64 v26, 0, v27, s[8:9]
	ds_write_b32 v14, v26
	v_max_f32_e32 v26, v12, v12
	v_max_f32_e32 v26, v26, v27
	v_cndmask_b32_e64 v12, v12, v26, s[8:9]
	s_branch .LBB6_12
.LBB6_19:
	s_or_b64 exec, exec, s[42:43]
.LBB6_20:
	s_or_b64 exec, exec, s[40:41]
	v_mbcnt_hi_u32_b32 v2, -1, v8
	v_and_b32_e32 v3, 64, v2
	v_add_u32_e32 v3, 64, v3
	v_xor_b32_e32 v4, 32, v2
	v_cmp_lt_i32_e32 vcc, v4, v3
	v_xor_b32_e32 v9, 16, v2
	v_max_f32_e32 v5, v12, v12
	v_cndmask_b32_e32 v4, v2, v4, vcc
	v_lshlrev_b32_e32 v8, 2, v4
	ds_bpermute_b32 v4, v8, v12
	v_cmp_lt_i32_e32 vcc, v9, v3
	v_and_b32_e32 v28, 63, v0
	s_waitcnt lgkmcnt(0)
	v_max_f32_e32 v4, v4, v4
	v_max_f32_e32 v4, v5, v4
	v_cndmask_b32_e32 v5, v2, v9, vcc
	v_lshlrev_b32_e32 v10, 2, v5
	ds_bpermute_b32 v5, v10, v4
	v_xor_b32_e32 v9, 8, v2
	v_cmp_lt_i32_e32 vcc, v9, v3
	s_waitcnt lgkmcnt(0)
	v_max_f32_e32 v5, v5, v5
	v_max_f32_e32 v4, v4, v5
	v_cndmask_b32_e32 v5, v2, v9, vcc
	v_lshlrev_b32_e32 v11, 2, v5
	ds_bpermute_b32 v9, v11, v4
	v_cmp_eq_u32_e32 vcc, 0, v28
	v_lshlrev_b32_e32 v5, 2, v7
	s_and_saveexec_b64 s[0:1], vcc
	s_cbranch_execz .LBB6_22
; %bb.21:
	s_waitcnt lgkmcnt(0)
	v_max_f32_e32 v9, v9, v9
	v_max_f32_e32 v4, v4, v4
	;; [unrolled: 1-line block ×3, first 2 shown]
	ds_write_b32 v5, v4 offset:384
.LBB6_22:
	s_or_b64 exec, exec, s[0:1]
	v_cmp_gt_u32_e64 s[0:1], 2, v28
	v_mov_b32_e32 v4, 0xff7fffff
	s_waitcnt lgkmcnt(0)
	v_lshlrev_b32_e32 v9, 2, v28
	s_barrier
	s_and_saveexec_b64 s[8:9], s[0:1]
	s_cbranch_execz .LBB6_24
; %bb.23:
	ds_read_b32 v4, v9 offset:384
.LBB6_24:
	s_or_b64 exec, exec, s[8:9]
	v_xor_b32_e32 v12, 1, v2
	v_cmp_lt_i32_e64 s[8:9], v12, v3
	s_sub_i32 s3, s47, s38
	s_lshl_b32 s3, s3, 3
	v_cndmask_b32_e64 v12, v2, v12, s[8:9]
	v_lshlrev_b32_e32 v29, 2, v12
	s_waitcnt lgkmcnt(0)
	ds_bpermute_b32 v12, v29, v4
	v_max_f32_e32 v4, v4, v4
	s_add_i32 s3, s3, s49
	s_min_i32 s15, s3, s29
	s_sub_i32 s3, s15, s49
	s_waitcnt lgkmcnt(0)
	v_max_f32_e32 v12, v12, v12
	v_max_f32_e32 v4, v4, v12
	v_lshlrev_b32_e32 v12, 2, v2
	v_and_b32_e32 v12, 0x100, v12
	ds_bpermute_b32 v4, v12, v4
	v_cmp_gt_i32_e64 s[8:9], s3, v0
	v_mov_b32_e32 v13, 0
	s_and_saveexec_b64 s[38:39], s[8:9]
	s_cbranch_execz .LBB6_28
; %bb.25:
	v_mov_b32_e32 v13, 0x190
	v_lshl_add_u32 v14, v0, 2, v13
	s_mov_b64 s[40:41], 0
	v_mov_b32_e32 v13, 0
	v_mov_b32_e32 v15, v0
.LBB6_26:                               ; =>This Inner Loop Header: Depth=1
	ds_read_b32 v16, v14
	v_add_u32_e32 v15, 0x80, v15
	v_cmp_le_i32_e64 s[10:11], s3, v15
	s_or_b64 s[40:41], s[10:11], s[40:41]
	s_waitcnt lgkmcnt(0)
	v_sub_f32_e32 v16, v16, v4
	v_mul_f32_e32 v16, 0x3fb8aa3b, v16
	v_exp_f32_e32 v16, v16
	ds_write_b32 v14, v16
	v_add_f32_e32 v13, v13, v16
	v_add_u32_e32 v14, 0x200, v14
	s_andn2_b64 exec, exec, s[40:41]
	s_cbranch_execnz .LBB6_26
; %bb.27:
	s_or_b64 exec, exec, s[40:41]
.LBB6_28:
	s_or_b64 exec, exec, s[38:39]
	ds_bpermute_b32 v8, v8, v13
	s_waitcnt lgkmcnt(0)
	v_add_f32_e32 v8, v13, v8
	ds_bpermute_b32 v10, v10, v8
	s_waitcnt lgkmcnt(0)
	v_add_f32_e32 v8, v8, v10
	ds_bpermute_b32 v10, v11, v8
	v_xor_b32_e32 v11, 4, v2
	v_cmp_lt_i32_e64 s[10:11], v11, v3
	s_waitcnt lgkmcnt(0)
	v_add_f32_e32 v8, v8, v10
	v_cndmask_b32_e64 v11, v2, v11, s[10:11]
	v_lshlrev_b32_e32 v11, 2, v11
	ds_bpermute_b32 v10, v11, v8
	v_xor_b32_e32 v11, 2, v2
	v_cmp_lt_i32_e64 s[10:11], v11, v3
	s_waitcnt lgkmcnt(0)
	v_add_f32_e32 v3, v8, v10
	v_cndmask_b32_e64 v2, v2, v11, s[10:11]
	v_lshlrev_b32_e32 v2, 2, v2
	ds_bpermute_b32 v2, v2, v3
	s_waitcnt lgkmcnt(0)
	v_add_f32_e32 v2, v3, v2
	ds_bpermute_b32 v3, v29, v2
	s_waitcnt lgkmcnt(0)
	v_add_f32_e32 v2, v2, v3
	s_and_saveexec_b64 s[10:11], vcc
	s_cbranch_execz .LBB6_30
; %bb.29:
	ds_write_b32 v5, v2 offset:392
.LBB6_30:
	s_or_b64 exec, exec, s[10:11]
	s_waitcnt lgkmcnt(0)
	s_barrier
	s_and_saveexec_b64 s[10:11], s[0:1]
	s_cbranch_execz .LBB6_32
; %bb.31:
	ds_read_b32 v2, v9 offset:392
.LBB6_32:
	s_or_b64 exec, exec, s[10:11]
	s_waitcnt lgkmcnt(0)
	ds_bpermute_b32 v3, v29, v2
	s_waitcnt lgkmcnt(0)
	v_add_f32_e32 v2, v2, v3
	ds_bpermute_b32 v5, v12, v2
	s_and_saveexec_b64 s[0:1], s[8:9]
	s_cbranch_execz .LBB6_45
; %bb.33:
	s_waitcnt lgkmcnt(0)
	v_add_f32_e32 v2, 0x358637bd, v5
	v_div_scale_f32 v3, s[8:9], v2, v2, 1.0
	v_rcp_f32_e32 v8, v3
	v_div_scale_f32 v9, vcc, 1.0, v2, 1.0
	s_movk_i32 s8, 0x7f
	v_fma_f32 v10, -v3, v8, 1.0
	v_fmac_f32_e32 v8, v10, v8
	v_mul_f32_e32 v10, v9, v8
	v_fma_f32 v11, -v3, v10, v9
	v_fmac_f32_e32 v10, v11, v8
	v_fma_f32 v3, -v3, v10, v9
	v_div_fmas_f32 v3, v3, v8, v10
	v_div_fixup_f32 v2, v3, v2, 1.0
	v_xad_u32 v3, v0, -1, s15
	v_subrev_u32_e32 v8, s49, v3
	v_cmp_lt_u32_e32 vcc, s8, v8
	s_mov_b64 s[10:11], -1
	v_mov_b32_e32 v3, v0
	s_and_saveexec_b64 s[8:9], vcc
	s_cbranch_execz .LBB6_42
; %bb.34:
	v_lshrrev_b32_e32 v8, 7, v8
	v_add_u32_e32 v10, -1, v8
	v_lshrrev_b32_e32 v9, 1, v10
	v_mov_b32_e32 v3, v2
	v_add_u32_e32 v9, 1, v9
	v_cmp_lt_u32_e32 vcc, 13, v10
	v_mov_b32_e32 v12, 0
	s_and_saveexec_b64 s[10:11], vcc
	s_cbranch_execz .LBB6_38
; %bb.35:
	v_mov_b32_e32 v11, 0x190
	v_and_b32_e32 v10, -8, v9
	v_lshl_add_u32 v11, v0, 2, v11
	s_mov_b32 s15, 0
	s_mov_b64 s[38:39], 0
.LBB6_36:                               ; =>This Inner Loop Header: Depth=1
	ds_read2st64_b32 v[12:13], v11 offset1:2
	ds_read2st64_b32 v[14:15], v11 offset0:4 offset1:6
	ds_read2st64_b32 v[16:17], v11 offset0:8 offset1:10
	;; [unrolled: 1-line block ×3, first 2 shown]
	v_add_u32_e32 v10, -8, v10
	s_waitcnt lgkmcnt(3)
	v_pk_mul_f32 v[12:13], v[2:3], v[12:13]
	s_waitcnt lgkmcnt(2)
	v_pk_mul_f32 v[14:15], v[2:3], v[14:15]
	ds_write2st64_b32 v11, v12, v13 offset1:2
	ds_write2st64_b32 v11, v14, v15 offset0:4 offset1:6
	ds_read2st64_b32 v[14:15], v11 offset0:16 offset1:18
	s_waitcnt lgkmcnt(4)
	v_pk_mul_f32 v[12:13], v[2:3], v[16:17]
	ds_write2st64_b32 v11, v12, v13 offset0:8 offset1:10
	s_waitcnt lgkmcnt(4)
	v_pk_mul_f32 v[12:13], v[2:3], v[18:19]
	ds_write2st64_b32 v11, v12, v13 offset0:12 offset1:14
	ds_read2st64_b32 v[12:13], v11 offset0:20 offset1:22
	s_waitcnt lgkmcnt(3)
	v_pk_mul_f32 v[14:15], v[2:3], v[14:15]
	ds_read2st64_b32 v[16:17], v11 offset0:24 offset1:26
	ds_write2st64_b32 v11, v14, v15 offset0:16 offset1:18
	ds_read2st64_b32 v[14:15], v11 offset0:28 offset1:30
	s_waitcnt lgkmcnt(3)
	v_pk_mul_f32 v[12:13], v[2:3], v[12:13]
	ds_write2st64_b32 v11, v12, v13 offset0:20 offset1:22
	s_waitcnt lgkmcnt(3)
	v_pk_mul_f32 v[12:13], v[2:3], v[16:17]
	ds_write2st64_b32 v11, v12, v13 offset0:24 offset1:26
	s_waitcnt lgkmcnt(2)
	v_pk_mul_f32 v[12:13], v[2:3], v[14:15]
	s_add_i32 s15, s15, 16
	v_cmp_eq_u32_e32 vcc, 0, v10
	ds_write2st64_b32 v11, v12, v13 offset0:28 offset1:30
	v_add_u32_e32 v11, 0x2000, v11
	s_or_b64 s[38:39], vcc, s[38:39]
	v_mov_b32_e32 v12, s15
	s_andn2_b64 exec, exec, s[38:39]
	s_cbranch_execnz .LBB6_36
; %bb.37:
	s_or_b64 exec, exec, s[38:39]
.LBB6_38:
	s_or_b64 exec, exec, s[10:11]
	v_and_b32_e32 v9, 7, v9
	v_cmp_ne_u32_e32 vcc, 0, v9
	s_and_saveexec_b64 s[10:11], vcc
	s_cbranch_execz .LBB6_41
; %bb.39:
	v_lshlrev_b32_e32 v10, 9, v12
	s_movk_i32 s15, 0x190
	v_add3_u32 v10, v10, v6, s15
	s_mov_b64 s[38:39], 0
.LBB6_40:                               ; =>This Inner Loop Header: Depth=1
	ds_read2st64_b32 v[12:13], v10 offset1:2
	v_add_u32_e32 v9, -1, v9
	v_cmp_eq_u32_e32 vcc, 0, v9
	s_or_b64 s[38:39], vcc, s[38:39]
	s_waitcnt lgkmcnt(0)
	v_pk_mul_f32 v[12:13], v[2:3], v[12:13]
	ds_write2st64_b32 v10, v12, v13 offset1:2
	v_add_u32_e32 v10, 0x400, v10
	s_andn2_b64 exec, exec, s[38:39]
	s_cbranch_execnz .LBB6_40
.LBB6_41:
	s_or_b64 exec, exec, s[10:11]
	v_add_u32_e32 v8, 1, v8
	v_and_b32_e32 v9, 0x3fffffe, v8
	v_cmp_ne_u32_e32 vcc, v8, v9
	v_lshl_add_u32 v3, v9, 7, v0
	s_orn2_b64 s[10:11], vcc, exec
.LBB6_42:
	s_or_b64 exec, exec, s[8:9]
	s_and_b64 exec, exec, s[10:11]
	s_cbranch_execz .LBB6_45
; %bb.43:
	v_mov_b32_e32 v8, 0x190
	v_lshl_add_u32 v8, v3, 2, v8
	s_mov_b64 s[8:9], 0
.LBB6_44:                               ; =>This Inner Loop Header: Depth=1
	ds_read_b32 v9, v8
	v_add_u32_e32 v3, 0x80, v3
	v_cmp_le_i32_e32 vcc, s3, v3
	s_or_b64 s[8:9], vcc, s[8:9]
	s_waitcnt lgkmcnt(0)
	v_mul_f32_e32 v9, v2, v9
	ds_write_b32 v8, v9
	v_add_u32_e32 v8, 0x200, v8
	s_andn2_b64 exec, exec, s[8:9]
	s_cbranch_execnz .LBB6_44
.LBB6_45:
	s_or_b64 exec, exec, s[0:1]
	s_mul_i32 s0, s16, s28
	v_cmp_eq_u32_e32 vcc, 0, v0
	s_mul_i32 s8, s0, s5
	s_waitcnt lgkmcnt(0)
	s_barrier
	s_and_saveexec_b64 s[0:1], vcc
	s_cbranch_execz .LBB6_47
; %bb.46:
	s_ashr_i32 s9, s8, 31
	s_lshl_b64 s[10:11], s[8:9], 2
	s_add_u32 s5, s22, s10
	s_mul_i32 s2, s16, s2
	s_addc_u32 s9, s23, s11
	s_ashr_i32 s3, s2, 31
	s_lshl_b64 s[2:3], s[2:3], 2
	s_add_u32 s15, s5, s2
	s_addc_u32 s9, s9, s3
	s_ashr_i32 s5, s4, 31
	s_lshl_b64 s[22:23], s[4:5], 2
	s_add_u32 s38, s15, s22
	s_addc_u32 s39, s9, s23
	s_add_u32 s5, s20, s10
	s_addc_u32 s9, s21, s11
	;; [unrolled: 2-line block ×3, first 2 shown]
	s_add_u32 s2, s2, s22
	v_mov_b32_e32 v2, 0
	s_addc_u32 s3, s3, s23
	global_store_dword v2, v4, s[38:39]
	global_store_dword v2, v5, s[2:3]
.LBB6_47:
	s_or_b64 exec, exec, s[0:1]
	v_mov_b32_e32 v20, 0
	v_and_b32_e32 v30, 1, v0
	v_mov_b32_e32 v19, 0
	v_mov_b32_e32 v18, 0
	s_and_saveexec_b64 s[2:3], s[6:7]
	s_cbranch_execz .LBB6_59
; %bb.48:
	s_ashr_i32 s15, s14, 31
	s_sub_i32 s5, s48, s17
	s_lshl_b64 s[0:1], s[14:15], 2
	s_add_u32 s0, s36, s0
	s_addc_u32 s1, s37, s1
	s_abs_i32 s9, s18
	v_cvt_f32_u32_e32 v2, s9
	s_sub_i32 s6, 0, s9
	v_lshlrev_b32_e32 v4, 4, v0
	v_mov_b32_e32 v3, 0
	v_rcp_iflag_f32_e32 v2, v2
	s_add_i32 s15, s12, -1
	s_mov_b32 s20, 0
	s_mov_b32 s21, s20
	v_mul_f32_e32 v2, 0x4f7ffffe, v2
	v_cvt_u32_f32_e32 v2, v2
	s_mov_b32 s22, s20
	v_mov_b32_e32 v18, s20
	v_and_b32_e32 v31, 4, v6
	v_mul_lo_u32 v5, s6, v2
	v_mul_hi_u32 v5, v2, v5
	v_add_u32_e32 v32, v2, v5
	v_and_b32_e32 v2, 0x3f0, v4
	v_lshl_add_u64 v[24:25], s[0:1], 0, v[2:3]
	s_lshl_b64 s[0:1], s[34:35], 2
	s_add_u32 s0, s30, s0
	v_lshlrev_b32_e32 v2, 4, v30
	s_addc_u32 s1, s31, s1
	v_lshl_or_b32 v2, v7, 5, v2
	s_mov_b32 s14, s13
	v_lshl_add_u64 v[26:27], v[22:23], 2, s[0:1]
	v_add_u32_e32 v23, 0x190, v2
	s_mov_b64 s[6:7], 0
	v_mov_b32_e32 v19, s21
	v_mov_b32_e32 v20, s22
	s_branch .LBB6_51
.LBB6_49:                               ;   in Loop: Header=BB6_51 Depth=1
	s_or_b64 exec, exec, s[0:1]
	s_waitcnt vmcnt(2) lgkmcnt(0)
	v_mul_f32_e32 v7, v3, v7
	v_fmac_f32_e32 v7, v2, v6
	s_waitcnt vmcnt(1)
	v_mul_f32_e32 v6, v3, v11
	s_waitcnt vmcnt(0)
	v_mul_f32_e32 v3, v3, v15
	v_fmac_f32_e32 v6, v2, v10
	v_fmac_f32_e32 v3, v2, v14
	;; [unrolled: 1-line block ×8, first 2 shown]
	v_add_f32_e32 v18, v18, v7
	v_add_f32_e32 v19, v19, v6
	;; [unrolled: 1-line block ×3, first 2 shown]
.LBB6_50:                               ;   in Loop: Header=BB6_51 Depth=1
	s_or_b64 exec, exec, s[10:11]
	v_add_u32_e32 v22, 2, v22
	v_cmp_le_i32_e32 vcc, s47, v22
	v_lshl_add_u64 v[26:27], v[26:27], 0, 8
	v_add_u32_e32 v21, 16, v21
	s_or_b64 s[6:7], vcc, s[6:7]
	v_add_u32_e32 v23, 64, v23
	s_andn2_b64 exec, exec, s[6:7]
	s_cbranch_execz .LBB6_58
.LBB6_51:                               ; =>This Inner Loop Header: Depth=1
	v_sub_u32_e32 v3, 0, v21
	v_max_i32_e32 v3, v21, v3
	v_mul_hi_u32 v4, v3, s33
	v_mul_lo_u32 v5, v4, s25
	v_sub_u32_e32 v3, v3, v5
	v_add_u32_e32 v5, 1, v4
	v_cmp_le_u32_e32 vcc, s25, v3
	v_ashrrev_i32_e32 v2, 31, v21
	v_xor_b32_e32 v2, s19, v2
	v_cndmask_b32_e32 v4, v4, v5, vcc
	v_subrev_u32_e32 v5, s25, v3
	v_cndmask_b32_e32 v3, v3, v5, vcc
	v_add_u32_e32 v5, 1, v4
	v_cmp_le_u32_e32 vcc, s25, v3
	s_nop 1
	v_cndmask_b32_e32 v3, v4, v5, vcc
	v_xor_b32_e32 v3, v3, v2
	v_sub_u32_e32 v2, v3, v2
	v_add_u32_e32 v3, s46, v2
	v_sub_u32_e32 v5, 0, v3
	v_ashrrev_i32_e32 v4, 31, v3
	v_max_i32_e32 v3, v3, v5
	v_mul_hi_u32 v5, v3, v32
	v_mul_lo_u32 v5, v5, s9
	v_sub_u32_e32 v3, v3, v5
	v_subrev_u32_e32 v5, s9, v3
	v_cmp_le_u32_e32 vcc, s9, v3
	v_cmp_lt_i32_e64 s[0:1], s5, v2
	s_nop 0
	v_cndmask_b32_e32 v3, v3, v5, vcc
	v_subrev_u32_e32 v5, s9, v3
	v_cmp_le_u32_e32 vcc, s9, v3
	s_nop 1
	v_cndmask_b32_e32 v3, v3, v5, vcc
	v_xor_b32_e32 v3, v3, v4
	v_sub_u32_e32 v3, v3, v4
	v_cmp_eq_u32_e32 vcc, 0, v3
	s_or_b64 s[0:1], vcc, s[0:1]
	s_and_saveexec_b64 s[10:11], s[0:1]
	s_cbranch_execz .LBB6_50
; %bb.52:                               ;   in Loop: Header=BB6_51 Depth=1
	global_load_dword v2, v[26:27], off
	v_add_u32_e32 v33, v31, v21
	v_cmp_eq_u32_e32 vcc, s15, v22
	v_add_u32_e32 v36, 1, v33
	v_add_u32_e32 v35, 2, v33
	;; [unrolled: 1-line block ×3, first 2 shown]
	s_waitcnt vmcnt(0)
	v_mad_i64_i32 v[2:3], s[0:1], v2, s14, 0
	v_lshl_add_u64 v[14:15], v[2:3], 2, v[24:25]
	global_load_dwordx4 v[6:9], v[14:15], off
	ds_read_b128 v[2:5], v23
	s_and_saveexec_b64 s[12:13], vcc
	s_cbranch_execnz .LBB6_55
; %bb.53:                               ;   in Loop: Header=BB6_51 Depth=1
	s_or_b64 exec, exec, s[12:13]
	global_load_dwordx4 v[10:13], v[14:15], off offset:1024
	s_and_saveexec_b64 s[12:13], vcc
	s_cbranch_execnz .LBB6_56
.LBB6_54:                               ;   in Loop: Header=BB6_51 Depth=1
	s_or_b64 exec, exec, s[12:13]
	global_load_dwordx4 v[14:17], v[14:15], off offset:2048
	s_and_saveexec_b64 s[0:1], vcc
	s_cbranch_execz .LBB6_49
	s_branch .LBB6_57
.LBB6_55:                               ;   in Loop: Header=BB6_51 Depth=1
	v_cmp_gt_i32_e64 s[0:1], s29, v33
	s_waitcnt vmcnt(0)
	s_nop 0
	v_cndmask_b32_e64 v6, 0, v6, s[0:1]
	v_cmp_gt_i32_e64 s[0:1], s29, v36
	s_nop 1
	v_cndmask_b32_e64 v7, 0, v7, s[0:1]
	v_cmp_gt_i32_e64 s[0:1], s29, v35
	;; [unrolled: 3-line block ×3, first 2 shown]
	s_nop 1
	v_cndmask_b32_e64 v9, 0, v9, s[0:1]
	s_or_b64 exec, exec, s[12:13]
	global_load_dwordx4 v[10:13], v[14:15], off offset:1024
	s_and_saveexec_b64 s[12:13], vcc
	s_cbranch_execz .LBB6_54
.LBB6_56:                               ;   in Loop: Header=BB6_51 Depth=1
	v_cmp_gt_i32_e64 s[0:1], s29, v33
	s_waitcnt vmcnt(0)
	s_nop 0
	v_cndmask_b32_e64 v10, 0, v10, s[0:1]
	v_cmp_gt_i32_e64 s[0:1], s29, v36
	s_nop 1
	v_cndmask_b32_e64 v11, 0, v11, s[0:1]
	v_cmp_gt_i32_e64 s[0:1], s29, v35
	;; [unrolled: 3-line block ×3, first 2 shown]
	s_nop 1
	v_cndmask_b32_e64 v13, 0, v13, s[0:1]
	s_or_b64 exec, exec, s[12:13]
	global_load_dwordx4 v[14:17], v[14:15], off offset:2048
	s_and_saveexec_b64 s[0:1], vcc
	s_cbranch_execz .LBB6_49
.LBB6_57:                               ;   in Loop: Header=BB6_51 Depth=1
	v_cmp_gt_i32_e32 vcc, s29, v33
	s_waitcnt vmcnt(0)
	s_nop 0
	v_cndmask_b32_e32 v14, 0, v14, vcc
	v_cmp_gt_i32_e32 vcc, s29, v36
	s_nop 1
	v_cndmask_b32_e32 v15, 0, v15, vcc
	v_cmp_gt_i32_e32 vcc, s29, v35
	;; [unrolled: 3-line block ×3, first 2 shown]
	s_nop 1
	v_cndmask_b32_e32 v17, 0, v17, vcc
	s_branch .LBB6_49
.LBB6_58:
	s_or_b64 exec, exec, s[6:7]
.LBB6_59:
	s_or_b64 exec, exec, s[2:3]
	ds_bpermute_b32 v2, v29, v18
	ds_bpermute_b32 v3, v29, v19
	;; [unrolled: 1-line block ×3, first 2 shown]
	v_and_b32_e32 v5, 0x3c1, v0
	v_cmp_eq_u32_e32 vcc, 64, v5
	s_waitcnt lgkmcnt(0)
	v_pk_add_f32 v[2:3], v[18:19], v[2:3]
	v_add_f32_e32 v4, v20, v4
	s_barrier
	s_and_saveexec_b64 s[0:1], vcc
	s_cbranch_execz .LBB6_61
; %bb.60:
	v_mov_b32_e32 v6, 0x190
	v_lshl_add_u32 v6, v28, 1, v6
	ds_write2_b32 v6, v2, v3 offset1:32
	ds_write_b32 v6, v4 offset:256
.LBB6_61:
	s_or_b64 exec, exec, s[0:1]
	v_cmp_gt_u32_e32 vcc, 64, v0
	s_waitcnt lgkmcnt(0)
	s_barrier
	s_and_saveexec_b64 s[0:1], vcc
	s_cbranch_execz .LBB6_67
; %bb.62:
	v_cmp_eq_u32_e32 vcc, 0, v30
	s_and_saveexec_b64 s[2:3], vcc
	s_cbranch_execnz .LBB6_70
; %bb.63:
	s_or_b64 exec, exec, s[2:3]
	s_and_saveexec_b64 s[2:3], vcc
	s_cbranch_execnz .LBB6_71
.LBB6_64:
	s_or_b64 exec, exec, s[2:3]
	s_and_saveexec_b64 s[2:3], vcc
	s_cbranch_execz .LBB6_66
.LBB6_65:
	v_mov_b32_e32 v6, 0x190
	v_lshl_add_u32 v1, v1, 2, v6
	ds_read_b32 v1, v1 offset:256
	s_waitcnt lgkmcnt(0)
	v_add_f32_e32 v4, v4, v1
.LBB6_66:
	s_or_b64 exec, exec, s[2:3]
.LBB6_67:
	s_or_b64 exec, exec, s[0:1]
	v_cmp_eq_u32_e32 vcc, 0, v5
	s_barrier
	s_and_saveexec_b64 s[0:1], vcc
	s_cbranch_execz .LBB6_69
; %bb.68:
	s_mul_i32 s0, s8, 0x60
	s_ashr_i32 s1, s0, 31
	s_lshl_b64 s[0:1], s[0:1], 2
	s_add_u32 s2, s26, s0
	s_mul_i32 s0, s16, s24
	s_addc_u32 s3, s27, s1
	s_ashr_i32 s1, s0, 31
	s_lshl_b64 s[0:1], s[0:1], 2
	s_add_u32 s2, s2, s0
	s_mul_i32 s0, s4, 0x60
	s_addc_u32 s3, s3, s1
	s_ashr_i32 s1, s0, 31
	s_lshl_b64 s[0:1], s[0:1], 2
	s_add_u32 s0, s2, s0
	s_addc_u32 s1, s3, s1
	v_lshlrev_b32_e32 v0, 1, v0
	global_store_dword v0, v2, s[0:1]
	global_store_dword v0, v3, s[0:1] offset:128
	global_store_dword v0, v4, s[0:1] offset:256
.LBB6_69:
	s_endpgm
.LBB6_70:
	v_mov_b32_e32 v6, 0x190
	v_lshl_add_u32 v6, v1, 2, v6
	ds_read_b32 v6, v6
	s_waitcnt lgkmcnt(0)
	v_add_f32_e32 v2, v2, v6
	s_or_b64 exec, exec, s[2:3]
	s_and_saveexec_b64 s[2:3], vcc
	s_cbranch_execz .LBB6_64
.LBB6_71:
	v_mov_b32_e32 v6, 0x190
	v_lshl_add_u32 v6, v1, 2, v6
	ds_read_b32 v6, v6 offset:128
	s_waitcnt lgkmcnt(0)
	v_add_f32_e32 v3, v3, v6
	s_or_b64 exec, exec, s[2:3]
	s_and_saveexec_b64 s[2:3], vcc
	s_cbranch_execnz .LBB6_65
	s_branch .LBB6_66
	.section	.rodata,"a",@progbits
	.p2align	6, 0x0
	.amdhsa_kernel _ZN4vllm25paged_attention_v2_kernelIffLi96ELi8ELi128ELNS_18Fp8KVCacheDataTypeE0ELb1ELi512EEEvPfS2_PT_PKS3_PKT0_S9_ifPKiSB_iPKfiiiSD_SD_iiiii
		.amdhsa_group_segment_fixed_size 400
		.amdhsa_private_segment_fixed_size 0
		.amdhsa_kernarg_size 400
		.amdhsa_user_sgpr_count 2
		.amdhsa_user_sgpr_dispatch_ptr 0
		.amdhsa_user_sgpr_queue_ptr 0
		.amdhsa_user_sgpr_kernarg_segment_ptr 1
		.amdhsa_user_sgpr_dispatch_id 0
		.amdhsa_user_sgpr_kernarg_preload_length 0
		.amdhsa_user_sgpr_kernarg_preload_offset 0
		.amdhsa_user_sgpr_private_segment_size 0
		.amdhsa_uses_dynamic_stack 0
		.amdhsa_enable_private_segment 0
		.amdhsa_system_sgpr_workgroup_id_x 1
		.amdhsa_system_sgpr_workgroup_id_y 1
		.amdhsa_system_sgpr_workgroup_id_z 1
		.amdhsa_system_sgpr_workgroup_info 0
		.amdhsa_system_vgpr_workitem_id 0
		.amdhsa_next_free_vgpr 51
		.amdhsa_next_free_sgpr 52
		.amdhsa_accum_offset 52
		.amdhsa_reserve_vcc 1
		.amdhsa_float_round_mode_32 0
		.amdhsa_float_round_mode_16_64 0
		.amdhsa_float_denorm_mode_32 3
		.amdhsa_float_denorm_mode_16_64 3
		.amdhsa_dx10_clamp 1
		.amdhsa_ieee_mode 1
		.amdhsa_fp16_overflow 0
		.amdhsa_tg_split 0
		.amdhsa_exception_fp_ieee_invalid_op 0
		.amdhsa_exception_fp_denorm_src 0
		.amdhsa_exception_fp_ieee_div_zero 0
		.amdhsa_exception_fp_ieee_overflow 0
		.amdhsa_exception_fp_ieee_underflow 0
		.amdhsa_exception_fp_ieee_inexact 0
		.amdhsa_exception_int_div_zero 0
	.end_amdhsa_kernel
	.section	.text._ZN4vllm25paged_attention_v2_kernelIffLi96ELi8ELi128ELNS_18Fp8KVCacheDataTypeE0ELb1ELi512EEEvPfS2_PT_PKS3_PKT0_S9_ifPKiSB_iPKfiiiSD_SD_iiiii,"axG",@progbits,_ZN4vllm25paged_attention_v2_kernelIffLi96ELi8ELi128ELNS_18Fp8KVCacheDataTypeE0ELb1ELi512EEEvPfS2_PT_PKS3_PKT0_S9_ifPKiSB_iPKfiiiSD_SD_iiiii,comdat
.Lfunc_end6:
	.size	_ZN4vllm25paged_attention_v2_kernelIffLi96ELi8ELi128ELNS_18Fp8KVCacheDataTypeE0ELb1ELi512EEEvPfS2_PT_PKS3_PKT0_S9_ifPKiSB_iPKfiiiSD_SD_iiiii, .Lfunc_end6-_ZN4vllm25paged_attention_v2_kernelIffLi96ELi8ELi128ELNS_18Fp8KVCacheDataTypeE0ELb1ELi512EEEvPfS2_PT_PKS3_PKT0_S9_ifPKiSB_iPKfiiiSD_SD_iiiii
                                        ; -- End function
	.section	.AMDGPU.csdata,"",@progbits
; Kernel info:
; codeLenInByte = 4596
; NumSgprs: 58
; NumVgprs: 51
; NumAgprs: 0
; TotalNumVgprs: 51
; ScratchSize: 0
; MemoryBound: 0
; FloatMode: 240
; IeeeMode: 1
; LDSByteSize: 400 bytes/workgroup (compile time only)
; SGPRBlocks: 7
; VGPRBlocks: 6
; NumSGPRsForWavesPerEU: 58
; NumVGPRsForWavesPerEU: 51
; AccumOffset: 52
; Occupancy: 8
; WaveLimiterHint : 1
; COMPUTE_PGM_RSRC2:SCRATCH_EN: 0
; COMPUTE_PGM_RSRC2:USER_SGPR: 2
; COMPUTE_PGM_RSRC2:TRAP_HANDLER: 0
; COMPUTE_PGM_RSRC2:TGID_X_EN: 1
; COMPUTE_PGM_RSRC2:TGID_Y_EN: 1
; COMPUTE_PGM_RSRC2:TGID_Z_EN: 1
; COMPUTE_PGM_RSRC2:TIDIG_COMP_CNT: 0
; COMPUTE_PGM_RSRC3_GFX90A:ACCUM_OFFSET: 12
; COMPUTE_PGM_RSRC3_GFX90A:TG_SPLIT: 0
	.section	.text._ZN4vllm32paged_attention_v2_reduce_kernelIfLi96ELi128ELi512EEEvPT_PKfS4_PKS1_PKii,"axG",@progbits,_ZN4vllm32paged_attention_v2_reduce_kernelIfLi96ELi128ELi512EEEvPT_PKfS4_PKS1_PKii,comdat
	.protected	_ZN4vllm32paged_attention_v2_reduce_kernelIfLi96ELi128ELi512EEEvPT_PKfS4_PKS1_PKii ; -- Begin function _ZN4vllm32paged_attention_v2_reduce_kernelIfLi96ELi128ELi512EEEvPT_PKfS4_PKS1_PKii
	.globl	_ZN4vllm32paged_attention_v2_reduce_kernelIfLi96ELi128ELi512EEEvPT_PKfS4_PKS1_PKii
	.p2align	8
	.type	_ZN4vllm32paged_attention_v2_reduce_kernelIfLi96ELi128ELi512EEEvPT_PKfS4_PKS1_PKii,@function
_ZN4vllm32paged_attention_v2_reduce_kernelIfLi96ELi128ELi512EEEvPT_PKfS4_PKS1_PKii: ; @_ZN4vllm32paged_attention_v2_reduce_kernelIfLi96ELi128ELi512EEEvPT_PKfS4_PKS1_PKii
; %bb.0:
	s_load_dwordx4 s[8:11], s[0:1], 0x18
	s_add_u32 s6, s0, 48
	s_mov_b32 s12, s3
	s_addc_u32 s7, s1, 0
	s_ashr_i32 s13, s3, 31
	s_lshl_b64 s[4:5], s[12:13], 2
	s_waitcnt lgkmcnt(0)
	s_add_u32 s4, s10, s4
	s_addc_u32 s5, s11, s5
	s_load_dword s26, s[4:5], 0x0
	s_load_dwordx2 s[10:11], s[0:1], 0x0
	s_load_dword s13, s[0:1], 0x28
	s_load_dword s3, s[0:1], 0x30
	s_waitcnt lgkmcnt(0)
	s_add_i32 s4, s26, -1
	s_cmpk_gt_u32 s4, 0x1ff
	s_mov_b64 s[4:5], -1
	s_cbranch_scc0 .LBB7_25
; %bb.1:
	s_add_i32 s4, s26, 0x1ff
	s_load_dwordx2 s[18:19], s[0:1], 0x8
	s_ashr_i32 s5, s4, 31
	s_lshr_b32 s5, s5, 23
	s_add_i32 s4, s4, s5
	s_mul_i32 s24, s3, s12
	s_ashr_i32 s25, s4, 9
	s_mul_i32 s14, s24, s13
	s_mul_i32 s16, s2, s13
	s_ashr_i32 s15, s14, 31
	s_ashr_i32 s17, s16, 31
	v_cmp_gt_i32_e32 vcc, s25, v0
	v_mov_b32_e32 v4, 0xff7fffff
	s_and_saveexec_b64 s[4:5], vcc
	s_cbranch_execz .LBB7_5
; %bb.2:
	s_load_dword s20, s[6:7], 0xc
	s_load_dwordx2 s[22:23], s[0:1], 0x10
	s_lshl_b64 s[0:1], s[14:15], 2
	s_lshl_b64 s[28:29], s[16:17], 2
	v_lshlrev_b32_e32 v4, 2, v0
	s_waitcnt lgkmcnt(0)
	s_and_b32 s27, s20, 0xffff
	s_add_u32 s0, s0, s28
	s_addc_u32 s1, s1, s29
	s_add_u32 s0, s22, s0
	v_mov_b32_e32 v5, 0
	s_addc_u32 s1, s23, s1
	s_mov_b32 s21, 0
	v_lshl_add_u64 v[2:3], s[0:1], 0, v[4:5]
	s_lshl_b32 s20, s27, 2
	v_add_u32_e32 v1, 16, v4
	s_mov_b64 s[22:23], 0
	v_mov_b32_e32 v4, 0xff7fffff
	v_mov_b32_e32 v5, v0
.LBB7_3:                                ; =>This Inner Loop Header: Depth=1
	global_load_dword v6, v[2:3], off
	v_add_u32_e32 v5, s27, v5
	v_max_f32_e32 v4, v4, v4
	v_cmp_le_i32_e64 s[0:1], s25, v5
	v_lshl_add_u64 v[2:3], v[2:3], 0, s[20:21]
	s_or_b64 s[22:23], s[0:1], s[22:23]
	s_waitcnt vmcnt(0)
	ds_write_b32 v1, v6
	v_max_f32_e32 v6, v6, v6
	v_add_u32_e32 v1, s20, v1
	v_max_f32_e32 v4, v4, v6
	s_andn2_b64 exec, exec, s[22:23]
	s_cbranch_execnz .LBB7_3
; %bb.4:
	s_or_b64 exec, exec, s[22:23]
.LBB7_5:
	s_or_b64 exec, exec, s[4:5]
	v_mbcnt_lo_u32_b32 v1, -1, 0
	v_mbcnt_hi_u32_b32 v2, -1, v1
	v_and_b32_e32 v1, 64, v2
	v_add_u32_e32 v5, 64, v1
	v_xor_b32_e32 v1, 32, v2
	v_cmp_lt_i32_e64 s[0:1], v1, v5
	v_xor_b32_e32 v6, 16, v2
	v_xor_b32_e32 v7, 8, v2
	v_cndmask_b32_e64 v1, v2, v1, s[0:1]
	v_lshlrev_b32_e32 v1, 2, v1
	ds_bpermute_b32 v3, v1, v4
	v_max_f32_e32 v4, v4, v4
	v_cmp_lt_i32_e64 s[0:1], v6, v5
	v_lshrrev_b32_e32 v11, 6, v0
	v_lshlrev_b32_e32 v11, 2, v11
	s_waitcnt lgkmcnt(0)
	v_max_f32_e32 v3, v3, v3
	v_max_f32_e32 v3, v4, v3
	v_cndmask_b32_e64 v4, v2, v6, s[0:1]
	v_lshlrev_b32_e32 v6, 2, v4
	ds_bpermute_b32 v4, v6, v3
	v_cmp_lt_i32_e64 s[0:1], v7, v5
	s_waitcnt lgkmcnt(0)
	s_barrier
	v_max_f32_e32 v4, v4, v4
	v_max_f32_e32 v3, v3, v4
	v_cndmask_b32_e64 v4, v2, v7, s[0:1]
	v_lshlrev_b32_e32 v8, 2, v4
	ds_bpermute_b32 v4, v8, v3
	v_xor_b32_e32 v7, 4, v2
	v_cmp_lt_i32_e64 s[0:1], v7, v5
	s_waitcnt lgkmcnt(0)
	v_max_f32_e32 v4, v4, v4
	v_max_f32_e32 v3, v3, v4
	v_cndmask_b32_e64 v4, v2, v7, s[0:1]
	v_lshlrev_b32_e32 v9, 2, v4
	ds_bpermute_b32 v4, v9, v3
	v_xor_b32_e32 v7, 2, v2
	v_cmp_lt_i32_e64 s[0:1], v7, v5
	s_waitcnt lgkmcnt(0)
	v_max_f32_e32 v4, v4, v4
	v_max_f32_e32 v4, v3, v4
	v_cndmask_b32_e64 v3, v2, v7, s[0:1]
	v_lshlrev_b32_e32 v10, 2, v3
	ds_bpermute_b32 v7, v10, v4
	v_and_b32_e32 v3, 63, v0
	s_waitcnt lgkmcnt(0)
	v_max_f32_e32 v7, v7, v7
	v_max_f32_e32 v4, v4, v7
	v_xor_b32_e32 v7, 1, v2
	v_cmp_lt_i32_e64 s[0:1], v7, v5
	s_nop 1
	v_cndmask_b32_e64 v5, v2, v7, s[0:1]
	v_lshlrev_b32_e32 v7, 2, v5
	ds_bpermute_b32 v5, v7, v4
	v_cmp_eq_u32_e64 s[0:1], 0, v3
	s_and_saveexec_b64 s[4:5], s[0:1]
	s_cbranch_execz .LBB7_7
; %bb.6:
	s_waitcnt lgkmcnt(0)
	v_max_f32_e32 v5, v5, v5
	v_max_f32_e32 v4, v4, v4
	;; [unrolled: 1-line block ×3, first 2 shown]
	ds_write_b32 v11, v4
.LBB7_7:
	s_or_b64 exec, exec, s[4:5]
	v_cmp_gt_u32_e64 s[4:5], 2, v3
	v_mov_b32_e32 v4, 0xff7fffff
	v_lshlrev_b32_e32 v12, 2, v3
	s_waitcnt lgkmcnt(0)
	s_barrier
	s_and_saveexec_b64 s[20:21], s[4:5]
	s_cbranch_execz .LBB7_9
; %bb.8:
	ds_read_b32 v4, v12
.LBB7_9:
	s_or_b64 exec, exec, s[20:21]
	s_waitcnt lgkmcnt(0)
	ds_bpermute_b32 v3, v7, v4
	v_max_f32_e32 v4, v4, v4
	v_lshlrev_b32_e32 v2, 2, v2
	v_and_b32_e32 v13, 0x100, v2
	s_lshl_b32 s27, s25, 2
	s_waitcnt lgkmcnt(0)
	v_max_f32_e32 v3, v3, v3
	v_max_f32_e32 v3, v4, v3
	ds_bpermute_b32 v14, v13, v3
	v_mov_b32_e32 v3, 0
	s_and_saveexec_b64 s[20:21], vcc
	s_cbranch_execz .LBB7_13
; %bb.10:
	s_load_dword s22, s[6:7], 0xc
	s_lshl_b64 s[28:29], s[14:15], 2
	s_lshl_b64 s[30:31], s[16:17], 2
	v_lshlrev_b32_e32 v2, 2, v0
	v_mov_b32_e32 v3, 0
	s_waitcnt lgkmcnt(0)
	s_and_b32 s15, s22, 0xffff
	s_add_u32 s17, s28, s30
	s_addc_u32 s22, s29, s31
	s_add_u32 s18, s18, s17
	s_addc_u32 s19, s19, s22
	s_mov_b32 s23, 0
	v_lshl_add_u64 v[4:5], s[18:19], 0, v[2:3]
	s_lshl_b32 s22, s15, 2
	v_add_u32_e32 v2, 16, v2
	s_mov_b64 s[18:19], 0
	s_mov_b32 s17, 0x3fb8aa3b
	s_mov_b32 s28, 0xc2ce8ed0
	;; [unrolled: 1-line block ×3, first 2 shown]
	v_mov_b32_e32 v15, 0x7f800000
	v_mov_b32_e32 v16, v0
.LBB7_11:                               ; =>This Inner Loop Header: Depth=1
	global_load_dword v17, v[4:5], off
	ds_read_b32 v18, v2
	v_add_u32_e32 v16, s15, v16
	v_cmp_le_i32_e32 vcc, s25, v16
	s_or_b64 s[18:19], vcc, s[18:19]
	v_add_u32_e32 v19, s27, v2
	s_waitcnt lgkmcnt(0)
	v_sub_f32_e32 v18, v18, v14
	v_mul_f32_e32 v20, 0x3fb8aa3b, v18
	v_fma_f32 v21, v18, s17, -v20
	v_rndne_f32_e32 v22, v20
	v_fmac_f32_e32 v21, 0x32a5705f, v18
	v_sub_f32_e32 v20, v20, v22
	v_add_f32_e32 v20, v20, v21
	v_cvt_i32_f32_e32 v22, v22
	v_exp_f32_e32 v20, v20
	v_cmp_ngt_f32_e32 vcc, s28, v18
	v_lshl_add_u64 v[4:5], v[4:5], 0, s[22:23]
	v_add_u32_e32 v2, s22, v2
	v_ldexp_f32 v20, v20, v22
	v_cndmask_b32_e32 v20, 0, v20, vcc
	v_cmp_nlt_f32_e32 vcc, s29, v18
	s_nop 1
	v_cndmask_b32_e32 v18, v15, v20, vcc
	s_waitcnt vmcnt(0)
	v_mul_f32_e32 v20, v17, v18
	v_fmac_f32_e32 v3, v17, v18
	ds_write_b32 v19, v20
	s_andn2_b64 exec, exec, s[18:19]
	s_cbranch_execnz .LBB7_11
; %bb.12:
	s_or_b64 exec, exec, s[18:19]
.LBB7_13:
	s_or_b64 exec, exec, s[20:21]
	ds_bpermute_b32 v1, v1, v3
	s_waitcnt lgkmcnt(0)
	s_barrier
	v_add_f32_e32 v1, v3, v1
	ds_bpermute_b32 v2, v6, v1
	s_waitcnt lgkmcnt(0)
	v_add_f32_e32 v1, v1, v2
	ds_bpermute_b32 v2, v8, v1
	s_waitcnt lgkmcnt(0)
	;; [unrolled: 3-line block ×5, first 2 shown]
	v_add_f32_e32 v1, v1, v2
	s_and_saveexec_b64 s[18:19], s[0:1]
	s_cbranch_execz .LBB7_15
; %bb.14:
	ds_write_b32 v11, v1 offset:8
.LBB7_15:
	s_or_b64 exec, exec, s[18:19]
	s_waitcnt lgkmcnt(0)
	s_barrier
	s_and_saveexec_b64 s[0:1], s[4:5]
	s_cbranch_execz .LBB7_17
; %bb.16:
	ds_read_b32 v1, v12 offset:8
.LBB7_17:
	s_or_b64 exec, exec, s[0:1]
	s_waitcnt lgkmcnt(0)
	ds_bpermute_b32 v2, v7, v1
	s_movk_i32 s0, 0x60
	v_cmp_gt_u32_e32 vcc, s0, v0
	s_waitcnt lgkmcnt(0)
	v_add_f32_e32 v1, v1, v2
	ds_bpermute_b32 v2, v13, v1
	s_and_saveexec_b64 s[0:1], vcc
	s_cbranch_execz .LBB7_24
; %bb.18:
	s_cmp_gt_i32 s26, 0
	s_mov_b32 s15, 0
	s_cbranch_scc1 .LBB7_20
; %bb.19:
	v_mov_b32_e32 v1, 0
	v_mov_b32_e32 v4, s15
	s_cbranch_execz .LBB7_21
	s_branch .LBB7_23
.LBB7_20:
                                        ; implicit-def: $sgpr15
	v_mov_b32_e32 v4, s15
.LBB7_21:
	s_waitcnt lgkmcnt(0)
	v_add_f32_e32 v1, 0x358637bd, v2
	v_div_scale_f32 v2, s[4:5], v1, v1, 1.0
	v_rcp_f32_e32 v3, v2
	s_mul_i32 s4, s14, 0x60
	s_mulk_i32 s16, 0x60
	s_ashr_i32 s5, s4, 31
	v_fma_f32 v4, -v2, v3, 1.0
	v_fmac_f32_e32 v3, v4, v3
	v_div_scale_f32 v4, vcc, 1.0, v1, 1.0
	v_mul_f32_e32 v5, v4, v3
	v_fma_f32 v6, -v2, v5, v4
	s_ashr_i32 s17, s16, 31
	s_max_i32 s15, s25, 1
	v_fmac_f32_e32 v5, v6, v3
	s_add_i32 s14, s27, 16
	s_lshl_b64 s[4:5], s[4:5], 2
	s_lshl_b64 s[16:17], s[16:17], 2
	v_fma_f32 v2, -v2, v5, v4
	s_add_u32 s4, s4, s16
	v_div_fmas_f32 v2, v2, v3, v5
	s_addc_u32 s5, s5, s17
	v_div_fixup_f32 v5, v2, v1, 1.0
	v_mov_b32_e32 v1, 0
	s_add_u32 s4, s8, s4
	v_lshlrev_b32_e32 v2, 2, v0
	v_mov_b32_e32 v3, v1
	s_addc_u32 s5, s9, s5
	v_lshl_add_u64 v[2:3], s[4:5], 0, v[2:3]
	s_mov_b64 s[4:5], 0x180
	v_mov_b32_e32 v4, v1
.LBB7_22:                               ; =>This Inner Loop Header: Depth=1
	global_load_dword v6, v[2:3], off
	v_mov_b32_e32 v7, s14
	ds_read_b32 v7, v7
	s_add_i32 s15, s15, -1
	s_add_i32 s14, s14, 4
	v_lshl_add_u64 v[2:3], v[2:3], 0, s[4:5]
	s_cmp_eq_u32 s15, 0
	s_waitcnt vmcnt(0) lgkmcnt(0)
	v_mul_f32_e32 v6, v6, v7
	v_fmac_f32_e32 v4, v5, v6
	s_cbranch_scc0 .LBB7_22
.LBB7_23:
	s_mul_i32 s4, s24, 0x60
	s_ashr_i32 s5, s4, 31
	s_lshl_b64 s[4:5], s[4:5], 2
	s_add_u32 s14, s10, s4
	s_mul_i32 s4, s2, 0x60
	s_addc_u32 s15, s11, s5
	s_ashr_i32 s5, s4, 31
	s_lshl_b64 s[4:5], s[4:5], 2
	s_add_u32 s4, s14, s4
	s_addc_u32 s5, s15, s5
	s_waitcnt lgkmcnt(0)
	v_lshl_add_u64 v[2:3], v[0:1], 2, s[4:5]
	global_store_dword v[2:3], v4, off
.LBB7_24:
	s_or_b64 exec, exec, s[0:1]
	s_mov_b64 s[4:5], 0
.LBB7_25:
	s_and_b64 vcc, exec, s[4:5]
	s_cbranch_vccz .LBB7_34
; %bb.26:
	s_movk_i32 s0, 0x60
	v_cmp_gt_u32_e32 vcc, s0, v0
	s_and_saveexec_b64 s[4:5], vcc
	s_cbranch_execz .LBB7_34
; %bb.27:
	s_mul_i32 s1, s3, s12
	s_mul_i32 s4, s1, 0x60
	s_ashr_i32 s5, s4, 31
	s_lshl_b64 s[14:15], s[4:5], 2
	s_add_u32 s1, s10, s14
	s_mul_i32 s10, s2, 0x60
	s_addc_u32 s5, s11, s15
	s_ashr_i32 s11, s10, 31
	s_lshl_b64 s[2:3], s[10:11], 2
	s_add_u32 s2, s1, s2
	s_mul_i32 s4, s4, s13
	s_addc_u32 s3, s5, s3
	s_ashr_i32 s5, s4, 31
	s_lshl_b64 s[4:5], s[4:5], 2
	s_load_dword s6, s[6:7], 0xc
	s_add_u32 s1, s8, s4
	s_mul_i32 s4, s10, s13
	s_addc_u32 s8, s9, s5
	s_ashr_i32 s5, s4, 31
	s_lshl_b64 s[4:5], s[4:5], 2
	s_add_u32 s4, s1, s4
	s_addc_u32 s5, s8, s5
	s_waitcnt lgkmcnt(0)
	s_and_b32 s8, s6, 0xffff
	v_cvt_f32_u32_e32 v1, s8
	v_add_u32_e32 v2, s8, v0
	v_mov_b32_e32 v4, s8
	v_cmp_gt_u32_e32 vcc, s0, v2
	v_rcp_iflag_f32_e32 v1, v1
	s_cmp_eq_u32 s8, 1
	v_max_u32_e32 v3, 0x60, v2
	v_addc_co_u32_e64 v2, s[0:1], v0, v4, vcc
	v_mul_f32_e32 v1, 0x4f7ffffe, v1
	v_cvt_u32_f32_e32 v1, v1
	s_cselect_b64 s[6:7], -1, 0
	s_sub_i32 s0, 0, s8
	v_sub_u32_e32 v2, v3, v2
	v_mul_lo_u32 v3, s0, v1
	v_mul_hi_u32 v3, v1, v3
	v_add_u32_e32 v1, v1, v3
	v_mul_hi_u32 v1, v2, v1
	v_mul_lo_u32 v3, v1, s8
	v_sub_u32_e32 v2, v2, v3
	v_add_u32_e32 v3, 1, v1
	v_cmp_le_u32_e64 s[0:1], s8, v2
	s_nop 1
	v_cndmask_b32_e64 v1, v1, v3, s[0:1]
	v_subrev_u32_e32 v3, s8, v2
	v_cndmask_b32_e64 v2, v2, v3, s[0:1]
	v_add_u32_e32 v3, 1, v1
	v_cmp_le_u32_e64 s[0:1], s8, v2
	s_nop 1
	v_cndmask_b32_e64 v1, v1, v3, s[0:1]
	v_addc_co_u32_e32 v1, vcc, 1, v1, vcc
	v_cmp_lt_u32_e32 vcc, 3, v1
	s_and_b64 s[10:11], vcc, s[6:7]
	s_mov_b64 s[6:7], -1
	s_and_saveexec_b64 s[0:1], s[10:11]
	s_cbranch_execz .LBB7_31
; %bb.28:
	v_and_b32_e32 v4, -4, v1
	s_mov_b64 s[6:7], 0
	v_mov_b32_e32 v3, 0
	v_mov_b32_e32 v2, v0
	v_mov_b32_e32 v5, v4
.LBB7_29:                               ; =>This Inner Loop Header: Depth=1
	v_lshlrev_b64 v[10:11], 2, v[2:3]
	v_lshl_add_u64 v[6:7], s[4:5], 0, v[10:11]
	global_load_dwordx4 v[6:9], v[6:7], off
	v_add_u32_e32 v5, -4, v5
	v_cmp_eq_u32_e32 vcc, 0, v5
	v_add_u32_e32 v2, 4, v2
	v_lshl_add_u64 v[10:11], s[2:3], 0, v[10:11]
	s_or_b64 s[6:7], vcc, s[6:7]
	s_waitcnt vmcnt(0)
	global_store_dwordx4 v[10:11], v[6:9], off
	s_andn2_b64 exec, exec, s[6:7]
	s_cbranch_execnz .LBB7_29
; %bb.30:
	s_or_b64 exec, exec, s[6:7]
	v_cmp_ne_u32_e32 vcc, v1, v4
	v_add_u32_e32 v0, v0, v4
	s_orn2_b64 s[6:7], vcc, exec
.LBB7_31:
	s_or_b64 exec, exec, s[0:1]
	s_and_b64 exec, exec, s[6:7]
	s_cbranch_execz .LBB7_34
; %bb.32:
	v_mov_b32_e32 v1, 0
	s_mov_b32 s1, 0
	v_lshlrev_b64 v[2:3], 2, v[0:1]
	s_lshl_b32 s0, s8, 2
	s_mov_b64 s[6:7], 0
	s_movk_i32 s9, 0x5f
.LBB7_33:                               ; =>This Inner Loop Header: Depth=1
	v_lshl_add_u64 v[4:5], s[4:5], 0, v[2:3]
	global_load_dword v1, v[4:5], off
	v_add_u32_e32 v0, s8, v0
	v_cmp_lt_u32_e32 vcc, s9, v0
	v_lshl_add_u64 v[4:5], s[2:3], 0, v[2:3]
	v_lshl_add_u64 v[2:3], v[2:3], 0, s[0:1]
	s_or_b64 s[6:7], vcc, s[6:7]
	s_waitcnt vmcnt(0)
	global_store_dword v[4:5], v1, off
	s_andn2_b64 exec, exec, s[6:7]
	s_cbranch_execnz .LBB7_33
.LBB7_34:
	s_endpgm
	.section	.rodata,"a",@progbits
	.p2align	6, 0x0
	.amdhsa_kernel _ZN4vllm32paged_attention_v2_reduce_kernelIfLi96ELi128ELi512EEEvPT_PKfS4_PKS1_PKii
		.amdhsa_group_segment_fixed_size 16
		.amdhsa_private_segment_fixed_size 0
		.amdhsa_kernarg_size 304
		.amdhsa_user_sgpr_count 2
		.amdhsa_user_sgpr_dispatch_ptr 0
		.amdhsa_user_sgpr_queue_ptr 0
		.amdhsa_user_sgpr_kernarg_segment_ptr 1
		.amdhsa_user_sgpr_dispatch_id 0
		.amdhsa_user_sgpr_kernarg_preload_length 0
		.amdhsa_user_sgpr_kernarg_preload_offset 0
		.amdhsa_user_sgpr_private_segment_size 0
		.amdhsa_uses_dynamic_stack 0
		.amdhsa_enable_private_segment 0
		.amdhsa_system_sgpr_workgroup_id_x 1
		.amdhsa_system_sgpr_workgroup_id_y 1
		.amdhsa_system_sgpr_workgroup_id_z 0
		.amdhsa_system_sgpr_workgroup_info 0
		.amdhsa_system_vgpr_workitem_id 0
		.amdhsa_next_free_vgpr 23
		.amdhsa_next_free_sgpr 32
		.amdhsa_accum_offset 24
		.amdhsa_reserve_vcc 1
		.amdhsa_float_round_mode_32 0
		.amdhsa_float_round_mode_16_64 0
		.amdhsa_float_denorm_mode_32 3
		.amdhsa_float_denorm_mode_16_64 3
		.amdhsa_dx10_clamp 1
		.amdhsa_ieee_mode 1
		.amdhsa_fp16_overflow 0
		.amdhsa_tg_split 0
		.amdhsa_exception_fp_ieee_invalid_op 0
		.amdhsa_exception_fp_denorm_src 0
		.amdhsa_exception_fp_ieee_div_zero 0
		.amdhsa_exception_fp_ieee_overflow 0
		.amdhsa_exception_fp_ieee_underflow 0
		.amdhsa_exception_fp_ieee_inexact 0
		.amdhsa_exception_int_div_zero 0
	.end_amdhsa_kernel
	.section	.text._ZN4vllm32paged_attention_v2_reduce_kernelIfLi96ELi128ELi512EEEvPT_PKfS4_PKS1_PKii,"axG",@progbits,_ZN4vllm32paged_attention_v2_reduce_kernelIfLi96ELi128ELi512EEEvPT_PKfS4_PKS1_PKii,comdat
.Lfunc_end7:
	.size	_ZN4vllm32paged_attention_v2_reduce_kernelIfLi96ELi128ELi512EEEvPT_PKfS4_PKS1_PKii, .Lfunc_end7-_ZN4vllm32paged_attention_v2_reduce_kernelIfLi96ELi128ELi512EEEvPT_PKfS4_PKS1_PKii
                                        ; -- End function
	.section	.AMDGPU.csdata,"",@progbits
; Kernel info:
; codeLenInByte = 2124
; NumSgprs: 38
; NumVgprs: 23
; NumAgprs: 0
; TotalNumVgprs: 23
; ScratchSize: 0
; MemoryBound: 0
; FloatMode: 240
; IeeeMode: 1
; LDSByteSize: 16 bytes/workgroup (compile time only)
; SGPRBlocks: 4
; VGPRBlocks: 2
; NumSGPRsForWavesPerEU: 38
; NumVGPRsForWavesPerEU: 23
; AccumOffset: 24
; Occupancy: 8
; WaveLimiterHint : 0
; COMPUTE_PGM_RSRC2:SCRATCH_EN: 0
; COMPUTE_PGM_RSRC2:USER_SGPR: 2
; COMPUTE_PGM_RSRC2:TRAP_HANDLER: 0
; COMPUTE_PGM_RSRC2:TGID_X_EN: 1
; COMPUTE_PGM_RSRC2:TGID_Y_EN: 1
; COMPUTE_PGM_RSRC2:TGID_Z_EN: 0
; COMPUTE_PGM_RSRC2:TIDIG_COMP_CNT: 0
; COMPUTE_PGM_RSRC3_GFX90A:ACCUM_OFFSET: 5
; COMPUTE_PGM_RSRC3_GFX90A:TG_SPLIT: 0
	.section	.text._ZN4vllm25paged_attention_v2_kernelIffLi112ELi8ELi128ELNS_18Fp8KVCacheDataTypeE0ELb1ELi512EEEvPfS2_PT_PKS3_PKT0_S9_ifPKiSB_iPKfiiiSD_SD_iiiii,"axG",@progbits,_ZN4vllm25paged_attention_v2_kernelIffLi112ELi8ELi128ELNS_18Fp8KVCacheDataTypeE0ELb1ELi512EEEvPfS2_PT_PKS3_PKT0_S9_ifPKiSB_iPKfiiiSD_SD_iiiii,comdat
	.protected	_ZN4vllm25paged_attention_v2_kernelIffLi112ELi8ELi128ELNS_18Fp8KVCacheDataTypeE0ELb1ELi512EEEvPfS2_PT_PKS3_PKT0_S9_ifPKiSB_iPKfiiiSD_SD_iiiii ; -- Begin function _ZN4vllm25paged_attention_v2_kernelIffLi112ELi8ELi128ELNS_18Fp8KVCacheDataTypeE0ELb1ELi512EEEvPfS2_PT_PKS3_PKT0_S9_ifPKiSB_iPKfiiiSD_SD_iiiii
	.globl	_ZN4vllm25paged_attention_v2_kernelIffLi112ELi8ELi128ELNS_18Fp8KVCacheDataTypeE0ELb1ELi512EEEvPfS2_PT_PKS3_PKT0_S9_ifPKiSB_iPKfiiiSD_SD_iiiii
	.p2align	8
	.type	_ZN4vllm25paged_attention_v2_kernelIffLi112ELi8ELi128ELNS_18Fp8KVCacheDataTypeE0ELb1ELi512EEEvPfS2_PT_PKS3_PKT0_S9_ifPKiSB_iPKfiiiSD_SD_iiiii,@function
_ZN4vllm25paged_attention_v2_kernelIffLi112ELi8ELi128ELNS_18Fp8KVCacheDataTypeE0ELb1ELi512EEEvPfS2_PT_PKS3_PKT0_S9_ifPKiSB_iPKfiiiSD_SD_iiiii: ; @_ZN4vllm25paged_attention_v2_kernelIffLi112ELi8ELi128ELNS_18Fp8KVCacheDataTypeE0ELb1ELi512EEEvPfS2_PT_PKS3_PKT0_S9_ifPKiSB_iPKfiiiSD_SD_iiiii
; %bb.0:
	s_load_dwordx2 s[6:7], s[0:1], 0x40
	s_mov_b32 s28, s3
	s_ashr_i32 s29, s3, 31
	s_lshl_b64 s[8:9], s[28:29], 2
	s_waitcnt lgkmcnt(0)
	s_add_u32 s6, s6, s8
	s_addc_u32 s7, s7, s9
	s_load_dword s29, s[6:7], 0x0
	s_lshl_b32 s49, s4, 9
	s_waitcnt lgkmcnt(0)
	s_cmp_ge_i32 s49, s29
	s_cbranch_scc1 .LBB8_81
; %bb.1:
	s_load_dword s5, s[0:1], 0x90
	s_load_dwordx2 s[38:39], s[0:1], 0x30
	s_mov_b32 s50, 0
	s_waitcnt lgkmcnt(0)
	s_abs_i32 s7, s5
	s_abs_i32 s3, s38
	v_cvt_f32_u32_e32 v1, s3
	s_sub_i32 s8, 0, s3
	s_xor_b32 s6, s5, s38
	s_ashr_i32 s6, s6, 31
	v_rcp_iflag_f32_e32 v1, v1
	s_nop 0
	v_mul_f32_e32 v1, 0x4f7ffffe, v1
	v_cvt_u32_f32_e32 v1, v1
	s_nop 0
	v_readfirstlane_b32 s9, v1
	s_mul_i32 s8, s8, s9
	s_mul_hi_u32 s8, s9, s8
	s_add_i32 s9, s9, s8
	s_mul_hi_u32 s8, s7, s9
	s_mul_i32 s9, s8, s3
	s_sub_i32 s7, s7, s9
	s_add_i32 s10, s8, 1
	s_sub_i32 s9, s7, s3
	s_cmp_ge_u32 s7, s3
	s_cselect_b32 s8, s10, s8
	s_cselect_b32 s7, s9, s7
	s_add_i32 s9, s8, 1
	s_cmp_ge_u32 s7, s3
	s_cselect_b32 s3, s9, s8
	s_xor_b32 s3, s3, s6
	s_sub_i32 s11, s3, s6
	s_abs_i32 s8, s11
	v_cvt_f32_u32_e32 v1, s8
	s_load_dwordx2 s[6:7], s[0:1], 0x50
	s_sub_i32 s3, 0, s8
	s_abs_i32 s9, s2
	v_rcp_iflag_f32_e32 v1, v1
	s_nop 0
	v_mul_f32_e32 v1, 0x4f7ffffe, v1
	v_cvt_u32_f32_e32 v1, v1
	s_nop 0
	v_readfirstlane_b32 s10, v1
	s_mul_i32 s3, s3, s10
	s_mul_hi_u32 s3, s10, s3
	s_add_i32 s10, s10, s3
	s_waitcnt lgkmcnt(0)
	s_cmp_eq_u64 s[6:7], 0
	s_mul_hi_u32 s10, s9, s10
	s_cbranch_scc1 .LBB8_3
; %bb.2:
	s_ashr_i32 s3, s2, 31
	s_lshl_b64 s[12:13], s[2:3], 2
	s_add_u32 s6, s6, s12
	s_addc_u32 s7, s7, s13
	s_load_dword s50, s[6:7], 0x0
.LBB8_3:
	s_load_dwordx4 s[12:15], s[0:1], 0x58
	s_movk_i32 s6, 0x70
	s_ashr_i32 s3, s2, 31
	s_ashr_i32 s11, s11, 31
	v_and_b32_e32 v2, 7, v0
	s_mul_i32 s24, s2, 0x70
	v_cmp_gt_u32_e32 vcc, s6, v0
	v_lshlrev_b32_e32 v6, 2, v0
	v_lshrrev_b32_e32 v1, 1, v0
	s_and_saveexec_b64 s[6:7], vcc
	s_cbranch_execz .LBB8_5
; %bb.4:
	s_load_dwordx2 s[16:17], s[0:1], 0x18
	s_waitcnt lgkmcnt(0)
	s_mul_i32 s18, s28, s12
	s_ashr_i32 s19, s18, 31
	s_lshl_b64 s[18:19], s[18:19], 2
	v_and_b32_e32 v4, 0x1fc, v1
	s_add_u32 s12, s16, s18
	s_addc_u32 s15, s17, s19
	s_ashr_i32 s25, s24, 31
	s_lshl_b64 s[16:17], s[24:25], 2
	s_add_u32 s16, s12, s16
	s_addc_u32 s17, s15, s17
	global_load_dword v3, v6, s[16:17]
	v_mad_u32_u24 v4, v2, 56, v4
	s_waitcnt vmcnt(0)
	ds_write_b32 v4, v3
.LBB8_5:
	s_or_b64 exec, exec, s[6:7]
	s_mul_i32 s6, s10, s8
	s_sub_i32 s6, s9, s6
	s_xor_b32 s3, s3, s11
	s_add_i32 s7, s10, 1
	s_sub_i32 s9, s6, s8
	s_load_dwordx4 s[16:19], s[0:1], 0x78
	s_cmp_ge_u32 s6, s8
	s_cselect_b32 s7, s7, s10
	s_load_dword s10, s[0:1], 0x88
	s_cselect_b32 s6, s9, s6
	s_add_i32 s9, s7, 1
	s_cmp_ge_u32 s6, s8
	s_cselect_b32 s6, s9, s7
	s_waitcnt lgkmcnt(0)
	s_abs_i32 s25, s19
	v_cvt_f32_u32_e32 v3, s25
	s_xor_b32 s6, s6, s3
	s_sub_i32 s8, s6, s3
	s_sub_i32 s6, 0, s25
	v_rcp_iflag_f32_e32 v3, v3
	s_add_i32 s11, s29, -1
	s_abs_i32 s3, s11
	v_mul_f32_e32 v3, 0x4f7ffffe, v3
	v_cvt_u32_f32_e32 v3, v3
	s_barrier
	v_readfirstlane_b32 s33, v3
	s_mul_i32 s6, s6, s33
	s_mul_hi_u32 s6, s33, s6
	s_add_i32 s33, s33, s6
	s_cmp_lt_i32 s10, 0
	s_mul_hi_u32 s9, s3, s33
	s_cbranch_scc0 .LBB8_7
; %bb.6:
	s_mul_i32 s6, s16, s38
	s_add_i32 s6, s8, s6
	s_mul_i32 s6, s6, s10
	s_sub_i32 s46, 1, s6
	s_mov_b64 s[6:7], 0
	s_branch .LBB8_8
.LBB8_7:
	s_mov_b64 s[6:7], -1
                                        ; implicit-def: $sgpr46
.LBB8_8:
	s_load_dwordx2 s[30:31], s[0:1], 0x38
	s_ashr_i32 s11, s11, 31
	s_andn2_b64 vcc, exec, s[6:7]
	s_ashr_i32 s47, s19, 31
	s_cbranch_vccnz .LBB8_10
; %bb.9:
	s_mul_i32 s6, s5, s16
	s_add_i32 s6, s6, s2
	s_mul_i32 s6, s6, s10
	s_add_i32 s46, s6, 1
.LBB8_10:
	s_load_dword s6, s[0:1], 0x48
	s_load_dwordx2 s[36:37], s[0:1], 0x28
	s_load_dword s19, s[0:1], 0x98
	s_load_dwordx4 s[20:23], s[0:1], 0x0
	s_load_dwordx2 s[26:27], s[0:1], 0x10
	s_mul_i32 s7, s9, s25
	s_waitcnt lgkmcnt(0)
	s_mul_i32 s34, s28, s6
	s_sub_i32 s3, s3, s7
	s_ashr_i32 s35, s34, 31
	s_xor_b32 s6, s11, s47
	s_add_i32 s7, s9, 1
	s_sub_i32 s10, s3, s25
	s_cmp_ge_u32 s3, s25
	s_cselect_b32 s7, s7, s9
	s_cselect_b32 s3, s10, s3
	s_add_i32 s9, s7, 1
	s_cmp_ge_u32 s3, s25
	s_cselect_b32 s3, s9, s7
	s_xor_b32 s3, s3, s6
	s_sub_i32 s12, s3, s6
	s_add_i32 s3, s29, 7
	s_ashr_i32 s6, s3, 31
	s_lshr_b32 s6, s6, 29
	s_add_i32 s3, s3, s6
	s_lshl_b32 s16, s4, 6
	s_ashr_i32 s3, s3, 3
	s_add_i32 s6, s16, 64
	v_lshrrev_b32_e32 v7, 6, v0
	s_min_i32 s48, s6, s3
	v_or_b32_e32 v22, s16, v7
	v_cmp_gt_i32_e64 s[6:7], s48, v22
	v_mov_b32_e32 v12, 0xff7fffff
	s_mul_i32 s14, s8, s14
	v_ashrrev_i32_e32 v23, 31, v22
	v_lshl_add_u32 v32, v7, 3, s49
	v_mbcnt_lo_u32_b32 v8, -1, 0
	s_and_saveexec_b64 s[40:41], s[6:7]
	s_cbranch_execz .LBB8_20
; %bb.11:
	s_load_dwordx2 s[0:1], s[0:1], 0x20
	s_ashr_i32 s15, s14, 31
	s_sub_i32 s38, s12, s17
	s_lshl_b64 s[8:9], s[14:15], 2
	v_bfe_u32 v9, v0, 3, 3
	s_waitcnt lgkmcnt(0)
	s_add_u32 s0, s0, s8
	s_addc_u32 s1, s1, s9
	s_abs_i32 s15, s18
	v_cvt_f32_u32_e32 v3, s15
	v_lshlrev_b32_e32 v4, 4, v9
	v_mov_b32_e32 v5, 0
	v_lshl_add_u64 v[10:11], s[0:1], 0, v[4:5]
	v_rcp_iflag_f32_e32 v3, v3
	v_and_b32_e32 v4, 3, v0
	v_lshlrev_b32_e32 v4, 2, v4
	s_sub_i32 s8, 0, s15
	v_mul_f32_e32 v3, 0x4f7ffffe, v3
	v_cvt_u32_f32_e32 v3, v3
	v_cmp_eq_u32_e32 vcc, 0, v2
	v_lshl_add_u64 v[12:13], v[10:11], 0, v[4:5]
	v_mul_u32_u24_e32 v10, 56, v2
	v_mul_lo_u32 v2, s8, v3
	v_mul_hi_u32 v2, v3, v2
	v_add_u32_e32 v11, v3, v2
	v_lshlrev_b32_e32 v2, 5, v0
	v_lshlrev_b32_e32 v14, 2, v9
	v_and_b32_e32 v4, 0x80, v2
	v_lshl_add_u64 v[2:3], v[12:13], 0, v[4:5]
	s_lshl_b64 s[8:9], s[34:35], 2
	v_lshl_or_b32 v12, v7, 5, v14
	s_add_u32 s8, s30, s8
	v_add_u32_e32 v14, 0x1d0, v12
	v_subrev_u32_e32 v12, s29, v9
	v_mbcnt_hi_u32_b32 v17, -1, v8
	s_addc_u32 s9, s31, s9
	v_add_u32_e32 v15, 1, v12
	v_and_b32_e32 v12, 64, v17
	s_mov_b32 s51, s13
	v_cmp_neq_f32_e64 s[0:1], s50, 0
	v_lshl_add_u64 v[4:5], v[22:23], 2, s[8:9]
	v_lshl_add_u32 v13, v7, 3, s49
	s_mov_b64 s[42:43], 0
	v_mov_b32_e32 v16, 0xff7fffff
	v_add_u32_e32 v18, 64, v12
	v_xor_b32_e32 v19, 4, v17
	v_xor_b32_e32 v20, 2, v17
	v_xor_b32_e32 v21, 1, v17
	v_mov_b32_e32 v12, 0xff7fffff
	v_mov_b32_e32 v24, v22
	s_branch .LBB8_14
.LBB8_12:                               ;   in Loop: Header=BB8_14 Depth=1
	s_or_b64 exec, exec, s[44:45]
.LBB8_13:                               ;   in Loop: Header=BB8_14 Depth=1
	s_or_b64 exec, exec, s[10:11]
	v_add_u32_e32 v24, 2, v24
	v_cmp_le_i32_e64 s[8:9], s48, v24
	v_lshl_add_u64 v[4:5], v[4:5], 0, 8
	v_add_u32_e32 v13, 16, v13
	s_or_b64 s[42:43], s[8:9], s[42:43]
	v_add_u32_e32 v14, 64, v14
	s_andn2_b64 exec, exec, s[42:43]
	s_cbranch_execz .LBB8_19
.LBB8_14:                               ; =>This Inner Loop Header: Depth=1
	s_waitcnt lgkmcnt(0)
	v_sub_u32_e32 v26, 0, v13
	v_max_i32_e32 v26, v13, v26
	v_mul_hi_u32 v27, v26, s33
	v_mul_lo_u32 v28, v27, s25
	v_sub_u32_e32 v26, v26, v28
	v_add_u32_e32 v28, 1, v27
	v_cmp_le_u32_e64 s[8:9], s25, v26
	v_ashrrev_i32_e32 v25, 31, v13
	v_xor_b32_e32 v25, s47, v25
	v_cndmask_b32_e64 v27, v27, v28, s[8:9]
	v_subrev_u32_e32 v28, s25, v26
	v_cndmask_b32_e64 v26, v26, v28, s[8:9]
	v_add_u32_e32 v28, 1, v27
	v_cmp_le_u32_e64 s[8:9], s25, v26
	s_nop 1
	v_cndmask_b32_e64 v26, v27, v28, s[8:9]
	v_xor_b32_e32 v26, v26, v25
	v_sub_u32_e32 v25, v26, v25
	v_add_u32_e32 v26, s46, v25
	v_sub_u32_e32 v28, 0, v26
	v_ashrrev_i32_e32 v27, 31, v26
	v_max_i32_e32 v26, v26, v28
	v_mul_hi_u32 v28, v26, v11
	v_mul_lo_u32 v28, v28, s15
	v_sub_u32_e32 v26, v26, v28
	v_subrev_u32_e32 v28, s15, v26
	v_cmp_le_u32_e64 s[8:9], s15, v26
	v_cmp_ge_i32_e64 s[10:11], s38, v25
	s_nop 0
	v_cndmask_b32_e64 v26, v26, v28, s[8:9]
	v_subrev_u32_e32 v28, s15, v26
	v_cmp_le_u32_e64 s[8:9], s15, v26
	s_nop 1
	v_cndmask_b32_e64 v26, v26, v28, s[8:9]
	v_xor_b32_e32 v26, v26, v27
	v_sub_u32_e32 v26, v26, v27
	v_cmp_ne_u32_e64 s[8:9], 0, v26
	s_and_b64 s[8:9], s[8:9], s[10:11]
	s_and_b64 s[44:45], vcc, s[8:9]
	s_and_saveexec_b64 s[10:11], s[44:45]
	s_cbranch_execz .LBB8_16
; %bb.15:                               ;   in Loop: Header=BB8_14 Depth=1
	ds_write_b32 v14, v16
.LBB8_16:                               ;   in Loop: Header=BB8_14 Depth=1
	s_or_b64 exec, exec, s[10:11]
	s_xor_b64 s[8:9], s[8:9], -1
	s_and_saveexec_b64 s[10:11], s[8:9]
	s_cbranch_execz .LBB8_13
; %bb.17:                               ;   in Loop: Header=BB8_14 Depth=1
	global_load_dword v25, v[4:5], off
	s_waitcnt vmcnt(0)
	v_mad_i64_i32 v[26:27], s[8:9], v25, s51, 0
	v_lshl_add_u64 v[26:27], v[26:27], 2, v[2:3]
	global_load_dword v25, v[26:27], off offset:256
	global_load_dword v33, v[26:27], off
	global_load_dword v42, v[26:27], off offset:512
	global_load_dword v43, v[26:27], off offset:768
	;; [unrolled: 1-line block ×12, first 2 shown]
	ds_read2_b64 v[26:29], v10 offset1:1
	ds_read2_b64 v[34:37], v10 offset0:2 offset1:3
	ds_read2_b64 v[38:41], v10 offset0:4 offset1:5
	ds_read_b64 v[30:31], v10 offset:48
	v_cmp_lt_i32_e64 s[8:9], v19, v18
	s_waitcnt vmcnt(13) lgkmcnt(3)
	v_mul_f32_e32 v25, v27, v25
	s_waitcnt vmcnt(12)
	v_fmac_f32_e32 v25, v26, v33
	s_waitcnt vmcnt(11)
	v_fmac_f32_e32 v25, v28, v42
	s_waitcnt vmcnt(10)
	v_fmac_f32_e32 v25, v29, v43
	s_waitcnt vmcnt(9) lgkmcnt(2)
	v_fmac_f32_e32 v25, v34, v44
	s_waitcnt vmcnt(8)
	v_fmac_f32_e32 v25, v35, v45
	s_waitcnt vmcnt(7)
	;; [unrolled: 2-line block ×3, first 2 shown]
	v_fmac_f32_e32 v25, v37, v47
	s_waitcnt vmcnt(5) lgkmcnt(1)
	v_fmac_f32_e32 v25, v38, v48
	s_waitcnt vmcnt(4)
	v_fmac_f32_e32 v25, v39, v49
	s_waitcnt vmcnt(3)
	;; [unrolled: 2-line block ×3, first 2 shown]
	v_fmac_f32_e32 v25, v41, v51
	v_cndmask_b32_e64 v54, v17, v19, s[8:9]
	s_waitcnt vmcnt(1) lgkmcnt(0)
	v_fmac_f32_e32 v25, v30, v52
	v_lshlrev_b32_e32 v54, 2, v54
	s_waitcnt vmcnt(0)
	v_fmac_f32_e32 v25, v31, v53
	ds_bpermute_b32 v26, v54, v25
	v_cmp_lt_i32_e64 s[8:9], v20, v18
	s_waitcnt lgkmcnt(0)
	v_add_f32_e32 v25, v25, v26
	v_cndmask_b32_e64 v27, v17, v20, s[8:9]
	v_lshlrev_b32_e32 v27, 2, v27
	ds_bpermute_b32 v26, v27, v25
	v_cmp_lt_i32_e64 s[8:9], v21, v18
	s_waitcnt lgkmcnt(0)
	v_add_f32_e32 v25, v25, v26
	v_cndmask_b32_e64 v27, v17, v21, s[8:9]
	v_lshlrev_b32_e32 v27, 2, v27
	ds_bpermute_b32 v26, v27, v25
	s_and_saveexec_b64 s[44:45], vcc
	s_cbranch_execz .LBB8_12
; %bb.18:                               ;   in Loop: Header=BB8_14 Depth=1
	v_add_u32_e32 v27, v15, v13
	v_cvt_f32_i32_e32 v27, v27
	s_waitcnt lgkmcnt(0)
	v_add_f32_e32 v25, v25, v26
	v_add_u32_e32 v28, v9, v13
	v_cmp_gt_i32_e64 s[8:9], s29, v28
	v_mul_f32_e32 v26, s50, v27
	v_cndmask_b32_e64 v26, 0, v26, s[0:1]
	v_fmac_f32_e32 v26, s39, v25
	v_cndmask_b32_e64 v25, 0, v26, s[8:9]
	ds_write_b32 v14, v25
	v_max_f32_e32 v25, v12, v12
	v_max_f32_e32 v25, v25, v26
	v_cndmask_b32_e64 v12, v12, v25, s[8:9]
	s_branch .LBB8_12
.LBB8_19:
	s_or_b64 exec, exec, s[42:43]
.LBB8_20:
	s_or_b64 exec, exec, s[40:41]
	v_mbcnt_hi_u32_b32 v2, -1, v8
	v_and_b32_e32 v3, 64, v2
	v_add_u32_e32 v3, 64, v3
	v_xor_b32_e32 v4, 32, v2
	v_cmp_lt_i32_e32 vcc, v4, v3
	v_xor_b32_e32 v8, 16, v2
	v_max_f32_e32 v5, v12, v12
	v_cndmask_b32_e32 v4, v2, v4, vcc
	v_lshlrev_b32_e32 v9, 2, v4
	ds_bpermute_b32 v4, v9, v12
	v_cmp_lt_i32_e32 vcc, v8, v3
	s_waitcnt lgkmcnt(0)
	v_max_f32_e32 v4, v4, v4
	v_max_f32_e32 v4, v5, v4
	v_cndmask_b32_e32 v5, v2, v8, vcc
	v_lshlrev_b32_e32 v11, 2, v5
	ds_bpermute_b32 v5, v11, v4
	v_xor_b32_e32 v8, 8, v2
	v_cmp_lt_i32_e32 vcc, v8, v3
	s_waitcnt lgkmcnt(0)
	v_max_f32_e32 v5, v5, v5
	v_max_f32_e32 v5, v4, v5
	v_cndmask_b32_e32 v4, v2, v8, vcc
	v_lshlrev_b32_e32 v12, 2, v4
	ds_bpermute_b32 v10, v12, v5
	v_and_b32_e32 v4, 63, v0
	v_cmp_eq_u32_e32 vcc, 0, v4
	v_lshlrev_b32_e32 v8, 2, v7
	s_and_saveexec_b64 s[0:1], vcc
	s_cbranch_execz .LBB8_22
; %bb.21:
	s_waitcnt lgkmcnt(0)
	v_max_f32_e32 v10, v10, v10
	v_max_f32_e32 v5, v5, v5
	;; [unrolled: 1-line block ×3, first 2 shown]
	ds_write_b32 v8, v5 offset:448
.LBB8_22:
	s_or_b64 exec, exec, s[0:1]
	v_cmp_gt_u32_e64 s[0:1], 2, v4
	v_mov_b32_e32 v5, 0xff7fffff
	s_waitcnt lgkmcnt(0)
	v_lshlrev_b32_e32 v10, 2, v4
	s_barrier
	s_and_saveexec_b64 s[8:9], s[0:1]
	s_cbranch_execz .LBB8_24
; %bb.23:
	ds_read_b32 v5, v10 offset:448
.LBB8_24:
	s_or_b64 exec, exec, s[8:9]
	v_xor_b32_e32 v13, 1, v2
	v_cmp_lt_i32_e64 s[8:9], v13, v3
	v_mov_b32_e32 v14, 0
	s_nop 0
	v_cndmask_b32_e64 v13, v2, v13, s[8:9]
	v_lshlrev_b32_e32 v33, 2, v13
	s_waitcnt lgkmcnt(0)
	ds_bpermute_b32 v13, v33, v5
	v_max_f32_e32 v5, v5, v5
	s_sub_i32 s8, s48, s16
	s_lshl_b32 s8, s8, 3
	s_add_i32 s8, s8, s49
	s_waitcnt lgkmcnt(0)
	v_max_f32_e32 v13, v13, v13
	v_max_f32_e32 v5, v5, v13
	v_lshlrev_b32_e32 v13, 2, v2
	v_and_b32_e32 v13, 0x100, v13
	ds_bpermute_b32 v5, v13, v5
	s_min_i32 s16, s8, s29
	s_sub_i32 s15, s16, s49
	v_cmp_gt_i32_e64 s[8:9], s15, v0
	s_and_saveexec_b64 s[38:39], s[8:9]
	s_cbranch_execz .LBB8_28
; %bb.25:
	v_mov_b32_e32 v14, 0x1d0
	v_lshl_add_u32 v15, v0, 2, v14
	s_mov_b64 s[40:41], 0
	v_mov_b32_e32 v14, 0
	v_mov_b32_e32 v16, v0
.LBB8_26:                               ; =>This Inner Loop Header: Depth=1
	ds_read_b32 v17, v15
	v_add_u32_e32 v16, 0x80, v16
	v_cmp_le_i32_e64 s[10:11], s15, v16
	s_or_b64 s[40:41], s[10:11], s[40:41]
	s_waitcnt lgkmcnt(0)
	v_sub_f32_e32 v17, v17, v5
	v_mul_f32_e32 v17, 0x3fb8aa3b, v17
	v_exp_f32_e32 v17, v17
	ds_write_b32 v15, v17
	v_add_f32_e32 v14, v14, v17
	v_add_u32_e32 v15, 0x200, v15
	s_andn2_b64 exec, exec, s[40:41]
	s_cbranch_execnz .LBB8_26
; %bb.27:
	s_or_b64 exec, exec, s[40:41]
.LBB8_28:
	s_or_b64 exec, exec, s[38:39]
	ds_bpermute_b32 v9, v9, v14
	s_waitcnt lgkmcnt(0)
	v_add_f32_e32 v9, v14, v9
	ds_bpermute_b32 v11, v11, v9
	s_waitcnt lgkmcnt(0)
	v_add_f32_e32 v9, v9, v11
	ds_bpermute_b32 v11, v12, v9
	v_xor_b32_e32 v12, 4, v2
	v_cmp_lt_i32_e64 s[10:11], v12, v3
	s_waitcnt lgkmcnt(0)
	v_add_f32_e32 v9, v9, v11
	v_cndmask_b32_e64 v12, v2, v12, s[10:11]
	v_lshlrev_b32_e32 v12, 2, v12
	ds_bpermute_b32 v11, v12, v9
	v_xor_b32_e32 v12, 2, v2
	v_cmp_lt_i32_e64 s[10:11], v12, v3
	s_waitcnt lgkmcnt(0)
	v_add_f32_e32 v3, v9, v11
	v_cndmask_b32_e64 v2, v2, v12, s[10:11]
	v_lshlrev_b32_e32 v2, 2, v2
	ds_bpermute_b32 v2, v2, v3
	s_waitcnt lgkmcnt(0)
	v_add_f32_e32 v2, v3, v2
	ds_bpermute_b32 v3, v33, v2
	s_waitcnt lgkmcnt(0)
	v_add_f32_e32 v2, v2, v3
	s_and_saveexec_b64 s[10:11], vcc
	s_cbranch_execz .LBB8_30
; %bb.29:
	ds_write_b32 v8, v2 offset:456
.LBB8_30:
	s_or_b64 exec, exec, s[10:11]
	s_waitcnt lgkmcnt(0)
	s_barrier
	s_and_saveexec_b64 s[10:11], s[0:1]
	s_cbranch_execz .LBB8_32
; %bb.31:
	ds_read_b32 v2, v10 offset:456
.LBB8_32:
	s_or_b64 exec, exec, s[10:11]
	s_waitcnt lgkmcnt(0)
	ds_bpermute_b32 v3, v33, v2
	s_waitcnt lgkmcnt(0)
	v_add_f32_e32 v2, v2, v3
	ds_bpermute_b32 v8, v13, v2
	s_and_saveexec_b64 s[0:1], s[8:9]
	s_cbranch_execz .LBB8_45
; %bb.33:
	s_waitcnt lgkmcnt(0)
	v_add_f32_e32 v2, 0x358637bd, v8
	v_div_scale_f32 v3, s[8:9], v2, v2, 1.0
	v_rcp_f32_e32 v9, v3
	v_div_scale_f32 v10, vcc, 1.0, v2, 1.0
	s_movk_i32 s8, 0x7f
	v_fma_f32 v11, -v3, v9, 1.0
	v_fmac_f32_e32 v9, v11, v9
	v_mul_f32_e32 v11, v10, v9
	v_fma_f32 v12, -v3, v11, v10
	v_fmac_f32_e32 v11, v12, v9
	v_fma_f32 v3, -v3, v11, v10
	v_div_fmas_f32 v3, v3, v9, v11
	v_div_fixup_f32 v2, v3, v2, 1.0
	v_xad_u32 v3, v0, -1, s16
	v_subrev_u32_e32 v9, s49, v3
	v_cmp_lt_u32_e32 vcc, s8, v9
	s_mov_b64 s[10:11], -1
	v_mov_b32_e32 v3, v0
	s_and_saveexec_b64 s[8:9], vcc
	s_cbranch_execz .LBB8_42
; %bb.34:
	v_lshrrev_b32_e32 v9, 7, v9
	v_add_u32_e32 v11, -1, v9
	v_lshrrev_b32_e32 v10, 1, v11
	v_mov_b32_e32 v3, v2
	v_add_u32_e32 v10, 1, v10
	v_cmp_lt_u32_e32 vcc, 13, v11
	v_mov_b32_e32 v13, 0
	s_and_saveexec_b64 s[10:11], vcc
	s_cbranch_execz .LBB8_38
; %bb.35:
	v_mov_b32_e32 v12, 0x1d0
	v_and_b32_e32 v11, -8, v10
	v_lshl_add_u32 v12, v0, 2, v12
	s_mov_b32 s16, 0
	s_mov_b64 s[38:39], 0
.LBB8_36:                               ; =>This Inner Loop Header: Depth=1
	ds_read2st64_b32 v[14:15], v12 offset1:2
	ds_read2st64_b32 v[16:17], v12 offset0:4 offset1:6
	ds_read2st64_b32 v[18:19], v12 offset0:8 offset1:10
	;; [unrolled: 1-line block ×3, first 2 shown]
	v_add_u32_e32 v11, -8, v11
	s_waitcnt lgkmcnt(3)
	v_pk_mul_f32 v[14:15], v[2:3], v[14:15]
	s_waitcnt lgkmcnt(2)
	v_pk_mul_f32 v[16:17], v[2:3], v[16:17]
	ds_write2st64_b32 v12, v14, v15 offset1:2
	ds_write2st64_b32 v12, v16, v17 offset0:4 offset1:6
	ds_read2st64_b32 v[16:17], v12 offset0:16 offset1:18
	s_waitcnt lgkmcnt(4)
	v_pk_mul_f32 v[14:15], v[2:3], v[18:19]
	ds_write2st64_b32 v12, v14, v15 offset0:8 offset1:10
	s_waitcnt lgkmcnt(4)
	v_pk_mul_f32 v[14:15], v[2:3], v[20:21]
	ds_write2st64_b32 v12, v14, v15 offset0:12 offset1:14
	ds_read2st64_b32 v[14:15], v12 offset0:20 offset1:22
	s_waitcnt lgkmcnt(3)
	v_pk_mul_f32 v[16:17], v[2:3], v[16:17]
	ds_read2st64_b32 v[18:19], v12 offset0:24 offset1:26
	ds_write2st64_b32 v12, v16, v17 offset0:16 offset1:18
	ds_read2st64_b32 v[16:17], v12 offset0:28 offset1:30
	s_waitcnt lgkmcnt(3)
	v_pk_mul_f32 v[14:15], v[2:3], v[14:15]
	ds_write2st64_b32 v12, v14, v15 offset0:20 offset1:22
	s_waitcnt lgkmcnt(3)
	v_pk_mul_f32 v[14:15], v[2:3], v[18:19]
	ds_write2st64_b32 v12, v14, v15 offset0:24 offset1:26
	s_waitcnt lgkmcnt(2)
	v_pk_mul_f32 v[14:15], v[2:3], v[16:17]
	s_add_i32 s16, s16, 16
	v_cmp_eq_u32_e32 vcc, 0, v11
	ds_write2st64_b32 v12, v14, v15 offset0:28 offset1:30
	v_add_u32_e32 v12, 0x2000, v12
	s_or_b64 s[38:39], vcc, s[38:39]
	v_mov_b32_e32 v13, s16
	s_andn2_b64 exec, exec, s[38:39]
	s_cbranch_execnz .LBB8_36
; %bb.37:
	s_or_b64 exec, exec, s[38:39]
.LBB8_38:
	s_or_b64 exec, exec, s[10:11]
	v_and_b32_e32 v10, 7, v10
	v_cmp_ne_u32_e32 vcc, 0, v10
	s_and_saveexec_b64 s[10:11], vcc
	s_cbranch_execz .LBB8_41
; %bb.39:
	v_lshlrev_b32_e32 v11, 9, v13
	s_movk_i32 s16, 0x1d0
	v_add3_u32 v11, v11, v6, s16
	s_mov_b64 s[38:39], 0
.LBB8_40:                               ; =>This Inner Loop Header: Depth=1
	ds_read2st64_b32 v[12:13], v11 offset1:2
	v_add_u32_e32 v10, -1, v10
	v_cmp_eq_u32_e32 vcc, 0, v10
	s_or_b64 s[38:39], vcc, s[38:39]
	s_waitcnt lgkmcnt(0)
	v_pk_mul_f32 v[12:13], v[2:3], v[12:13]
	ds_write2st64_b32 v11, v12, v13 offset1:2
	v_add_u32_e32 v11, 0x400, v11
	s_andn2_b64 exec, exec, s[38:39]
	s_cbranch_execnz .LBB8_40
.LBB8_41:
	s_or_b64 exec, exec, s[10:11]
	v_add_u32_e32 v9, 1, v9
	v_and_b32_e32 v10, 0x3fffffe, v9
	v_cmp_ne_u32_e32 vcc, v9, v10
	v_lshl_add_u32 v3, v10, 7, v0
	s_orn2_b64 s[10:11], vcc, exec
.LBB8_42:
	s_or_b64 exec, exec, s[8:9]
	s_and_b64 exec, exec, s[10:11]
	s_cbranch_execz .LBB8_45
; %bb.43:
	v_mov_b32_e32 v9, 0x1d0
	v_lshl_add_u32 v9, v3, 2, v9
	s_mov_b64 s[8:9], 0
.LBB8_44:                               ; =>This Inner Loop Header: Depth=1
	ds_read_b32 v10, v9
	v_add_u32_e32 v3, 0x80, v3
	v_cmp_le_i32_e32 vcc, s15, v3
	s_or_b64 s[8:9], vcc, s[8:9]
	s_waitcnt lgkmcnt(0)
	v_mul_f32_e32 v10, v2, v10
	ds_write_b32 v9, v10
	v_add_u32_e32 v9, 0x200, v9
	s_andn2_b64 exec, exec, s[8:9]
	s_cbranch_execnz .LBB8_44
.LBB8_45:
	s_or_b64 exec, exec, s[0:1]
	s_mul_i32 s0, s19, s28
	v_cmp_eq_u32_e32 vcc, 0, v0
	s_mul_i32 s8, s0, s5
	s_waitcnt lgkmcnt(0)
	s_barrier
	s_and_saveexec_b64 s[0:1], vcc
	s_cbranch_execz .LBB8_47
; %bb.46:
	s_ashr_i32 s9, s8, 31
	s_lshl_b64 s[10:11], s[8:9], 2
	s_add_u32 s5, s22, s10
	s_mul_i32 s22, s19, s2
	s_addc_u32 s9, s23, s11
	s_ashr_i32 s23, s22, 31
	s_lshl_b64 s[22:23], s[22:23], 2
	s_add_u32 s2, s5, s22
	s_addc_u32 s9, s9, s23
	s_ashr_i32 s5, s4, 31
	s_lshl_b64 s[38:39], s[4:5], 2
	s_add_u32 s40, s2, s38
	s_addc_u32 s41, s9, s39
	s_add_u32 s2, s20, s10
	s_addc_u32 s5, s21, s11
	;; [unrolled: 2-line block ×3, first 2 shown]
	s_add_u32 s10, s2, s38
	v_mov_b32_e32 v2, 0
	s_addc_u32 s11, s5, s39
	global_store_dword v2, v5, s[40:41]
	global_store_dword v2, v8, s[10:11]
.LBB8_47:
	s_or_b64 exec, exec, s[0:1]
	s_mov_b32 s0, 0
	v_mov_b32_e32 v5, 0
	v_lshrrev_b32_e32 v35, 1, v4
	v_and_b32_e32 v34, 1, v0
	v_mov_b32_e32 v4, 0
	v_mov_b32_e32 v3, 0
	;; [unrolled: 1-line block ×3, first 2 shown]
	s_and_saveexec_b64 s[10:11], s[6:7]
	s_cbranch_execz .LBB8_63
; %bb.48:
	s_ashr_i32 s15, s14, 31
	s_sub_i32 s5, s12, s17
	s_lshl_b64 s[6:7], s[14:15], 2
	s_add_u32 s6, s36, s6
	s_addc_u32 s7, s37, s7
	s_abs_i32 s9, s18
	v_cvt_f32_u32_e32 v2, s9
	v_or_b32_e32 v3, 0x60, v35
	s_movk_i32 s1, 0x70
	v_and_b32_e32 v36, 4, v6
	v_rcp_iflag_f32_e32 v2, v2
	v_cmp_gt_u32_e32 vcc, s1, v3
	s_sub_i32 s1, 0, s9
	s_add_i32 s20, s3, -1
	v_mul_f32_e32 v2, 0x4f7ffffe, v2
	v_cvt_u32_f32_e32 v2, v2
	v_lshl_or_b32 v8, v3, 3, v36
	s_lshl_b64 s[2:3], s[34:35], 2
	s_add_u32 s2, s30, s2
	v_mul_lo_u32 v3, s1, v2
	v_mul_hi_u32 v3, v2, v3
	v_add_u32_e32 v37, v2, v3
	s_addc_u32 s3, s31, s3
	v_lshlrev_b32_e32 v2, 4, v34
	v_lshl_add_u64 v[26:27], v[22:23], 2, s[2:3]
	v_lshl_or_b32 v2, v7, 5, v2
	s_mov_b32 s2, s0
	s_mov_b32 s3, s0
	v_lshl_or_b32 v6, v35, 3, v36
	v_add_u32_e32 v23, 0x1d0, v2
	s_mov_b32 s1, s0
	v_mov_b64_e32 v[4:5], s[2:3]
	s_mov_b32 s18, s13
	v_mov_b32_e32 v25, 0
	s_mov_b64 s[12:13], 0
	v_mov_b64_e32 v[2:3], s[0:1]
	v_lshlrev_b32_e32 v24, 2, v6
	v_lshlrev_b32_e32 v28, 2, v8
	s_branch .LBB8_52
.LBB8_49:                               ;   in Loop: Header=BB8_52 Depth=1
	s_or_b64 exec, exec, s[16:17]
	s_waitcnt vmcnt(0)
	v_mul_f32_e32 v7, v7, v11
	v_fmac_f32_e32 v7, v6, v10
	v_fmac_f32_e32 v7, v8, v12
	;; [unrolled: 1-line block ×3, first 2 shown]
	v_add_f32_e32 v5, v5, v7
.LBB8_50:                               ;   in Loop: Header=BB8_52 Depth=1
	s_or_b64 exec, exec, s[2:3]
.LBB8_51:                               ;   in Loop: Header=BB8_52 Depth=1
	s_or_b64 exec, exec, s[14:15]
	v_add_u32_e32 v22, 2, v22
	v_cmp_le_i32_e64 s[0:1], s48, v22
	v_lshl_add_u64 v[26:27], v[26:27], 0, 8
	v_add_u32_e32 v32, 16, v32
	s_or_b64 s[12:13], s[0:1], s[12:13]
	v_add_u32_e32 v23, 64, v23
	s_andn2_b64 exec, exec, s[12:13]
	s_cbranch_execz .LBB8_62
.LBB8_52:                               ; =>This Inner Loop Header: Depth=1
	v_sub_u32_e32 v7, 0, v32
	v_max_i32_e32 v7, v32, v7
	v_mul_hi_u32 v8, v7, s33
	v_mul_lo_u32 v9, v8, s25
	v_sub_u32_e32 v7, v7, v9
	v_add_u32_e32 v9, 1, v8
	v_cmp_le_u32_e64 s[0:1], s25, v7
	v_ashrrev_i32_e32 v6, 31, v32
	v_xor_b32_e32 v6, s47, v6
	v_cndmask_b32_e64 v8, v8, v9, s[0:1]
	v_subrev_u32_e32 v9, s25, v7
	v_cndmask_b32_e64 v7, v7, v9, s[0:1]
	v_add_u32_e32 v9, 1, v8
	v_cmp_le_u32_e64 s[0:1], s25, v7
	s_nop 1
	v_cndmask_b32_e64 v7, v8, v9, s[0:1]
	v_xor_b32_e32 v7, v7, v6
	v_sub_u32_e32 v6, v7, v6
	v_add_u32_e32 v7, s46, v6
	v_sub_u32_e32 v9, 0, v7
	v_ashrrev_i32_e32 v8, 31, v7
	v_max_i32_e32 v7, v7, v9
	v_mul_hi_u32 v9, v7, v37
	v_mul_lo_u32 v9, v9, s9
	v_sub_u32_e32 v7, v7, v9
	v_subrev_u32_e32 v9, s9, v7
	v_cmp_le_u32_e64 s[0:1], s9, v7
	v_cmp_lt_i32_e64 s[2:3], s5, v6
	s_nop 0
	v_cndmask_b32_e64 v7, v7, v9, s[0:1]
	v_subrev_u32_e32 v9, s9, v7
	v_cmp_le_u32_e64 s[0:1], s9, v7
	s_nop 1
	v_cndmask_b32_e64 v7, v7, v9, s[0:1]
	v_xor_b32_e32 v7, v7, v8
	v_sub_u32_e32 v7, v7, v8
	v_cmp_eq_u32_e64 s[0:1], 0, v7
	s_or_b64 s[0:1], s[0:1], s[2:3]
	s_and_saveexec_b64 s[14:15], s[0:1]
	s_cbranch_execz .LBB8_51
; %bb.53:                               ;   in Loop: Header=BB8_52 Depth=1
	global_load_dword v6, v[26:27], off
	v_add_u32_e32 v38, v36, v32
	s_waitcnt vmcnt(0)
	v_mad_i64_i32 v[6:7], s[0:1], v6, s18, 0
	v_lshl_add_u64 v[30:31], v[6:7], 2, s[6:7]
	v_lshl_add_u64 v[18:19], v[30:31], 0, v[24:25]
	global_load_dwordx4 v[10:13], v[18:19], off
	ds_read_b128 v[6:9], v23
	v_cmp_eq_u32_e64 s[0:1], s20, v22
	s_and_saveexec_b64 s[16:17], s[0:1]
	s_cbranch_execnz .LBB8_60
; %bb.54:                               ;   in Loop: Header=BB8_52 Depth=1
	s_or_b64 exec, exec, s[16:17]
	global_load_dwordx4 v[14:17], v[18:19], off offset:1024
	s_and_saveexec_b64 s[16:17], s[0:1]
	s_cbranch_execnz .LBB8_61
.LBB8_55:                               ;   in Loop: Header=BB8_52 Depth=1
	s_or_b64 exec, exec, s[16:17]
	global_load_dwordx4 v[18:21], v[18:19], off offset:2048
	s_and_saveexec_b64 s[16:17], s[0:1]
	s_cbranch_execz .LBB8_57
.LBB8_56:                               ;   in Loop: Header=BB8_52 Depth=1
	v_cmp_gt_i32_e64 s[2:3], s29, v38
	v_add_u32_e32 v29, 1, v38
	s_waitcnt vmcnt(0)
	v_cndmask_b32_e64 v18, 0, v18, s[2:3]
	v_cmp_gt_i32_e64 s[2:3], s29, v29
	v_add_u32_e32 v29, 2, v38
	s_nop 0
	v_cndmask_b32_e64 v19, 0, v19, s[2:3]
	v_cmp_gt_i32_e64 s[2:3], s29, v29
	v_add_u32_e32 v29, 3, v38
	s_nop 0
	v_cndmask_b32_e64 v20, 0, v20, s[2:3]
	v_cmp_gt_i32_e64 s[2:3], s29, v29
	s_nop 1
	v_cndmask_b32_e64 v21, 0, v21, s[2:3]
.LBB8_57:                               ;   in Loop: Header=BB8_52 Depth=1
	s_or_b64 exec, exec, s[16:17]
	s_waitcnt vmcnt(2) lgkmcnt(0)
	v_mul_f32_e32 v11, v7, v11
	v_fmac_f32_e32 v11, v6, v10
	s_waitcnt vmcnt(1)
	v_mul_f32_e32 v10, v7, v15
	v_fmac_f32_e32 v10, v6, v14
	v_fmac_f32_e32 v10, v8, v16
	;; [unrolled: 1-line block ×3, first 2 shown]
	v_add_f32_e32 v3, v3, v10
	s_waitcnt vmcnt(0)
	v_mul_f32_e32 v10, v7, v19
	v_fmac_f32_e32 v10, v6, v18
	v_fmac_f32_e32 v11, v8, v12
	;; [unrolled: 1-line block ×5, first 2 shown]
	v_add_f32_e32 v2, v2, v11
	v_add_f32_e32 v4, v4, v10
	s_and_saveexec_b64 s[2:3], vcc
	s_cbranch_execz .LBB8_50
; %bb.58:                               ;   in Loop: Header=BB8_52 Depth=1
	v_mov_b32_e32 v29, v25
	v_lshl_add_u64 v[10:11], v[30:31], 0, v[28:29]
	global_load_dwordx4 v[10:13], v[10:11], off
	s_and_saveexec_b64 s[16:17], s[0:1]
	s_cbranch_execz .LBB8_49
; %bb.59:                               ;   in Loop: Header=BB8_52 Depth=1
	v_cmp_gt_i32_e64 s[0:1], s29, v38
	v_add_u32_e32 v14, 1, v38
	s_waitcnt vmcnt(0)
	v_cndmask_b32_e64 v10, 0, v10, s[0:1]
	v_cmp_gt_i32_e64 s[0:1], s29, v14
	v_add_u32_e32 v14, 2, v38
	s_nop 0
	v_cndmask_b32_e64 v11, 0, v11, s[0:1]
	v_cmp_gt_i32_e64 s[0:1], s29, v14
	v_add_u32_e32 v14, 3, v38
	s_nop 0
	v_cndmask_b32_e64 v12, 0, v12, s[0:1]
	v_cmp_gt_i32_e64 s[0:1], s29, v14
	s_nop 1
	v_cndmask_b32_e64 v13, 0, v13, s[0:1]
	s_branch .LBB8_49
.LBB8_60:                               ;   in Loop: Header=BB8_52 Depth=1
	v_cmp_gt_i32_e64 s[2:3], s29, v38
	v_add_u32_e32 v14, 1, v38
	s_waitcnt vmcnt(0)
	v_cndmask_b32_e64 v10, 0, v10, s[2:3]
	v_cmp_gt_i32_e64 s[2:3], s29, v14
	v_add_u32_e32 v14, 2, v38
	s_nop 0
	v_cndmask_b32_e64 v11, 0, v11, s[2:3]
	v_cmp_gt_i32_e64 s[2:3], s29, v14
	v_add_u32_e32 v14, 3, v38
	s_nop 0
	v_cndmask_b32_e64 v12, 0, v12, s[2:3]
	v_cmp_gt_i32_e64 s[2:3], s29, v14
	s_nop 1
	v_cndmask_b32_e64 v13, 0, v13, s[2:3]
	s_or_b64 exec, exec, s[16:17]
	global_load_dwordx4 v[14:17], v[18:19], off offset:1024
	s_and_saveexec_b64 s[16:17], s[0:1]
	s_cbranch_execz .LBB8_55
.LBB8_61:                               ;   in Loop: Header=BB8_52 Depth=1
	v_cmp_gt_i32_e64 s[2:3], s29, v38
	v_add_u32_e32 v20, 1, v38
	s_waitcnt vmcnt(0)
	v_cndmask_b32_e64 v14, 0, v14, s[2:3]
	v_cmp_gt_i32_e64 s[2:3], s29, v20
	v_add_u32_e32 v20, 2, v38
	s_nop 0
	v_cndmask_b32_e64 v15, 0, v15, s[2:3]
	v_cmp_gt_i32_e64 s[2:3], s29, v20
	v_add_u32_e32 v20, 3, v38
	s_nop 0
	v_cndmask_b32_e64 v16, 0, v16, s[2:3]
	v_cmp_gt_i32_e64 s[2:3], s29, v20
	s_nop 1
	v_cndmask_b32_e64 v17, 0, v17, s[2:3]
	s_or_b64 exec, exec, s[16:17]
	global_load_dwordx4 v[18:21], v[18:19], off offset:2048
	s_and_saveexec_b64 s[16:17], s[0:1]
	s_cbranch_execnz .LBB8_56
	s_branch .LBB8_57
.LBB8_62:
	s_or_b64 exec, exec, s[12:13]
.LBB8_63:
	s_or_b64 exec, exec, s[10:11]
	ds_bpermute_b32 v6, v33, v2
	ds_bpermute_b32 v7, v33, v3
	;; [unrolled: 1-line block ×4, first 2 shown]
	s_waitcnt lgkmcnt(0)
	s_barrier
	v_pk_add_f32 v[6:7], v[2:3], v[6:7]
	v_pk_add_f32 v[2:3], v[4:5], v[8:9]
	v_and_b32_e32 v4, 0x3c0, v0
	v_cmp_eq_u32_e32 vcc, 64, v4
	s_and_saveexec_b64 s[2:3], vcc
	s_cbranch_execz .LBB8_68
; %bb.64:
	v_cmp_eq_u32_e32 vcc, 0, v34
	s_and_saveexec_b64 s[0:1], vcc
	s_cbranch_execz .LBB8_66
; %bb.65:
	v_mov_b32_e32 v4, 0x1d0
	v_lshl_add_u32 v4, v35, 2, v4
	ds_write2_b32 v4, v6, v7 offset1:32
	ds_write_b32 v4, v2 offset:256
.LBB8_66:
	s_or_b64 exec, exec, s[0:1]
	v_or_b32_e32 v4, 0x60, v35
	s_movk_i32 s0, 0x70
	v_cmp_gt_u32_e64 s[0:1], s0, v4
	s_and_b64 s[0:1], vcc, s[0:1]
	s_and_b64 exec, exec, s[0:1]
	s_cbranch_execz .LBB8_68
; %bb.67:
	v_mov_b32_e32 v4, 0x1d0
	v_lshl_add_u32 v4, v35, 2, v4
	ds_write_b32 v4, v3 offset:384
.LBB8_68:
	s_or_b64 exec, exec, s[2:3]
	v_cmp_gt_u32_e32 vcc, 64, v0
	s_waitcnt lgkmcnt(0)
	s_barrier
	s_and_saveexec_b64 s[6:7], vcc
	s_cbranch_execz .LBB8_76
; %bb.69:
	v_cmp_eq_u32_e64 s[0:1], 0, v34
	s_and_saveexec_b64 s[2:3], s[0:1]
	s_cbranch_execnz .LBB8_82
; %bb.70:
	s_or_b64 exec, exec, s[2:3]
	s_and_saveexec_b64 s[2:3], s[0:1]
	s_cbranch_execnz .LBB8_83
.LBB8_71:
	s_or_b64 exec, exec, s[2:3]
	s_and_saveexec_b64 s[2:3], s[0:1]
	s_cbranch_execz .LBB8_73
.LBB8_72:
	v_mov_b32_e32 v0, 0x1d0
	v_lshl_add_u32 v0, v1, 2, v0
	ds_read_b32 v0, v0 offset:256
	s_waitcnt lgkmcnt(0)
	v_add_f32_e32 v2, v2, v0
.LBB8_73:
	s_or_b64 exec, exec, s[2:3]
	v_or_b32_e32 v0, 0x60, v1
	s_movk_i32 s2, 0x70
	v_cmp_gt_u32_e64 s[2:3], s2, v0
	s_and_b64 s[2:3], s[0:1], s[2:3]
	s_and_saveexec_b64 s[0:1], s[2:3]
	s_cbranch_execz .LBB8_75
; %bb.74:
	v_mov_b32_e32 v0, 0x1d0
	v_lshl_add_u32 v0, v1, 2, v0
	ds_read_b32 v0, v0 offset:384
	s_waitcnt lgkmcnt(0)
	v_add_f32_e32 v3, v3, v0
.LBB8_75:
	s_or_b64 exec, exec, s[0:1]
.LBB8_76:
	s_or_b64 exec, exec, s[6:7]
	s_barrier
	s_and_saveexec_b64 s[0:1], vcc
	s_cbranch_execz .LBB8_81
; %bb.77:
	s_mul_i32 s0, s8, 0x70
	s_ashr_i32 s1, s0, 31
	s_lshl_b64 s[0:1], s[0:1], 2
	s_add_u32 s2, s26, s0
	s_mul_i32 s0, s19, s24
	s_addc_u32 s3, s27, s1
	s_ashr_i32 s1, s0, 31
	s_lshl_b64 s[0:1], s[0:1], 2
	s_add_u32 s2, s2, s0
	s_mul_i32 s0, s4, 0x70
	s_addc_u32 s3, s3, s1
	s_ashr_i32 s1, s0, 31
	s_lshl_b64 s[0:1], s[0:1], 2
	s_add_u32 s2, s2, s0
	s_movk_i32 s5, 0x70
	s_addc_u32 s3, s3, s1
	v_cmp_eq_u32_e32 vcc, 0, v34
	v_lshlrev_b32_e32 v0, 2, v1
	s_and_saveexec_b64 s[0:1], vcc
	s_cbranch_execz .LBB8_79
; %bb.78:
	global_store_dword v0, v6, s[2:3]
	global_store_dword v0, v7, s[2:3] offset:128
	global_store_dword v0, v2, s[2:3] offset:256
.LBB8_79:
	s_or_b64 exec, exec, s[0:1]
	v_or_b32_e32 v1, 0x60, v1
	v_cmp_gt_u32_e64 s[0:1], s5, v1
	s_and_b64 s[0:1], vcc, s[0:1]
	s_and_b64 exec, exec, s[0:1]
	s_cbranch_execz .LBB8_81
; %bb.80:
	global_store_dword v0, v3, s[2:3] offset:384
.LBB8_81:
	s_endpgm
.LBB8_82:
	v_mov_b32_e32 v0, 0x1d0
	v_lshl_add_u32 v0, v1, 2, v0
	ds_read_b32 v0, v0
	s_waitcnt lgkmcnt(0)
	v_add_f32_e32 v6, v6, v0
	s_or_b64 exec, exec, s[2:3]
	s_and_saveexec_b64 s[2:3], s[0:1]
	s_cbranch_execz .LBB8_71
.LBB8_83:
	v_mov_b32_e32 v0, 0x1d0
	v_lshl_add_u32 v0, v1, 2, v0
	ds_read_b32 v0, v0 offset:128
	s_waitcnt lgkmcnt(0)
	v_add_f32_e32 v7, v7, v0
	s_or_b64 exec, exec, s[2:3]
	s_and_saveexec_b64 s[2:3], s[0:1]
	s_cbranch_execnz .LBB8_72
	s_branch .LBB8_73
	.section	.rodata,"a",@progbits
	.p2align	6, 0x0
	.amdhsa_kernel _ZN4vllm25paged_attention_v2_kernelIffLi112ELi8ELi128ELNS_18Fp8KVCacheDataTypeE0ELb1ELi512EEEvPfS2_PT_PKS3_PKT0_S9_ifPKiSB_iPKfiiiSD_SD_iiiii
		.amdhsa_group_segment_fixed_size 464
		.amdhsa_private_segment_fixed_size 0
		.amdhsa_kernarg_size 400
		.amdhsa_user_sgpr_count 2
		.amdhsa_user_sgpr_dispatch_ptr 0
		.amdhsa_user_sgpr_queue_ptr 0
		.amdhsa_user_sgpr_kernarg_segment_ptr 1
		.amdhsa_user_sgpr_dispatch_id 0
		.amdhsa_user_sgpr_kernarg_preload_length 0
		.amdhsa_user_sgpr_kernarg_preload_offset 0
		.amdhsa_user_sgpr_private_segment_size 0
		.amdhsa_uses_dynamic_stack 0
		.amdhsa_enable_private_segment 0
		.amdhsa_system_sgpr_workgroup_id_x 1
		.amdhsa_system_sgpr_workgroup_id_y 1
		.amdhsa_system_sgpr_workgroup_id_z 1
		.amdhsa_system_sgpr_workgroup_info 0
		.amdhsa_system_vgpr_workitem_id 0
		.amdhsa_next_free_vgpr 55
		.amdhsa_next_free_sgpr 52
		.amdhsa_accum_offset 56
		.amdhsa_reserve_vcc 1
		.amdhsa_float_round_mode_32 0
		.amdhsa_float_round_mode_16_64 0
		.amdhsa_float_denorm_mode_32 3
		.amdhsa_float_denorm_mode_16_64 3
		.amdhsa_dx10_clamp 1
		.amdhsa_ieee_mode 1
		.amdhsa_fp16_overflow 0
		.amdhsa_tg_split 0
		.amdhsa_exception_fp_ieee_invalid_op 0
		.amdhsa_exception_fp_denorm_src 0
		.amdhsa_exception_fp_ieee_div_zero 0
		.amdhsa_exception_fp_ieee_overflow 0
		.amdhsa_exception_fp_ieee_underflow 0
		.amdhsa_exception_fp_ieee_inexact 0
		.amdhsa_exception_int_div_zero 0
	.end_amdhsa_kernel
	.section	.text._ZN4vllm25paged_attention_v2_kernelIffLi112ELi8ELi128ELNS_18Fp8KVCacheDataTypeE0ELb1ELi512EEEvPfS2_PT_PKS3_PKT0_S9_ifPKiSB_iPKfiiiSD_SD_iiiii,"axG",@progbits,_ZN4vllm25paged_attention_v2_kernelIffLi112ELi8ELi128ELNS_18Fp8KVCacheDataTypeE0ELb1ELi512EEEvPfS2_PT_PKS3_PKT0_S9_ifPKiSB_iPKfiiiSD_SD_iiiii,comdat
.Lfunc_end8:
	.size	_ZN4vllm25paged_attention_v2_kernelIffLi112ELi8ELi128ELNS_18Fp8KVCacheDataTypeE0ELb1ELi512EEEvPfS2_PT_PKS3_PKT0_S9_ifPKiSB_iPKfiiiSD_SD_iiiii, .Lfunc_end8-_ZN4vllm25paged_attention_v2_kernelIffLi112ELi8ELi128ELNS_18Fp8KVCacheDataTypeE0ELb1ELi512EEEvPfS2_PT_PKS3_PKT0_S9_ifPKiSB_iPKfiiiSD_SD_iiiii
                                        ; -- End function
	.section	.AMDGPU.csdata,"",@progbits
; Kernel info:
; codeLenInByte = 5140
; NumSgprs: 58
; NumVgprs: 55
; NumAgprs: 0
; TotalNumVgprs: 55
; ScratchSize: 0
; MemoryBound: 0
; FloatMode: 240
; IeeeMode: 1
; LDSByteSize: 464 bytes/workgroup (compile time only)
; SGPRBlocks: 7
; VGPRBlocks: 6
; NumSGPRsForWavesPerEU: 58
; NumVGPRsForWavesPerEU: 55
; AccumOffset: 56
; Occupancy: 8
; WaveLimiterHint : 1
; COMPUTE_PGM_RSRC2:SCRATCH_EN: 0
; COMPUTE_PGM_RSRC2:USER_SGPR: 2
; COMPUTE_PGM_RSRC2:TRAP_HANDLER: 0
; COMPUTE_PGM_RSRC2:TGID_X_EN: 1
; COMPUTE_PGM_RSRC2:TGID_Y_EN: 1
; COMPUTE_PGM_RSRC2:TGID_Z_EN: 1
; COMPUTE_PGM_RSRC2:TIDIG_COMP_CNT: 0
; COMPUTE_PGM_RSRC3_GFX90A:ACCUM_OFFSET: 13
; COMPUTE_PGM_RSRC3_GFX90A:TG_SPLIT: 0
	.section	.text._ZN4vllm32paged_attention_v2_reduce_kernelIfLi112ELi128ELi512EEEvPT_PKfS4_PKS1_PKii,"axG",@progbits,_ZN4vllm32paged_attention_v2_reduce_kernelIfLi112ELi128ELi512EEEvPT_PKfS4_PKS1_PKii,comdat
	.protected	_ZN4vllm32paged_attention_v2_reduce_kernelIfLi112ELi128ELi512EEEvPT_PKfS4_PKS1_PKii ; -- Begin function _ZN4vllm32paged_attention_v2_reduce_kernelIfLi112ELi128ELi512EEEvPT_PKfS4_PKS1_PKii
	.globl	_ZN4vllm32paged_attention_v2_reduce_kernelIfLi112ELi128ELi512EEEvPT_PKfS4_PKS1_PKii
	.p2align	8
	.type	_ZN4vllm32paged_attention_v2_reduce_kernelIfLi112ELi128ELi512EEEvPT_PKfS4_PKS1_PKii,@function
_ZN4vllm32paged_attention_v2_reduce_kernelIfLi112ELi128ELi512EEEvPT_PKfS4_PKS1_PKii: ; @_ZN4vllm32paged_attention_v2_reduce_kernelIfLi112ELi128ELi512EEEvPT_PKfS4_PKS1_PKii
; %bb.0:
	s_load_dwordx4 s[8:11], s[0:1], 0x18
	s_add_u32 s6, s0, 48
	s_mov_b32 s12, s3
	s_addc_u32 s7, s1, 0
	s_ashr_i32 s13, s3, 31
	s_lshl_b64 s[4:5], s[12:13], 2
	s_waitcnt lgkmcnt(0)
	s_add_u32 s4, s10, s4
	s_addc_u32 s5, s11, s5
	s_load_dword s26, s[4:5], 0x0
	s_load_dwordx2 s[10:11], s[0:1], 0x0
	s_load_dword s13, s[0:1], 0x28
	s_load_dword s3, s[0:1], 0x30
	s_waitcnt lgkmcnt(0)
	s_add_i32 s4, s26, -1
	s_cmpk_gt_u32 s4, 0x1ff
	s_mov_b64 s[4:5], -1
	s_cbranch_scc0 .LBB9_25
; %bb.1:
	s_add_i32 s4, s26, 0x1ff
	s_load_dwordx2 s[18:19], s[0:1], 0x8
	s_ashr_i32 s5, s4, 31
	s_lshr_b32 s5, s5, 23
	s_add_i32 s4, s4, s5
	s_mul_i32 s24, s3, s12
	s_ashr_i32 s25, s4, 9
	s_mul_i32 s14, s24, s13
	s_mul_i32 s16, s2, s13
	s_ashr_i32 s15, s14, 31
	s_ashr_i32 s17, s16, 31
	v_cmp_gt_i32_e32 vcc, s25, v0
	v_mov_b32_e32 v4, 0xff7fffff
	s_and_saveexec_b64 s[4:5], vcc
	s_cbranch_execz .LBB9_5
; %bb.2:
	s_load_dword s20, s[6:7], 0xc
	s_load_dwordx2 s[22:23], s[0:1], 0x10
	s_lshl_b64 s[0:1], s[14:15], 2
	s_lshl_b64 s[28:29], s[16:17], 2
	v_lshlrev_b32_e32 v4, 2, v0
	s_waitcnt lgkmcnt(0)
	s_and_b32 s27, s20, 0xffff
	s_add_u32 s0, s0, s28
	s_addc_u32 s1, s1, s29
	s_add_u32 s0, s22, s0
	v_mov_b32_e32 v5, 0
	s_addc_u32 s1, s23, s1
	s_mov_b32 s21, 0
	v_lshl_add_u64 v[2:3], s[0:1], 0, v[4:5]
	s_lshl_b32 s20, s27, 2
	v_add_u32_e32 v1, 16, v4
	s_mov_b64 s[22:23], 0
	v_mov_b32_e32 v4, 0xff7fffff
	v_mov_b32_e32 v5, v0
.LBB9_3:                                ; =>This Inner Loop Header: Depth=1
	global_load_dword v6, v[2:3], off
	v_add_u32_e32 v5, s27, v5
	v_max_f32_e32 v4, v4, v4
	v_cmp_le_i32_e64 s[0:1], s25, v5
	v_lshl_add_u64 v[2:3], v[2:3], 0, s[20:21]
	s_or_b64 s[22:23], s[0:1], s[22:23]
	s_waitcnt vmcnt(0)
	ds_write_b32 v1, v6
	v_max_f32_e32 v6, v6, v6
	v_add_u32_e32 v1, s20, v1
	v_max_f32_e32 v4, v4, v6
	s_andn2_b64 exec, exec, s[22:23]
	s_cbranch_execnz .LBB9_3
; %bb.4:
	s_or_b64 exec, exec, s[22:23]
.LBB9_5:
	s_or_b64 exec, exec, s[4:5]
	v_mbcnt_lo_u32_b32 v1, -1, 0
	v_mbcnt_hi_u32_b32 v2, -1, v1
	v_and_b32_e32 v1, 64, v2
	v_add_u32_e32 v5, 64, v1
	v_xor_b32_e32 v1, 32, v2
	v_cmp_lt_i32_e64 s[0:1], v1, v5
	v_xor_b32_e32 v6, 16, v2
	v_xor_b32_e32 v7, 8, v2
	v_cndmask_b32_e64 v1, v2, v1, s[0:1]
	v_lshlrev_b32_e32 v1, 2, v1
	ds_bpermute_b32 v3, v1, v4
	v_max_f32_e32 v4, v4, v4
	v_cmp_lt_i32_e64 s[0:1], v6, v5
	v_lshrrev_b32_e32 v11, 6, v0
	v_lshlrev_b32_e32 v11, 2, v11
	s_waitcnt lgkmcnt(0)
	v_max_f32_e32 v3, v3, v3
	v_max_f32_e32 v3, v4, v3
	v_cndmask_b32_e64 v4, v2, v6, s[0:1]
	v_lshlrev_b32_e32 v6, 2, v4
	ds_bpermute_b32 v4, v6, v3
	v_cmp_lt_i32_e64 s[0:1], v7, v5
	s_waitcnt lgkmcnt(0)
	s_barrier
	v_max_f32_e32 v4, v4, v4
	v_max_f32_e32 v3, v3, v4
	v_cndmask_b32_e64 v4, v2, v7, s[0:1]
	v_lshlrev_b32_e32 v8, 2, v4
	ds_bpermute_b32 v4, v8, v3
	v_xor_b32_e32 v7, 4, v2
	v_cmp_lt_i32_e64 s[0:1], v7, v5
	s_waitcnt lgkmcnt(0)
	v_max_f32_e32 v4, v4, v4
	v_max_f32_e32 v3, v3, v4
	v_cndmask_b32_e64 v4, v2, v7, s[0:1]
	v_lshlrev_b32_e32 v9, 2, v4
	ds_bpermute_b32 v4, v9, v3
	v_xor_b32_e32 v7, 2, v2
	v_cmp_lt_i32_e64 s[0:1], v7, v5
	s_waitcnt lgkmcnt(0)
	v_max_f32_e32 v4, v4, v4
	v_max_f32_e32 v4, v3, v4
	v_cndmask_b32_e64 v3, v2, v7, s[0:1]
	v_lshlrev_b32_e32 v10, 2, v3
	ds_bpermute_b32 v7, v10, v4
	v_and_b32_e32 v3, 63, v0
	s_waitcnt lgkmcnt(0)
	v_max_f32_e32 v7, v7, v7
	v_max_f32_e32 v4, v4, v7
	v_xor_b32_e32 v7, 1, v2
	v_cmp_lt_i32_e64 s[0:1], v7, v5
	s_nop 1
	v_cndmask_b32_e64 v5, v2, v7, s[0:1]
	v_lshlrev_b32_e32 v7, 2, v5
	ds_bpermute_b32 v5, v7, v4
	v_cmp_eq_u32_e64 s[0:1], 0, v3
	s_and_saveexec_b64 s[4:5], s[0:1]
	s_cbranch_execz .LBB9_7
; %bb.6:
	s_waitcnt lgkmcnt(0)
	v_max_f32_e32 v5, v5, v5
	v_max_f32_e32 v4, v4, v4
	;; [unrolled: 1-line block ×3, first 2 shown]
	ds_write_b32 v11, v4
.LBB9_7:
	s_or_b64 exec, exec, s[4:5]
	v_cmp_gt_u32_e64 s[4:5], 2, v3
	v_mov_b32_e32 v4, 0xff7fffff
	v_lshlrev_b32_e32 v12, 2, v3
	s_waitcnt lgkmcnt(0)
	s_barrier
	s_and_saveexec_b64 s[20:21], s[4:5]
	s_cbranch_execz .LBB9_9
; %bb.8:
	ds_read_b32 v4, v12
.LBB9_9:
	s_or_b64 exec, exec, s[20:21]
	s_waitcnt lgkmcnt(0)
	ds_bpermute_b32 v3, v7, v4
	v_max_f32_e32 v4, v4, v4
	v_lshlrev_b32_e32 v2, 2, v2
	v_and_b32_e32 v13, 0x100, v2
	s_lshl_b32 s27, s25, 2
	s_waitcnt lgkmcnt(0)
	v_max_f32_e32 v3, v3, v3
	v_max_f32_e32 v3, v4, v3
	ds_bpermute_b32 v14, v13, v3
	v_mov_b32_e32 v3, 0
	s_and_saveexec_b64 s[20:21], vcc
	s_cbranch_execz .LBB9_13
; %bb.10:
	s_load_dword s22, s[6:7], 0xc
	s_lshl_b64 s[28:29], s[14:15], 2
	s_lshl_b64 s[30:31], s[16:17], 2
	v_lshlrev_b32_e32 v2, 2, v0
	v_mov_b32_e32 v3, 0
	s_waitcnt lgkmcnt(0)
	s_and_b32 s15, s22, 0xffff
	s_add_u32 s17, s28, s30
	s_addc_u32 s22, s29, s31
	s_add_u32 s18, s18, s17
	s_addc_u32 s19, s19, s22
	s_mov_b32 s23, 0
	v_lshl_add_u64 v[4:5], s[18:19], 0, v[2:3]
	s_lshl_b32 s22, s15, 2
	v_add_u32_e32 v2, 16, v2
	s_mov_b64 s[18:19], 0
	s_mov_b32 s17, 0x3fb8aa3b
	s_mov_b32 s28, 0xc2ce8ed0
	;; [unrolled: 1-line block ×3, first 2 shown]
	v_mov_b32_e32 v15, 0x7f800000
	v_mov_b32_e32 v16, v0
.LBB9_11:                               ; =>This Inner Loop Header: Depth=1
	global_load_dword v17, v[4:5], off
	ds_read_b32 v18, v2
	v_add_u32_e32 v16, s15, v16
	v_cmp_le_i32_e32 vcc, s25, v16
	s_or_b64 s[18:19], vcc, s[18:19]
	v_add_u32_e32 v19, s27, v2
	s_waitcnt lgkmcnt(0)
	v_sub_f32_e32 v18, v18, v14
	v_mul_f32_e32 v20, 0x3fb8aa3b, v18
	v_fma_f32 v21, v18, s17, -v20
	v_rndne_f32_e32 v22, v20
	v_fmac_f32_e32 v21, 0x32a5705f, v18
	v_sub_f32_e32 v20, v20, v22
	v_add_f32_e32 v20, v20, v21
	v_cvt_i32_f32_e32 v22, v22
	v_exp_f32_e32 v20, v20
	v_cmp_ngt_f32_e32 vcc, s28, v18
	v_lshl_add_u64 v[4:5], v[4:5], 0, s[22:23]
	v_add_u32_e32 v2, s22, v2
	v_ldexp_f32 v20, v20, v22
	v_cndmask_b32_e32 v20, 0, v20, vcc
	v_cmp_nlt_f32_e32 vcc, s29, v18
	s_nop 1
	v_cndmask_b32_e32 v18, v15, v20, vcc
	s_waitcnt vmcnt(0)
	v_mul_f32_e32 v20, v17, v18
	v_fmac_f32_e32 v3, v17, v18
	ds_write_b32 v19, v20
	s_andn2_b64 exec, exec, s[18:19]
	s_cbranch_execnz .LBB9_11
; %bb.12:
	s_or_b64 exec, exec, s[18:19]
.LBB9_13:
	s_or_b64 exec, exec, s[20:21]
	ds_bpermute_b32 v1, v1, v3
	s_waitcnt lgkmcnt(0)
	s_barrier
	v_add_f32_e32 v1, v3, v1
	ds_bpermute_b32 v2, v6, v1
	s_waitcnt lgkmcnt(0)
	v_add_f32_e32 v1, v1, v2
	ds_bpermute_b32 v2, v8, v1
	s_waitcnt lgkmcnt(0)
	;; [unrolled: 3-line block ×5, first 2 shown]
	v_add_f32_e32 v1, v1, v2
	s_and_saveexec_b64 s[18:19], s[0:1]
	s_cbranch_execz .LBB9_15
; %bb.14:
	ds_write_b32 v11, v1 offset:8
.LBB9_15:
	s_or_b64 exec, exec, s[18:19]
	s_waitcnt lgkmcnt(0)
	s_barrier
	s_and_saveexec_b64 s[0:1], s[4:5]
	s_cbranch_execz .LBB9_17
; %bb.16:
	ds_read_b32 v1, v12 offset:8
.LBB9_17:
	s_or_b64 exec, exec, s[0:1]
	s_waitcnt lgkmcnt(0)
	ds_bpermute_b32 v2, v7, v1
	s_movk_i32 s0, 0x70
	v_cmp_gt_u32_e32 vcc, s0, v0
	s_waitcnt lgkmcnt(0)
	v_add_f32_e32 v1, v1, v2
	ds_bpermute_b32 v2, v13, v1
	s_and_saveexec_b64 s[0:1], vcc
	s_cbranch_execz .LBB9_24
; %bb.18:
	s_cmp_gt_i32 s26, 0
	s_mov_b32 s15, 0
	s_cbranch_scc1 .LBB9_20
; %bb.19:
	v_mov_b32_e32 v1, 0
	v_mov_b32_e32 v4, s15
	s_cbranch_execz .LBB9_21
	s_branch .LBB9_23
.LBB9_20:
                                        ; implicit-def: $sgpr15
	v_mov_b32_e32 v4, s15
.LBB9_21:
	s_waitcnt lgkmcnt(0)
	v_add_f32_e32 v1, 0x358637bd, v2
	v_div_scale_f32 v2, s[4:5], v1, v1, 1.0
	v_rcp_f32_e32 v3, v2
	s_mul_i32 s4, s14, 0x70
	s_mulk_i32 s16, 0x70
	s_ashr_i32 s5, s4, 31
	v_fma_f32 v4, -v2, v3, 1.0
	v_fmac_f32_e32 v3, v4, v3
	v_div_scale_f32 v4, vcc, 1.0, v1, 1.0
	v_mul_f32_e32 v5, v4, v3
	v_fma_f32 v6, -v2, v5, v4
	s_ashr_i32 s17, s16, 31
	s_max_i32 s15, s25, 1
	v_fmac_f32_e32 v5, v6, v3
	s_add_i32 s14, s27, 16
	s_lshl_b64 s[4:5], s[4:5], 2
	s_lshl_b64 s[16:17], s[16:17], 2
	v_fma_f32 v2, -v2, v5, v4
	s_add_u32 s4, s4, s16
	v_div_fmas_f32 v2, v2, v3, v5
	s_addc_u32 s5, s5, s17
	v_div_fixup_f32 v5, v2, v1, 1.0
	v_mov_b32_e32 v1, 0
	s_add_u32 s4, s8, s4
	v_lshlrev_b32_e32 v2, 2, v0
	v_mov_b32_e32 v3, v1
	s_addc_u32 s5, s9, s5
	v_lshl_add_u64 v[2:3], s[4:5], 0, v[2:3]
	s_mov_b64 s[4:5], 0x1c0
	v_mov_b32_e32 v4, v1
.LBB9_22:                               ; =>This Inner Loop Header: Depth=1
	global_load_dword v6, v[2:3], off
	v_mov_b32_e32 v7, s14
	ds_read_b32 v7, v7
	s_add_i32 s15, s15, -1
	s_add_i32 s14, s14, 4
	v_lshl_add_u64 v[2:3], v[2:3], 0, s[4:5]
	s_cmp_eq_u32 s15, 0
	s_waitcnt vmcnt(0) lgkmcnt(0)
	v_mul_f32_e32 v6, v6, v7
	v_fmac_f32_e32 v4, v5, v6
	s_cbranch_scc0 .LBB9_22
.LBB9_23:
	s_mul_i32 s4, s24, 0x70
	s_ashr_i32 s5, s4, 31
	s_lshl_b64 s[4:5], s[4:5], 2
	s_add_u32 s14, s10, s4
	s_mul_i32 s4, s2, 0x70
	s_addc_u32 s15, s11, s5
	s_ashr_i32 s5, s4, 31
	s_lshl_b64 s[4:5], s[4:5], 2
	s_add_u32 s4, s14, s4
	s_addc_u32 s5, s15, s5
	s_waitcnt lgkmcnt(0)
	v_lshl_add_u64 v[2:3], v[0:1], 2, s[4:5]
	global_store_dword v[2:3], v4, off
.LBB9_24:
	s_or_b64 exec, exec, s[0:1]
	s_mov_b64 s[4:5], 0
.LBB9_25:
	s_and_b64 vcc, exec, s[4:5]
	s_cbranch_vccz .LBB9_34
; %bb.26:
	s_movk_i32 s0, 0x70
	v_cmp_gt_u32_e32 vcc, s0, v0
	s_and_saveexec_b64 s[4:5], vcc
	s_cbranch_execz .LBB9_34
; %bb.27:
	s_mul_i32 s1, s3, s12
	s_mul_i32 s4, s1, 0x70
	s_ashr_i32 s5, s4, 31
	s_lshl_b64 s[14:15], s[4:5], 2
	s_add_u32 s1, s10, s14
	s_mul_i32 s10, s2, 0x70
	s_addc_u32 s5, s11, s15
	s_ashr_i32 s11, s10, 31
	s_lshl_b64 s[2:3], s[10:11], 2
	s_add_u32 s2, s1, s2
	s_mul_i32 s4, s4, s13
	s_addc_u32 s3, s5, s3
	s_ashr_i32 s5, s4, 31
	s_lshl_b64 s[4:5], s[4:5], 2
	s_load_dword s6, s[6:7], 0xc
	s_add_u32 s1, s8, s4
	s_mul_i32 s4, s10, s13
	s_addc_u32 s8, s9, s5
	s_ashr_i32 s5, s4, 31
	s_lshl_b64 s[4:5], s[4:5], 2
	s_add_u32 s4, s1, s4
	s_addc_u32 s5, s8, s5
	s_waitcnt lgkmcnt(0)
	s_and_b32 s8, s6, 0xffff
	v_cvt_f32_u32_e32 v1, s8
	v_add_u32_e32 v2, s8, v0
	v_mov_b32_e32 v4, s8
	v_cmp_gt_u32_e32 vcc, s0, v2
	v_rcp_iflag_f32_e32 v1, v1
	s_cmp_eq_u32 s8, 1
	v_max_u32_e32 v3, 0x70, v2
	v_addc_co_u32_e64 v2, s[0:1], v0, v4, vcc
	v_mul_f32_e32 v1, 0x4f7ffffe, v1
	v_cvt_u32_f32_e32 v1, v1
	s_cselect_b64 s[6:7], -1, 0
	s_sub_i32 s0, 0, s8
	v_sub_u32_e32 v2, v3, v2
	v_mul_lo_u32 v3, s0, v1
	v_mul_hi_u32 v3, v1, v3
	v_add_u32_e32 v1, v1, v3
	v_mul_hi_u32 v1, v2, v1
	v_mul_lo_u32 v3, v1, s8
	v_sub_u32_e32 v2, v2, v3
	v_add_u32_e32 v3, 1, v1
	v_cmp_le_u32_e64 s[0:1], s8, v2
	s_nop 1
	v_cndmask_b32_e64 v1, v1, v3, s[0:1]
	v_subrev_u32_e32 v3, s8, v2
	v_cndmask_b32_e64 v2, v2, v3, s[0:1]
	v_add_u32_e32 v3, 1, v1
	v_cmp_le_u32_e64 s[0:1], s8, v2
	s_nop 1
	v_cndmask_b32_e64 v1, v1, v3, s[0:1]
	v_addc_co_u32_e32 v1, vcc, 1, v1, vcc
	v_cmp_lt_u32_e32 vcc, 3, v1
	s_and_b64 s[10:11], vcc, s[6:7]
	s_mov_b64 s[6:7], -1
	s_and_saveexec_b64 s[0:1], s[10:11]
	s_cbranch_execz .LBB9_31
; %bb.28:
	v_and_b32_e32 v4, -4, v1
	s_mov_b64 s[6:7], 0
	v_mov_b32_e32 v3, 0
	v_mov_b32_e32 v2, v0
	;; [unrolled: 1-line block ×3, first 2 shown]
.LBB9_29:                               ; =>This Inner Loop Header: Depth=1
	v_lshlrev_b64 v[10:11], 2, v[2:3]
	v_lshl_add_u64 v[6:7], s[4:5], 0, v[10:11]
	global_load_dwordx4 v[6:9], v[6:7], off
	v_add_u32_e32 v5, -4, v5
	v_cmp_eq_u32_e32 vcc, 0, v5
	v_add_u32_e32 v2, 4, v2
	v_lshl_add_u64 v[10:11], s[2:3], 0, v[10:11]
	s_or_b64 s[6:7], vcc, s[6:7]
	s_waitcnt vmcnt(0)
	global_store_dwordx4 v[10:11], v[6:9], off
	s_andn2_b64 exec, exec, s[6:7]
	s_cbranch_execnz .LBB9_29
; %bb.30:
	s_or_b64 exec, exec, s[6:7]
	v_cmp_ne_u32_e32 vcc, v1, v4
	v_add_u32_e32 v0, v0, v4
	s_orn2_b64 s[6:7], vcc, exec
.LBB9_31:
	s_or_b64 exec, exec, s[0:1]
	s_and_b64 exec, exec, s[6:7]
	s_cbranch_execz .LBB9_34
; %bb.32:
	v_mov_b32_e32 v1, 0
	s_mov_b32 s1, 0
	v_lshlrev_b64 v[2:3], 2, v[0:1]
	s_lshl_b32 s0, s8, 2
	s_mov_b64 s[6:7], 0
	s_movk_i32 s9, 0x6f
.LBB9_33:                               ; =>This Inner Loop Header: Depth=1
	v_lshl_add_u64 v[4:5], s[4:5], 0, v[2:3]
	global_load_dword v1, v[4:5], off
	v_add_u32_e32 v0, s8, v0
	v_cmp_lt_u32_e32 vcc, s9, v0
	v_lshl_add_u64 v[4:5], s[2:3], 0, v[2:3]
	v_lshl_add_u64 v[2:3], v[2:3], 0, s[0:1]
	s_or_b64 s[6:7], vcc, s[6:7]
	s_waitcnt vmcnt(0)
	global_store_dword v[4:5], v1, off
	s_andn2_b64 exec, exec, s[6:7]
	s_cbranch_execnz .LBB9_33
.LBB9_34:
	s_endpgm
	.section	.rodata,"a",@progbits
	.p2align	6, 0x0
	.amdhsa_kernel _ZN4vllm32paged_attention_v2_reduce_kernelIfLi112ELi128ELi512EEEvPT_PKfS4_PKS1_PKii
		.amdhsa_group_segment_fixed_size 16
		.amdhsa_private_segment_fixed_size 0
		.amdhsa_kernarg_size 304
		.amdhsa_user_sgpr_count 2
		.amdhsa_user_sgpr_dispatch_ptr 0
		.amdhsa_user_sgpr_queue_ptr 0
		.amdhsa_user_sgpr_kernarg_segment_ptr 1
		.amdhsa_user_sgpr_dispatch_id 0
		.amdhsa_user_sgpr_kernarg_preload_length 0
		.amdhsa_user_sgpr_kernarg_preload_offset 0
		.amdhsa_user_sgpr_private_segment_size 0
		.amdhsa_uses_dynamic_stack 0
		.amdhsa_enable_private_segment 0
		.amdhsa_system_sgpr_workgroup_id_x 1
		.amdhsa_system_sgpr_workgroup_id_y 1
		.amdhsa_system_sgpr_workgroup_id_z 0
		.amdhsa_system_sgpr_workgroup_info 0
		.amdhsa_system_vgpr_workitem_id 0
		.amdhsa_next_free_vgpr 23
		.amdhsa_next_free_sgpr 32
		.amdhsa_accum_offset 24
		.amdhsa_reserve_vcc 1
		.amdhsa_float_round_mode_32 0
		.amdhsa_float_round_mode_16_64 0
		.amdhsa_float_denorm_mode_32 3
		.amdhsa_float_denorm_mode_16_64 3
		.amdhsa_dx10_clamp 1
		.amdhsa_ieee_mode 1
		.amdhsa_fp16_overflow 0
		.amdhsa_tg_split 0
		.amdhsa_exception_fp_ieee_invalid_op 0
		.amdhsa_exception_fp_denorm_src 0
		.amdhsa_exception_fp_ieee_div_zero 0
		.amdhsa_exception_fp_ieee_overflow 0
		.amdhsa_exception_fp_ieee_underflow 0
		.amdhsa_exception_fp_ieee_inexact 0
		.amdhsa_exception_int_div_zero 0
	.end_amdhsa_kernel
	.section	.text._ZN4vllm32paged_attention_v2_reduce_kernelIfLi112ELi128ELi512EEEvPT_PKfS4_PKS1_PKii,"axG",@progbits,_ZN4vllm32paged_attention_v2_reduce_kernelIfLi112ELi128ELi512EEEvPT_PKfS4_PKS1_PKii,comdat
.Lfunc_end9:
	.size	_ZN4vllm32paged_attention_v2_reduce_kernelIfLi112ELi128ELi512EEEvPT_PKfS4_PKS1_PKii, .Lfunc_end9-_ZN4vllm32paged_attention_v2_reduce_kernelIfLi112ELi128ELi512EEEvPT_PKfS4_PKS1_PKii
                                        ; -- End function
	.section	.AMDGPU.csdata,"",@progbits
; Kernel info:
; codeLenInByte = 2124
; NumSgprs: 38
; NumVgprs: 23
; NumAgprs: 0
; TotalNumVgprs: 23
; ScratchSize: 0
; MemoryBound: 0
; FloatMode: 240
; IeeeMode: 1
; LDSByteSize: 16 bytes/workgroup (compile time only)
; SGPRBlocks: 4
; VGPRBlocks: 2
; NumSGPRsForWavesPerEU: 38
; NumVGPRsForWavesPerEU: 23
; AccumOffset: 24
; Occupancy: 8
; WaveLimiterHint : 0
; COMPUTE_PGM_RSRC2:SCRATCH_EN: 0
; COMPUTE_PGM_RSRC2:USER_SGPR: 2
; COMPUTE_PGM_RSRC2:TRAP_HANDLER: 0
; COMPUTE_PGM_RSRC2:TGID_X_EN: 1
; COMPUTE_PGM_RSRC2:TGID_Y_EN: 1
; COMPUTE_PGM_RSRC2:TGID_Z_EN: 0
; COMPUTE_PGM_RSRC2:TIDIG_COMP_CNT: 0
; COMPUTE_PGM_RSRC3_GFX90A:ACCUM_OFFSET: 5
; COMPUTE_PGM_RSRC3_GFX90A:TG_SPLIT: 0
	.section	.text._ZN4vllm25paged_attention_v2_kernelIffLi120ELi8ELi128ELNS_18Fp8KVCacheDataTypeE0ELb1ELi512EEEvPfS2_PT_PKS3_PKT0_S9_ifPKiSB_iPKfiiiSD_SD_iiiii,"axG",@progbits,_ZN4vllm25paged_attention_v2_kernelIffLi120ELi8ELi128ELNS_18Fp8KVCacheDataTypeE0ELb1ELi512EEEvPfS2_PT_PKS3_PKT0_S9_ifPKiSB_iPKfiiiSD_SD_iiiii,comdat
	.protected	_ZN4vllm25paged_attention_v2_kernelIffLi120ELi8ELi128ELNS_18Fp8KVCacheDataTypeE0ELb1ELi512EEEvPfS2_PT_PKS3_PKT0_S9_ifPKiSB_iPKfiiiSD_SD_iiiii ; -- Begin function _ZN4vllm25paged_attention_v2_kernelIffLi120ELi8ELi128ELNS_18Fp8KVCacheDataTypeE0ELb1ELi512EEEvPfS2_PT_PKS3_PKT0_S9_ifPKiSB_iPKfiiiSD_SD_iiiii
	.globl	_ZN4vllm25paged_attention_v2_kernelIffLi120ELi8ELi128ELNS_18Fp8KVCacheDataTypeE0ELb1ELi512EEEvPfS2_PT_PKS3_PKT0_S9_ifPKiSB_iPKfiiiSD_SD_iiiii
	.p2align	8
	.type	_ZN4vllm25paged_attention_v2_kernelIffLi120ELi8ELi128ELNS_18Fp8KVCacheDataTypeE0ELb1ELi512EEEvPfS2_PT_PKS3_PKT0_S9_ifPKiSB_iPKfiiiSD_SD_iiiii,@function
_ZN4vllm25paged_attention_v2_kernelIffLi120ELi8ELi128ELNS_18Fp8KVCacheDataTypeE0ELb1ELi512EEEvPfS2_PT_PKS3_PKT0_S9_ifPKiSB_iPKfiiiSD_SD_iiiii: ; @_ZN4vllm25paged_attention_v2_kernelIffLi120ELi8ELi128ELNS_18Fp8KVCacheDataTypeE0ELb1ELi512EEEvPfS2_PT_PKS3_PKT0_S9_ifPKiSB_iPKfiiiSD_SD_iiiii
; %bb.0:
	s_load_dwordx2 s[6:7], s[0:1], 0x40
	s_mov_b32 s28, s3
	s_ashr_i32 s29, s3, 31
	s_lshl_b64 s[8:9], s[28:29], 2
	s_waitcnt lgkmcnt(0)
	s_add_u32 s6, s6, s8
	s_addc_u32 s7, s7, s9
	s_load_dword s29, s[6:7], 0x0
	s_lshl_b32 s49, s4, 9
	s_waitcnt lgkmcnt(0)
	s_cmp_ge_i32 s49, s29
	s_cbranch_scc1 .LBB10_81
; %bb.1:
	s_load_dword s5, s[0:1], 0x90
	s_load_dwordx2 s[38:39], s[0:1], 0x30
	s_mov_b32 s50, 0
	s_waitcnt lgkmcnt(0)
	s_abs_i32 s7, s5
	s_abs_i32 s3, s38
	v_cvt_f32_u32_e32 v1, s3
	s_sub_i32 s8, 0, s3
	s_xor_b32 s6, s5, s38
	s_ashr_i32 s6, s6, 31
	v_rcp_iflag_f32_e32 v1, v1
	s_nop 0
	v_mul_f32_e32 v1, 0x4f7ffffe, v1
	v_cvt_u32_f32_e32 v1, v1
	s_nop 0
	v_readfirstlane_b32 s9, v1
	s_mul_i32 s8, s8, s9
	s_mul_hi_u32 s8, s9, s8
	s_add_i32 s9, s9, s8
	s_mul_hi_u32 s8, s7, s9
	s_mul_i32 s9, s8, s3
	s_sub_i32 s7, s7, s9
	s_add_i32 s10, s8, 1
	s_sub_i32 s9, s7, s3
	s_cmp_ge_u32 s7, s3
	s_cselect_b32 s8, s10, s8
	s_cselect_b32 s7, s9, s7
	s_add_i32 s9, s8, 1
	s_cmp_ge_u32 s7, s3
	s_cselect_b32 s3, s9, s8
	s_xor_b32 s3, s3, s6
	s_sub_i32 s11, s3, s6
	s_abs_i32 s8, s11
	v_cvt_f32_u32_e32 v1, s8
	s_load_dwordx2 s[6:7], s[0:1], 0x50
	s_sub_i32 s3, 0, s8
	s_abs_i32 s9, s2
	v_rcp_iflag_f32_e32 v1, v1
	s_nop 0
	v_mul_f32_e32 v1, 0x4f7ffffe, v1
	v_cvt_u32_f32_e32 v1, v1
	s_nop 0
	v_readfirstlane_b32 s10, v1
	s_mul_i32 s3, s3, s10
	s_mul_hi_u32 s3, s10, s3
	s_add_i32 s10, s10, s3
	s_waitcnt lgkmcnt(0)
	s_cmp_eq_u64 s[6:7], 0
	s_mul_hi_u32 s10, s9, s10
	s_cbranch_scc1 .LBB10_3
; %bb.2:
	s_ashr_i32 s3, s2, 31
	s_lshl_b64 s[12:13], s[2:3], 2
	s_add_u32 s6, s6, s12
	s_addc_u32 s7, s7, s13
	s_load_dword s50, s[6:7], 0x0
.LBB10_3:
	s_load_dwordx4 s[12:15], s[0:1], 0x58
	s_movk_i32 s6, 0x78
	s_ashr_i32 s3, s2, 31
	s_ashr_i32 s11, s11, 31
	v_and_b32_e32 v2, 7, v0
	s_mul_i32 s24, s2, 0x78
	v_cmp_gt_u32_e32 vcc, s6, v0
	v_lshlrev_b32_e32 v6, 2, v0
	v_lshrrev_b32_e32 v1, 1, v0
	s_and_saveexec_b64 s[6:7], vcc
	s_cbranch_execz .LBB10_5
; %bb.4:
	s_load_dwordx2 s[16:17], s[0:1], 0x18
	s_waitcnt lgkmcnt(0)
	s_mul_i32 s18, s28, s12
	s_ashr_i32 s19, s18, 31
	s_lshl_b64 s[18:19], s[18:19], 2
	v_and_b32_e32 v4, 0x1fc, v1
	s_add_u32 s12, s16, s18
	s_addc_u32 s15, s17, s19
	s_ashr_i32 s25, s24, 31
	s_lshl_b64 s[16:17], s[24:25], 2
	s_add_u32 s16, s12, s16
	s_addc_u32 s17, s15, s17
	global_load_dword v3, v6, s[16:17]
	v_mad_u32_u24 v4, v2, 60, v4
	s_waitcnt vmcnt(0)
	ds_write_b32 v4, v3
.LBB10_5:
	s_or_b64 exec, exec, s[6:7]
	s_mul_i32 s6, s10, s8
	s_sub_i32 s6, s9, s6
	s_xor_b32 s3, s3, s11
	s_add_i32 s7, s10, 1
	s_sub_i32 s9, s6, s8
	s_load_dwordx4 s[16:19], s[0:1], 0x78
	s_cmp_ge_u32 s6, s8
	s_cselect_b32 s7, s7, s10
	s_load_dword s10, s[0:1], 0x88
	s_cselect_b32 s6, s9, s6
	s_add_i32 s9, s7, 1
	s_cmp_ge_u32 s6, s8
	s_cselect_b32 s6, s9, s7
	s_waitcnt lgkmcnt(0)
	s_abs_i32 s25, s19
	v_cvt_f32_u32_e32 v3, s25
	s_xor_b32 s6, s6, s3
	s_sub_i32 s8, s6, s3
	s_sub_i32 s6, 0, s25
	v_rcp_iflag_f32_e32 v3, v3
	s_add_i32 s11, s29, -1
	s_abs_i32 s3, s11
	v_mul_f32_e32 v3, 0x4f7ffffe, v3
	v_cvt_u32_f32_e32 v3, v3
	s_barrier
	v_readfirstlane_b32 s33, v3
	s_mul_i32 s6, s6, s33
	s_mul_hi_u32 s6, s33, s6
	s_add_i32 s33, s33, s6
	s_cmp_lt_i32 s10, 0
	s_mul_hi_u32 s9, s3, s33
	s_cbranch_scc0 .LBB10_7
; %bb.6:
	s_mul_i32 s6, s16, s38
	s_add_i32 s6, s8, s6
	s_mul_i32 s6, s6, s10
	s_sub_i32 s46, 1, s6
	s_mov_b64 s[6:7], 0
	s_branch .LBB10_8
.LBB10_7:
	s_mov_b64 s[6:7], -1
                                        ; implicit-def: $sgpr46
.LBB10_8:
	s_load_dwordx2 s[30:31], s[0:1], 0x38
	s_ashr_i32 s11, s11, 31
	s_andn2_b64 vcc, exec, s[6:7]
	s_ashr_i32 s47, s19, 31
	s_cbranch_vccnz .LBB10_10
; %bb.9:
	s_mul_i32 s6, s5, s16
	s_add_i32 s6, s6, s2
	s_mul_i32 s6, s6, s10
	s_add_i32 s46, s6, 1
.LBB10_10:
	s_load_dword s6, s[0:1], 0x48
	s_load_dwordx2 s[36:37], s[0:1], 0x28
	s_load_dword s19, s[0:1], 0x98
	s_load_dwordx4 s[20:23], s[0:1], 0x0
	s_load_dwordx2 s[26:27], s[0:1], 0x10
	s_mul_i32 s7, s9, s25
	s_waitcnt lgkmcnt(0)
	s_mul_i32 s34, s28, s6
	s_sub_i32 s3, s3, s7
	s_ashr_i32 s35, s34, 31
	s_xor_b32 s6, s11, s47
	s_add_i32 s7, s9, 1
	s_sub_i32 s10, s3, s25
	s_cmp_ge_u32 s3, s25
	s_cselect_b32 s7, s7, s9
	s_cselect_b32 s3, s10, s3
	s_add_i32 s9, s7, 1
	s_cmp_ge_u32 s3, s25
	s_cselect_b32 s3, s9, s7
	s_xor_b32 s3, s3, s6
	s_sub_i32 s12, s3, s6
	s_add_i32 s3, s29, 7
	s_ashr_i32 s6, s3, 31
	s_lshr_b32 s6, s6, 29
	s_add_i32 s3, s3, s6
	s_lshl_b32 s16, s4, 6
	s_ashr_i32 s3, s3, 3
	s_add_i32 s6, s16, 64
	v_lshrrev_b32_e32 v7, 6, v0
	s_min_i32 s48, s6, s3
	v_or_b32_e32 v22, s16, v7
	v_cmp_gt_i32_e64 s[6:7], s48, v22
	v_mov_b32_e32 v12, 0xff7fffff
	s_mul_i32 s14, s8, s14
	v_ashrrev_i32_e32 v23, 31, v22
	v_lshl_add_u32 v32, v7, 3, s49
	v_mbcnt_lo_u32_b32 v8, -1, 0
	s_and_saveexec_b64 s[40:41], s[6:7]
	s_cbranch_execz .LBB10_20
; %bb.11:
	s_load_dwordx2 s[0:1], s[0:1], 0x20
	s_ashr_i32 s15, s14, 31
	s_sub_i32 s38, s12, s17
	s_lshl_b64 s[8:9], s[14:15], 2
	v_bfe_u32 v9, v0, 3, 3
	s_waitcnt lgkmcnt(0)
	s_add_u32 s0, s0, s8
	s_addc_u32 s1, s1, s9
	s_abs_i32 s15, s18
	v_cvt_f32_u32_e32 v3, s15
	v_lshlrev_b32_e32 v4, 4, v9
	v_mov_b32_e32 v5, 0
	v_lshl_add_u64 v[10:11], s[0:1], 0, v[4:5]
	v_rcp_iflag_f32_e32 v3, v3
	v_and_b32_e32 v4, 3, v0
	v_lshlrev_b32_e32 v4, 2, v4
	s_sub_i32 s8, 0, s15
	v_mul_f32_e32 v3, 0x4f7ffffe, v3
	v_cvt_u32_f32_e32 v3, v3
	v_cmp_eq_u32_e32 vcc, 0, v2
	v_lshl_add_u64 v[12:13], v[10:11], 0, v[4:5]
	v_mul_u32_u24_e32 v10, 60, v2
	v_mul_lo_u32 v2, s8, v3
	v_mul_hi_u32 v2, v3, v2
	v_add_u32_e32 v11, v3, v2
	v_lshlrev_b32_e32 v2, 5, v0
	v_lshlrev_b32_e32 v14, 2, v9
	v_and_b32_e32 v4, 0x80, v2
	v_lshl_add_u64 v[2:3], v[12:13], 0, v[4:5]
	s_lshl_b64 s[8:9], s[34:35], 2
	v_lshl_or_b32 v12, v7, 5, v14
	s_add_u32 s8, s30, s8
	v_add_u32_e32 v14, 0x1f0, v12
	v_subrev_u32_e32 v12, s29, v9
	v_mbcnt_hi_u32_b32 v17, -1, v8
	s_addc_u32 s9, s31, s9
	v_add_u32_e32 v15, 1, v12
	v_and_b32_e32 v12, 64, v17
	s_mov_b32 s51, s13
	v_cmp_neq_f32_e64 s[0:1], s50, 0
	v_lshl_add_u64 v[4:5], v[22:23], 2, s[8:9]
	v_lshl_add_u32 v13, v7, 3, s49
	s_mov_b64 s[42:43], 0
	v_mov_b32_e32 v16, 0xff7fffff
	v_add_u32_e32 v18, 64, v12
	v_xor_b32_e32 v19, 4, v17
	v_xor_b32_e32 v20, 2, v17
	;; [unrolled: 1-line block ×3, first 2 shown]
	v_mov_b32_e32 v12, 0xff7fffff
	v_mov_b32_e32 v24, v22
	s_branch .LBB10_14
.LBB10_12:                              ;   in Loop: Header=BB10_14 Depth=1
	s_or_b64 exec, exec, s[44:45]
.LBB10_13:                              ;   in Loop: Header=BB10_14 Depth=1
	s_or_b64 exec, exec, s[10:11]
	v_add_u32_e32 v24, 2, v24
	v_cmp_le_i32_e64 s[8:9], s48, v24
	v_lshl_add_u64 v[4:5], v[4:5], 0, 8
	v_add_u32_e32 v13, 16, v13
	s_or_b64 s[42:43], s[8:9], s[42:43]
	v_add_u32_e32 v14, 64, v14
	s_andn2_b64 exec, exec, s[42:43]
	s_cbranch_execz .LBB10_19
.LBB10_14:                              ; =>This Inner Loop Header: Depth=1
	s_waitcnt lgkmcnt(0)
	v_sub_u32_e32 v26, 0, v13
	v_max_i32_e32 v26, v13, v26
	v_mul_hi_u32 v27, v26, s33
	v_mul_lo_u32 v28, v27, s25
	v_sub_u32_e32 v26, v26, v28
	v_add_u32_e32 v28, 1, v27
	v_cmp_le_u32_e64 s[8:9], s25, v26
	v_ashrrev_i32_e32 v25, 31, v13
	v_xor_b32_e32 v25, s47, v25
	v_cndmask_b32_e64 v27, v27, v28, s[8:9]
	v_subrev_u32_e32 v28, s25, v26
	v_cndmask_b32_e64 v26, v26, v28, s[8:9]
	v_add_u32_e32 v28, 1, v27
	v_cmp_le_u32_e64 s[8:9], s25, v26
	s_nop 1
	v_cndmask_b32_e64 v26, v27, v28, s[8:9]
	v_xor_b32_e32 v26, v26, v25
	v_sub_u32_e32 v25, v26, v25
	v_add_u32_e32 v26, s46, v25
	v_sub_u32_e32 v28, 0, v26
	v_ashrrev_i32_e32 v27, 31, v26
	v_max_i32_e32 v26, v26, v28
	v_mul_hi_u32 v28, v26, v11
	v_mul_lo_u32 v28, v28, s15
	v_sub_u32_e32 v26, v26, v28
	v_subrev_u32_e32 v28, s15, v26
	v_cmp_le_u32_e64 s[8:9], s15, v26
	v_cmp_ge_i32_e64 s[10:11], s38, v25
	s_nop 0
	v_cndmask_b32_e64 v26, v26, v28, s[8:9]
	v_subrev_u32_e32 v28, s15, v26
	v_cmp_le_u32_e64 s[8:9], s15, v26
	s_nop 1
	v_cndmask_b32_e64 v26, v26, v28, s[8:9]
	v_xor_b32_e32 v26, v26, v27
	v_sub_u32_e32 v26, v26, v27
	v_cmp_ne_u32_e64 s[8:9], 0, v26
	s_and_b64 s[8:9], s[8:9], s[10:11]
	s_and_b64 s[44:45], vcc, s[8:9]
	s_and_saveexec_b64 s[10:11], s[44:45]
	s_cbranch_execz .LBB10_16
; %bb.15:                               ;   in Loop: Header=BB10_14 Depth=1
	ds_write_b32 v14, v16
.LBB10_16:                              ;   in Loop: Header=BB10_14 Depth=1
	s_or_b64 exec, exec, s[10:11]
	s_xor_b64 s[8:9], s[8:9], -1
	s_and_saveexec_b64 s[10:11], s[8:9]
	s_cbranch_execz .LBB10_13
; %bb.17:                               ;   in Loop: Header=BB10_14 Depth=1
	global_load_dword v25, v[4:5], off
	s_waitcnt vmcnt(0)
	v_mad_i64_i32 v[26:27], s[8:9], v25, s51, 0
	v_lshl_add_u64 v[26:27], v[26:27], 2, v[2:3]
	global_load_dword v25, v[26:27], off offset:256
	global_load_dword v33, v[26:27], off
	global_load_dword v42, v[26:27], off offset:512
	global_load_dword v43, v[26:27], off offset:768
	;; [unrolled: 1-line block ×13, first 2 shown]
	ds_read2_b32 v[26:27], v10 offset1:1
	ds_read2_b32 v[28:29], v10 offset0:2 offset1:3
	ds_read2_b32 v[30:31], v10 offset0:4 offset1:5
	;; [unrolled: 1-line block ×6, first 2 shown]
	ds_read_b32 v55, v10 offset:56
	v_cmp_lt_i32_e64 s[8:9], v19, v18
	s_waitcnt vmcnt(14) lgkmcnt(7)
	v_mul_f32_e32 v25, v27, v25
	s_waitcnt vmcnt(13)
	v_fmac_f32_e32 v25, v26, v33
	s_waitcnt vmcnt(12) lgkmcnt(6)
	v_fmac_f32_e32 v25, v28, v42
	s_waitcnt vmcnt(11)
	v_fmac_f32_e32 v25, v29, v43
	s_waitcnt vmcnt(10) lgkmcnt(5)
	v_fmac_f32_e32 v25, v30, v44
	;; [unrolled: 4-line block ×6, first 2 shown]
	v_cndmask_b32_e64 v56, v17, v19, s[8:9]
	s_waitcnt vmcnt(1)
	v_fmac_f32_e32 v25, v41, v53
	v_lshlrev_b32_e32 v56, 2, v56
	s_waitcnt vmcnt(0) lgkmcnt(0)
	v_fmac_f32_e32 v25, v55, v54
	ds_bpermute_b32 v26, v56, v25
	v_cmp_lt_i32_e64 s[8:9], v20, v18
	s_waitcnt lgkmcnt(0)
	v_add_f32_e32 v25, v25, v26
	v_cndmask_b32_e64 v27, v17, v20, s[8:9]
	v_lshlrev_b32_e32 v27, 2, v27
	ds_bpermute_b32 v26, v27, v25
	v_cmp_lt_i32_e64 s[8:9], v21, v18
	s_waitcnt lgkmcnt(0)
	v_add_f32_e32 v25, v25, v26
	v_cndmask_b32_e64 v27, v17, v21, s[8:9]
	v_lshlrev_b32_e32 v27, 2, v27
	ds_bpermute_b32 v26, v27, v25
	s_and_saveexec_b64 s[44:45], vcc
	s_cbranch_execz .LBB10_12
; %bb.18:                               ;   in Loop: Header=BB10_14 Depth=1
	v_add_u32_e32 v27, v15, v13
	v_cvt_f32_i32_e32 v27, v27
	s_waitcnt lgkmcnt(0)
	v_add_f32_e32 v25, v25, v26
	v_add_u32_e32 v28, v9, v13
	v_cmp_gt_i32_e64 s[8:9], s29, v28
	v_mul_f32_e32 v26, s50, v27
	v_cndmask_b32_e64 v26, 0, v26, s[0:1]
	v_fmac_f32_e32 v26, s39, v25
	v_cndmask_b32_e64 v25, 0, v26, s[8:9]
	ds_write_b32 v14, v25
	v_max_f32_e32 v25, v12, v12
	v_max_f32_e32 v25, v25, v26
	v_cndmask_b32_e64 v12, v12, v25, s[8:9]
	s_branch .LBB10_12
.LBB10_19:
	s_or_b64 exec, exec, s[42:43]
.LBB10_20:
	s_or_b64 exec, exec, s[40:41]
	v_mbcnt_hi_u32_b32 v2, -1, v8
	v_and_b32_e32 v3, 64, v2
	v_add_u32_e32 v3, 64, v3
	v_xor_b32_e32 v4, 32, v2
	v_cmp_lt_i32_e32 vcc, v4, v3
	v_xor_b32_e32 v8, 16, v2
	v_max_f32_e32 v5, v12, v12
	v_cndmask_b32_e32 v4, v2, v4, vcc
	v_lshlrev_b32_e32 v9, 2, v4
	ds_bpermute_b32 v4, v9, v12
	v_cmp_lt_i32_e32 vcc, v8, v3
	s_waitcnt lgkmcnt(0)
	v_max_f32_e32 v4, v4, v4
	v_max_f32_e32 v4, v5, v4
	v_cndmask_b32_e32 v5, v2, v8, vcc
	v_lshlrev_b32_e32 v11, 2, v5
	ds_bpermute_b32 v5, v11, v4
	v_xor_b32_e32 v8, 8, v2
	v_cmp_lt_i32_e32 vcc, v8, v3
	s_waitcnt lgkmcnt(0)
	v_max_f32_e32 v5, v5, v5
	v_max_f32_e32 v5, v4, v5
	v_cndmask_b32_e32 v4, v2, v8, vcc
	v_lshlrev_b32_e32 v12, 2, v4
	ds_bpermute_b32 v10, v12, v5
	v_and_b32_e32 v4, 63, v0
	v_cmp_eq_u32_e32 vcc, 0, v4
	v_lshlrev_b32_e32 v8, 2, v7
	s_and_saveexec_b64 s[0:1], vcc
	s_cbranch_execz .LBB10_22
; %bb.21:
	s_waitcnt lgkmcnt(0)
	v_max_f32_e32 v10, v10, v10
	v_max_f32_e32 v5, v5, v5
	;; [unrolled: 1-line block ×3, first 2 shown]
	ds_write_b32 v8, v5 offset:480
.LBB10_22:
	s_or_b64 exec, exec, s[0:1]
	v_cmp_gt_u32_e64 s[0:1], 2, v4
	v_mov_b32_e32 v5, 0xff7fffff
	s_waitcnt lgkmcnt(0)
	v_lshlrev_b32_e32 v10, 2, v4
	s_barrier
	s_and_saveexec_b64 s[8:9], s[0:1]
	s_cbranch_execz .LBB10_24
; %bb.23:
	ds_read_b32 v5, v10 offset:480
.LBB10_24:
	s_or_b64 exec, exec, s[8:9]
	v_xor_b32_e32 v13, 1, v2
	v_cmp_lt_i32_e64 s[8:9], v13, v3
	v_mov_b32_e32 v14, 0
	s_nop 0
	v_cndmask_b32_e64 v13, v2, v13, s[8:9]
	v_lshlrev_b32_e32 v33, 2, v13
	s_waitcnt lgkmcnt(0)
	ds_bpermute_b32 v13, v33, v5
	v_max_f32_e32 v5, v5, v5
	s_sub_i32 s8, s48, s16
	s_lshl_b32 s8, s8, 3
	s_add_i32 s8, s8, s49
	s_waitcnt lgkmcnt(0)
	v_max_f32_e32 v13, v13, v13
	v_max_f32_e32 v5, v5, v13
	v_lshlrev_b32_e32 v13, 2, v2
	v_and_b32_e32 v13, 0x100, v13
	ds_bpermute_b32 v5, v13, v5
	s_min_i32 s16, s8, s29
	s_sub_i32 s15, s16, s49
	v_cmp_gt_i32_e64 s[8:9], s15, v0
	s_and_saveexec_b64 s[38:39], s[8:9]
	s_cbranch_execz .LBB10_28
; %bb.25:
	v_mov_b32_e32 v14, 0x1f0
	v_lshl_add_u32 v15, v0, 2, v14
	s_mov_b64 s[40:41], 0
	v_mov_b32_e32 v14, 0
	v_mov_b32_e32 v16, v0
.LBB10_26:                              ; =>This Inner Loop Header: Depth=1
	ds_read_b32 v17, v15
	v_add_u32_e32 v16, 0x80, v16
	v_cmp_le_i32_e64 s[10:11], s15, v16
	s_or_b64 s[40:41], s[10:11], s[40:41]
	s_waitcnt lgkmcnt(0)
	v_sub_f32_e32 v17, v17, v5
	v_mul_f32_e32 v17, 0x3fb8aa3b, v17
	v_exp_f32_e32 v17, v17
	ds_write_b32 v15, v17
	v_add_f32_e32 v14, v14, v17
	v_add_u32_e32 v15, 0x200, v15
	s_andn2_b64 exec, exec, s[40:41]
	s_cbranch_execnz .LBB10_26
; %bb.27:
	s_or_b64 exec, exec, s[40:41]
.LBB10_28:
	s_or_b64 exec, exec, s[38:39]
	ds_bpermute_b32 v9, v9, v14
	s_waitcnt lgkmcnt(0)
	v_add_f32_e32 v9, v14, v9
	ds_bpermute_b32 v11, v11, v9
	s_waitcnt lgkmcnt(0)
	v_add_f32_e32 v9, v9, v11
	ds_bpermute_b32 v11, v12, v9
	v_xor_b32_e32 v12, 4, v2
	v_cmp_lt_i32_e64 s[10:11], v12, v3
	s_waitcnt lgkmcnt(0)
	v_add_f32_e32 v9, v9, v11
	v_cndmask_b32_e64 v12, v2, v12, s[10:11]
	v_lshlrev_b32_e32 v12, 2, v12
	ds_bpermute_b32 v11, v12, v9
	v_xor_b32_e32 v12, 2, v2
	v_cmp_lt_i32_e64 s[10:11], v12, v3
	s_waitcnt lgkmcnt(0)
	v_add_f32_e32 v3, v9, v11
	v_cndmask_b32_e64 v2, v2, v12, s[10:11]
	v_lshlrev_b32_e32 v2, 2, v2
	ds_bpermute_b32 v2, v2, v3
	s_waitcnt lgkmcnt(0)
	v_add_f32_e32 v2, v3, v2
	ds_bpermute_b32 v3, v33, v2
	s_waitcnt lgkmcnt(0)
	v_add_f32_e32 v2, v2, v3
	s_and_saveexec_b64 s[10:11], vcc
	s_cbranch_execz .LBB10_30
; %bb.29:
	ds_write_b32 v8, v2 offset:488
.LBB10_30:
	s_or_b64 exec, exec, s[10:11]
	s_waitcnt lgkmcnt(0)
	s_barrier
	s_and_saveexec_b64 s[10:11], s[0:1]
	s_cbranch_execz .LBB10_32
; %bb.31:
	ds_read_b32 v2, v10 offset:488
.LBB10_32:
	s_or_b64 exec, exec, s[10:11]
	s_waitcnt lgkmcnt(0)
	ds_bpermute_b32 v3, v33, v2
	s_waitcnt lgkmcnt(0)
	v_add_f32_e32 v2, v2, v3
	ds_bpermute_b32 v8, v13, v2
	s_and_saveexec_b64 s[0:1], s[8:9]
	s_cbranch_execz .LBB10_45
; %bb.33:
	s_waitcnt lgkmcnt(0)
	v_add_f32_e32 v2, 0x358637bd, v8
	v_div_scale_f32 v3, s[8:9], v2, v2, 1.0
	v_rcp_f32_e32 v9, v3
	v_div_scale_f32 v10, vcc, 1.0, v2, 1.0
	s_movk_i32 s8, 0x7f
	v_fma_f32 v11, -v3, v9, 1.0
	v_fmac_f32_e32 v9, v11, v9
	v_mul_f32_e32 v11, v10, v9
	v_fma_f32 v12, -v3, v11, v10
	v_fmac_f32_e32 v11, v12, v9
	v_fma_f32 v3, -v3, v11, v10
	v_div_fmas_f32 v3, v3, v9, v11
	v_div_fixup_f32 v2, v3, v2, 1.0
	v_xad_u32 v3, v0, -1, s16
	v_subrev_u32_e32 v9, s49, v3
	v_cmp_lt_u32_e32 vcc, s8, v9
	s_mov_b64 s[10:11], -1
	v_mov_b32_e32 v3, v0
	s_and_saveexec_b64 s[8:9], vcc
	s_cbranch_execz .LBB10_42
; %bb.34:
	v_lshrrev_b32_e32 v9, 7, v9
	v_add_u32_e32 v11, -1, v9
	v_lshrrev_b32_e32 v10, 1, v11
	v_mov_b32_e32 v3, v2
	v_add_u32_e32 v10, 1, v10
	v_cmp_lt_u32_e32 vcc, 13, v11
	v_mov_b32_e32 v13, 0
	s_and_saveexec_b64 s[10:11], vcc
	s_cbranch_execz .LBB10_38
; %bb.35:
	v_mov_b32_e32 v12, 0x1f0
	v_and_b32_e32 v11, -8, v10
	v_lshl_add_u32 v12, v0, 2, v12
	s_mov_b32 s16, 0
	s_mov_b64 s[38:39], 0
.LBB10_36:                              ; =>This Inner Loop Header: Depth=1
	ds_read2st64_b32 v[14:15], v12 offset1:2
	ds_read2st64_b32 v[16:17], v12 offset0:4 offset1:6
	ds_read2st64_b32 v[18:19], v12 offset0:8 offset1:10
	;; [unrolled: 1-line block ×3, first 2 shown]
	v_add_u32_e32 v11, -8, v11
	s_waitcnt lgkmcnt(3)
	v_pk_mul_f32 v[14:15], v[2:3], v[14:15]
	s_waitcnt lgkmcnt(2)
	v_pk_mul_f32 v[16:17], v[2:3], v[16:17]
	ds_write2st64_b32 v12, v14, v15 offset1:2
	ds_write2st64_b32 v12, v16, v17 offset0:4 offset1:6
	ds_read2st64_b32 v[16:17], v12 offset0:16 offset1:18
	s_waitcnt lgkmcnt(4)
	v_pk_mul_f32 v[14:15], v[2:3], v[18:19]
	ds_write2st64_b32 v12, v14, v15 offset0:8 offset1:10
	s_waitcnt lgkmcnt(4)
	v_pk_mul_f32 v[14:15], v[2:3], v[20:21]
	ds_write2st64_b32 v12, v14, v15 offset0:12 offset1:14
	ds_read2st64_b32 v[14:15], v12 offset0:20 offset1:22
	s_waitcnt lgkmcnt(3)
	v_pk_mul_f32 v[16:17], v[2:3], v[16:17]
	ds_read2st64_b32 v[18:19], v12 offset0:24 offset1:26
	ds_write2st64_b32 v12, v16, v17 offset0:16 offset1:18
	ds_read2st64_b32 v[16:17], v12 offset0:28 offset1:30
	s_waitcnt lgkmcnt(3)
	v_pk_mul_f32 v[14:15], v[2:3], v[14:15]
	ds_write2st64_b32 v12, v14, v15 offset0:20 offset1:22
	s_waitcnt lgkmcnt(3)
	v_pk_mul_f32 v[14:15], v[2:3], v[18:19]
	ds_write2st64_b32 v12, v14, v15 offset0:24 offset1:26
	s_waitcnt lgkmcnt(2)
	v_pk_mul_f32 v[14:15], v[2:3], v[16:17]
	s_add_i32 s16, s16, 16
	v_cmp_eq_u32_e32 vcc, 0, v11
	ds_write2st64_b32 v12, v14, v15 offset0:28 offset1:30
	v_add_u32_e32 v12, 0x2000, v12
	s_or_b64 s[38:39], vcc, s[38:39]
	v_mov_b32_e32 v13, s16
	s_andn2_b64 exec, exec, s[38:39]
	s_cbranch_execnz .LBB10_36
; %bb.37:
	s_or_b64 exec, exec, s[38:39]
.LBB10_38:
	s_or_b64 exec, exec, s[10:11]
	v_and_b32_e32 v10, 7, v10
	v_cmp_ne_u32_e32 vcc, 0, v10
	s_and_saveexec_b64 s[10:11], vcc
	s_cbranch_execz .LBB10_41
; %bb.39:
	v_lshlrev_b32_e32 v11, 9, v13
	s_movk_i32 s16, 0x1f0
	v_add3_u32 v11, v11, v6, s16
	s_mov_b64 s[38:39], 0
.LBB10_40:                              ; =>This Inner Loop Header: Depth=1
	ds_read2st64_b32 v[12:13], v11 offset1:2
	v_add_u32_e32 v10, -1, v10
	v_cmp_eq_u32_e32 vcc, 0, v10
	s_or_b64 s[38:39], vcc, s[38:39]
	s_waitcnt lgkmcnt(0)
	v_pk_mul_f32 v[12:13], v[2:3], v[12:13]
	ds_write2st64_b32 v11, v12, v13 offset1:2
	v_add_u32_e32 v11, 0x400, v11
	s_andn2_b64 exec, exec, s[38:39]
	s_cbranch_execnz .LBB10_40
.LBB10_41:
	s_or_b64 exec, exec, s[10:11]
	v_add_u32_e32 v9, 1, v9
	v_and_b32_e32 v10, 0x3fffffe, v9
	v_cmp_ne_u32_e32 vcc, v9, v10
	v_lshl_add_u32 v3, v10, 7, v0
	s_orn2_b64 s[10:11], vcc, exec
.LBB10_42:
	s_or_b64 exec, exec, s[8:9]
	s_and_b64 exec, exec, s[10:11]
	s_cbranch_execz .LBB10_45
; %bb.43:
	v_mov_b32_e32 v9, 0x1f0
	v_lshl_add_u32 v9, v3, 2, v9
	s_mov_b64 s[8:9], 0
.LBB10_44:                              ; =>This Inner Loop Header: Depth=1
	ds_read_b32 v10, v9
	v_add_u32_e32 v3, 0x80, v3
	v_cmp_le_i32_e32 vcc, s15, v3
	s_or_b64 s[8:9], vcc, s[8:9]
	s_waitcnt lgkmcnt(0)
	v_mul_f32_e32 v10, v2, v10
	ds_write_b32 v9, v10
	v_add_u32_e32 v9, 0x200, v9
	s_andn2_b64 exec, exec, s[8:9]
	s_cbranch_execnz .LBB10_44
.LBB10_45:
	s_or_b64 exec, exec, s[0:1]
	s_mul_i32 s0, s19, s28
	v_cmp_eq_u32_e32 vcc, 0, v0
	s_mul_i32 s8, s0, s5
	s_waitcnt lgkmcnt(0)
	s_barrier
	s_and_saveexec_b64 s[0:1], vcc
	s_cbranch_execz .LBB10_47
; %bb.46:
	s_ashr_i32 s9, s8, 31
	s_lshl_b64 s[10:11], s[8:9], 2
	s_add_u32 s5, s22, s10
	s_mul_i32 s22, s19, s2
	s_addc_u32 s9, s23, s11
	s_ashr_i32 s23, s22, 31
	s_lshl_b64 s[22:23], s[22:23], 2
	s_add_u32 s2, s5, s22
	s_addc_u32 s9, s9, s23
	s_ashr_i32 s5, s4, 31
	s_lshl_b64 s[38:39], s[4:5], 2
	s_add_u32 s40, s2, s38
	s_addc_u32 s41, s9, s39
	s_add_u32 s2, s20, s10
	s_addc_u32 s5, s21, s11
	;; [unrolled: 2-line block ×3, first 2 shown]
	s_add_u32 s10, s2, s38
	v_mov_b32_e32 v2, 0
	s_addc_u32 s11, s5, s39
	global_store_dword v2, v5, s[40:41]
	global_store_dword v2, v8, s[10:11]
.LBB10_47:
	s_or_b64 exec, exec, s[0:1]
	s_mov_b32 s0, 0
	v_mov_b32_e32 v5, 0
	v_lshrrev_b32_e32 v35, 1, v4
	v_and_b32_e32 v34, 1, v0
	v_mov_b32_e32 v4, 0
	v_mov_b32_e32 v3, 0
	;; [unrolled: 1-line block ×3, first 2 shown]
	s_and_saveexec_b64 s[10:11], s[6:7]
	s_cbranch_execz .LBB10_63
; %bb.48:
	s_ashr_i32 s15, s14, 31
	s_sub_i32 s5, s12, s17
	s_lshl_b64 s[6:7], s[14:15], 2
	s_add_u32 s6, s36, s6
	s_addc_u32 s7, s37, s7
	s_abs_i32 s9, s18
	v_cvt_f32_u32_e32 v2, s9
	v_or_b32_e32 v3, 0x60, v35
	s_movk_i32 s1, 0x78
	v_and_b32_e32 v36, 4, v6
	v_rcp_iflag_f32_e32 v2, v2
	v_cmp_gt_u32_e32 vcc, s1, v3
	s_sub_i32 s1, 0, s9
	s_add_i32 s20, s3, -1
	v_mul_f32_e32 v2, 0x4f7ffffe, v2
	v_cvt_u32_f32_e32 v2, v2
	v_lshl_or_b32 v8, v3, 3, v36
	s_lshl_b64 s[2:3], s[34:35], 2
	s_add_u32 s2, s30, s2
	v_mul_lo_u32 v3, s1, v2
	v_mul_hi_u32 v3, v2, v3
	v_add_u32_e32 v37, v2, v3
	s_addc_u32 s3, s31, s3
	v_lshlrev_b32_e32 v2, 4, v34
	v_lshl_add_u64 v[26:27], v[22:23], 2, s[2:3]
	v_lshl_or_b32 v2, v7, 5, v2
	s_mov_b32 s2, s0
	s_mov_b32 s3, s0
	v_lshl_or_b32 v6, v35, 3, v36
	v_add_u32_e32 v23, 0x1f0, v2
	s_mov_b32 s1, s0
	v_mov_b64_e32 v[4:5], s[2:3]
	s_mov_b32 s18, s13
	v_mov_b32_e32 v25, 0
	s_mov_b64 s[12:13], 0
	v_mov_b64_e32 v[2:3], s[0:1]
	v_lshlrev_b32_e32 v24, 2, v6
	v_lshlrev_b32_e32 v28, 2, v8
	s_branch .LBB10_52
.LBB10_49:                              ;   in Loop: Header=BB10_52 Depth=1
	s_or_b64 exec, exec, s[16:17]
	s_waitcnt vmcnt(0)
	v_mul_f32_e32 v7, v7, v11
	v_fmac_f32_e32 v7, v6, v10
	v_fmac_f32_e32 v7, v8, v12
	v_fmac_f32_e32 v7, v9, v13
	v_add_f32_e32 v5, v5, v7
.LBB10_50:                              ;   in Loop: Header=BB10_52 Depth=1
	s_or_b64 exec, exec, s[2:3]
.LBB10_51:                              ;   in Loop: Header=BB10_52 Depth=1
	s_or_b64 exec, exec, s[14:15]
	v_add_u32_e32 v22, 2, v22
	v_cmp_le_i32_e64 s[0:1], s48, v22
	v_lshl_add_u64 v[26:27], v[26:27], 0, 8
	v_add_u32_e32 v32, 16, v32
	s_or_b64 s[12:13], s[0:1], s[12:13]
	v_add_u32_e32 v23, 64, v23
	s_andn2_b64 exec, exec, s[12:13]
	s_cbranch_execz .LBB10_62
.LBB10_52:                              ; =>This Inner Loop Header: Depth=1
	v_sub_u32_e32 v7, 0, v32
	v_max_i32_e32 v7, v32, v7
	v_mul_hi_u32 v8, v7, s33
	v_mul_lo_u32 v9, v8, s25
	v_sub_u32_e32 v7, v7, v9
	v_add_u32_e32 v9, 1, v8
	v_cmp_le_u32_e64 s[0:1], s25, v7
	v_ashrrev_i32_e32 v6, 31, v32
	v_xor_b32_e32 v6, s47, v6
	v_cndmask_b32_e64 v8, v8, v9, s[0:1]
	v_subrev_u32_e32 v9, s25, v7
	v_cndmask_b32_e64 v7, v7, v9, s[0:1]
	v_add_u32_e32 v9, 1, v8
	v_cmp_le_u32_e64 s[0:1], s25, v7
	s_nop 1
	v_cndmask_b32_e64 v7, v8, v9, s[0:1]
	v_xor_b32_e32 v7, v7, v6
	v_sub_u32_e32 v6, v7, v6
	v_add_u32_e32 v7, s46, v6
	v_sub_u32_e32 v9, 0, v7
	v_ashrrev_i32_e32 v8, 31, v7
	v_max_i32_e32 v7, v7, v9
	v_mul_hi_u32 v9, v7, v37
	v_mul_lo_u32 v9, v9, s9
	v_sub_u32_e32 v7, v7, v9
	v_subrev_u32_e32 v9, s9, v7
	v_cmp_le_u32_e64 s[0:1], s9, v7
	v_cmp_lt_i32_e64 s[2:3], s5, v6
	s_nop 0
	v_cndmask_b32_e64 v7, v7, v9, s[0:1]
	v_subrev_u32_e32 v9, s9, v7
	v_cmp_le_u32_e64 s[0:1], s9, v7
	s_nop 1
	v_cndmask_b32_e64 v7, v7, v9, s[0:1]
	v_xor_b32_e32 v7, v7, v8
	v_sub_u32_e32 v7, v7, v8
	v_cmp_eq_u32_e64 s[0:1], 0, v7
	s_or_b64 s[0:1], s[0:1], s[2:3]
	s_and_saveexec_b64 s[14:15], s[0:1]
	s_cbranch_execz .LBB10_51
; %bb.53:                               ;   in Loop: Header=BB10_52 Depth=1
	global_load_dword v6, v[26:27], off
	v_add_u32_e32 v38, v36, v32
	s_waitcnt vmcnt(0)
	v_mad_i64_i32 v[6:7], s[0:1], v6, s18, 0
	v_lshl_add_u64 v[30:31], v[6:7], 2, s[6:7]
	v_lshl_add_u64 v[18:19], v[30:31], 0, v[24:25]
	global_load_dwordx4 v[10:13], v[18:19], off
	ds_read_b128 v[6:9], v23
	v_cmp_eq_u32_e64 s[0:1], s20, v22
	s_and_saveexec_b64 s[16:17], s[0:1]
	s_cbranch_execnz .LBB10_60
; %bb.54:                               ;   in Loop: Header=BB10_52 Depth=1
	s_or_b64 exec, exec, s[16:17]
	global_load_dwordx4 v[14:17], v[18:19], off offset:1024
	s_and_saveexec_b64 s[16:17], s[0:1]
	s_cbranch_execnz .LBB10_61
.LBB10_55:                              ;   in Loop: Header=BB10_52 Depth=1
	s_or_b64 exec, exec, s[16:17]
	global_load_dwordx4 v[18:21], v[18:19], off offset:2048
	s_and_saveexec_b64 s[16:17], s[0:1]
	s_cbranch_execz .LBB10_57
.LBB10_56:                              ;   in Loop: Header=BB10_52 Depth=1
	v_cmp_gt_i32_e64 s[2:3], s29, v38
	v_add_u32_e32 v29, 1, v38
	s_waitcnt vmcnt(0)
	v_cndmask_b32_e64 v18, 0, v18, s[2:3]
	v_cmp_gt_i32_e64 s[2:3], s29, v29
	v_add_u32_e32 v29, 2, v38
	s_nop 0
	v_cndmask_b32_e64 v19, 0, v19, s[2:3]
	v_cmp_gt_i32_e64 s[2:3], s29, v29
	v_add_u32_e32 v29, 3, v38
	s_nop 0
	v_cndmask_b32_e64 v20, 0, v20, s[2:3]
	v_cmp_gt_i32_e64 s[2:3], s29, v29
	s_nop 1
	v_cndmask_b32_e64 v21, 0, v21, s[2:3]
.LBB10_57:                              ;   in Loop: Header=BB10_52 Depth=1
	s_or_b64 exec, exec, s[16:17]
	s_waitcnt vmcnt(2) lgkmcnt(0)
	v_mul_f32_e32 v11, v7, v11
	v_fmac_f32_e32 v11, v6, v10
	s_waitcnt vmcnt(1)
	v_mul_f32_e32 v10, v7, v15
	v_fmac_f32_e32 v10, v6, v14
	v_fmac_f32_e32 v10, v8, v16
	;; [unrolled: 1-line block ×3, first 2 shown]
	v_add_f32_e32 v3, v3, v10
	s_waitcnt vmcnt(0)
	v_mul_f32_e32 v10, v7, v19
	v_fmac_f32_e32 v10, v6, v18
	v_fmac_f32_e32 v11, v8, v12
	;; [unrolled: 1-line block ×5, first 2 shown]
	v_add_f32_e32 v2, v2, v11
	v_add_f32_e32 v4, v4, v10
	s_and_saveexec_b64 s[2:3], vcc
	s_cbranch_execz .LBB10_50
; %bb.58:                               ;   in Loop: Header=BB10_52 Depth=1
	v_mov_b32_e32 v29, v25
	v_lshl_add_u64 v[10:11], v[30:31], 0, v[28:29]
	global_load_dwordx4 v[10:13], v[10:11], off
	s_and_saveexec_b64 s[16:17], s[0:1]
	s_cbranch_execz .LBB10_49
; %bb.59:                               ;   in Loop: Header=BB10_52 Depth=1
	v_cmp_gt_i32_e64 s[0:1], s29, v38
	v_add_u32_e32 v14, 1, v38
	s_waitcnt vmcnt(0)
	v_cndmask_b32_e64 v10, 0, v10, s[0:1]
	v_cmp_gt_i32_e64 s[0:1], s29, v14
	v_add_u32_e32 v14, 2, v38
	s_nop 0
	v_cndmask_b32_e64 v11, 0, v11, s[0:1]
	v_cmp_gt_i32_e64 s[0:1], s29, v14
	v_add_u32_e32 v14, 3, v38
	s_nop 0
	v_cndmask_b32_e64 v12, 0, v12, s[0:1]
	v_cmp_gt_i32_e64 s[0:1], s29, v14
	s_nop 1
	v_cndmask_b32_e64 v13, 0, v13, s[0:1]
	s_branch .LBB10_49
.LBB10_60:                              ;   in Loop: Header=BB10_52 Depth=1
	v_cmp_gt_i32_e64 s[2:3], s29, v38
	v_add_u32_e32 v14, 1, v38
	s_waitcnt vmcnt(0)
	v_cndmask_b32_e64 v10, 0, v10, s[2:3]
	v_cmp_gt_i32_e64 s[2:3], s29, v14
	v_add_u32_e32 v14, 2, v38
	s_nop 0
	v_cndmask_b32_e64 v11, 0, v11, s[2:3]
	v_cmp_gt_i32_e64 s[2:3], s29, v14
	v_add_u32_e32 v14, 3, v38
	s_nop 0
	v_cndmask_b32_e64 v12, 0, v12, s[2:3]
	v_cmp_gt_i32_e64 s[2:3], s29, v14
	s_nop 1
	v_cndmask_b32_e64 v13, 0, v13, s[2:3]
	s_or_b64 exec, exec, s[16:17]
	global_load_dwordx4 v[14:17], v[18:19], off offset:1024
	s_and_saveexec_b64 s[16:17], s[0:1]
	s_cbranch_execz .LBB10_55
.LBB10_61:                              ;   in Loop: Header=BB10_52 Depth=1
	v_cmp_gt_i32_e64 s[2:3], s29, v38
	v_add_u32_e32 v20, 1, v38
	s_waitcnt vmcnt(0)
	v_cndmask_b32_e64 v14, 0, v14, s[2:3]
	v_cmp_gt_i32_e64 s[2:3], s29, v20
	v_add_u32_e32 v20, 2, v38
	s_nop 0
	v_cndmask_b32_e64 v15, 0, v15, s[2:3]
	v_cmp_gt_i32_e64 s[2:3], s29, v20
	v_add_u32_e32 v20, 3, v38
	s_nop 0
	v_cndmask_b32_e64 v16, 0, v16, s[2:3]
	v_cmp_gt_i32_e64 s[2:3], s29, v20
	s_nop 1
	v_cndmask_b32_e64 v17, 0, v17, s[2:3]
	s_or_b64 exec, exec, s[16:17]
	global_load_dwordx4 v[18:21], v[18:19], off offset:2048
	s_and_saveexec_b64 s[16:17], s[0:1]
	s_cbranch_execnz .LBB10_56
	s_branch .LBB10_57
.LBB10_62:
	s_or_b64 exec, exec, s[12:13]
.LBB10_63:
	s_or_b64 exec, exec, s[10:11]
	ds_bpermute_b32 v6, v33, v2
	ds_bpermute_b32 v7, v33, v3
	;; [unrolled: 1-line block ×4, first 2 shown]
	s_waitcnt lgkmcnt(0)
	s_barrier
	v_pk_add_f32 v[6:7], v[2:3], v[6:7]
	v_pk_add_f32 v[2:3], v[4:5], v[8:9]
	v_and_b32_e32 v4, 0x3c0, v0
	v_cmp_eq_u32_e32 vcc, 64, v4
	s_and_saveexec_b64 s[2:3], vcc
	s_cbranch_execz .LBB10_68
; %bb.64:
	v_cmp_eq_u32_e32 vcc, 0, v34
	s_and_saveexec_b64 s[0:1], vcc
	s_cbranch_execz .LBB10_66
; %bb.65:
	v_mov_b32_e32 v4, 0x1f0
	v_lshl_add_u32 v4, v35, 2, v4
	ds_write2_b32 v4, v6, v7 offset1:32
	ds_write_b32 v4, v2 offset:256
.LBB10_66:
	s_or_b64 exec, exec, s[0:1]
	v_or_b32_e32 v4, 0x60, v35
	s_movk_i32 s0, 0x78
	v_cmp_gt_u32_e64 s[0:1], s0, v4
	s_and_b64 s[0:1], vcc, s[0:1]
	s_and_b64 exec, exec, s[0:1]
	s_cbranch_execz .LBB10_68
; %bb.67:
	v_mov_b32_e32 v4, 0x1f0
	v_lshl_add_u32 v4, v35, 2, v4
	ds_write_b32 v4, v3 offset:384
.LBB10_68:
	s_or_b64 exec, exec, s[2:3]
	v_cmp_gt_u32_e32 vcc, 64, v0
	s_waitcnt lgkmcnt(0)
	s_barrier
	s_and_saveexec_b64 s[6:7], vcc
	s_cbranch_execz .LBB10_76
; %bb.69:
	v_cmp_eq_u32_e64 s[0:1], 0, v34
	s_and_saveexec_b64 s[2:3], s[0:1]
	s_cbranch_execnz .LBB10_82
; %bb.70:
	s_or_b64 exec, exec, s[2:3]
	s_and_saveexec_b64 s[2:3], s[0:1]
	s_cbranch_execnz .LBB10_83
.LBB10_71:
	s_or_b64 exec, exec, s[2:3]
	s_and_saveexec_b64 s[2:3], s[0:1]
	s_cbranch_execz .LBB10_73
.LBB10_72:
	v_mov_b32_e32 v0, 0x1f0
	v_lshl_add_u32 v0, v1, 2, v0
	ds_read_b32 v0, v0 offset:256
	s_waitcnt lgkmcnt(0)
	v_add_f32_e32 v2, v2, v0
.LBB10_73:
	s_or_b64 exec, exec, s[2:3]
	v_or_b32_e32 v0, 0x60, v1
	s_movk_i32 s2, 0x78
	v_cmp_gt_u32_e64 s[2:3], s2, v0
	s_and_b64 s[2:3], s[0:1], s[2:3]
	s_and_saveexec_b64 s[0:1], s[2:3]
	s_cbranch_execz .LBB10_75
; %bb.74:
	v_mov_b32_e32 v0, 0x1f0
	v_lshl_add_u32 v0, v1, 2, v0
	ds_read_b32 v0, v0 offset:384
	s_waitcnt lgkmcnt(0)
	v_add_f32_e32 v3, v3, v0
.LBB10_75:
	s_or_b64 exec, exec, s[0:1]
.LBB10_76:
	s_or_b64 exec, exec, s[6:7]
	s_barrier
	s_and_saveexec_b64 s[0:1], vcc
	s_cbranch_execz .LBB10_81
; %bb.77:
	s_mul_i32 s0, s8, 0x78
	s_ashr_i32 s1, s0, 31
	s_lshl_b64 s[0:1], s[0:1], 2
	s_add_u32 s2, s26, s0
	s_mul_i32 s0, s19, s24
	s_addc_u32 s3, s27, s1
	s_ashr_i32 s1, s0, 31
	s_lshl_b64 s[0:1], s[0:1], 2
	s_add_u32 s2, s2, s0
	s_mul_i32 s0, s4, 0x78
	s_addc_u32 s3, s3, s1
	s_ashr_i32 s1, s0, 31
	s_lshl_b64 s[0:1], s[0:1], 2
	s_add_u32 s2, s2, s0
	s_movk_i32 s5, 0x78
	s_addc_u32 s3, s3, s1
	v_cmp_eq_u32_e32 vcc, 0, v34
	v_lshlrev_b32_e32 v0, 2, v1
	s_and_saveexec_b64 s[0:1], vcc
	s_cbranch_execz .LBB10_79
; %bb.78:
	global_store_dword v0, v6, s[2:3]
	global_store_dword v0, v7, s[2:3] offset:128
	global_store_dword v0, v2, s[2:3] offset:256
.LBB10_79:
	s_or_b64 exec, exec, s[0:1]
	v_or_b32_e32 v1, 0x60, v1
	v_cmp_gt_u32_e64 s[0:1], s5, v1
	s_and_b64 s[0:1], vcc, s[0:1]
	s_and_b64 exec, exec, s[0:1]
	s_cbranch_execz .LBB10_81
; %bb.80:
	global_store_dword v0, v3, s[2:3] offset:384
.LBB10_81:
	s_endpgm
.LBB10_82:
	v_mov_b32_e32 v0, 0x1f0
	v_lshl_add_u32 v0, v1, 2, v0
	ds_read_b32 v0, v0
	s_waitcnt lgkmcnt(0)
	v_add_f32_e32 v6, v6, v0
	s_or_b64 exec, exec, s[2:3]
	s_and_saveexec_b64 s[2:3], s[0:1]
	s_cbranch_execz .LBB10_71
.LBB10_83:
	v_mov_b32_e32 v0, 0x1f0
	v_lshl_add_u32 v0, v1, 2, v0
	ds_read_b32 v0, v0 offset:128
	s_waitcnt lgkmcnt(0)
	v_add_f32_e32 v7, v7, v0
	s_or_b64 exec, exec, s[2:3]
	s_and_saveexec_b64 s[2:3], s[0:1]
	s_cbranch_execnz .LBB10_72
	s_branch .LBB10_73
	.section	.rodata,"a",@progbits
	.p2align	6, 0x0
	.amdhsa_kernel _ZN4vllm25paged_attention_v2_kernelIffLi120ELi8ELi128ELNS_18Fp8KVCacheDataTypeE0ELb1ELi512EEEvPfS2_PT_PKS3_PKT0_S9_ifPKiSB_iPKfiiiSD_SD_iiiii
		.amdhsa_group_segment_fixed_size 496
		.amdhsa_private_segment_fixed_size 0
		.amdhsa_kernarg_size 400
		.amdhsa_user_sgpr_count 2
		.amdhsa_user_sgpr_dispatch_ptr 0
		.amdhsa_user_sgpr_queue_ptr 0
		.amdhsa_user_sgpr_kernarg_segment_ptr 1
		.amdhsa_user_sgpr_dispatch_id 0
		.amdhsa_user_sgpr_kernarg_preload_length 0
		.amdhsa_user_sgpr_kernarg_preload_offset 0
		.amdhsa_user_sgpr_private_segment_size 0
		.amdhsa_uses_dynamic_stack 0
		.amdhsa_enable_private_segment 0
		.amdhsa_system_sgpr_workgroup_id_x 1
		.amdhsa_system_sgpr_workgroup_id_y 1
		.amdhsa_system_sgpr_workgroup_id_z 1
		.amdhsa_system_sgpr_workgroup_info 0
		.amdhsa_system_vgpr_workitem_id 0
		.amdhsa_next_free_vgpr 57
		.amdhsa_next_free_sgpr 52
		.amdhsa_accum_offset 60
		.amdhsa_reserve_vcc 1
		.amdhsa_float_round_mode_32 0
		.amdhsa_float_round_mode_16_64 0
		.amdhsa_float_denorm_mode_32 3
		.amdhsa_float_denorm_mode_16_64 3
		.amdhsa_dx10_clamp 1
		.amdhsa_ieee_mode 1
		.amdhsa_fp16_overflow 0
		.amdhsa_tg_split 0
		.amdhsa_exception_fp_ieee_invalid_op 0
		.amdhsa_exception_fp_denorm_src 0
		.amdhsa_exception_fp_ieee_div_zero 0
		.amdhsa_exception_fp_ieee_overflow 0
		.amdhsa_exception_fp_ieee_underflow 0
		.amdhsa_exception_fp_ieee_inexact 0
		.amdhsa_exception_int_div_zero 0
	.end_amdhsa_kernel
	.section	.text._ZN4vllm25paged_attention_v2_kernelIffLi120ELi8ELi128ELNS_18Fp8KVCacheDataTypeE0ELb1ELi512EEEvPfS2_PT_PKS3_PKT0_S9_ifPKiSB_iPKfiiiSD_SD_iiiii,"axG",@progbits,_ZN4vllm25paged_attention_v2_kernelIffLi120ELi8ELi128ELNS_18Fp8KVCacheDataTypeE0ELb1ELi512EEEvPfS2_PT_PKS3_PKT0_S9_ifPKiSB_iPKfiiiSD_SD_iiiii,comdat
.Lfunc_end10:
	.size	_ZN4vllm25paged_attention_v2_kernelIffLi120ELi8ELi128ELNS_18Fp8KVCacheDataTypeE0ELb1ELi512EEEvPfS2_PT_PKS3_PKT0_S9_ifPKiSB_iPKfiiiSD_SD_iiiii, .Lfunc_end10-_ZN4vllm25paged_attention_v2_kernelIffLi120ELi8ELi128ELNS_18Fp8KVCacheDataTypeE0ELb1ELi512EEEvPfS2_PT_PKS3_PKT0_S9_ifPKiSB_iPKfiiiSD_SD_iiiii
                                        ; -- End function
	.section	.AMDGPU.csdata,"",@progbits
; Kernel info:
; codeLenInByte = 5188
; NumSgprs: 58
; NumVgprs: 57
; NumAgprs: 0
; TotalNumVgprs: 57
; ScratchSize: 0
; MemoryBound: 0
; FloatMode: 240
; IeeeMode: 1
; LDSByteSize: 496 bytes/workgroup (compile time only)
; SGPRBlocks: 7
; VGPRBlocks: 7
; NumSGPRsForWavesPerEU: 58
; NumVGPRsForWavesPerEU: 57
; AccumOffset: 60
; Occupancy: 8
; WaveLimiterHint : 1
; COMPUTE_PGM_RSRC2:SCRATCH_EN: 0
; COMPUTE_PGM_RSRC2:USER_SGPR: 2
; COMPUTE_PGM_RSRC2:TRAP_HANDLER: 0
; COMPUTE_PGM_RSRC2:TGID_X_EN: 1
; COMPUTE_PGM_RSRC2:TGID_Y_EN: 1
; COMPUTE_PGM_RSRC2:TGID_Z_EN: 1
; COMPUTE_PGM_RSRC2:TIDIG_COMP_CNT: 0
; COMPUTE_PGM_RSRC3_GFX90A:ACCUM_OFFSET: 14
; COMPUTE_PGM_RSRC3_GFX90A:TG_SPLIT: 0
	.section	.text._ZN4vllm32paged_attention_v2_reduce_kernelIfLi120ELi128ELi512EEEvPT_PKfS4_PKS1_PKii,"axG",@progbits,_ZN4vllm32paged_attention_v2_reduce_kernelIfLi120ELi128ELi512EEEvPT_PKfS4_PKS1_PKii,comdat
	.protected	_ZN4vllm32paged_attention_v2_reduce_kernelIfLi120ELi128ELi512EEEvPT_PKfS4_PKS1_PKii ; -- Begin function _ZN4vllm32paged_attention_v2_reduce_kernelIfLi120ELi128ELi512EEEvPT_PKfS4_PKS1_PKii
	.globl	_ZN4vllm32paged_attention_v2_reduce_kernelIfLi120ELi128ELi512EEEvPT_PKfS4_PKS1_PKii
	.p2align	8
	.type	_ZN4vllm32paged_attention_v2_reduce_kernelIfLi120ELi128ELi512EEEvPT_PKfS4_PKS1_PKii,@function
_ZN4vllm32paged_attention_v2_reduce_kernelIfLi120ELi128ELi512EEEvPT_PKfS4_PKS1_PKii: ; @_ZN4vllm32paged_attention_v2_reduce_kernelIfLi120ELi128ELi512EEEvPT_PKfS4_PKS1_PKii
; %bb.0:
	s_load_dwordx4 s[8:11], s[0:1], 0x18
	s_add_u32 s6, s0, 48
	s_mov_b32 s12, s3
	s_addc_u32 s7, s1, 0
	s_ashr_i32 s13, s3, 31
	s_lshl_b64 s[4:5], s[12:13], 2
	s_waitcnt lgkmcnt(0)
	s_add_u32 s4, s10, s4
	s_addc_u32 s5, s11, s5
	s_load_dword s26, s[4:5], 0x0
	s_load_dwordx2 s[10:11], s[0:1], 0x0
	s_load_dword s13, s[0:1], 0x28
	s_load_dword s3, s[0:1], 0x30
	s_waitcnt lgkmcnt(0)
	s_add_i32 s4, s26, -1
	s_cmpk_gt_u32 s4, 0x1ff
	s_mov_b64 s[4:5], -1
	s_cbranch_scc0 .LBB11_25
; %bb.1:
	s_add_i32 s4, s26, 0x1ff
	s_load_dwordx2 s[18:19], s[0:1], 0x8
	s_ashr_i32 s5, s4, 31
	s_lshr_b32 s5, s5, 23
	s_add_i32 s4, s4, s5
	s_mul_i32 s24, s3, s12
	s_ashr_i32 s25, s4, 9
	s_mul_i32 s14, s24, s13
	s_mul_i32 s16, s2, s13
	s_ashr_i32 s15, s14, 31
	s_ashr_i32 s17, s16, 31
	v_cmp_gt_i32_e32 vcc, s25, v0
	v_mov_b32_e32 v4, 0xff7fffff
	s_and_saveexec_b64 s[4:5], vcc
	s_cbranch_execz .LBB11_5
; %bb.2:
	s_load_dword s20, s[6:7], 0xc
	s_load_dwordx2 s[22:23], s[0:1], 0x10
	s_lshl_b64 s[0:1], s[14:15], 2
	s_lshl_b64 s[28:29], s[16:17], 2
	v_lshlrev_b32_e32 v4, 2, v0
	s_waitcnt lgkmcnt(0)
	s_and_b32 s27, s20, 0xffff
	s_add_u32 s0, s0, s28
	s_addc_u32 s1, s1, s29
	s_add_u32 s0, s22, s0
	v_mov_b32_e32 v5, 0
	s_addc_u32 s1, s23, s1
	s_mov_b32 s21, 0
	v_lshl_add_u64 v[2:3], s[0:1], 0, v[4:5]
	s_lshl_b32 s20, s27, 2
	v_add_u32_e32 v1, 16, v4
	s_mov_b64 s[22:23], 0
	v_mov_b32_e32 v4, 0xff7fffff
	v_mov_b32_e32 v5, v0
.LBB11_3:                               ; =>This Inner Loop Header: Depth=1
	global_load_dword v6, v[2:3], off
	v_add_u32_e32 v5, s27, v5
	v_max_f32_e32 v4, v4, v4
	v_cmp_le_i32_e64 s[0:1], s25, v5
	v_lshl_add_u64 v[2:3], v[2:3], 0, s[20:21]
	s_or_b64 s[22:23], s[0:1], s[22:23]
	s_waitcnt vmcnt(0)
	ds_write_b32 v1, v6
	v_max_f32_e32 v6, v6, v6
	v_add_u32_e32 v1, s20, v1
	v_max_f32_e32 v4, v4, v6
	s_andn2_b64 exec, exec, s[22:23]
	s_cbranch_execnz .LBB11_3
; %bb.4:
	s_or_b64 exec, exec, s[22:23]
.LBB11_5:
	s_or_b64 exec, exec, s[4:5]
	v_mbcnt_lo_u32_b32 v1, -1, 0
	v_mbcnt_hi_u32_b32 v2, -1, v1
	v_and_b32_e32 v1, 64, v2
	v_add_u32_e32 v5, 64, v1
	v_xor_b32_e32 v1, 32, v2
	v_cmp_lt_i32_e64 s[0:1], v1, v5
	v_xor_b32_e32 v6, 16, v2
	v_xor_b32_e32 v7, 8, v2
	v_cndmask_b32_e64 v1, v2, v1, s[0:1]
	v_lshlrev_b32_e32 v1, 2, v1
	ds_bpermute_b32 v3, v1, v4
	v_max_f32_e32 v4, v4, v4
	v_cmp_lt_i32_e64 s[0:1], v6, v5
	v_lshrrev_b32_e32 v11, 6, v0
	v_lshlrev_b32_e32 v11, 2, v11
	s_waitcnt lgkmcnt(0)
	v_max_f32_e32 v3, v3, v3
	v_max_f32_e32 v3, v4, v3
	v_cndmask_b32_e64 v4, v2, v6, s[0:1]
	v_lshlrev_b32_e32 v6, 2, v4
	ds_bpermute_b32 v4, v6, v3
	v_cmp_lt_i32_e64 s[0:1], v7, v5
	s_waitcnt lgkmcnt(0)
	s_barrier
	v_max_f32_e32 v4, v4, v4
	v_max_f32_e32 v3, v3, v4
	v_cndmask_b32_e64 v4, v2, v7, s[0:1]
	v_lshlrev_b32_e32 v8, 2, v4
	ds_bpermute_b32 v4, v8, v3
	v_xor_b32_e32 v7, 4, v2
	v_cmp_lt_i32_e64 s[0:1], v7, v5
	s_waitcnt lgkmcnt(0)
	v_max_f32_e32 v4, v4, v4
	v_max_f32_e32 v3, v3, v4
	v_cndmask_b32_e64 v4, v2, v7, s[0:1]
	v_lshlrev_b32_e32 v9, 2, v4
	ds_bpermute_b32 v4, v9, v3
	v_xor_b32_e32 v7, 2, v2
	v_cmp_lt_i32_e64 s[0:1], v7, v5
	s_waitcnt lgkmcnt(0)
	v_max_f32_e32 v4, v4, v4
	v_max_f32_e32 v4, v3, v4
	v_cndmask_b32_e64 v3, v2, v7, s[0:1]
	v_lshlrev_b32_e32 v10, 2, v3
	ds_bpermute_b32 v7, v10, v4
	v_and_b32_e32 v3, 63, v0
	s_waitcnt lgkmcnt(0)
	v_max_f32_e32 v7, v7, v7
	v_max_f32_e32 v4, v4, v7
	v_xor_b32_e32 v7, 1, v2
	v_cmp_lt_i32_e64 s[0:1], v7, v5
	s_nop 1
	v_cndmask_b32_e64 v5, v2, v7, s[0:1]
	v_lshlrev_b32_e32 v7, 2, v5
	ds_bpermute_b32 v5, v7, v4
	v_cmp_eq_u32_e64 s[0:1], 0, v3
	s_and_saveexec_b64 s[4:5], s[0:1]
	s_cbranch_execz .LBB11_7
; %bb.6:
	s_waitcnt lgkmcnt(0)
	v_max_f32_e32 v5, v5, v5
	v_max_f32_e32 v4, v4, v4
	;; [unrolled: 1-line block ×3, first 2 shown]
	ds_write_b32 v11, v4
.LBB11_7:
	s_or_b64 exec, exec, s[4:5]
	v_cmp_gt_u32_e64 s[4:5], 2, v3
	v_mov_b32_e32 v4, 0xff7fffff
	v_lshlrev_b32_e32 v12, 2, v3
	s_waitcnt lgkmcnt(0)
	s_barrier
	s_and_saveexec_b64 s[20:21], s[4:5]
	s_cbranch_execz .LBB11_9
; %bb.8:
	ds_read_b32 v4, v12
.LBB11_9:
	s_or_b64 exec, exec, s[20:21]
	s_waitcnt lgkmcnt(0)
	ds_bpermute_b32 v3, v7, v4
	v_max_f32_e32 v4, v4, v4
	v_lshlrev_b32_e32 v2, 2, v2
	v_and_b32_e32 v13, 0x100, v2
	s_lshl_b32 s27, s25, 2
	s_waitcnt lgkmcnt(0)
	v_max_f32_e32 v3, v3, v3
	v_max_f32_e32 v3, v4, v3
	ds_bpermute_b32 v14, v13, v3
	v_mov_b32_e32 v3, 0
	s_and_saveexec_b64 s[20:21], vcc
	s_cbranch_execz .LBB11_13
; %bb.10:
	s_load_dword s22, s[6:7], 0xc
	s_lshl_b64 s[28:29], s[14:15], 2
	s_lshl_b64 s[30:31], s[16:17], 2
	v_lshlrev_b32_e32 v2, 2, v0
	v_mov_b32_e32 v3, 0
	s_waitcnt lgkmcnt(0)
	s_and_b32 s15, s22, 0xffff
	s_add_u32 s17, s28, s30
	s_addc_u32 s22, s29, s31
	s_add_u32 s18, s18, s17
	s_addc_u32 s19, s19, s22
	s_mov_b32 s23, 0
	v_lshl_add_u64 v[4:5], s[18:19], 0, v[2:3]
	s_lshl_b32 s22, s15, 2
	v_add_u32_e32 v2, 16, v2
	s_mov_b64 s[18:19], 0
	s_mov_b32 s17, 0x3fb8aa3b
	s_mov_b32 s28, 0xc2ce8ed0
	;; [unrolled: 1-line block ×3, first 2 shown]
	v_mov_b32_e32 v15, 0x7f800000
	v_mov_b32_e32 v16, v0
.LBB11_11:                              ; =>This Inner Loop Header: Depth=1
	global_load_dword v17, v[4:5], off
	ds_read_b32 v18, v2
	v_add_u32_e32 v16, s15, v16
	v_cmp_le_i32_e32 vcc, s25, v16
	s_or_b64 s[18:19], vcc, s[18:19]
	v_add_u32_e32 v19, s27, v2
	s_waitcnt lgkmcnt(0)
	v_sub_f32_e32 v18, v18, v14
	v_mul_f32_e32 v20, 0x3fb8aa3b, v18
	v_fma_f32 v21, v18, s17, -v20
	v_rndne_f32_e32 v22, v20
	v_fmac_f32_e32 v21, 0x32a5705f, v18
	v_sub_f32_e32 v20, v20, v22
	v_add_f32_e32 v20, v20, v21
	v_cvt_i32_f32_e32 v22, v22
	v_exp_f32_e32 v20, v20
	v_cmp_ngt_f32_e32 vcc, s28, v18
	v_lshl_add_u64 v[4:5], v[4:5], 0, s[22:23]
	v_add_u32_e32 v2, s22, v2
	v_ldexp_f32 v20, v20, v22
	v_cndmask_b32_e32 v20, 0, v20, vcc
	v_cmp_nlt_f32_e32 vcc, s29, v18
	s_nop 1
	v_cndmask_b32_e32 v18, v15, v20, vcc
	s_waitcnt vmcnt(0)
	v_mul_f32_e32 v20, v17, v18
	v_fmac_f32_e32 v3, v17, v18
	ds_write_b32 v19, v20
	s_andn2_b64 exec, exec, s[18:19]
	s_cbranch_execnz .LBB11_11
; %bb.12:
	s_or_b64 exec, exec, s[18:19]
.LBB11_13:
	s_or_b64 exec, exec, s[20:21]
	ds_bpermute_b32 v1, v1, v3
	s_waitcnt lgkmcnt(0)
	s_barrier
	v_add_f32_e32 v1, v3, v1
	ds_bpermute_b32 v2, v6, v1
	s_waitcnt lgkmcnt(0)
	v_add_f32_e32 v1, v1, v2
	ds_bpermute_b32 v2, v8, v1
	s_waitcnt lgkmcnt(0)
	;; [unrolled: 3-line block ×5, first 2 shown]
	v_add_f32_e32 v1, v1, v2
	s_and_saveexec_b64 s[18:19], s[0:1]
	s_cbranch_execz .LBB11_15
; %bb.14:
	ds_write_b32 v11, v1 offset:8
.LBB11_15:
	s_or_b64 exec, exec, s[18:19]
	s_waitcnt lgkmcnt(0)
	s_barrier
	s_and_saveexec_b64 s[0:1], s[4:5]
	s_cbranch_execz .LBB11_17
; %bb.16:
	ds_read_b32 v1, v12 offset:8
.LBB11_17:
	s_or_b64 exec, exec, s[0:1]
	s_waitcnt lgkmcnt(0)
	ds_bpermute_b32 v2, v7, v1
	s_movk_i32 s0, 0x78
	v_cmp_gt_u32_e32 vcc, s0, v0
	s_waitcnt lgkmcnt(0)
	v_add_f32_e32 v1, v1, v2
	ds_bpermute_b32 v2, v13, v1
	s_and_saveexec_b64 s[0:1], vcc
	s_cbranch_execz .LBB11_24
; %bb.18:
	s_cmp_gt_i32 s26, 0
	s_mov_b32 s15, 0
	s_cbranch_scc1 .LBB11_20
; %bb.19:
	v_mov_b32_e32 v1, 0
	v_mov_b32_e32 v4, s15
	s_cbranch_execz .LBB11_21
	s_branch .LBB11_23
.LBB11_20:
                                        ; implicit-def: $sgpr15
	v_mov_b32_e32 v4, s15
.LBB11_21:
	s_waitcnt lgkmcnt(0)
	v_add_f32_e32 v1, 0x358637bd, v2
	v_div_scale_f32 v2, s[4:5], v1, v1, 1.0
	v_rcp_f32_e32 v3, v2
	s_mul_i32 s4, s14, 0x78
	s_mulk_i32 s16, 0x78
	s_ashr_i32 s5, s4, 31
	v_fma_f32 v4, -v2, v3, 1.0
	v_fmac_f32_e32 v3, v4, v3
	v_div_scale_f32 v4, vcc, 1.0, v1, 1.0
	v_mul_f32_e32 v5, v4, v3
	v_fma_f32 v6, -v2, v5, v4
	s_ashr_i32 s17, s16, 31
	s_max_i32 s15, s25, 1
	v_fmac_f32_e32 v5, v6, v3
	s_add_i32 s14, s27, 16
	s_lshl_b64 s[4:5], s[4:5], 2
	s_lshl_b64 s[16:17], s[16:17], 2
	v_fma_f32 v2, -v2, v5, v4
	s_add_u32 s4, s4, s16
	v_div_fmas_f32 v2, v2, v3, v5
	s_addc_u32 s5, s5, s17
	v_div_fixup_f32 v5, v2, v1, 1.0
	v_mov_b32_e32 v1, 0
	s_add_u32 s4, s8, s4
	v_lshlrev_b32_e32 v2, 2, v0
	v_mov_b32_e32 v3, v1
	s_addc_u32 s5, s9, s5
	v_lshl_add_u64 v[2:3], s[4:5], 0, v[2:3]
	s_mov_b64 s[4:5], 0x1e0
	v_mov_b32_e32 v4, v1
.LBB11_22:                              ; =>This Inner Loop Header: Depth=1
	global_load_dword v6, v[2:3], off
	v_mov_b32_e32 v7, s14
	ds_read_b32 v7, v7
	s_add_i32 s15, s15, -1
	s_add_i32 s14, s14, 4
	v_lshl_add_u64 v[2:3], v[2:3], 0, s[4:5]
	s_cmp_eq_u32 s15, 0
	s_waitcnt vmcnt(0) lgkmcnt(0)
	v_mul_f32_e32 v6, v6, v7
	v_fmac_f32_e32 v4, v5, v6
	s_cbranch_scc0 .LBB11_22
.LBB11_23:
	s_mul_i32 s4, s24, 0x78
	s_ashr_i32 s5, s4, 31
	s_lshl_b64 s[4:5], s[4:5], 2
	s_add_u32 s14, s10, s4
	s_mul_i32 s4, s2, 0x78
	s_addc_u32 s15, s11, s5
	s_ashr_i32 s5, s4, 31
	s_lshl_b64 s[4:5], s[4:5], 2
	s_add_u32 s4, s14, s4
	s_addc_u32 s5, s15, s5
	s_waitcnt lgkmcnt(0)
	v_lshl_add_u64 v[2:3], v[0:1], 2, s[4:5]
	global_store_dword v[2:3], v4, off
.LBB11_24:
	s_or_b64 exec, exec, s[0:1]
	s_mov_b64 s[4:5], 0
.LBB11_25:
	s_and_b64 vcc, exec, s[4:5]
	s_cbranch_vccz .LBB11_34
; %bb.26:
	s_movk_i32 s0, 0x78
	v_cmp_gt_u32_e32 vcc, s0, v0
	s_and_saveexec_b64 s[4:5], vcc
	s_cbranch_execz .LBB11_34
; %bb.27:
	s_mul_i32 s1, s3, s12
	s_mul_i32 s4, s1, 0x78
	s_ashr_i32 s5, s4, 31
	s_lshl_b64 s[14:15], s[4:5], 2
	s_add_u32 s1, s10, s14
	s_mul_i32 s10, s2, 0x78
	s_addc_u32 s5, s11, s15
	s_ashr_i32 s11, s10, 31
	s_lshl_b64 s[2:3], s[10:11], 2
	s_add_u32 s2, s1, s2
	s_mul_i32 s4, s4, s13
	s_addc_u32 s3, s5, s3
	s_ashr_i32 s5, s4, 31
	s_lshl_b64 s[4:5], s[4:5], 2
	s_load_dword s6, s[6:7], 0xc
	s_add_u32 s1, s8, s4
	s_mul_i32 s4, s10, s13
	s_addc_u32 s8, s9, s5
	s_ashr_i32 s5, s4, 31
	s_lshl_b64 s[4:5], s[4:5], 2
	s_add_u32 s4, s1, s4
	s_addc_u32 s5, s8, s5
	s_waitcnt lgkmcnt(0)
	s_and_b32 s8, s6, 0xffff
	v_cvt_f32_u32_e32 v1, s8
	v_add_u32_e32 v2, s8, v0
	v_mov_b32_e32 v4, s8
	v_cmp_gt_u32_e32 vcc, s0, v2
	v_rcp_iflag_f32_e32 v1, v1
	s_cmp_eq_u32 s8, 1
	v_max_u32_e32 v3, 0x78, v2
	v_addc_co_u32_e64 v2, s[0:1], v0, v4, vcc
	v_mul_f32_e32 v1, 0x4f7ffffe, v1
	v_cvt_u32_f32_e32 v1, v1
	s_cselect_b64 s[6:7], -1, 0
	s_sub_i32 s0, 0, s8
	v_sub_u32_e32 v2, v3, v2
	v_mul_lo_u32 v3, s0, v1
	v_mul_hi_u32 v3, v1, v3
	v_add_u32_e32 v1, v1, v3
	v_mul_hi_u32 v1, v2, v1
	v_mul_lo_u32 v3, v1, s8
	v_sub_u32_e32 v2, v2, v3
	v_add_u32_e32 v3, 1, v1
	v_cmp_le_u32_e64 s[0:1], s8, v2
	s_nop 1
	v_cndmask_b32_e64 v1, v1, v3, s[0:1]
	v_subrev_u32_e32 v3, s8, v2
	v_cndmask_b32_e64 v2, v2, v3, s[0:1]
	v_add_u32_e32 v3, 1, v1
	v_cmp_le_u32_e64 s[0:1], s8, v2
	s_nop 1
	v_cndmask_b32_e64 v1, v1, v3, s[0:1]
	v_addc_co_u32_e32 v1, vcc, 1, v1, vcc
	v_cmp_lt_u32_e32 vcc, 3, v1
	s_and_b64 s[10:11], vcc, s[6:7]
	s_mov_b64 s[6:7], -1
	s_and_saveexec_b64 s[0:1], s[10:11]
	s_cbranch_execz .LBB11_31
; %bb.28:
	v_and_b32_e32 v4, -4, v1
	s_mov_b64 s[6:7], 0
	v_mov_b32_e32 v3, 0
	v_mov_b32_e32 v2, v0
	;; [unrolled: 1-line block ×3, first 2 shown]
.LBB11_29:                              ; =>This Inner Loop Header: Depth=1
	v_lshlrev_b64 v[10:11], 2, v[2:3]
	v_lshl_add_u64 v[6:7], s[4:5], 0, v[10:11]
	global_load_dwordx4 v[6:9], v[6:7], off
	v_add_u32_e32 v5, -4, v5
	v_cmp_eq_u32_e32 vcc, 0, v5
	v_add_u32_e32 v2, 4, v2
	v_lshl_add_u64 v[10:11], s[2:3], 0, v[10:11]
	s_or_b64 s[6:7], vcc, s[6:7]
	s_waitcnt vmcnt(0)
	global_store_dwordx4 v[10:11], v[6:9], off
	s_andn2_b64 exec, exec, s[6:7]
	s_cbranch_execnz .LBB11_29
; %bb.30:
	s_or_b64 exec, exec, s[6:7]
	v_cmp_ne_u32_e32 vcc, v1, v4
	v_add_u32_e32 v0, v0, v4
	s_orn2_b64 s[6:7], vcc, exec
.LBB11_31:
	s_or_b64 exec, exec, s[0:1]
	s_and_b64 exec, exec, s[6:7]
	s_cbranch_execz .LBB11_34
; %bb.32:
	v_mov_b32_e32 v1, 0
	s_mov_b32 s1, 0
	v_lshlrev_b64 v[2:3], 2, v[0:1]
	s_lshl_b32 s0, s8, 2
	s_mov_b64 s[6:7], 0
	s_movk_i32 s9, 0x77
.LBB11_33:                              ; =>This Inner Loop Header: Depth=1
	v_lshl_add_u64 v[4:5], s[4:5], 0, v[2:3]
	global_load_dword v1, v[4:5], off
	v_add_u32_e32 v0, s8, v0
	v_cmp_lt_u32_e32 vcc, s9, v0
	v_lshl_add_u64 v[4:5], s[2:3], 0, v[2:3]
	v_lshl_add_u64 v[2:3], v[2:3], 0, s[0:1]
	s_or_b64 s[6:7], vcc, s[6:7]
	s_waitcnt vmcnt(0)
	global_store_dword v[4:5], v1, off
	s_andn2_b64 exec, exec, s[6:7]
	s_cbranch_execnz .LBB11_33
.LBB11_34:
	s_endpgm
	.section	.rodata,"a",@progbits
	.p2align	6, 0x0
	.amdhsa_kernel _ZN4vllm32paged_attention_v2_reduce_kernelIfLi120ELi128ELi512EEEvPT_PKfS4_PKS1_PKii
		.amdhsa_group_segment_fixed_size 16
		.amdhsa_private_segment_fixed_size 0
		.amdhsa_kernarg_size 304
		.amdhsa_user_sgpr_count 2
		.amdhsa_user_sgpr_dispatch_ptr 0
		.amdhsa_user_sgpr_queue_ptr 0
		.amdhsa_user_sgpr_kernarg_segment_ptr 1
		.amdhsa_user_sgpr_dispatch_id 0
		.amdhsa_user_sgpr_kernarg_preload_length 0
		.amdhsa_user_sgpr_kernarg_preload_offset 0
		.amdhsa_user_sgpr_private_segment_size 0
		.amdhsa_uses_dynamic_stack 0
		.amdhsa_enable_private_segment 0
		.amdhsa_system_sgpr_workgroup_id_x 1
		.amdhsa_system_sgpr_workgroup_id_y 1
		.amdhsa_system_sgpr_workgroup_id_z 0
		.amdhsa_system_sgpr_workgroup_info 0
		.amdhsa_system_vgpr_workitem_id 0
		.amdhsa_next_free_vgpr 23
		.amdhsa_next_free_sgpr 32
		.amdhsa_accum_offset 24
		.amdhsa_reserve_vcc 1
		.amdhsa_float_round_mode_32 0
		.amdhsa_float_round_mode_16_64 0
		.amdhsa_float_denorm_mode_32 3
		.amdhsa_float_denorm_mode_16_64 3
		.amdhsa_dx10_clamp 1
		.amdhsa_ieee_mode 1
		.amdhsa_fp16_overflow 0
		.amdhsa_tg_split 0
		.amdhsa_exception_fp_ieee_invalid_op 0
		.amdhsa_exception_fp_denorm_src 0
		.amdhsa_exception_fp_ieee_div_zero 0
		.amdhsa_exception_fp_ieee_overflow 0
		.amdhsa_exception_fp_ieee_underflow 0
		.amdhsa_exception_fp_ieee_inexact 0
		.amdhsa_exception_int_div_zero 0
	.end_amdhsa_kernel
	.section	.text._ZN4vllm32paged_attention_v2_reduce_kernelIfLi120ELi128ELi512EEEvPT_PKfS4_PKS1_PKii,"axG",@progbits,_ZN4vllm32paged_attention_v2_reduce_kernelIfLi120ELi128ELi512EEEvPT_PKfS4_PKS1_PKii,comdat
.Lfunc_end11:
	.size	_ZN4vllm32paged_attention_v2_reduce_kernelIfLi120ELi128ELi512EEEvPT_PKfS4_PKS1_PKii, .Lfunc_end11-_ZN4vllm32paged_attention_v2_reduce_kernelIfLi120ELi128ELi512EEEvPT_PKfS4_PKS1_PKii
                                        ; -- End function
	.section	.AMDGPU.csdata,"",@progbits
; Kernel info:
; codeLenInByte = 2124
; NumSgprs: 38
; NumVgprs: 23
; NumAgprs: 0
; TotalNumVgprs: 23
; ScratchSize: 0
; MemoryBound: 0
; FloatMode: 240
; IeeeMode: 1
; LDSByteSize: 16 bytes/workgroup (compile time only)
; SGPRBlocks: 4
; VGPRBlocks: 2
; NumSGPRsForWavesPerEU: 38
; NumVGPRsForWavesPerEU: 23
; AccumOffset: 24
; Occupancy: 8
; WaveLimiterHint : 0
; COMPUTE_PGM_RSRC2:SCRATCH_EN: 0
; COMPUTE_PGM_RSRC2:USER_SGPR: 2
; COMPUTE_PGM_RSRC2:TRAP_HANDLER: 0
; COMPUTE_PGM_RSRC2:TGID_X_EN: 1
; COMPUTE_PGM_RSRC2:TGID_Y_EN: 1
; COMPUTE_PGM_RSRC2:TGID_Z_EN: 0
; COMPUTE_PGM_RSRC2:TIDIG_COMP_CNT: 0
; COMPUTE_PGM_RSRC3_GFX90A:ACCUM_OFFSET: 5
; COMPUTE_PGM_RSRC3_GFX90A:TG_SPLIT: 0
	.section	.text._ZN4vllm25paged_attention_v2_kernelIffLi128ELi8ELi128ELNS_18Fp8KVCacheDataTypeE0ELb1ELi512EEEvPfS2_PT_PKS3_PKT0_S9_ifPKiSB_iPKfiiiSD_SD_iiiii,"axG",@progbits,_ZN4vllm25paged_attention_v2_kernelIffLi128ELi8ELi128ELNS_18Fp8KVCacheDataTypeE0ELb1ELi512EEEvPfS2_PT_PKS3_PKT0_S9_ifPKiSB_iPKfiiiSD_SD_iiiii,comdat
	.protected	_ZN4vllm25paged_attention_v2_kernelIffLi128ELi8ELi128ELNS_18Fp8KVCacheDataTypeE0ELb1ELi512EEEvPfS2_PT_PKS3_PKT0_S9_ifPKiSB_iPKfiiiSD_SD_iiiii ; -- Begin function _ZN4vllm25paged_attention_v2_kernelIffLi128ELi8ELi128ELNS_18Fp8KVCacheDataTypeE0ELb1ELi512EEEvPfS2_PT_PKS3_PKT0_S9_ifPKiSB_iPKfiiiSD_SD_iiiii
	.globl	_ZN4vllm25paged_attention_v2_kernelIffLi128ELi8ELi128ELNS_18Fp8KVCacheDataTypeE0ELb1ELi512EEEvPfS2_PT_PKS3_PKT0_S9_ifPKiSB_iPKfiiiSD_SD_iiiii
	.p2align	8
	.type	_ZN4vllm25paged_attention_v2_kernelIffLi128ELi8ELi128ELNS_18Fp8KVCacheDataTypeE0ELb1ELi512EEEvPfS2_PT_PKS3_PKT0_S9_ifPKiSB_iPKfiiiSD_SD_iiiii,@function
_ZN4vllm25paged_attention_v2_kernelIffLi128ELi8ELi128ELNS_18Fp8KVCacheDataTypeE0ELb1ELi512EEEvPfS2_PT_PKS3_PKT0_S9_ifPKiSB_iPKfiiiSD_SD_iiiii: ; @_ZN4vllm25paged_attention_v2_kernelIffLi128ELi8ELi128ELNS_18Fp8KVCacheDataTypeE0ELb1ELi512EEEvPfS2_PT_PKS3_PKT0_S9_ifPKiSB_iPKfiiiSD_SD_iiiii
; %bb.0:
	s_load_dwordx2 s[6:7], s[0:1], 0x40
	s_mov_b32 s28, s3
	s_ashr_i32 s29, s3, 31
	s_lshl_b64 s[8:9], s[28:29], 2
	s_waitcnt lgkmcnt(0)
	s_add_u32 s6, s6, s8
	s_addc_u32 s7, s7, s9
	s_load_dword s29, s[6:7], 0x0
	s_lshl_b32 s49, s4, 9
	s_waitcnt lgkmcnt(0)
	s_cmp_ge_i32 s49, s29
	s_cbranch_scc1 .LBB12_72
; %bb.1:
	s_load_dword s5, s[0:1], 0x90
	s_load_dwordx2 s[38:39], s[0:1], 0x30
	s_waitcnt lgkmcnt(0)
	s_abs_i32 s7, s5
	s_abs_i32 s3, s38
	v_cvt_f32_u32_e32 v1, s3
	s_sub_i32 s8, 0, s3
	s_xor_b32 s6, s5, s38
	s_ashr_i32 s6, s6, 31
	v_rcp_iflag_f32_e32 v1, v1
	s_nop 0
	v_mul_f32_e32 v1, 0x4f7ffffe, v1
	v_cvt_u32_f32_e32 v1, v1
	s_nop 0
	v_readfirstlane_b32 s9, v1
	s_mul_i32 s8, s8, s9
	s_mul_hi_u32 s8, s9, s8
	s_add_i32 s9, s9, s8
	s_mul_hi_u32 s8, s7, s9
	s_mul_i32 s9, s8, s3
	s_sub_i32 s7, s7, s9
	s_add_i32 s10, s8, 1
	s_sub_i32 s9, s7, s3
	s_cmp_ge_u32 s7, s3
	s_cselect_b32 s8, s10, s8
	s_cselect_b32 s7, s9, s7
	s_add_i32 s9, s8, 1
	s_cmp_ge_u32 s7, s3
	s_cselect_b32 s3, s9, s8
	s_xor_b32 s3, s3, s6
	s_sub_i32 s12, s3, s6
	s_abs_i32 s8, s12
	v_cvt_f32_u32_e32 v1, s8
	s_load_dwordx2 s[6:7], s[0:1], 0x50
	s_sub_i32 s10, 0, s8
	s_abs_i32 s9, s2
	v_rcp_iflag_f32_e32 v1, v1
	s_mov_b32 s3, 0
	v_mul_f32_e32 v1, 0x4f7ffffe, v1
	v_cvt_u32_f32_e32 v1, v1
	s_nop 0
	v_readfirstlane_b32 s11, v1
	s_mul_i32 s10, s10, s11
	s_mul_hi_u32 s10, s11, s10
	s_add_i32 s11, s11, s10
	s_waitcnt lgkmcnt(0)
	s_cmp_eq_u64 s[6:7], 0
	s_mul_hi_u32 s10, s9, s11
	s_cbranch_scc1 .LBB12_3
; %bb.2:
	s_ashr_i32 s3, s2, 31
	s_lshl_b64 s[14:15], s[2:3], 2
	s_add_u32 s6, s6, s14
	s_addc_u32 s7, s7, s15
	s_load_dword s3, s[6:7], 0x0
.LBB12_3:
	s_ashr_i32 s16, s12, 31
	s_load_dwordx4 s[12:15], s[0:1], 0x58
	s_movk_i32 s6, 0x80
	s_ashr_i32 s11, s2, 31
	v_and_b32_e32 v2, 7, v0
	s_lshl_b32 s24, s2, 7
	v_cmp_gt_u32_e32 vcc, s6, v0
	v_lshlrev_b32_e32 v6, 2, v0
	v_lshrrev_b32_e32 v1, 1, v0
	s_and_saveexec_b64 s[6:7], vcc
	s_cbranch_execz .LBB12_5
; %bb.4:
	s_load_dwordx2 s[18:19], s[0:1], 0x18
	s_waitcnt lgkmcnt(0)
	s_mul_i32 s20, s28, s12
	s_ashr_i32 s21, s20, 31
	s_lshl_b64 s[20:21], s[20:21], 2
	v_and_b32_e32 v4, 0x1fc, v1
	s_add_u32 s12, s18, s20
	s_addc_u32 s15, s19, s21
	s_ashr_i32 s25, s24, 31
	s_lshl_b64 s[18:19], s[24:25], 2
	s_add_u32 s18, s12, s18
	s_addc_u32 s19, s15, s19
	global_load_dword v3, v6, s[18:19]
	v_lshl_add_u32 v4, v2, 6, v4
	s_waitcnt vmcnt(0)
	ds_write_b32 v4, v3
.LBB12_5:
	s_or_b64 exec, exec, s[6:7]
	s_mul_i32 s7, s10, s8
	s_sub_i32 s7, s9, s7
	s_xor_b32 s6, s11, s16
	s_add_i32 s9, s10, 1
	s_sub_i32 s11, s7, s8
	s_load_dwordx4 s[16:19], s[0:1], 0x78
	s_cmp_ge_u32 s7, s8
	s_cselect_b32 s9, s9, s10
	s_cselect_b32 s7, s11, s7
	s_load_dword s11, s[0:1], 0x88
	s_add_i32 s10, s9, 1
	s_cmp_ge_u32 s7, s8
	s_cselect_b32 s7, s10, s9
	s_waitcnt lgkmcnt(0)
	s_abs_i32 s25, s19
	v_cvt_f32_u32_e32 v3, s25
	s_xor_b32 s7, s7, s6
	s_sub_i32 s8, s7, s6
	s_sub_i32 s6, 0, s25
	v_rcp_iflag_f32_e32 v3, v3
	s_add_i32 s12, s29, -1
	s_abs_i32 s9, s12
	v_mul_f32_e32 v3, 0x4f7ffffe, v3
	v_cvt_u32_f32_e32 v3, v3
	s_barrier
	v_readfirstlane_b32 s33, v3
	s_mul_i32 s6, s6, s33
	s_mul_hi_u32 s6, s33, s6
	s_add_i32 s33, s33, s6
	s_cmp_lt_i32 s11, 0
	s_mul_hi_u32 s10, s9, s33
	s_cbranch_scc0 .LBB12_7
; %bb.6:
	s_mul_i32 s6, s16, s38
	s_add_i32 s6, s8, s6
	s_mul_i32 s6, s6, s11
	s_sub_i32 s46, 1, s6
	s_mov_b64 s[6:7], 0
	s_branch .LBB12_8
.LBB12_7:
	s_mov_b64 s[6:7], -1
                                        ; implicit-def: $sgpr46
.LBB12_8:
	s_load_dwordx2 s[30:31], s[0:1], 0x38
	s_ashr_i32 s12, s12, 31
	s_andn2_b64 vcc, exec, s[6:7]
	s_ashr_i32 s19, s19, 31
	s_cbranch_vccnz .LBB12_10
; %bb.9:
	s_mul_i32 s6, s5, s16
	s_add_i32 s6, s6, s2
	s_mul_i32 s6, s6, s11
	s_add_i32 s46, s6, 1
.LBB12_10:
	s_load_dword s6, s[0:1], 0x48
	s_load_dwordx2 s[36:37], s[0:1], 0x28
	s_load_dword s16, s[0:1], 0x98
	s_load_dwordx4 s[20:23], s[0:1], 0x0
	s_load_dwordx2 s[26:27], s[0:1], 0x10
	s_mul_i32 s7, s10, s25
	s_waitcnt lgkmcnt(0)
	s_mul_i32 s34, s28, s6
	s_sub_i32 s7, s9, s7
	s_ashr_i32 s35, s34, 31
	s_xor_b32 s6, s12, s19
	s_add_i32 s9, s10, 1
	s_sub_i32 s11, s7, s25
	s_cmp_ge_u32 s7, s25
	s_cselect_b32 s9, s9, s10
	s_cselect_b32 s7, s11, s7
	s_add_i32 s10, s9, 1
	s_cmp_ge_u32 s7, s25
	s_cselect_b32 s7, s10, s9
	s_xor_b32 s7, s7, s6
	s_sub_i32 s48, s7, s6
	s_add_i32 s6, s29, 7
	s_ashr_i32 s7, s6, 31
	s_lshr_b32 s7, s7, 29
	s_add_i32 s6, s6, s7
	s_lshl_b32 s38, s4, 6
	s_ashr_i32 s12, s6, 3
	s_add_i32 s6, s38, 64
	v_lshrrev_b32_e32 v7, 6, v0
	s_min_i32 s47, s6, s12
	v_or_b32_e32 v26, s38, v7
	v_cmp_gt_i32_e64 s[6:7], s47, v26
	v_mov_b32_e32 v12, 0xff7fffff
	s_mul_i32 s14, s8, s14
	v_ashrrev_i32_e32 v27, 31, v26
	v_lshl_add_u32 v32, v7, 3, s49
	v_mbcnt_lo_u32_b32 v8, -1, 0
	s_and_saveexec_b64 s[40:41], s[6:7]
	s_cbranch_execz .LBB12_20
; %bb.11:
	s_load_dwordx2 s[0:1], s[0:1], 0x20
	s_ashr_i32 s15, s14, 31
	s_sub_i32 s50, s48, s17
	s_lshl_b64 s[8:9], s[14:15], 2
	v_bfe_u32 v9, v0, 3, 3
	s_waitcnt lgkmcnt(0)
	s_add_u32 s0, s0, s8
	s_addc_u32 s1, s1, s9
	s_abs_i32 s15, s18
	v_cvt_f32_u32_e32 v3, s15
	v_lshlrev_b32_e32 v4, 4, v9
	v_mov_b32_e32 v5, 0
	v_lshl_add_u64 v[10:11], s[0:1], 0, v[4:5]
	v_rcp_iflag_f32_e32 v3, v3
	v_and_b32_e32 v4, 3, v0
	v_lshlrev_b32_e32 v4, 2, v4
	s_sub_i32 s8, 0, s15
	v_mul_f32_e32 v3, 0x4f7ffffe, v3
	v_cvt_u32_f32_e32 v3, v3
	v_cmp_eq_u32_e32 vcc, 0, v2
	v_lshl_add_u64 v[12:13], v[10:11], 0, v[4:5]
	v_lshlrev_b32_e32 v10, 6, v2
	v_mul_lo_u32 v2, s8, v3
	v_mul_hi_u32 v2, v3, v2
	v_add_u32_e32 v11, v3, v2
	v_lshlrev_b32_e32 v2, 5, v0
	v_lshlrev_b32_e32 v14, 2, v9
	v_and_b32_e32 v4, 0x80, v2
	v_lshl_add_u64 v[2:3], v[12:13], 0, v[4:5]
	s_lshl_b64 s[8:9], s[34:35], 2
	v_lshl_or_b32 v12, v7, 5, v14
	s_add_u32 s8, s30, s8
	v_add_u32_e32 v14, 0x210, v12
	v_subrev_u32_e32 v12, s29, v9
	v_mbcnt_hi_u32_b32 v17, -1, v8
	s_addc_u32 s9, s31, s9
	v_add_u32_e32 v15, 1, v12
	v_and_b32_e32 v12, 64, v17
	s_mov_b32 s51, s13
	v_cmp_neq_f32_e64 s[0:1], s3, 0
	v_lshl_add_u64 v[4:5], v[26:27], 2, s[8:9]
	v_lshl_add_u32 v13, v7, 3, s49
	s_mov_b64 s[42:43], 0
	v_mov_b32_e32 v16, 0xff7fffff
	v_add_u32_e32 v18, 64, v12
	v_xor_b32_e32 v19, 4, v17
	v_xor_b32_e32 v20, 2, v17
	;; [unrolled: 1-line block ×3, first 2 shown]
	v_mov_b32_e32 v12, 0xff7fffff
	v_mov_b32_e32 v22, v26
	s_branch .LBB12_14
.LBB12_12:                              ;   in Loop: Header=BB12_14 Depth=1
	s_or_b64 exec, exec, s[44:45]
.LBB12_13:                              ;   in Loop: Header=BB12_14 Depth=1
	s_or_b64 exec, exec, s[10:11]
	v_add_u32_e32 v22, 2, v22
	v_cmp_le_i32_e64 s[8:9], s47, v22
	v_lshl_add_u64 v[4:5], v[4:5], 0, 8
	v_add_u32_e32 v13, 16, v13
	s_or_b64 s[42:43], s[8:9], s[42:43]
	v_add_u32_e32 v14, 64, v14
	s_andn2_b64 exec, exec, s[42:43]
	s_cbranch_execz .LBB12_19
.LBB12_14:                              ; =>This Inner Loop Header: Depth=1
	s_waitcnt lgkmcnt(0)
	v_sub_u32_e32 v24, 0, v13
	v_max_i32_e32 v24, v13, v24
	v_mul_hi_u32 v25, v24, s33
	v_mul_lo_u32 v28, v25, s25
	v_sub_u32_e32 v24, v24, v28
	v_add_u32_e32 v28, 1, v25
	v_cmp_le_u32_e64 s[8:9], s25, v24
	v_ashrrev_i32_e32 v23, 31, v13
	v_xor_b32_e32 v23, s19, v23
	v_cndmask_b32_e64 v25, v25, v28, s[8:9]
	v_subrev_u32_e32 v28, s25, v24
	v_cndmask_b32_e64 v24, v24, v28, s[8:9]
	v_add_u32_e32 v28, 1, v25
	v_cmp_le_u32_e64 s[8:9], s25, v24
	s_nop 1
	v_cndmask_b32_e64 v24, v25, v28, s[8:9]
	v_xor_b32_e32 v24, v24, v23
	v_sub_u32_e32 v23, v24, v23
	v_add_u32_e32 v24, s46, v23
	v_sub_u32_e32 v28, 0, v24
	v_ashrrev_i32_e32 v25, 31, v24
	v_max_i32_e32 v24, v24, v28
	v_mul_hi_u32 v28, v24, v11
	v_mul_lo_u32 v28, v28, s15
	v_sub_u32_e32 v24, v24, v28
	v_subrev_u32_e32 v28, s15, v24
	v_cmp_le_u32_e64 s[8:9], s15, v24
	v_cmp_ge_i32_e64 s[10:11], s50, v23
	s_nop 0
	v_cndmask_b32_e64 v24, v24, v28, s[8:9]
	v_subrev_u32_e32 v28, s15, v24
	v_cmp_le_u32_e64 s[8:9], s15, v24
	s_nop 1
	v_cndmask_b32_e64 v24, v24, v28, s[8:9]
	v_xor_b32_e32 v24, v24, v25
	v_sub_u32_e32 v24, v24, v25
	v_cmp_ne_u32_e64 s[8:9], 0, v24
	s_and_b64 s[8:9], s[8:9], s[10:11]
	s_and_b64 s[44:45], vcc, s[8:9]
	s_and_saveexec_b64 s[10:11], s[44:45]
	s_cbranch_execz .LBB12_16
; %bb.15:                               ;   in Loop: Header=BB12_14 Depth=1
	ds_write_b32 v14, v16
.LBB12_16:                              ;   in Loop: Header=BB12_14 Depth=1
	s_or_b64 exec, exec, s[10:11]
	s_xor_b64 s[8:9], s[8:9], -1
	s_and_saveexec_b64 s[10:11], s[8:9]
	s_cbranch_execz .LBB12_13
; %bb.17:                               ;   in Loop: Header=BB12_14 Depth=1
	global_load_dword v23, v[4:5], off
	s_waitcnt vmcnt(0)
	v_mad_i64_i32 v[24:25], s[8:9], v23, s51, 0
	v_lshl_add_u64 v[24:25], v[24:25], 2, v[2:3]
	global_load_dword v23, v[24:25], off offset:256
	global_load_dword v33, v[24:25], off
	global_load_dword v46, v[24:25], off offset:512
	global_load_dword v47, v[24:25], off offset:768
	;; [unrolled: 1-line block ×14, first 2 shown]
	ds_read_b128 v[28:31], v10
	ds_read_b128 v[34:37], v10 offset:16
	ds_read_b128 v[38:41], v10 offset:32
	;; [unrolled: 1-line block ×3, first 2 shown]
	v_cmp_lt_i32_e64 s[8:9], v19, v18
	s_waitcnt vmcnt(15) lgkmcnt(3)
	v_mul_f32_e32 v23, v29, v23
	s_waitcnt vmcnt(14)
	v_fmac_f32_e32 v23, v28, v33
	s_waitcnt vmcnt(13)
	v_fmac_f32_e32 v23, v30, v46
	s_waitcnt vmcnt(12)
	v_fmac_f32_e32 v23, v31, v47
	s_waitcnt vmcnt(11) lgkmcnt(2)
	v_fmac_f32_e32 v23, v34, v48
	s_waitcnt vmcnt(10)
	v_fmac_f32_e32 v23, v35, v49
	s_waitcnt vmcnt(9)
	v_fmac_f32_e32 v23, v36, v50
	s_waitcnt vmcnt(8)
	v_fmac_f32_e32 v23, v37, v51
	s_waitcnt vmcnt(7) lgkmcnt(1)
	v_fmac_f32_e32 v23, v38, v52
	;; [unrolled: 8-line block ×3, first 2 shown]
	s_waitcnt vmcnt(2)
	v_fmac_f32_e32 v23, v43, v57
	v_cndmask_b32_e64 v24, v17, v19, s[8:9]
	s_waitcnt vmcnt(1)
	v_fmac_f32_e32 v23, v44, v58
	v_lshlrev_b32_e32 v24, 2, v24
	s_waitcnt vmcnt(0)
	v_fmac_f32_e32 v23, v45, v59
	ds_bpermute_b32 v24, v24, v23
	v_cmp_lt_i32_e64 s[8:9], v20, v18
	s_waitcnt lgkmcnt(0)
	v_add_f32_e32 v23, v23, v24
	v_cndmask_b32_e64 v25, v17, v20, s[8:9]
	v_lshlrev_b32_e32 v25, 2, v25
	ds_bpermute_b32 v24, v25, v23
	v_cmp_lt_i32_e64 s[8:9], v21, v18
	s_waitcnt lgkmcnt(0)
	v_add_f32_e32 v23, v23, v24
	v_cndmask_b32_e64 v25, v17, v21, s[8:9]
	v_lshlrev_b32_e32 v25, 2, v25
	ds_bpermute_b32 v24, v25, v23
	s_and_saveexec_b64 s[44:45], vcc
	s_cbranch_execz .LBB12_12
; %bb.18:                               ;   in Loop: Header=BB12_14 Depth=1
	v_add_u32_e32 v25, v15, v13
	v_cvt_f32_i32_e32 v25, v25
	s_waitcnt lgkmcnt(0)
	v_add_f32_e32 v23, v23, v24
	v_add_u32_e32 v28, v9, v13
	v_cmp_gt_i32_e64 s[8:9], s29, v28
	v_mul_f32_e32 v24, s3, v25
	v_cndmask_b32_e64 v24, 0, v24, s[0:1]
	v_fmac_f32_e32 v24, s39, v23
	v_cndmask_b32_e64 v23, 0, v24, s[8:9]
	ds_write_b32 v14, v23
	v_max_f32_e32 v23, v12, v12
	v_max_f32_e32 v23, v23, v24
	v_cndmask_b32_e64 v12, v12, v23, s[8:9]
	s_branch .LBB12_12
.LBB12_19:
	s_or_b64 exec, exec, s[42:43]
.LBB12_20:
	s_or_b64 exec, exec, s[40:41]
	v_mbcnt_hi_u32_b32 v2, -1, v8
	v_and_b32_e32 v3, 64, v2
	v_add_u32_e32 v3, 64, v3
	v_xor_b32_e32 v4, 32, v2
	v_cmp_lt_i32_e32 vcc, v4, v3
	v_xor_b32_e32 v9, 16, v2
	v_max_f32_e32 v5, v12, v12
	v_cndmask_b32_e32 v4, v2, v4, vcc
	v_lshlrev_b32_e32 v8, 2, v4
	ds_bpermute_b32 v4, v8, v12
	v_cmp_lt_i32_e32 vcc, v9, v3
	v_and_b32_e32 v33, 63, v0
	s_waitcnt lgkmcnt(0)
	v_max_f32_e32 v4, v4, v4
	v_max_f32_e32 v4, v5, v4
	v_cndmask_b32_e32 v5, v2, v9, vcc
	v_lshlrev_b32_e32 v10, 2, v5
	ds_bpermute_b32 v5, v10, v4
	v_xor_b32_e32 v9, 8, v2
	v_cmp_lt_i32_e32 vcc, v9, v3
	s_waitcnt lgkmcnt(0)
	v_max_f32_e32 v5, v5, v5
	v_max_f32_e32 v4, v4, v5
	v_cndmask_b32_e32 v5, v2, v9, vcc
	v_lshlrev_b32_e32 v11, 2, v5
	ds_bpermute_b32 v9, v11, v4
	v_cmp_eq_u32_e32 vcc, 0, v33
	v_lshlrev_b32_e32 v5, 2, v7
	s_and_saveexec_b64 s[0:1], vcc
	s_cbranch_execz .LBB12_22
; %bb.21:
	s_waitcnt lgkmcnt(0)
	v_max_f32_e32 v9, v9, v9
	v_max_f32_e32 v4, v4, v4
	;; [unrolled: 1-line block ×3, first 2 shown]
	ds_write_b32 v5, v4 offset:512
.LBB12_22:
	s_or_b64 exec, exec, s[0:1]
	v_cmp_gt_u32_e64 s[0:1], 2, v33
	v_mov_b32_e32 v4, 0xff7fffff
	s_waitcnt lgkmcnt(0)
	v_lshlrev_b32_e32 v9, 2, v33
	s_barrier
	s_and_saveexec_b64 s[8:9], s[0:1]
	s_cbranch_execz .LBB12_24
; %bb.23:
	ds_read_b32 v4, v9 offset:512
.LBB12_24:
	s_or_b64 exec, exec, s[8:9]
	v_xor_b32_e32 v12, 1, v2
	v_cmp_lt_i32_e64 s[8:9], v12, v3
	s_sub_i32 s3, s47, s38
	s_lshl_b32 s3, s3, 3
	v_cndmask_b32_e64 v12, v2, v12, s[8:9]
	v_lshlrev_b32_e32 v34, 2, v12
	s_waitcnt lgkmcnt(0)
	ds_bpermute_b32 v12, v34, v4
	v_max_f32_e32 v4, v4, v4
	s_add_i32 s3, s3, s49
	s_min_i32 s15, s3, s29
	s_sub_i32 s3, s15, s49
	s_waitcnt lgkmcnt(0)
	v_max_f32_e32 v12, v12, v12
	v_max_f32_e32 v4, v4, v12
	v_lshlrev_b32_e32 v12, 2, v2
	v_and_b32_e32 v12, 0x100, v12
	ds_bpermute_b32 v4, v12, v4
	v_cmp_gt_i32_e64 s[8:9], s3, v0
	v_mov_b32_e32 v13, 0
	s_and_saveexec_b64 s[38:39], s[8:9]
	s_cbranch_execz .LBB12_28
; %bb.25:
	v_mov_b32_e32 v13, 0x210
	v_lshl_add_u32 v14, v0, 2, v13
	s_mov_b64 s[40:41], 0
	v_mov_b32_e32 v13, 0
	v_mov_b32_e32 v15, v0
.LBB12_26:                              ; =>This Inner Loop Header: Depth=1
	ds_read_b32 v16, v14
	v_add_u32_e32 v15, 0x80, v15
	v_cmp_le_i32_e64 s[10:11], s3, v15
	s_or_b64 s[40:41], s[10:11], s[40:41]
	s_waitcnt lgkmcnt(0)
	v_sub_f32_e32 v16, v16, v4
	v_mul_f32_e32 v16, 0x3fb8aa3b, v16
	v_exp_f32_e32 v16, v16
	ds_write_b32 v14, v16
	v_add_f32_e32 v13, v13, v16
	v_add_u32_e32 v14, 0x200, v14
	s_andn2_b64 exec, exec, s[40:41]
	s_cbranch_execnz .LBB12_26
; %bb.27:
	s_or_b64 exec, exec, s[40:41]
.LBB12_28:
	s_or_b64 exec, exec, s[38:39]
	ds_bpermute_b32 v8, v8, v13
	s_waitcnt lgkmcnt(0)
	v_add_f32_e32 v8, v13, v8
	ds_bpermute_b32 v10, v10, v8
	s_waitcnt lgkmcnt(0)
	v_add_f32_e32 v8, v8, v10
	ds_bpermute_b32 v10, v11, v8
	v_xor_b32_e32 v11, 4, v2
	v_cmp_lt_i32_e64 s[10:11], v11, v3
	s_waitcnt lgkmcnt(0)
	v_add_f32_e32 v8, v8, v10
	v_cndmask_b32_e64 v11, v2, v11, s[10:11]
	v_lshlrev_b32_e32 v11, 2, v11
	ds_bpermute_b32 v10, v11, v8
	v_xor_b32_e32 v11, 2, v2
	v_cmp_lt_i32_e64 s[10:11], v11, v3
	s_waitcnt lgkmcnt(0)
	v_add_f32_e32 v3, v8, v10
	v_cndmask_b32_e64 v2, v2, v11, s[10:11]
	v_lshlrev_b32_e32 v2, 2, v2
	ds_bpermute_b32 v2, v2, v3
	s_waitcnt lgkmcnt(0)
	v_add_f32_e32 v2, v3, v2
	ds_bpermute_b32 v3, v34, v2
	s_waitcnt lgkmcnt(0)
	v_add_f32_e32 v2, v2, v3
	s_and_saveexec_b64 s[10:11], vcc
	s_cbranch_execz .LBB12_30
; %bb.29:
	ds_write_b32 v5, v2 offset:520
.LBB12_30:
	s_or_b64 exec, exec, s[10:11]
	s_waitcnt lgkmcnt(0)
	s_barrier
	s_and_saveexec_b64 s[10:11], s[0:1]
	s_cbranch_execz .LBB12_32
; %bb.31:
	ds_read_b32 v2, v9 offset:520
.LBB12_32:
	s_or_b64 exec, exec, s[10:11]
	s_waitcnt lgkmcnt(0)
	ds_bpermute_b32 v3, v34, v2
	s_waitcnt lgkmcnt(0)
	v_add_f32_e32 v2, v2, v3
	ds_bpermute_b32 v5, v12, v2
	s_and_saveexec_b64 s[0:1], s[8:9]
	s_cbranch_execz .LBB12_45
; %bb.33:
	s_waitcnt lgkmcnt(0)
	v_add_f32_e32 v2, 0x358637bd, v5
	v_div_scale_f32 v3, s[8:9], v2, v2, 1.0
	v_rcp_f32_e32 v8, v3
	v_div_scale_f32 v9, vcc, 1.0, v2, 1.0
	s_movk_i32 s8, 0x7f
	v_fma_f32 v10, -v3, v8, 1.0
	v_fmac_f32_e32 v8, v10, v8
	v_mul_f32_e32 v10, v9, v8
	v_fma_f32 v11, -v3, v10, v9
	v_fmac_f32_e32 v10, v11, v8
	v_fma_f32 v3, -v3, v10, v9
	v_div_fmas_f32 v3, v3, v8, v10
	v_div_fixup_f32 v2, v3, v2, 1.0
	v_xad_u32 v3, v0, -1, s15
	v_subrev_u32_e32 v8, s49, v3
	v_cmp_lt_u32_e32 vcc, s8, v8
	s_mov_b64 s[10:11], -1
	v_mov_b32_e32 v3, v0
	s_and_saveexec_b64 s[8:9], vcc
	s_cbranch_execz .LBB12_42
; %bb.34:
	v_lshrrev_b32_e32 v8, 7, v8
	v_add_u32_e32 v10, -1, v8
	v_lshrrev_b32_e32 v9, 1, v10
	v_mov_b32_e32 v3, v2
	v_add_u32_e32 v9, 1, v9
	v_cmp_lt_u32_e32 vcc, 13, v10
	v_mov_b32_e32 v12, 0
	s_and_saveexec_b64 s[10:11], vcc
	s_cbranch_execz .LBB12_38
; %bb.35:
	v_mov_b32_e32 v11, 0x210
	v_and_b32_e32 v10, -8, v9
	v_lshl_add_u32 v11, v0, 2, v11
	s_mov_b32 s15, 0
	s_mov_b64 s[38:39], 0
.LBB12_36:                              ; =>This Inner Loop Header: Depth=1
	ds_read2st64_b32 v[12:13], v11 offset1:2
	ds_read2st64_b32 v[14:15], v11 offset0:4 offset1:6
	ds_read2st64_b32 v[16:17], v11 offset0:8 offset1:10
	;; [unrolled: 1-line block ×3, first 2 shown]
	v_add_u32_e32 v10, -8, v10
	s_waitcnt lgkmcnt(3)
	v_pk_mul_f32 v[12:13], v[2:3], v[12:13]
	s_waitcnt lgkmcnt(2)
	v_pk_mul_f32 v[14:15], v[2:3], v[14:15]
	ds_write2st64_b32 v11, v12, v13 offset1:2
	ds_write2st64_b32 v11, v14, v15 offset0:4 offset1:6
	ds_read2st64_b32 v[14:15], v11 offset0:16 offset1:18
	s_waitcnt lgkmcnt(4)
	v_pk_mul_f32 v[12:13], v[2:3], v[16:17]
	ds_write2st64_b32 v11, v12, v13 offset0:8 offset1:10
	s_waitcnt lgkmcnt(4)
	v_pk_mul_f32 v[12:13], v[2:3], v[18:19]
	ds_write2st64_b32 v11, v12, v13 offset0:12 offset1:14
	ds_read2st64_b32 v[12:13], v11 offset0:20 offset1:22
	s_waitcnt lgkmcnt(3)
	v_pk_mul_f32 v[14:15], v[2:3], v[14:15]
	ds_read2st64_b32 v[16:17], v11 offset0:24 offset1:26
	ds_write2st64_b32 v11, v14, v15 offset0:16 offset1:18
	ds_read2st64_b32 v[14:15], v11 offset0:28 offset1:30
	s_waitcnt lgkmcnt(3)
	v_pk_mul_f32 v[12:13], v[2:3], v[12:13]
	ds_write2st64_b32 v11, v12, v13 offset0:20 offset1:22
	s_waitcnt lgkmcnt(3)
	v_pk_mul_f32 v[12:13], v[2:3], v[16:17]
	ds_write2st64_b32 v11, v12, v13 offset0:24 offset1:26
	s_waitcnt lgkmcnt(2)
	v_pk_mul_f32 v[12:13], v[2:3], v[14:15]
	s_add_i32 s15, s15, 16
	v_cmp_eq_u32_e32 vcc, 0, v10
	ds_write2st64_b32 v11, v12, v13 offset0:28 offset1:30
	v_add_u32_e32 v11, 0x2000, v11
	s_or_b64 s[38:39], vcc, s[38:39]
	v_mov_b32_e32 v12, s15
	s_andn2_b64 exec, exec, s[38:39]
	s_cbranch_execnz .LBB12_36
; %bb.37:
	s_or_b64 exec, exec, s[38:39]
.LBB12_38:
	s_or_b64 exec, exec, s[10:11]
	v_and_b32_e32 v9, 7, v9
	v_cmp_ne_u32_e32 vcc, 0, v9
	s_and_saveexec_b64 s[10:11], vcc
	s_cbranch_execz .LBB12_41
; %bb.39:
	v_lshlrev_b32_e32 v10, 9, v12
	s_movk_i32 s15, 0x210
	v_add3_u32 v10, v10, v6, s15
	s_mov_b64 s[38:39], 0
.LBB12_40:                              ; =>This Inner Loop Header: Depth=1
	ds_read2st64_b32 v[12:13], v10 offset1:2
	v_add_u32_e32 v9, -1, v9
	v_cmp_eq_u32_e32 vcc, 0, v9
	s_or_b64 s[38:39], vcc, s[38:39]
	s_waitcnt lgkmcnt(0)
	v_pk_mul_f32 v[12:13], v[2:3], v[12:13]
	ds_write2st64_b32 v10, v12, v13 offset1:2
	v_add_u32_e32 v10, 0x400, v10
	s_andn2_b64 exec, exec, s[38:39]
	s_cbranch_execnz .LBB12_40
.LBB12_41:
	s_or_b64 exec, exec, s[10:11]
	v_add_u32_e32 v8, 1, v8
	v_and_b32_e32 v9, 0x3fffffe, v8
	v_cmp_ne_u32_e32 vcc, v8, v9
	v_lshl_add_u32 v3, v9, 7, v0
	s_orn2_b64 s[10:11], vcc, exec
.LBB12_42:
	s_or_b64 exec, exec, s[8:9]
	s_and_b64 exec, exec, s[10:11]
	s_cbranch_execz .LBB12_45
; %bb.43:
	v_mov_b32_e32 v8, 0x210
	v_lshl_add_u32 v8, v3, 2, v8
	s_mov_b64 s[8:9], 0
.LBB12_44:                              ; =>This Inner Loop Header: Depth=1
	ds_read_b32 v9, v8
	v_add_u32_e32 v3, 0x80, v3
	v_cmp_le_i32_e32 vcc, s3, v3
	s_or_b64 s[8:9], vcc, s[8:9]
	s_waitcnt lgkmcnt(0)
	v_mul_f32_e32 v9, v2, v9
	ds_write_b32 v8, v9
	v_add_u32_e32 v8, 0x200, v8
	s_andn2_b64 exec, exec, s[8:9]
	s_cbranch_execnz .LBB12_44
.LBB12_45:
	s_or_b64 exec, exec, s[0:1]
	s_mul_i32 s0, s16, s28
	v_cmp_eq_u32_e32 vcc, 0, v0
	s_mul_i32 s8, s0, s5
	s_waitcnt lgkmcnt(0)
	s_barrier
	s_and_saveexec_b64 s[0:1], vcc
	s_cbranch_execz .LBB12_47
; %bb.46:
	s_ashr_i32 s9, s8, 31
	s_lshl_b64 s[10:11], s[8:9], 2
	s_add_u32 s5, s22, s10
	s_mul_i32 s2, s16, s2
	s_addc_u32 s9, s23, s11
	s_ashr_i32 s3, s2, 31
	s_lshl_b64 s[2:3], s[2:3], 2
	s_add_u32 s15, s5, s2
	s_addc_u32 s9, s9, s3
	s_ashr_i32 s5, s4, 31
	s_lshl_b64 s[22:23], s[4:5], 2
	s_add_u32 s38, s15, s22
	s_addc_u32 s39, s9, s23
	s_add_u32 s5, s20, s10
	s_addc_u32 s9, s21, s11
	;; [unrolled: 2-line block ×3, first 2 shown]
	s_add_u32 s2, s2, s22
	v_mov_b32_e32 v2, 0
	s_addc_u32 s3, s3, s23
	global_store_dword v2, v4, s[38:39]
	global_store_dword v2, v5, s[2:3]
.LBB12_47:
	s_or_b64 exec, exec, s[0:1]
	v_mov_b32_e32 v5, 0
	v_and_b32_e32 v35, 1, v0
	v_mov_b32_e32 v4, 0
	v_mov_b32_e32 v3, 0
	;; [unrolled: 1-line block ×3, first 2 shown]
	s_and_saveexec_b64 s[2:3], s[6:7]
	s_cbranch_execz .LBB12_61
; %bb.48:
	s_ashr_i32 s15, s14, 31
	s_sub_i32 s5, s48, s17
	s_lshl_b64 s[0:1], s[14:15], 2
	s_add_u32 s0, s36, s0
	s_addc_u32 s1, s37, s1
	s_abs_i32 s9, s18
	v_cvt_f32_u32_e32 v2, s9
	s_sub_i32 s6, 0, s9
	v_lshlrev_b32_e32 v4, 4, v0
	v_mov_b32_e32 v3, 0
	v_rcp_iflag_f32_e32 v2, v2
	s_add_i32 s15, s12, -1
	s_mov_b32 s20, 0
	s_mov_b32 s21, s20
	v_mul_f32_e32 v2, 0x4f7ffffe, v2
	v_cvt_u32_f32_e32 v2, v2
	s_mov_b32 s22, s20
	s_mov_b32 s23, s20
	v_and_b32_e32 v36, 4, v6
	v_mul_lo_u32 v5, s6, v2
	v_mul_hi_u32 v5, v2, v5
	v_add_u32_e32 v37, v2, v5
	v_and_b32_e32 v2, 0x3f0, v4
	v_lshl_add_u64 v[28:29], s[0:1], 0, v[2:3]
	s_lshl_b64 s[0:1], s[34:35], 2
	s_add_u32 s0, s30, s0
	v_lshlrev_b32_e32 v2, 4, v35
	s_addc_u32 s1, s31, s1
	v_lshl_or_b32 v2, v7, 5, v2
	v_lshl_add_u64 v[30:31], v[26:27], 2, s[0:1]
	v_add_u32_e32 v27, 0x210, v2
	v_mov_b64_e32 v[2:3], s[20:21]
	s_mov_b32 s14, s13
	s_mov_b64 s[6:7], 0
	v_mov_b64_e32 v[4:5], s[22:23]
	s_branch .LBB12_51
.LBB12_49:                              ;   in Loop: Header=BB12_51 Depth=1
	s_or_b64 exec, exec, s[0:1]
	s_waitcnt vmcnt(3) lgkmcnt(0)
	v_mul_f32_e32 v11, v7, v11
	v_fmac_f32_e32 v11, v6, v10
	s_waitcnt vmcnt(2)
	v_mul_f32_e32 v10, v7, v15
	v_fmac_f32_e32 v10, v6, v14
	v_fmac_f32_e32 v10, v8, v16
	;; [unrolled: 1-line block ×3, first 2 shown]
	v_add_f32_e32 v3, v3, v10
	s_waitcnt vmcnt(1)
	v_mul_f32_e32 v10, v7, v19
	s_waitcnt vmcnt(0)
	v_mul_f32_e32 v7, v7, v23
	v_fmac_f32_e32 v10, v6, v18
	v_fmac_f32_e32 v7, v6, v22
	;; [unrolled: 1-line block ×8, first 2 shown]
	v_add_f32_e32 v2, v2, v11
	v_add_f32_e32 v4, v4, v10
	;; [unrolled: 1-line block ×3, first 2 shown]
.LBB12_50:                              ;   in Loop: Header=BB12_51 Depth=1
	s_or_b64 exec, exec, s[10:11]
	v_add_u32_e32 v26, 2, v26
	v_cmp_le_i32_e32 vcc, s47, v26
	v_lshl_add_u64 v[30:31], v[30:31], 0, 8
	v_add_u32_e32 v32, 16, v32
	s_or_b64 s[6:7], vcc, s[6:7]
	v_add_u32_e32 v27, 64, v27
	s_andn2_b64 exec, exec, s[6:7]
	s_cbranch_execz .LBB12_60
.LBB12_51:                              ; =>This Inner Loop Header: Depth=1
	v_sub_u32_e32 v7, 0, v32
	v_max_i32_e32 v7, v32, v7
	v_mul_hi_u32 v8, v7, s33
	v_mul_lo_u32 v9, v8, s25
	v_sub_u32_e32 v7, v7, v9
	v_add_u32_e32 v9, 1, v8
	v_cmp_le_u32_e32 vcc, s25, v7
	v_ashrrev_i32_e32 v6, 31, v32
	v_xor_b32_e32 v6, s19, v6
	v_cndmask_b32_e32 v8, v8, v9, vcc
	v_subrev_u32_e32 v9, s25, v7
	v_cndmask_b32_e32 v7, v7, v9, vcc
	v_add_u32_e32 v9, 1, v8
	v_cmp_le_u32_e32 vcc, s25, v7
	s_nop 1
	v_cndmask_b32_e32 v7, v8, v9, vcc
	v_xor_b32_e32 v7, v7, v6
	v_sub_u32_e32 v6, v7, v6
	v_add_u32_e32 v7, s46, v6
	v_sub_u32_e32 v9, 0, v7
	v_ashrrev_i32_e32 v8, 31, v7
	v_max_i32_e32 v7, v7, v9
	v_mul_hi_u32 v9, v7, v37
	v_mul_lo_u32 v9, v9, s9
	v_sub_u32_e32 v7, v7, v9
	v_subrev_u32_e32 v9, s9, v7
	v_cmp_le_u32_e32 vcc, s9, v7
	v_cmp_lt_i32_e64 s[0:1], s5, v6
	s_nop 0
	v_cndmask_b32_e32 v7, v7, v9, vcc
	v_subrev_u32_e32 v9, s9, v7
	v_cmp_le_u32_e32 vcc, s9, v7
	s_nop 1
	v_cndmask_b32_e32 v7, v7, v9, vcc
	v_xor_b32_e32 v7, v7, v8
	v_sub_u32_e32 v7, v7, v8
	v_cmp_eq_u32_e32 vcc, 0, v7
	s_or_b64 s[0:1], vcc, s[0:1]
	s_and_saveexec_b64 s[10:11], s[0:1]
	s_cbranch_execz .LBB12_50
; %bb.52:                               ;   in Loop: Header=BB12_51 Depth=1
	global_load_dword v6, v[30:31], off
	v_add_u32_e32 v38, v36, v32
	v_cmp_eq_u32_e32 vcc, s15, v26
	v_add_u32_e32 v41, 1, v38
	v_add_u32_e32 v40, 2, v38
	;; [unrolled: 1-line block ×3, first 2 shown]
	s_waitcnt vmcnt(0)
	v_mad_i64_i32 v[6:7], s[0:1], v6, s14, 0
	v_lshl_add_u64 v[22:23], v[6:7], 2, v[28:29]
	global_load_dwordx4 v[10:13], v[22:23], off
	ds_read_b128 v[6:9], v27
	s_and_saveexec_b64 s[12:13], vcc
	s_cbranch_execnz .LBB12_56
; %bb.53:                               ;   in Loop: Header=BB12_51 Depth=1
	s_or_b64 exec, exec, s[12:13]
	global_load_dwordx4 v[14:17], v[22:23], off offset:1024
	s_and_saveexec_b64 s[12:13], vcc
	s_cbranch_execnz .LBB12_57
.LBB12_54:                              ;   in Loop: Header=BB12_51 Depth=1
	s_or_b64 exec, exec, s[12:13]
	global_load_dwordx4 v[18:21], v[22:23], off offset:2048
	s_and_saveexec_b64 s[12:13], vcc
	s_cbranch_execnz .LBB12_58
.LBB12_55:                              ;   in Loop: Header=BB12_51 Depth=1
	s_or_b64 exec, exec, s[12:13]
	global_load_dwordx4 v[22:25], v[22:23], off offset:3072
	s_and_saveexec_b64 s[0:1], vcc
	s_cbranch_execz .LBB12_49
	s_branch .LBB12_59
.LBB12_56:                              ;   in Loop: Header=BB12_51 Depth=1
	v_cmp_gt_i32_e64 s[0:1], s29, v38
	s_waitcnt vmcnt(0)
	s_nop 0
	v_cndmask_b32_e64 v10, 0, v10, s[0:1]
	v_cmp_gt_i32_e64 s[0:1], s29, v41
	s_nop 1
	v_cndmask_b32_e64 v11, 0, v11, s[0:1]
	v_cmp_gt_i32_e64 s[0:1], s29, v40
	s_nop 1
	v_cndmask_b32_e64 v12, 0, v12, s[0:1]
	v_cmp_gt_i32_e64 s[0:1], s29, v39
	s_nop 1
	v_cndmask_b32_e64 v13, 0, v13, s[0:1]
	s_or_b64 exec, exec, s[12:13]
	global_load_dwordx4 v[14:17], v[22:23], off offset:1024
	s_and_saveexec_b64 s[12:13], vcc
	s_cbranch_execz .LBB12_54
.LBB12_57:                              ;   in Loop: Header=BB12_51 Depth=1
	v_cmp_gt_i32_e64 s[0:1], s29, v38
	s_waitcnt vmcnt(0)
	s_nop 0
	v_cndmask_b32_e64 v14, 0, v14, s[0:1]
	v_cmp_gt_i32_e64 s[0:1], s29, v41
	s_nop 1
	v_cndmask_b32_e64 v15, 0, v15, s[0:1]
	v_cmp_gt_i32_e64 s[0:1], s29, v40
	;; [unrolled: 3-line block ×3, first 2 shown]
	s_nop 1
	v_cndmask_b32_e64 v17, 0, v17, s[0:1]
	s_or_b64 exec, exec, s[12:13]
	global_load_dwordx4 v[18:21], v[22:23], off offset:2048
	s_and_saveexec_b64 s[12:13], vcc
	s_cbranch_execz .LBB12_55
.LBB12_58:                              ;   in Loop: Header=BB12_51 Depth=1
	v_cmp_gt_i32_e64 s[0:1], s29, v38
	s_waitcnt vmcnt(0)
	s_nop 0
	v_cndmask_b32_e64 v18, 0, v18, s[0:1]
	v_cmp_gt_i32_e64 s[0:1], s29, v41
	s_nop 1
	v_cndmask_b32_e64 v19, 0, v19, s[0:1]
	v_cmp_gt_i32_e64 s[0:1], s29, v40
	;; [unrolled: 3-line block ×3, first 2 shown]
	s_nop 1
	v_cndmask_b32_e64 v21, 0, v21, s[0:1]
	s_or_b64 exec, exec, s[12:13]
	global_load_dwordx4 v[22:25], v[22:23], off offset:3072
	s_and_saveexec_b64 s[0:1], vcc
	s_cbranch_execz .LBB12_49
.LBB12_59:                              ;   in Loop: Header=BB12_51 Depth=1
	v_cmp_gt_i32_e32 vcc, s29, v38
	s_waitcnt vmcnt(0)
	s_nop 0
	v_cndmask_b32_e32 v22, 0, v22, vcc
	v_cmp_gt_i32_e32 vcc, s29, v41
	s_nop 1
	v_cndmask_b32_e32 v23, 0, v23, vcc
	v_cmp_gt_i32_e32 vcc, s29, v40
	;; [unrolled: 3-line block ×3, first 2 shown]
	s_nop 1
	v_cndmask_b32_e32 v25, 0, v25, vcc
	s_branch .LBB12_49
.LBB12_60:
	s_or_b64 exec, exec, s[6:7]
.LBB12_61:
	s_or_b64 exec, exec, s[2:3]
	ds_bpermute_b32 v6, v34, v2
	ds_bpermute_b32 v7, v34, v3
	;; [unrolled: 1-line block ×4, first 2 shown]
	s_waitcnt lgkmcnt(0)
	s_barrier
	v_pk_add_f32 v[2:3], v[2:3], v[6:7]
	v_and_b32_e32 v6, 0x3c1, v0
	v_pk_add_f32 v[4:5], v[4:5], v[8:9]
	v_cmp_eq_u32_e32 vcc, 64, v6
	s_and_saveexec_b64 s[0:1], vcc
	s_cbranch_execz .LBB12_63
; %bb.62:
	v_mov_b32_e32 v7, 0x210
	v_lshl_add_u32 v7, v33, 1, v7
	ds_write2_b32 v7, v2, v3 offset1:32
	ds_write2_b32 v7, v4, v5 offset0:64 offset1:96
.LBB12_63:
	s_or_b64 exec, exec, s[0:1]
	v_cmp_gt_u32_e32 vcc, 64, v0
	s_waitcnt lgkmcnt(0)
	s_barrier
	s_and_saveexec_b64 s[0:1], vcc
	s_cbranch_execz .LBB12_70
; %bb.64:
	v_cmp_eq_u32_e32 vcc, 0, v35
	s_and_saveexec_b64 s[2:3], vcc
	s_cbranch_execnz .LBB12_73
; %bb.65:
	s_or_b64 exec, exec, s[2:3]
	s_and_saveexec_b64 s[2:3], vcc
	s_cbranch_execnz .LBB12_74
.LBB12_66:
	s_or_b64 exec, exec, s[2:3]
	s_and_saveexec_b64 s[2:3], vcc
	s_cbranch_execnz .LBB12_75
.LBB12_67:
	s_or_b64 exec, exec, s[2:3]
	s_and_saveexec_b64 s[2:3], vcc
	s_cbranch_execz .LBB12_69
.LBB12_68:
	v_mov_b32_e32 v7, 0x210
	v_lshl_add_u32 v1, v1, 2, v7
	ds_read_b32 v1, v1 offset:384
	s_waitcnt lgkmcnt(0)
	v_add_f32_e32 v5, v5, v1
.LBB12_69:
	s_or_b64 exec, exec, s[2:3]
.LBB12_70:
	s_or_b64 exec, exec, s[0:1]
	v_cmp_eq_u32_e32 vcc, 0, v6
	s_barrier
	s_and_saveexec_b64 s[0:1], vcc
	s_cbranch_execz .LBB12_72
; %bb.71:
	s_lshl_b32 s0, s8, 7
	s_ashr_i32 s1, s0, 31
	s_lshl_b64 s[0:1], s[0:1], 2
	s_add_u32 s2, s26, s0
	s_mul_i32 s0, s16, s24
	s_addc_u32 s3, s27, s1
	s_ashr_i32 s1, s0, 31
	s_lshl_b64 s[0:1], s[0:1], 2
	s_add_u32 s2, s2, s0
	s_addc_u32 s3, s3, s1
	s_lshl_b32 s0, s4, 7
	s_ashr_i32 s1, s0, 31
	s_lshl_b64 s[0:1], s[0:1], 2
	s_add_u32 s0, s2, s0
	s_addc_u32 s1, s3, s1
	v_lshlrev_b32_e32 v0, 1, v0
	global_store_dword v0, v2, s[0:1]
	global_store_dword v0, v3, s[0:1] offset:128
	global_store_dword v0, v4, s[0:1] offset:256
	;; [unrolled: 1-line block ×3, first 2 shown]
.LBB12_72:
	s_endpgm
.LBB12_73:
	v_mov_b32_e32 v7, 0x210
	v_lshl_add_u32 v7, v1, 2, v7
	ds_read_b32 v7, v7
	s_waitcnt lgkmcnt(0)
	v_add_f32_e32 v2, v2, v7
	s_or_b64 exec, exec, s[2:3]
	s_and_saveexec_b64 s[2:3], vcc
	s_cbranch_execz .LBB12_66
.LBB12_74:
	v_mov_b32_e32 v7, 0x210
	v_lshl_add_u32 v7, v1, 2, v7
	ds_read_b32 v7, v7 offset:128
	s_waitcnt lgkmcnt(0)
	v_add_f32_e32 v3, v3, v7
	s_or_b64 exec, exec, s[2:3]
	s_and_saveexec_b64 s[2:3], vcc
	s_cbranch_execz .LBB12_67
.LBB12_75:
	v_mov_b32_e32 v7, 0x210
	v_lshl_add_u32 v7, v1, 2, v7
	ds_read_b32 v7, v7 offset:256
	s_waitcnt lgkmcnt(0)
	v_add_f32_e32 v4, v4, v7
	s_or_b64 exec, exec, s[2:3]
	s_and_saveexec_b64 s[2:3], vcc
	s_cbranch_execnz .LBB12_68
	s_branch .LBB12_69
	.section	.rodata,"a",@progbits
	.p2align	6, 0x0
	.amdhsa_kernel _ZN4vllm25paged_attention_v2_kernelIffLi128ELi8ELi128ELNS_18Fp8KVCacheDataTypeE0ELb1ELi512EEEvPfS2_PT_PKS3_PKT0_S9_ifPKiSB_iPKfiiiSD_SD_iiiii
		.amdhsa_group_segment_fixed_size 528
		.amdhsa_private_segment_fixed_size 0
		.amdhsa_kernarg_size 400
		.amdhsa_user_sgpr_count 2
		.amdhsa_user_sgpr_dispatch_ptr 0
		.amdhsa_user_sgpr_queue_ptr 0
		.amdhsa_user_sgpr_kernarg_segment_ptr 1
		.amdhsa_user_sgpr_dispatch_id 0
		.amdhsa_user_sgpr_kernarg_preload_length 0
		.amdhsa_user_sgpr_kernarg_preload_offset 0
		.amdhsa_user_sgpr_private_segment_size 0
		.amdhsa_uses_dynamic_stack 0
		.amdhsa_enable_private_segment 0
		.amdhsa_system_sgpr_workgroup_id_x 1
		.amdhsa_system_sgpr_workgroup_id_y 1
		.amdhsa_system_sgpr_workgroup_id_z 1
		.amdhsa_system_sgpr_workgroup_info 0
		.amdhsa_system_vgpr_workitem_id 0
		.amdhsa_next_free_vgpr 60
		.amdhsa_next_free_sgpr 52
		.amdhsa_accum_offset 60
		.amdhsa_reserve_vcc 1
		.amdhsa_float_round_mode_32 0
		.amdhsa_float_round_mode_16_64 0
		.amdhsa_float_denorm_mode_32 3
		.amdhsa_float_denorm_mode_16_64 3
		.amdhsa_dx10_clamp 1
		.amdhsa_ieee_mode 1
		.amdhsa_fp16_overflow 0
		.amdhsa_tg_split 0
		.amdhsa_exception_fp_ieee_invalid_op 0
		.amdhsa_exception_fp_denorm_src 0
		.amdhsa_exception_fp_ieee_div_zero 0
		.amdhsa_exception_fp_ieee_overflow 0
		.amdhsa_exception_fp_ieee_underflow 0
		.amdhsa_exception_fp_ieee_inexact 0
		.amdhsa_exception_int_div_zero 0
	.end_amdhsa_kernel
	.section	.text._ZN4vllm25paged_attention_v2_kernelIffLi128ELi8ELi128ELNS_18Fp8KVCacheDataTypeE0ELb1ELi512EEEvPfS2_PT_PKS3_PKT0_S9_ifPKiSB_iPKfiiiSD_SD_iiiii,"axG",@progbits,_ZN4vllm25paged_attention_v2_kernelIffLi128ELi8ELi128ELNS_18Fp8KVCacheDataTypeE0ELb1ELi512EEEvPfS2_PT_PKS3_PKT0_S9_ifPKiSB_iPKfiiiSD_SD_iiiii,comdat
.Lfunc_end12:
	.size	_ZN4vllm25paged_attention_v2_kernelIffLi128ELi8ELi128ELNS_18Fp8KVCacheDataTypeE0ELb1ELi512EEEvPfS2_PT_PKS3_PKT0_S9_ifPKiSB_iPKfiiiSD_SD_iiiii, .Lfunc_end12-_ZN4vllm25paged_attention_v2_kernelIffLi128ELi8ELi128ELNS_18Fp8KVCacheDataTypeE0ELb1ELi512EEEvPfS2_PT_PKS3_PKT0_S9_ifPKiSB_iPKfiiiSD_SD_iiiii
                                        ; -- End function
	.section	.AMDGPU.csdata,"",@progbits
; Kernel info:
; codeLenInByte = 4884
; NumSgprs: 58
; NumVgprs: 60
; NumAgprs: 0
; TotalNumVgprs: 60
; ScratchSize: 0
; MemoryBound: 0
; FloatMode: 240
; IeeeMode: 1
; LDSByteSize: 528 bytes/workgroup (compile time only)
; SGPRBlocks: 7
; VGPRBlocks: 7
; NumSGPRsForWavesPerEU: 58
; NumVGPRsForWavesPerEU: 60
; AccumOffset: 60
; Occupancy: 8
; WaveLimiterHint : 1
; COMPUTE_PGM_RSRC2:SCRATCH_EN: 0
; COMPUTE_PGM_RSRC2:USER_SGPR: 2
; COMPUTE_PGM_RSRC2:TRAP_HANDLER: 0
; COMPUTE_PGM_RSRC2:TGID_X_EN: 1
; COMPUTE_PGM_RSRC2:TGID_Y_EN: 1
; COMPUTE_PGM_RSRC2:TGID_Z_EN: 1
; COMPUTE_PGM_RSRC2:TIDIG_COMP_CNT: 0
; COMPUTE_PGM_RSRC3_GFX90A:ACCUM_OFFSET: 14
; COMPUTE_PGM_RSRC3_GFX90A:TG_SPLIT: 0
	.section	.text._ZN4vllm32paged_attention_v2_reduce_kernelIfLi128ELi128ELi512EEEvPT_PKfS4_PKS1_PKii,"axG",@progbits,_ZN4vllm32paged_attention_v2_reduce_kernelIfLi128ELi128ELi512EEEvPT_PKfS4_PKS1_PKii,comdat
	.protected	_ZN4vllm32paged_attention_v2_reduce_kernelIfLi128ELi128ELi512EEEvPT_PKfS4_PKS1_PKii ; -- Begin function _ZN4vllm32paged_attention_v2_reduce_kernelIfLi128ELi128ELi512EEEvPT_PKfS4_PKS1_PKii
	.globl	_ZN4vllm32paged_attention_v2_reduce_kernelIfLi128ELi128ELi512EEEvPT_PKfS4_PKS1_PKii
	.p2align	8
	.type	_ZN4vllm32paged_attention_v2_reduce_kernelIfLi128ELi128ELi512EEEvPT_PKfS4_PKS1_PKii,@function
_ZN4vllm32paged_attention_v2_reduce_kernelIfLi128ELi128ELi512EEEvPT_PKfS4_PKS1_PKii: ; @_ZN4vllm32paged_attention_v2_reduce_kernelIfLi128ELi128ELi512EEEvPT_PKfS4_PKS1_PKii
; %bb.0:
	s_load_dwordx4 s[8:11], s[0:1], 0x18
	s_add_u32 s6, s0, 48
	s_mov_b32 s12, s3
	s_addc_u32 s7, s1, 0
	s_ashr_i32 s13, s3, 31
	s_lshl_b64 s[4:5], s[12:13], 2
	s_waitcnt lgkmcnt(0)
	s_add_u32 s4, s10, s4
	s_addc_u32 s5, s11, s5
	s_load_dword s26, s[4:5], 0x0
	s_load_dwordx2 s[10:11], s[0:1], 0x0
	s_load_dword s3, s[0:1], 0x28
	s_load_dword s13, s[0:1], 0x30
	s_waitcnt lgkmcnt(0)
	s_add_i32 s4, s26, -1
	s_cmpk_gt_u32 s4, 0x1ff
	s_mov_b64 s[4:5], -1
	s_cbranch_scc0 .LBB13_25
; %bb.1:
	s_add_i32 s4, s26, 0x1ff
	s_load_dwordx2 s[18:19], s[0:1], 0x8
	s_ashr_i32 s5, s4, 31
	s_lshr_b32 s5, s5, 23
	s_add_i32 s4, s4, s5
	s_mul_i32 s24, s13, s12
	s_ashr_i32 s25, s4, 9
	s_mul_i32 s14, s24, s3
	s_mul_i32 s16, s2, s3
	s_ashr_i32 s15, s14, 31
	s_ashr_i32 s17, s16, 31
	v_cmp_gt_i32_e32 vcc, s25, v0
	v_mov_b32_e32 v4, 0xff7fffff
	s_and_saveexec_b64 s[4:5], vcc
	s_cbranch_execz .LBB13_5
; %bb.2:
	s_load_dword s20, s[6:7], 0xc
	s_load_dwordx2 s[22:23], s[0:1], 0x10
	s_lshl_b64 s[0:1], s[14:15], 2
	s_lshl_b64 s[28:29], s[16:17], 2
	v_lshlrev_b32_e32 v4, 2, v0
	s_waitcnt lgkmcnt(0)
	s_and_b32 s27, s20, 0xffff
	s_add_u32 s0, s0, s28
	s_addc_u32 s1, s1, s29
	s_add_u32 s0, s22, s0
	v_mov_b32_e32 v5, 0
	s_addc_u32 s1, s23, s1
	s_mov_b32 s21, 0
	v_lshl_add_u64 v[2:3], s[0:1], 0, v[4:5]
	s_lshl_b32 s20, s27, 2
	v_add_u32_e32 v1, 16, v4
	s_mov_b64 s[22:23], 0
	v_mov_b32_e32 v4, 0xff7fffff
	v_mov_b32_e32 v5, v0
.LBB13_3:                               ; =>This Inner Loop Header: Depth=1
	global_load_dword v6, v[2:3], off
	v_add_u32_e32 v5, s27, v5
	v_max_f32_e32 v4, v4, v4
	v_cmp_le_i32_e64 s[0:1], s25, v5
	v_lshl_add_u64 v[2:3], v[2:3], 0, s[20:21]
	s_or_b64 s[22:23], s[0:1], s[22:23]
	s_waitcnt vmcnt(0)
	ds_write_b32 v1, v6
	v_max_f32_e32 v6, v6, v6
	v_add_u32_e32 v1, s20, v1
	v_max_f32_e32 v4, v4, v6
	s_andn2_b64 exec, exec, s[22:23]
	s_cbranch_execnz .LBB13_3
; %bb.4:
	s_or_b64 exec, exec, s[22:23]
.LBB13_5:
	s_or_b64 exec, exec, s[4:5]
	v_mbcnt_lo_u32_b32 v1, -1, 0
	v_mbcnt_hi_u32_b32 v2, -1, v1
	v_and_b32_e32 v1, 64, v2
	v_add_u32_e32 v5, 64, v1
	v_xor_b32_e32 v1, 32, v2
	v_cmp_lt_i32_e64 s[0:1], v1, v5
	v_xor_b32_e32 v6, 16, v2
	v_xor_b32_e32 v7, 8, v2
	v_cndmask_b32_e64 v1, v2, v1, s[0:1]
	v_lshlrev_b32_e32 v1, 2, v1
	ds_bpermute_b32 v3, v1, v4
	v_max_f32_e32 v4, v4, v4
	v_cmp_lt_i32_e64 s[0:1], v6, v5
	v_lshrrev_b32_e32 v11, 6, v0
	v_lshlrev_b32_e32 v11, 2, v11
	s_waitcnt lgkmcnt(0)
	v_max_f32_e32 v3, v3, v3
	v_max_f32_e32 v3, v4, v3
	v_cndmask_b32_e64 v4, v2, v6, s[0:1]
	v_lshlrev_b32_e32 v6, 2, v4
	ds_bpermute_b32 v4, v6, v3
	v_cmp_lt_i32_e64 s[0:1], v7, v5
	s_waitcnt lgkmcnt(0)
	s_barrier
	v_max_f32_e32 v4, v4, v4
	v_max_f32_e32 v3, v3, v4
	v_cndmask_b32_e64 v4, v2, v7, s[0:1]
	v_lshlrev_b32_e32 v8, 2, v4
	ds_bpermute_b32 v4, v8, v3
	v_xor_b32_e32 v7, 4, v2
	v_cmp_lt_i32_e64 s[0:1], v7, v5
	s_waitcnt lgkmcnt(0)
	v_max_f32_e32 v4, v4, v4
	v_max_f32_e32 v3, v3, v4
	v_cndmask_b32_e64 v4, v2, v7, s[0:1]
	v_lshlrev_b32_e32 v9, 2, v4
	ds_bpermute_b32 v4, v9, v3
	v_xor_b32_e32 v7, 2, v2
	v_cmp_lt_i32_e64 s[0:1], v7, v5
	s_waitcnt lgkmcnt(0)
	v_max_f32_e32 v4, v4, v4
	v_max_f32_e32 v4, v3, v4
	v_cndmask_b32_e64 v3, v2, v7, s[0:1]
	v_lshlrev_b32_e32 v10, 2, v3
	ds_bpermute_b32 v7, v10, v4
	v_and_b32_e32 v3, 63, v0
	s_waitcnt lgkmcnt(0)
	v_max_f32_e32 v7, v7, v7
	v_max_f32_e32 v4, v4, v7
	v_xor_b32_e32 v7, 1, v2
	v_cmp_lt_i32_e64 s[0:1], v7, v5
	s_nop 1
	v_cndmask_b32_e64 v5, v2, v7, s[0:1]
	v_lshlrev_b32_e32 v7, 2, v5
	ds_bpermute_b32 v5, v7, v4
	v_cmp_eq_u32_e64 s[0:1], 0, v3
	s_and_saveexec_b64 s[4:5], s[0:1]
	s_cbranch_execz .LBB13_7
; %bb.6:
	s_waitcnt lgkmcnt(0)
	v_max_f32_e32 v5, v5, v5
	v_max_f32_e32 v4, v4, v4
	;; [unrolled: 1-line block ×3, first 2 shown]
	ds_write_b32 v11, v4
.LBB13_7:
	s_or_b64 exec, exec, s[4:5]
	v_cmp_gt_u32_e64 s[4:5], 2, v3
	v_mov_b32_e32 v4, 0xff7fffff
	v_lshlrev_b32_e32 v12, 2, v3
	s_waitcnt lgkmcnt(0)
	s_barrier
	s_and_saveexec_b64 s[20:21], s[4:5]
	s_cbranch_execz .LBB13_9
; %bb.8:
	ds_read_b32 v4, v12
.LBB13_9:
	s_or_b64 exec, exec, s[20:21]
	s_waitcnt lgkmcnt(0)
	ds_bpermute_b32 v3, v7, v4
	v_max_f32_e32 v4, v4, v4
	v_lshlrev_b32_e32 v2, 2, v2
	v_and_b32_e32 v13, 0x100, v2
	s_lshl_b32 s27, s25, 2
	s_waitcnt lgkmcnt(0)
	v_max_f32_e32 v3, v3, v3
	v_max_f32_e32 v3, v4, v3
	ds_bpermute_b32 v14, v13, v3
	v_mov_b32_e32 v3, 0
	s_and_saveexec_b64 s[20:21], vcc
	s_cbranch_execz .LBB13_13
; %bb.10:
	s_load_dword s22, s[6:7], 0xc
	s_lshl_b64 s[28:29], s[14:15], 2
	s_lshl_b64 s[30:31], s[16:17], 2
	v_lshlrev_b32_e32 v2, 2, v0
	v_mov_b32_e32 v3, 0
	s_waitcnt lgkmcnt(0)
	s_and_b32 s15, s22, 0xffff
	s_add_u32 s17, s28, s30
	s_addc_u32 s22, s29, s31
	s_add_u32 s18, s18, s17
	s_addc_u32 s19, s19, s22
	s_mov_b32 s23, 0
	v_lshl_add_u64 v[4:5], s[18:19], 0, v[2:3]
	s_lshl_b32 s22, s15, 2
	v_add_u32_e32 v2, 16, v2
	s_mov_b64 s[18:19], 0
	s_mov_b32 s17, 0x3fb8aa3b
	s_mov_b32 s28, 0xc2ce8ed0
	;; [unrolled: 1-line block ×3, first 2 shown]
	v_mov_b32_e32 v15, 0x7f800000
	v_mov_b32_e32 v16, v0
.LBB13_11:                              ; =>This Inner Loop Header: Depth=1
	global_load_dword v17, v[4:5], off
	ds_read_b32 v18, v2
	v_add_u32_e32 v16, s15, v16
	v_cmp_le_i32_e32 vcc, s25, v16
	s_or_b64 s[18:19], vcc, s[18:19]
	v_add_u32_e32 v19, s27, v2
	s_waitcnt lgkmcnt(0)
	v_sub_f32_e32 v18, v18, v14
	v_mul_f32_e32 v20, 0x3fb8aa3b, v18
	v_fma_f32 v21, v18, s17, -v20
	v_rndne_f32_e32 v22, v20
	v_fmac_f32_e32 v21, 0x32a5705f, v18
	v_sub_f32_e32 v20, v20, v22
	v_add_f32_e32 v20, v20, v21
	v_cvt_i32_f32_e32 v22, v22
	v_exp_f32_e32 v20, v20
	v_cmp_ngt_f32_e32 vcc, s28, v18
	v_lshl_add_u64 v[4:5], v[4:5], 0, s[22:23]
	v_add_u32_e32 v2, s22, v2
	v_ldexp_f32 v20, v20, v22
	v_cndmask_b32_e32 v20, 0, v20, vcc
	v_cmp_nlt_f32_e32 vcc, s29, v18
	s_nop 1
	v_cndmask_b32_e32 v18, v15, v20, vcc
	s_waitcnt vmcnt(0)
	v_mul_f32_e32 v20, v17, v18
	v_fmac_f32_e32 v3, v17, v18
	ds_write_b32 v19, v20
	s_andn2_b64 exec, exec, s[18:19]
	s_cbranch_execnz .LBB13_11
; %bb.12:
	s_or_b64 exec, exec, s[18:19]
.LBB13_13:
	s_or_b64 exec, exec, s[20:21]
	ds_bpermute_b32 v1, v1, v3
	s_waitcnt lgkmcnt(0)
	s_barrier
	v_add_f32_e32 v1, v3, v1
	ds_bpermute_b32 v2, v6, v1
	s_waitcnt lgkmcnt(0)
	v_add_f32_e32 v1, v1, v2
	ds_bpermute_b32 v2, v8, v1
	s_waitcnt lgkmcnt(0)
	v_add_f32_e32 v1, v1, v2
	ds_bpermute_b32 v2, v9, v1
	s_waitcnt lgkmcnt(0)
	v_add_f32_e32 v1, v1, v2
	ds_bpermute_b32 v2, v10, v1
	s_waitcnt lgkmcnt(0)
	v_add_f32_e32 v1, v1, v2
	ds_bpermute_b32 v2, v7, v1
	s_waitcnt lgkmcnt(0)
	v_add_f32_e32 v1, v1, v2
	s_and_saveexec_b64 s[18:19], s[0:1]
	s_cbranch_execz .LBB13_15
; %bb.14:
	ds_write_b32 v11, v1 offset:8
.LBB13_15:
	s_or_b64 exec, exec, s[18:19]
	s_waitcnt lgkmcnt(0)
	s_barrier
	s_and_saveexec_b64 s[0:1], s[4:5]
	s_cbranch_execz .LBB13_17
; %bb.16:
	ds_read_b32 v1, v12 offset:8
.LBB13_17:
	s_or_b64 exec, exec, s[0:1]
	s_waitcnt lgkmcnt(0)
	ds_bpermute_b32 v2, v7, v1
	s_movk_i32 s0, 0x80
	v_cmp_gt_u32_e32 vcc, s0, v0
	s_waitcnt lgkmcnt(0)
	v_add_f32_e32 v1, v1, v2
	ds_bpermute_b32 v2, v13, v1
	s_and_saveexec_b64 s[0:1], vcc
	s_cbranch_execz .LBB13_24
; %bb.18:
	s_cmp_gt_i32 s26, 0
	s_mov_b32 s15, 0
	s_cbranch_scc1 .LBB13_20
; %bb.19:
	v_mov_b32_e32 v1, 0
	v_mov_b32_e32 v4, s15
	s_cbranch_execz .LBB13_21
	s_branch .LBB13_23
.LBB13_20:
                                        ; implicit-def: $sgpr15
	v_mov_b32_e32 v4, s15
.LBB13_21:
	s_waitcnt lgkmcnt(0)
	v_add_f32_e32 v1, 0x358637bd, v2
	v_div_scale_f32 v2, s[4:5], v1, v1, 1.0
	v_rcp_f32_e32 v3, v2
	s_lshl_b32 s4, s14, 7
	s_lshl_b32 s16, s16, 7
	s_ashr_i32 s5, s4, 31
	v_fma_f32 v4, -v2, v3, 1.0
	v_fmac_f32_e32 v3, v4, v3
	v_div_scale_f32 v4, vcc, 1.0, v1, 1.0
	v_mul_f32_e32 v5, v4, v3
	v_fma_f32 v6, -v2, v5, v4
	s_ashr_i32 s17, s16, 31
	s_max_i32 s15, s25, 1
	v_fmac_f32_e32 v5, v6, v3
	s_add_i32 s14, s27, 16
	s_lshl_b64 s[4:5], s[4:5], 2
	s_lshl_b64 s[16:17], s[16:17], 2
	v_fma_f32 v2, -v2, v5, v4
	s_add_u32 s4, s4, s16
	v_div_fmas_f32 v2, v2, v3, v5
	s_addc_u32 s5, s5, s17
	v_div_fixup_f32 v5, v2, v1, 1.0
	v_mov_b32_e32 v1, 0
	s_add_u32 s4, s8, s4
	v_lshlrev_b32_e32 v2, 2, v0
	v_mov_b32_e32 v3, v1
	s_addc_u32 s5, s9, s5
	v_lshl_add_u64 v[2:3], s[4:5], 0, v[2:3]
	s_mov_b64 s[4:5], 0x200
	v_mov_b32_e32 v4, v1
.LBB13_22:                              ; =>This Inner Loop Header: Depth=1
	global_load_dword v6, v[2:3], off
	v_mov_b32_e32 v7, s14
	ds_read_b32 v7, v7
	s_add_i32 s15, s15, -1
	s_add_i32 s14, s14, 4
	v_lshl_add_u64 v[2:3], v[2:3], 0, s[4:5]
	s_cmp_eq_u32 s15, 0
	s_waitcnt vmcnt(0) lgkmcnt(0)
	v_mul_f32_e32 v6, v6, v7
	v_fmac_f32_e32 v4, v5, v6
	s_cbranch_scc0 .LBB13_22
.LBB13_23:
	s_lshl_b32 s4, s24, 7
	s_ashr_i32 s5, s4, 31
	s_lshl_b64 s[4:5], s[4:5], 2
	s_add_u32 s14, s10, s4
	s_addc_u32 s15, s11, s5
	s_lshl_b32 s4, s2, 7
	s_ashr_i32 s5, s4, 31
	s_lshl_b64 s[4:5], s[4:5], 2
	s_add_u32 s4, s14, s4
	s_addc_u32 s5, s15, s5
	s_waitcnt lgkmcnt(0)
	v_lshl_add_u64 v[2:3], v[0:1], 2, s[4:5]
	global_store_dword v[2:3], v4, off
.LBB13_24:
	s_or_b64 exec, exec, s[0:1]
	s_mov_b64 s[4:5], 0
.LBB13_25:
	s_and_b64 vcc, exec, s[4:5]
	s_cbranch_vccz .LBB13_34
; %bb.26:
	s_movk_i32 s0, 0x80
	v_cmp_gt_u32_e32 vcc, s0, v0
	s_and_saveexec_b64 s[4:5], vcc
	s_cbranch_execz .LBB13_34
; %bb.27:
	s_mul_i32 s13, s13, s12
	s_lshl_b32 s4, s13, 7
	s_ashr_i32 s5, s4, 31
	s_lshl_b64 s[4:5], s[4:5], 2
	s_add_u32 s1, s10, s4
	s_addc_u32 s10, s11, s5
	s_lshl_b32 s4, s2, 7
	s_ashr_i32 s5, s4, 31
	s_lshl_b64 s[4:5], s[4:5], 2
	s_add_u32 s4, s1, s4
	s_mul_i32 s1, s3, s13
	s_addc_u32 s5, s10, s5
	s_lshl_b32 s10, s1, 7
	s_ashr_i32 s11, s10, 31
	s_lshl_b64 s[10:11], s[10:11], 2
	s_add_u32 s1, s8, s10
	s_mul_i32 s2, s2, s3
	s_load_dword s6, s[6:7], 0xc
	s_addc_u32 s8, s9, s11
	s_lshl_b32 s2, s2, 7
	s_ashr_i32 s3, s2, 31
	s_lshl_b64 s[2:3], s[2:3], 2
	s_add_u32 s2, s1, s2
	s_addc_u32 s3, s8, s3
	s_waitcnt lgkmcnt(0)
	s_and_b32 s8, s6, 0xffff
	v_cvt_f32_u32_e32 v1, s8
	v_add_u32_e32 v2, s8, v0
	v_mov_b32_e32 v4, s8
	v_cmp_gt_u32_e32 vcc, s0, v2
	v_rcp_iflag_f32_e32 v1, v1
	s_cmp_eq_u32 s8, 1
	v_max_u32_e32 v3, 0x80, v2
	v_addc_co_u32_e64 v2, s[0:1], v0, v4, vcc
	v_mul_f32_e32 v1, 0x4f7ffffe, v1
	v_cvt_u32_f32_e32 v1, v1
	s_cselect_b64 s[6:7], -1, 0
	s_sub_i32 s0, 0, s8
	v_sub_u32_e32 v2, v3, v2
	v_mul_lo_u32 v3, s0, v1
	v_mul_hi_u32 v3, v1, v3
	v_add_u32_e32 v1, v1, v3
	v_mul_hi_u32 v1, v2, v1
	v_mul_lo_u32 v3, v1, s8
	v_sub_u32_e32 v2, v2, v3
	v_add_u32_e32 v3, 1, v1
	v_cmp_le_u32_e64 s[0:1], s8, v2
	s_nop 1
	v_cndmask_b32_e64 v1, v1, v3, s[0:1]
	v_subrev_u32_e32 v3, s8, v2
	v_cndmask_b32_e64 v2, v2, v3, s[0:1]
	v_add_u32_e32 v3, 1, v1
	v_cmp_le_u32_e64 s[0:1], s8, v2
	s_nop 1
	v_cndmask_b32_e64 v1, v1, v3, s[0:1]
	v_addc_co_u32_e32 v1, vcc, 1, v1, vcc
	v_cmp_lt_u32_e32 vcc, 3, v1
	s_and_b64 s[10:11], vcc, s[6:7]
	s_mov_b64 s[6:7], -1
	s_and_saveexec_b64 s[0:1], s[10:11]
	s_cbranch_execz .LBB13_31
; %bb.28:
	v_and_b32_e32 v4, -4, v1
	s_mov_b64 s[6:7], 0
	v_mov_b32_e32 v3, 0
	v_mov_b32_e32 v2, v0
	v_mov_b32_e32 v5, v4
.LBB13_29:                              ; =>This Inner Loop Header: Depth=1
	v_lshlrev_b64 v[10:11], 2, v[2:3]
	v_lshl_add_u64 v[6:7], s[2:3], 0, v[10:11]
	global_load_dwordx4 v[6:9], v[6:7], off
	v_add_u32_e32 v5, -4, v5
	v_cmp_eq_u32_e32 vcc, 0, v5
	v_add_u32_e32 v2, 4, v2
	v_lshl_add_u64 v[10:11], s[4:5], 0, v[10:11]
	s_or_b64 s[6:7], vcc, s[6:7]
	s_waitcnt vmcnt(0)
	global_store_dwordx4 v[10:11], v[6:9], off
	s_andn2_b64 exec, exec, s[6:7]
	s_cbranch_execnz .LBB13_29
; %bb.30:
	s_or_b64 exec, exec, s[6:7]
	v_cmp_ne_u32_e32 vcc, v1, v4
	v_add_u32_e32 v0, v0, v4
	s_orn2_b64 s[6:7], vcc, exec
.LBB13_31:
	s_or_b64 exec, exec, s[0:1]
	s_and_b64 exec, exec, s[6:7]
	s_cbranch_execz .LBB13_34
; %bb.32:
	v_mov_b32_e32 v1, 0
	s_mov_b32 s1, 0
	v_lshlrev_b64 v[2:3], 2, v[0:1]
	s_lshl_b32 s0, s8, 2
	s_mov_b64 s[6:7], 0
	s_movk_i32 s9, 0x7f
.LBB13_33:                              ; =>This Inner Loop Header: Depth=1
	v_lshl_add_u64 v[4:5], s[2:3], 0, v[2:3]
	global_load_dword v1, v[4:5], off
	v_add_u32_e32 v0, s8, v0
	v_cmp_lt_u32_e32 vcc, s9, v0
	v_lshl_add_u64 v[4:5], s[4:5], 0, v[2:3]
	v_lshl_add_u64 v[2:3], v[2:3], 0, s[0:1]
	s_or_b64 s[6:7], vcc, s[6:7]
	s_waitcnt vmcnt(0)
	global_store_dword v[4:5], v1, off
	s_andn2_b64 exec, exec, s[6:7]
	s_cbranch_execnz .LBB13_33
.LBB13_34:
	s_endpgm
	.section	.rodata,"a",@progbits
	.p2align	6, 0x0
	.amdhsa_kernel _ZN4vllm32paged_attention_v2_reduce_kernelIfLi128ELi128ELi512EEEvPT_PKfS4_PKS1_PKii
		.amdhsa_group_segment_fixed_size 16
		.amdhsa_private_segment_fixed_size 0
		.amdhsa_kernarg_size 304
		.amdhsa_user_sgpr_count 2
		.amdhsa_user_sgpr_dispatch_ptr 0
		.amdhsa_user_sgpr_queue_ptr 0
		.amdhsa_user_sgpr_kernarg_segment_ptr 1
		.amdhsa_user_sgpr_dispatch_id 0
		.amdhsa_user_sgpr_kernarg_preload_length 0
		.amdhsa_user_sgpr_kernarg_preload_offset 0
		.amdhsa_user_sgpr_private_segment_size 0
		.amdhsa_uses_dynamic_stack 0
		.amdhsa_enable_private_segment 0
		.amdhsa_system_sgpr_workgroup_id_x 1
		.amdhsa_system_sgpr_workgroup_id_y 1
		.amdhsa_system_sgpr_workgroup_id_z 0
		.amdhsa_system_sgpr_workgroup_info 0
		.amdhsa_system_vgpr_workitem_id 0
		.amdhsa_next_free_vgpr 23
		.amdhsa_next_free_sgpr 32
		.amdhsa_accum_offset 24
		.amdhsa_reserve_vcc 1
		.amdhsa_float_round_mode_32 0
		.amdhsa_float_round_mode_16_64 0
		.amdhsa_float_denorm_mode_32 3
		.amdhsa_float_denorm_mode_16_64 3
		.amdhsa_dx10_clamp 1
		.amdhsa_ieee_mode 1
		.amdhsa_fp16_overflow 0
		.amdhsa_tg_split 0
		.amdhsa_exception_fp_ieee_invalid_op 0
		.amdhsa_exception_fp_denorm_src 0
		.amdhsa_exception_fp_ieee_div_zero 0
		.amdhsa_exception_fp_ieee_overflow 0
		.amdhsa_exception_fp_ieee_underflow 0
		.amdhsa_exception_fp_ieee_inexact 0
		.amdhsa_exception_int_div_zero 0
	.end_amdhsa_kernel
	.section	.text._ZN4vllm32paged_attention_v2_reduce_kernelIfLi128ELi128ELi512EEEvPT_PKfS4_PKS1_PKii,"axG",@progbits,_ZN4vllm32paged_attention_v2_reduce_kernelIfLi128ELi128ELi512EEEvPT_PKfS4_PKS1_PKii,comdat
.Lfunc_end13:
	.size	_ZN4vllm32paged_attention_v2_reduce_kernelIfLi128ELi128ELi512EEEvPT_PKfS4_PKS1_PKii, .Lfunc_end13-_ZN4vllm32paged_attention_v2_reduce_kernelIfLi128ELi128ELi512EEEvPT_PKfS4_PKS1_PKii
                                        ; -- End function
	.section	.AMDGPU.csdata,"",@progbits
; Kernel info:
; codeLenInByte = 2112
; NumSgprs: 38
; NumVgprs: 23
; NumAgprs: 0
; TotalNumVgprs: 23
; ScratchSize: 0
; MemoryBound: 0
; FloatMode: 240
; IeeeMode: 1
; LDSByteSize: 16 bytes/workgroup (compile time only)
; SGPRBlocks: 4
; VGPRBlocks: 2
; NumSGPRsForWavesPerEU: 38
; NumVGPRsForWavesPerEU: 23
; AccumOffset: 24
; Occupancy: 8
; WaveLimiterHint : 0
; COMPUTE_PGM_RSRC2:SCRATCH_EN: 0
; COMPUTE_PGM_RSRC2:USER_SGPR: 2
; COMPUTE_PGM_RSRC2:TRAP_HANDLER: 0
; COMPUTE_PGM_RSRC2:TGID_X_EN: 1
; COMPUTE_PGM_RSRC2:TGID_Y_EN: 1
; COMPUTE_PGM_RSRC2:TGID_Z_EN: 0
; COMPUTE_PGM_RSRC2:TIDIG_COMP_CNT: 0
; COMPUTE_PGM_RSRC3_GFX90A:ACCUM_OFFSET: 5
; COMPUTE_PGM_RSRC3_GFX90A:TG_SPLIT: 0
	.section	.text._ZN4vllm25paged_attention_v2_kernelIffLi192ELi8ELi128ELNS_18Fp8KVCacheDataTypeE0ELb1ELi512EEEvPfS2_PT_PKS3_PKT0_S9_ifPKiSB_iPKfiiiSD_SD_iiiii,"axG",@progbits,_ZN4vllm25paged_attention_v2_kernelIffLi192ELi8ELi128ELNS_18Fp8KVCacheDataTypeE0ELb1ELi512EEEvPfS2_PT_PKS3_PKT0_S9_ifPKiSB_iPKfiiiSD_SD_iiiii,comdat
	.protected	_ZN4vllm25paged_attention_v2_kernelIffLi192ELi8ELi128ELNS_18Fp8KVCacheDataTypeE0ELb1ELi512EEEvPfS2_PT_PKS3_PKT0_S9_ifPKiSB_iPKfiiiSD_SD_iiiii ; -- Begin function _ZN4vllm25paged_attention_v2_kernelIffLi192ELi8ELi128ELNS_18Fp8KVCacheDataTypeE0ELb1ELi512EEEvPfS2_PT_PKS3_PKT0_S9_ifPKiSB_iPKfiiiSD_SD_iiiii
	.globl	_ZN4vllm25paged_attention_v2_kernelIffLi192ELi8ELi128ELNS_18Fp8KVCacheDataTypeE0ELb1ELi512EEEvPfS2_PT_PKS3_PKT0_S9_ifPKiSB_iPKfiiiSD_SD_iiiii
	.p2align	8
	.type	_ZN4vllm25paged_attention_v2_kernelIffLi192ELi8ELi128ELNS_18Fp8KVCacheDataTypeE0ELb1ELi512EEEvPfS2_PT_PKS3_PKT0_S9_ifPKiSB_iPKfiiiSD_SD_iiiii,@function
_ZN4vllm25paged_attention_v2_kernelIffLi192ELi8ELi128ELNS_18Fp8KVCacheDataTypeE0ELb1ELi512EEEvPfS2_PT_PKS3_PKT0_S9_ifPKiSB_iPKfiiiSD_SD_iiiii: ; @_ZN4vllm25paged_attention_v2_kernelIffLi192ELi8ELi128ELNS_18Fp8KVCacheDataTypeE0ELb1ELi512EEEvPfS2_PT_PKS3_PKT0_S9_ifPKiSB_iPKfiiiSD_SD_iiiii
; %bb.0:
	s_load_dwordx2 s[6:7], s[0:1], 0x40
	s_mov_b32 s36, s3
	s_ashr_i32 s37, s3, 31
	s_lshl_b64 s[8:9], s[36:37], 2
	s_waitcnt lgkmcnt(0)
	s_add_u32 s6, s6, s8
	s_addc_u32 s7, s7, s9
	s_load_dword s37, s[6:7], 0x0
	s_lshl_b32 s49, s4, 9
	s_waitcnt lgkmcnt(0)
	s_cmp_ge_i32 s49, s37
	s_cbranch_scc1 .LBB14_78
; %bb.1:
	s_load_dword s5, s[0:1], 0x90
	s_load_dwordx2 s[40:41], s[0:1], 0x30
	s_waitcnt lgkmcnt(0)
	s_abs_i32 s7, s5
	s_abs_i32 s3, s40
	v_cvt_f32_u32_e32 v1, s3
	s_sub_i32 s8, 0, s3
	s_xor_b32 s6, s5, s40
	s_ashr_i32 s6, s6, 31
	v_rcp_iflag_f32_e32 v1, v1
	s_nop 0
	v_mul_f32_e32 v1, 0x4f7ffffe, v1
	v_cvt_u32_f32_e32 v1, v1
	s_nop 0
	v_readfirstlane_b32 s9, v1
	s_mul_i32 s8, s8, s9
	s_mul_hi_u32 s8, s9, s8
	s_add_i32 s9, s9, s8
	s_mul_hi_u32 s8, s7, s9
	s_mul_i32 s9, s8, s3
	s_sub_i32 s7, s7, s9
	s_add_i32 s10, s8, 1
	s_sub_i32 s9, s7, s3
	s_cmp_ge_u32 s7, s3
	s_cselect_b32 s8, s10, s8
	s_cselect_b32 s7, s9, s7
	s_add_i32 s9, s8, 1
	s_cmp_ge_u32 s7, s3
	s_cselect_b32 s3, s9, s8
	s_xor_b32 s3, s3, s6
	s_sub_i32 s24, s3, s6
	s_abs_i32 s38, s24
	v_cvt_f32_u32_e32 v1, s38
	s_load_dwordx2 s[6:7], s[0:1], 0x50
	s_sub_i32 s3, 0, s38
	s_abs_i32 s25, s2
	v_rcp_iflag_f32_e32 v1, v1
	s_nop 0
	v_mul_f32_e32 v1, 0x4f7ffffe, v1
	v_cvt_u32_f32_e32 v1, v1
	s_nop 0
	v_readfirstlane_b32 s8, v1
	s_mul_i32 s3, s3, s8
	s_mul_hi_u32 s3, s8, s3
	s_add_i32 s8, s8, s3
	s_waitcnt lgkmcnt(0)
	s_cmp_eq_u64 s[6:7], 0
	s_mov_b32 s3, 0
	s_cbranch_scc1 .LBB14_3
; %bb.2:
	s_ashr_i32 s3, s2, 31
	s_lshl_b64 s[10:11], s[2:3], 2
	s_add_u32 s6, s6, s10
	s_addc_u32 s7, s7, s11
	s_load_dword s3, s[6:7], 0x0
.LBB14_3:
	s_load_dwordx4 s[20:23], s[0:1], 0x0
	s_load_dwordx2 s[28:29], s[0:1], 0x10
	s_load_dwordx4 s[16:19], s[0:1], 0x20
	s_load_dwordx2 s[34:35], s[0:1], 0x38
	s_load_dword s33, s[0:1], 0x98
	s_load_dwordx4 s[12:15], s[0:1], 0x58
	s_movk_i32 s6, 0xc0
	s_mul_i32 s30, s2, 0xc0
	s_mul_hi_u32 s26, s25, s8
	v_and_b32_e32 v6, 7, v0
	s_ashr_i32 s31, s30, 31
	v_cmp_gt_u32_e32 vcc, s6, v0
	s_and_saveexec_b64 s[6:7], vcc
	s_cbranch_execz .LBB14_6
; %bb.4:
	s_load_dwordx2 s[8:9], s[0:1], 0x18
	s_waitcnt lgkmcnt(0)
	s_mul_i32 s10, s36, s12
	s_ashr_i32 s11, s10, 31
	s_lshl_b64 s[10:11], s[10:11], 2
	s_lshl_b64 s[42:43], s[30:31], 2
	v_lshrrev_b32_e32 v2, 3, v0
	s_add_u32 s10, s10, s42
	v_lshlrev_b32_e32 v3, 2, v2
	s_movk_i32 s12, 0x60
	s_addc_u32 s11, s11, s43
	v_mad_u32_u24 v4, v6, s12, v3
	v_lshlrev_b32_e32 v3, 2, v6
	s_add_u32 s8, s8, s10
	v_add_u32_e32 v1, -16, v2
	v_lshl_or_b32 v2, v2, 5, v3
	v_mov_b32_e32 v3, 0
	s_addc_u32 s9, s9, s11
	v_lshl_add_u64 v[2:3], s[8:9], 0, v[2:3]
	s_mov_b64 s[8:9], 0
	s_mov_b64 s[10:11], 0x200
.LBB14_5:                               ; =>This Inner Loop Header: Depth=1
	global_load_dword v5, v[2:3], off
	v_add_u32_e32 v1, 16, v1
	v_cmp_lt_u32_e32 vcc, 7, v1
	v_lshl_add_u64 v[2:3], v[2:3], 0, s[10:11]
	s_or_b64 s[8:9], vcc, s[8:9]
	s_waitcnt vmcnt(0)
	ds_write_b32 v4, v5
	v_add_u32_e32 v4, 64, v4
	s_andn2_b64 exec, exec, s[8:9]
	s_cbranch_execnz .LBB14_5
.LBB14_6:
	s_or_b64 exec, exec, s[6:7]
	s_ashr_i32 s6, s2, 31
	s_ashr_i32 s7, s24, 31
	s_xor_b32 s6, s6, s7
	s_mul_i32 s7, s26, s38
	s_sub_i32 s7, s25, s7
	s_add_i32 s8, s26, 1
	s_sub_i32 s9, s7, s38
	s_cmp_ge_u32 s7, s38
	s_cselect_b32 s8, s8, s26
	s_load_dwordx4 s[24:27], s[0:1], 0x78
	s_cselect_b32 s7, s9, s7
	s_add_i32 s9, s8, 1
	s_cmp_ge_u32 s7, s38
	s_cselect_b32 s7, s9, s8
	s_load_dword s9, s[0:1], 0x88
	s_waitcnt lgkmcnt(0)
	s_abs_i32 s31, s27
	v_cvt_f32_u32_e32 v1, s31
	s_xor_b32 s7, s7, s6
	s_sub_i32 s8, s7, s6
	s_sub_i32 s6, 0, s31
	v_rcp_iflag_f32_e32 v1, v1
	s_add_i32 s12, s37, -1
	s_abs_i32 s10, s12
	v_mul_f32_e32 v1, 0x4f7ffffe, v1
	v_cvt_u32_f32_e32 v1, v1
	s_barrier
	v_readfirstlane_b32 s46, v1
	s_mul_i32 s6, s6, s46
	s_mul_hi_u32 s6, s46, s6
	s_add_i32 s46, s46, s6
	s_cmp_lt_i32 s9, 0
	s_mul_hi_u32 s11, s10, s46
	s_cbranch_scc0 .LBB14_8
; %bb.7:
	s_mul_i32 s6, s24, s40
	s_add_i32 s6, s8, s6
	s_mul_i32 s6, s6, s9
	s_sub_i32 s47, 1, s6
	s_ashr_i32 s12, s12, 31
	s_ashr_i32 s27, s27, 31
	s_cbranch_execz .LBB14_9
	s_branch .LBB14_10
.LBB14_8:
                                        ; implicit-def: $sgpr47
	s_ashr_i32 s12, s12, 31
	s_ashr_i32 s27, s27, 31
.LBB14_9:
	s_mul_i32 s6, s5, s24
	s_add_i32 s6, s6, s2
	s_mul_i32 s6, s6, s9
	s_add_i32 s47, s6, 1
.LBB14_10:
	s_load_dword s0, s[0:1], 0x48
	s_mul_i32 s6, s11, s31
	s_sub_i32 s6, s10, s6
	s_xor_b32 s1, s12, s27
	s_add_i32 s7, s11, 1
	s_waitcnt lgkmcnt(0)
	s_mul_i32 s38, s36, s0
	s_ashr_i32 s39, s38, 31
	s_sub_i32 s0, s6, s31
	s_cmp_ge_u32 s6, s31
	s_cselect_b32 s7, s7, s11
	s_cselect_b32 s0, s0, s6
	s_add_i32 s6, s7, 1
	s_cmp_ge_u32 s0, s31
	s_cselect_b32 s0, s6, s7
	s_xor_b32 s0, s0, s1
	s_sub_i32 s48, s0, s1
	s_add_i32 s0, s37, 7
	s_ashr_i32 s1, s0, 31
	s_lshr_b32 s1, s1, 29
	s_add_i32 s0, s0, s1
	s_lshl_b32 s40, s4, 6
	s_ashr_i32 s12, s0, 3
	s_add_i32 s0, s40, 64
	v_lshrrev_b32_e32 v24, 6, v0
	s_min_i32 s24, s0, s12
	v_or_b32_e32 v36, s40, v24
	v_cmp_gt_i32_e64 s[0:1], s24, v36
	v_mov_b32_e32 v29, 0xff7fffff
	s_mul_i32 s14, s8, s14
	v_ashrrev_i32_e32 v37, 31, v36
	v_lshl_add_u32 v1, v24, 3, s49
	v_mbcnt_lo_u32_b32 v25, -1, 0
	s_and_saveexec_b64 s[42:43], s[0:1]
	s_cbranch_execz .LBB14_20
; %bb.11:
	s_ashr_i32 s15, s14, 31
	s_sub_i32 s50, s48, s25
	s_lshl_b64 s[6:7], s[14:15], 2
	v_bfe_u32 v26, v0, 3, 3
	s_add_u32 s6, s16, s6
	s_addc_u32 s7, s17, s7
	v_lshlrev_b32_e32 v2, 4, v26
	v_mov_b32_e32 v3, 0
	v_lshl_add_u64 v[4:5], s[6:7], 0, v[2:3]
	v_and_b32_e32 v2, 3, v0
	v_lshlrev_b32_e32 v2, 2, v2
	s_abs_i32 s15, s26
	v_lshl_add_u64 v[4:5], v[4:5], 0, v[2:3]
	v_cvt_f32_u32_e32 v2, s15
	s_sub_i32 s8, 0, s15
	v_cmp_eq_u32_e32 vcc, 0, v6
	v_mul_u32_u24_e32 v27, 0x60, v6
	v_rcp_iflag_f32_e32 v2, v2
	v_lshlrev_b32_e32 v9, 2, v26
	v_lshlrev_b32_e32 v7, 3, v0
	v_and_b32_e32 v8, 32, v7
	v_mul_f32_e32 v2, 0x4f7ffffe, v2
	v_cvt_u32_f32_e32 v2, v2
	v_or_b32_e32 v10, 0x400, v8
	v_or_b32_e32 v12, 0x440, v8
	v_or_b32_e32 v14, 0x480, v8
	v_mul_lo_u32 v6, s8, v2
	v_mul_hi_u32 v6, v2, v6
	v_add_u32_e32 v28, v2, v6
	v_lshl_or_b32 v2, v24, 5, v9
	v_or_b32_e32 v16, 0x4c0, v8
	v_or_b32_e32 v18, 0x500, v8
	v_or_b32_e32 v20, 0x540, v8
	v_or_b32_e32 v22, 0x580, v8
	v_or_b32_e32 v34, 0x5c0, v8
	s_lshl_b64 s[8:9], s[38:39], 2
	v_add_u32_e32 v31, 0x310, v2
	v_subrev_u32_e32 v2, s37, v26
	s_add_u32 s8, s34, s8
	v_add_u32_e32 v32, 1, v2
	v_lshlrev_b32_e32 v2, 2, v8
	v_lshlrev_b32_e32 v8, 2, v10
	v_lshlrev_b32_e32 v10, 2, v12
	v_lshlrev_b32_e32 v12, 2, v14
	v_lshlrev_b32_e32 v14, 2, v16
	v_lshlrev_b32_e32 v16, 2, v18
	v_lshlrev_b32_e32 v18, 2, v20
	v_lshlrev_b32_e32 v20, 2, v22
	v_lshlrev_b32_e32 v22, 2, v34
	v_mbcnt_hi_u32_b32 v34, -1, v25
	s_addc_u32 s9, s35, s9
	v_and_b32_e32 v9, 64, v34
	s_mov_b32 s51, s13
	v_cmp_neq_f32_e64 s[6:7], s3, 0
	v_lshl_add_u64 v[6:7], v[36:37], 2, s[8:9]
	v_lshl_add_u32 v30, v24, 3, s49
	s_mov_b64 s[16:17], 0
	v_mov_b32_e32 v33, 0xff7fffff
	v_add_u32_e32 v35, 64, v9
	v_xor_b32_e32 v38, 4, v34
	v_xor_b32_e32 v39, 2, v34
	;; [unrolled: 1-line block ×3, first 2 shown]
	v_mov_b32_e32 v29, 0xff7fffff
	v_mov_b32_e32 v41, v36
	s_branch .LBB14_14
.LBB14_12:                              ;   in Loop: Header=BB14_14 Depth=1
	s_or_b64 exec, exec, s[44:45]
.LBB14_13:                              ;   in Loop: Header=BB14_14 Depth=1
	s_or_b64 exec, exec, s[10:11]
	v_add_u32_e32 v41, 2, v41
	v_cmp_le_i32_e64 s[8:9], s24, v41
	v_lshl_add_u64 v[6:7], v[6:7], 0, 8
	v_add_u32_e32 v30, 16, v30
	s_or_b64 s[16:17], s[8:9], s[16:17]
	v_add_u32_e32 v31, 64, v31
	s_andn2_b64 exec, exec, s[16:17]
	s_cbranch_execz .LBB14_19
.LBB14_14:                              ; =>This Inner Loop Header: Depth=1
	s_waitcnt lgkmcnt(0)
	v_sub_u32_e32 v11, 0, v30
	v_max_i32_e32 v11, v30, v11
	v_mul_hi_u32 v13, v11, s46
	v_mul_lo_u32 v15, v13, s31
	v_sub_u32_e32 v11, v11, v15
	v_add_u32_e32 v15, 1, v13
	v_cmp_le_u32_e64 s[8:9], s31, v11
	v_ashrrev_i32_e32 v9, 31, v30
	v_xor_b32_e32 v9, s27, v9
	v_cndmask_b32_e64 v13, v13, v15, s[8:9]
	v_subrev_u32_e32 v15, s31, v11
	v_cndmask_b32_e64 v11, v11, v15, s[8:9]
	v_add_u32_e32 v15, 1, v13
	v_cmp_le_u32_e64 s[8:9], s31, v11
	s_nop 1
	v_cndmask_b32_e64 v11, v13, v15, s[8:9]
	v_xor_b32_e32 v11, v11, v9
	v_sub_u32_e32 v9, v11, v9
	v_add_u32_e32 v11, s47, v9
	v_sub_u32_e32 v15, 0, v11
	v_ashrrev_i32_e32 v13, 31, v11
	v_max_i32_e32 v11, v11, v15
	v_mul_hi_u32 v15, v11, v28
	v_mul_lo_u32 v15, v15, s15
	v_sub_u32_e32 v11, v11, v15
	v_subrev_u32_e32 v15, s15, v11
	v_cmp_le_u32_e64 s[8:9], s15, v11
	v_cmp_ge_i32_e64 s[10:11], s50, v9
	s_nop 0
	v_cndmask_b32_e64 v11, v11, v15, s[8:9]
	v_subrev_u32_e32 v15, s15, v11
	v_cmp_le_u32_e64 s[8:9], s15, v11
	s_nop 1
	v_cndmask_b32_e64 v11, v11, v15, s[8:9]
	v_xor_b32_e32 v11, v11, v13
	v_sub_u32_e32 v11, v11, v13
	v_cmp_ne_u32_e64 s[8:9], 0, v11
	s_and_b64 s[8:9], s[8:9], s[10:11]
	s_and_b64 s[44:45], vcc, s[8:9]
	s_and_saveexec_b64 s[10:11], s[44:45]
	s_cbranch_execz .LBB14_16
; %bb.15:                               ;   in Loop: Header=BB14_14 Depth=1
	ds_write_b32 v31, v33
.LBB14_16:                              ;   in Loop: Header=BB14_14 Depth=1
	s_or_b64 exec, exec, s[10:11]
	s_xor_b64 s[8:9], s[8:9], -1
	s_and_saveexec_b64 s[10:11], s[8:9]
	s_cbranch_execz .LBB14_13
; %bb.17:                               ;   in Loop: Header=BB14_14 Depth=1
	global_load_dword v42, v[6:7], off
	v_mov_b32_e32 v9, v3
	v_mov_b32_e32 v11, v3
	;; [unrolled: 1-line block ×8, first 2 shown]
	s_waitcnt vmcnt(0)
	v_mad_i64_i32 v[42:43], s[8:9], v42, s51, 0
	v_lshl_add_u64 v[42:43], v[42:43], 2, v[4:5]
	v_lshl_add_u64 v[44:45], v[42:43], 0, v[2:3]
	;; [unrolled: 1-line block ×4, first 2 shown]
	global_load_dword v9, v[44:45], off
	global_load_dword v11, v[44:45], off offset:256
	v_lshl_add_u64 v[50:51], v[42:43], 0, v[12:13]
	global_load_dword v13, v[44:45], off offset:512
	global_load_dword v60, v[44:45], off offset:768
	;; [unrolled: 1-line block ×3, first 2 shown]
	v_lshl_add_u64 v[52:53], v[42:43], 0, v[14:15]
	global_load_dword v15, v[44:45], off offset:1280
	v_lshl_add_u64 v[54:55], v[42:43], 0, v[16:17]
	v_lshl_add_u64 v[56:57], v[42:43], 0, v[18:19]
	;; [unrolled: 1-line block ×3, first 2 shown]
	global_load_dword v17, v[44:45], off offset:1536
	global_load_dword v19, v[44:45], off offset:1792
	;; [unrolled: 1-line block ×4, first 2 shown]
	v_lshl_add_u64 v[42:43], v[42:43], 0, v[22:23]
	global_load_dword v23, v[44:45], off offset:2560
	global_load_dword v63, v[44:45], off offset:2816
	;; [unrolled: 1-line block ×6, first 2 shown]
	global_load_dword v68, v[46:47], off
	global_load_dword v69, v[48:49], off
	;; [unrolled: 1-line block ×6, first 2 shown]
                                        ; kill: killed $vgpr54_vgpr55
                                        ; kill: killed $vgpr56_vgpr57
	global_load_dword v74, v[58:59], off
	global_load_dword v75, v[42:43], off
	ds_read_b128 v[42:45], v27
	ds_read_b128 v[46:49], v27 offset:16
	ds_read_b128 v[50:53], v27 offset:32
	;; [unrolled: 1-line block ×3, first 2 shown]
	v_cmp_lt_i32_e64 s[8:9], v38, v35
	s_waitcnt vmcnt(22) lgkmcnt(3)
	v_mul_f32_e32 v11, v43, v11
	v_fmac_f32_e32 v11, v42, v9
	s_waitcnt vmcnt(21)
	v_fmac_f32_e32 v11, v44, v13
	s_waitcnt vmcnt(20)
	v_fmac_f32_e32 v11, v45, v60
	s_waitcnt vmcnt(19) lgkmcnt(2)
	v_fmac_f32_e32 v11, v46, v61
	s_waitcnt vmcnt(18)
	v_fmac_f32_e32 v11, v47, v15
	s_waitcnt vmcnt(17)
	;; [unrolled: 2-line block ×3, first 2 shown]
	v_fmac_f32_e32 v11, v49, v19
	s_waitcnt vmcnt(15) lgkmcnt(1)
	v_fmac_f32_e32 v11, v50, v21
	s_waitcnt vmcnt(14)
	v_fmac_f32_e32 v11, v51, v62
	s_waitcnt vmcnt(13)
	v_fmac_f32_e32 v11, v52, v23
	s_waitcnt vmcnt(12)
	v_fmac_f32_e32 v11, v53, v63
	ds_read_b128 v[42:45], v27 offset:64
	ds_read_b128 v[58:61], v27 offset:80
	s_waitcnt vmcnt(11) lgkmcnt(2)
	v_fmac_f32_e32 v11, v54, v64
	s_waitcnt vmcnt(10)
	v_fmac_f32_e32 v11, v55, v65
	s_waitcnt vmcnt(9)
	;; [unrolled: 2-line block ×3, first 2 shown]
	v_fmac_f32_e32 v11, v57, v67
	s_waitcnt vmcnt(7) lgkmcnt(1)
	v_fmac_f32_e32 v11, v42, v68
	s_waitcnt vmcnt(6)
	v_fmac_f32_e32 v11, v43, v69
	s_waitcnt vmcnt(5)
	;; [unrolled: 2-line block ×3, first 2 shown]
	v_fmac_f32_e32 v11, v45, v71
	s_waitcnt vmcnt(3) lgkmcnt(0)
	v_fmac_f32_e32 v11, v58, v72
	s_waitcnt vmcnt(2)
	v_fmac_f32_e32 v11, v59, v73
	v_cndmask_b32_e64 v9, v34, v38, s[8:9]
	s_waitcnt vmcnt(1)
	v_fmac_f32_e32 v11, v60, v74
	v_lshlrev_b32_e32 v9, 2, v9
	s_waitcnt vmcnt(0)
	v_fmac_f32_e32 v11, v61, v75
	ds_bpermute_b32 v9, v9, v11
	v_cmp_lt_i32_e64 s[8:9], v39, v35
	s_waitcnt lgkmcnt(0)
	v_add_f32_e32 v9, v11, v9
	v_cndmask_b32_e64 v13, v34, v39, s[8:9]
	v_lshlrev_b32_e32 v13, 2, v13
	ds_bpermute_b32 v11, v13, v9
	v_cmp_lt_i32_e64 s[8:9], v40, v35
	s_waitcnt lgkmcnt(0)
	v_add_f32_e32 v9, v9, v11
	v_cndmask_b32_e64 v13, v34, v40, s[8:9]
	v_lshlrev_b32_e32 v13, 2, v13
	ds_bpermute_b32 v11, v13, v9
	s_and_saveexec_b64 s[44:45], vcc
	s_cbranch_execz .LBB14_12
; %bb.18:                               ;   in Loop: Header=BB14_14 Depth=1
	v_add_u32_e32 v13, v32, v30
	v_cvt_f32_i32_e32 v13, v13
	s_waitcnt lgkmcnt(0)
	v_add_f32_e32 v9, v9, v11
	v_add_u32_e32 v15, v26, v30
	v_cmp_gt_i32_e64 s[8:9], s37, v15
	v_mul_f32_e32 v11, s3, v13
	v_cndmask_b32_e64 v11, 0, v11, s[6:7]
	v_fmac_f32_e32 v11, s41, v9
	v_cndmask_b32_e64 v9, 0, v11, s[8:9]
	ds_write_b32 v31, v9
	v_max_f32_e32 v9, v29, v29
	v_max_f32_e32 v9, v9, v11
	v_cndmask_b32_e64 v29, v29, v9, s[8:9]
	s_branch .LBB14_12
.LBB14_19:
	s_or_b64 exec, exec, s[16:17]
.LBB14_20:
	s_or_b64 exec, exec, s[42:43]
	v_mbcnt_hi_u32_b32 v2, -1, v25
	v_and_b32_e32 v3, 64, v2
	v_add_u32_e32 v3, 64, v3
	v_xor_b32_e32 v4, 32, v2
	v_cmp_lt_i32_e32 vcc, v4, v3
	v_xor_b32_e32 v7, 16, v2
	v_max_f32_e32 v5, v29, v29
	v_cndmask_b32_e32 v4, v2, v4, vcc
	v_lshlrev_b32_e32 v6, 2, v4
	ds_bpermute_b32 v4, v6, v29
	v_cmp_lt_i32_e32 vcc, v7, v3
	v_and_b32_e32 v46, 63, v0
	s_waitcnt lgkmcnt(0)
	v_max_f32_e32 v4, v4, v4
	v_max_f32_e32 v4, v5, v4
	v_cndmask_b32_e32 v5, v2, v7, vcc
	v_lshlrev_b32_e32 v8, 2, v5
	ds_bpermute_b32 v5, v8, v4
	v_xor_b32_e32 v7, 8, v2
	v_cmp_lt_i32_e32 vcc, v7, v3
	s_waitcnt lgkmcnt(0)
	v_max_f32_e32 v5, v5, v5
	v_max_f32_e32 v4, v4, v5
	v_cndmask_b32_e32 v5, v2, v7, vcc
	v_lshlrev_b32_e32 v9, 2, v5
	ds_bpermute_b32 v7, v9, v4
	v_cmp_eq_u32_e32 vcc, 0, v46
	v_lshlrev_b32_e32 v5, 2, v24
	s_and_saveexec_b64 s[6:7], vcc
	s_cbranch_execz .LBB14_22
; %bb.21:
	s_waitcnt lgkmcnt(0)
	v_max_f32_e32 v7, v7, v7
	v_max_f32_e32 v4, v4, v4
	v_max_f32_e32 v4, v4, v7
	ds_write_b32 v5, v4 offset:768
.LBB14_22:
	s_or_b64 exec, exec, s[6:7]
	v_cmp_gt_u32_e64 s[6:7], 2, v46
	v_mov_b32_e32 v4, 0xff7fffff
	s_waitcnt lgkmcnt(0)
	v_lshlrev_b32_e32 v7, 2, v46
	s_barrier
	s_and_saveexec_b64 s[8:9], s[6:7]
	s_cbranch_execz .LBB14_24
; %bb.23:
	ds_read_b32 v4, v7 offset:768
.LBB14_24:
	s_or_b64 exec, exec, s[8:9]
	v_xor_b32_e32 v10, 1, v2
	v_cmp_lt_i32_e64 s[8:9], v10, v3
	s_sub_i32 s3, s24, s40
	s_lshl_b32 s3, s3, 3
	v_cndmask_b32_e64 v10, v2, v10, s[8:9]
	v_lshlrev_b32_e32 v47, 2, v10
	s_waitcnt lgkmcnt(0)
	ds_bpermute_b32 v10, v47, v4
	v_max_f32_e32 v4, v4, v4
	s_add_i32 s3, s3, s49
	s_min_i32 s15, s3, s37
	s_sub_i32 s3, s15, s49
	s_waitcnt lgkmcnt(0)
	v_max_f32_e32 v10, v10, v10
	v_max_f32_e32 v4, v4, v10
	v_lshlrev_b32_e32 v10, 2, v2
	v_and_b32_e32 v10, 0x100, v10
	ds_bpermute_b32 v4, v10, v4
	v_cmp_gt_i32_e64 s[8:9], s3, v0
	v_mov_b32_e32 v11, 0
	s_and_saveexec_b64 s[16:17], s[8:9]
	s_cbranch_execz .LBB14_28
; %bb.25:
	v_mov_b32_e32 v11, 0x310
	v_lshl_add_u32 v12, v0, 2, v11
	s_mov_b64 s[40:41], 0
	v_mov_b32_e32 v11, 0
	v_mov_b32_e32 v13, v0
.LBB14_26:                              ; =>This Inner Loop Header: Depth=1
	ds_read_b32 v14, v12
	v_add_u32_e32 v13, 0x80, v13
	v_cmp_le_i32_e64 s[10:11], s3, v13
	s_or_b64 s[40:41], s[10:11], s[40:41]
	s_waitcnt lgkmcnt(0)
	v_sub_f32_e32 v14, v14, v4
	v_mul_f32_e32 v14, 0x3fb8aa3b, v14
	v_exp_f32_e32 v14, v14
	ds_write_b32 v12, v14
	v_add_f32_e32 v11, v11, v14
	v_add_u32_e32 v12, 0x200, v12
	s_andn2_b64 exec, exec, s[40:41]
	s_cbranch_execnz .LBB14_26
; %bb.27:
	s_or_b64 exec, exec, s[40:41]
.LBB14_28:
	s_or_b64 exec, exec, s[16:17]
	ds_bpermute_b32 v6, v6, v11
	s_waitcnt lgkmcnt(0)
	v_add_f32_e32 v6, v11, v6
	ds_bpermute_b32 v8, v8, v6
	s_waitcnt lgkmcnt(0)
	v_add_f32_e32 v6, v6, v8
	ds_bpermute_b32 v8, v9, v6
	v_xor_b32_e32 v9, 4, v2
	v_cmp_lt_i32_e64 s[10:11], v9, v3
	s_waitcnt lgkmcnt(0)
	v_add_f32_e32 v6, v6, v8
	v_cndmask_b32_e64 v9, v2, v9, s[10:11]
	v_lshlrev_b32_e32 v9, 2, v9
	ds_bpermute_b32 v8, v9, v6
	v_xor_b32_e32 v9, 2, v2
	v_cmp_lt_i32_e64 s[10:11], v9, v3
	s_waitcnt lgkmcnt(0)
	v_add_f32_e32 v3, v6, v8
	v_cndmask_b32_e64 v2, v2, v9, s[10:11]
	v_lshlrev_b32_e32 v2, 2, v2
	ds_bpermute_b32 v2, v2, v3
	s_waitcnt lgkmcnt(0)
	v_add_f32_e32 v2, v3, v2
	ds_bpermute_b32 v3, v47, v2
	s_waitcnt lgkmcnt(0)
	v_add_f32_e32 v2, v2, v3
	s_and_saveexec_b64 s[10:11], vcc
	s_cbranch_execz .LBB14_30
; %bb.29:
	ds_write_b32 v5, v2 offset:776
.LBB14_30:
	s_or_b64 exec, exec, s[10:11]
	s_waitcnt lgkmcnt(0)
	s_barrier
	s_and_saveexec_b64 s[10:11], s[6:7]
	s_cbranch_execz .LBB14_32
; %bb.31:
	ds_read_b32 v2, v7 offset:776
.LBB14_32:
	s_or_b64 exec, exec, s[10:11]
	s_waitcnt lgkmcnt(0)
	ds_bpermute_b32 v3, v47, v2
	s_waitcnt lgkmcnt(0)
	v_add_f32_e32 v2, v2, v3
	ds_bpermute_b32 v5, v10, v2
	s_and_saveexec_b64 s[6:7], s[8:9]
	s_cbranch_execz .LBB14_45
; %bb.33:
	s_waitcnt lgkmcnt(0)
	v_add_f32_e32 v2, 0x358637bd, v5
	v_div_scale_f32 v3, s[8:9], v2, v2, 1.0
	v_rcp_f32_e32 v6, v3
	v_div_scale_f32 v7, vcc, 1.0, v2, 1.0
	s_movk_i32 s8, 0x7f
	v_fma_f32 v8, -v3, v6, 1.0
	v_fmac_f32_e32 v6, v8, v6
	v_mul_f32_e32 v8, v7, v6
	v_fma_f32 v9, -v3, v8, v7
	v_fmac_f32_e32 v8, v9, v6
	v_fma_f32 v3, -v3, v8, v7
	v_div_fmas_f32 v3, v3, v6, v8
	v_div_fixup_f32 v2, v3, v2, 1.0
	v_xad_u32 v3, v0, -1, s15
	v_subrev_u32_e32 v6, s49, v3
	v_cmp_lt_u32_e32 vcc, s8, v6
	s_mov_b64 s[10:11], -1
	v_mov_b32_e32 v3, v0
	s_and_saveexec_b64 s[8:9], vcc
	s_cbranch_execz .LBB14_42
; %bb.34:
	v_lshrrev_b32_e32 v6, 7, v6
	v_add_u32_e32 v8, -1, v6
	v_lshrrev_b32_e32 v7, 1, v8
	v_mov_b32_e32 v3, v2
	v_add_u32_e32 v7, 1, v7
	v_cmp_lt_u32_e32 vcc, 13, v8
	v_mov_b32_e32 v10, 0
	s_and_saveexec_b64 s[10:11], vcc
	s_cbranch_execz .LBB14_38
; %bb.35:
	v_mov_b32_e32 v9, 0x310
	v_and_b32_e32 v8, -8, v7
	v_lshl_add_u32 v9, v0, 2, v9
	s_mov_b32 s15, 0
	s_mov_b64 s[16:17], 0
.LBB14_36:                              ; =>This Inner Loop Header: Depth=1
	ds_read2st64_b32 v[10:11], v9 offset1:2
	ds_read2st64_b32 v[12:13], v9 offset0:4 offset1:6
	ds_read2st64_b32 v[14:15], v9 offset0:8 offset1:10
	;; [unrolled: 1-line block ×3, first 2 shown]
	v_add_u32_e32 v8, -8, v8
	s_waitcnt lgkmcnt(3)
	v_pk_mul_f32 v[10:11], v[2:3], v[10:11]
	s_waitcnt lgkmcnt(2)
	v_pk_mul_f32 v[12:13], v[2:3], v[12:13]
	ds_write2st64_b32 v9, v10, v11 offset1:2
	ds_write2st64_b32 v9, v12, v13 offset0:4 offset1:6
	ds_read2st64_b32 v[12:13], v9 offset0:16 offset1:18
	s_waitcnt lgkmcnt(4)
	v_pk_mul_f32 v[10:11], v[2:3], v[14:15]
	ds_write2st64_b32 v9, v10, v11 offset0:8 offset1:10
	s_waitcnt lgkmcnt(4)
	v_pk_mul_f32 v[10:11], v[2:3], v[16:17]
	ds_write2st64_b32 v9, v10, v11 offset0:12 offset1:14
	ds_read2st64_b32 v[10:11], v9 offset0:20 offset1:22
	s_waitcnt lgkmcnt(3)
	v_pk_mul_f32 v[12:13], v[2:3], v[12:13]
	ds_read2st64_b32 v[14:15], v9 offset0:24 offset1:26
	ds_write2st64_b32 v9, v12, v13 offset0:16 offset1:18
	ds_read2st64_b32 v[12:13], v9 offset0:28 offset1:30
	s_waitcnt lgkmcnt(3)
	v_pk_mul_f32 v[10:11], v[2:3], v[10:11]
	ds_write2st64_b32 v9, v10, v11 offset0:20 offset1:22
	s_waitcnt lgkmcnt(3)
	v_pk_mul_f32 v[10:11], v[2:3], v[14:15]
	ds_write2st64_b32 v9, v10, v11 offset0:24 offset1:26
	s_waitcnt lgkmcnt(2)
	v_pk_mul_f32 v[10:11], v[2:3], v[12:13]
	s_add_i32 s15, s15, 16
	v_cmp_eq_u32_e32 vcc, 0, v8
	ds_write2st64_b32 v9, v10, v11 offset0:28 offset1:30
	v_add_u32_e32 v9, 0x2000, v9
	s_or_b64 s[16:17], vcc, s[16:17]
	v_mov_b32_e32 v10, s15
	s_andn2_b64 exec, exec, s[16:17]
	s_cbranch_execnz .LBB14_36
; %bb.37:
	s_or_b64 exec, exec, s[16:17]
.LBB14_38:
	s_or_b64 exec, exec, s[10:11]
	v_and_b32_e32 v7, 7, v7
	v_cmp_ne_u32_e32 vcc, 0, v7
	s_and_saveexec_b64 s[10:11], vcc
	s_cbranch_execz .LBB14_41
; %bb.39:
	v_lshlrev_b32_e32 v8, 9, v10
	v_lshlrev_b32_e32 v9, 2, v0
	s_movk_i32 s15, 0x310
	v_add3_u32 v8, v8, v9, s15
	s_mov_b64 s[16:17], 0
.LBB14_40:                              ; =>This Inner Loop Header: Depth=1
	ds_read2st64_b32 v[10:11], v8 offset1:2
	v_add_u32_e32 v7, -1, v7
	v_cmp_eq_u32_e32 vcc, 0, v7
	s_or_b64 s[16:17], vcc, s[16:17]
	s_waitcnt lgkmcnt(0)
	v_pk_mul_f32 v[10:11], v[2:3], v[10:11]
	ds_write2st64_b32 v8, v10, v11 offset1:2
	v_add_u32_e32 v8, 0x400, v8
	s_andn2_b64 exec, exec, s[16:17]
	s_cbranch_execnz .LBB14_40
.LBB14_41:
	s_or_b64 exec, exec, s[10:11]
	v_add_u32_e32 v6, 1, v6
	v_and_b32_e32 v7, 0x3fffffe, v6
	v_cmp_ne_u32_e32 vcc, v6, v7
	v_lshl_add_u32 v3, v7, 7, v0
	s_orn2_b64 s[10:11], vcc, exec
.LBB14_42:
	s_or_b64 exec, exec, s[8:9]
	s_and_b64 exec, exec, s[10:11]
	s_cbranch_execz .LBB14_45
; %bb.43:
	v_mov_b32_e32 v6, 0x310
	v_lshl_add_u32 v6, v3, 2, v6
	s_mov_b64 s[8:9], 0
.LBB14_44:                              ; =>This Inner Loop Header: Depth=1
	ds_read_b32 v7, v6
	v_add_u32_e32 v3, 0x80, v3
	v_cmp_le_i32_e32 vcc, s3, v3
	s_or_b64 s[8:9], vcc, s[8:9]
	s_waitcnt lgkmcnt(0)
	v_mul_f32_e32 v7, v2, v7
	ds_write_b32 v6, v7
	v_add_u32_e32 v6, 0x200, v6
	s_andn2_b64 exec, exec, s[8:9]
	s_cbranch_execnz .LBB14_44
.LBB14_45:
	s_or_b64 exec, exec, s[6:7]
	s_mul_i32 s3, s33, s36
	v_cmp_eq_u32_e32 vcc, 0, v0
	s_mul_i32 s6, s3, s5
	s_waitcnt lgkmcnt(0)
	s_barrier
	s_and_saveexec_b64 s[8:9], vcc
	s_cbranch_execz .LBB14_47
; %bb.46:
	s_ashr_i32 s7, s6, 31
	s_lshl_b64 s[10:11], s[6:7], 2
	s_add_u32 s5, s22, s10
	s_mul_i32 s2, s33, s2
	s_addc_u32 s7, s23, s11
	s_ashr_i32 s3, s2, 31
	s_lshl_b64 s[2:3], s[2:3], 2
	s_add_u32 s15, s5, s2
	s_addc_u32 s7, s7, s3
	s_ashr_i32 s5, s4, 31
	s_lshl_b64 s[16:17], s[4:5], 2
	s_add_u32 s22, s15, s16
	s_addc_u32 s23, s7, s17
	s_add_u32 s5, s20, s10
	s_addc_u32 s7, s21, s11
	;; [unrolled: 2-line block ×3, first 2 shown]
	s_add_u32 s2, s2, s16
	v_mov_b32_e32 v2, 0
	s_addc_u32 s3, s3, s17
	global_store_dword v2, v4, s[22:23]
	global_store_dword v2, v5, s[2:3]
.LBB14_47:
	s_or_b64 exec, exec, s[8:9]
	s_mov_b32 s8, 0
	v_mov_b32_e32 v7, 0
	v_and_b32_e32 v48, 1, v0
	v_mov_b32_e32 v6, 0
	v_mov_b32_e32 v5, 0
	;; [unrolled: 1-line block ×5, first 2 shown]
	s_and_saveexec_b64 s[2:3], s[0:1]
	s_cbranch_execz .LBB14_65
; %bb.48:
	s_ashr_i32 s15, s14, 31
	s_sub_i32 s5, s48, s25
	s_lshl_b64 s[0:1], s[14:15], 2
	s_add_u32 s14, s18, s0
	s_addc_u32 s15, s19, s1
	s_abs_i32 s7, s26
	v_cvt_f32_u32_e32 v2, s7
	v_lshlrev_b32_e32 v3, 2, v0
	s_sub_i32 s0, 0, s7
	v_and_b32_e32 v49, 4, v3
	v_rcp_iflag_f32_e32 v2, v2
	v_and_b32_e32 v8, 0xfc, v3
	s_add_i32 s19, s12, -1
	s_mov_b32 s9, s8
	v_mul_f32_e32 v2, 0x4f7ffffe, v2
	v_cvt_u32_f32_e32 v2, v2
	s_mov_b32 s18, s13
	v_or_b32_e32 v10, 0x400, v8
	v_or_b32_e32 v12, 0x500, v8
	v_mul_lo_u32 v3, s0, v2
	v_mul_hi_u32 v3, v2, v3
	s_lshl_b64 s[0:1], s[38:39], 2
	v_add_u32_e32 v50, v2, v3
	s_add_u32 s0, s34, s0
	v_lshlrev_b32_e32 v2, 4, v48
	s_addc_u32 s1, s35, s1
	v_lshl_or_b32 v2, v24, 5, v2
	v_lshl_add_u64 v[40:41], v[36:37], 2, s[0:1]
	v_add_u32_e32 v37, 0x310, v2
	s_mov_b32 s10, s8
	s_mov_b32 s11, s8
	;; [unrolled: 1-line block ×4, first 2 shown]
	v_mov_b64_e32 v[2:3], s[8:9]
	v_mov_b32_e32 v39, 0
	s_mov_b64 s[16:17], 0
	v_mov_b64_e32 v[4:5], s[10:11]
	v_mov_b64_e32 v[6:7], s[12:13]
	v_lshlrev_b32_e32 v42, 2, v8
	v_lshlrev_b32_e32 v38, 2, v10
	;; [unrolled: 1-line block ×3, first 2 shown]
	s_branch .LBB14_51
.LBB14_49:                              ;   in Loop: Header=BB14_51 Depth=1
	s_or_b64 exec, exec, s[0:1]
	s_waitcnt vmcnt(5) lgkmcnt(0)
	v_mul_f32_e32 v13, v9, v13
	v_fmac_f32_e32 v13, v8, v12
	s_waitcnt vmcnt(4)
	v_mul_f32_e32 v12, v9, v17
	v_fmac_f32_e32 v12, v8, v16
	v_fmac_f32_e32 v12, v10, v18
	v_fmac_f32_e32 v12, v11, v19
	v_add_f32_e32 v3, v3, v12
	s_waitcnt vmcnt(3)
	v_mul_f32_e32 v12, v9, v21
	v_fmac_f32_e32 v12, v8, v20
	v_fmac_f32_e32 v12, v10, v22
	v_fmac_f32_e32 v12, v11, v23
	v_add_f32_e32 v4, v4, v12
	s_waitcnt vmcnt(2)
	v_mul_f32_e32 v12, v9, v25
	v_fmac_f32_e32 v12, v8, v24
	v_fmac_f32_e32 v12, v10, v26
	v_fmac_f32_e32 v12, v11, v27
	v_add_f32_e32 v5, v5, v12
	s_waitcnt vmcnt(1)
	v_mul_f32_e32 v12, v9, v29
	s_waitcnt vmcnt(0)
	v_mul_f32_e32 v9, v9, v33
	v_fmac_f32_e32 v12, v8, v28
	v_fmac_f32_e32 v9, v8, v32
	;; [unrolled: 1-line block ×8, first 2 shown]
	v_add_f32_e32 v2, v2, v13
	v_add_f32_e32 v6, v6, v12
	;; [unrolled: 1-line block ×3, first 2 shown]
.LBB14_50:                              ;   in Loop: Header=BB14_51 Depth=1
	s_or_b64 exec, exec, s[8:9]
	v_add_u32_e32 v36, 2, v36
	v_cmp_le_i32_e32 vcc, s24, v36
	v_lshl_add_u64 v[40:41], v[40:41], 0, 8
	v_add_u32_e32 v1, 16, v1
	s_or_b64 s[16:17], vcc, s[16:17]
	v_add_u32_e32 v37, 64, v37
	s_andn2_b64 exec, exec, s[16:17]
	s_cbranch_execz .LBB14_64
.LBB14_51:                              ; =>This Inner Loop Header: Depth=1
	v_sub_u32_e32 v9, 0, v1
	v_max_i32_e32 v9, v1, v9
	v_mul_hi_u32 v10, v9, s46
	v_mul_lo_u32 v11, v10, s31
	v_sub_u32_e32 v9, v9, v11
	v_add_u32_e32 v11, 1, v10
	v_cmp_le_u32_e32 vcc, s31, v9
	v_ashrrev_i32_e32 v8, 31, v1
	v_xor_b32_e32 v8, s27, v8
	v_cndmask_b32_e32 v10, v10, v11, vcc
	v_subrev_u32_e32 v11, s31, v9
	v_cndmask_b32_e32 v9, v9, v11, vcc
	v_add_u32_e32 v11, 1, v10
	v_cmp_le_u32_e32 vcc, s31, v9
	s_nop 1
	v_cndmask_b32_e32 v9, v10, v11, vcc
	v_xor_b32_e32 v9, v9, v8
	v_sub_u32_e32 v8, v9, v8
	v_add_u32_e32 v9, s47, v8
	v_sub_u32_e32 v11, 0, v9
	v_ashrrev_i32_e32 v10, 31, v9
	v_max_i32_e32 v9, v9, v11
	v_mul_hi_u32 v11, v9, v50
	v_mul_lo_u32 v11, v11, s7
	v_sub_u32_e32 v9, v9, v11
	v_subrev_u32_e32 v11, s7, v9
	v_cmp_le_u32_e32 vcc, s7, v9
	v_cmp_lt_i32_e64 s[0:1], s5, v8
	s_nop 0
	v_cndmask_b32_e32 v9, v9, v11, vcc
	v_subrev_u32_e32 v11, s7, v9
	v_cmp_le_u32_e32 vcc, s7, v9
	s_nop 1
	v_cndmask_b32_e32 v9, v9, v11, vcc
	v_xor_b32_e32 v9, v9, v10
	v_sub_u32_e32 v9, v9, v10
	v_cmp_eq_u32_e32 vcc, 0, v9
	s_or_b64 s[0:1], vcc, s[0:1]
	s_and_saveexec_b64 s[8:9], s[0:1]
	s_cbranch_execz .LBB14_50
; %bb.52:                               ;   in Loop: Header=BB14_51 Depth=1
	global_load_dword v8, v[40:41], off
	v_mov_b32_e32 v43, v39
	v_cmp_eq_u32_e32 vcc, s19, v36
	s_waitcnt vmcnt(0)
	v_mad_i64_i32 v[8:9], s[0:1], v8, s18, 0
	v_lshl_add_u64 v[32:33], v[8:9], 2, s[14:15]
	v_lshl_add_u64 v[24:25], v[32:33], 0, v[42:43]
	global_load_dwordx4 v[12:15], v[24:25], off
	ds_read_b128 v[8:11], v37
	v_add_u32_e32 v43, v49, v1
	v_add_u32_e32 v53, 1, v43
	;; [unrolled: 1-line block ×4, first 2 shown]
	s_and_saveexec_b64 s[10:11], vcc
	s_cbranch_execnz .LBB14_61
; %bb.53:                               ;   in Loop: Header=BB14_51 Depth=1
	s_or_b64 exec, exec, s[10:11]
	global_load_dwordx4 v[16:19], v[24:25], off offset:1024
	s_and_saveexec_b64 s[10:11], vcc
	s_cbranch_execnz .LBB14_62
.LBB14_54:                              ;   in Loop: Header=BB14_51 Depth=1
	s_or_b64 exec, exec, s[10:11]
	global_load_dwordx4 v[20:23], v[24:25], off offset:2048
	s_and_saveexec_b64 s[10:11], vcc
	s_cbranch_execnz .LBB14_63
.LBB14_55:                              ;   in Loop: Header=BB14_51 Depth=1
	s_or_b64 exec, exec, s[10:11]
	global_load_dwordx4 v[24:27], v[24:25], off offset:3072
	s_and_saveexec_b64 s[10:11], vcc
	s_cbranch_execz .LBB14_57
.LBB14_56:                              ;   in Loop: Header=BB14_51 Depth=1
	v_cmp_gt_i32_e64 s[0:1], s37, v43
	s_waitcnt vmcnt(0)
	s_nop 0
	v_cndmask_b32_e64 v24, 0, v24, s[0:1]
	v_cmp_gt_i32_e64 s[0:1], s37, v53
	s_nop 1
	v_cndmask_b32_e64 v25, 0, v25, s[0:1]
	v_cmp_gt_i32_e64 s[0:1], s37, v52
	s_nop 1
	v_cndmask_b32_e64 v26, 0, v26, s[0:1]
	v_cmp_gt_i32_e64 s[0:1], s37, v51
	s_nop 1
	v_cndmask_b32_e64 v27, 0, v27, s[0:1]
.LBB14_57:                              ;   in Loop: Header=BB14_51 Depth=1
	s_or_b64 exec, exec, s[10:11]
	v_lshl_add_u64 v[28:29], v[32:33], 0, v[38:39]
	global_load_dwordx4 v[28:31], v[28:29], off
	s_and_saveexec_b64 s[10:11], vcc
	s_cbranch_execz .LBB14_59
; %bb.58:                               ;   in Loop: Header=BB14_51 Depth=1
	v_cmp_gt_i32_e64 s[0:1], s37, v43
	s_waitcnt vmcnt(0)
	s_nop 0
	v_cndmask_b32_e64 v28, 0, v28, s[0:1]
	v_cmp_gt_i32_e64 s[0:1], s37, v53
	s_nop 1
	v_cndmask_b32_e64 v29, 0, v29, s[0:1]
	v_cmp_gt_i32_e64 s[0:1], s37, v52
	;; [unrolled: 3-line block ×3, first 2 shown]
	s_nop 1
	v_cndmask_b32_e64 v31, 0, v31, s[0:1]
.LBB14_59:                              ;   in Loop: Header=BB14_51 Depth=1
	s_or_b64 exec, exec, s[10:11]
	v_mov_b32_e32 v45, v39
	v_lshl_add_u64 v[32:33], v[32:33], 0, v[44:45]
	global_load_dwordx4 v[32:35], v[32:33], off
	s_and_saveexec_b64 s[0:1], vcc
	s_cbranch_execz .LBB14_49
; %bb.60:                               ;   in Loop: Header=BB14_51 Depth=1
	v_cmp_gt_i32_e32 vcc, s37, v43
	s_waitcnt vmcnt(0)
	s_nop 0
	v_cndmask_b32_e32 v32, 0, v32, vcc
	v_cmp_gt_i32_e32 vcc, s37, v53
	s_nop 1
	v_cndmask_b32_e32 v33, 0, v33, vcc
	v_cmp_gt_i32_e32 vcc, s37, v52
	;; [unrolled: 3-line block ×3, first 2 shown]
	s_nop 1
	v_cndmask_b32_e32 v35, 0, v35, vcc
	s_branch .LBB14_49
.LBB14_61:                              ;   in Loop: Header=BB14_51 Depth=1
	v_cmp_gt_i32_e64 s[0:1], s37, v43
	s_waitcnt vmcnt(0)
	s_nop 0
	v_cndmask_b32_e64 v12, 0, v12, s[0:1]
	v_cmp_gt_i32_e64 s[0:1], s37, v53
	s_nop 1
	v_cndmask_b32_e64 v13, 0, v13, s[0:1]
	v_cmp_gt_i32_e64 s[0:1], s37, v52
	;; [unrolled: 3-line block ×3, first 2 shown]
	s_nop 1
	v_cndmask_b32_e64 v15, 0, v15, s[0:1]
	s_or_b64 exec, exec, s[10:11]
	global_load_dwordx4 v[16:19], v[24:25], off offset:1024
	s_and_saveexec_b64 s[10:11], vcc
	s_cbranch_execz .LBB14_54
.LBB14_62:                              ;   in Loop: Header=BB14_51 Depth=1
	v_cmp_gt_i32_e64 s[0:1], s37, v43
	s_waitcnt vmcnt(0)
	s_nop 0
	v_cndmask_b32_e64 v16, 0, v16, s[0:1]
	v_cmp_gt_i32_e64 s[0:1], s37, v53
	s_nop 1
	v_cndmask_b32_e64 v17, 0, v17, s[0:1]
	v_cmp_gt_i32_e64 s[0:1], s37, v52
	;; [unrolled: 3-line block ×3, first 2 shown]
	s_nop 1
	v_cndmask_b32_e64 v19, 0, v19, s[0:1]
	s_or_b64 exec, exec, s[10:11]
	global_load_dwordx4 v[20:23], v[24:25], off offset:2048
	s_and_saveexec_b64 s[10:11], vcc
	s_cbranch_execz .LBB14_55
.LBB14_63:                              ;   in Loop: Header=BB14_51 Depth=1
	v_cmp_gt_i32_e64 s[0:1], s37, v43
	s_waitcnt vmcnt(0)
	s_nop 0
	v_cndmask_b32_e64 v20, 0, v20, s[0:1]
	v_cmp_gt_i32_e64 s[0:1], s37, v53
	s_nop 1
	v_cndmask_b32_e64 v21, 0, v21, s[0:1]
	v_cmp_gt_i32_e64 s[0:1], s37, v52
	;; [unrolled: 3-line block ×3, first 2 shown]
	s_nop 1
	v_cndmask_b32_e64 v23, 0, v23, s[0:1]
	s_or_b64 exec, exec, s[10:11]
	global_load_dwordx4 v[24:27], v[24:25], off offset:3072
	s_and_saveexec_b64 s[10:11], vcc
	s_cbranch_execnz .LBB14_56
	s_branch .LBB14_57
.LBB14_64:
	s_or_b64 exec, exec, s[16:17]
.LBB14_65:
	s_or_b64 exec, exec, s[2:3]
	ds_bpermute_b32 v8, v47, v2
	ds_bpermute_b32 v9, v47, v3
	;; [unrolled: 1-line block ×6, first 2 shown]
	v_and_b32_e32 v1, 0x3c1, v0
	s_waitcnt lgkmcnt(4)
	v_pk_add_f32 v[8:9], v[2:3], v[8:9]
	s_waitcnt lgkmcnt(2)
	v_pk_add_f32 v[2:3], v[4:5], v[10:11]
	v_cmp_eq_u32_e32 vcc, 64, v1
	s_waitcnt lgkmcnt(0)
	v_pk_add_f32 v[4:5], v[6:7], v[12:13]
	s_barrier
	s_and_saveexec_b64 s[0:1], vcc
	s_cbranch_execz .LBB14_67
; %bb.66:
	v_mov_b32_e32 v6, 0x310
	v_lshl_add_u32 v6, v46, 1, v6
	ds_write2_b32 v6, v8, v9 offset1:32
	ds_write2_b32 v6, v2, v3 offset0:64 offset1:96
	ds_write2_b32 v6, v4, v5 offset0:128 offset1:160
.LBB14_67:
	s_or_b64 exec, exec, s[0:1]
	v_cmp_gt_u32_e32 vcc, 64, v0
	s_waitcnt lgkmcnt(0)
	s_barrier
	s_and_saveexec_b64 s[0:1], vcc
	s_cbranch_execz .LBB14_76
; %bb.68:
	v_cmp_eq_u32_e32 vcc, 0, v48
	v_lshrrev_b32_e32 v6, 1, v0
	s_and_saveexec_b64 s[2:3], vcc
	s_cbranch_execnz .LBB14_79
; %bb.69:
	s_or_b64 exec, exec, s[2:3]
	s_and_saveexec_b64 s[2:3], vcc
	s_cbranch_execnz .LBB14_80
.LBB14_70:
	s_or_b64 exec, exec, s[2:3]
	s_and_saveexec_b64 s[2:3], vcc
	s_cbranch_execnz .LBB14_81
.LBB14_71:
	s_or_b64 exec, exec, s[2:3]
	s_and_saveexec_b64 s[2:3], vcc
	s_cbranch_execnz .LBB14_82
.LBB14_72:
	s_or_b64 exec, exec, s[2:3]
	s_and_saveexec_b64 s[2:3], vcc
	s_cbranch_execnz .LBB14_83
.LBB14_73:
	s_or_b64 exec, exec, s[2:3]
	s_and_saveexec_b64 s[2:3], vcc
	s_cbranch_execz .LBB14_75
.LBB14_74:
	v_mov_b32_e32 v7, 0x310
	v_lshl_add_u32 v6, v6, 2, v7
	ds_read_b32 v6, v6 offset:640
	s_waitcnt lgkmcnt(0)
	v_add_f32_e32 v5, v5, v6
.LBB14_75:
	s_or_b64 exec, exec, s[2:3]
.LBB14_76:
	s_or_b64 exec, exec, s[0:1]
	v_cmp_eq_u32_e32 vcc, 0, v1
	s_barrier
	s_and_saveexec_b64 s[0:1], vcc
	s_cbranch_execz .LBB14_78
; %bb.77:
	s_mul_i32 s0, s6, 0xc0
	s_ashr_i32 s1, s0, 31
	s_lshl_b64 s[0:1], s[0:1], 2
	s_add_u32 s2, s28, s0
	s_mul_i32 s0, s33, s30
	s_addc_u32 s3, s29, s1
	s_ashr_i32 s1, s0, 31
	s_lshl_b64 s[0:1], s[0:1], 2
	s_add_u32 s2, s2, s0
	s_mul_i32 s0, s4, 0xc0
	s_addc_u32 s3, s3, s1
	s_ashr_i32 s1, s0, 31
	s_lshl_b64 s[0:1], s[0:1], 2
	s_add_u32 s0, s2, s0
	s_addc_u32 s1, s3, s1
	v_lshlrev_b32_e32 v0, 1, v0
	global_store_dword v0, v8, s[0:1]
	global_store_dword v0, v9, s[0:1] offset:128
	global_store_dword v0, v2, s[0:1] offset:256
	;; [unrolled: 1-line block ×5, first 2 shown]
.LBB14_78:
	s_endpgm
.LBB14_79:
	v_mov_b32_e32 v7, 0x310
	v_lshl_add_u32 v7, v6, 2, v7
	ds_read_b32 v7, v7
	s_waitcnt lgkmcnt(0)
	v_add_f32_e32 v8, v8, v7
	s_or_b64 exec, exec, s[2:3]
	s_and_saveexec_b64 s[2:3], vcc
	s_cbranch_execz .LBB14_70
.LBB14_80:
	v_mov_b32_e32 v7, 0x310
	v_lshl_add_u32 v7, v6, 2, v7
	ds_read_b32 v7, v7 offset:128
	s_waitcnt lgkmcnt(0)
	v_add_f32_e32 v9, v9, v7
	s_or_b64 exec, exec, s[2:3]
	s_and_saveexec_b64 s[2:3], vcc
	s_cbranch_execz .LBB14_71
.LBB14_81:
	v_mov_b32_e32 v7, 0x310
	v_lshl_add_u32 v7, v6, 2, v7
	ds_read_b32 v7, v7 offset:256
	s_waitcnt lgkmcnt(0)
	v_add_f32_e32 v2, v2, v7
	s_or_b64 exec, exec, s[2:3]
	s_and_saveexec_b64 s[2:3], vcc
	s_cbranch_execz .LBB14_72
.LBB14_82:
	v_mov_b32_e32 v7, 0x310
	v_lshl_add_u32 v7, v6, 2, v7
	ds_read_b32 v7, v7 offset:384
	s_waitcnt lgkmcnt(0)
	v_add_f32_e32 v3, v3, v7
	s_or_b64 exec, exec, s[2:3]
	s_and_saveexec_b64 s[2:3], vcc
	s_cbranch_execz .LBB14_73
.LBB14_83:
	v_mov_b32_e32 v7, 0x310
	v_lshl_add_u32 v7, v6, 2, v7
	ds_read_b32 v7, v7 offset:512
	s_waitcnt lgkmcnt(0)
	v_add_f32_e32 v4, v4, v7
	s_or_b64 exec, exec, s[2:3]
	s_and_saveexec_b64 s[2:3], vcc
	s_cbranch_execnz .LBB14_74
	s_branch .LBB14_75
	.section	.rodata,"a",@progbits
	.p2align	6, 0x0
	.amdhsa_kernel _ZN4vllm25paged_attention_v2_kernelIffLi192ELi8ELi128ELNS_18Fp8KVCacheDataTypeE0ELb1ELi512EEEvPfS2_PT_PKS3_PKT0_S9_ifPKiSB_iPKfiiiSD_SD_iiiii
		.amdhsa_group_segment_fixed_size 784
		.amdhsa_private_segment_fixed_size 0
		.amdhsa_kernarg_size 400
		.amdhsa_user_sgpr_count 2
		.amdhsa_user_sgpr_dispatch_ptr 0
		.amdhsa_user_sgpr_queue_ptr 0
		.amdhsa_user_sgpr_kernarg_segment_ptr 1
		.amdhsa_user_sgpr_dispatch_id 0
		.amdhsa_user_sgpr_kernarg_preload_length 0
		.amdhsa_user_sgpr_kernarg_preload_offset 0
		.amdhsa_user_sgpr_private_segment_size 0
		.amdhsa_uses_dynamic_stack 0
		.amdhsa_enable_private_segment 0
		.amdhsa_system_sgpr_workgroup_id_x 1
		.amdhsa_system_sgpr_workgroup_id_y 1
		.amdhsa_system_sgpr_workgroup_id_z 1
		.amdhsa_system_sgpr_workgroup_info 0
		.amdhsa_system_vgpr_workitem_id 0
		.amdhsa_next_free_vgpr 76
		.amdhsa_next_free_sgpr 52
		.amdhsa_accum_offset 76
		.amdhsa_reserve_vcc 1
		.amdhsa_float_round_mode_32 0
		.amdhsa_float_round_mode_16_64 0
		.amdhsa_float_denorm_mode_32 3
		.amdhsa_float_denorm_mode_16_64 3
		.amdhsa_dx10_clamp 1
		.amdhsa_ieee_mode 1
		.amdhsa_fp16_overflow 0
		.amdhsa_tg_split 0
		.amdhsa_exception_fp_ieee_invalid_op 0
		.amdhsa_exception_fp_denorm_src 0
		.amdhsa_exception_fp_ieee_div_zero 0
		.amdhsa_exception_fp_ieee_overflow 0
		.amdhsa_exception_fp_ieee_underflow 0
		.amdhsa_exception_fp_ieee_inexact 0
		.amdhsa_exception_int_div_zero 0
	.end_amdhsa_kernel
	.section	.text._ZN4vllm25paged_attention_v2_kernelIffLi192ELi8ELi128ELNS_18Fp8KVCacheDataTypeE0ELb1ELi512EEEvPfS2_PT_PKS3_PKT0_S9_ifPKiSB_iPKfiiiSD_SD_iiiii,"axG",@progbits,_ZN4vllm25paged_attention_v2_kernelIffLi192ELi8ELi128ELNS_18Fp8KVCacheDataTypeE0ELb1ELi512EEEvPfS2_PT_PKS3_PKT0_S9_ifPKiSB_iPKfiiiSD_SD_iiiii,comdat
.Lfunc_end14:
	.size	_ZN4vllm25paged_attention_v2_kernelIffLi192ELi8ELi128ELNS_18Fp8KVCacheDataTypeE0ELb1ELi512EEEvPfS2_PT_PKS3_PKT0_S9_ifPKiSB_iPKfiiiSD_SD_iiiii, .Lfunc_end14-_ZN4vllm25paged_attention_v2_kernelIffLi192ELi8ELi128ELNS_18Fp8KVCacheDataTypeE0ELb1ELi512EEEvPfS2_PT_PKS3_PKT0_S9_ifPKiSB_iPKfiiiSD_SD_iiiii
                                        ; -- End function
	.section	.AMDGPU.csdata,"",@progbits
; Kernel info:
; codeLenInByte = 5792
; NumSgprs: 58
; NumVgprs: 76
; NumAgprs: 0
; TotalNumVgprs: 76
; ScratchSize: 0
; MemoryBound: 0
; FloatMode: 240
; IeeeMode: 1
; LDSByteSize: 784 bytes/workgroup (compile time only)
; SGPRBlocks: 7
; VGPRBlocks: 9
; NumSGPRsForWavesPerEU: 58
; NumVGPRsForWavesPerEU: 76
; AccumOffset: 76
; Occupancy: 6
; WaveLimiterHint : 1
; COMPUTE_PGM_RSRC2:SCRATCH_EN: 0
; COMPUTE_PGM_RSRC2:USER_SGPR: 2
; COMPUTE_PGM_RSRC2:TRAP_HANDLER: 0
; COMPUTE_PGM_RSRC2:TGID_X_EN: 1
; COMPUTE_PGM_RSRC2:TGID_Y_EN: 1
; COMPUTE_PGM_RSRC2:TGID_Z_EN: 1
; COMPUTE_PGM_RSRC2:TIDIG_COMP_CNT: 0
; COMPUTE_PGM_RSRC3_GFX90A:ACCUM_OFFSET: 18
; COMPUTE_PGM_RSRC3_GFX90A:TG_SPLIT: 0
	.section	.text._ZN4vllm32paged_attention_v2_reduce_kernelIfLi192ELi128ELi512EEEvPT_PKfS4_PKS1_PKii,"axG",@progbits,_ZN4vllm32paged_attention_v2_reduce_kernelIfLi192ELi128ELi512EEEvPT_PKfS4_PKS1_PKii,comdat
	.protected	_ZN4vllm32paged_attention_v2_reduce_kernelIfLi192ELi128ELi512EEEvPT_PKfS4_PKS1_PKii ; -- Begin function _ZN4vllm32paged_attention_v2_reduce_kernelIfLi192ELi128ELi512EEEvPT_PKfS4_PKS1_PKii
	.globl	_ZN4vllm32paged_attention_v2_reduce_kernelIfLi192ELi128ELi512EEEvPT_PKfS4_PKS1_PKii
	.p2align	8
	.type	_ZN4vllm32paged_attention_v2_reduce_kernelIfLi192ELi128ELi512EEEvPT_PKfS4_PKS1_PKii,@function
_ZN4vllm32paged_attention_v2_reduce_kernelIfLi192ELi128ELi512EEEvPT_PKfS4_PKS1_PKii: ; @_ZN4vllm32paged_attention_v2_reduce_kernelIfLi192ELi128ELi512EEEvPT_PKfS4_PKS1_PKii
; %bb.0:
	s_load_dwordx4 s[8:11], s[0:1], 0x18
	s_add_u32 s6, s0, 48
	s_mov_b32 s12, s3
	s_addc_u32 s7, s1, 0
	s_ashr_i32 s13, s3, 31
	s_lshl_b64 s[4:5], s[12:13], 2
	s_waitcnt lgkmcnt(0)
	s_add_u32 s4, s10, s4
	s_addc_u32 s5, s11, s5
	s_load_dword s24, s[4:5], 0x0
	s_load_dwordx2 s[10:11], s[0:1], 0x0
	s_load_dword s13, s[0:1], 0x28
	s_load_dword s3, s[0:1], 0x30
	s_waitcnt lgkmcnt(0)
	s_add_i32 s4, s24, -1
	s_cmpk_gt_u32 s4, 0x1ff
	s_mov_b64 s[4:5], -1
	s_cbranch_scc0 .LBB15_24
; %bb.1:
	s_add_i32 s4, s24, 0x1ff
	s_load_dwordx2 s[18:19], s[0:1], 0x8
	s_ashr_i32 s5, s4, 31
	s_lshr_b32 s5, s5, 23
	s_add_i32 s4, s4, s5
	s_mul_i32 s26, s3, s12
	s_ashr_i32 s25, s4, 9
	s_mul_i32 s14, s26, s13
	s_mul_i32 s16, s2, s13
	s_ashr_i32 s15, s14, 31
	s_ashr_i32 s17, s16, 31
	v_cmp_gt_i32_e32 vcc, s25, v0
	v_mov_b32_e32 v4, 0xff7fffff
	s_and_saveexec_b64 s[4:5], vcc
	s_cbranch_execz .LBB15_5
; %bb.2:
	s_load_dword s20, s[6:7], 0xc
	s_load_dwordx2 s[22:23], s[0:1], 0x10
	s_lshl_b64 s[0:1], s[14:15], 2
	s_lshl_b64 s[28:29], s[16:17], 2
	v_lshlrev_b32_e32 v4, 2, v0
	s_waitcnt lgkmcnt(0)
	s_and_b32 s27, s20, 0xffff
	s_add_u32 s0, s0, s28
	s_addc_u32 s1, s1, s29
	s_add_u32 s0, s22, s0
	v_mov_b32_e32 v5, 0
	s_addc_u32 s1, s23, s1
	s_mov_b32 s21, 0
	v_lshl_add_u64 v[2:3], s[0:1], 0, v[4:5]
	s_lshl_b32 s20, s27, 2
	v_add_u32_e32 v1, 16, v4
	s_mov_b64 s[22:23], 0
	v_mov_b32_e32 v4, 0xff7fffff
	v_mov_b32_e32 v5, v0
.LBB15_3:                               ; =>This Inner Loop Header: Depth=1
	global_load_dword v6, v[2:3], off
	v_add_u32_e32 v5, s27, v5
	v_max_f32_e32 v4, v4, v4
	v_cmp_le_i32_e64 s[0:1], s25, v5
	v_lshl_add_u64 v[2:3], v[2:3], 0, s[20:21]
	s_or_b64 s[22:23], s[0:1], s[22:23]
	s_waitcnt vmcnt(0)
	ds_write_b32 v1, v6
	v_max_f32_e32 v6, v6, v6
	v_add_u32_e32 v1, s20, v1
	v_max_f32_e32 v4, v4, v6
	s_andn2_b64 exec, exec, s[22:23]
	s_cbranch_execnz .LBB15_3
; %bb.4:
	s_or_b64 exec, exec, s[22:23]
.LBB15_5:
	s_or_b64 exec, exec, s[4:5]
	v_mbcnt_lo_u32_b32 v1, -1, 0
	v_mbcnt_hi_u32_b32 v2, -1, v1
	v_and_b32_e32 v1, 64, v2
	v_add_u32_e32 v5, 64, v1
	v_xor_b32_e32 v1, 32, v2
	v_cmp_lt_i32_e64 s[0:1], v1, v5
	v_xor_b32_e32 v6, 16, v2
	v_lshrrev_b32_e32 v10, 6, v0
	v_cndmask_b32_e64 v1, v2, v1, s[0:1]
	v_lshlrev_b32_e32 v1, 2, v1
	ds_bpermute_b32 v3, v1, v4
	v_max_f32_e32 v4, v4, v4
	v_cmp_lt_i32_e64 s[0:1], v6, v5
	s_waitcnt lgkmcnt(0)
	s_barrier
	v_max_f32_e32 v3, v3, v3
	v_max_f32_e32 v3, v4, v3
	v_cndmask_b32_e64 v4, v2, v6, s[0:1]
	v_lshlrev_b32_e32 v8, 2, v4
	ds_bpermute_b32 v4, v8, v3
	v_xor_b32_e32 v6, 8, v2
	v_cmp_lt_i32_e64 s[0:1], v6, v5
	s_waitcnt lgkmcnt(0)
	v_max_f32_e32 v4, v4, v4
	v_max_f32_e32 v3, v3, v4
	v_cndmask_b32_e64 v4, v2, v6, s[0:1]
	v_lshlrev_b32_e32 v9, 2, v4
	ds_bpermute_b32 v4, v9, v3
	v_xor_b32_e32 v6, 4, v2
	v_cmp_lt_i32_e64 s[0:1], v6, v5
	s_waitcnt lgkmcnt(0)
	;; [unrolled: 8-line block ×3, first 2 shown]
	v_max_f32_e32 v4, v4, v4
	v_max_f32_e32 v3, v3, v4
	v_cndmask_b32_e64 v4, v2, v6, s[0:1]
	v_lshlrev_b32_e32 v12, 2, v4
	ds_bpermute_b32 v4, v12, v3
	v_and_b32_e32 v6, 63, v0
	s_waitcnt lgkmcnt(0)
	v_max_f32_e32 v4, v4, v4
	v_max_f32_e32 v3, v3, v4
	v_xor_b32_e32 v4, 1, v2
	v_cmp_lt_i32_e64 s[0:1], v4, v5
	s_nop 1
	v_cndmask_b32_e64 v4, v2, v4, s[0:1]
	v_lshlrev_b32_e32 v7, 2, v4
	ds_bpermute_b32 v4, v7, v3
	v_cmp_eq_u32_e64 s[0:1], 0, v6
	s_and_saveexec_b64 s[4:5], s[0:1]
	s_cbranch_execz .LBB15_7
; %bb.6:
	s_waitcnt lgkmcnt(0)
	v_max_f32_e32 v4, v4, v4
	v_max_f32_e32 v3, v3, v3
	;; [unrolled: 1-line block ×3, first 2 shown]
	v_lshlrev_b32_e32 v4, 2, v10
	ds_write_b32 v4, v3
.LBB15_7:
	s_or_b64 exec, exec, s[4:5]
	v_cmp_gt_u32_e64 s[4:5], 2, v6
	v_mov_b32_e32 v3, 0xff7fffff
	s_waitcnt lgkmcnt(0)
	s_barrier
	s_and_saveexec_b64 s[20:21], s[4:5]
	s_cbranch_execz .LBB15_9
; %bb.8:
	v_lshlrev_b32_e32 v3, 2, v6
	ds_read_b32 v3, v3
.LBB15_9:
	s_or_b64 exec, exec, s[20:21]
	s_waitcnt lgkmcnt(0)
	ds_bpermute_b32 v4, v7, v3
	v_max_f32_e32 v3, v3, v3
	v_lshlrev_b32_e32 v2, 2, v2
	v_and_b32_e32 v13, 0x100, v2
	s_lshl_b32 s27, s25, 2
	s_waitcnt lgkmcnt(0)
	v_max_f32_e32 v4, v4, v4
	v_max_f32_e32 v3, v3, v4
	ds_bpermute_b32 v14, v13, v3
	v_mov_b32_e32 v3, 0
	s_and_saveexec_b64 s[20:21], vcc
	s_cbranch_execz .LBB15_13
; %bb.10:
	s_load_dword s22, s[6:7], 0xc
	s_lshl_b64 s[28:29], s[14:15], 2
	s_lshl_b64 s[30:31], s[16:17], 2
	v_lshlrev_b32_e32 v2, 2, v0
	v_mov_b32_e32 v3, 0
	s_waitcnt lgkmcnt(0)
	s_and_b32 s15, s22, 0xffff
	s_add_u32 s17, s28, s30
	s_addc_u32 s22, s29, s31
	s_add_u32 s18, s18, s17
	s_addc_u32 s19, s19, s22
	s_mov_b32 s23, 0
	v_lshl_add_u64 v[4:5], s[18:19], 0, v[2:3]
	s_lshl_b32 s22, s15, 2
	v_add_u32_e32 v2, 16, v2
	s_mov_b64 s[18:19], 0
	s_mov_b32 s17, 0x3fb8aa3b
	s_mov_b32 s28, 0xc2ce8ed0
	;; [unrolled: 1-line block ×3, first 2 shown]
	v_mov_b32_e32 v15, 0x7f800000
	v_mov_b32_e32 v16, v0
.LBB15_11:                              ; =>This Inner Loop Header: Depth=1
	global_load_dword v17, v[4:5], off
	ds_read_b32 v18, v2
	v_add_u32_e32 v16, s15, v16
	v_cmp_le_i32_e32 vcc, s25, v16
	s_or_b64 s[18:19], vcc, s[18:19]
	v_add_u32_e32 v19, s27, v2
	s_waitcnt lgkmcnt(0)
	v_sub_f32_e32 v18, v18, v14
	v_mul_f32_e32 v20, 0x3fb8aa3b, v18
	v_fma_f32 v21, v18, s17, -v20
	v_rndne_f32_e32 v22, v20
	v_fmac_f32_e32 v21, 0x32a5705f, v18
	v_sub_f32_e32 v20, v20, v22
	v_add_f32_e32 v20, v20, v21
	v_cvt_i32_f32_e32 v22, v22
	v_exp_f32_e32 v20, v20
	v_cmp_ngt_f32_e32 vcc, s28, v18
	v_lshl_add_u64 v[4:5], v[4:5], 0, s[22:23]
	v_add_u32_e32 v2, s22, v2
	v_ldexp_f32 v20, v20, v22
	v_cndmask_b32_e32 v20, 0, v20, vcc
	v_cmp_nlt_f32_e32 vcc, s29, v18
	s_nop 1
	v_cndmask_b32_e32 v18, v15, v20, vcc
	s_waitcnt vmcnt(0)
	v_mul_f32_e32 v20, v17, v18
	v_fmac_f32_e32 v3, v17, v18
	ds_write_b32 v19, v20
	s_andn2_b64 exec, exec, s[18:19]
	s_cbranch_execnz .LBB15_11
; %bb.12:
	s_or_b64 exec, exec, s[18:19]
.LBB15_13:
	s_or_b64 exec, exec, s[20:21]
	ds_bpermute_b32 v1, v1, v3
	s_waitcnt lgkmcnt(0)
	s_barrier
	v_add_f32_e32 v1, v3, v1
	ds_bpermute_b32 v2, v8, v1
	s_waitcnt lgkmcnt(0)
	v_add_f32_e32 v1, v1, v2
	ds_bpermute_b32 v2, v9, v1
	s_waitcnt lgkmcnt(0)
	;; [unrolled: 3-line block ×5, first 2 shown]
	v_add_f32_e32 v1, v1, v2
	s_and_saveexec_b64 s[18:19], s[0:1]
	s_cbranch_execz .LBB15_15
; %bb.14:
	v_lshlrev_b32_e32 v2, 2, v10
	ds_write_b32 v2, v1 offset:8
.LBB15_15:
	s_or_b64 exec, exec, s[18:19]
	s_waitcnt lgkmcnt(0)
	s_barrier
	s_and_saveexec_b64 s[0:1], s[4:5]
	s_cbranch_execz .LBB15_17
; %bb.16:
	v_lshlrev_b32_e32 v1, 2, v6
	ds_read_b32 v1, v1 offset:8
.LBB15_17:
	s_or_b64 exec, exec, s[0:1]
	s_waitcnt lgkmcnt(0)
	ds_bpermute_b32 v2, v7, v1
	s_movk_i32 s0, 0xc0
	v_cmp_gt_u32_e32 vcc, s0, v0
	s_waitcnt lgkmcnt(0)
	v_add_f32_e32 v1, v1, v2
	ds_bpermute_b32 v1, v13, v1
	s_and_saveexec_b64 s[4:5], vcc
	s_cbranch_execz .LBB15_23
; %bb.18:
	s_waitcnt lgkmcnt(0)
	v_add_f32_e32 v1, 0x358637bd, v1
	v_div_scale_f32 v2, s[0:1], v1, v1, 1.0
	s_mul_i32 s0, s14, 0xc0
	s_mul_i32 s14, s26, 0xc0
	s_mulk_i32 s16, 0xc0
	s_ashr_i32 s15, s14, 31
	v_rcp_f32_e32 v3, v2
	s_ashr_i32 s1, s0, 31
	s_ashr_i32 s17, s16, 31
	s_lshl_b64 s[14:15], s[14:15], 2
	s_add_u32 s18, s10, s14
	s_mul_i32 s14, s2, 0xc0
	s_addc_u32 s19, s11, s15
	s_ashr_i32 s15, s14, 31
	s_lshl_b64 s[14:15], s[14:15], 2
	v_fma_f32 v5, -v2, v3, 1.0
	s_add_u32 s14, s18, s14
	v_div_scale_f32 v4, vcc, 1.0, v1, 1.0
	v_fmac_f32_e32 v3, v5, v3
	s_addc_u32 s15, s19, s15
	s_add_i32 s22, s27, 16
	v_mul_f32_e32 v5, v4, v3
	s_cmp_gt_i32 s24, 0
	v_fma_f32 v6, -v2, v5, v4
	s_cselect_b64 s[18:19], -1, 0
	s_max_i32 s23, s25, 1
	s_lshl_b64 s[0:1], s[0:1], 2
	s_lshl_b64 s[16:17], s[16:17], 2
	v_fmac_f32_e32 v5, v6, v3
	s_add_u32 s0, s0, s16
	v_fma_f32 v2, -v2, v5, v4
	s_addc_u32 s1, s1, s17
	v_div_fmas_f32 v2, v2, v3, v5
	s_add_u32 s0, s8, s0
	v_div_fixup_f32 v1, v2, v1, 1.0
	v_lshlrev_b32_e32 v2, 2, v0
	v_mov_b32_e32 v3, 0
	s_addc_u32 s1, s9, s1
	v_lshl_add_u64 v[4:5], s[0:1], 0, v[2:3]
	v_cndmask_b32_e64 v2, 0, 1, s[18:19]
	s_mov_b64 s[16:17], 0
	v_cmp_ne_u32_e64 s[0:1], 1, v2
	s_mov_b64 s[18:19], 0x300
	s_mov_b64 s[20:21], 0x200
	v_mov_b32_e32 v2, v0
	s_branch .LBB15_20
.LBB15_19:                              ;   in Loop: Header=BB15_20 Depth=1
	v_lshl_add_u64 v[6:7], v[2:3], 2, s[14:15]
	global_store_dword v[6:7], v8, off
	v_add_u32_e32 v6, 0x80, v2
	v_cmp_lt_u32_e32 vcc, 63, v2
	v_lshl_add_u64 v[4:5], v[4:5], 0, s[20:21]
	s_or_b64 s[16:17], vcc, s[16:17]
	v_mov_b32_e32 v2, v6
	s_andn2_b64 exec, exec, s[16:17]
	s_cbranch_execz .LBB15_23
.LBB15_20:                              ; =>This Loop Header: Depth=1
                                        ;     Child Loop BB15_22 Depth 2
	s_and_b64 vcc, exec, s[0:1]
	v_mov_b32_e32 v8, 0
	s_cbranch_vccnz .LBB15_19
; %bb.21:                               ;   in Loop: Header=BB15_20 Depth=1
	v_mov_b32_e32 v8, 0
	s_mov_b32 s24, s22
	v_mov_b64_e32 v[6:7], v[4:5]
	s_mov_b32 s25, s23
.LBB15_22:                              ;   Parent Loop BB15_20 Depth=1
                                        ; =>  This Inner Loop Header: Depth=2
	global_load_dword v9, v[6:7], off
	v_mov_b32_e32 v10, s24
	ds_read_b32 v10, v10
	s_add_i32 s25, s25, -1
	s_add_i32 s24, s24, 4
	v_lshl_add_u64 v[6:7], v[6:7], 0, s[18:19]
	s_cmp_eq_u32 s25, 0
	s_waitcnt vmcnt(0) lgkmcnt(0)
	v_mul_f32_e32 v9, v9, v10
	v_fmac_f32_e32 v8, v1, v9
	s_cbranch_scc0 .LBB15_22
	s_branch .LBB15_19
.LBB15_23:
	s_or_b64 exec, exec, s[4:5]
	s_mov_b64 s[4:5], 0
.LBB15_24:
	s_and_b64 vcc, exec, s[4:5]
	s_cbranch_vccz .LBB15_33
; %bb.25:
	s_movk_i32 s0, 0xc0
	v_cmp_gt_u32_e32 vcc, s0, v0
	s_and_saveexec_b64 s[4:5], vcc
	s_cbranch_execz .LBB15_33
; %bb.26:
	s_mul_i32 s1, s3, s12
	s_mul_i32 s4, s1, 0xc0
	s_ashr_i32 s5, s4, 31
	s_lshl_b64 s[14:15], s[4:5], 2
	s_add_u32 s1, s10, s14
	s_mul_i32 s10, s2, 0xc0
	s_addc_u32 s5, s11, s15
	s_ashr_i32 s11, s10, 31
	s_lshl_b64 s[2:3], s[10:11], 2
	s_add_u32 s2, s1, s2
	s_mul_i32 s4, s4, s13
	s_addc_u32 s3, s5, s3
	s_ashr_i32 s5, s4, 31
	s_lshl_b64 s[4:5], s[4:5], 2
	s_load_dword s6, s[6:7], 0xc
	s_add_u32 s1, s8, s4
	s_mul_i32 s4, s10, s13
	s_addc_u32 s8, s9, s5
	s_ashr_i32 s5, s4, 31
	s_lshl_b64 s[4:5], s[4:5], 2
	s_add_u32 s4, s1, s4
	s_addc_u32 s5, s8, s5
	s_waitcnt lgkmcnt(0)
	s_and_b32 s8, s6, 0xffff
	v_cvt_f32_u32_e32 v1, s8
	v_add_u32_e32 v2, s8, v0
	v_mov_b32_e32 v4, s8
	v_cmp_gt_u32_e32 vcc, s0, v2
	v_rcp_iflag_f32_e32 v1, v1
	s_cmp_eq_u32 s8, 1
	v_max_u32_e32 v3, 0xc0, v2
	v_addc_co_u32_e64 v2, s[0:1], v0, v4, vcc
	v_mul_f32_e32 v1, 0x4f7ffffe, v1
	v_cvt_u32_f32_e32 v1, v1
	s_cselect_b64 s[6:7], -1, 0
	s_sub_i32 s0, 0, s8
	v_sub_u32_e32 v2, v3, v2
	v_mul_lo_u32 v3, s0, v1
	v_mul_hi_u32 v3, v1, v3
	v_add_u32_e32 v1, v1, v3
	v_mul_hi_u32 v1, v2, v1
	v_mul_lo_u32 v3, v1, s8
	v_sub_u32_e32 v2, v2, v3
	v_add_u32_e32 v3, 1, v1
	v_cmp_le_u32_e64 s[0:1], s8, v2
	s_nop 1
	v_cndmask_b32_e64 v1, v1, v3, s[0:1]
	v_subrev_u32_e32 v3, s8, v2
	v_cndmask_b32_e64 v2, v2, v3, s[0:1]
	v_add_u32_e32 v3, 1, v1
	v_cmp_le_u32_e64 s[0:1], s8, v2
	s_nop 1
	v_cndmask_b32_e64 v1, v1, v3, s[0:1]
	v_addc_co_u32_e32 v1, vcc, 1, v1, vcc
	v_cmp_lt_u32_e32 vcc, 3, v1
	s_and_b64 s[10:11], vcc, s[6:7]
	s_mov_b64 s[6:7], -1
	s_and_saveexec_b64 s[0:1], s[10:11]
	s_cbranch_execz .LBB15_30
; %bb.27:
	v_and_b32_e32 v4, -4, v1
	s_mov_b64 s[6:7], 0
	v_mov_b32_e32 v3, 0
	v_mov_b32_e32 v2, v0
	;; [unrolled: 1-line block ×3, first 2 shown]
.LBB15_28:                              ; =>This Inner Loop Header: Depth=1
	v_lshlrev_b64 v[10:11], 2, v[2:3]
	v_lshl_add_u64 v[6:7], s[4:5], 0, v[10:11]
	global_load_dwordx4 v[6:9], v[6:7], off
	v_add_u32_e32 v5, -4, v5
	v_cmp_eq_u32_e32 vcc, 0, v5
	v_add_u32_e32 v2, 4, v2
	v_lshl_add_u64 v[10:11], s[2:3], 0, v[10:11]
	s_or_b64 s[6:7], vcc, s[6:7]
	s_waitcnt vmcnt(0)
	global_store_dwordx4 v[10:11], v[6:9], off
	s_andn2_b64 exec, exec, s[6:7]
	s_cbranch_execnz .LBB15_28
; %bb.29:
	s_or_b64 exec, exec, s[6:7]
	v_cmp_ne_u32_e32 vcc, v1, v4
	v_add_u32_e32 v0, v0, v4
	s_orn2_b64 s[6:7], vcc, exec
.LBB15_30:
	s_or_b64 exec, exec, s[0:1]
	s_and_b64 exec, exec, s[6:7]
	s_cbranch_execz .LBB15_33
; %bb.31:
	v_mov_b32_e32 v1, 0
	s_mov_b32 s1, 0
	v_lshlrev_b64 v[2:3], 2, v[0:1]
	s_lshl_b32 s0, s8, 2
	s_mov_b64 s[6:7], 0
	s_movk_i32 s9, 0xbf
.LBB15_32:                              ; =>This Inner Loop Header: Depth=1
	v_lshl_add_u64 v[4:5], s[4:5], 0, v[2:3]
	global_load_dword v1, v[4:5], off
	v_add_u32_e32 v0, s8, v0
	v_cmp_lt_u32_e32 vcc, s9, v0
	v_lshl_add_u64 v[4:5], s[2:3], 0, v[2:3]
	v_lshl_add_u64 v[2:3], v[2:3], 0, s[0:1]
	s_or_b64 s[6:7], vcc, s[6:7]
	s_waitcnt vmcnt(0)
	global_store_dword v[4:5], v1, off
	s_andn2_b64 exec, exec, s[6:7]
	s_cbranch_execnz .LBB15_32
.LBB15_33:
	s_endpgm
	.section	.rodata,"a",@progbits
	.p2align	6, 0x0
	.amdhsa_kernel _ZN4vllm32paged_attention_v2_reduce_kernelIfLi192ELi128ELi512EEEvPT_PKfS4_PKS1_PKii
		.amdhsa_group_segment_fixed_size 16
		.amdhsa_private_segment_fixed_size 0
		.amdhsa_kernarg_size 304
		.amdhsa_user_sgpr_count 2
		.amdhsa_user_sgpr_dispatch_ptr 0
		.amdhsa_user_sgpr_queue_ptr 0
		.amdhsa_user_sgpr_kernarg_segment_ptr 1
		.amdhsa_user_sgpr_dispatch_id 0
		.amdhsa_user_sgpr_kernarg_preload_length 0
		.amdhsa_user_sgpr_kernarg_preload_offset 0
		.amdhsa_user_sgpr_private_segment_size 0
		.amdhsa_uses_dynamic_stack 0
		.amdhsa_enable_private_segment 0
		.amdhsa_system_sgpr_workgroup_id_x 1
		.amdhsa_system_sgpr_workgroup_id_y 1
		.amdhsa_system_sgpr_workgroup_id_z 0
		.amdhsa_system_sgpr_workgroup_info 0
		.amdhsa_system_vgpr_workitem_id 0
		.amdhsa_next_free_vgpr 23
		.amdhsa_next_free_sgpr 32
		.amdhsa_accum_offset 24
		.amdhsa_reserve_vcc 1
		.amdhsa_float_round_mode_32 0
		.amdhsa_float_round_mode_16_64 0
		.amdhsa_float_denorm_mode_32 3
		.amdhsa_float_denorm_mode_16_64 3
		.amdhsa_dx10_clamp 1
		.amdhsa_ieee_mode 1
		.amdhsa_fp16_overflow 0
		.amdhsa_tg_split 0
		.amdhsa_exception_fp_ieee_invalid_op 0
		.amdhsa_exception_fp_denorm_src 0
		.amdhsa_exception_fp_ieee_div_zero 0
		.amdhsa_exception_fp_ieee_overflow 0
		.amdhsa_exception_fp_ieee_underflow 0
		.amdhsa_exception_fp_ieee_inexact 0
		.amdhsa_exception_int_div_zero 0
	.end_amdhsa_kernel
	.section	.text._ZN4vllm32paged_attention_v2_reduce_kernelIfLi192ELi128ELi512EEEvPT_PKfS4_PKS1_PKii,"axG",@progbits,_ZN4vllm32paged_attention_v2_reduce_kernelIfLi192ELi128ELi512EEEvPT_PKfS4_PKS1_PKii,comdat
.Lfunc_end15:
	.size	_ZN4vllm32paged_attention_v2_reduce_kernelIfLi192ELi128ELi512EEEvPT_PKfS4_PKS1_PKii, .Lfunc_end15-_ZN4vllm32paged_attention_v2_reduce_kernelIfLi192ELi128ELi512EEEvPT_PKfS4_PKS1_PKii
                                        ; -- End function
	.section	.AMDGPU.csdata,"",@progbits
; Kernel info:
; codeLenInByte = 2200
; NumSgprs: 38
; NumVgprs: 23
; NumAgprs: 0
; TotalNumVgprs: 23
; ScratchSize: 0
; MemoryBound: 0
; FloatMode: 240
; IeeeMode: 1
; LDSByteSize: 16 bytes/workgroup (compile time only)
; SGPRBlocks: 4
; VGPRBlocks: 2
; NumSGPRsForWavesPerEU: 38
; NumVGPRsForWavesPerEU: 23
; AccumOffset: 24
; Occupancy: 8
; WaveLimiterHint : 0
; COMPUTE_PGM_RSRC2:SCRATCH_EN: 0
; COMPUTE_PGM_RSRC2:USER_SGPR: 2
; COMPUTE_PGM_RSRC2:TRAP_HANDLER: 0
; COMPUTE_PGM_RSRC2:TGID_X_EN: 1
; COMPUTE_PGM_RSRC2:TGID_Y_EN: 1
; COMPUTE_PGM_RSRC2:TGID_Z_EN: 0
; COMPUTE_PGM_RSRC2:TIDIG_COMP_CNT: 0
; COMPUTE_PGM_RSRC3_GFX90A:ACCUM_OFFSET: 5
; COMPUTE_PGM_RSRC3_GFX90A:TG_SPLIT: 0
	.section	.text._ZN4vllm25paged_attention_v2_kernelIffLi256ELi8ELi128ELNS_18Fp8KVCacheDataTypeE0ELb1ELi512EEEvPfS2_PT_PKS3_PKT0_S9_ifPKiSB_iPKfiiiSD_SD_iiiii,"axG",@progbits,_ZN4vllm25paged_attention_v2_kernelIffLi256ELi8ELi128ELNS_18Fp8KVCacheDataTypeE0ELb1ELi512EEEvPfS2_PT_PKS3_PKT0_S9_ifPKiSB_iPKfiiiSD_SD_iiiii,comdat
	.protected	_ZN4vllm25paged_attention_v2_kernelIffLi256ELi8ELi128ELNS_18Fp8KVCacheDataTypeE0ELb1ELi512EEEvPfS2_PT_PKS3_PKT0_S9_ifPKiSB_iPKfiiiSD_SD_iiiii ; -- Begin function _ZN4vllm25paged_attention_v2_kernelIffLi256ELi8ELi128ELNS_18Fp8KVCacheDataTypeE0ELb1ELi512EEEvPfS2_PT_PKS3_PKT0_S9_ifPKiSB_iPKfiiiSD_SD_iiiii
	.globl	_ZN4vllm25paged_attention_v2_kernelIffLi256ELi8ELi128ELNS_18Fp8KVCacheDataTypeE0ELb1ELi512EEEvPfS2_PT_PKS3_PKT0_S9_ifPKiSB_iPKfiiiSD_SD_iiiii
	.p2align	8
	.type	_ZN4vllm25paged_attention_v2_kernelIffLi256ELi8ELi128ELNS_18Fp8KVCacheDataTypeE0ELb1ELi512EEEvPfS2_PT_PKS3_PKT0_S9_ifPKiSB_iPKfiiiSD_SD_iiiii,@function
_ZN4vllm25paged_attention_v2_kernelIffLi256ELi8ELi128ELNS_18Fp8KVCacheDataTypeE0ELb1ELi512EEEvPfS2_PT_PKS3_PKT0_S9_ifPKiSB_iPKfiiiSD_SD_iiiii: ; @_ZN4vllm25paged_attention_v2_kernelIffLi256ELi8ELi128ELNS_18Fp8KVCacheDataTypeE0ELb1ELi512EEEvPfS2_PT_PKS3_PKT0_S9_ifPKiSB_iPKfiiiSD_SD_iiiii
; %bb.0:
	s_load_dwordx2 s[6:7], s[0:1], 0x40
	s_mov_b32 s36, s3
	s_ashr_i32 s37, s3, 31
	s_lshl_b64 s[8:9], s[36:37], 2
	s_waitcnt lgkmcnt(0)
	s_add_u32 s6, s6, s8
	s_addc_u32 s7, s7, s9
	s_load_dword s37, s[6:7], 0x0
	s_lshl_b32 s49, s4, 9
	s_waitcnt lgkmcnt(0)
	s_cmp_ge_i32 s49, s37
	s_cbranch_scc1 .LBB16_84
; %bb.1:
	s_load_dword s5, s[0:1], 0x90
	s_load_dwordx2 s[40:41], s[0:1], 0x30
	s_waitcnt lgkmcnt(0)
	s_abs_i32 s7, s5
	s_abs_i32 s3, s40
	v_cvt_f32_u32_e32 v1, s3
	s_sub_i32 s8, 0, s3
	s_xor_b32 s6, s5, s40
	s_ashr_i32 s6, s6, 31
	v_rcp_iflag_f32_e32 v1, v1
	s_nop 0
	v_mul_f32_e32 v1, 0x4f7ffffe, v1
	v_cvt_u32_f32_e32 v1, v1
	s_nop 0
	v_readfirstlane_b32 s9, v1
	s_mul_i32 s8, s8, s9
	s_mul_hi_u32 s8, s9, s8
	s_add_i32 s9, s9, s8
	s_mul_hi_u32 s8, s7, s9
	s_mul_i32 s9, s8, s3
	s_sub_i32 s7, s7, s9
	s_add_i32 s10, s8, 1
	s_sub_i32 s9, s7, s3
	s_cmp_ge_u32 s7, s3
	s_cselect_b32 s8, s10, s8
	s_cselect_b32 s7, s9, s7
	s_add_i32 s9, s8, 1
	s_cmp_ge_u32 s7, s3
	s_cselect_b32 s3, s9, s8
	s_xor_b32 s3, s3, s6
	s_sub_i32 s24, s3, s6
	s_abs_i32 s38, s24
	v_cvt_f32_u32_e32 v1, s38
	s_load_dwordx2 s[6:7], s[0:1], 0x50
	s_sub_i32 s3, 0, s38
	s_abs_i32 s25, s2
	v_rcp_iflag_f32_e32 v1, v1
	s_nop 0
	v_mul_f32_e32 v1, 0x4f7ffffe, v1
	v_cvt_u32_f32_e32 v1, v1
	s_nop 0
	v_readfirstlane_b32 s8, v1
	s_mul_i32 s3, s3, s8
	s_mul_hi_u32 s3, s8, s3
	s_add_i32 s8, s8, s3
	s_waitcnt lgkmcnt(0)
	s_cmp_eq_u64 s[6:7], 0
	s_mov_b32 s3, 0
	s_cbranch_scc1 .LBB16_3
; %bb.2:
	s_ashr_i32 s3, s2, 31
	s_lshl_b64 s[10:11], s[2:3], 2
	s_add_u32 s6, s6, s10
	s_addc_u32 s7, s7, s11
	s_load_dword s3, s[6:7], 0x0
.LBB16_3:
	s_load_dwordx4 s[20:23], s[0:1], 0x0
	s_load_dwordx2 s[28:29], s[0:1], 0x10
	s_load_dwordx4 s[16:19], s[0:1], 0x20
	s_load_dwordx2 s[34:35], s[0:1], 0x38
	s_load_dword s33, s[0:1], 0x98
	s_load_dwordx4 s[12:15], s[0:1], 0x58
	s_lshl_b32 s30, s2, 8
	s_movk_i32 s6, 0x100
	s_mul_hi_u32 s26, s25, s8
	v_and_b32_e32 v6, 7, v0
	s_ashr_i32 s31, s30, 31
	v_cmp_gt_u32_e32 vcc, s6, v0
	s_and_saveexec_b64 s[6:7], vcc
	s_cbranch_execz .LBB16_6
; %bb.4:
	s_load_dwordx2 s[8:9], s[0:1], 0x18
	s_waitcnt lgkmcnt(0)
	s_mul_i32 s10, s36, s12
	s_ashr_i32 s11, s10, 31
	s_lshl_b64 s[10:11], s[10:11], 2
	s_lshl_b64 s[42:43], s[30:31], 2
	v_lshrrev_b32_e32 v2, 3, v0
	s_add_u32 s10, s10, s42
	v_lshlrev_b32_e32 v3, 2, v2
	s_addc_u32 s11, s11, s43
	v_lshl_add_u32 v4, v6, 7, v3
	v_lshlrev_b32_e32 v3, 2, v6
	s_add_u32 s8, s8, s10
	v_add_u32_e32 v1, -16, v2
	v_lshl_or_b32 v2, v2, 5, v3
	v_mov_b32_e32 v3, 0
	s_addc_u32 s9, s9, s11
	v_lshl_add_u64 v[2:3], s[8:9], 0, v[2:3]
	s_mov_b64 s[8:9], 0
	s_mov_b64 s[10:11], 0x200
.LBB16_5:                               ; =>This Inner Loop Header: Depth=1
	global_load_dword v5, v[2:3], off
	v_add_co_u32_e32 v1, vcc, 16, v1
	s_xor_b64 s[42:43], vcc, -1
	s_and_b64 s[42:43], exec, s[42:43]
	v_lshl_add_u64 v[2:3], v[2:3], 0, s[10:11]
	s_or_b64 s[8:9], s[42:43], s[8:9]
	s_waitcnt vmcnt(0)
	ds_write_b32 v4, v5
	v_add_u32_e32 v4, 64, v4
	s_andn2_b64 exec, exec, s[8:9]
	s_cbranch_execnz .LBB16_5
.LBB16_6:
	s_or_b64 exec, exec, s[6:7]
	s_ashr_i32 s6, s2, 31
	s_ashr_i32 s7, s24, 31
	s_xor_b32 s6, s6, s7
	s_mul_i32 s7, s26, s38
	s_sub_i32 s7, s25, s7
	s_add_i32 s8, s26, 1
	s_sub_i32 s9, s7, s38
	s_cmp_ge_u32 s7, s38
	s_cselect_b32 s8, s8, s26
	s_load_dwordx4 s[24:27], s[0:1], 0x78
	s_cselect_b32 s7, s9, s7
	s_add_i32 s9, s8, 1
	s_cmp_ge_u32 s7, s38
	s_cselect_b32 s7, s9, s8
	s_load_dword s9, s[0:1], 0x88
	s_waitcnt lgkmcnt(0)
	s_abs_i32 s31, s27
	v_cvt_f32_u32_e32 v1, s31
	s_xor_b32 s7, s7, s6
	s_sub_i32 s8, s7, s6
	s_sub_i32 s6, 0, s31
	v_rcp_iflag_f32_e32 v1, v1
	s_add_i32 s12, s37, -1
	s_abs_i32 s10, s12
	v_mul_f32_e32 v1, 0x4f7ffffe, v1
	v_cvt_u32_f32_e32 v1, v1
	s_barrier
	v_readfirstlane_b32 s46, v1
	s_mul_i32 s6, s6, s46
	s_mul_hi_u32 s6, s46, s6
	s_add_i32 s46, s46, s6
	s_cmp_lt_i32 s9, 0
	s_mul_hi_u32 s11, s10, s46
	s_cbranch_scc0 .LBB16_8
; %bb.7:
	s_mul_i32 s6, s24, s40
	s_add_i32 s6, s8, s6
	s_mul_i32 s6, s6, s9
	s_sub_i32 s47, 1, s6
	s_ashr_i32 s12, s12, 31
	s_ashr_i32 s27, s27, 31
	s_cbranch_execz .LBB16_9
	s_branch .LBB16_10
.LBB16_8:
                                        ; implicit-def: $sgpr47
	s_ashr_i32 s12, s12, 31
	s_ashr_i32 s27, s27, 31
.LBB16_9:
	s_mul_i32 s6, s5, s24
	s_add_i32 s6, s6, s2
	s_mul_i32 s6, s6, s9
	s_add_i32 s47, s6, 1
.LBB16_10:
	s_load_dword s0, s[0:1], 0x48
	s_mul_i32 s6, s11, s31
	s_sub_i32 s6, s10, s6
	s_xor_b32 s1, s12, s27
	s_add_i32 s7, s11, 1
	s_waitcnt lgkmcnt(0)
	s_mul_i32 s38, s36, s0
	s_ashr_i32 s39, s38, 31
	s_sub_i32 s0, s6, s31
	s_cmp_ge_u32 s6, s31
	s_cselect_b32 s7, s7, s11
	s_cselect_b32 s0, s0, s6
	s_add_i32 s6, s7, 1
	s_cmp_ge_u32 s0, s31
	s_cselect_b32 s0, s6, s7
	s_xor_b32 s0, s0, s1
	s_sub_i32 s48, s0, s1
	s_add_i32 s0, s37, 7
	s_ashr_i32 s1, s0, 31
	s_lshr_b32 s1, s1, 29
	s_add_i32 s0, s0, s1
	s_lshl_b32 s40, s4, 6
	s_ashr_i32 s12, s0, 3
	s_add_i32 s0, s40, 64
	v_lshrrev_b32_e32 v44, 6, v0
	s_min_i32 s24, s0, s12
	v_or_b32_e32 v46, s40, v44
	v_cmp_gt_i32_e64 s[0:1], s24, v46
	v_mov_b32_e32 v54, 0xff7fffff
	s_mul_i32 s14, s8, s14
	v_ashrrev_i32_e32 v47, 31, v46
	v_lshl_add_u32 v1, v44, 3, s49
	v_mbcnt_lo_u32_b32 v45, -1, 0
	s_and_saveexec_b64 s[42:43], s[0:1]
	s_cbranch_execz .LBB16_20
; %bb.11:
	s_ashr_i32 s15, s14, 31
	s_sub_i32 s50, s48, s25
	s_lshl_b64 s[6:7], s[14:15], 2
	v_bfe_u32 v48, v0, 3, 3
	s_add_u32 s6, s16, s6
	s_addc_u32 s7, s17, s7
	v_lshlrev_b32_e32 v2, 4, v48
	v_mov_b32_e32 v3, 0
	v_lshl_add_u64 v[4:5], s[6:7], 0, v[2:3]
	v_and_b32_e32 v2, 3, v0
	v_lshlrev_b32_e32 v2, 2, v2
	s_abs_i32 s15, s26
	v_lshl_add_u64 v[4:5], v[4:5], 0, v[2:3]
	v_cvt_f32_u32_e32 v2, s15
	s_sub_i32 s8, 0, s15
	v_cmp_eq_u32_e32 vcc, 0, v6
	v_lshlrev_b32_e32 v49, 7, v6
	v_rcp_iflag_f32_e32 v2, v2
	v_lshlrev_b32_e32 v9, 2, v48
	v_lshlrev_b32_e32 v7, 3, v0
	v_and_b32_e32 v8, 32, v7
	v_mul_f32_e32 v2, 0x4f7ffffe, v2
	v_cvt_u32_f32_e32 v2, v2
	v_mbcnt_hi_u32_b32 v56, -1, v45
	v_or_b32_e32 v10, 0x400, v8
	v_or_b32_e32 v12, 0x440, v8
	v_mul_lo_u32 v6, s8, v2
	v_mul_hi_u32 v6, v2, v6
	s_lshl_b64 s[8:9], s[38:39], 2
	v_add_u32_e32 v50, v2, v6
	s_add_u32 s8, s34, s8
	v_lshl_or_b32 v2, v44, 5, v9
	v_or_b32_e32 v14, 0x480, v8
	v_or_b32_e32 v16, 0x4c0, v8
	;; [unrolled: 1-line block ×14, first 2 shown]
	s_addc_u32 s9, s35, s9
	v_add_u32_e32 v52, 0x410, v2
	v_subrev_u32_e32 v2, s37, v48
	v_and_b32_e32 v9, 64, v56
	s_mov_b32 s51, s13
	v_cmp_neq_f32_e64 s[6:7], s3, 0
	v_lshl_add_u64 v[6:7], v[46:47], 2, s[8:9]
	v_lshl_add_u32 v51, v44, 3, s49
	v_add_u32_e32 v53, 1, v2
	s_mov_b64 s[16:17], 0
	v_mov_b32_e32 v55, 0xff7fffff
	v_lshlrev_b32_e32 v2, 2, v8
	v_lshlrev_b32_e32 v8, 2, v10
	;; [unrolled: 1-line block ×17, first 2 shown]
	v_add_u32_e32 v57, 64, v9
	v_xor_b32_e32 v58, 4, v56
	v_xor_b32_e32 v59, 2, v56
	;; [unrolled: 1-line block ×3, first 2 shown]
	v_mov_b32_e32 v54, 0xff7fffff
	v_mov_b32_e32 v61, v46
	s_branch .LBB16_14
.LBB16_12:                              ;   in Loop: Header=BB16_14 Depth=1
	s_or_b64 exec, exec, s[44:45]
.LBB16_13:                              ;   in Loop: Header=BB16_14 Depth=1
	s_or_b64 exec, exec, s[10:11]
	v_add_u32_e32 v61, 2, v61
	v_cmp_le_i32_e64 s[8:9], s24, v61
	v_lshl_add_u64 v[6:7], v[6:7], 0, 8
	v_add_u32_e32 v51, 16, v51
	s_or_b64 s[16:17], s[8:9], s[16:17]
	v_add_u32_e32 v52, 64, v52
	s_andn2_b64 exec, exec, s[16:17]
	s_cbranch_execz .LBB16_19
.LBB16_14:                              ; =>This Inner Loop Header: Depth=1
	s_waitcnt lgkmcnt(0)
	v_sub_u32_e32 v11, 0, v51
	v_max_i32_e32 v11, v51, v11
	v_mul_hi_u32 v13, v11, s46
	v_mul_lo_u32 v15, v13, s31
	v_sub_u32_e32 v11, v11, v15
	v_add_u32_e32 v15, 1, v13
	v_cmp_le_u32_e64 s[8:9], s31, v11
	v_ashrrev_i32_e32 v9, 31, v51
	v_xor_b32_e32 v9, s27, v9
	v_cndmask_b32_e64 v13, v13, v15, s[8:9]
	v_subrev_u32_e32 v15, s31, v11
	v_cndmask_b32_e64 v11, v11, v15, s[8:9]
	v_add_u32_e32 v15, 1, v13
	v_cmp_le_u32_e64 s[8:9], s31, v11
	s_nop 1
	v_cndmask_b32_e64 v11, v13, v15, s[8:9]
	v_xor_b32_e32 v11, v11, v9
	v_sub_u32_e32 v9, v11, v9
	v_add_u32_e32 v11, s47, v9
	v_sub_u32_e32 v15, 0, v11
	v_ashrrev_i32_e32 v13, 31, v11
	v_max_i32_e32 v11, v11, v15
	v_mul_hi_u32 v15, v11, v50
	v_mul_lo_u32 v15, v15, s15
	v_sub_u32_e32 v11, v11, v15
	v_subrev_u32_e32 v15, s15, v11
	v_cmp_le_u32_e64 s[8:9], s15, v11
	v_cmp_ge_i32_e64 s[10:11], s50, v9
	s_nop 0
	v_cndmask_b32_e64 v11, v11, v15, s[8:9]
	v_subrev_u32_e32 v15, s15, v11
	v_cmp_le_u32_e64 s[8:9], s15, v11
	s_nop 1
	v_cndmask_b32_e64 v11, v11, v15, s[8:9]
	v_xor_b32_e32 v11, v11, v13
	v_sub_u32_e32 v11, v11, v13
	v_cmp_ne_u32_e64 s[8:9], 0, v11
	s_and_b64 s[8:9], s[8:9], s[10:11]
	s_and_b64 s[44:45], vcc, s[8:9]
	s_and_saveexec_b64 s[10:11], s[44:45]
	s_cbranch_execz .LBB16_16
; %bb.15:                               ;   in Loop: Header=BB16_14 Depth=1
	ds_write_b32 v52, v55
.LBB16_16:                              ;   in Loop: Header=BB16_14 Depth=1
	s_or_b64 exec, exec, s[10:11]
	s_xor_b64 s[8:9], s[8:9], -1
	s_and_saveexec_b64 s[10:11], s[8:9]
	s_cbranch_execz .LBB16_13
; %bb.17:                               ;   in Loop: Header=BB16_14 Depth=1
	global_load_dword v9, v[6:7], off
	v_mov_b32_e32 v19, v3
	v_mov_b32_e32 v21, v3
	;; [unrolled: 1-line block ×8, first 2 shown]
	s_waitcnt vmcnt(0)
	v_mad_i64_i32 v[40:41], s[8:9], v9, s51, 0
	v_lshl_add_u64 v[40:41], v[40:41], 2, v[4:5]
	v_lshl_add_u64 v[42:43], v[40:41], 0, v[2:3]
	global_load_dword v9, v[42:43], off offset:512
	global_load_dword v11, v[42:43], off offset:768
	;; [unrolled: 1-line block ×7, first 2 shown]
	global_load_dword v17, v[42:43], off
	global_load_dword v74, v[42:43], off offset:2048
	global_load_dword v75, v[42:43], off offset:2304
	;; [unrolled: 1-line block ×4, first 2 shown]
	ds_read_b128 v[62:65], v49
	ds_read_b128 v[66:69], v49 offset:16
	v_cmp_lt_i32_e64 s[8:9], v58, v57
	s_waitcnt vmcnt(5) lgkmcnt(1)
	v_mul_f32_e32 v78, v63, v15
	s_waitcnt vmcnt(4)
	v_fmac_f32_e32 v78, v62, v17
	v_fmac_f32_e32 v78, v64, v9
	;; [unrolled: 1-line block ×3, first 2 shown]
	s_waitcnt lgkmcnt(0)
	v_fmac_f32_e32 v78, v66, v13
	ds_read_b128 v[62:65], v49 offset:32
	ds_read_b128 v[70:73], v49 offset:48
	v_fmac_f32_e32 v78, v67, v35
	v_fmac_f32_e32 v78, v68, v37
	v_mov_b32_e32 v9, v3
	v_mov_b32_e32 v11, v3
	v_fmac_f32_e32 v78, v69, v39
	v_mov_b32_e32 v13, v3
	v_lshl_add_u64 v[66:67], v[40:41], 0, v[8:9]
	v_lshl_add_u64 v[68:69], v[40:41], 0, v[10:11]
	global_load_dword v9, v[42:43], off offset:3072
	global_load_dword v11, v[42:43], off offset:3328
	;; [unrolled: 1-line block ×4, first 2 shown]
	s_waitcnt vmcnt(7) lgkmcnt(1)
	v_fmac_f32_e32 v78, v62, v74
	v_lshl_add_u64 v[42:43], v[40:41], 0, v[12:13]
	s_waitcnt vmcnt(6)
	v_fmac_f32_e32 v78, v63, v75
	global_load_dword v13, v[66:67], off
	v_mov_b32_e32 v15, v3
	v_mov_b32_e32 v17, v3
	s_waitcnt vmcnt(6)
	v_fmac_f32_e32 v78, v64, v76
	v_lshl_add_u64 v[62:63], v[40:41], 0, v[14:15]
	s_waitcnt vmcnt(5)
	v_fmac_f32_e32 v78, v65, v77
	v_lshl_add_u64 v[64:65], v[40:41], 0, v[16:17]
	global_load_dword v15, v[68:69], off
	global_load_dword v17, v[42:43], off
	v_lshl_add_u64 v[74:75], v[40:41], 0, v[18:19]
	v_lshl_add_u64 v[66:67], v[40:41], 0, v[20:21]
	global_load_dword v19, v[62:63], off
	global_load_dword v21, v[64:65], off
	v_lshl_add_u64 v[42:43], v[40:41], 0, v[22:23]
	;; [unrolled: 4-line block ×3, first 2 shown]
	global_load_dword v27, v[42:43], off
	global_load_dword v74, v[62:63], off
	v_lshl_add_u64 v[42:43], v[40:41], 0, v[28:29]
	global_load_dword v29, v[64:65], off
	global_load_dword v75, v[42:43], off
	v_lshl_add_u64 v[42:43], v[40:41], 0, v[30:31]
	global_load_dword v31, v[42:43], off
	v_lshl_add_u64 v[42:43], v[40:41], 0, v[32:33]
	v_mov_b32_e32 v35, v3
	global_load_dword v33, v[42:43], off
	v_lshl_add_u64 v[42:43], v[40:41], 0, v[34:35]
	v_mov_b32_e32 v37, v3
	;; [unrolled: 3-line block ×3, first 2 shown]
	global_load_dword v37, v[42:43], off
	v_lshl_add_u64 v[40:41], v[40:41], 0, v[38:39]
	global_load_dword v39, v[40:41], off
	ds_read_b128 v[40:43], v49 offset:64
	ds_read_b128 v[62:65], v49 offset:80
	s_waitcnt vmcnt(19) lgkmcnt(2)
	v_fmac_f32_e32 v78, v70, v9
	s_waitcnt vmcnt(18)
	v_fmac_f32_e32 v78, v71, v11
	s_waitcnt vmcnt(17)
	;; [unrolled: 2-line block ×3, first 2 shown]
	v_fmac_f32_e32 v78, v73, v80
	v_cndmask_b32_e64 v9, v56, v58, s[8:9]
	v_lshlrev_b32_e32 v9, 2, v9
	v_cmp_lt_i32_e64 s[8:9], v59, v57
	s_waitcnt vmcnt(15) lgkmcnt(1)
	v_fmac_f32_e32 v78, v40, v13
	s_waitcnt vmcnt(14)
	v_fmac_f32_e32 v78, v41, v15
	s_waitcnt vmcnt(13)
	v_fmac_f32_e32 v78, v42, v17
	v_cndmask_b32_e64 v11, v56, v59, s[8:9]
	s_waitcnt vmcnt(12)
	v_fmac_f32_e32 v78, v43, v19
	s_waitcnt vmcnt(11) lgkmcnt(0)
	v_fmac_f32_e32 v78, v62, v21
	ds_read_b128 v[40:43], v49 offset:96
	ds_read_b128 v[66:69], v49 offset:112
	s_waitcnt vmcnt(10)
	v_fmac_f32_e32 v78, v63, v23
	s_waitcnt vmcnt(9)
	v_fmac_f32_e32 v78, v64, v25
	;; [unrolled: 2-line block ×3, first 2 shown]
	s_waitcnt vmcnt(7) lgkmcnt(1)
	v_fmac_f32_e32 v78, v40, v74
	s_waitcnt vmcnt(6)
	v_fmac_f32_e32 v78, v41, v29
	s_waitcnt vmcnt(5)
	v_fmac_f32_e32 v78, v42, v75
	v_lshlrev_b32_e32 v11, 2, v11
	s_waitcnt vmcnt(4)
	v_fmac_f32_e32 v78, v43, v31
	v_cmp_lt_i32_e64 s[8:9], v60, v57
	s_waitcnt vmcnt(3) lgkmcnt(0)
	v_fmac_f32_e32 v78, v66, v33
	v_cndmask_b32_e64 v13, v56, v60, s[8:9]
	v_lshlrev_b32_e32 v13, 2, v13
	s_waitcnt vmcnt(2)
	v_fmac_f32_e32 v78, v67, v35
	s_waitcnt vmcnt(1)
	v_fmac_f32_e32 v78, v68, v37
	;; [unrolled: 2-line block ×3, first 2 shown]
	ds_bpermute_b32 v9, v9, v78
	s_waitcnt lgkmcnt(0)
	v_add_f32_e32 v9, v78, v9
	ds_bpermute_b32 v11, v11, v9
	s_waitcnt lgkmcnt(0)
	v_add_f32_e32 v9, v9, v11
	ds_bpermute_b32 v11, v13, v9
	s_and_saveexec_b64 s[44:45], vcc
	s_cbranch_execz .LBB16_12
; %bb.18:                               ;   in Loop: Header=BB16_14 Depth=1
	v_add_u32_e32 v13, v53, v51
	v_cvt_f32_i32_e32 v13, v13
	s_waitcnt lgkmcnt(0)
	v_add_f32_e32 v9, v9, v11
	v_add_u32_e32 v15, v48, v51
	v_cmp_gt_i32_e64 s[8:9], s37, v15
	v_mul_f32_e32 v11, s3, v13
	v_cndmask_b32_e64 v11, 0, v11, s[6:7]
	v_fmac_f32_e32 v11, s41, v9
	v_cndmask_b32_e64 v9, 0, v11, s[8:9]
	ds_write_b32 v52, v9
	v_max_f32_e32 v9, v54, v54
	v_max_f32_e32 v9, v9, v11
	v_cndmask_b32_e64 v54, v54, v9, s[8:9]
	s_branch .LBB16_12
.LBB16_19:
	s_or_b64 exec, exec, s[16:17]
.LBB16_20:
	s_or_b64 exec, exec, s[42:43]
	v_mbcnt_hi_u32_b32 v2, -1, v45
	v_and_b32_e32 v3, 64, v2
	v_add_u32_e32 v3, 64, v3
	v_xor_b32_e32 v4, 32, v2
	v_cmp_lt_i32_e32 vcc, v4, v3
	v_xor_b32_e32 v7, 16, v2
	v_max_f32_e32 v5, v54, v54
	v_cndmask_b32_e32 v4, v2, v4, vcc
	v_lshlrev_b32_e32 v6, 2, v4
	ds_bpermute_b32 v4, v6, v54
	v_cmp_lt_i32_e32 vcc, v7, v3
	v_and_b32_e32 v60, 63, v0
	s_waitcnt lgkmcnt(0)
	v_max_f32_e32 v4, v4, v4
	v_max_f32_e32 v4, v5, v4
	v_cndmask_b32_e32 v5, v2, v7, vcc
	v_lshlrev_b32_e32 v8, 2, v5
	ds_bpermute_b32 v5, v8, v4
	v_xor_b32_e32 v7, 8, v2
	v_cmp_lt_i32_e32 vcc, v7, v3
	s_waitcnt lgkmcnt(0)
	v_max_f32_e32 v5, v5, v5
	v_max_f32_e32 v4, v4, v5
	v_cndmask_b32_e32 v5, v2, v7, vcc
	v_lshlrev_b32_e32 v9, 2, v5
	ds_bpermute_b32 v7, v9, v4
	v_cmp_eq_u32_e32 vcc, 0, v60
	v_lshlrev_b32_e32 v5, 2, v44
	s_and_saveexec_b64 s[6:7], vcc
	s_cbranch_execz .LBB16_22
; %bb.21:
	s_waitcnt lgkmcnt(0)
	v_max_f32_e32 v7, v7, v7
	v_max_f32_e32 v4, v4, v4
	;; [unrolled: 1-line block ×3, first 2 shown]
	ds_write_b32 v5, v4 offset:1024
.LBB16_22:
	s_or_b64 exec, exec, s[6:7]
	v_cmp_gt_u32_e64 s[6:7], 2, v60
	v_mov_b32_e32 v4, 0xff7fffff
	s_waitcnt lgkmcnt(0)
	v_lshlrev_b32_e32 v7, 2, v60
	s_barrier
	s_and_saveexec_b64 s[8:9], s[6:7]
	s_cbranch_execz .LBB16_24
; %bb.23:
	ds_read_b32 v4, v7 offset:1024
.LBB16_24:
	s_or_b64 exec, exec, s[8:9]
	v_xor_b32_e32 v10, 1, v2
	v_cmp_lt_i32_e64 s[8:9], v10, v3
	s_sub_i32 s3, s24, s40
	s_lshl_b32 s3, s3, 3
	v_cndmask_b32_e64 v10, v2, v10, s[8:9]
	v_lshlrev_b32_e32 v61, 2, v10
	s_waitcnt lgkmcnt(0)
	ds_bpermute_b32 v10, v61, v4
	v_max_f32_e32 v4, v4, v4
	s_add_i32 s3, s3, s49
	s_min_i32 s15, s3, s37
	s_sub_i32 s3, s15, s49
	s_waitcnt lgkmcnt(0)
	v_max_f32_e32 v10, v10, v10
	v_max_f32_e32 v4, v4, v10
	v_lshlrev_b32_e32 v10, 2, v2
	v_and_b32_e32 v10, 0x100, v10
	ds_bpermute_b32 v4, v10, v4
	v_cmp_gt_i32_e64 s[8:9], s3, v0
	v_mov_b32_e32 v11, 0
	s_and_saveexec_b64 s[16:17], s[8:9]
	s_cbranch_execz .LBB16_28
; %bb.25:
	v_mov_b32_e32 v11, 0x410
	v_lshl_add_u32 v12, v0, 2, v11
	s_mov_b64 s[40:41], 0
	v_mov_b32_e32 v11, 0
	v_mov_b32_e32 v13, v0
.LBB16_26:                              ; =>This Inner Loop Header: Depth=1
	ds_read_b32 v14, v12
	v_add_u32_e32 v13, 0x80, v13
	v_cmp_le_i32_e64 s[10:11], s3, v13
	s_or_b64 s[40:41], s[10:11], s[40:41]
	s_waitcnt lgkmcnt(0)
	v_sub_f32_e32 v14, v14, v4
	v_mul_f32_e32 v14, 0x3fb8aa3b, v14
	v_exp_f32_e32 v14, v14
	ds_write_b32 v12, v14
	v_add_f32_e32 v11, v11, v14
	v_add_u32_e32 v12, 0x200, v12
	s_andn2_b64 exec, exec, s[40:41]
	s_cbranch_execnz .LBB16_26
; %bb.27:
	s_or_b64 exec, exec, s[40:41]
.LBB16_28:
	s_or_b64 exec, exec, s[16:17]
	ds_bpermute_b32 v6, v6, v11
	s_waitcnt lgkmcnt(0)
	v_add_f32_e32 v6, v11, v6
	ds_bpermute_b32 v8, v8, v6
	s_waitcnt lgkmcnt(0)
	v_add_f32_e32 v6, v6, v8
	ds_bpermute_b32 v8, v9, v6
	v_xor_b32_e32 v9, 4, v2
	v_cmp_lt_i32_e64 s[10:11], v9, v3
	s_waitcnt lgkmcnt(0)
	v_add_f32_e32 v6, v6, v8
	v_cndmask_b32_e64 v9, v2, v9, s[10:11]
	v_lshlrev_b32_e32 v9, 2, v9
	ds_bpermute_b32 v8, v9, v6
	v_xor_b32_e32 v9, 2, v2
	v_cmp_lt_i32_e64 s[10:11], v9, v3
	s_waitcnt lgkmcnt(0)
	v_add_f32_e32 v3, v6, v8
	v_cndmask_b32_e64 v2, v2, v9, s[10:11]
	v_lshlrev_b32_e32 v2, 2, v2
	ds_bpermute_b32 v2, v2, v3
	s_waitcnt lgkmcnt(0)
	v_add_f32_e32 v2, v3, v2
	ds_bpermute_b32 v3, v61, v2
	s_waitcnt lgkmcnt(0)
	v_add_f32_e32 v2, v2, v3
	s_and_saveexec_b64 s[10:11], vcc
	s_cbranch_execz .LBB16_30
; %bb.29:
	ds_write_b32 v5, v2 offset:1032
.LBB16_30:
	s_or_b64 exec, exec, s[10:11]
	s_waitcnt lgkmcnt(0)
	s_barrier
	s_and_saveexec_b64 s[10:11], s[6:7]
	s_cbranch_execz .LBB16_32
; %bb.31:
	ds_read_b32 v2, v7 offset:1032
.LBB16_32:
	s_or_b64 exec, exec, s[10:11]
	s_waitcnt lgkmcnt(0)
	ds_bpermute_b32 v3, v61, v2
	s_waitcnt lgkmcnt(0)
	v_add_f32_e32 v2, v2, v3
	ds_bpermute_b32 v5, v10, v2
	s_and_saveexec_b64 s[6:7], s[8:9]
	s_cbranch_execz .LBB16_45
; %bb.33:
	s_waitcnt lgkmcnt(0)
	v_add_f32_e32 v2, 0x358637bd, v5
	v_div_scale_f32 v3, s[8:9], v2, v2, 1.0
	v_rcp_f32_e32 v6, v3
	v_div_scale_f32 v7, vcc, 1.0, v2, 1.0
	s_movk_i32 s8, 0x7f
	v_fma_f32 v8, -v3, v6, 1.0
	v_fmac_f32_e32 v6, v8, v6
	v_mul_f32_e32 v8, v7, v6
	v_fma_f32 v9, -v3, v8, v7
	v_fmac_f32_e32 v8, v9, v6
	v_fma_f32 v3, -v3, v8, v7
	v_div_fmas_f32 v3, v3, v6, v8
	v_div_fixup_f32 v2, v3, v2, 1.0
	v_xad_u32 v3, v0, -1, s15
	v_subrev_u32_e32 v6, s49, v3
	v_cmp_lt_u32_e32 vcc, s8, v6
	s_mov_b64 s[10:11], -1
	v_mov_b32_e32 v3, v0
	s_and_saveexec_b64 s[8:9], vcc
	s_cbranch_execz .LBB16_42
; %bb.34:
	v_lshrrev_b32_e32 v6, 7, v6
	v_add_u32_e32 v8, -1, v6
	v_lshrrev_b32_e32 v7, 1, v8
	v_mov_b32_e32 v3, v2
	v_add_u32_e32 v7, 1, v7
	v_cmp_lt_u32_e32 vcc, 13, v8
	v_mov_b32_e32 v10, 0
	s_and_saveexec_b64 s[10:11], vcc
	s_cbranch_execz .LBB16_38
; %bb.35:
	v_mov_b32_e32 v9, 0x410
	v_and_b32_e32 v8, -8, v7
	v_lshl_add_u32 v9, v0, 2, v9
	s_mov_b32 s15, 0
	s_mov_b64 s[16:17], 0
.LBB16_36:                              ; =>This Inner Loop Header: Depth=1
	ds_read2st64_b32 v[10:11], v9 offset1:2
	ds_read2st64_b32 v[12:13], v9 offset0:4 offset1:6
	ds_read2st64_b32 v[14:15], v9 offset0:8 offset1:10
	;; [unrolled: 1-line block ×3, first 2 shown]
	v_add_u32_e32 v8, -8, v8
	s_waitcnt lgkmcnt(3)
	v_pk_mul_f32 v[10:11], v[2:3], v[10:11]
	s_waitcnt lgkmcnt(2)
	v_pk_mul_f32 v[12:13], v[2:3], v[12:13]
	ds_write2st64_b32 v9, v10, v11 offset1:2
	ds_write2st64_b32 v9, v12, v13 offset0:4 offset1:6
	ds_read2st64_b32 v[12:13], v9 offset0:16 offset1:18
	s_waitcnt lgkmcnt(4)
	v_pk_mul_f32 v[10:11], v[2:3], v[14:15]
	ds_write2st64_b32 v9, v10, v11 offset0:8 offset1:10
	s_waitcnt lgkmcnt(4)
	v_pk_mul_f32 v[10:11], v[2:3], v[16:17]
	ds_write2st64_b32 v9, v10, v11 offset0:12 offset1:14
	ds_read2st64_b32 v[10:11], v9 offset0:20 offset1:22
	s_waitcnt lgkmcnt(3)
	v_pk_mul_f32 v[12:13], v[2:3], v[12:13]
	ds_read2st64_b32 v[14:15], v9 offset0:24 offset1:26
	ds_write2st64_b32 v9, v12, v13 offset0:16 offset1:18
	ds_read2st64_b32 v[12:13], v9 offset0:28 offset1:30
	s_waitcnt lgkmcnt(3)
	v_pk_mul_f32 v[10:11], v[2:3], v[10:11]
	ds_write2st64_b32 v9, v10, v11 offset0:20 offset1:22
	s_waitcnt lgkmcnt(3)
	v_pk_mul_f32 v[10:11], v[2:3], v[14:15]
	ds_write2st64_b32 v9, v10, v11 offset0:24 offset1:26
	s_waitcnt lgkmcnt(2)
	v_pk_mul_f32 v[10:11], v[2:3], v[12:13]
	s_add_i32 s15, s15, 16
	v_cmp_eq_u32_e32 vcc, 0, v8
	ds_write2st64_b32 v9, v10, v11 offset0:28 offset1:30
	v_add_u32_e32 v9, 0x2000, v9
	s_or_b64 s[16:17], vcc, s[16:17]
	v_mov_b32_e32 v10, s15
	s_andn2_b64 exec, exec, s[16:17]
	s_cbranch_execnz .LBB16_36
; %bb.37:
	s_or_b64 exec, exec, s[16:17]
.LBB16_38:
	s_or_b64 exec, exec, s[10:11]
	v_and_b32_e32 v7, 7, v7
	v_cmp_ne_u32_e32 vcc, 0, v7
	s_and_saveexec_b64 s[10:11], vcc
	s_cbranch_execz .LBB16_41
; %bb.39:
	v_lshlrev_b32_e32 v8, 9, v10
	v_lshlrev_b32_e32 v9, 2, v0
	s_movk_i32 s15, 0x410
	v_add3_u32 v8, v8, v9, s15
	s_mov_b64 s[16:17], 0
.LBB16_40:                              ; =>This Inner Loop Header: Depth=1
	ds_read2st64_b32 v[10:11], v8 offset1:2
	v_add_u32_e32 v7, -1, v7
	v_cmp_eq_u32_e32 vcc, 0, v7
	s_or_b64 s[16:17], vcc, s[16:17]
	s_waitcnt lgkmcnt(0)
	v_pk_mul_f32 v[10:11], v[2:3], v[10:11]
	ds_write2st64_b32 v8, v10, v11 offset1:2
	v_add_u32_e32 v8, 0x400, v8
	s_andn2_b64 exec, exec, s[16:17]
	s_cbranch_execnz .LBB16_40
.LBB16_41:
	s_or_b64 exec, exec, s[10:11]
	v_add_u32_e32 v6, 1, v6
	v_and_b32_e32 v7, 0x3fffffe, v6
	v_cmp_ne_u32_e32 vcc, v6, v7
	v_lshl_add_u32 v3, v7, 7, v0
	s_orn2_b64 s[10:11], vcc, exec
.LBB16_42:
	s_or_b64 exec, exec, s[8:9]
	s_and_b64 exec, exec, s[10:11]
	s_cbranch_execz .LBB16_45
; %bb.43:
	v_mov_b32_e32 v6, 0x410
	v_lshl_add_u32 v6, v3, 2, v6
	s_mov_b64 s[8:9], 0
.LBB16_44:                              ; =>This Inner Loop Header: Depth=1
	ds_read_b32 v7, v6
	v_add_u32_e32 v3, 0x80, v3
	v_cmp_le_i32_e32 vcc, s3, v3
	s_or_b64 s[8:9], vcc, s[8:9]
	s_waitcnt lgkmcnt(0)
	v_mul_f32_e32 v7, v2, v7
	ds_write_b32 v6, v7
	v_add_u32_e32 v6, 0x200, v6
	s_andn2_b64 exec, exec, s[8:9]
	s_cbranch_execnz .LBB16_44
.LBB16_45:
	s_or_b64 exec, exec, s[6:7]
	s_mul_i32 s3, s33, s36
	v_cmp_eq_u32_e32 vcc, 0, v0
	s_mul_i32 s6, s3, s5
	s_waitcnt lgkmcnt(0)
	s_barrier
	s_and_saveexec_b64 s[8:9], vcc
	s_cbranch_execz .LBB16_47
; %bb.46:
	s_ashr_i32 s7, s6, 31
	s_lshl_b64 s[10:11], s[6:7], 2
	s_add_u32 s5, s22, s10
	s_mul_i32 s2, s33, s2
	s_addc_u32 s7, s23, s11
	s_ashr_i32 s3, s2, 31
	s_lshl_b64 s[2:3], s[2:3], 2
	s_add_u32 s15, s5, s2
	s_addc_u32 s7, s7, s3
	s_ashr_i32 s5, s4, 31
	s_lshl_b64 s[16:17], s[4:5], 2
	s_add_u32 s22, s15, s16
	s_addc_u32 s23, s7, s17
	s_add_u32 s5, s20, s10
	s_addc_u32 s7, s21, s11
	;; [unrolled: 2-line block ×3, first 2 shown]
	s_add_u32 s2, s2, s16
	v_mov_b32_e32 v2, 0
	s_addc_u32 s3, s3, s17
	global_store_dword v2, v4, s[22:23]
	global_store_dword v2, v5, s[2:3]
.LBB16_47:
	s_or_b64 exec, exec, s[8:9]
	s_mov_b32 s8, 0
	v_mov_b32_e32 v9, 0
	v_and_b32_e32 v62, 1, v0
	v_mov_b32_e32 v8, 0
	v_mov_b32_e32 v7, 0
	;; [unrolled: 1-line block ×7, first 2 shown]
	s_and_saveexec_b64 s[2:3], s[0:1]
	s_cbranch_execz .LBB16_69
; %bb.48:
	s_ashr_i32 s15, s14, 31
	s_sub_i32 s5, s48, s25
	s_lshl_b64 s[0:1], s[14:15], 2
	s_add_u32 s16, s18, s0
	s_addc_u32 s17, s19, s1
	s_abs_i32 s7, s26
	v_cvt_f32_u32_e32 v3, s7
	v_lshlrev_b32_e32 v2, 2, v0
	v_and_b32_e32 v63, 4, v2
	v_and_b32_e32 v10, 0xfc, v2
	v_rcp_iflag_f32_e32 v2, v3
	s_sub_i32 s0, 0, s7
	s_add_i32 s21, s12, -1
	s_mov_b32 s9, s8
	v_mul_f32_e32 v2, 0x4f7ffffe, v2
	v_cvt_u32_f32_e32 v2, v2
	s_mov_b32 s20, s13
	v_or_b32_e32 v12, 0x400, v10
	v_or_b32_e32 v14, 0x500, v10
	v_mul_lo_u32 v3, s0, v2
	v_mul_hi_u32 v3, v2, v3
	s_lshl_b64 s[0:1], s[38:39], 2
	v_add_u32_e32 v64, v2, v3
	s_add_u32 s0, s34, s0
	v_lshlrev_b32_e32 v2, 4, v62
	s_addc_u32 s1, s35, s1
	v_lshl_or_b32 v2, v44, 5, v2
	v_or_b32_e32 v16, 0x600, v10
	v_or_b32_e32 v18, 0x700, v10
	v_lshl_add_u64 v[50:51], v[46:47], 2, s[0:1]
	v_add_u32_e32 v47, 0x410, v2
	s_mov_b32 s10, s8
	s_mov_b32 s11, s8
	;; [unrolled: 1-line block ×6, first 2 shown]
	v_mov_b64_e32 v[2:3], s[8:9]
	v_mov_b32_e32 v49, 0
	s_mov_b64 s[18:19], 0
	v_mov_b64_e32 v[4:5], s[10:11]
	v_mov_b64_e32 v[6:7], s[12:13]
	v_mov_b64_e32 v[8:9], s[14:15]
	v_lshlrev_b32_e32 v52, 2, v10
	v_lshlrev_b32_e32 v48, 2, v12
	;; [unrolled: 1-line block ×5, first 2 shown]
	s_branch .LBB16_51
.LBB16_49:                              ;   in Loop: Header=BB16_51 Depth=1
	s_or_b64 exec, exec, s[0:1]
	s_waitcnt vmcnt(7) lgkmcnt(0)
	v_mul_f32_e32 v15, v11, v15
	v_fmac_f32_e32 v15, v10, v14
	s_waitcnt vmcnt(6)
	v_mul_f32_e32 v14, v11, v19
	v_fmac_f32_e32 v14, v10, v18
	v_fmac_f32_e32 v14, v12, v20
	v_fmac_f32_e32 v14, v13, v21
	v_add_f32_e32 v3, v3, v14
	s_waitcnt vmcnt(5)
	v_mul_f32_e32 v14, v11, v23
	v_fmac_f32_e32 v14, v10, v22
	v_fmac_f32_e32 v14, v12, v24
	v_fmac_f32_e32 v14, v13, v25
	v_add_f32_e32 v4, v4, v14
	;; [unrolled: 6-line block ×5, first 2 shown]
	s_waitcnt vmcnt(1)
	v_mul_f32_e32 v14, v11, v39
	s_waitcnt vmcnt(0)
	v_mul_f32_e32 v11, v11, v43
	v_fmac_f32_e32 v14, v10, v38
	v_fmac_f32_e32 v11, v10, v42
	v_fmac_f32_e32 v15, v12, v16
	v_fmac_f32_e32 v14, v12, v40
	v_fmac_f32_e32 v11, v12, v44
	v_fmac_f32_e32 v15, v13, v17
	v_fmac_f32_e32 v14, v13, v41
	v_fmac_f32_e32 v11, v13, v45
	v_add_f32_e32 v2, v2, v15
	v_add_f32_e32 v8, v8, v14
	;; [unrolled: 1-line block ×3, first 2 shown]
.LBB16_50:                              ;   in Loop: Header=BB16_51 Depth=1
	s_or_b64 exec, exec, s[8:9]
	v_add_u32_e32 v46, 2, v46
	v_cmp_le_i32_e32 vcc, s24, v46
	v_lshl_add_u64 v[50:51], v[50:51], 0, 8
	v_add_u32_e32 v1, 16, v1
	s_or_b64 s[18:19], vcc, s[18:19]
	v_add_u32_e32 v47, 64, v47
	s_andn2_b64 exec, exec, s[18:19]
	s_cbranch_execz .LBB16_68
.LBB16_51:                              ; =>This Inner Loop Header: Depth=1
	v_sub_u32_e32 v11, 0, v1
	v_max_i32_e32 v11, v1, v11
	v_mul_hi_u32 v12, v11, s46
	v_mul_lo_u32 v13, v12, s31
	v_sub_u32_e32 v11, v11, v13
	v_add_u32_e32 v13, 1, v12
	v_cmp_le_u32_e32 vcc, s31, v11
	v_ashrrev_i32_e32 v10, 31, v1
	v_xor_b32_e32 v10, s27, v10
	v_cndmask_b32_e32 v12, v12, v13, vcc
	v_subrev_u32_e32 v13, s31, v11
	v_cndmask_b32_e32 v11, v11, v13, vcc
	v_add_u32_e32 v13, 1, v12
	v_cmp_le_u32_e32 vcc, s31, v11
	s_nop 1
	v_cndmask_b32_e32 v11, v12, v13, vcc
	v_xor_b32_e32 v11, v11, v10
	v_sub_u32_e32 v10, v11, v10
	v_add_u32_e32 v11, s47, v10
	v_sub_u32_e32 v13, 0, v11
	v_ashrrev_i32_e32 v12, 31, v11
	v_max_i32_e32 v11, v11, v13
	v_mul_hi_u32 v13, v11, v64
	v_mul_lo_u32 v13, v13, s7
	v_sub_u32_e32 v11, v11, v13
	v_subrev_u32_e32 v13, s7, v11
	v_cmp_le_u32_e32 vcc, s7, v11
	v_cmp_lt_i32_e64 s[0:1], s5, v10
	s_nop 0
	v_cndmask_b32_e32 v11, v11, v13, vcc
	v_subrev_u32_e32 v13, s7, v11
	v_cmp_le_u32_e32 vcc, s7, v11
	s_nop 1
	v_cndmask_b32_e32 v11, v11, v13, vcc
	v_xor_b32_e32 v11, v11, v12
	v_sub_u32_e32 v11, v11, v12
	v_cmp_eq_u32_e32 vcc, 0, v11
	s_or_b64 s[0:1], vcc, s[0:1]
	s_and_saveexec_b64 s[8:9], s[0:1]
	s_cbranch_execz .LBB16_50
; %bb.52:                               ;   in Loop: Header=BB16_51 Depth=1
	global_load_dword v10, v[50:51], off
	v_mov_b32_e32 v53, v49
	v_cmp_eq_u32_e32 vcc, s21, v46
	s_waitcnt vmcnt(0)
	v_mad_i64_i32 v[10:11], s[0:1], v10, s20, 0
	v_lshl_add_u64 v[42:43], v[10:11], 2, s[16:17]
	v_lshl_add_u64 v[26:27], v[42:43], 0, v[52:53]
	global_load_dwordx4 v[14:17], v[26:27], off
	ds_read_b128 v[10:13], v47
	v_add_u32_e32 v53, v63, v1
	v_add_u32_e32 v67, 1, v53
	;; [unrolled: 1-line block ×4, first 2 shown]
	s_and_saveexec_b64 s[10:11], vcc
	s_cbranch_execnz .LBB16_65
; %bb.53:                               ;   in Loop: Header=BB16_51 Depth=1
	s_or_b64 exec, exec, s[10:11]
	global_load_dwordx4 v[18:21], v[26:27], off offset:1024
	s_and_saveexec_b64 s[10:11], vcc
	s_cbranch_execnz .LBB16_66
.LBB16_54:                              ;   in Loop: Header=BB16_51 Depth=1
	s_or_b64 exec, exec, s[10:11]
	global_load_dwordx4 v[22:25], v[26:27], off offset:2048
	s_and_saveexec_b64 s[10:11], vcc
	s_cbranch_execnz .LBB16_67
.LBB16_55:                              ;   in Loop: Header=BB16_51 Depth=1
	s_or_b64 exec, exec, s[10:11]
	global_load_dwordx4 v[26:29], v[26:27], off offset:3072
	s_and_saveexec_b64 s[10:11], vcc
	s_cbranch_execz .LBB16_57
.LBB16_56:                              ;   in Loop: Header=BB16_51 Depth=1
	v_cmp_gt_i32_e64 s[0:1], s37, v53
	s_waitcnt vmcnt(0)
	s_nop 0
	v_cndmask_b32_e64 v26, 0, v26, s[0:1]
	v_cmp_gt_i32_e64 s[0:1], s37, v67
	s_nop 1
	v_cndmask_b32_e64 v27, 0, v27, s[0:1]
	v_cmp_gt_i32_e64 s[0:1], s37, v66
	;; [unrolled: 3-line block ×3, first 2 shown]
	s_nop 1
	v_cndmask_b32_e64 v29, 0, v29, s[0:1]
.LBB16_57:                              ;   in Loop: Header=BB16_51 Depth=1
	s_or_b64 exec, exec, s[10:11]
	v_lshl_add_u64 v[30:31], v[42:43], 0, v[48:49]
	global_load_dwordx4 v[30:33], v[30:31], off
	s_and_saveexec_b64 s[10:11], vcc
	s_cbranch_execz .LBB16_59
; %bb.58:                               ;   in Loop: Header=BB16_51 Depth=1
	v_cmp_gt_i32_e64 s[0:1], s37, v53
	s_waitcnt vmcnt(0)
	s_nop 0
	v_cndmask_b32_e64 v30, 0, v30, s[0:1]
	v_cmp_gt_i32_e64 s[0:1], s37, v67
	s_nop 1
	v_cndmask_b32_e64 v31, 0, v31, s[0:1]
	v_cmp_gt_i32_e64 s[0:1], s37, v66
	s_nop 1
	v_cndmask_b32_e64 v32, 0, v32, s[0:1]
	v_cmp_gt_i32_e64 s[0:1], s37, v65
	s_nop 1
	v_cndmask_b32_e64 v33, 0, v33, s[0:1]
.LBB16_59:                              ;   in Loop: Header=BB16_51 Depth=1
	s_or_b64 exec, exec, s[10:11]
	v_mov_b32_e32 v55, v49
	v_lshl_add_u64 v[34:35], v[42:43], 0, v[54:55]
	global_load_dwordx4 v[34:37], v[34:35], off
	s_and_saveexec_b64 s[10:11], vcc
	s_cbranch_execz .LBB16_61
; %bb.60:                               ;   in Loop: Header=BB16_51 Depth=1
	v_cmp_gt_i32_e64 s[0:1], s37, v53
	s_waitcnt vmcnt(0)
	s_nop 0
	v_cndmask_b32_e64 v34, 0, v34, s[0:1]
	v_cmp_gt_i32_e64 s[0:1], s37, v67
	s_nop 1
	v_cndmask_b32_e64 v35, 0, v35, s[0:1]
	v_cmp_gt_i32_e64 s[0:1], s37, v66
	s_nop 1
	v_cndmask_b32_e64 v36, 0, v36, s[0:1]
	v_cmp_gt_i32_e64 s[0:1], s37, v65
	s_nop 1
	v_cndmask_b32_e64 v37, 0, v37, s[0:1]
.LBB16_61:                              ;   in Loop: Header=BB16_51 Depth=1
	s_or_b64 exec, exec, s[10:11]
	v_mov_b32_e32 v57, v49
	;; [unrolled: 21-line block ×3, first 2 shown]
	v_lshl_add_u64 v[42:43], v[42:43], 0, v[58:59]
	global_load_dwordx4 v[42:45], v[42:43], off
	s_and_saveexec_b64 s[0:1], vcc
	s_cbranch_execz .LBB16_49
; %bb.64:                               ;   in Loop: Header=BB16_51 Depth=1
	v_cmp_gt_i32_e32 vcc, s37, v53
	s_waitcnt vmcnt(0)
	s_nop 0
	v_cndmask_b32_e32 v42, 0, v42, vcc
	v_cmp_gt_i32_e32 vcc, s37, v67
	s_nop 1
	v_cndmask_b32_e32 v43, 0, v43, vcc
	v_cmp_gt_i32_e32 vcc, s37, v66
	;; [unrolled: 3-line block ×3, first 2 shown]
	s_nop 1
	v_cndmask_b32_e32 v45, 0, v45, vcc
	s_branch .LBB16_49
.LBB16_65:                              ;   in Loop: Header=BB16_51 Depth=1
	v_cmp_gt_i32_e64 s[0:1], s37, v53
	s_waitcnt vmcnt(0)
	s_nop 0
	v_cndmask_b32_e64 v14, 0, v14, s[0:1]
	v_cmp_gt_i32_e64 s[0:1], s37, v67
	s_nop 1
	v_cndmask_b32_e64 v15, 0, v15, s[0:1]
	v_cmp_gt_i32_e64 s[0:1], s37, v66
	s_nop 1
	v_cndmask_b32_e64 v16, 0, v16, s[0:1]
	v_cmp_gt_i32_e64 s[0:1], s37, v65
	s_nop 1
	v_cndmask_b32_e64 v17, 0, v17, s[0:1]
	s_or_b64 exec, exec, s[10:11]
	global_load_dwordx4 v[18:21], v[26:27], off offset:1024
	s_and_saveexec_b64 s[10:11], vcc
	s_cbranch_execz .LBB16_54
.LBB16_66:                              ;   in Loop: Header=BB16_51 Depth=1
	v_cmp_gt_i32_e64 s[0:1], s37, v53
	s_waitcnt vmcnt(0)
	s_nop 0
	v_cndmask_b32_e64 v18, 0, v18, s[0:1]
	v_cmp_gt_i32_e64 s[0:1], s37, v67
	s_nop 1
	v_cndmask_b32_e64 v19, 0, v19, s[0:1]
	v_cmp_gt_i32_e64 s[0:1], s37, v66
	s_nop 1
	v_cndmask_b32_e64 v20, 0, v20, s[0:1]
	v_cmp_gt_i32_e64 s[0:1], s37, v65
	s_nop 1
	v_cndmask_b32_e64 v21, 0, v21, s[0:1]
	s_or_b64 exec, exec, s[10:11]
	global_load_dwordx4 v[22:25], v[26:27], off offset:2048
	s_and_saveexec_b64 s[10:11], vcc
	s_cbranch_execz .LBB16_55
.LBB16_67:                              ;   in Loop: Header=BB16_51 Depth=1
	v_cmp_gt_i32_e64 s[0:1], s37, v53
	s_waitcnt vmcnt(0)
	s_nop 0
	v_cndmask_b32_e64 v22, 0, v22, s[0:1]
	v_cmp_gt_i32_e64 s[0:1], s37, v67
	s_nop 1
	v_cndmask_b32_e64 v23, 0, v23, s[0:1]
	v_cmp_gt_i32_e64 s[0:1], s37, v66
	;; [unrolled: 3-line block ×3, first 2 shown]
	s_nop 1
	v_cndmask_b32_e64 v25, 0, v25, s[0:1]
	s_or_b64 exec, exec, s[10:11]
	global_load_dwordx4 v[26:29], v[26:27], off offset:3072
	s_and_saveexec_b64 s[10:11], vcc
	s_cbranch_execnz .LBB16_56
	s_branch .LBB16_57
.LBB16_68:
	s_or_b64 exec, exec, s[18:19]
.LBB16_69:
	s_or_b64 exec, exec, s[2:3]
	ds_bpermute_b32 v10, v61, v2
	ds_bpermute_b32 v11, v61, v3
	;; [unrolled: 1-line block ×8, first 2 shown]
	v_and_b32_e32 v1, 0x3c1, v0
	s_waitcnt lgkmcnt(6)
	v_pk_add_f32 v[10:11], v[2:3], v[10:11]
	s_waitcnt lgkmcnt(4)
	v_pk_add_f32 v[4:5], v[4:5], v[12:13]
	;; [unrolled: 2-line block ×4, first 2 shown]
	v_cmp_eq_u32_e32 vcc, 64, v1
	s_barrier
	s_and_saveexec_b64 s[0:1], vcc
	s_cbranch_execz .LBB16_71
; %bb.70:
	v_mov_b32_e32 v8, 0x410
	v_lshl_add_u32 v8, v60, 1, v8
	ds_write2_b32 v8, v10, v11 offset1:32
	ds_write2_b32 v8, v4, v5 offset0:64 offset1:96
	ds_write2_b32 v8, v2, v3 offset0:128 offset1:160
	;; [unrolled: 1-line block ×3, first 2 shown]
.LBB16_71:
	s_or_b64 exec, exec, s[0:1]
	v_cmp_gt_u32_e32 vcc, 64, v0
	s_waitcnt lgkmcnt(0)
	s_barrier
	s_and_saveexec_b64 s[0:1], vcc
	s_cbranch_execz .LBB16_82
; %bb.72:
	v_cmp_eq_u32_e32 vcc, 0, v62
	v_lshrrev_b32_e32 v8, 1, v0
	s_and_saveexec_b64 s[2:3], vcc
	s_cbranch_execnz .LBB16_85
; %bb.73:
	s_or_b64 exec, exec, s[2:3]
	s_and_saveexec_b64 s[2:3], vcc
	s_cbranch_execnz .LBB16_86
.LBB16_74:
	s_or_b64 exec, exec, s[2:3]
	s_and_saveexec_b64 s[2:3], vcc
	s_cbranch_execnz .LBB16_87
.LBB16_75:
	s_or_b64 exec, exec, s[2:3]
	s_and_saveexec_b64 s[2:3], vcc
	s_cbranch_execnz .LBB16_88
.LBB16_76:
	s_or_b64 exec, exec, s[2:3]
	s_and_saveexec_b64 s[2:3], vcc
	s_cbranch_execnz .LBB16_89
.LBB16_77:
	s_or_b64 exec, exec, s[2:3]
	s_and_saveexec_b64 s[2:3], vcc
	s_cbranch_execnz .LBB16_90
.LBB16_78:
	s_or_b64 exec, exec, s[2:3]
	s_and_saveexec_b64 s[2:3], vcc
	s_cbranch_execnz .LBB16_91
.LBB16_79:
	s_or_b64 exec, exec, s[2:3]
	s_and_saveexec_b64 s[2:3], vcc
	s_cbranch_execz .LBB16_81
.LBB16_80:
	v_mov_b32_e32 v9, 0x410
	v_lshl_add_u32 v8, v8, 2, v9
	ds_read_b32 v8, v8 offset:896
	s_waitcnt lgkmcnt(0)
	v_add_f32_e32 v7, v7, v8
.LBB16_81:
	s_or_b64 exec, exec, s[2:3]
.LBB16_82:
	s_or_b64 exec, exec, s[0:1]
	v_cmp_eq_u32_e32 vcc, 0, v1
	s_barrier
	s_and_saveexec_b64 s[0:1], vcc
	s_cbranch_execz .LBB16_84
; %bb.83:
	s_lshl_b32 s0, s6, 8
	s_ashr_i32 s1, s0, 31
	s_lshl_b64 s[0:1], s[0:1], 2
	s_add_u32 s2, s28, s0
	s_mul_i32 s0, s33, s30
	s_addc_u32 s3, s29, s1
	s_ashr_i32 s1, s0, 31
	s_lshl_b64 s[0:1], s[0:1], 2
	s_add_u32 s2, s2, s0
	s_addc_u32 s3, s3, s1
	s_lshl_b32 s0, s4, 8
	s_ashr_i32 s1, s0, 31
	s_lshl_b64 s[0:1], s[0:1], 2
	s_add_u32 s0, s2, s0
	s_addc_u32 s1, s3, s1
	v_lshlrev_b32_e32 v0, 1, v0
	global_store_dword v0, v10, s[0:1]
	global_store_dword v0, v11, s[0:1] offset:128
	global_store_dword v0, v4, s[0:1] offset:256
	;; [unrolled: 1-line block ×7, first 2 shown]
.LBB16_84:
	s_endpgm
.LBB16_85:
	v_mov_b32_e32 v9, 0x410
	v_lshl_add_u32 v9, v8, 2, v9
	ds_read_b32 v9, v9
	s_waitcnt lgkmcnt(0)
	v_add_f32_e32 v10, v10, v9
	s_or_b64 exec, exec, s[2:3]
	s_and_saveexec_b64 s[2:3], vcc
	s_cbranch_execz .LBB16_74
.LBB16_86:
	v_mov_b32_e32 v9, 0x410
	v_lshl_add_u32 v9, v8, 2, v9
	ds_read_b32 v9, v9 offset:128
	s_waitcnt lgkmcnt(0)
	v_add_f32_e32 v11, v11, v9
	s_or_b64 exec, exec, s[2:3]
	s_and_saveexec_b64 s[2:3], vcc
	s_cbranch_execz .LBB16_75
.LBB16_87:
	v_mov_b32_e32 v9, 0x410
	v_lshl_add_u32 v9, v8, 2, v9
	ds_read_b32 v9, v9 offset:256
	s_waitcnt lgkmcnt(0)
	v_add_f32_e32 v4, v4, v9
	s_or_b64 exec, exec, s[2:3]
	s_and_saveexec_b64 s[2:3], vcc
	s_cbranch_execz .LBB16_76
.LBB16_88:
	v_mov_b32_e32 v9, 0x410
	v_lshl_add_u32 v9, v8, 2, v9
	ds_read_b32 v9, v9 offset:384
	s_waitcnt lgkmcnt(0)
	v_add_f32_e32 v5, v5, v9
	s_or_b64 exec, exec, s[2:3]
	s_and_saveexec_b64 s[2:3], vcc
	s_cbranch_execz .LBB16_77
.LBB16_89:
	v_mov_b32_e32 v9, 0x410
	v_lshl_add_u32 v9, v8, 2, v9
	ds_read_b32 v9, v9 offset:512
	s_waitcnt lgkmcnt(0)
	v_add_f32_e32 v2, v2, v9
	s_or_b64 exec, exec, s[2:3]
	s_and_saveexec_b64 s[2:3], vcc
	s_cbranch_execz .LBB16_78
.LBB16_90:
	v_mov_b32_e32 v9, 0x410
	v_lshl_add_u32 v9, v8, 2, v9
	ds_read_b32 v9, v9 offset:640
	s_waitcnt lgkmcnt(0)
	v_add_f32_e32 v3, v3, v9
	s_or_b64 exec, exec, s[2:3]
	s_and_saveexec_b64 s[2:3], vcc
	s_cbranch_execz .LBB16_79
.LBB16_91:
	v_mov_b32_e32 v9, 0x410
	v_lshl_add_u32 v9, v8, 2, v9
	ds_read_b32 v9, v9 offset:768
	s_waitcnt lgkmcnt(0)
	v_add_f32_e32 v6, v6, v9
	s_or_b64 exec, exec, s[2:3]
	s_and_saveexec_b64 s[2:3], vcc
	s_cbranch_execnz .LBB16_80
	s_branch .LBB16_81
	.section	.rodata,"a",@progbits
	.p2align	6, 0x0
	.amdhsa_kernel _ZN4vllm25paged_attention_v2_kernelIffLi256ELi8ELi128ELNS_18Fp8KVCacheDataTypeE0ELb1ELi512EEEvPfS2_PT_PKS3_PKT0_S9_ifPKiSB_iPKfiiiSD_SD_iiiii
		.amdhsa_group_segment_fixed_size 1040
		.amdhsa_private_segment_fixed_size 0
		.amdhsa_kernarg_size 400
		.amdhsa_user_sgpr_count 2
		.amdhsa_user_sgpr_dispatch_ptr 0
		.amdhsa_user_sgpr_queue_ptr 0
		.amdhsa_user_sgpr_kernarg_segment_ptr 1
		.amdhsa_user_sgpr_dispatch_id 0
		.amdhsa_user_sgpr_kernarg_preload_length 0
		.amdhsa_user_sgpr_kernarg_preload_offset 0
		.amdhsa_user_sgpr_private_segment_size 0
		.amdhsa_uses_dynamic_stack 0
		.amdhsa_enable_private_segment 0
		.amdhsa_system_sgpr_workgroup_id_x 1
		.amdhsa_system_sgpr_workgroup_id_y 1
		.amdhsa_system_sgpr_workgroup_id_z 1
		.amdhsa_system_sgpr_workgroup_info 0
		.amdhsa_system_vgpr_workitem_id 0
		.amdhsa_next_free_vgpr 81
		.amdhsa_next_free_sgpr 52
		.amdhsa_accum_offset 84
		.amdhsa_reserve_vcc 1
		.amdhsa_float_round_mode_32 0
		.amdhsa_float_round_mode_16_64 0
		.amdhsa_float_denorm_mode_32 3
		.amdhsa_float_denorm_mode_16_64 3
		.amdhsa_dx10_clamp 1
		.amdhsa_ieee_mode 1
		.amdhsa_fp16_overflow 0
		.amdhsa_tg_split 0
		.amdhsa_exception_fp_ieee_invalid_op 0
		.amdhsa_exception_fp_denorm_src 0
		.amdhsa_exception_fp_ieee_div_zero 0
		.amdhsa_exception_fp_ieee_overflow 0
		.amdhsa_exception_fp_ieee_underflow 0
		.amdhsa_exception_fp_ieee_inexact 0
		.amdhsa_exception_int_div_zero 0
	.end_amdhsa_kernel
	.section	.text._ZN4vllm25paged_attention_v2_kernelIffLi256ELi8ELi128ELNS_18Fp8KVCacheDataTypeE0ELb1ELi512EEEvPfS2_PT_PKS3_PKT0_S9_ifPKiSB_iPKfiiiSD_SD_iiiii,"axG",@progbits,_ZN4vllm25paged_attention_v2_kernelIffLi256ELi8ELi128ELNS_18Fp8KVCacheDataTypeE0ELb1ELi512EEEvPfS2_PT_PKS3_PKT0_S9_ifPKiSB_iPKfiiiSD_SD_iiiii,comdat
.Lfunc_end16:
	.size	_ZN4vllm25paged_attention_v2_kernelIffLi256ELi8ELi128ELNS_18Fp8KVCacheDataTypeE0ELb1ELi512EEEvPfS2_PT_PKS3_PKT0_S9_ifPKiSB_iPKfiiiSD_SD_iiiii, .Lfunc_end16-_ZN4vllm25paged_attention_v2_kernelIffLi256ELi8ELi128ELNS_18Fp8KVCacheDataTypeE0ELb1ELi512EEEvPfS2_PT_PKS3_PKT0_S9_ifPKiSB_iPKfiiiSD_SD_iiiii
                                        ; -- End function
	.section	.AMDGPU.csdata,"",@progbits
; Kernel info:
; codeLenInByte = 6584
; NumSgprs: 58
; NumVgprs: 81
; NumAgprs: 0
; TotalNumVgprs: 81
; ScratchSize: 0
; MemoryBound: 0
; FloatMode: 240
; IeeeMode: 1
; LDSByteSize: 1040 bytes/workgroup (compile time only)
; SGPRBlocks: 7
; VGPRBlocks: 10
; NumSGPRsForWavesPerEU: 58
; NumVGPRsForWavesPerEU: 81
; AccumOffset: 84
; Occupancy: 5
; WaveLimiterHint : 1
; COMPUTE_PGM_RSRC2:SCRATCH_EN: 0
; COMPUTE_PGM_RSRC2:USER_SGPR: 2
; COMPUTE_PGM_RSRC2:TRAP_HANDLER: 0
; COMPUTE_PGM_RSRC2:TGID_X_EN: 1
; COMPUTE_PGM_RSRC2:TGID_Y_EN: 1
; COMPUTE_PGM_RSRC2:TGID_Z_EN: 1
; COMPUTE_PGM_RSRC2:TIDIG_COMP_CNT: 0
; COMPUTE_PGM_RSRC3_GFX90A:ACCUM_OFFSET: 20
; COMPUTE_PGM_RSRC3_GFX90A:TG_SPLIT: 0
	.section	.text._ZN4vllm32paged_attention_v2_reduce_kernelIfLi256ELi128ELi512EEEvPT_PKfS4_PKS1_PKii,"axG",@progbits,_ZN4vllm32paged_attention_v2_reduce_kernelIfLi256ELi128ELi512EEEvPT_PKfS4_PKS1_PKii,comdat
	.protected	_ZN4vllm32paged_attention_v2_reduce_kernelIfLi256ELi128ELi512EEEvPT_PKfS4_PKS1_PKii ; -- Begin function _ZN4vllm32paged_attention_v2_reduce_kernelIfLi256ELi128ELi512EEEvPT_PKfS4_PKS1_PKii
	.globl	_ZN4vllm32paged_attention_v2_reduce_kernelIfLi256ELi128ELi512EEEvPT_PKfS4_PKS1_PKii
	.p2align	8
	.type	_ZN4vllm32paged_attention_v2_reduce_kernelIfLi256ELi128ELi512EEEvPT_PKfS4_PKS1_PKii,@function
_ZN4vllm32paged_attention_v2_reduce_kernelIfLi256ELi128ELi512EEEvPT_PKfS4_PKS1_PKii: ; @_ZN4vllm32paged_attention_v2_reduce_kernelIfLi256ELi128ELi512EEEvPT_PKfS4_PKS1_PKii
; %bb.0:
	s_load_dwordx4 s[8:11], s[0:1], 0x18
	s_add_u32 s6, s0, 48
	s_mov_b32 s12, s3
	s_addc_u32 s7, s1, 0
	s_ashr_i32 s13, s3, 31
	s_lshl_b64 s[4:5], s[12:13], 2
	s_waitcnt lgkmcnt(0)
	s_add_u32 s4, s10, s4
	s_addc_u32 s5, s11, s5
	s_load_dword s24, s[4:5], 0x0
	s_load_dwordx2 s[10:11], s[0:1], 0x0
	s_load_dword s3, s[0:1], 0x28
	s_load_dword s13, s[0:1], 0x30
	s_waitcnt lgkmcnt(0)
	s_add_i32 s4, s24, -1
	s_cmpk_gt_u32 s4, 0x1ff
	s_mov_b64 s[4:5], -1
	s_cbranch_scc0 .LBB17_24
; %bb.1:
	s_add_i32 s4, s24, 0x1ff
	s_load_dwordx2 s[18:19], s[0:1], 0x8
	s_ashr_i32 s5, s4, 31
	s_lshr_b32 s5, s5, 23
	s_add_i32 s4, s4, s5
	s_mul_i32 s26, s13, s12
	s_ashr_i32 s25, s4, 9
	s_mul_i32 s14, s26, s3
	s_mul_i32 s16, s2, s3
	s_ashr_i32 s15, s14, 31
	s_ashr_i32 s17, s16, 31
	v_cmp_gt_i32_e32 vcc, s25, v0
	v_mov_b32_e32 v4, 0xff7fffff
	s_and_saveexec_b64 s[4:5], vcc
	s_cbranch_execz .LBB17_5
; %bb.2:
	s_load_dword s20, s[6:7], 0xc
	s_load_dwordx2 s[22:23], s[0:1], 0x10
	s_lshl_b64 s[0:1], s[14:15], 2
	s_lshl_b64 s[28:29], s[16:17], 2
	v_lshlrev_b32_e32 v4, 2, v0
	s_waitcnt lgkmcnt(0)
	s_and_b32 s27, s20, 0xffff
	s_add_u32 s0, s0, s28
	s_addc_u32 s1, s1, s29
	s_add_u32 s0, s22, s0
	v_mov_b32_e32 v5, 0
	s_addc_u32 s1, s23, s1
	s_mov_b32 s21, 0
	v_lshl_add_u64 v[2:3], s[0:1], 0, v[4:5]
	s_lshl_b32 s20, s27, 2
	v_add_u32_e32 v1, 16, v4
	s_mov_b64 s[22:23], 0
	v_mov_b32_e32 v4, 0xff7fffff
	v_mov_b32_e32 v5, v0
.LBB17_3:                               ; =>This Inner Loop Header: Depth=1
	global_load_dword v6, v[2:3], off
	v_add_u32_e32 v5, s27, v5
	v_max_f32_e32 v4, v4, v4
	v_cmp_le_i32_e64 s[0:1], s25, v5
	v_lshl_add_u64 v[2:3], v[2:3], 0, s[20:21]
	s_or_b64 s[22:23], s[0:1], s[22:23]
	s_waitcnt vmcnt(0)
	ds_write_b32 v1, v6
	v_max_f32_e32 v6, v6, v6
	v_add_u32_e32 v1, s20, v1
	v_max_f32_e32 v4, v4, v6
	s_andn2_b64 exec, exec, s[22:23]
	s_cbranch_execnz .LBB17_3
; %bb.4:
	s_or_b64 exec, exec, s[22:23]
.LBB17_5:
	s_or_b64 exec, exec, s[4:5]
	v_mbcnt_lo_u32_b32 v1, -1, 0
	v_mbcnt_hi_u32_b32 v2, -1, v1
	v_and_b32_e32 v1, 64, v2
	v_add_u32_e32 v5, 64, v1
	v_xor_b32_e32 v1, 32, v2
	v_cmp_lt_i32_e64 s[0:1], v1, v5
	v_xor_b32_e32 v6, 16, v2
	v_lshrrev_b32_e32 v10, 6, v0
	v_cndmask_b32_e64 v1, v2, v1, s[0:1]
	v_lshlrev_b32_e32 v1, 2, v1
	ds_bpermute_b32 v3, v1, v4
	v_max_f32_e32 v4, v4, v4
	v_cmp_lt_i32_e64 s[0:1], v6, v5
	s_waitcnt lgkmcnt(0)
	s_barrier
	v_max_f32_e32 v3, v3, v3
	v_max_f32_e32 v3, v4, v3
	v_cndmask_b32_e64 v4, v2, v6, s[0:1]
	v_lshlrev_b32_e32 v8, 2, v4
	ds_bpermute_b32 v4, v8, v3
	v_xor_b32_e32 v6, 8, v2
	v_cmp_lt_i32_e64 s[0:1], v6, v5
	s_waitcnt lgkmcnt(0)
	v_max_f32_e32 v4, v4, v4
	v_max_f32_e32 v3, v3, v4
	v_cndmask_b32_e64 v4, v2, v6, s[0:1]
	v_lshlrev_b32_e32 v9, 2, v4
	ds_bpermute_b32 v4, v9, v3
	v_xor_b32_e32 v6, 4, v2
	v_cmp_lt_i32_e64 s[0:1], v6, v5
	s_waitcnt lgkmcnt(0)
	;; [unrolled: 8-line block ×3, first 2 shown]
	v_max_f32_e32 v4, v4, v4
	v_max_f32_e32 v3, v3, v4
	v_cndmask_b32_e64 v4, v2, v6, s[0:1]
	v_lshlrev_b32_e32 v12, 2, v4
	ds_bpermute_b32 v4, v12, v3
	v_and_b32_e32 v6, 63, v0
	s_waitcnt lgkmcnt(0)
	v_max_f32_e32 v4, v4, v4
	v_max_f32_e32 v3, v3, v4
	v_xor_b32_e32 v4, 1, v2
	v_cmp_lt_i32_e64 s[0:1], v4, v5
	s_nop 1
	v_cndmask_b32_e64 v4, v2, v4, s[0:1]
	v_lshlrev_b32_e32 v7, 2, v4
	ds_bpermute_b32 v4, v7, v3
	v_cmp_eq_u32_e64 s[0:1], 0, v6
	s_and_saveexec_b64 s[4:5], s[0:1]
	s_cbranch_execz .LBB17_7
; %bb.6:
	s_waitcnt lgkmcnt(0)
	v_max_f32_e32 v4, v4, v4
	v_max_f32_e32 v3, v3, v3
	v_max_f32_e32 v3, v3, v4
	v_lshlrev_b32_e32 v4, 2, v10
	ds_write_b32 v4, v3
.LBB17_7:
	s_or_b64 exec, exec, s[4:5]
	v_cmp_gt_u32_e64 s[4:5], 2, v6
	v_mov_b32_e32 v3, 0xff7fffff
	s_waitcnt lgkmcnt(0)
	s_barrier
	s_and_saveexec_b64 s[20:21], s[4:5]
	s_cbranch_execz .LBB17_9
; %bb.8:
	v_lshlrev_b32_e32 v3, 2, v6
	ds_read_b32 v3, v3
.LBB17_9:
	s_or_b64 exec, exec, s[20:21]
	s_waitcnt lgkmcnt(0)
	ds_bpermute_b32 v4, v7, v3
	v_max_f32_e32 v3, v3, v3
	v_lshlrev_b32_e32 v2, 2, v2
	v_and_b32_e32 v13, 0x100, v2
	s_lshl_b32 s27, s25, 2
	s_waitcnt lgkmcnt(0)
	v_max_f32_e32 v4, v4, v4
	v_max_f32_e32 v3, v3, v4
	ds_bpermute_b32 v14, v13, v3
	v_mov_b32_e32 v3, 0
	s_and_saveexec_b64 s[20:21], vcc
	s_cbranch_execz .LBB17_13
; %bb.10:
	s_load_dword s22, s[6:7], 0xc
	s_lshl_b64 s[28:29], s[14:15], 2
	s_lshl_b64 s[30:31], s[16:17], 2
	v_lshlrev_b32_e32 v2, 2, v0
	v_mov_b32_e32 v3, 0
	s_waitcnt lgkmcnt(0)
	s_and_b32 s15, s22, 0xffff
	s_add_u32 s17, s28, s30
	s_addc_u32 s22, s29, s31
	s_add_u32 s18, s18, s17
	s_addc_u32 s19, s19, s22
	s_mov_b32 s23, 0
	v_lshl_add_u64 v[4:5], s[18:19], 0, v[2:3]
	s_lshl_b32 s22, s15, 2
	v_add_u32_e32 v2, 16, v2
	s_mov_b64 s[18:19], 0
	s_mov_b32 s17, 0x3fb8aa3b
	s_mov_b32 s28, 0xc2ce8ed0
	;; [unrolled: 1-line block ×3, first 2 shown]
	v_mov_b32_e32 v15, 0x7f800000
	v_mov_b32_e32 v16, v0
.LBB17_11:                              ; =>This Inner Loop Header: Depth=1
	global_load_dword v17, v[4:5], off
	ds_read_b32 v18, v2
	v_add_u32_e32 v16, s15, v16
	v_cmp_le_i32_e32 vcc, s25, v16
	s_or_b64 s[18:19], vcc, s[18:19]
	v_add_u32_e32 v19, s27, v2
	s_waitcnt lgkmcnt(0)
	v_sub_f32_e32 v18, v18, v14
	v_mul_f32_e32 v20, 0x3fb8aa3b, v18
	v_fma_f32 v21, v18, s17, -v20
	v_rndne_f32_e32 v22, v20
	v_fmac_f32_e32 v21, 0x32a5705f, v18
	v_sub_f32_e32 v20, v20, v22
	v_add_f32_e32 v20, v20, v21
	v_cvt_i32_f32_e32 v22, v22
	v_exp_f32_e32 v20, v20
	v_cmp_ngt_f32_e32 vcc, s28, v18
	v_lshl_add_u64 v[4:5], v[4:5], 0, s[22:23]
	v_add_u32_e32 v2, s22, v2
	v_ldexp_f32 v20, v20, v22
	v_cndmask_b32_e32 v20, 0, v20, vcc
	v_cmp_nlt_f32_e32 vcc, s29, v18
	s_nop 1
	v_cndmask_b32_e32 v18, v15, v20, vcc
	s_waitcnt vmcnt(0)
	v_mul_f32_e32 v20, v17, v18
	v_fmac_f32_e32 v3, v17, v18
	ds_write_b32 v19, v20
	s_andn2_b64 exec, exec, s[18:19]
	s_cbranch_execnz .LBB17_11
; %bb.12:
	s_or_b64 exec, exec, s[18:19]
.LBB17_13:
	s_or_b64 exec, exec, s[20:21]
	ds_bpermute_b32 v1, v1, v3
	s_waitcnt lgkmcnt(0)
	s_barrier
	v_add_f32_e32 v1, v3, v1
	ds_bpermute_b32 v2, v8, v1
	s_waitcnt lgkmcnt(0)
	v_add_f32_e32 v1, v1, v2
	ds_bpermute_b32 v2, v9, v1
	s_waitcnt lgkmcnt(0)
	;; [unrolled: 3-line block ×5, first 2 shown]
	v_add_f32_e32 v1, v1, v2
	s_and_saveexec_b64 s[18:19], s[0:1]
	s_cbranch_execz .LBB17_15
; %bb.14:
	v_lshlrev_b32_e32 v2, 2, v10
	ds_write_b32 v2, v1 offset:8
.LBB17_15:
	s_or_b64 exec, exec, s[18:19]
	s_waitcnt lgkmcnt(0)
	s_barrier
	s_and_saveexec_b64 s[0:1], s[4:5]
	s_cbranch_execz .LBB17_17
; %bb.16:
	v_lshlrev_b32_e32 v1, 2, v6
	ds_read_b32 v1, v1 offset:8
.LBB17_17:
	s_or_b64 exec, exec, s[0:1]
	s_waitcnt lgkmcnt(0)
	ds_bpermute_b32 v2, v7, v1
	s_movk_i32 s0, 0x100
	v_cmp_gt_u32_e32 vcc, s0, v0
	s_waitcnt lgkmcnt(0)
	v_add_f32_e32 v1, v1, v2
	ds_bpermute_b32 v1, v13, v1
	s_and_saveexec_b64 s[4:5], vcc
	s_cbranch_execz .LBB17_23
; %bb.18:
	s_waitcnt lgkmcnt(0)
	v_add_f32_e32 v1, 0x358637bd, v1
	v_div_scale_f32 v2, s[0:1], v1, v1, 1.0
	s_lshl_b32 s0, s14, 8
	s_lshl_b32 s14, s26, 8
	;; [unrolled: 1-line block ×3, first 2 shown]
	s_ashr_i32 s15, s14, 31
	s_ashr_i32 s1, s0, 31
	;; [unrolled: 1-line block ×3, first 2 shown]
	s_lshl_b64 s[14:15], s[14:15], 2
	v_rcp_f32_e32 v3, v2
	s_add_u32 s18, s10, s14
	s_addc_u32 s19, s11, s15
	s_lshl_b32 s14, s2, 8
	s_ashr_i32 s15, s14, 31
	s_lshl_b64 s[14:15], s[14:15], 2
	v_fma_f32 v5, -v2, v3, 1.0
	s_add_u32 s14, s18, s14
	v_div_scale_f32 v4, vcc, 1.0, v1, 1.0
	v_fmac_f32_e32 v3, v5, v3
	s_addc_u32 s15, s19, s15
	s_add_i32 s22, s27, 16
	v_mul_f32_e32 v5, v4, v3
	s_cmp_gt_i32 s24, 0
	v_fma_f32 v6, -v2, v5, v4
	s_cselect_b64 s[18:19], -1, 0
	s_max_i32 s23, s25, 1
	s_lshl_b64 s[0:1], s[0:1], 2
	s_lshl_b64 s[16:17], s[16:17], 2
	v_fmac_f32_e32 v5, v6, v3
	s_add_u32 s0, s0, s16
	v_fma_f32 v2, -v2, v5, v4
	s_addc_u32 s1, s1, s17
	v_div_fmas_f32 v2, v2, v3, v5
	s_add_u32 s0, s8, s0
	v_div_fixup_f32 v1, v2, v1, 1.0
	v_lshlrev_b32_e32 v2, 2, v0
	v_mov_b32_e32 v3, 0
	s_addc_u32 s1, s9, s1
	v_lshl_add_u64 v[4:5], s[0:1], 0, v[2:3]
	v_cndmask_b32_e64 v2, 0, 1, s[18:19]
	s_mov_b64 s[16:17], 0
	v_cmp_ne_u32_e64 s[0:1], 1, v2
	s_mov_b64 s[18:19], 0x400
	s_mov_b64 s[20:21], 0x200
	s_movk_i32 s24, 0x7f
	v_mov_b32_e32 v2, v0
	s_branch .LBB17_20
.LBB17_19:                              ;   in Loop: Header=BB17_20 Depth=1
	v_lshl_add_u64 v[6:7], v[2:3], 2, s[14:15]
	global_store_dword v[6:7], v8, off
	v_add_u32_e32 v6, 0x80, v2
	v_cmp_lt_u32_e32 vcc, s24, v2
	v_lshl_add_u64 v[4:5], v[4:5], 0, s[20:21]
	s_or_b64 s[16:17], vcc, s[16:17]
	v_mov_b32_e32 v2, v6
	s_andn2_b64 exec, exec, s[16:17]
	s_cbranch_execz .LBB17_23
.LBB17_20:                              ; =>This Loop Header: Depth=1
                                        ;     Child Loop BB17_22 Depth 2
	s_and_b64 vcc, exec, s[0:1]
	v_mov_b32_e32 v8, 0
	s_cbranch_vccnz .LBB17_19
; %bb.21:                               ;   in Loop: Header=BB17_20 Depth=1
	v_mov_b32_e32 v8, 0
	s_mov_b32 s25, s22
	v_mov_b64_e32 v[6:7], v[4:5]
	s_mov_b32 s26, s23
.LBB17_22:                              ;   Parent Loop BB17_20 Depth=1
                                        ; =>  This Inner Loop Header: Depth=2
	global_load_dword v9, v[6:7], off
	v_mov_b32_e32 v10, s25
	ds_read_b32 v10, v10
	s_add_i32 s26, s26, -1
	s_add_i32 s25, s25, 4
	v_lshl_add_u64 v[6:7], v[6:7], 0, s[18:19]
	s_cmp_eq_u32 s26, 0
	s_waitcnt vmcnt(0) lgkmcnt(0)
	v_mul_f32_e32 v9, v9, v10
	v_fmac_f32_e32 v8, v1, v9
	s_cbranch_scc0 .LBB17_22
	s_branch .LBB17_19
.LBB17_23:
	s_or_b64 exec, exec, s[4:5]
	s_mov_b64 s[4:5], 0
.LBB17_24:
	s_and_b64 vcc, exec, s[4:5]
	s_cbranch_vccz .LBB17_33
; %bb.25:
	s_movk_i32 s0, 0x100
	v_cmp_gt_u32_e32 vcc, s0, v0
	s_and_saveexec_b64 s[4:5], vcc
	s_cbranch_execz .LBB17_33
; %bb.26:
	s_mul_i32 s13, s13, s12
	s_lshl_b32 s4, s13, 8
	s_ashr_i32 s5, s4, 31
	s_lshl_b64 s[4:5], s[4:5], 2
	s_add_u32 s1, s10, s4
	s_addc_u32 s10, s11, s5
	s_lshl_b32 s4, s2, 8
	s_ashr_i32 s5, s4, 31
	s_lshl_b64 s[4:5], s[4:5], 2
	s_add_u32 s4, s1, s4
	s_mul_i32 s1, s3, s13
	s_addc_u32 s5, s10, s5
	s_lshl_b32 s10, s1, 8
	s_ashr_i32 s11, s10, 31
	s_lshl_b64 s[10:11], s[10:11], 2
	s_add_u32 s1, s8, s10
	s_mul_i32 s2, s2, s3
	s_load_dword s6, s[6:7], 0xc
	s_addc_u32 s8, s9, s11
	s_lshl_b32 s2, s2, 8
	s_ashr_i32 s3, s2, 31
	s_lshl_b64 s[2:3], s[2:3], 2
	s_add_u32 s2, s1, s2
	s_addc_u32 s3, s8, s3
	s_waitcnt lgkmcnt(0)
	s_and_b32 s8, s6, 0xffff
	v_cvt_f32_u32_e32 v1, s8
	v_add_u32_e32 v2, s8, v0
	v_mov_b32_e32 v4, s8
	v_cmp_gt_u32_e32 vcc, s0, v2
	v_rcp_iflag_f32_e32 v1, v1
	s_cmp_eq_u32 s8, 1
	v_max_u32_e32 v3, 0x100, v2
	v_addc_co_u32_e64 v2, s[0:1], v0, v4, vcc
	v_mul_f32_e32 v1, 0x4f7ffffe, v1
	v_cvt_u32_f32_e32 v1, v1
	s_cselect_b64 s[6:7], -1, 0
	s_sub_i32 s0, 0, s8
	v_sub_u32_e32 v2, v3, v2
	v_mul_lo_u32 v3, s0, v1
	v_mul_hi_u32 v3, v1, v3
	v_add_u32_e32 v1, v1, v3
	v_mul_hi_u32 v1, v2, v1
	v_mul_lo_u32 v3, v1, s8
	v_sub_u32_e32 v2, v2, v3
	v_add_u32_e32 v3, 1, v1
	v_cmp_le_u32_e64 s[0:1], s8, v2
	s_nop 1
	v_cndmask_b32_e64 v1, v1, v3, s[0:1]
	v_subrev_u32_e32 v3, s8, v2
	v_cndmask_b32_e64 v2, v2, v3, s[0:1]
	v_add_u32_e32 v3, 1, v1
	v_cmp_le_u32_e64 s[0:1], s8, v2
	s_nop 1
	v_cndmask_b32_e64 v1, v1, v3, s[0:1]
	v_addc_co_u32_e32 v1, vcc, 1, v1, vcc
	v_cmp_lt_u32_e32 vcc, 3, v1
	s_and_b64 s[10:11], vcc, s[6:7]
	s_mov_b64 s[6:7], -1
	s_and_saveexec_b64 s[0:1], s[10:11]
	s_cbranch_execz .LBB17_30
; %bb.27:
	v_and_b32_e32 v4, -4, v1
	s_mov_b64 s[6:7], 0
	v_mov_b32_e32 v3, 0
	v_mov_b32_e32 v2, v0
	;; [unrolled: 1-line block ×3, first 2 shown]
.LBB17_28:                              ; =>This Inner Loop Header: Depth=1
	v_lshlrev_b64 v[10:11], 2, v[2:3]
	v_lshl_add_u64 v[6:7], s[2:3], 0, v[10:11]
	global_load_dwordx4 v[6:9], v[6:7], off
	v_add_u32_e32 v5, -4, v5
	v_cmp_eq_u32_e32 vcc, 0, v5
	v_add_u32_e32 v2, 4, v2
	v_lshl_add_u64 v[10:11], s[4:5], 0, v[10:11]
	s_or_b64 s[6:7], vcc, s[6:7]
	s_waitcnt vmcnt(0)
	global_store_dwordx4 v[10:11], v[6:9], off
	s_andn2_b64 exec, exec, s[6:7]
	s_cbranch_execnz .LBB17_28
; %bb.29:
	s_or_b64 exec, exec, s[6:7]
	v_cmp_ne_u32_e32 vcc, v1, v4
	v_add_u32_e32 v0, v0, v4
	s_orn2_b64 s[6:7], vcc, exec
.LBB17_30:
	s_or_b64 exec, exec, s[0:1]
	s_and_b64 exec, exec, s[6:7]
	s_cbranch_execz .LBB17_33
; %bb.31:
	v_mov_b32_e32 v1, 0
	s_mov_b32 s1, 0
	v_lshlrev_b64 v[2:3], 2, v[0:1]
	s_lshl_b32 s0, s8, 2
	s_mov_b64 s[6:7], 0
	s_movk_i32 s9, 0xff
.LBB17_32:                              ; =>This Inner Loop Header: Depth=1
	v_lshl_add_u64 v[4:5], s[2:3], 0, v[2:3]
	global_load_dword v1, v[4:5], off
	v_add_u32_e32 v0, s8, v0
	v_cmp_lt_u32_e32 vcc, s9, v0
	v_lshl_add_u64 v[4:5], s[4:5], 0, v[2:3]
	v_lshl_add_u64 v[2:3], v[2:3], 0, s[0:1]
	s_or_b64 s[6:7], vcc, s[6:7]
	s_waitcnt vmcnt(0)
	global_store_dword v[4:5], v1, off
	s_andn2_b64 exec, exec, s[6:7]
	s_cbranch_execnz .LBB17_32
.LBB17_33:
	s_endpgm
	.section	.rodata,"a",@progbits
	.p2align	6, 0x0
	.amdhsa_kernel _ZN4vllm32paged_attention_v2_reduce_kernelIfLi256ELi128ELi512EEEvPT_PKfS4_PKS1_PKii
		.amdhsa_group_segment_fixed_size 16
		.amdhsa_private_segment_fixed_size 0
		.amdhsa_kernarg_size 304
		.amdhsa_user_sgpr_count 2
		.amdhsa_user_sgpr_dispatch_ptr 0
		.amdhsa_user_sgpr_queue_ptr 0
		.amdhsa_user_sgpr_kernarg_segment_ptr 1
		.amdhsa_user_sgpr_dispatch_id 0
		.amdhsa_user_sgpr_kernarg_preload_length 0
		.amdhsa_user_sgpr_kernarg_preload_offset 0
		.amdhsa_user_sgpr_private_segment_size 0
		.amdhsa_uses_dynamic_stack 0
		.amdhsa_enable_private_segment 0
		.amdhsa_system_sgpr_workgroup_id_x 1
		.amdhsa_system_sgpr_workgroup_id_y 1
		.amdhsa_system_sgpr_workgroup_id_z 0
		.amdhsa_system_sgpr_workgroup_info 0
		.amdhsa_system_vgpr_workitem_id 0
		.amdhsa_next_free_vgpr 23
		.amdhsa_next_free_sgpr 32
		.amdhsa_accum_offset 24
		.amdhsa_reserve_vcc 1
		.amdhsa_float_round_mode_32 0
		.amdhsa_float_round_mode_16_64 0
		.amdhsa_float_denorm_mode_32 3
		.amdhsa_float_denorm_mode_16_64 3
		.amdhsa_dx10_clamp 1
		.amdhsa_ieee_mode 1
		.amdhsa_fp16_overflow 0
		.amdhsa_tg_split 0
		.amdhsa_exception_fp_ieee_invalid_op 0
		.amdhsa_exception_fp_denorm_src 0
		.amdhsa_exception_fp_ieee_div_zero 0
		.amdhsa_exception_fp_ieee_overflow 0
		.amdhsa_exception_fp_ieee_underflow 0
		.amdhsa_exception_fp_ieee_inexact 0
		.amdhsa_exception_int_div_zero 0
	.end_amdhsa_kernel
	.section	.text._ZN4vllm32paged_attention_v2_reduce_kernelIfLi256ELi128ELi512EEEvPT_PKfS4_PKS1_PKii,"axG",@progbits,_ZN4vllm32paged_attention_v2_reduce_kernelIfLi256ELi128ELi512EEEvPT_PKfS4_PKS1_PKii,comdat
.Lfunc_end17:
	.size	_ZN4vllm32paged_attention_v2_reduce_kernelIfLi256ELi128ELi512EEEvPT_PKfS4_PKS1_PKii, .Lfunc_end17-_ZN4vllm32paged_attention_v2_reduce_kernelIfLi256ELi128ELi512EEEvPT_PKfS4_PKS1_PKii
                                        ; -- End function
	.section	.AMDGPU.csdata,"",@progbits
; Kernel info:
; codeLenInByte = 2192
; NumSgprs: 38
; NumVgprs: 23
; NumAgprs: 0
; TotalNumVgprs: 23
; ScratchSize: 0
; MemoryBound: 0
; FloatMode: 240
; IeeeMode: 1
; LDSByteSize: 16 bytes/workgroup (compile time only)
; SGPRBlocks: 4
; VGPRBlocks: 2
; NumSGPRsForWavesPerEU: 38
; NumVGPRsForWavesPerEU: 23
; AccumOffset: 24
; Occupancy: 8
; WaveLimiterHint : 0
; COMPUTE_PGM_RSRC2:SCRATCH_EN: 0
; COMPUTE_PGM_RSRC2:USER_SGPR: 2
; COMPUTE_PGM_RSRC2:TRAP_HANDLER: 0
; COMPUTE_PGM_RSRC2:TGID_X_EN: 1
; COMPUTE_PGM_RSRC2:TGID_Y_EN: 1
; COMPUTE_PGM_RSRC2:TGID_Z_EN: 0
; COMPUTE_PGM_RSRC2:TIDIG_COMP_CNT: 0
; COMPUTE_PGM_RSRC3_GFX90A:ACCUM_OFFSET: 5
; COMPUTE_PGM_RSRC3_GFX90A:TG_SPLIT: 0
	.section	.text._ZN4vllm25paged_attention_v2_kernelIffLi32ELi8ELi128ELNS_18Fp8KVCacheDataTypeE0ELb0ELi512EEEvPfS2_PT_PKS3_PKT0_S9_ifPKiSB_iPKfiiiSD_SD_iiiii,"axG",@progbits,_ZN4vllm25paged_attention_v2_kernelIffLi32ELi8ELi128ELNS_18Fp8KVCacheDataTypeE0ELb0ELi512EEEvPfS2_PT_PKS3_PKT0_S9_ifPKiSB_iPKfiiiSD_SD_iiiii,comdat
	.protected	_ZN4vllm25paged_attention_v2_kernelIffLi32ELi8ELi128ELNS_18Fp8KVCacheDataTypeE0ELb0ELi512EEEvPfS2_PT_PKS3_PKT0_S9_ifPKiSB_iPKfiiiSD_SD_iiiii ; -- Begin function _ZN4vllm25paged_attention_v2_kernelIffLi32ELi8ELi128ELNS_18Fp8KVCacheDataTypeE0ELb0ELi512EEEvPfS2_PT_PKS3_PKT0_S9_ifPKiSB_iPKfiiiSD_SD_iiiii
	.globl	_ZN4vllm25paged_attention_v2_kernelIffLi32ELi8ELi128ELNS_18Fp8KVCacheDataTypeE0ELb0ELi512EEEvPfS2_PT_PKS3_PKT0_S9_ifPKiSB_iPKfiiiSD_SD_iiiii
	.p2align	8
	.type	_ZN4vllm25paged_attention_v2_kernelIffLi32ELi8ELi128ELNS_18Fp8KVCacheDataTypeE0ELb0ELi512EEEvPfS2_PT_PKS3_PKT0_S9_ifPKiSB_iPKfiiiSD_SD_iiiii,@function
_ZN4vllm25paged_attention_v2_kernelIffLi32ELi8ELi128ELNS_18Fp8KVCacheDataTypeE0ELb0ELi512EEEvPfS2_PT_PKS3_PKT0_S9_ifPKiSB_iPKfiiiSD_SD_iiiii: ; @_ZN4vllm25paged_attention_v2_kernelIffLi32ELi8ELi128ELNS_18Fp8KVCacheDataTypeE0ELb0ELi512EEEvPfS2_PT_PKS3_PKT0_S9_ifPKiSB_iPKfiiiSD_SD_iiiii
; %bb.0:
	s_load_dwordx2 s[6:7], s[0:1], 0x40
	s_mov_b32 s24, s3
	s_ashr_i32 s25, s3, 31
	s_lshl_b64 s[8:9], s[24:25], 2
	s_waitcnt lgkmcnt(0)
	s_add_u32 s6, s6, s8
	s_addc_u32 s7, s7, s9
	s_load_dword s25, s[6:7], 0x0
	s_lshl_b32 s33, s4, 9
	s_waitcnt lgkmcnt(0)
	s_cmp_ge_i32 s33, s25
	s_cbranch_scc1 .LBB18_52
; %bb.1:
	s_load_dword s5, s[0:1], 0x90
	s_load_dwordx2 s[10:11], s[0:1], 0x30
	s_waitcnt lgkmcnt(0)
	s_abs_i32 s7, s5
	s_abs_i32 s3, s10
	v_cvt_f32_u32_e32 v1, s3
	s_sub_i32 s8, 0, s3
	s_xor_b32 s6, s5, s10
	s_ashr_i32 s6, s6, 31
	v_rcp_iflag_f32_e32 v1, v1
	s_nop 0
	v_mul_f32_e32 v1, 0x4f7ffffe, v1
	v_cvt_u32_f32_e32 v1, v1
	s_nop 0
	v_readfirstlane_b32 s9, v1
	s_mul_i32 s8, s8, s9
	s_mul_hi_u32 s8, s9, s8
	s_add_i32 s9, s9, s8
	s_mul_hi_u32 s8, s7, s9
	s_mul_i32 s9, s8, s3
	s_sub_i32 s7, s7, s9
	s_add_i32 s10, s8, 1
	s_sub_i32 s9, s7, s3
	s_cmp_ge_u32 s7, s3
	s_cselect_b32 s8, s10, s8
	s_cselect_b32 s7, s9, s7
	s_add_i32 s9, s8, 1
	s_cmp_ge_u32 s7, s3
	s_cselect_b32 s3, s9, s8
	s_xor_b32 s3, s3, s6
	s_sub_i32 s12, s3, s6
	s_abs_i32 s8, s12
	v_cvt_f32_u32_e32 v1, s8
	s_load_dwordx2 s[6:7], s[0:1], 0x50
	s_sub_i32 s3, 0, s8
	s_abs_i32 s9, s2
	v_rcp_iflag_f32_e32 v1, v1
	s_mov_b32 s10, 0
	v_mul_f32_e32 v1, 0x4f7ffffe, v1
	v_cvt_u32_f32_e32 v1, v1
	s_nop 0
	v_readfirstlane_b32 s13, v1
	s_mul_i32 s3, s3, s13
	s_mul_hi_u32 s3, s13, s3
	s_add_i32 s13, s13, s3
	s_waitcnt lgkmcnt(0)
	s_cmp_eq_u64 s[6:7], 0
	s_mul_hi_u32 s16, s9, s13
	s_cbranch_scc1 .LBB18_3
; %bb.2:
	s_ashr_i32 s3, s2, 31
	s_lshl_b64 s[14:15], s[2:3], 2
	s_add_u32 s6, s6, s14
	s_addc_u32 s7, s7, s15
	s_load_dword s10, s[6:7], 0x0
.LBB18_3:
	s_ashr_i32 s18, s12, 31
	s_load_dwordx4 s[12:15], s[0:1], 0x58
	s_ashr_i32 s17, s2, 31
	v_and_b32_e32 v6, 7, v0
	s_lshl_b32 s20, s2, 5
	v_cmp_gt_u32_e32 vcc, 32, v0
	v_lshlrev_b32_e32 v1, 2, v0
	s_and_saveexec_b64 s[6:7], vcc
	s_cbranch_execz .LBB18_5
; %bb.4:
	s_load_dwordx2 s[22:23], s[0:1], 0x18
	s_waitcnt lgkmcnt(0)
	s_mul_i32 s26, s24, s12
	s_ashr_i32 s27, s26, 31
	s_lshl_b64 s[26:27], s[26:27], 2
	v_lshrrev_b32_e32 v3, 1, v0
	s_add_u32 s3, s22, s26
	s_addc_u32 s12, s23, s27
	s_ashr_i32 s21, s20, 31
	s_lshl_b64 s[22:23], s[20:21], 2
	s_add_u32 s22, s3, s22
	s_addc_u32 s23, s12, s23
	global_load_dword v2, v1, s[22:23]
	v_and_b32_e32 v3, 0x1fc, v3
	v_lshl_add_u32 v3, v6, 4, v3
	s_waitcnt vmcnt(0)
	ds_write_b32 v3, v2
.LBB18_5:
	s_or_b64 exec, exec, s[6:7]
	s_add_i32 s3, s25, 7
	s_ashr_i32 s6, s3, 31
	s_lshr_b32 s6, s6, 29
	s_add_i32 s3, s3, s6
	s_ashr_i32 s40, s3, 3
	s_lshl_b32 s3, s4, 6
	s_mul_i32 s7, s16, s8
	s_add_i32 s6, s3, 64
	s_sub_i32 s7, s9, s7
	s_min_i32 s21, s6, s40
	s_xor_b32 s6, s17, s18
	s_add_i32 s9, s16, 1
	s_waitcnt lgkmcnt(0)
	s_sub_i32 s12, s7, s8
	s_cmp_ge_u32 s7, s8
	s_cselect_b32 s9, s9, s16
	s_cselect_b32 s7, s12, s7
	s_add_i32 s12, s9, 1
	s_cmp_ge_u32 s7, s8
	s_load_dwordx2 s[26:27], s[0:1], 0x38
	s_load_dword s8, s[0:1], 0x48
	v_lshrrev_b32_e32 v16, 6, v0
	s_cselect_b32 s7, s12, s9
	s_xor_b32 s7, s7, s6
	v_or_b32_e32 v10, s3, v16
	s_waitcnt lgkmcnt(0)
	s_mul_i32 s28, s24, s8
	s_sub_i32 s15, s7, s6
	s_ashr_i32 s29, s28, 31
	v_cmp_gt_i32_e64 s[6:7], s21, v10
	v_cmp_le_i32_e32 vcc, s21, v10
	v_mbcnt_lo_u32_b32 v7, -1, 0
	s_barrier
	s_waitcnt lgkmcnt(0)
                                        ; implicit-def: $sgpr36
                                        ; implicit-def: $vgpr12
                                        ; implicit-def: $vgpr13
	s_and_saveexec_b64 s[8:9], vcc
	s_xor_b64 s[8:9], exec, s[8:9]
; %bb.6:
	v_mbcnt_hi_u32_b32 v12, -1, v7
	v_and_b32_e32 v2, 64, v12
	v_add_u32_e32 v13, 64, v2
	s_mov_b32 s36, 0xff7fffff
                                        ; implicit-def: $vgpr6
                                        ; implicit-def: $vgpr7
; %bb.7:
	s_or_saveexec_b64 s[34:35], s[8:9]
	s_load_dwordx4 s[16:19], s[0:1], 0x0
	s_load_dwordx2 s[22:23], s[0:1], 0x10
	s_load_dwordx2 s[30:31], s[0:1], 0x28
	s_load_dword s12, s[0:1], 0x98
	v_mov_b32_e32 v14, s36
	s_mul_i32 s14, s15, s14
	v_ashrrev_i32_e32 v11, 31, v10
	s_xor_b64 exec, exec, s[34:35]
	s_cbranch_execz .LBB18_13
; %bb.8:
	v_mbcnt_hi_u32_b32 v12, -1, v7
	s_load_dwordx2 s[0:1], s[0:1], 0x20
	v_and_b32_e32 v7, 64, v12
	v_add_u32_e32 v13, 64, v7
	v_xor_b32_e32 v7, 4, v12
	v_cmp_lt_i32_e32 vcc, v7, v13
	s_ashr_i32 s15, s14, 31
	s_lshl_b64 s[8:9], s[14:15], 2
	v_cndmask_b32_e32 v7, v12, v7, vcc
	v_lshlrev_b32_e32 v15, 2, v7
	v_xor_b32_e32 v7, 2, v12
	v_bfe_u32 v14, v0, 3, 3
	s_waitcnt lgkmcnt(0)
	s_add_u32 s0, s0, s8
	v_cmp_lt_i32_e32 vcc, v7, v13
	s_addc_u32 s1, s1, s9
	v_lshlrev_b32_e32 v8, 4, v14
	v_mov_b32_e32 v9, 0
	v_and_b32_e32 v4, 3, v0
	v_cndmask_b32_e32 v7, v12, v7, vcc
	v_lshl_add_u64 v[2:3], s[0:1], 0, v[8:9]
	v_lshlrev_b32_e32 v8, 2, v4
	v_lshlrev_b32_e32 v17, 2, v7
	v_xor_b32_e32 v7, 1, v12
	v_lshl_add_u64 v[20:21], v[2:3], 0, v[8:9]
	v_lshlrev_b32_e32 v2, 4, v6
	v_cmp_lt_i32_e32 vcc, v7, v13
	ds_read_b128 v[2:5], v2
	s_sub_i32 s15, 1, s25
	v_cndmask_b32_e32 v7, v12, v7, vcc
	v_cmp_eq_u32_e32 vcc, 0, v6
	v_lshlrev_b32_e32 v6, 5, v0
	v_and_b32_e32 v8, 0x80, v6
	s_lshl_b64 s[8:9], s[28:29], 2
	v_lshlrev_b32_e32 v22, 2, v14
	v_lshlrev_b32_e32 v18, 2, v7
	v_lshl_add_u64 v[6:7], v[20:21], 0, v[8:9]
	v_lshlrev_b32_e32 v8, 3, v16
	s_add_u32 s8, s26, s8
	v_add3_u32 v19, s33, v8, v14
	v_lshl_or_b32 v8, v16, 5, v22
	s_addc_u32 s9, s27, s9
	s_mov_b32 s41, s13
	v_cmp_neq_f32_e64 s[0:1], s10, 0
	v_add_u32_e32 v20, 0x90, v8
	v_lshl_add_u64 v[8:9], v[10:11], 2, s[8:9]
	s_mov_b64 s[36:37], 0
	v_mov_b32_e32 v14, 0xff7fffff
	v_mov_b32_e32 v21, v10
	s_branch .LBB18_10
.LBB18_9:                               ;   in Loop: Header=BB18_10 Depth=1
	s_or_b64 exec, exec, s[38:39]
	v_add_u32_e32 v21, 2, v21
	v_cmp_le_i32_e64 s[8:9], s21, v21
	v_add_u32_e32 v19, 16, v19
	v_add_u32_e32 v20, 64, v20
	s_or_b64 s[36:37], s[8:9], s[36:37]
	v_lshl_add_u64 v[8:9], v[8:9], 0, 8
	s_andn2_b64 exec, exec, s[36:37]
	s_cbranch_execz .LBB18_12
.LBB18_10:                              ; =>This Inner Loop Header: Depth=1
	global_load_dword v22, v[8:9], off
	s_waitcnt vmcnt(0) lgkmcnt(0)
	v_mad_i64_i32 v[22:23], s[8:9], v22, s41, 0
	v_lshl_add_u64 v[22:23], v[22:23], 2, v[6:7]
	global_load_dword v24, v[22:23], off offset:256
	global_load_dword v25, v[22:23], off
	global_load_dword v26, v[22:23], off offset:512
	global_load_dword v27, v[22:23], off offset:768
	s_waitcnt vmcnt(3) lgkmcnt(0)
	v_mul_f32_e32 v22, v3, v24
	s_waitcnt vmcnt(2)
	v_fmac_f32_e32 v22, v2, v25
	s_waitcnt vmcnt(1)
	v_fmac_f32_e32 v22, v4, v26
	s_waitcnt vmcnt(0)
	v_fmac_f32_e32 v22, v5, v27
	ds_bpermute_b32 v23, v15, v22
	s_waitcnt lgkmcnt(0)
	v_add_f32_e32 v22, v22, v23
	ds_bpermute_b32 v23, v17, v22
	s_waitcnt lgkmcnt(0)
	v_add_f32_e32 v22, v22, v23
	ds_bpermute_b32 v23, v18, v22
	s_and_saveexec_b64 s[38:39], vcc
	s_cbranch_execz .LBB18_9
; %bb.11:                               ;   in Loop: Header=BB18_10 Depth=1
	v_add_u32_e32 v24, s15, v19
	v_cvt_f32_i32_e32 v24, v24
	s_waitcnt lgkmcnt(0)
	v_add_f32_e32 v22, v22, v23
	v_cmp_gt_i32_e64 s[8:9], s25, v19
	v_max_f32_e32 v23, v14, v14
	v_mul_f32_e32 v24, s10, v24
	v_cndmask_b32_e64 v24, 0, v24, s[0:1]
	v_fmac_f32_e32 v24, s11, v22
	v_cndmask_b32_e64 v22, 0, v24, s[8:9]
	ds_write_b32 v20, v22
	v_max_f32_e32 v22, v23, v24
	v_cndmask_b32_e64 v14, v14, v22, s[8:9]
	s_branch .LBB18_9
.LBB18_12:
	s_or_b64 exec, exec, s[36:37]
.LBB18_13:
	s_or_b64 exec, exec, s[34:35]
	v_xor_b32_e32 v2, 32, v12
	v_cmp_lt_i32_e32 vcc, v2, v13
	v_xor_b32_e32 v5, 16, v12
	v_max_f32_e32 v4, v14, v14
	v_cndmask_b32_e32 v2, v12, v2, vcc
	v_lshlrev_b32_e32 v3, 2, v2
	ds_bpermute_b32 v2, v3, v14
	v_cmp_lt_i32_e32 vcc, v5, v13
	v_and_b32_e32 v18, 63, v0
	s_waitcnt lgkmcnt(0)
	v_max_f32_e32 v2, v2, v2
	v_max_f32_e32 v2, v4, v2
	v_cndmask_b32_e32 v4, v12, v5, vcc
	v_lshlrev_b32_e32 v6, 2, v4
	ds_bpermute_b32 v4, v6, v2
	v_xor_b32_e32 v5, 8, v12
	v_cmp_lt_i32_e32 vcc, v5, v13
	s_waitcnt lgkmcnt(0)
	v_max_f32_e32 v4, v4, v4
	v_max_f32_e32 v4, v2, v4
	v_cndmask_b32_e32 v2, v12, v5, vcc
	v_lshlrev_b32_e32 v7, 2, v2
	ds_bpermute_b32 v5, v7, v4
	v_cmp_eq_u32_e32 vcc, 0, v18
	v_lshlrev_b32_e32 v2, 2, v16
	s_and_saveexec_b64 s[0:1], vcc
	s_cbranch_execz .LBB18_15
; %bb.14:
	s_waitcnt lgkmcnt(0)
	v_max_f32_e32 v5, v5, v5
	v_max_f32_e32 v4, v4, v4
	;; [unrolled: 1-line block ×3, first 2 shown]
	ds_write_b32 v2, v4 offset:128
.LBB18_15:
	s_or_b64 exec, exec, s[0:1]
	v_cmp_gt_u32_e64 s[0:1], 2, v18
	v_mov_b32_e32 v4, 0xff7fffff
	s_waitcnt lgkmcnt(0)
	v_lshlrev_b32_e32 v5, 2, v18
	s_barrier
	s_and_saveexec_b64 s[8:9], s[0:1]
	s_cbranch_execz .LBB18_17
; %bb.16:
	ds_read_b32 v4, v5 offset:128
.LBB18_17:
	s_or_b64 exec, exec, s[8:9]
	v_xor_b32_e32 v8, 1, v12
	v_cmp_lt_i32_e64 s[8:9], v8, v13
	s_sub_i32 s3, s21, s3
	s_lshl_b32 s3, s3, 3
	v_cndmask_b32_e64 v8, v12, v8, s[8:9]
	v_lshlrev_b32_e32 v19, 2, v8
	s_waitcnt lgkmcnt(0)
	ds_bpermute_b32 v8, v19, v4
	v_max_f32_e32 v4, v4, v4
	s_add_i32 s3, s3, s33
	s_min_i32 s15, s3, s25
	s_sub_i32 s3, s15, s33
	s_waitcnt lgkmcnt(0)
	v_max_f32_e32 v8, v8, v8
	v_max_f32_e32 v4, v4, v8
	v_lshlrev_b32_e32 v8, 2, v12
	v_and_b32_e32 v8, 0xffffff00, v8
	ds_bpermute_b32 v4, v8, v4
	v_cmp_gt_i32_e64 s[8:9], s3, v0
	v_mov_b32_e32 v9, 0
	s_and_saveexec_b64 s[34:35], s[8:9]
	s_cbranch_execz .LBB18_21
; %bb.18:
	v_mov_b32_e32 v9, 0x90
	v_lshl_add_u32 v14, v0, 2, v9
	s_mov_b64 s[36:37], 0
	v_mov_b32_e32 v9, 0
	v_mov_b32_e32 v15, v0
.LBB18_19:                              ; =>This Inner Loop Header: Depth=1
	ds_read_b32 v17, v14
	v_add_u32_e32 v15, 0x80, v15
	v_cmp_le_i32_e64 s[10:11], s3, v15
	s_or_b64 s[36:37], s[10:11], s[36:37]
	s_waitcnt lgkmcnt(0)
	v_sub_f32_e32 v17, v17, v4
	v_mul_f32_e32 v17, 0x3fb8aa3b, v17
	v_exp_f32_e32 v17, v17
	ds_write_b32 v14, v17
	v_add_f32_e32 v9, v9, v17
	v_add_u32_e32 v14, 0x200, v14
	s_andn2_b64 exec, exec, s[36:37]
	s_cbranch_execnz .LBB18_19
; %bb.20:
	s_or_b64 exec, exec, s[36:37]
.LBB18_21:
	s_or_b64 exec, exec, s[34:35]
	ds_bpermute_b32 v3, v3, v9
	s_waitcnt lgkmcnt(0)
	v_add_f32_e32 v3, v9, v3
	ds_bpermute_b32 v6, v6, v3
	s_waitcnt lgkmcnt(0)
	v_add_f32_e32 v3, v3, v6
	ds_bpermute_b32 v6, v7, v3
	v_xor_b32_e32 v7, 4, v12
	v_cmp_lt_i32_e64 s[10:11], v7, v13
	s_waitcnt lgkmcnt(0)
	v_add_f32_e32 v3, v3, v6
	v_cndmask_b32_e64 v7, v12, v7, s[10:11]
	v_lshlrev_b32_e32 v7, 2, v7
	ds_bpermute_b32 v6, v7, v3
	v_xor_b32_e32 v7, 2, v12
	v_cmp_lt_i32_e64 s[10:11], v7, v13
	s_waitcnt lgkmcnt(0)
	v_add_f32_e32 v3, v3, v6
	v_cndmask_b32_e64 v7, v12, v7, s[10:11]
	v_lshlrev_b32_e32 v6, 2, v7
	ds_bpermute_b32 v6, v6, v3
	s_waitcnt lgkmcnt(0)
	v_add_f32_e32 v3, v3, v6
	ds_bpermute_b32 v6, v19, v3
	s_waitcnt lgkmcnt(0)
	v_add_f32_e32 v3, v3, v6
	s_and_saveexec_b64 s[10:11], vcc
	s_cbranch_execz .LBB18_23
; %bb.22:
	ds_write_b32 v2, v3 offset:136
.LBB18_23:
	s_or_b64 exec, exec, s[10:11]
	s_waitcnt lgkmcnt(0)
	s_barrier
	s_and_saveexec_b64 s[10:11], s[0:1]
	s_cbranch_execz .LBB18_25
; %bb.24:
	ds_read_b32 v3, v5 offset:136
.LBB18_25:
	s_or_b64 exec, exec, s[10:11]
	s_waitcnt lgkmcnt(0)
	ds_bpermute_b32 v2, v19, v3
	s_waitcnt lgkmcnt(0)
	v_add_f32_e32 v2, v3, v2
	ds_bpermute_b32 v5, v8, v2
	s_and_saveexec_b64 s[0:1], s[8:9]
	s_cbranch_execz .LBB18_38
; %bb.26:
	s_waitcnt lgkmcnt(0)
	v_add_f32_e32 v2, 0x358637bd, v5
	v_div_scale_f32 v3, s[8:9], v2, v2, 1.0
	v_rcp_f32_e32 v6, v3
	v_div_scale_f32 v7, vcc, 1.0, v2, 1.0
	s_movk_i32 s8, 0x7f
	v_fma_f32 v8, -v3, v6, 1.0
	v_fmac_f32_e32 v6, v8, v6
	v_mul_f32_e32 v8, v7, v6
	v_fma_f32 v9, -v3, v8, v7
	v_fmac_f32_e32 v8, v9, v6
	v_fma_f32 v3, -v3, v8, v7
	v_div_fmas_f32 v3, v3, v6, v8
	v_div_fixup_f32 v2, v3, v2, 1.0
	v_xad_u32 v3, v0, -1, s15
	v_subrev_u32_e32 v6, s33, v3
	v_cmp_lt_u32_e32 vcc, s8, v6
	s_mov_b64 s[10:11], -1
	v_mov_b32_e32 v3, v0
	s_and_saveexec_b64 s[8:9], vcc
	s_cbranch_execz .LBB18_35
; %bb.27:
	v_lshrrev_b32_e32 v6, 7, v6
	v_add_u32_e32 v8, -1, v6
	v_lshrrev_b32_e32 v7, 1, v8
	v_mov_b32_e32 v3, v2
	v_add_u32_e32 v7, 1, v7
	v_cmp_lt_u32_e32 vcc, 13, v8
	v_mov_b32_e32 v12, 0
	s_and_saveexec_b64 s[10:11], vcc
	s_cbranch_execz .LBB18_31
; %bb.28:
	v_mov_b32_e32 v9, 0x90
	v_and_b32_e32 v8, -8, v7
	v_lshl_add_u32 v9, v0, 2, v9
	s_mov_b32 s15, 0
	s_mov_b64 s[34:35], 0
.LBB18_29:                              ; =>This Inner Loop Header: Depth=1
	ds_read2st64_b32 v[12:13], v9 offset1:2
	ds_read2st64_b32 v[14:15], v9 offset0:4 offset1:6
	ds_read2st64_b32 v[20:21], v9 offset0:8 offset1:10
	;; [unrolled: 1-line block ×3, first 2 shown]
	v_add_u32_e32 v8, -8, v8
	s_waitcnt lgkmcnt(3)
	v_pk_mul_f32 v[12:13], v[2:3], v[12:13]
	s_waitcnt lgkmcnt(2)
	v_pk_mul_f32 v[14:15], v[2:3], v[14:15]
	ds_write2st64_b32 v9, v12, v13 offset1:2
	ds_write2st64_b32 v9, v14, v15 offset0:4 offset1:6
	ds_read2st64_b32 v[14:15], v9 offset0:16 offset1:18
	s_waitcnt lgkmcnt(4)
	v_pk_mul_f32 v[12:13], v[2:3], v[20:21]
	ds_write2st64_b32 v9, v12, v13 offset0:8 offset1:10
	s_waitcnt lgkmcnt(4)
	v_pk_mul_f32 v[12:13], v[2:3], v[22:23]
	ds_write2st64_b32 v9, v12, v13 offset0:12 offset1:14
	ds_read2st64_b32 v[12:13], v9 offset0:20 offset1:22
	s_waitcnt lgkmcnt(3)
	v_pk_mul_f32 v[14:15], v[2:3], v[14:15]
	ds_read2st64_b32 v[20:21], v9 offset0:24 offset1:26
	ds_write2st64_b32 v9, v14, v15 offset0:16 offset1:18
	ds_read2st64_b32 v[14:15], v9 offset0:28 offset1:30
	s_waitcnt lgkmcnt(3)
	v_pk_mul_f32 v[12:13], v[2:3], v[12:13]
	ds_write2st64_b32 v9, v12, v13 offset0:20 offset1:22
	s_waitcnt lgkmcnt(3)
	v_pk_mul_f32 v[12:13], v[2:3], v[20:21]
	ds_write2st64_b32 v9, v12, v13 offset0:24 offset1:26
	s_waitcnt lgkmcnt(2)
	v_pk_mul_f32 v[12:13], v[2:3], v[14:15]
	s_add_i32 s15, s15, 16
	v_cmp_eq_u32_e32 vcc, 0, v8
	ds_write2st64_b32 v9, v12, v13 offset0:28 offset1:30
	v_add_u32_e32 v9, 0x2000, v9
	s_or_b64 s[34:35], vcc, s[34:35]
	v_mov_b32_e32 v12, s15
	s_andn2_b64 exec, exec, s[34:35]
	s_cbranch_execnz .LBB18_29
; %bb.30:
	s_or_b64 exec, exec, s[34:35]
.LBB18_31:
	s_or_b64 exec, exec, s[10:11]
	v_and_b32_e32 v7, 7, v7
	v_cmp_ne_u32_e32 vcc, 0, v7
	s_and_saveexec_b64 s[10:11], vcc
	s_cbranch_execz .LBB18_34
; %bb.32:
	v_lshlrev_b32_e32 v8, 9, v12
	s_movk_i32 s15, 0x90
	v_add3_u32 v8, v8, v1, s15
	s_mov_b64 s[34:35], 0
.LBB18_33:                              ; =>This Inner Loop Header: Depth=1
	ds_read2st64_b32 v[12:13], v8 offset1:2
	v_add_u32_e32 v7, -1, v7
	v_cmp_eq_u32_e32 vcc, 0, v7
	s_or_b64 s[34:35], vcc, s[34:35]
	s_waitcnt lgkmcnt(0)
	v_pk_mul_f32 v[12:13], v[2:3], v[12:13]
	ds_write2st64_b32 v8, v12, v13 offset1:2
	v_add_u32_e32 v8, 0x400, v8
	s_andn2_b64 exec, exec, s[34:35]
	s_cbranch_execnz .LBB18_33
.LBB18_34:
	s_or_b64 exec, exec, s[10:11]
	v_add_u32_e32 v6, 1, v6
	v_and_b32_e32 v7, 0x3fffffe, v6
	v_cmp_ne_u32_e32 vcc, v6, v7
	v_lshl_add_u32 v3, v7, 7, v0
	s_orn2_b64 s[10:11], vcc, exec
.LBB18_35:
	s_or_b64 exec, exec, s[8:9]
	s_and_b64 exec, exec, s[10:11]
	s_cbranch_execz .LBB18_38
; %bb.36:
	v_mov_b32_e32 v6, 0x90
	v_lshl_add_u32 v6, v3, 2, v6
	s_mov_b64 s[8:9], 0
.LBB18_37:                              ; =>This Inner Loop Header: Depth=1
	ds_read_b32 v7, v6
	v_add_u32_e32 v3, 0x80, v3
	v_cmp_le_i32_e32 vcc, s3, v3
	s_or_b64 s[8:9], vcc, s[8:9]
	s_waitcnt lgkmcnt(0)
	v_mul_f32_e32 v7, v2, v7
	ds_write_b32 v6, v7
	v_add_u32_e32 v6, 0x200, v6
	s_andn2_b64 exec, exec, s[8:9]
	s_cbranch_execnz .LBB18_37
.LBB18_38:
	s_or_b64 exec, exec, s[0:1]
	s_mul_i32 s0, s12, s24
	v_cmp_eq_u32_e32 vcc, 0, v0
	s_mul_i32 s0, s0, s5
	s_waitcnt lgkmcnt(0)
	s_barrier
	s_and_saveexec_b64 s[8:9], vcc
	s_cbranch_execz .LBB18_40
; %bb.39:
	s_ashr_i32 s1, s0, 31
	s_lshl_b64 s[10:11], s[0:1], 2
	s_add_u32 s1, s18, s10
	s_mul_i32 s2, s12, s2
	s_addc_u32 s5, s19, s11
	s_ashr_i32 s3, s2, 31
	s_lshl_b64 s[2:3], s[2:3], 2
	s_add_u32 s1, s1, s2
	s_addc_u32 s15, s5, s3
	s_ashr_i32 s5, s4, 31
	s_lshl_b64 s[18:19], s[4:5], 2
	s_add_u32 s34, s1, s18
	s_addc_u32 s35, s15, s19
	s_add_u32 s1, s16, s10
	s_addc_u32 s5, s17, s11
	;; [unrolled: 2-line block ×3, first 2 shown]
	s_add_u32 s2, s1, s18
	v_mov_b32_e32 v2, 0
	s_addc_u32 s3, s3, s19
	global_store_dword v2, v4, s[34:35]
	global_store_dword v2, v5, s[2:3]
.LBB18_40:
	s_or_b64 exec, exec, s[8:9]
	v_mov_b32_e32 v13, 0
	s_and_saveexec_b64 s[2:3], s[6:7]
	s_cbranch_execz .LBB18_46
; %bb.41:
	s_ashr_i32 s15, s14, 31
	s_lshl_b64 s[6:7], s[14:15], 2
	s_add_u32 s6, s30, s6
	v_lshlrev_b32_e32 v2, 4, v0
	v_and_b32_e32 v1, 4, v1
	s_addc_u32 s7, s31, s7
	v_and_b32_e32 v12, 0x3f0, v2
	v_mov_b32_e32 v13, 0
	v_lshl_add_u32 v2, v16, 3, s33
	v_lshl_add_u64 v[14:15], s[6:7], 0, v[12:13]
	s_add_i32 s40, s40, -1
	v_add3_u32 v1, v2, v1, 3
	v_and_b32_e32 v2, 1, v0
	s_lshl_b64 s[6:7], s[28:29], 2
	v_lshlrev_b32_e32 v2, 4, v2
	s_add_u32 s6, s26, s6
	v_lshl_or_b32 v2, v16, 5, v2
	s_addc_u32 s7, s27, s7
	s_mov_b32 s1, s13
	v_add_u32_e32 v12, 0x90, v2
	v_lshl_add_u64 v[16:17], v[10:11], 2, s[6:7]
	s_mov_b64 s[6:7], 0
	s_branch .LBB18_43
.LBB18_42:                              ;   in Loop: Header=BB18_43 Depth=1
	s_or_b64 exec, exec, s[8:9]
	s_waitcnt vmcnt(0) lgkmcnt(0)
	v_mul_f32_e32 v3, v7, v3
	v_fmac_f32_e32 v3, v6, v2
	v_fmac_f32_e32 v3, v8, v4
	v_add_u32_e32 v10, 2, v10
	v_fmac_f32_e32 v3, v9, v5
	v_cmp_le_i32_e32 vcc, s21, v10
	v_add_f32_e32 v13, v13, v3
	v_add_u32_e32 v1, 16, v1
	v_add_u32_e32 v12, 64, v12
	s_or_b64 s[6:7], vcc, s[6:7]
	v_lshl_add_u64 v[16:17], v[16:17], 0, 8
	s_andn2_b64 exec, exec, s[6:7]
	s_cbranch_execz .LBB18_45
.LBB18_43:                              ; =>This Inner Loop Header: Depth=1
	global_load_dword v2, v[16:17], off
	ds_read_b128 v[6:9], v12
	v_cmp_eq_u32_e32 vcc, s40, v10
	s_waitcnt vmcnt(0)
	v_mad_i64_i32 v[2:3], s[8:9], v2, s1, 0
	v_lshl_add_u64 v[2:3], v[2:3], 2, v[14:15]
	global_load_dwordx4 v[2:5], v[2:3], off
	s_and_saveexec_b64 s[8:9], vcc
	s_cbranch_execz .LBB18_42
; %bb.44:                               ;   in Loop: Header=BB18_43 Depth=1
	v_add_u32_e32 v11, -3, v1
	v_cmp_gt_i32_e32 vcc, s25, v11
	v_add_u32_e32 v11, -2, v1
	s_waitcnt vmcnt(0)
	v_cndmask_b32_e32 v2, 0, v2, vcc
	v_cmp_gt_i32_e32 vcc, s25, v11
	v_add_u32_e32 v11, -1, v1
	s_nop 0
	v_cndmask_b32_e32 v3, 0, v3, vcc
	v_cmp_gt_i32_e32 vcc, s25, v11
	s_nop 1
	v_cndmask_b32_e32 v4, 0, v4, vcc
	v_cmp_gt_i32_e32 vcc, s25, v1
	s_nop 1
	v_cndmask_b32_e32 v5, 0, v5, vcc
	s_branch .LBB18_42
.LBB18_45:
	s_or_b64 exec, exec, s[6:7]
.LBB18_46:
	s_or_b64 exec, exec, s[2:3]
	ds_bpermute_b32 v1, v19, v13
	v_and_b32_e32 v2, 0x3c1, v0
	v_cmp_eq_u32_e32 vcc, 64, v2
	s_waitcnt lgkmcnt(0)
	s_barrier
	v_add_f32_e32 v1, v13, v1
	s_and_saveexec_b64 s[2:3], vcc
	s_cbranch_execz .LBB18_48
; %bb.47:
	v_mov_b32_e32 v3, 0x90
	v_lshl_add_u32 v3, v18, 1, v3
	ds_write_b32 v3, v1
.LBB18_48:
	s_or_b64 exec, exec, s[2:3]
	v_cmp_eq_u32_e32 vcc, 0, v2
	s_waitcnt lgkmcnt(0)
	s_barrier
	s_and_saveexec_b64 s[2:3], vcc
	s_cbranch_execz .LBB18_50
; %bb.49:
	v_mov_b32_e32 v2, 0x90
	v_lshl_add_u32 v2, v0, 1, v2
	ds_read_b32 v2, v2
	s_waitcnt lgkmcnt(0)
	v_add_f32_e32 v1, v1, v2
.LBB18_50:
	s_or_b64 exec, exec, s[2:3]
	s_barrier
	s_and_saveexec_b64 s[2:3], vcc
	s_cbranch_execz .LBB18_52
; %bb.51:
	s_lshl_b32 s0, s0, 5
	s_ashr_i32 s1, s0, 31
	s_lshl_b64 s[0:1], s[0:1], 2
	s_add_u32 s2, s22, s0
	s_mul_i32 s0, s12, s20
	s_addc_u32 s3, s23, s1
	s_ashr_i32 s1, s0, 31
	s_lshl_b64 s[0:1], s[0:1], 2
	s_add_u32 s2, s2, s0
	s_addc_u32 s3, s3, s1
	s_lshl_b32 s0, s4, 5
	s_ashr_i32 s1, s0, 31
	s_lshl_b64 s[0:1], s[0:1], 2
	s_add_u32 s0, s2, s0
	s_addc_u32 s1, s3, s1
	v_lshlrev_b32_e32 v0, 1, v0
	global_store_dword v0, v1, s[0:1]
.LBB18_52:
	s_endpgm
	.section	.rodata,"a",@progbits
	.p2align	6, 0x0
	.amdhsa_kernel _ZN4vllm25paged_attention_v2_kernelIffLi32ELi8ELi128ELNS_18Fp8KVCacheDataTypeE0ELb0ELi512EEEvPfS2_PT_PKS3_PKT0_S9_ifPKiSB_iPKfiiiSD_SD_iiiii
		.amdhsa_group_segment_fixed_size 144
		.amdhsa_private_segment_fixed_size 0
		.amdhsa_kernarg_size 400
		.amdhsa_user_sgpr_count 2
		.amdhsa_user_sgpr_dispatch_ptr 0
		.amdhsa_user_sgpr_queue_ptr 0
		.amdhsa_user_sgpr_kernarg_segment_ptr 1
		.amdhsa_user_sgpr_dispatch_id 0
		.amdhsa_user_sgpr_kernarg_preload_length 0
		.amdhsa_user_sgpr_kernarg_preload_offset 0
		.amdhsa_user_sgpr_private_segment_size 0
		.amdhsa_uses_dynamic_stack 0
		.amdhsa_enable_private_segment 0
		.amdhsa_system_sgpr_workgroup_id_x 1
		.amdhsa_system_sgpr_workgroup_id_y 1
		.amdhsa_system_sgpr_workgroup_id_z 1
		.amdhsa_system_sgpr_workgroup_info 0
		.amdhsa_system_vgpr_workitem_id 0
		.amdhsa_next_free_vgpr 28
		.amdhsa_next_free_sgpr 42
		.amdhsa_accum_offset 28
		.amdhsa_reserve_vcc 1
		.amdhsa_float_round_mode_32 0
		.amdhsa_float_round_mode_16_64 0
		.amdhsa_float_denorm_mode_32 3
		.amdhsa_float_denorm_mode_16_64 3
		.amdhsa_dx10_clamp 1
		.amdhsa_ieee_mode 1
		.amdhsa_fp16_overflow 0
		.amdhsa_tg_split 0
		.amdhsa_exception_fp_ieee_invalid_op 0
		.amdhsa_exception_fp_denorm_src 0
		.amdhsa_exception_fp_ieee_div_zero 0
		.amdhsa_exception_fp_ieee_overflow 0
		.amdhsa_exception_fp_ieee_underflow 0
		.amdhsa_exception_fp_ieee_inexact 0
		.amdhsa_exception_int_div_zero 0
	.end_amdhsa_kernel
	.section	.text._ZN4vllm25paged_attention_v2_kernelIffLi32ELi8ELi128ELNS_18Fp8KVCacheDataTypeE0ELb0ELi512EEEvPfS2_PT_PKS3_PKT0_S9_ifPKiSB_iPKfiiiSD_SD_iiiii,"axG",@progbits,_ZN4vllm25paged_attention_v2_kernelIffLi32ELi8ELi128ELNS_18Fp8KVCacheDataTypeE0ELb0ELi512EEEvPfS2_PT_PKS3_PKT0_S9_ifPKiSB_iPKfiiiSD_SD_iiiii,comdat
.Lfunc_end18:
	.size	_ZN4vllm25paged_attention_v2_kernelIffLi32ELi8ELi128ELNS_18Fp8KVCacheDataTypeE0ELb0ELi512EEEvPfS2_PT_PKS3_PKT0_S9_ifPKiSB_iPKfiiiSD_SD_iiiii, .Lfunc_end18-_ZN4vllm25paged_attention_v2_kernelIffLi32ELi8ELi128ELNS_18Fp8KVCacheDataTypeE0ELb0ELi512EEEvPfS2_PT_PKS3_PKT0_S9_ifPKiSB_iPKfiiiSD_SD_iiiii
                                        ; -- End function
	.section	.AMDGPU.csdata,"",@progbits
; Kernel info:
; codeLenInByte = 3172
; NumSgprs: 48
; NumVgprs: 28
; NumAgprs: 0
; TotalNumVgprs: 28
; ScratchSize: 0
; MemoryBound: 0
; FloatMode: 240
; IeeeMode: 1
; LDSByteSize: 144 bytes/workgroup (compile time only)
; SGPRBlocks: 5
; VGPRBlocks: 3
; NumSGPRsForWavesPerEU: 48
; NumVGPRsForWavesPerEU: 28
; AccumOffset: 28
; Occupancy: 8
; WaveLimiterHint : 1
; COMPUTE_PGM_RSRC2:SCRATCH_EN: 0
; COMPUTE_PGM_RSRC2:USER_SGPR: 2
; COMPUTE_PGM_RSRC2:TRAP_HANDLER: 0
; COMPUTE_PGM_RSRC2:TGID_X_EN: 1
; COMPUTE_PGM_RSRC2:TGID_Y_EN: 1
; COMPUTE_PGM_RSRC2:TGID_Z_EN: 1
; COMPUTE_PGM_RSRC2:TIDIG_COMP_CNT: 0
; COMPUTE_PGM_RSRC3_GFX90A:ACCUM_OFFSET: 6
; COMPUTE_PGM_RSRC3_GFX90A:TG_SPLIT: 0
	.section	.text._ZN4vllm25paged_attention_v2_kernelIffLi64ELi8ELi128ELNS_18Fp8KVCacheDataTypeE0ELb0ELi512EEEvPfS2_PT_PKS3_PKT0_S9_ifPKiSB_iPKfiiiSD_SD_iiiii,"axG",@progbits,_ZN4vllm25paged_attention_v2_kernelIffLi64ELi8ELi128ELNS_18Fp8KVCacheDataTypeE0ELb0ELi512EEEvPfS2_PT_PKS3_PKT0_S9_ifPKiSB_iPKfiiiSD_SD_iiiii,comdat
	.protected	_ZN4vllm25paged_attention_v2_kernelIffLi64ELi8ELi128ELNS_18Fp8KVCacheDataTypeE0ELb0ELi512EEEvPfS2_PT_PKS3_PKT0_S9_ifPKiSB_iPKfiiiSD_SD_iiiii ; -- Begin function _ZN4vllm25paged_attention_v2_kernelIffLi64ELi8ELi128ELNS_18Fp8KVCacheDataTypeE0ELb0ELi512EEEvPfS2_PT_PKS3_PKT0_S9_ifPKiSB_iPKfiiiSD_SD_iiiii
	.globl	_ZN4vllm25paged_attention_v2_kernelIffLi64ELi8ELi128ELNS_18Fp8KVCacheDataTypeE0ELb0ELi512EEEvPfS2_PT_PKS3_PKT0_S9_ifPKiSB_iPKfiiiSD_SD_iiiii
	.p2align	8
	.type	_ZN4vllm25paged_attention_v2_kernelIffLi64ELi8ELi128ELNS_18Fp8KVCacheDataTypeE0ELb0ELi512EEEvPfS2_PT_PKS3_PKT0_S9_ifPKiSB_iPKfiiiSD_SD_iiiii,@function
_ZN4vllm25paged_attention_v2_kernelIffLi64ELi8ELi128ELNS_18Fp8KVCacheDataTypeE0ELb0ELi512EEEvPfS2_PT_PKS3_PKT0_S9_ifPKiSB_iPKfiiiSD_SD_iiiii: ; @_ZN4vllm25paged_attention_v2_kernelIffLi64ELi8ELi128ELNS_18Fp8KVCacheDataTypeE0ELb0ELi512EEEvPfS2_PT_PKS3_PKT0_S9_ifPKiSB_iPKfiiiSD_SD_iiiii
; %bb.0:
	s_load_dwordx2 s[6:7], s[0:1], 0x40
	s_mov_b32 s26, s3
	s_ashr_i32 s27, s3, 31
	s_lshl_b64 s[8:9], s[26:27], 2
	s_waitcnt lgkmcnt(0)
	s_add_u32 s6, s6, s8
	s_addc_u32 s7, s7, s9
	s_load_dword s27, s[6:7], 0x0
	s_lshl_b32 s42, s4, 9
	s_waitcnt lgkmcnt(0)
	s_cmp_ge_i32 s42, s27
	s_cbranch_scc1 .LBB19_58
; %bb.1:
	s_load_dword s5, s[0:1], 0x90
	s_load_dwordx2 s[12:13], s[0:1], 0x30
	s_waitcnt lgkmcnt(0)
	s_abs_i32 s7, s5
	s_abs_i32 s3, s12
	v_cvt_f32_u32_e32 v1, s3
	s_sub_i32 s8, 0, s3
	s_xor_b32 s6, s5, s12
	s_ashr_i32 s6, s6, 31
	v_rcp_iflag_f32_e32 v1, v1
	s_nop 0
	v_mul_f32_e32 v1, 0x4f7ffffe, v1
	v_cvt_u32_f32_e32 v1, v1
	s_nop 0
	v_readfirstlane_b32 s9, v1
	s_mul_i32 s8, s8, s9
	s_mul_hi_u32 s8, s9, s8
	s_add_i32 s9, s9, s8
	s_mul_hi_u32 s8, s7, s9
	s_mul_i32 s9, s8, s3
	s_sub_i32 s7, s7, s9
	s_add_i32 s10, s8, 1
	s_sub_i32 s9, s7, s3
	s_cmp_ge_u32 s7, s3
	s_cselect_b32 s8, s10, s8
	s_cselect_b32 s7, s9, s7
	s_add_i32 s9, s8, 1
	s_cmp_ge_u32 s7, s3
	s_cselect_b32 s3, s9, s8
	s_xor_b32 s3, s3, s6
	s_sub_i32 s8, s3, s6
	s_abs_i32 s10, s8
	v_cvt_f32_u32_e32 v1, s10
	s_load_dwordx2 s[6:7], s[0:1], 0x50
	s_sub_i32 s9, 0, s10
	s_abs_i32 s11, s2
	v_rcp_iflag_f32_e32 v1, v1
	s_mov_b32 s3, 0
	v_mul_f32_e32 v1, 0x4f7ffffe, v1
	v_cvt_u32_f32_e32 v1, v1
	s_nop 0
	v_readfirstlane_b32 s12, v1
	s_mul_i32 s9, s9, s12
	s_mul_hi_u32 s9, s12, s9
	s_add_i32 s12, s12, s9
	s_waitcnt lgkmcnt(0)
	s_cmp_eq_u64 s[6:7], 0
	s_mul_hi_u32 s12, s11, s12
	s_cbranch_scc1 .LBB19_3
; %bb.2:
	s_ashr_i32 s3, s2, 31
	s_lshl_b64 s[14:15], s[2:3], 2
	s_add_u32 s6, s6, s14
	s_addc_u32 s7, s7, s15
	s_load_dword s3, s[6:7], 0x0
.LBB19_3:
	s_load_dwordx4 s[16:19], s[0:1], 0x58
	s_ashr_i32 s20, s2, 31
	s_ashr_i32 s21, s8, 31
	v_and_b32_e32 v10, 7, v0
	s_lshl_b32 s14, s2, 6
	v_cmp_gt_u32_e64 s[8:9], 64, v0
	v_lshlrev_b32_e32 v18, 2, v0
	v_lshrrev_b32_e32 v1, 1, v0
	s_and_saveexec_b64 s[6:7], s[8:9]
	s_cbranch_execz .LBB19_5
; %bb.4:
	s_load_dwordx2 s[22:23], s[0:1], 0x18
	s_waitcnt lgkmcnt(0)
	s_mul_i32 s24, s26, s16
	s_ashr_i32 s25, s24, 31
	s_lshl_b64 s[24:25], s[24:25], 2
	v_and_b32_e32 v3, 0x1fc, v1
	s_add_u32 s16, s22, s24
	s_addc_u32 s19, s23, s25
	s_ashr_i32 s15, s14, 31
	s_lshl_b64 s[22:23], s[14:15], 2
	s_add_u32 s22, s16, s22
	s_addc_u32 s23, s19, s23
	global_load_dword v2, v18, s[22:23]
	v_lshl_add_u32 v3, v10, 5, v3
	s_waitcnt vmcnt(0)
	ds_write_b32 v3, v2
.LBB19_5:
	s_or_b64 exec, exec, s[6:7]
	s_add_i32 s6, s27, 7
	s_ashr_i32 s7, s6, 31
	s_lshr_b32 s7, s7, 29
	s_add_i32 s6, s6, s7
	s_waitcnt lgkmcnt(0)
	s_lshl_b32 s16, s4, 6
	s_mul_i32 s7, s12, s10
	s_ashr_i32 s43, s6, 3
	s_add_i32 s6, s16, 64
	s_sub_i32 s7, s11, s7
	s_min_i32 s33, s6, s43
	s_xor_b32 s6, s20, s21
	s_add_i32 s11, s12, 1
	s_sub_i32 s15, s7, s10
	s_cmp_ge_u32 s7, s10
	s_cselect_b32 s11, s11, s12
	s_cselect_b32 s7, s15, s7
	s_add_i32 s12, s11, 1
	s_cmp_ge_u32 s7, s10
	s_load_dwordx2 s[28:29], s[0:1], 0x38
	s_load_dword s10, s[0:1], 0x48
	v_lshrrev_b32_e32 v20, 6, v0
	s_cselect_b32 s7, s12, s11
	s_xor_b32 s7, s7, s6
	v_or_b32_e32 v14, s16, v20
	s_waitcnt lgkmcnt(0)
	s_mul_i32 s30, s26, s10
	s_sub_i32 s12, s7, s6
	s_ashr_i32 s31, s30, 31
	v_cmp_gt_i32_e64 s[6:7], s33, v14
	v_cmp_le_i32_e32 vcc, s33, v14
	v_mbcnt_lo_u32_b32 v11, -1, 0
	s_barrier
	s_waitcnt lgkmcnt(0)
                                        ; implicit-def: $sgpr19
                                        ; implicit-def: $vgpr16
                                        ; implicit-def: $vgpr17
	s_and_saveexec_b64 s[10:11], vcc
	s_xor_b64 s[10:11], exec, s[10:11]
; %bb.6:
	v_mbcnt_hi_u32_b32 v16, -1, v11
	v_and_b32_e32 v2, 64, v16
	v_add_u32_e32 v17, 64, v2
	s_mov_b32 s19, 0xff7fffff
                                        ; implicit-def: $vgpr10
                                        ; implicit-def: $vgpr11
; %bb.7:
	s_or_saveexec_b64 s[36:37], s[10:11]
	s_load_dwordx4 s[20:23], s[0:1], 0x0
	s_load_dwordx2 s[24:25], s[0:1], 0x10
	s_load_dwordx2 s[34:35], s[0:1], 0x28
	s_load_dword s15, s[0:1], 0x98
	v_mov_b32_e32 v19, s19
	s_mul_i32 s18, s12, s18
	v_ashrrev_i32_e32 v15, 31, v14
	s_xor_b64 exec, exec, s[36:37]
	s_cbranch_execz .LBB19_13
; %bb.8:
	v_mbcnt_hi_u32_b32 v16, -1, v11
	v_and_b32_e32 v11, 64, v16
	s_load_dwordx2 s[0:1], s[0:1], 0x20
	v_add_u32_e32 v17, 64, v11
	v_xor_b32_e32 v11, 4, v16
	v_cmp_lt_i32_e32 vcc, v11, v17
	s_ashr_i32 s19, s18, 31
	s_lshl_b64 s[10:11], s[18:19], 2
	v_cndmask_b32_e32 v11, v16, v11, vcc
	v_lshlrev_b32_e32 v21, 2, v11
	v_xor_b32_e32 v11, 2, v16
	v_cmp_lt_i32_e32 vcc, v11, v17
	v_bfe_u32 v19, v0, 3, 3
	s_waitcnt lgkmcnt(0)
	s_add_u32 s0, s0, s10
	v_cndmask_b32_e32 v11, v16, v11, vcc
	s_addc_u32 s1, s1, s11
	v_lshlrev_b32_e32 v12, 4, v19
	v_mov_b32_e32 v13, 0
	v_and_b32_e32 v4, 3, v0
	v_lshlrev_b32_e32 v22, 2, v11
	v_xor_b32_e32 v11, 1, v16
	v_lshl_add_u64 v[2:3], s[0:1], 0, v[12:13]
	v_lshlrev_b32_e32 v12, 2, v4
	v_lshlrev_b32_e32 v6, 5, v10
	v_cmp_lt_i32_e32 vcc, v11, v17
	v_lshl_add_u64 v[24:25], v[2:3], 0, v[12:13]
	ds_read_b128 v[2:5], v6
	ds_read_b128 v[6:9], v6 offset:16
	v_cndmask_b32_e32 v11, v16, v11, vcc
	v_cmp_eq_u32_e32 vcc, 0, v10
	v_lshlrev_b32_e32 v10, 5, v0
	v_and_b32_e32 v12, 0x80, v10
	s_sub_i32 s19, 1, s27
	s_lshl_b64 s[10:11], s[30:31], 2
	v_lshlrev_b32_e32 v26, 2, v19
	v_lshlrev_b32_e32 v23, 2, v11
	v_lshl_add_u64 v[10:11], v[24:25], 0, v[12:13]
	v_lshlrev_b32_e32 v12, 3, v20
	s_add_u32 s10, s28, s10
	v_add3_u32 v24, s42, v12, v19
	v_lshl_or_b32 v12, v20, 5, v26
	s_addc_u32 s11, s29, s11
	s_mov_b32 s12, s17
	v_cmp_neq_f32_e64 s[0:1], s3, 0
	v_add_u32_e32 v25, 0x110, v12
	v_lshl_add_u64 v[12:13], v[14:15], 2, s[10:11]
	s_mov_b64 s[38:39], 0
	v_mov_b32_e32 v19, 0xff7fffff
	v_mov_b32_e32 v26, v14
	s_branch .LBB19_10
.LBB19_9:                               ;   in Loop: Header=BB19_10 Depth=1
	s_or_b64 exec, exec, s[40:41]
	v_add_u32_e32 v26, 2, v26
	v_cmp_le_i32_e64 s[10:11], s33, v26
	v_add_u32_e32 v24, 16, v24
	v_add_u32_e32 v25, 64, v25
	s_or_b64 s[38:39], s[10:11], s[38:39]
	v_lshl_add_u64 v[12:13], v[12:13], 0, 8
	s_andn2_b64 exec, exec, s[38:39]
	s_cbranch_execz .LBB19_12
.LBB19_10:                              ; =>This Inner Loop Header: Depth=1
	global_load_dword v27, v[12:13], off
	s_waitcnt vmcnt(0) lgkmcnt(0)
	v_mad_i64_i32 v[28:29], s[10:11], v27, s12, 0
	v_lshl_add_u64 v[28:29], v[28:29], 2, v[10:11]
	global_load_dword v27, v[28:29], off offset:256
	global_load_dword v30, v[28:29], off
	global_load_dword v31, v[28:29], off offset:512
	global_load_dword v32, v[28:29], off offset:768
	;; [unrolled: 1-line block ×6, first 2 shown]
	s_waitcnt vmcnt(7) lgkmcnt(1)
	v_mul_f32_e32 v27, v3, v27
	s_waitcnt vmcnt(6)
	v_fmac_f32_e32 v27, v2, v30
	s_waitcnt vmcnt(5)
	v_fmac_f32_e32 v27, v4, v31
	;; [unrolled: 2-line block ×3, first 2 shown]
	s_waitcnt vmcnt(3) lgkmcnt(0)
	v_fmac_f32_e32 v27, v6, v33
	s_waitcnt vmcnt(2)
	v_fmac_f32_e32 v27, v7, v34
	s_waitcnt vmcnt(1)
	;; [unrolled: 2-line block ×3, first 2 shown]
	v_fmac_f32_e32 v27, v9, v36
	ds_bpermute_b32 v28, v21, v27
	s_waitcnt lgkmcnt(0)
	v_add_f32_e32 v27, v27, v28
	ds_bpermute_b32 v28, v22, v27
	s_waitcnt lgkmcnt(0)
	v_add_f32_e32 v27, v27, v28
	ds_bpermute_b32 v28, v23, v27
	s_and_saveexec_b64 s[40:41], vcc
	s_cbranch_execz .LBB19_9
; %bb.11:                               ;   in Loop: Header=BB19_10 Depth=1
	v_add_u32_e32 v29, s19, v24
	v_cvt_f32_i32_e32 v29, v29
	s_waitcnt lgkmcnt(0)
	v_add_f32_e32 v27, v27, v28
	v_cmp_gt_i32_e64 s[10:11], s27, v24
	v_max_f32_e32 v28, v19, v19
	v_mul_f32_e32 v29, s3, v29
	v_cndmask_b32_e64 v29, 0, v29, s[0:1]
	v_fmac_f32_e32 v29, s13, v27
	v_cndmask_b32_e64 v27, 0, v29, s[10:11]
	ds_write_b32 v25, v27
	v_max_f32_e32 v27, v28, v29
	v_cndmask_b32_e64 v19, v19, v27, s[10:11]
	s_branch .LBB19_9
.LBB19_12:
	s_or_b64 exec, exec, s[38:39]
.LBB19_13:
	s_or_b64 exec, exec, s[36:37]
	v_xor_b32_e32 v2, 32, v16
	v_cmp_lt_i32_e32 vcc, v2, v17
	v_xor_b32_e32 v5, 16, v16
	v_max_f32_e32 v4, v19, v19
	v_cndmask_b32_e32 v2, v16, v2, vcc
	v_lshlrev_b32_e32 v3, 2, v2
	ds_bpermute_b32 v2, v3, v19
	v_cmp_lt_i32_e32 vcc, v5, v17
	v_and_b32_e32 v22, 63, v0
	s_waitcnt lgkmcnt(0)
	v_max_f32_e32 v2, v2, v2
	v_max_f32_e32 v2, v4, v2
	v_cndmask_b32_e32 v4, v16, v5, vcc
	v_lshlrev_b32_e32 v6, 2, v4
	ds_bpermute_b32 v4, v6, v2
	v_xor_b32_e32 v5, 8, v16
	v_cmp_lt_i32_e32 vcc, v5, v17
	s_waitcnt lgkmcnt(0)
	v_max_f32_e32 v4, v4, v4
	v_max_f32_e32 v4, v2, v4
	v_cndmask_b32_e32 v2, v16, v5, vcc
	v_lshlrev_b32_e32 v7, 2, v2
	ds_bpermute_b32 v5, v7, v4
	v_cmp_eq_u32_e32 vcc, 0, v22
	v_lshlrev_b32_e32 v2, 2, v20
	s_and_saveexec_b64 s[0:1], vcc
	s_cbranch_execz .LBB19_15
; %bb.14:
	s_waitcnt lgkmcnt(0)
	v_max_f32_e32 v5, v5, v5
	v_max_f32_e32 v4, v4, v4
	;; [unrolled: 1-line block ×3, first 2 shown]
	ds_write_b32 v2, v4 offset:256
.LBB19_15:
	s_or_b64 exec, exec, s[0:1]
	v_cmp_gt_u32_e64 s[0:1], 2, v22
	v_mov_b32_e32 v4, 0xff7fffff
	s_waitcnt lgkmcnt(0)
	v_lshlrev_b32_e32 v5, 2, v22
	s_barrier
	s_and_saveexec_b64 s[10:11], s[0:1]
	s_cbranch_execz .LBB19_17
; %bb.16:
	ds_read_b32 v4, v5 offset:256
.LBB19_17:
	s_or_b64 exec, exec, s[10:11]
	v_xor_b32_e32 v8, 1, v16
	v_cmp_lt_i32_e64 s[10:11], v8, v17
	s_sub_i32 s3, s33, s16
	s_lshl_b32 s3, s3, 3
	v_cndmask_b32_e64 v8, v16, v8, s[10:11]
	v_lshlrev_b32_e32 v23, 2, v8
	s_waitcnt lgkmcnt(0)
	ds_bpermute_b32 v8, v23, v4
	v_max_f32_e32 v4, v4, v4
	s_add_i32 s3, s3, s42
	s_min_i32 s19, s3, s27
	s_sub_i32 s3, s19, s42
	s_waitcnt lgkmcnt(0)
	v_max_f32_e32 v8, v8, v8
	v_max_f32_e32 v4, v4, v8
	v_lshlrev_b32_e32 v8, 2, v16
	v_and_b32_e32 v8, 0xffffff00, v8
	ds_bpermute_b32 v4, v8, v4
	v_cmp_gt_i32_e64 s[10:11], s3, v0
	v_mov_b32_e32 v9, 0
	s_and_saveexec_b64 s[36:37], s[10:11]
	s_cbranch_execz .LBB19_21
; %bb.18:
	v_mov_b32_e32 v9, 0x110
	v_lshl_add_u32 v10, v0, 2, v9
	s_mov_b64 s[38:39], 0
	v_mov_b32_e32 v9, 0
	v_mov_b32_e32 v11, v0
.LBB19_19:                              ; =>This Inner Loop Header: Depth=1
	ds_read_b32 v12, v10
	v_add_u32_e32 v11, 0x80, v11
	v_cmp_le_i32_e64 s[12:13], s3, v11
	s_or_b64 s[38:39], s[12:13], s[38:39]
	s_waitcnt lgkmcnt(0)
	v_sub_f32_e32 v12, v12, v4
	v_mul_f32_e32 v12, 0x3fb8aa3b, v12
	v_exp_f32_e32 v12, v12
	ds_write_b32 v10, v12
	v_add_f32_e32 v9, v9, v12
	v_add_u32_e32 v10, 0x200, v10
	s_andn2_b64 exec, exec, s[38:39]
	s_cbranch_execnz .LBB19_19
; %bb.20:
	s_or_b64 exec, exec, s[38:39]
.LBB19_21:
	s_or_b64 exec, exec, s[36:37]
	ds_bpermute_b32 v3, v3, v9
	s_waitcnt lgkmcnt(0)
	v_add_f32_e32 v3, v9, v3
	ds_bpermute_b32 v6, v6, v3
	s_waitcnt lgkmcnt(0)
	v_add_f32_e32 v3, v3, v6
	ds_bpermute_b32 v6, v7, v3
	v_xor_b32_e32 v7, 4, v16
	v_cmp_lt_i32_e64 s[12:13], v7, v17
	s_waitcnt lgkmcnt(0)
	v_add_f32_e32 v3, v3, v6
	v_cndmask_b32_e64 v7, v16, v7, s[12:13]
	v_lshlrev_b32_e32 v7, 2, v7
	ds_bpermute_b32 v6, v7, v3
	v_xor_b32_e32 v7, 2, v16
	v_cmp_lt_i32_e64 s[12:13], v7, v17
	s_waitcnt lgkmcnt(0)
	v_add_f32_e32 v3, v3, v6
	v_cndmask_b32_e64 v7, v16, v7, s[12:13]
	v_lshlrev_b32_e32 v6, 2, v7
	ds_bpermute_b32 v6, v6, v3
	s_waitcnt lgkmcnt(0)
	v_add_f32_e32 v3, v3, v6
	ds_bpermute_b32 v6, v23, v3
	s_waitcnt lgkmcnt(0)
	v_add_f32_e32 v3, v3, v6
	s_and_saveexec_b64 s[12:13], vcc
	s_cbranch_execz .LBB19_23
; %bb.22:
	ds_write_b32 v2, v3 offset:264
.LBB19_23:
	s_or_b64 exec, exec, s[12:13]
	s_waitcnt lgkmcnt(0)
	s_barrier
	s_and_saveexec_b64 s[12:13], s[0:1]
	s_cbranch_execz .LBB19_25
; %bb.24:
	ds_read_b32 v3, v5 offset:264
.LBB19_25:
	s_or_b64 exec, exec, s[12:13]
	s_waitcnt lgkmcnt(0)
	ds_bpermute_b32 v2, v23, v3
	s_waitcnt lgkmcnt(0)
	v_add_f32_e32 v2, v3, v2
	ds_bpermute_b32 v5, v8, v2
	s_and_saveexec_b64 s[0:1], s[10:11]
	s_cbranch_execz .LBB19_38
; %bb.26:
	s_waitcnt lgkmcnt(0)
	v_add_f32_e32 v2, 0x358637bd, v5
	v_div_scale_f32 v3, s[10:11], v2, v2, 1.0
	v_rcp_f32_e32 v6, v3
	v_div_scale_f32 v7, vcc, 1.0, v2, 1.0
	s_movk_i32 s10, 0x7f
	v_fma_f32 v8, -v3, v6, 1.0
	v_fmac_f32_e32 v6, v8, v6
	v_mul_f32_e32 v8, v7, v6
	v_fma_f32 v9, -v3, v8, v7
	v_fmac_f32_e32 v8, v9, v6
	v_fma_f32 v3, -v3, v8, v7
	v_div_fmas_f32 v3, v3, v6, v8
	v_div_fixup_f32 v2, v3, v2, 1.0
	v_xad_u32 v3, v0, -1, s19
	v_subrev_u32_e32 v6, s42, v3
	v_cmp_lt_u32_e32 vcc, s10, v6
	s_mov_b64 s[12:13], -1
	v_mov_b32_e32 v3, v0
	s_and_saveexec_b64 s[10:11], vcc
	s_cbranch_execz .LBB19_35
; %bb.27:
	v_lshrrev_b32_e32 v6, 7, v6
	v_add_u32_e32 v8, -1, v6
	v_lshrrev_b32_e32 v7, 1, v8
	v_mov_b32_e32 v3, v2
	v_add_u32_e32 v7, 1, v7
	v_cmp_lt_u32_e32 vcc, 13, v8
	v_mov_b32_e32 v10, 0
	s_and_saveexec_b64 s[12:13], vcc
	s_cbranch_execz .LBB19_31
; %bb.28:
	v_mov_b32_e32 v9, 0x110
	v_and_b32_e32 v8, -8, v7
	v_lshl_add_u32 v9, v0, 2, v9
	s_mov_b32 s19, 0
	s_mov_b64 s[36:37], 0
.LBB19_29:                              ; =>This Inner Loop Header: Depth=1
	ds_read2st64_b32 v[10:11], v9 offset1:2
	ds_read2st64_b32 v[12:13], v9 offset0:4 offset1:6
	ds_read2st64_b32 v[16:17], v9 offset0:8 offset1:10
	;; [unrolled: 1-line block ×3, first 2 shown]
	v_add_u32_e32 v8, -8, v8
	s_waitcnt lgkmcnt(3)
	v_pk_mul_f32 v[10:11], v[2:3], v[10:11]
	s_waitcnt lgkmcnt(2)
	v_pk_mul_f32 v[12:13], v[2:3], v[12:13]
	ds_write2st64_b32 v9, v10, v11 offset1:2
	ds_write2st64_b32 v9, v12, v13 offset0:4 offset1:6
	ds_read2st64_b32 v[12:13], v9 offset0:16 offset1:18
	s_waitcnt lgkmcnt(4)
	v_pk_mul_f32 v[10:11], v[2:3], v[16:17]
	ds_write2st64_b32 v9, v10, v11 offset0:8 offset1:10
	s_waitcnt lgkmcnt(4)
	v_pk_mul_f32 v[10:11], v[2:3], v[24:25]
	ds_write2st64_b32 v9, v10, v11 offset0:12 offset1:14
	ds_read2st64_b32 v[10:11], v9 offset0:20 offset1:22
	s_waitcnt lgkmcnt(3)
	v_pk_mul_f32 v[12:13], v[2:3], v[12:13]
	ds_read2st64_b32 v[16:17], v9 offset0:24 offset1:26
	ds_write2st64_b32 v9, v12, v13 offset0:16 offset1:18
	ds_read2st64_b32 v[12:13], v9 offset0:28 offset1:30
	s_waitcnt lgkmcnt(3)
	v_pk_mul_f32 v[10:11], v[2:3], v[10:11]
	ds_write2st64_b32 v9, v10, v11 offset0:20 offset1:22
	s_waitcnt lgkmcnt(3)
	v_pk_mul_f32 v[10:11], v[2:3], v[16:17]
	ds_write2st64_b32 v9, v10, v11 offset0:24 offset1:26
	s_waitcnt lgkmcnt(2)
	v_pk_mul_f32 v[10:11], v[2:3], v[12:13]
	s_add_i32 s19, s19, 16
	v_cmp_eq_u32_e32 vcc, 0, v8
	ds_write2st64_b32 v9, v10, v11 offset0:28 offset1:30
	v_add_u32_e32 v9, 0x2000, v9
	s_or_b64 s[36:37], vcc, s[36:37]
	v_mov_b32_e32 v10, s19
	s_andn2_b64 exec, exec, s[36:37]
	s_cbranch_execnz .LBB19_29
; %bb.30:
	s_or_b64 exec, exec, s[36:37]
.LBB19_31:
	s_or_b64 exec, exec, s[12:13]
	v_and_b32_e32 v7, 7, v7
	v_cmp_ne_u32_e32 vcc, 0, v7
	s_and_saveexec_b64 s[12:13], vcc
	s_cbranch_execz .LBB19_34
; %bb.32:
	v_lshlrev_b32_e32 v8, 9, v10
	s_movk_i32 s19, 0x110
	v_add3_u32 v8, v8, v18, s19
	s_mov_b64 s[36:37], 0
.LBB19_33:                              ; =>This Inner Loop Header: Depth=1
	ds_read2st64_b32 v[10:11], v8 offset1:2
	v_add_u32_e32 v7, -1, v7
	v_cmp_eq_u32_e32 vcc, 0, v7
	s_or_b64 s[36:37], vcc, s[36:37]
	s_waitcnt lgkmcnt(0)
	v_pk_mul_f32 v[10:11], v[2:3], v[10:11]
	ds_write2st64_b32 v8, v10, v11 offset1:2
	v_add_u32_e32 v8, 0x400, v8
	s_andn2_b64 exec, exec, s[36:37]
	s_cbranch_execnz .LBB19_33
.LBB19_34:
	s_or_b64 exec, exec, s[12:13]
	v_add_u32_e32 v6, 1, v6
	v_and_b32_e32 v7, 0x3fffffe, v6
	v_cmp_ne_u32_e32 vcc, v6, v7
	v_lshl_add_u32 v3, v7, 7, v0
	s_orn2_b64 s[12:13], vcc, exec
.LBB19_35:
	s_or_b64 exec, exec, s[10:11]
	s_and_b64 exec, exec, s[12:13]
	s_cbranch_execz .LBB19_38
; %bb.36:
	v_mov_b32_e32 v6, 0x110
	v_lshl_add_u32 v6, v3, 2, v6
	s_mov_b64 s[10:11], 0
.LBB19_37:                              ; =>This Inner Loop Header: Depth=1
	ds_read_b32 v7, v6
	v_add_u32_e32 v3, 0x80, v3
	v_cmp_le_i32_e32 vcc, s3, v3
	s_or_b64 s[10:11], vcc, s[10:11]
	s_waitcnt lgkmcnt(0)
	v_mul_f32_e32 v7, v2, v7
	ds_write_b32 v6, v7
	v_add_u32_e32 v6, 0x200, v6
	s_andn2_b64 exec, exec, s[10:11]
	s_cbranch_execnz .LBB19_37
.LBB19_38:
	s_or_b64 exec, exec, s[0:1]
	s_mul_i32 s0, s15, s26
	v_cmp_eq_u32_e32 vcc, 0, v0
	s_mul_i32 s10, s0, s5
	s_waitcnt lgkmcnt(0)
	s_barrier
	s_and_saveexec_b64 s[0:1], vcc
	s_cbranch_execz .LBB19_40
; %bb.39:
	s_ashr_i32 s11, s10, 31
	s_lshl_b64 s[12:13], s[10:11], 2
	s_add_u32 s5, s22, s12
	s_mul_i32 s2, s15, s2
	s_addc_u32 s11, s23, s13
	s_ashr_i32 s3, s2, 31
	s_lshl_b64 s[2:3], s[2:3], 2
	s_add_u32 s19, s5, s2
	s_addc_u32 s11, s11, s3
	s_ashr_i32 s5, s4, 31
	s_lshl_b64 s[4:5], s[4:5], 2
	s_add_u32 s22, s19, s4
	s_addc_u32 s23, s11, s5
	s_add_u32 s11, s20, s12
	s_addc_u32 s12, s21, s13
	;; [unrolled: 2-line block ×3, first 2 shown]
	s_add_u32 s2, s2, s4
	v_mov_b32_e32 v2, 0
	s_addc_u32 s3, s3, s5
	global_store_dword v2, v4, s[22:23]
	global_store_dword v2, v5, s[2:3]
.LBB19_40:
	s_or_b64 exec, exec, s[0:1]
	v_mov_b32_e32 v17, 0
	v_and_b32_e32 v24, 1, v0
	v_mov_b32_e32 v16, 0
	s_and_saveexec_b64 s[2:3], s[6:7]
	s_cbranch_execz .LBB19_48
; %bb.41:
	s_ashr_i32 s19, s18, 31
	s_lshl_b64 s[0:1], s[18:19], 2
	s_add_u32 s0, s34, s0
	v_lshlrev_b32_e32 v3, 4, v0
	s_addc_u32 s1, s35, s1
	v_and_b32_e32 v16, 0x3f0, v3
	v_mov_b32_e32 v17, 0
	v_and_b32_e32 v2, 4, v18
	s_add_i32 s43, s43, -1
	v_lshl_add_u64 v[18:19], s[0:1], 0, v[16:17]
	v_lshl_add_u32 v3, v20, 3, s42
	s_lshl_b64 s[0:1], s[30:31], 2
	v_add3_u32 v25, v3, v2, 3
	v_lshlrev_b32_e32 v2, 4, v24
	s_add_u32 s0, s28, s0
	v_lshl_or_b32 v2, v20, 5, v2
	s_addc_u32 s1, s29, s1
	s_mov_b32 s11, s17
	v_add_u32_e32 v26, 0x110, v2
	v_lshl_add_u64 v[20:21], v[14:15], 2, s[0:1]
	s_mov_b64 s[4:5], 0
	v_mov_b32_e32 v16, v17
	s_branch .LBB19_43
.LBB19_42:                              ;   in Loop: Header=BB19_43 Depth=1
	s_or_b64 exec, exec, s[0:1]
	s_waitcnt vmcnt(1) lgkmcnt(0)
	v_mul_f32_e32 v7, v3, v7
	s_waitcnt vmcnt(0)
	v_mul_f32_e32 v3, v3, v11
	v_fmac_f32_e32 v7, v2, v6
	v_fmac_f32_e32 v3, v2, v10
	;; [unrolled: 1-line block ×4, first 2 shown]
	v_add_u32_e32 v14, 2, v14
	v_fmac_f32_e32 v7, v5, v9
	v_fmac_f32_e32 v3, v5, v13
	v_cmp_le_i32_e32 vcc, s33, v14
	v_add_f32_e32 v16, v16, v7
	v_add_f32_e32 v17, v17, v3
	v_add_u32_e32 v25, 16, v25
	v_add_u32_e32 v26, 64, v26
	s_or_b64 s[4:5], vcc, s[4:5]
	v_lshl_add_u64 v[20:21], v[20:21], 0, 8
	s_andn2_b64 exec, exec, s[4:5]
	s_cbranch_execz .LBB19_47
.LBB19_43:                              ; =>This Inner Loop Header: Depth=1
	global_load_dword v2, v[20:21], off
	v_add_u32_e32 v15, -3, v25
	v_cmp_eq_u32_e32 vcc, s43, v14
	v_add_u32_e32 v28, -2, v25
	v_add_u32_e32 v27, -1, v25
	s_waitcnt vmcnt(0)
	v_mad_i64_i32 v[2:3], s[0:1], v2, s11, 0
	v_lshl_add_u64 v[10:11], v[2:3], 2, v[18:19]
	global_load_dwordx4 v[6:9], v[10:11], off
	ds_read_b128 v[2:5], v26
	s_and_saveexec_b64 s[6:7], vcc
	s_cbranch_execz .LBB19_45
; %bb.44:                               ;   in Loop: Header=BB19_43 Depth=1
	v_cmp_gt_i32_e64 s[0:1], s27, v15
	s_waitcnt vmcnt(0)
	s_nop 0
	v_cndmask_b32_e64 v6, 0, v6, s[0:1]
	v_cmp_gt_i32_e64 s[0:1], s27, v28
	s_nop 1
	v_cndmask_b32_e64 v7, 0, v7, s[0:1]
	v_cmp_gt_i32_e64 s[0:1], s27, v27
	;; [unrolled: 3-line block ×3, first 2 shown]
	s_nop 1
	v_cndmask_b32_e64 v9, 0, v9, s[0:1]
.LBB19_45:                              ;   in Loop: Header=BB19_43 Depth=1
	s_or_b64 exec, exec, s[6:7]
	global_load_dwordx4 v[10:13], v[10:11], off offset:1024
	s_and_saveexec_b64 s[0:1], vcc
	s_cbranch_execz .LBB19_42
; %bb.46:                               ;   in Loop: Header=BB19_43 Depth=1
	v_cmp_gt_i32_e32 vcc, s27, v15
	s_waitcnt vmcnt(0)
	s_nop 0
	v_cndmask_b32_e32 v10, 0, v10, vcc
	v_cmp_gt_i32_e32 vcc, s27, v28
	s_nop 1
	v_cndmask_b32_e32 v11, 0, v11, vcc
	v_cmp_gt_i32_e32 vcc, s27, v27
	;; [unrolled: 3-line block ×3, first 2 shown]
	s_nop 1
	v_cndmask_b32_e32 v13, 0, v13, vcc
	s_branch .LBB19_42
.LBB19_47:
	s_or_b64 exec, exec, s[4:5]
.LBB19_48:
	s_or_b64 exec, exec, s[2:3]
	ds_bpermute_b32 v2, v23, v16
	ds_bpermute_b32 v3, v23, v17
	v_and_b32_e32 v4, 0x3c1, v0
	v_cmp_eq_u32_e32 vcc, 64, v4
	s_waitcnt lgkmcnt(0)
	s_barrier
	v_pk_add_f32 v[2:3], v[16:17], v[2:3]
	s_and_saveexec_b64 s[0:1], vcc
	s_cbranch_execz .LBB19_50
; %bb.49:
	v_mov_b32_e32 v5, 0x110
	v_lshl_add_u32 v5, v22, 1, v5
	ds_write2_b32 v5, v2, v3 offset1:32
.LBB19_50:
	s_or_b64 exec, exec, s[0:1]
	s_waitcnt lgkmcnt(0)
	s_barrier
	s_and_saveexec_b64 s[0:1], s[8:9]
	s_cbranch_execz .LBB19_56
; %bb.51:
	v_cmp_eq_u32_e32 vcc, 0, v24
	s_and_saveexec_b64 s[2:3], vcc
	s_cbranch_execz .LBB19_53
; %bb.52:
	v_mov_b32_e32 v5, 0x110
	v_lshl_add_u32 v5, v1, 2, v5
	ds_read_b32 v5, v5
	s_waitcnt lgkmcnt(0)
	v_add_f32_e32 v2, v2, v5
.LBB19_53:
	s_or_b64 exec, exec, s[2:3]
	s_and_saveexec_b64 s[2:3], vcc
	s_cbranch_execz .LBB19_55
; %bb.54:
	v_mov_b32_e32 v5, 0x110
	v_lshl_add_u32 v1, v1, 2, v5
	ds_read_b32 v1, v1 offset:128
	s_waitcnt lgkmcnt(0)
	v_add_f32_e32 v3, v3, v1
.LBB19_55:
	s_or_b64 exec, exec, s[2:3]
.LBB19_56:
	s_or_b64 exec, exec, s[0:1]
	v_cmp_eq_u32_e32 vcc, 0, v4
	s_barrier
	s_and_saveexec_b64 s[0:1], vcc
	s_cbranch_execz .LBB19_58
; %bb.57:
	s_lshl_b32 s0, s10, 6
	s_ashr_i32 s1, s0, 31
	s_lshl_b64 s[0:1], s[0:1], 2
	s_add_u32 s2, s24, s0
	s_mul_i32 s0, s15, s14
	s_addc_u32 s3, s25, s1
	s_ashr_i32 s1, s0, 31
	s_lshl_b64 s[0:1], s[0:1], 2
	s_add_u32 s2, s2, s0
	s_addc_u32 s3, s3, s1
	s_ashr_i32 s17, s16, 31
	s_lshl_b64 s[0:1], s[16:17], 2
	s_add_u32 s0, s2, s0
	s_addc_u32 s1, s3, s1
	v_lshlrev_b32_e32 v0, 1, v0
	global_store_dword v0, v2, s[0:1]
	global_store_dword v0, v3, s[0:1] offset:128
.LBB19_58:
	s_endpgm
	.section	.rodata,"a",@progbits
	.p2align	6, 0x0
	.amdhsa_kernel _ZN4vllm25paged_attention_v2_kernelIffLi64ELi8ELi128ELNS_18Fp8KVCacheDataTypeE0ELb0ELi512EEEvPfS2_PT_PKS3_PKT0_S9_ifPKiSB_iPKfiiiSD_SD_iiiii
		.amdhsa_group_segment_fixed_size 272
		.amdhsa_private_segment_fixed_size 0
		.amdhsa_kernarg_size 400
		.amdhsa_user_sgpr_count 2
		.amdhsa_user_sgpr_dispatch_ptr 0
		.amdhsa_user_sgpr_queue_ptr 0
		.amdhsa_user_sgpr_kernarg_segment_ptr 1
		.amdhsa_user_sgpr_dispatch_id 0
		.amdhsa_user_sgpr_kernarg_preload_length 0
		.amdhsa_user_sgpr_kernarg_preload_offset 0
		.amdhsa_user_sgpr_private_segment_size 0
		.amdhsa_uses_dynamic_stack 0
		.amdhsa_enable_private_segment 0
		.amdhsa_system_sgpr_workgroup_id_x 1
		.amdhsa_system_sgpr_workgroup_id_y 1
		.amdhsa_system_sgpr_workgroup_id_z 1
		.amdhsa_system_sgpr_workgroup_info 0
		.amdhsa_system_vgpr_workitem_id 0
		.amdhsa_next_free_vgpr 37
		.amdhsa_next_free_sgpr 44
		.amdhsa_accum_offset 40
		.amdhsa_reserve_vcc 1
		.amdhsa_float_round_mode_32 0
		.amdhsa_float_round_mode_16_64 0
		.amdhsa_float_denorm_mode_32 3
		.amdhsa_float_denorm_mode_16_64 3
		.amdhsa_dx10_clamp 1
		.amdhsa_ieee_mode 1
		.amdhsa_fp16_overflow 0
		.amdhsa_tg_split 0
		.amdhsa_exception_fp_ieee_invalid_op 0
		.amdhsa_exception_fp_denorm_src 0
		.amdhsa_exception_fp_ieee_div_zero 0
		.amdhsa_exception_fp_ieee_overflow 0
		.amdhsa_exception_fp_ieee_underflow 0
		.amdhsa_exception_fp_ieee_inexact 0
		.amdhsa_exception_int_div_zero 0
	.end_amdhsa_kernel
	.section	.text._ZN4vllm25paged_attention_v2_kernelIffLi64ELi8ELi128ELNS_18Fp8KVCacheDataTypeE0ELb0ELi512EEEvPfS2_PT_PKS3_PKT0_S9_ifPKiSB_iPKfiiiSD_SD_iiiii,"axG",@progbits,_ZN4vllm25paged_attention_v2_kernelIffLi64ELi8ELi128ELNS_18Fp8KVCacheDataTypeE0ELb0ELi512EEEvPfS2_PT_PKS3_PKT0_S9_ifPKiSB_iPKfiiiSD_SD_iiiii,comdat
.Lfunc_end19:
	.size	_ZN4vllm25paged_attention_v2_kernelIffLi64ELi8ELi128ELNS_18Fp8KVCacheDataTypeE0ELb0ELi512EEEvPfS2_PT_PKS3_PKT0_S9_ifPKiSB_iPKfiiiSD_SD_iiiii, .Lfunc_end19-_ZN4vllm25paged_attention_v2_kernelIffLi64ELi8ELi128ELNS_18Fp8KVCacheDataTypeE0ELb0ELi512EEEvPfS2_PT_PKS3_PKT0_S9_ifPKiSB_iPKfiiiSD_SD_iiiii
                                        ; -- End function
	.section	.AMDGPU.csdata,"",@progbits
; Kernel info:
; codeLenInByte = 3464
; NumSgprs: 50
; NumVgprs: 37
; NumAgprs: 0
; TotalNumVgprs: 37
; ScratchSize: 0
; MemoryBound: 0
; FloatMode: 240
; IeeeMode: 1
; LDSByteSize: 272 bytes/workgroup (compile time only)
; SGPRBlocks: 6
; VGPRBlocks: 4
; NumSGPRsForWavesPerEU: 50
; NumVGPRsForWavesPerEU: 37
; AccumOffset: 40
; Occupancy: 8
; WaveLimiterHint : 1
; COMPUTE_PGM_RSRC2:SCRATCH_EN: 0
; COMPUTE_PGM_RSRC2:USER_SGPR: 2
; COMPUTE_PGM_RSRC2:TRAP_HANDLER: 0
; COMPUTE_PGM_RSRC2:TGID_X_EN: 1
; COMPUTE_PGM_RSRC2:TGID_Y_EN: 1
; COMPUTE_PGM_RSRC2:TGID_Z_EN: 1
; COMPUTE_PGM_RSRC2:TIDIG_COMP_CNT: 0
; COMPUTE_PGM_RSRC3_GFX90A:ACCUM_OFFSET: 9
; COMPUTE_PGM_RSRC3_GFX90A:TG_SPLIT: 0
	.section	.text._ZN4vllm25paged_attention_v2_kernelIffLi80ELi8ELi128ELNS_18Fp8KVCacheDataTypeE0ELb0ELi512EEEvPfS2_PT_PKS3_PKT0_S9_ifPKiSB_iPKfiiiSD_SD_iiiii,"axG",@progbits,_ZN4vllm25paged_attention_v2_kernelIffLi80ELi8ELi128ELNS_18Fp8KVCacheDataTypeE0ELb0ELi512EEEvPfS2_PT_PKS3_PKT0_S9_ifPKiSB_iPKfiiiSD_SD_iiiii,comdat
	.protected	_ZN4vllm25paged_attention_v2_kernelIffLi80ELi8ELi128ELNS_18Fp8KVCacheDataTypeE0ELb0ELi512EEEvPfS2_PT_PKS3_PKT0_S9_ifPKiSB_iPKfiiiSD_SD_iiiii ; -- Begin function _ZN4vllm25paged_attention_v2_kernelIffLi80ELi8ELi128ELNS_18Fp8KVCacheDataTypeE0ELb0ELi512EEEvPfS2_PT_PKS3_PKT0_S9_ifPKiSB_iPKfiiiSD_SD_iiiii
	.globl	_ZN4vllm25paged_attention_v2_kernelIffLi80ELi8ELi128ELNS_18Fp8KVCacheDataTypeE0ELb0ELi512EEEvPfS2_PT_PKS3_PKT0_S9_ifPKiSB_iPKfiiiSD_SD_iiiii
	.p2align	8
	.type	_ZN4vllm25paged_attention_v2_kernelIffLi80ELi8ELi128ELNS_18Fp8KVCacheDataTypeE0ELb0ELi512EEEvPfS2_PT_PKS3_PKT0_S9_ifPKiSB_iPKfiiiSD_SD_iiiii,@function
_ZN4vllm25paged_attention_v2_kernelIffLi80ELi8ELi128ELNS_18Fp8KVCacheDataTypeE0ELb0ELi512EEEvPfS2_PT_PKS3_PKT0_S9_ifPKiSB_iPKfiiiSD_SD_iiiii: ; @_ZN4vllm25paged_attention_v2_kernelIffLi80ELi8ELi128ELNS_18Fp8KVCacheDataTypeE0ELb0ELi512EEEvPfS2_PT_PKS3_PKT0_S9_ifPKiSB_iPKfiiiSD_SD_iiiii
; %bb.0:
	s_load_dwordx2 s[6:7], s[0:1], 0x40
	s_mov_b32 s24, s3
	s_ashr_i32 s25, s3, 31
	s_lshl_b64 s[8:9], s[24:25], 2
	s_waitcnt lgkmcnt(0)
	s_add_u32 s6, s6, s8
	s_addc_u32 s7, s7, s9
	s_load_dword s25, s[6:7], 0x0
	s_lshl_b32 s40, s4, 9
	s_waitcnt lgkmcnt(0)
	s_cmp_ge_i32 s40, s25
	s_cbranch_scc1 .LBB20_70
; %bb.1:
	s_load_dword s5, s[0:1], 0x90
	s_load_dwordx2 s[10:11], s[0:1], 0x30
	s_mov_b32 s41, 0
	s_waitcnt lgkmcnt(0)
	s_abs_i32 s7, s5
	s_abs_i32 s3, s10
	v_cvt_f32_u32_e32 v1, s3
	s_sub_i32 s8, 0, s3
	s_xor_b32 s6, s5, s10
	s_ashr_i32 s6, s6, 31
	v_rcp_iflag_f32_e32 v1, v1
	s_nop 0
	v_mul_f32_e32 v1, 0x4f7ffffe, v1
	v_cvt_u32_f32_e32 v1, v1
	s_nop 0
	v_readfirstlane_b32 s9, v1
	s_mul_i32 s8, s8, s9
	s_mul_hi_u32 s8, s9, s8
	s_add_i32 s9, s9, s8
	s_mul_hi_u32 s8, s7, s9
	s_mul_i32 s9, s8, s3
	s_sub_i32 s7, s7, s9
	s_add_i32 s10, s8, 1
	s_sub_i32 s9, s7, s3
	s_cmp_ge_u32 s7, s3
	s_cselect_b32 s8, s10, s8
	s_cselect_b32 s7, s9, s7
	s_add_i32 s9, s8, 1
	s_cmp_ge_u32 s7, s3
	s_cselect_b32 s3, s9, s8
	s_xor_b32 s3, s3, s6
	s_sub_i32 s10, s3, s6
	s_abs_i32 s8, s10
	v_cvt_f32_u32_e32 v1, s8
	s_load_dwordx2 s[6:7], s[0:1], 0x50
	s_sub_i32 s3, 0, s8
	s_abs_i32 s9, s2
	v_rcp_iflag_f32_e32 v1, v1
	s_nop 0
	v_mul_f32_e32 v1, 0x4f7ffffe, v1
	v_cvt_u32_f32_e32 v1, v1
	s_nop 0
	v_readfirstlane_b32 s12, v1
	s_mul_i32 s3, s3, s12
	s_mul_hi_u32 s3, s12, s3
	s_add_i32 s12, s12, s3
	s_waitcnt lgkmcnt(0)
	s_cmp_eq_u64 s[6:7], 0
	s_mul_hi_u32 s16, s9, s12
	s_cbranch_scc1 .LBB20_3
; %bb.2:
	s_ashr_i32 s3, s2, 31
	s_lshl_b64 s[12:13], s[2:3], 2
	s_add_u32 s6, s6, s12
	s_addc_u32 s7, s7, s13
	s_load_dword s41, s[6:7], 0x0
.LBB20_3:
	s_load_dwordx4 s[12:15], s[0:1], 0x58
	s_movk_i32 s3, 0x50
	s_ashr_i32 s17, s2, 31
	s_ashr_i32 s18, s10, 31
	v_and_b32_e32 v12, 7, v0
	s_mul_i32 s20, s2, 0x50
	v_cmp_gt_u32_e32 vcc, s3, v0
	v_lshlrev_b32_e32 v18, 2, v0
	v_lshrrev_b32_e32 v1, 1, v0
	s_and_saveexec_b64 s[6:7], vcc
	s_cbranch_execz .LBB20_5
; %bb.4:
	s_load_dwordx2 s[22:23], s[0:1], 0x18
	s_waitcnt lgkmcnt(0)
	s_mul_i32 s26, s24, s12
	s_ashr_i32 s27, s26, 31
	s_lshl_b64 s[26:27], s[26:27], 2
	v_and_b32_e32 v3, 0x1fc, v1
	s_add_u32 s3, s22, s26
	s_addc_u32 s10, s23, s27
	s_ashr_i32 s21, s20, 31
	s_lshl_b64 s[22:23], s[20:21], 2
	s_add_u32 s22, s3, s22
	s_addc_u32 s23, s10, s23
	global_load_dword v2, v18, s[22:23]
	v_mad_u32_u24 v3, v12, 40, v3
	s_waitcnt vmcnt(0)
	ds_write_b32 v3, v2
.LBB20_5:
	s_or_b64 exec, exec, s[6:7]
	s_add_i32 s3, s25, 7
	s_ashr_i32 s6, s3, 31
	s_lshr_b32 s6, s6, 29
	s_add_i32 s3, s3, s6
	s_lshl_b32 s10, s4, 6
	s_mul_i32 s7, s16, s8
	s_ashr_i32 s3, s3, 3
	s_add_i32 s6, s10, 64
	s_sub_i32 s7, s9, s7
	s_min_i32 s33, s6, s3
	s_xor_b32 s6, s17, s18
	s_add_i32 s9, s16, 1
	s_waitcnt lgkmcnt(0)
	s_sub_i32 s12, s7, s8
	s_cmp_ge_u32 s7, s8
	s_cselect_b32 s9, s9, s16
	s_cselect_b32 s7, s12, s7
	s_add_i32 s12, s9, 1
	s_cmp_ge_u32 s7, s8
	s_load_dwordx2 s[26:27], s[0:1], 0x38
	s_load_dword s8, s[0:1], 0x48
	v_lshrrev_b32_e32 v22, 6, v0
	s_cselect_b32 s7, s12, s9
	s_xor_b32 s7, s7, s6
	v_or_b32_e32 v16, s10, v22
	s_waitcnt lgkmcnt(0)
	s_mul_i32 s28, s24, s8
	s_sub_i32 s12, s7, s6
	s_ashr_i32 s29, s28, 31
	v_cmp_gt_i32_e64 s[6:7], s33, v16
	v_cmp_le_i32_e32 vcc, s33, v16
	v_mbcnt_lo_u32_b32 v13, -1, 0
	s_barrier
	s_waitcnt lgkmcnt(0)
                                        ; implicit-def: $sgpr15
                                        ; implicit-def: $vgpr19
                                        ; implicit-def: $vgpr20
	s_and_saveexec_b64 s[8:9], vcc
	s_xor_b64 s[8:9], exec, s[8:9]
; %bb.6:
	v_mbcnt_hi_u32_b32 v19, -1, v13
	v_and_b32_e32 v2, 64, v19
	v_add_u32_e32 v20, 64, v2
	s_mov_b32 s15, 0xff7fffff
                                        ; implicit-def: $vgpr12
                                        ; implicit-def: $vgpr13
; %bb.7:
	s_or_saveexec_b64 s[34:35], s[8:9]
	s_load_dwordx4 s[16:19], s[0:1], 0x0
	s_load_dwordx2 s[22:23], s[0:1], 0x10
	s_load_dwordx2 s[30:31], s[0:1], 0x28
	s_load_dword s21, s[0:1], 0x98
	v_mov_b32_e32 v21, s15
	s_mul_i32 s14, s12, s14
	v_ashrrev_i32_e32 v17, 31, v16
	s_xor_b64 exec, exec, s[34:35]
	s_cbranch_execz .LBB20_13
; %bb.8:
	v_mbcnt_hi_u32_b32 v19, -1, v13
	s_load_dwordx2 s[0:1], s[0:1], 0x20
	v_and_b32_e32 v13, 64, v19
	v_add_u32_e32 v20, 64, v13
	v_xor_b32_e32 v13, 4, v19
	v_cmp_lt_i32_e32 vcc, v13, v20
	s_ashr_i32 s15, s14, 31
	s_lshl_b64 s[8:9], s[14:15], 2
	v_cndmask_b32_e32 v13, v19, v13, vcc
	v_lshlrev_b32_e32 v23, 2, v13
	v_xor_b32_e32 v13, 2, v19
	v_bfe_u32 v21, v0, 3, 3
	s_waitcnt lgkmcnt(0)
	s_add_u32 s0, s0, s8
	v_cmp_lt_i32_e32 vcc, v13, v20
	s_addc_u32 s1, s1, s9
	v_lshlrev_b32_e32 v14, 4, v21
	v_mov_b32_e32 v15, 0
	v_and_b32_e32 v4, 3, v0
	v_cndmask_b32_e32 v13, v19, v13, vcc
	v_lshl_add_u64 v[2:3], s[0:1], 0, v[14:15]
	v_lshlrev_b32_e32 v14, 2, v4
	v_mul_u32_u24_e32 v10, 40, v12
	v_lshlrev_b32_e32 v24, 2, v13
	v_xor_b32_e32 v13, 1, v19
	v_lshl_add_u64 v[26:27], v[2:3], 0, v[14:15]
	ds_read2_b64 v[2:5], v10 offset1:1
	ds_read2_b64 v[6:9], v10 offset0:2 offset1:3
	ds_read_b64 v[10:11], v10 offset:32
	v_cmp_lt_i32_e32 vcc, v13, v20
	s_sub_i32 s15, 1, s25
	s_lshl_b64 s[8:9], s[28:29], 2
	v_cndmask_b32_e32 v13, v19, v13, vcc
	v_cmp_eq_u32_e32 vcc, 0, v12
	v_lshlrev_b32_e32 v12, 5, v0
	v_and_b32_e32 v14, 0x80, v12
	v_lshlrev_b32_e32 v28, 2, v21
	v_lshlrev_b32_e32 v25, 2, v13
	v_lshl_add_u64 v[12:13], v[26:27], 0, v[14:15]
	v_lshlrev_b32_e32 v14, 3, v22
	s_add_u32 s8, s26, s8
	v_add3_u32 v26, s40, v14, v21
	v_lshl_or_b32 v14, v22, 5, v28
	s_addc_u32 s9, s27, s9
	s_mov_b32 s12, s13
	v_cmp_neq_f32_e64 s[0:1], s41, 0
	v_add_u32_e32 v27, 0x150, v14
	v_lshl_add_u64 v[14:15], v[16:17], 2, s[8:9]
	s_mov_b64 s[36:37], 0
	v_mov_b32_e32 v21, 0xff7fffff
	v_mov_b32_e32 v28, v16
	s_branch .LBB20_10
.LBB20_9:                               ;   in Loop: Header=BB20_10 Depth=1
	s_or_b64 exec, exec, s[38:39]
	v_add_u32_e32 v28, 2, v28
	v_cmp_le_i32_e64 s[8:9], s33, v28
	v_add_u32_e32 v26, 16, v26
	v_add_u32_e32 v27, 64, v27
	s_or_b64 s[36:37], s[8:9], s[36:37]
	v_lshl_add_u64 v[14:15], v[14:15], 0, 8
	s_andn2_b64 exec, exec, s[36:37]
	s_cbranch_execz .LBB20_12
.LBB20_10:                              ; =>This Inner Loop Header: Depth=1
	global_load_dword v29, v[14:15], off
	s_waitcnt vmcnt(0) lgkmcnt(0)
	v_mad_i64_i32 v[30:31], s[8:9], v29, s12, 0
	v_lshl_add_u64 v[30:31], v[30:31], 2, v[12:13]
	global_load_dword v29, v[30:31], off offset:256
	global_load_dword v32, v[30:31], off
	global_load_dword v33, v[30:31], off offset:512
	global_load_dword v34, v[30:31], off offset:768
	;; [unrolled: 1-line block ×8, first 2 shown]
	s_waitcnt vmcnt(9) lgkmcnt(2)
	v_mul_f32_e32 v29, v3, v29
	s_waitcnt vmcnt(8)
	v_fmac_f32_e32 v29, v2, v32
	s_waitcnt vmcnt(7)
	v_fmac_f32_e32 v29, v4, v33
	;; [unrolled: 2-line block ×3, first 2 shown]
	s_waitcnt vmcnt(5) lgkmcnt(1)
	v_fmac_f32_e32 v29, v6, v35
	s_waitcnt vmcnt(4)
	v_fmac_f32_e32 v29, v7, v36
	s_waitcnt vmcnt(3)
	;; [unrolled: 2-line block ×3, first 2 shown]
	v_fmac_f32_e32 v29, v9, v38
	s_waitcnt vmcnt(1) lgkmcnt(0)
	v_fmac_f32_e32 v29, v10, v39
	s_waitcnt vmcnt(0)
	v_fmac_f32_e32 v29, v11, v40
	ds_bpermute_b32 v30, v23, v29
	s_waitcnt lgkmcnt(0)
	v_add_f32_e32 v29, v29, v30
	ds_bpermute_b32 v30, v24, v29
	s_waitcnt lgkmcnt(0)
	v_add_f32_e32 v29, v29, v30
	ds_bpermute_b32 v30, v25, v29
	s_and_saveexec_b64 s[38:39], vcc
	s_cbranch_execz .LBB20_9
; %bb.11:                               ;   in Loop: Header=BB20_10 Depth=1
	v_add_u32_e32 v31, s15, v26
	v_cvt_f32_i32_e32 v31, v31
	s_waitcnt lgkmcnt(0)
	v_add_f32_e32 v29, v29, v30
	v_cmp_gt_i32_e64 s[8:9], s25, v26
	v_max_f32_e32 v30, v21, v21
	v_mul_f32_e32 v31, s41, v31
	v_cndmask_b32_e64 v31, 0, v31, s[0:1]
	v_fmac_f32_e32 v31, s11, v29
	v_cndmask_b32_e64 v29, 0, v31, s[8:9]
	ds_write_b32 v27, v29
	v_max_f32_e32 v29, v30, v31
	v_cndmask_b32_e64 v21, v21, v29, s[8:9]
	s_branch .LBB20_9
.LBB20_12:
	s_or_b64 exec, exec, s[36:37]
.LBB20_13:
	s_or_b64 exec, exec, s[34:35]
	v_xor_b32_e32 v2, 32, v19
	v_cmp_lt_i32_e32 vcc, v2, v20
	v_xor_b32_e32 v5, 16, v19
	v_max_f32_e32 v4, v21, v21
	v_cndmask_b32_e32 v2, v19, v2, vcc
	v_lshlrev_b32_e32 v3, 2, v2
	ds_bpermute_b32 v2, v3, v21
	v_cmp_lt_i32_e32 vcc, v5, v20
	v_xor_b32_e32 v6, 8, v19
	s_waitcnt lgkmcnt(0)
	v_max_f32_e32 v2, v2, v2
	v_max_f32_e32 v2, v4, v2
	v_cndmask_b32_e32 v4, v19, v5, vcc
	v_lshlrev_b32_e32 v7, 2, v4
	ds_bpermute_b32 v4, v7, v2
	v_cmp_lt_i32_e32 vcc, v6, v20
	s_waitcnt lgkmcnt(0)
	v_max_f32_e32 v4, v4, v4
	v_max_f32_e32 v5, v2, v4
	v_cndmask_b32_e32 v2, v19, v6, vcc
	v_lshlrev_b32_e32 v8, 2, v2
	ds_bpermute_b32 v6, v8, v5
	v_and_b32_e32 v4, 63, v0
	v_cmp_eq_u32_e32 vcc, 0, v4
	v_lshlrev_b32_e32 v2, 2, v22
	s_and_saveexec_b64 s[0:1], vcc
	s_cbranch_execz .LBB20_15
; %bb.14:
	s_waitcnt lgkmcnt(0)
	v_max_f32_e32 v6, v6, v6
	v_max_f32_e32 v5, v5, v5
	;; [unrolled: 1-line block ×3, first 2 shown]
	ds_write_b32 v2, v5 offset:320
.LBB20_15:
	s_or_b64 exec, exec, s[0:1]
	v_cmp_gt_u32_e64 s[0:1], 2, v4
	v_mov_b32_e32 v5, 0xff7fffff
	s_waitcnt lgkmcnt(0)
	v_lshlrev_b32_e32 v6, 2, v4
	s_barrier
	s_and_saveexec_b64 s[8:9], s[0:1]
	s_cbranch_execz .LBB20_17
; %bb.16:
	ds_read_b32 v5, v6 offset:320
.LBB20_17:
	s_or_b64 exec, exec, s[8:9]
	v_xor_b32_e32 v9, 1, v19
	v_cmp_lt_i32_e64 s[8:9], v9, v20
	v_mov_b32_e32 v10, 0
	s_nop 0
	v_cndmask_b32_e64 v9, v19, v9, s[8:9]
	v_lshlrev_b32_e32 v15, 2, v9
	s_waitcnt lgkmcnt(0)
	ds_bpermute_b32 v9, v15, v5
	v_max_f32_e32 v5, v5, v5
	s_sub_i32 s8, s33, s10
	s_lshl_b32 s8, s8, 3
	s_add_i32 s8, s8, s40
	s_waitcnt lgkmcnt(0)
	v_max_f32_e32 v9, v9, v9
	v_max_f32_e32 v5, v5, v9
	v_lshlrev_b32_e32 v9, 2, v19
	v_and_b32_e32 v9, 0xffffff00, v9
	ds_bpermute_b32 v5, v9, v5
	s_min_i32 s15, s8, s25
	s_sub_i32 s12, s15, s40
	v_cmp_gt_i32_e64 s[8:9], s12, v0
	s_and_saveexec_b64 s[34:35], s[8:9]
	s_cbranch_execz .LBB20_21
; %bb.18:
	v_mov_b32_e32 v10, 0x150
	v_lshl_add_u32 v11, v0, 2, v10
	s_mov_b64 s[36:37], 0
	v_mov_b32_e32 v10, 0
	v_mov_b32_e32 v12, v0
.LBB20_19:                              ; =>This Inner Loop Header: Depth=1
	ds_read_b32 v13, v11
	v_add_u32_e32 v12, 0x80, v12
	v_cmp_le_i32_e64 s[10:11], s12, v12
	s_or_b64 s[36:37], s[10:11], s[36:37]
	s_waitcnt lgkmcnt(0)
	v_sub_f32_e32 v13, v13, v5
	v_mul_f32_e32 v13, 0x3fb8aa3b, v13
	v_exp_f32_e32 v13, v13
	ds_write_b32 v11, v13
	v_add_f32_e32 v10, v10, v13
	v_add_u32_e32 v11, 0x200, v11
	s_andn2_b64 exec, exec, s[36:37]
	s_cbranch_execnz .LBB20_19
; %bb.20:
	s_or_b64 exec, exec, s[36:37]
.LBB20_21:
	s_or_b64 exec, exec, s[34:35]
	ds_bpermute_b32 v3, v3, v10
	s_waitcnt lgkmcnt(0)
	v_add_f32_e32 v3, v10, v3
	ds_bpermute_b32 v7, v7, v3
	s_waitcnt lgkmcnt(0)
	v_add_f32_e32 v3, v3, v7
	ds_bpermute_b32 v7, v8, v3
	v_xor_b32_e32 v8, 4, v19
	v_cmp_lt_i32_e64 s[10:11], v8, v20
	s_waitcnt lgkmcnt(0)
	v_add_f32_e32 v3, v3, v7
	v_cndmask_b32_e64 v8, v19, v8, s[10:11]
	v_lshlrev_b32_e32 v8, 2, v8
	ds_bpermute_b32 v7, v8, v3
	v_xor_b32_e32 v8, 2, v19
	v_cmp_lt_i32_e64 s[10:11], v8, v20
	s_waitcnt lgkmcnt(0)
	v_add_f32_e32 v3, v3, v7
	v_cndmask_b32_e64 v8, v19, v8, s[10:11]
	v_lshlrev_b32_e32 v7, 2, v8
	ds_bpermute_b32 v7, v7, v3
	s_waitcnt lgkmcnt(0)
	v_add_f32_e32 v3, v3, v7
	ds_bpermute_b32 v7, v15, v3
	s_waitcnt lgkmcnt(0)
	v_add_f32_e32 v3, v3, v7
	s_and_saveexec_b64 s[10:11], vcc
	s_cbranch_execz .LBB20_23
; %bb.22:
	ds_write_b32 v2, v3 offset:328
.LBB20_23:
	s_or_b64 exec, exec, s[10:11]
	s_waitcnt lgkmcnt(0)
	s_barrier
	s_and_saveexec_b64 s[10:11], s[0:1]
	s_cbranch_execz .LBB20_25
; %bb.24:
	ds_read_b32 v3, v6 offset:328
.LBB20_25:
	s_or_b64 exec, exec, s[10:11]
	s_waitcnt lgkmcnt(0)
	ds_bpermute_b32 v2, v15, v3
	s_waitcnt lgkmcnt(0)
	v_add_f32_e32 v2, v3, v2
	ds_bpermute_b32 v6, v9, v2
	s_and_saveexec_b64 s[0:1], s[8:9]
	s_cbranch_execz .LBB20_38
; %bb.26:
	s_waitcnt lgkmcnt(0)
	v_add_f32_e32 v2, 0x358637bd, v6
	v_div_scale_f32 v3, s[8:9], v2, v2, 1.0
	v_rcp_f32_e32 v7, v3
	v_div_scale_f32 v8, vcc, 1.0, v2, 1.0
	s_movk_i32 s8, 0x7f
	v_fma_f32 v9, -v3, v7, 1.0
	v_fmac_f32_e32 v7, v9, v7
	v_mul_f32_e32 v9, v8, v7
	v_fma_f32 v10, -v3, v9, v8
	v_fmac_f32_e32 v9, v10, v7
	v_fma_f32 v3, -v3, v9, v8
	v_div_fmas_f32 v3, v3, v7, v9
	v_div_fixup_f32 v2, v3, v2, 1.0
	v_xad_u32 v3, v0, -1, s15
	v_subrev_u32_e32 v7, s40, v3
	v_cmp_lt_u32_e32 vcc, s8, v7
	s_mov_b64 s[10:11], -1
	v_mov_b32_e32 v3, v0
	s_and_saveexec_b64 s[8:9], vcc
	s_cbranch_execz .LBB20_35
; %bb.27:
	v_lshrrev_b32_e32 v7, 7, v7
	v_add_u32_e32 v9, -1, v7
	v_lshrrev_b32_e32 v8, 1, v9
	v_mov_b32_e32 v3, v2
	v_add_u32_e32 v8, 1, v8
	v_cmp_lt_u32_e32 vcc, 13, v9
	v_mov_b32_e32 v11, 0
	s_and_saveexec_b64 s[10:11], vcc
	s_cbranch_execz .LBB20_31
; %bb.28:
	v_mov_b32_e32 v10, 0x150
	v_and_b32_e32 v9, -8, v8
	v_lshl_add_u32 v10, v0, 2, v10
	s_mov_b32 s15, 0
	s_mov_b64 s[34:35], 0
.LBB20_29:                              ; =>This Inner Loop Header: Depth=1
	ds_read2st64_b32 v[12:13], v10 offset1:2
	ds_read2st64_b32 v[20:21], v10 offset0:4 offset1:6
	ds_read2st64_b32 v[24:25], v10 offset0:8 offset1:10
	;; [unrolled: 1-line block ×3, first 2 shown]
	v_add_u32_e32 v9, -8, v9
	s_waitcnt lgkmcnt(3)
	v_pk_mul_f32 v[12:13], v[2:3], v[12:13]
	s_waitcnt lgkmcnt(2)
	v_pk_mul_f32 v[20:21], v[2:3], v[20:21]
	ds_write2st64_b32 v10, v12, v13 offset1:2
	ds_write2st64_b32 v10, v20, v21 offset0:4 offset1:6
	ds_read2st64_b32 v[20:21], v10 offset0:16 offset1:18
	s_waitcnt lgkmcnt(4)
	v_pk_mul_f32 v[12:13], v[2:3], v[24:25]
	ds_write2st64_b32 v10, v12, v13 offset0:8 offset1:10
	s_waitcnt lgkmcnt(4)
	v_pk_mul_f32 v[12:13], v[2:3], v[26:27]
	ds_write2st64_b32 v10, v12, v13 offset0:12 offset1:14
	ds_read2st64_b32 v[12:13], v10 offset0:20 offset1:22
	s_waitcnt lgkmcnt(3)
	v_pk_mul_f32 v[20:21], v[2:3], v[20:21]
	ds_read2st64_b32 v[24:25], v10 offset0:24 offset1:26
	ds_write2st64_b32 v10, v20, v21 offset0:16 offset1:18
	ds_read2st64_b32 v[20:21], v10 offset0:28 offset1:30
	s_waitcnt lgkmcnt(3)
	v_pk_mul_f32 v[12:13], v[2:3], v[12:13]
	ds_write2st64_b32 v10, v12, v13 offset0:20 offset1:22
	s_waitcnt lgkmcnt(3)
	v_pk_mul_f32 v[12:13], v[2:3], v[24:25]
	ds_write2st64_b32 v10, v12, v13 offset0:24 offset1:26
	s_waitcnt lgkmcnt(2)
	v_pk_mul_f32 v[12:13], v[2:3], v[20:21]
	s_add_i32 s15, s15, 16
	v_cmp_eq_u32_e32 vcc, 0, v9
	ds_write2st64_b32 v10, v12, v13 offset0:28 offset1:30
	v_add_u32_e32 v10, 0x2000, v10
	s_or_b64 s[34:35], vcc, s[34:35]
	v_mov_b32_e32 v11, s15
	s_andn2_b64 exec, exec, s[34:35]
	s_cbranch_execnz .LBB20_29
; %bb.30:
	s_or_b64 exec, exec, s[34:35]
.LBB20_31:
	s_or_b64 exec, exec, s[10:11]
	v_and_b32_e32 v8, 7, v8
	v_cmp_ne_u32_e32 vcc, 0, v8
	s_and_saveexec_b64 s[10:11], vcc
	s_cbranch_execz .LBB20_34
; %bb.32:
	v_lshlrev_b32_e32 v9, 9, v11
	s_movk_i32 s15, 0x150
	v_add3_u32 v9, v9, v18, s15
	s_mov_b64 s[34:35], 0
.LBB20_33:                              ; =>This Inner Loop Header: Depth=1
	ds_read2st64_b32 v[10:11], v9 offset1:2
	v_add_u32_e32 v8, -1, v8
	v_cmp_eq_u32_e32 vcc, 0, v8
	s_or_b64 s[34:35], vcc, s[34:35]
	s_waitcnt lgkmcnt(0)
	v_pk_mul_f32 v[10:11], v[2:3], v[10:11]
	ds_write2st64_b32 v9, v10, v11 offset1:2
	v_add_u32_e32 v9, 0x400, v9
	s_andn2_b64 exec, exec, s[34:35]
	s_cbranch_execnz .LBB20_33
.LBB20_34:
	s_or_b64 exec, exec, s[10:11]
	v_add_u32_e32 v7, 1, v7
	v_and_b32_e32 v8, 0x3fffffe, v7
	v_cmp_ne_u32_e32 vcc, v7, v8
	v_lshl_add_u32 v3, v8, 7, v0
	s_orn2_b64 s[10:11], vcc, exec
.LBB20_35:
	s_or_b64 exec, exec, s[8:9]
	s_and_b64 exec, exec, s[10:11]
	s_cbranch_execz .LBB20_38
; %bb.36:
	v_mov_b32_e32 v7, 0x150
	v_lshl_add_u32 v7, v3, 2, v7
	s_mov_b64 s[8:9], 0
.LBB20_37:                              ; =>This Inner Loop Header: Depth=1
	ds_read_b32 v8, v7
	v_add_u32_e32 v3, 0x80, v3
	v_cmp_le_i32_e32 vcc, s12, v3
	s_or_b64 s[8:9], vcc, s[8:9]
	s_waitcnt lgkmcnt(0)
	v_mul_f32_e32 v8, v2, v8
	ds_write_b32 v7, v8
	v_add_u32_e32 v7, 0x200, v7
	s_andn2_b64 exec, exec, s[8:9]
	s_cbranch_execnz .LBB20_37
.LBB20_38:
	s_or_b64 exec, exec, s[0:1]
	s_mul_i32 s0, s21, s24
	v_cmp_eq_u32_e32 vcc, 0, v0
	s_mul_i32 s8, s0, s5
	s_waitcnt lgkmcnt(0)
	s_barrier
	s_and_saveexec_b64 s[0:1], vcc
	s_cbranch_execz .LBB20_40
; %bb.39:
	s_ashr_i32 s9, s8, 31
	s_lshl_b64 s[10:11], s[8:9], 2
	s_add_u32 s5, s18, s10
	s_mul_i32 s18, s21, s2
	s_addc_u32 s9, s19, s11
	s_ashr_i32 s19, s18, 31
	s_lshl_b64 s[18:19], s[18:19], 2
	s_add_u32 s2, s5, s18
	s_addc_u32 s9, s9, s19
	s_ashr_i32 s5, s4, 31
	s_lshl_b64 s[34:35], s[4:5], 2
	s_add_u32 s36, s2, s34
	s_addc_u32 s37, s9, s35
	s_add_u32 s2, s16, s10
	s_addc_u32 s5, s17, s11
	;; [unrolled: 2-line block ×3, first 2 shown]
	s_add_u32 s10, s2, s34
	v_mov_b32_e32 v2, 0
	s_addc_u32 s11, s5, s35
	global_store_dword v2, v5, s[36:37]
	global_store_dword v2, v6, s[10:11]
.LBB20_40:
	s_or_b64 exec, exec, s[0:1]
	v_mov_b32_e32 v14, 0
	v_lshrrev_b32_e32 v29, 1, v4
	v_and_b32_e32 v28, 1, v0
	v_mov_b32_e32 v21, v14
	v_mov_b32_e32 v20, v14
	s_and_saveexec_b64 s[10:11], s[6:7]
	s_cbranch_execz .LBB20_52
; %bb.41:
	s_ashr_i32 s15, s14, 31
	s_lshl_b64 s[0:1], s[14:15], 2
	s_add_u32 s6, s30, s0
	v_or_b32_e32 v4, 64, v29
	s_movk_i32 s0, 0x50
	v_and_b32_e32 v3, 4, v18
	s_addc_u32 s7, s31, s1
	s_add_i32 s9, s3, -1
	v_cmp_gt_u32_e32 vcc, s0, v4
	v_lshl_add_u32 v5, v22, 3, s40
	s_lshl_b64 s[0:1], s[28:29], 2
	v_lshl_or_b32 v2, v29, 3, v3
	v_lshl_or_b32 v4, v4, 3, v3
	v_add3_u32 v30, v5, v3, 3
	v_lshlrev_b32_e32 v3, 4, v28
	s_add_u32 s0, s26, s0
	v_mov_b32_e32 v19, 0
	v_lshl_or_b32 v3, v22, 5, v3
	s_addc_u32 s1, s27, s1
	s_mov_b32 s5, s13
	v_add_u32_e32 v31, 0x150, v3
	v_lshl_add_u64 v[22:23], v[16:17], 2, s[0:1]
	s_mov_b64 s[12:13], 0
	v_lshlrev_b32_e32 v24, 2, v2
	v_mov_b32_e32 v25, v19
	v_lshlrev_b32_e32 v18, 2, v4
	v_mov_b32_e32 v20, v19
	v_mov_b32_e32 v21, v19
	;; [unrolled: 1-line block ×3, first 2 shown]
	s_branch .LBB20_44
.LBB20_42:                              ;   in Loop: Header=BB20_44 Depth=1
	s_or_b64 exec, exec, s[14:15]
	s_waitcnt vmcnt(0)
	v_mul_f32_e32 v3, v3, v7
	v_fmac_f32_e32 v3, v2, v6
	v_fmac_f32_e32 v3, v4, v8
	;; [unrolled: 1-line block ×3, first 2 shown]
	v_add_f32_e32 v14, v14, v3
.LBB20_43:                              ;   in Loop: Header=BB20_44 Depth=1
	s_or_b64 exec, exec, s[2:3]
	v_add_u32_e32 v16, 2, v16
	v_cmp_le_i32_e64 s[0:1], s33, v16
	v_add_u32_e32 v30, 16, v30
	v_add_u32_e32 v31, 64, v31
	s_or_b64 s[12:13], s[0:1], s[12:13]
	v_lshl_add_u64 v[22:23], v[22:23], 0, 8
	s_andn2_b64 exec, exec, s[12:13]
	s_cbranch_execz .LBB20_51
.LBB20_44:                              ; =>This Inner Loop Header: Depth=1
	global_load_dword v2, v[22:23], off
	v_add_u32_e32 v17, -3, v30
	s_waitcnt vmcnt(0)
	v_mad_i64_i32 v[2:3], s[0:1], v2, s5, 0
	v_lshl_add_u64 v[26:27], v[2:3], 2, s[6:7]
	v_lshl_add_u64 v[10:11], v[26:27], 0, v[24:25]
	global_load_dwordx4 v[6:9], v[10:11], off
	ds_read_b128 v[2:5], v31
	v_cmp_eq_u32_e64 s[0:1], s9, v16
	s_and_saveexec_b64 s[14:15], s[0:1]
	s_cbranch_execz .LBB20_46
; %bb.45:                               ;   in Loop: Header=BB20_44 Depth=1
	v_cmp_gt_i32_e64 s[2:3], s25, v17
	v_add_u32_e32 v12, -2, v30
	s_waitcnt vmcnt(0)
	v_cndmask_b32_e64 v6, 0, v6, s[2:3]
	v_cmp_gt_i32_e64 s[2:3], s25, v12
	v_add_u32_e32 v12, -1, v30
	s_nop 0
	v_cndmask_b32_e64 v7, 0, v7, s[2:3]
	v_cmp_gt_i32_e64 s[2:3], s25, v12
	s_nop 1
	v_cndmask_b32_e64 v8, 0, v8, s[2:3]
	v_cmp_gt_i32_e64 s[2:3], s25, v30
	s_nop 1
	v_cndmask_b32_e64 v9, 0, v9, s[2:3]
.LBB20_46:                              ;   in Loop: Header=BB20_44 Depth=1
	s_or_b64 exec, exec, s[14:15]
	global_load_dwordx4 v[10:13], v[10:11], off offset:1024
	s_and_saveexec_b64 s[14:15], s[0:1]
	s_cbranch_execz .LBB20_48
; %bb.47:                               ;   in Loop: Header=BB20_44 Depth=1
	v_cmp_gt_i32_e64 s[2:3], s25, v17
	v_add_u32_e32 v32, -2, v30
	s_waitcnt vmcnt(0)
	v_cndmask_b32_e64 v10, 0, v10, s[2:3]
	v_cmp_gt_i32_e64 s[2:3], s25, v32
	v_add_u32_e32 v32, -1, v30
	s_nop 0
	v_cndmask_b32_e64 v11, 0, v11, s[2:3]
	v_cmp_gt_i32_e64 s[2:3], s25, v32
	s_nop 1
	v_cndmask_b32_e64 v12, 0, v12, s[2:3]
	v_cmp_gt_i32_e64 s[2:3], s25, v30
	s_nop 1
	v_cndmask_b32_e64 v13, 0, v13, s[2:3]
.LBB20_48:                              ;   in Loop: Header=BB20_44 Depth=1
	s_or_b64 exec, exec, s[14:15]
	s_waitcnt vmcnt(1) lgkmcnt(0)
	v_mul_f32_e32 v7, v3, v7
	v_fmac_f32_e32 v7, v2, v6
	s_waitcnt vmcnt(0)
	v_mul_f32_e32 v6, v3, v11
	v_fmac_f32_e32 v6, v2, v10
	v_fmac_f32_e32 v7, v4, v8
	;; [unrolled: 1-line block ×5, first 2 shown]
	v_add_f32_e32 v20, v20, v7
	v_add_f32_e32 v21, v21, v6
	s_and_saveexec_b64 s[2:3], vcc
	s_cbranch_execz .LBB20_43
; %bb.49:                               ;   in Loop: Header=BB20_44 Depth=1
	v_lshl_add_u64 v[6:7], v[26:27], 0, v[18:19]
	global_load_dwordx4 v[6:9], v[6:7], off
	s_and_saveexec_b64 s[14:15], s[0:1]
	s_cbranch_execz .LBB20_42
; %bb.50:                               ;   in Loop: Header=BB20_44 Depth=1
	v_cmp_gt_i32_e64 s[0:1], s25, v17
	v_add_u32_e32 v10, -2, v30
	s_waitcnt vmcnt(0)
	v_cndmask_b32_e64 v6, 0, v6, s[0:1]
	v_cmp_gt_i32_e64 s[0:1], s25, v10
	v_add_u32_e32 v10, -1, v30
	s_nop 0
	v_cndmask_b32_e64 v7, 0, v7, s[0:1]
	v_cmp_gt_i32_e64 s[0:1], s25, v10
	s_nop 1
	v_cndmask_b32_e64 v8, 0, v8, s[0:1]
	v_cmp_gt_i32_e64 s[0:1], s25, v30
	s_nop 1
	v_cndmask_b32_e64 v9, 0, v9, s[0:1]
	s_branch .LBB20_42
.LBB20_51:
	s_or_b64 exec, exec, s[12:13]
.LBB20_52:
	s_or_b64 exec, exec, s[10:11]
	ds_bpermute_b32 v2, v15, v20
	ds_bpermute_b32 v3, v15, v21
	;; [unrolled: 1-line block ×3, first 2 shown]
	v_and_b32_e32 v5, 0x3c0, v0
	v_cmp_eq_u32_e32 vcc, 64, v5
	s_waitcnt lgkmcnt(0)
	v_pk_add_f32 v[2:3], v[20:21], v[2:3]
	v_add_f32_e32 v4, v14, v4
	s_barrier
	s_and_saveexec_b64 s[2:3], vcc
	s_cbranch_execz .LBB20_57
; %bb.53:
	v_cmp_eq_u32_e32 vcc, 0, v28
	s_and_saveexec_b64 s[0:1], vcc
	s_cbranch_execz .LBB20_55
; %bb.54:
	v_mov_b32_e32 v5, 0x150
	v_lshl_add_u32 v5, v29, 2, v5
	ds_write2_b32 v5, v2, v3 offset1:32
.LBB20_55:
	s_or_b64 exec, exec, s[0:1]
	v_or_b32_e32 v5, 64, v29
	s_movk_i32 s0, 0x50
	v_cmp_gt_u32_e64 s[0:1], s0, v5
	s_and_b64 s[0:1], vcc, s[0:1]
	s_and_b64 exec, exec, s[0:1]
	s_cbranch_execz .LBB20_57
; %bb.56:
	v_mov_b32_e32 v5, 0x150
	v_lshl_add_u32 v5, v29, 2, v5
	ds_write_b32 v5, v4 offset:256
.LBB20_57:
	s_or_b64 exec, exec, s[2:3]
	v_cmp_gt_u32_e32 vcc, 64, v0
	s_waitcnt lgkmcnt(0)
	s_barrier
	s_and_saveexec_b64 s[6:7], vcc
	s_cbranch_execz .LBB20_65
; %bb.58:
	v_cmp_eq_u32_e64 s[0:1], 0, v28
	s_and_saveexec_b64 s[2:3], s[0:1]
	s_cbranch_execz .LBB20_60
; %bb.59:
	v_mov_b32_e32 v0, 0x150
	v_lshl_add_u32 v0, v1, 2, v0
	ds_read_b32 v0, v0
	s_waitcnt lgkmcnt(0)
	v_add_f32_e32 v2, v2, v0
.LBB20_60:
	s_or_b64 exec, exec, s[2:3]
	s_and_saveexec_b64 s[2:3], s[0:1]
	s_cbranch_execz .LBB20_62
; %bb.61:
	v_mov_b32_e32 v0, 0x150
	v_lshl_add_u32 v0, v1, 2, v0
	ds_read_b32 v0, v0 offset:128
	s_waitcnt lgkmcnt(0)
	v_add_f32_e32 v3, v3, v0
.LBB20_62:
	s_or_b64 exec, exec, s[2:3]
	v_or_b32_e32 v0, 64, v1
	s_movk_i32 s2, 0x50
	v_cmp_gt_u32_e64 s[2:3], s2, v0
	s_and_b64 s[2:3], s[0:1], s[2:3]
	s_and_saveexec_b64 s[0:1], s[2:3]
	s_cbranch_execz .LBB20_64
; %bb.63:
	v_mov_b32_e32 v0, 0x150
	v_lshl_add_u32 v0, v1, 2, v0
	ds_read_b32 v0, v0 offset:256
	s_waitcnt lgkmcnt(0)
	v_add_f32_e32 v4, v4, v0
.LBB20_64:
	s_or_b64 exec, exec, s[0:1]
.LBB20_65:
	s_or_b64 exec, exec, s[6:7]
	s_barrier
	s_and_saveexec_b64 s[0:1], vcc
	s_cbranch_execz .LBB20_70
; %bb.66:
	s_mul_i32 s0, s8, 0x50
	s_ashr_i32 s1, s0, 31
	s_lshl_b64 s[0:1], s[0:1], 2
	s_add_u32 s2, s22, s0
	s_mul_i32 s0, s21, s20
	s_addc_u32 s3, s23, s1
	s_ashr_i32 s1, s0, 31
	s_lshl_b64 s[0:1], s[0:1], 2
	s_add_u32 s2, s2, s0
	s_mul_i32 s0, s4, 0x50
	s_addc_u32 s3, s3, s1
	s_ashr_i32 s1, s0, 31
	s_lshl_b64 s[0:1], s[0:1], 2
	s_add_u32 s2, s2, s0
	s_movk_i32 s5, 0x50
	s_addc_u32 s3, s3, s1
	v_cmp_eq_u32_e32 vcc, 0, v28
	v_lshlrev_b32_e32 v0, 2, v1
	s_and_saveexec_b64 s[0:1], vcc
	s_cbranch_execz .LBB20_68
; %bb.67:
	global_store_dword v0, v2, s[2:3]
	global_store_dword v0, v3, s[2:3] offset:128
.LBB20_68:
	s_or_b64 exec, exec, s[0:1]
	v_or_b32_e32 v1, 64, v1
	v_cmp_gt_u32_e64 s[0:1], s5, v1
	s_and_b64 s[0:1], vcc, s[0:1]
	s_and_b64 exec, exec, s[0:1]
	s_cbranch_execz .LBB20_70
; %bb.69:
	global_store_dword v0, v4, s[2:3] offset:256
.LBB20_70:
	s_endpgm
	.section	.rodata,"a",@progbits
	.p2align	6, 0x0
	.amdhsa_kernel _ZN4vllm25paged_attention_v2_kernelIffLi80ELi8ELi128ELNS_18Fp8KVCacheDataTypeE0ELb0ELi512EEEvPfS2_PT_PKS3_PKT0_S9_ifPKiSB_iPKfiiiSD_SD_iiiii
		.amdhsa_group_segment_fixed_size 336
		.amdhsa_private_segment_fixed_size 0
		.amdhsa_kernarg_size 400
		.amdhsa_user_sgpr_count 2
		.amdhsa_user_sgpr_dispatch_ptr 0
		.amdhsa_user_sgpr_queue_ptr 0
		.amdhsa_user_sgpr_kernarg_segment_ptr 1
		.amdhsa_user_sgpr_dispatch_id 0
		.amdhsa_user_sgpr_kernarg_preload_length 0
		.amdhsa_user_sgpr_kernarg_preload_offset 0
		.amdhsa_user_sgpr_private_segment_size 0
		.amdhsa_uses_dynamic_stack 0
		.amdhsa_enable_private_segment 0
		.amdhsa_system_sgpr_workgroup_id_x 1
		.amdhsa_system_sgpr_workgroup_id_y 1
		.amdhsa_system_sgpr_workgroup_id_z 1
		.amdhsa_system_sgpr_workgroup_info 0
		.amdhsa_system_vgpr_workitem_id 0
		.amdhsa_next_free_vgpr 41
		.amdhsa_next_free_sgpr 42
		.amdhsa_accum_offset 44
		.amdhsa_reserve_vcc 1
		.amdhsa_float_round_mode_32 0
		.amdhsa_float_round_mode_16_64 0
		.amdhsa_float_denorm_mode_32 3
		.amdhsa_float_denorm_mode_16_64 3
		.amdhsa_dx10_clamp 1
		.amdhsa_ieee_mode 1
		.amdhsa_fp16_overflow 0
		.amdhsa_tg_split 0
		.amdhsa_exception_fp_ieee_invalid_op 0
		.amdhsa_exception_fp_denorm_src 0
		.amdhsa_exception_fp_ieee_div_zero 0
		.amdhsa_exception_fp_ieee_overflow 0
		.amdhsa_exception_fp_ieee_underflow 0
		.amdhsa_exception_fp_ieee_inexact 0
		.amdhsa_exception_int_div_zero 0
	.end_amdhsa_kernel
	.section	.text._ZN4vllm25paged_attention_v2_kernelIffLi80ELi8ELi128ELNS_18Fp8KVCacheDataTypeE0ELb0ELi512EEEvPfS2_PT_PKS3_PKT0_S9_ifPKiSB_iPKfiiiSD_SD_iiiii,"axG",@progbits,_ZN4vllm25paged_attention_v2_kernelIffLi80ELi8ELi128ELNS_18Fp8KVCacheDataTypeE0ELb0ELi512EEEvPfS2_PT_PKS3_PKT0_S9_ifPKiSB_iPKfiiiSD_SD_iiiii,comdat
.Lfunc_end20:
	.size	_ZN4vllm25paged_attention_v2_kernelIffLi80ELi8ELi128ELNS_18Fp8KVCacheDataTypeE0ELb0ELi512EEEvPfS2_PT_PKS3_PKT0_S9_ifPKiSB_iPKfiiiSD_SD_iiiii, .Lfunc_end20-_ZN4vllm25paged_attention_v2_kernelIffLi80ELi8ELi128ELNS_18Fp8KVCacheDataTypeE0ELb0ELi512EEEvPfS2_PT_PKS3_PKT0_S9_ifPKiSB_iPKfiiiSD_SD_iiiii
                                        ; -- End function
	.section	.AMDGPU.csdata,"",@progbits
; Kernel info:
; codeLenInByte = 3964
; NumSgprs: 48
; NumVgprs: 41
; NumAgprs: 0
; TotalNumVgprs: 41
; ScratchSize: 0
; MemoryBound: 0
; FloatMode: 240
; IeeeMode: 1
; LDSByteSize: 336 bytes/workgroup (compile time only)
; SGPRBlocks: 5
; VGPRBlocks: 5
; NumSGPRsForWavesPerEU: 48
; NumVGPRsForWavesPerEU: 41
; AccumOffset: 44
; Occupancy: 8
; WaveLimiterHint : 1
; COMPUTE_PGM_RSRC2:SCRATCH_EN: 0
; COMPUTE_PGM_RSRC2:USER_SGPR: 2
; COMPUTE_PGM_RSRC2:TRAP_HANDLER: 0
; COMPUTE_PGM_RSRC2:TGID_X_EN: 1
; COMPUTE_PGM_RSRC2:TGID_Y_EN: 1
; COMPUTE_PGM_RSRC2:TGID_Z_EN: 1
; COMPUTE_PGM_RSRC2:TIDIG_COMP_CNT: 0
; COMPUTE_PGM_RSRC3_GFX90A:ACCUM_OFFSET: 10
; COMPUTE_PGM_RSRC3_GFX90A:TG_SPLIT: 0
	.section	.text._ZN4vllm25paged_attention_v2_kernelIffLi96ELi8ELi128ELNS_18Fp8KVCacheDataTypeE0ELb0ELi512EEEvPfS2_PT_PKS3_PKT0_S9_ifPKiSB_iPKfiiiSD_SD_iiiii,"axG",@progbits,_ZN4vllm25paged_attention_v2_kernelIffLi96ELi8ELi128ELNS_18Fp8KVCacheDataTypeE0ELb0ELi512EEEvPfS2_PT_PKS3_PKT0_S9_ifPKiSB_iPKfiiiSD_SD_iiiii,comdat
	.protected	_ZN4vllm25paged_attention_v2_kernelIffLi96ELi8ELi128ELNS_18Fp8KVCacheDataTypeE0ELb0ELi512EEEvPfS2_PT_PKS3_PKT0_S9_ifPKiSB_iPKfiiiSD_SD_iiiii ; -- Begin function _ZN4vllm25paged_attention_v2_kernelIffLi96ELi8ELi128ELNS_18Fp8KVCacheDataTypeE0ELb0ELi512EEEvPfS2_PT_PKS3_PKT0_S9_ifPKiSB_iPKfiiiSD_SD_iiiii
	.globl	_ZN4vllm25paged_attention_v2_kernelIffLi96ELi8ELi128ELNS_18Fp8KVCacheDataTypeE0ELb0ELi512EEEvPfS2_PT_PKS3_PKT0_S9_ifPKiSB_iPKfiiiSD_SD_iiiii
	.p2align	8
	.type	_ZN4vllm25paged_attention_v2_kernelIffLi96ELi8ELi128ELNS_18Fp8KVCacheDataTypeE0ELb0ELi512EEEvPfS2_PT_PKS3_PKT0_S9_ifPKiSB_iPKfiiiSD_SD_iiiii,@function
_ZN4vllm25paged_attention_v2_kernelIffLi96ELi8ELi128ELNS_18Fp8KVCacheDataTypeE0ELb0ELi512EEEvPfS2_PT_PKS3_PKT0_S9_ifPKiSB_iPKfiiiSD_SD_iiiii: ; @_ZN4vllm25paged_attention_v2_kernelIffLi96ELi8ELi128ELNS_18Fp8KVCacheDataTypeE0ELb0ELi512EEEvPfS2_PT_PKS3_PKT0_S9_ifPKiSB_iPKfiiiSD_SD_iiiii
; %bb.0:
	s_load_dwordx2 s[6:7], s[0:1], 0x40
	s_mov_b32 s24, s3
	s_ashr_i32 s25, s3, 31
	s_lshl_b64 s[8:9], s[24:25], 2
	s_waitcnt lgkmcnt(0)
	s_add_u32 s6, s6, s8
	s_addc_u32 s7, s7, s9
	s_load_dword s25, s[6:7], 0x0
	s_lshl_b32 s33, s4, 9
	s_waitcnt lgkmcnt(0)
	s_cmp_ge_i32 s33, s25
	s_cbranch_scc1 .LBB21_60
; %bb.1:
	s_load_dword s5, s[0:1], 0x90
	s_load_dwordx2 s[10:11], s[0:1], 0x30
	s_waitcnt lgkmcnt(0)
	s_abs_i32 s7, s5
	s_abs_i32 s3, s10
	v_cvt_f32_u32_e32 v1, s3
	s_sub_i32 s8, 0, s3
	s_xor_b32 s6, s5, s10
	s_ashr_i32 s6, s6, 31
	v_rcp_iflag_f32_e32 v1, v1
	s_nop 0
	v_mul_f32_e32 v1, 0x4f7ffffe, v1
	v_cvt_u32_f32_e32 v1, v1
	s_nop 0
	v_readfirstlane_b32 s9, v1
	s_mul_i32 s8, s8, s9
	s_mul_hi_u32 s8, s9, s8
	s_add_i32 s9, s9, s8
	s_mul_hi_u32 s8, s7, s9
	s_mul_i32 s9, s8, s3
	s_sub_i32 s7, s7, s9
	s_add_i32 s10, s8, 1
	s_sub_i32 s9, s7, s3
	s_cmp_ge_u32 s7, s3
	s_cselect_b32 s8, s10, s8
	s_cselect_b32 s7, s9, s7
	s_add_i32 s9, s8, 1
	s_cmp_ge_u32 s7, s3
	s_cselect_b32 s3, s9, s8
	s_xor_b32 s3, s3, s6
	s_sub_i32 s12, s3, s6
	s_abs_i32 s8, s12
	v_cvt_f32_u32_e32 v1, s8
	s_load_dwordx2 s[6:7], s[0:1], 0x50
	s_sub_i32 s3, 0, s8
	s_abs_i32 s9, s2
	v_rcp_iflag_f32_e32 v1, v1
	s_mov_b32 s10, 0
	v_mul_f32_e32 v1, 0x4f7ffffe, v1
	v_cvt_u32_f32_e32 v1, v1
	s_nop 0
	v_readfirstlane_b32 s13, v1
	s_mul_i32 s3, s3, s13
	s_mul_hi_u32 s3, s13, s3
	s_add_i32 s13, s13, s3
	s_waitcnt lgkmcnt(0)
	s_cmp_eq_u64 s[6:7], 0
	s_mul_hi_u32 s16, s9, s13
	s_cbranch_scc1 .LBB21_3
; %bb.2:
	s_ashr_i32 s3, s2, 31
	s_lshl_b64 s[14:15], s[2:3], 2
	s_add_u32 s6, s6, s14
	s_addc_u32 s7, s7, s15
	s_load_dword s10, s[6:7], 0x0
.LBB21_3:
	s_ashr_i32 s18, s12, 31
	s_load_dwordx4 s[12:15], s[0:1], 0x58
	s_movk_i32 s3, 0x60
	s_ashr_i32 s17, s2, 31
	v_and_b32_e32 v14, 7, v0
	s_mul_i32 s20, s2, 0x60
	v_cmp_gt_u32_e32 vcc, s3, v0
	v_lshlrev_b32_e32 v22, 2, v0
	v_lshrrev_b32_e32 v1, 1, v0
	s_and_saveexec_b64 s[6:7], vcc
	s_cbranch_execz .LBB21_5
; %bb.4:
	s_load_dwordx2 s[22:23], s[0:1], 0x18
	s_waitcnt lgkmcnt(0)
	s_mul_i32 s26, s24, s12
	s_ashr_i32 s27, s26, 31
	s_lshl_b64 s[26:27], s[26:27], 2
	v_and_b32_e32 v3, 0x1fc, v1
	s_add_u32 s3, s22, s26
	s_addc_u32 s12, s23, s27
	s_ashr_i32 s21, s20, 31
	s_lshl_b64 s[22:23], s[20:21], 2
	s_add_u32 s22, s3, s22
	s_addc_u32 s23, s12, s23
	global_load_dword v2, v22, s[22:23]
	v_mad_u32_u24 v3, v14, 48, v3
	s_waitcnt vmcnt(0)
	ds_write_b32 v3, v2
.LBB21_5:
	s_or_b64 exec, exec, s[6:7]
	s_add_i32 s3, s25, 7
	s_ashr_i32 s6, s3, 31
	s_lshr_b32 s6, s6, 29
	s_add_i32 s3, s3, s6
	s_ashr_i32 s40, s3, 3
	s_lshl_b32 s3, s4, 6
	s_mul_i32 s7, s16, s8
	s_add_i32 s6, s3, 64
	s_sub_i32 s7, s9, s7
	s_min_i32 s21, s6, s40
	s_xor_b32 s6, s17, s18
	s_add_i32 s9, s16, 1
	s_waitcnt lgkmcnt(0)
	s_sub_i32 s12, s7, s8
	s_cmp_ge_u32 s7, s8
	s_cselect_b32 s9, s9, s16
	s_cselect_b32 s7, s12, s7
	s_add_i32 s12, s9, 1
	s_cmp_ge_u32 s7, s8
	s_load_dwordx2 s[26:27], s[0:1], 0x38
	s_load_dword s8, s[0:1], 0x48
	v_lshrrev_b32_e32 v24, 6, v0
	s_cselect_b32 s7, s12, s9
	s_xor_b32 s7, s7, s6
	v_or_b32_e32 v18, s3, v24
	s_waitcnt lgkmcnt(0)
	s_mul_i32 s28, s24, s8
	s_sub_i32 s15, s7, s6
	s_ashr_i32 s29, s28, 31
	v_cmp_gt_i32_e64 s[6:7], s21, v18
	v_cmp_le_i32_e32 vcc, s21, v18
	v_mbcnt_lo_u32_b32 v15, -1, 0
	s_barrier
	s_waitcnt lgkmcnt(0)
                                        ; implicit-def: $sgpr36
                                        ; implicit-def: $vgpr20
                                        ; implicit-def: $vgpr21
	s_and_saveexec_b64 s[8:9], vcc
	s_xor_b64 s[8:9], exec, s[8:9]
; %bb.6:
	v_mbcnt_hi_u32_b32 v20, -1, v15
	v_and_b32_e32 v2, 64, v20
	v_add_u32_e32 v21, 64, v2
	s_mov_b32 s36, 0xff7fffff
                                        ; implicit-def: $vgpr14
                                        ; implicit-def: $vgpr15
; %bb.7:
	s_or_saveexec_b64 s[34:35], s[8:9]
	s_load_dwordx4 s[16:19], s[0:1], 0x0
	s_load_dwordx2 s[22:23], s[0:1], 0x10
	s_load_dwordx2 s[30:31], s[0:1], 0x28
	s_load_dword s12, s[0:1], 0x98
	v_mov_b32_e32 v23, s36
	s_mul_i32 s14, s15, s14
	v_ashrrev_i32_e32 v19, 31, v18
	s_xor_b64 exec, exec, s[34:35]
	s_cbranch_execz .LBB21_13
; %bb.8:
	v_mbcnt_hi_u32_b32 v20, -1, v15
	s_load_dwordx2 s[0:1], s[0:1], 0x20
	v_and_b32_e32 v15, 64, v20
	v_add_u32_e32 v21, 64, v15
	v_xor_b32_e32 v15, 4, v20
	v_cmp_lt_i32_e32 vcc, v15, v21
	s_ashr_i32 s15, s14, 31
	s_lshl_b64 s[8:9], s[14:15], 2
	v_cndmask_b32_e32 v15, v20, v15, vcc
	v_lshlrev_b32_e32 v25, 2, v15
	v_xor_b32_e32 v15, 2, v20
	v_bfe_u32 v23, v0, 3, 3
	s_waitcnt lgkmcnt(0)
	s_add_u32 s0, s0, s8
	v_cmp_lt_i32_e32 vcc, v15, v21
	s_addc_u32 s1, s1, s9
	v_lshlrev_b32_e32 v16, 4, v23
	v_mov_b32_e32 v17, 0
	v_and_b32_e32 v4, 3, v0
	v_cndmask_b32_e32 v15, v20, v15, vcc
	v_lshl_add_u64 v[2:3], s[0:1], 0, v[16:17]
	v_lshlrev_b32_e32 v16, 2, v4
	v_mul_u32_u24_e32 v10, 48, v14
	v_lshlrev_b32_e32 v26, 2, v15
	v_xor_b32_e32 v15, 1, v20
	v_lshl_add_u64 v[28:29], v[2:3], 0, v[16:17]
	ds_read_b128 v[2:5], v10
	ds_read_b128 v[6:9], v10 offset:16
	ds_read_b128 v[10:13], v10 offset:32
	v_cmp_lt_i32_e32 vcc, v15, v21
	s_sub_i32 s15, 1, s25
	s_lshl_b64 s[8:9], s[28:29], 2
	v_cndmask_b32_e32 v15, v20, v15, vcc
	v_cmp_eq_u32_e32 vcc, 0, v14
	v_lshlrev_b32_e32 v14, 5, v0
	v_and_b32_e32 v16, 0x80, v14
	v_lshlrev_b32_e32 v30, 2, v23
	v_lshlrev_b32_e32 v27, 2, v15
	v_lshl_add_u64 v[14:15], v[28:29], 0, v[16:17]
	v_lshlrev_b32_e32 v16, 3, v24
	s_add_u32 s8, s26, s8
	v_add3_u32 v28, s33, v16, v23
	v_lshl_or_b32 v16, v24, 5, v30
	s_addc_u32 s9, s27, s9
	s_mov_b32 s41, s13
	v_cmp_neq_f32_e64 s[0:1], s10, 0
	v_add_u32_e32 v29, 0x190, v16
	v_lshl_add_u64 v[16:17], v[18:19], 2, s[8:9]
	s_mov_b64 s[36:37], 0
	v_mov_b32_e32 v23, 0xff7fffff
	v_mov_b32_e32 v30, v18
	s_branch .LBB21_10
.LBB21_9:                               ;   in Loop: Header=BB21_10 Depth=1
	s_or_b64 exec, exec, s[38:39]
	v_add_u32_e32 v30, 2, v30
	v_cmp_le_i32_e64 s[8:9], s21, v30
	v_add_u32_e32 v28, 16, v28
	v_add_u32_e32 v29, 64, v29
	s_or_b64 s[36:37], s[8:9], s[36:37]
	v_lshl_add_u64 v[16:17], v[16:17], 0, 8
	s_andn2_b64 exec, exec, s[36:37]
	s_cbranch_execz .LBB21_12
.LBB21_10:                              ; =>This Inner Loop Header: Depth=1
	global_load_dword v31, v[16:17], off
	s_waitcnt vmcnt(0) lgkmcnt(0)
	v_mad_i64_i32 v[32:33], s[8:9], v31, s41, 0
	v_lshl_add_u64 v[32:33], v[32:33], 2, v[14:15]
	global_load_dword v31, v[32:33], off offset:256
	global_load_dword v34, v[32:33], off
	global_load_dword v35, v[32:33], off offset:512
	global_load_dword v36, v[32:33], off offset:768
	;; [unrolled: 1-line block ×10, first 2 shown]
	s_waitcnt vmcnt(11) lgkmcnt(2)
	v_mul_f32_e32 v31, v3, v31
	s_waitcnt vmcnt(10)
	v_fmac_f32_e32 v31, v2, v34
	s_waitcnt vmcnt(9)
	v_fmac_f32_e32 v31, v4, v35
	;; [unrolled: 2-line block ×3, first 2 shown]
	s_waitcnt vmcnt(7) lgkmcnt(1)
	v_fmac_f32_e32 v31, v6, v37
	s_waitcnt vmcnt(6)
	v_fmac_f32_e32 v31, v7, v38
	s_waitcnt vmcnt(5)
	;; [unrolled: 2-line block ×3, first 2 shown]
	v_fmac_f32_e32 v31, v9, v40
	s_waitcnt vmcnt(3) lgkmcnt(0)
	v_fmac_f32_e32 v31, v10, v41
	s_waitcnt vmcnt(2)
	v_fmac_f32_e32 v31, v11, v42
	s_waitcnt vmcnt(1)
	;; [unrolled: 2-line block ×3, first 2 shown]
	v_fmac_f32_e32 v31, v13, v44
	ds_bpermute_b32 v32, v25, v31
	s_waitcnt lgkmcnt(0)
	v_add_f32_e32 v31, v31, v32
	ds_bpermute_b32 v32, v26, v31
	s_waitcnt lgkmcnt(0)
	v_add_f32_e32 v31, v31, v32
	ds_bpermute_b32 v32, v27, v31
	s_and_saveexec_b64 s[38:39], vcc
	s_cbranch_execz .LBB21_9
; %bb.11:                               ;   in Loop: Header=BB21_10 Depth=1
	v_add_u32_e32 v33, s15, v28
	v_cvt_f32_i32_e32 v33, v33
	s_waitcnt lgkmcnt(0)
	v_add_f32_e32 v31, v31, v32
	v_cmp_gt_i32_e64 s[8:9], s25, v28
	v_max_f32_e32 v32, v23, v23
	v_mul_f32_e32 v33, s10, v33
	v_cndmask_b32_e64 v33, 0, v33, s[0:1]
	v_fmac_f32_e32 v33, s11, v31
	v_cndmask_b32_e64 v31, 0, v33, s[8:9]
	ds_write_b32 v29, v31
	v_max_f32_e32 v31, v32, v33
	v_cndmask_b32_e64 v23, v23, v31, s[8:9]
	s_branch .LBB21_9
.LBB21_12:
	s_or_b64 exec, exec, s[36:37]
.LBB21_13:
	s_or_b64 exec, exec, s[34:35]
	v_xor_b32_e32 v2, 32, v20
	v_cmp_lt_i32_e32 vcc, v2, v21
	v_xor_b32_e32 v5, 16, v20
	v_max_f32_e32 v4, v23, v23
	v_cndmask_b32_e32 v2, v20, v2, vcc
	v_lshlrev_b32_e32 v3, 2, v2
	ds_bpermute_b32 v2, v3, v23
	v_cmp_lt_i32_e32 vcc, v5, v21
	v_and_b32_e32 v26, 63, v0
	s_waitcnt lgkmcnt(0)
	v_max_f32_e32 v2, v2, v2
	v_max_f32_e32 v2, v4, v2
	v_cndmask_b32_e32 v4, v20, v5, vcc
	v_lshlrev_b32_e32 v6, 2, v4
	ds_bpermute_b32 v4, v6, v2
	v_xor_b32_e32 v5, 8, v20
	v_cmp_lt_i32_e32 vcc, v5, v21
	s_waitcnt lgkmcnt(0)
	v_max_f32_e32 v4, v4, v4
	v_max_f32_e32 v4, v2, v4
	v_cndmask_b32_e32 v2, v20, v5, vcc
	v_lshlrev_b32_e32 v7, 2, v2
	ds_bpermute_b32 v5, v7, v4
	v_cmp_eq_u32_e32 vcc, 0, v26
	v_lshlrev_b32_e32 v2, 2, v24
	s_and_saveexec_b64 s[0:1], vcc
	s_cbranch_execz .LBB21_15
; %bb.14:
	s_waitcnt lgkmcnt(0)
	v_max_f32_e32 v5, v5, v5
	v_max_f32_e32 v4, v4, v4
	;; [unrolled: 1-line block ×3, first 2 shown]
	ds_write_b32 v2, v4 offset:384
.LBB21_15:
	s_or_b64 exec, exec, s[0:1]
	v_cmp_gt_u32_e64 s[0:1], 2, v26
	v_mov_b32_e32 v4, 0xff7fffff
	s_waitcnt lgkmcnt(0)
	v_lshlrev_b32_e32 v5, 2, v26
	s_barrier
	s_and_saveexec_b64 s[8:9], s[0:1]
	s_cbranch_execz .LBB21_17
; %bb.16:
	ds_read_b32 v4, v5 offset:384
.LBB21_17:
	s_or_b64 exec, exec, s[8:9]
	v_xor_b32_e32 v8, 1, v20
	v_cmp_lt_i32_e64 s[8:9], v8, v21
	s_sub_i32 s3, s21, s3
	s_lshl_b32 s3, s3, 3
	v_cndmask_b32_e64 v8, v20, v8, s[8:9]
	v_lshlrev_b32_e32 v27, 2, v8
	s_waitcnt lgkmcnt(0)
	ds_bpermute_b32 v8, v27, v4
	v_max_f32_e32 v4, v4, v4
	s_add_i32 s3, s3, s33
	s_min_i32 s15, s3, s25
	s_sub_i32 s3, s15, s33
	s_waitcnt lgkmcnt(0)
	v_max_f32_e32 v8, v8, v8
	v_max_f32_e32 v4, v4, v8
	v_lshlrev_b32_e32 v8, 2, v20
	v_and_b32_e32 v8, 0xffffff00, v8
	ds_bpermute_b32 v4, v8, v4
	v_cmp_gt_i32_e64 s[8:9], s3, v0
	v_mov_b32_e32 v9, 0
	s_and_saveexec_b64 s[34:35], s[8:9]
	s_cbranch_execz .LBB21_21
; %bb.18:
	v_mov_b32_e32 v9, 0x190
	v_lshl_add_u32 v10, v0, 2, v9
	s_mov_b64 s[36:37], 0
	v_mov_b32_e32 v9, 0
	v_mov_b32_e32 v11, v0
.LBB21_19:                              ; =>This Inner Loop Header: Depth=1
	ds_read_b32 v12, v10
	v_add_u32_e32 v11, 0x80, v11
	v_cmp_le_i32_e64 s[10:11], s3, v11
	s_or_b64 s[36:37], s[10:11], s[36:37]
	s_waitcnt lgkmcnt(0)
	v_sub_f32_e32 v12, v12, v4
	v_mul_f32_e32 v12, 0x3fb8aa3b, v12
	v_exp_f32_e32 v12, v12
	ds_write_b32 v10, v12
	v_add_f32_e32 v9, v9, v12
	v_add_u32_e32 v10, 0x200, v10
	s_andn2_b64 exec, exec, s[36:37]
	s_cbranch_execnz .LBB21_19
; %bb.20:
	s_or_b64 exec, exec, s[36:37]
.LBB21_21:
	s_or_b64 exec, exec, s[34:35]
	ds_bpermute_b32 v3, v3, v9
	s_waitcnt lgkmcnt(0)
	v_add_f32_e32 v3, v9, v3
	ds_bpermute_b32 v6, v6, v3
	s_waitcnt lgkmcnt(0)
	v_add_f32_e32 v3, v3, v6
	ds_bpermute_b32 v6, v7, v3
	v_xor_b32_e32 v7, 4, v20
	v_cmp_lt_i32_e64 s[10:11], v7, v21
	s_waitcnt lgkmcnt(0)
	v_add_f32_e32 v3, v3, v6
	v_cndmask_b32_e64 v7, v20, v7, s[10:11]
	v_lshlrev_b32_e32 v7, 2, v7
	ds_bpermute_b32 v6, v7, v3
	v_xor_b32_e32 v7, 2, v20
	v_cmp_lt_i32_e64 s[10:11], v7, v21
	s_waitcnt lgkmcnt(0)
	v_add_f32_e32 v3, v3, v6
	v_cndmask_b32_e64 v7, v20, v7, s[10:11]
	v_lshlrev_b32_e32 v6, 2, v7
	ds_bpermute_b32 v6, v6, v3
	s_waitcnt lgkmcnt(0)
	v_add_f32_e32 v3, v3, v6
	ds_bpermute_b32 v6, v27, v3
	s_waitcnt lgkmcnt(0)
	v_add_f32_e32 v3, v3, v6
	s_and_saveexec_b64 s[10:11], vcc
	s_cbranch_execz .LBB21_23
; %bb.22:
	ds_write_b32 v2, v3 offset:392
.LBB21_23:
	s_or_b64 exec, exec, s[10:11]
	s_waitcnt lgkmcnt(0)
	s_barrier
	s_and_saveexec_b64 s[10:11], s[0:1]
	s_cbranch_execz .LBB21_25
; %bb.24:
	ds_read_b32 v3, v5 offset:392
.LBB21_25:
	s_or_b64 exec, exec, s[10:11]
	s_waitcnt lgkmcnt(0)
	ds_bpermute_b32 v2, v27, v3
	s_waitcnt lgkmcnt(0)
	v_add_f32_e32 v2, v3, v2
	ds_bpermute_b32 v5, v8, v2
	s_and_saveexec_b64 s[0:1], s[8:9]
	s_cbranch_execz .LBB21_38
; %bb.26:
	s_waitcnt lgkmcnt(0)
	v_add_f32_e32 v2, 0x358637bd, v5
	v_div_scale_f32 v3, s[8:9], v2, v2, 1.0
	v_rcp_f32_e32 v6, v3
	v_div_scale_f32 v7, vcc, 1.0, v2, 1.0
	s_movk_i32 s8, 0x7f
	v_fma_f32 v8, -v3, v6, 1.0
	v_fmac_f32_e32 v6, v8, v6
	v_mul_f32_e32 v8, v7, v6
	v_fma_f32 v9, -v3, v8, v7
	v_fmac_f32_e32 v8, v9, v6
	v_fma_f32 v3, -v3, v8, v7
	v_div_fmas_f32 v3, v3, v6, v8
	v_div_fixup_f32 v2, v3, v2, 1.0
	v_xad_u32 v3, v0, -1, s15
	v_subrev_u32_e32 v6, s33, v3
	v_cmp_lt_u32_e32 vcc, s8, v6
	s_mov_b64 s[10:11], -1
	v_mov_b32_e32 v3, v0
	s_and_saveexec_b64 s[8:9], vcc
	s_cbranch_execz .LBB21_35
; %bb.27:
	v_lshrrev_b32_e32 v6, 7, v6
	v_add_u32_e32 v8, -1, v6
	v_lshrrev_b32_e32 v7, 1, v8
	v_mov_b32_e32 v3, v2
	v_add_u32_e32 v7, 1, v7
	v_cmp_lt_u32_e32 vcc, 13, v8
	v_mov_b32_e32 v10, 0
	s_and_saveexec_b64 s[10:11], vcc
	s_cbranch_execz .LBB21_31
; %bb.28:
	v_mov_b32_e32 v9, 0x190
	v_and_b32_e32 v8, -8, v7
	v_lshl_add_u32 v9, v0, 2, v9
	s_mov_b32 s15, 0
	s_mov_b64 s[34:35], 0
.LBB21_29:                              ; =>This Inner Loop Header: Depth=1
	ds_read2st64_b32 v[10:11], v9 offset1:2
	ds_read2st64_b32 v[12:13], v9 offset0:4 offset1:6
	ds_read2st64_b32 v[14:15], v9 offset0:8 offset1:10
	;; [unrolled: 1-line block ×3, first 2 shown]
	v_add_u32_e32 v8, -8, v8
	s_waitcnt lgkmcnt(3)
	v_pk_mul_f32 v[10:11], v[2:3], v[10:11]
	s_waitcnt lgkmcnt(2)
	v_pk_mul_f32 v[12:13], v[2:3], v[12:13]
	ds_write2st64_b32 v9, v10, v11 offset1:2
	ds_write2st64_b32 v9, v12, v13 offset0:4 offset1:6
	ds_read2st64_b32 v[12:13], v9 offset0:16 offset1:18
	s_waitcnt lgkmcnt(4)
	v_pk_mul_f32 v[10:11], v[2:3], v[14:15]
	ds_write2st64_b32 v9, v10, v11 offset0:8 offset1:10
	s_waitcnt lgkmcnt(4)
	v_pk_mul_f32 v[10:11], v[2:3], v[16:17]
	ds_write2st64_b32 v9, v10, v11 offset0:12 offset1:14
	ds_read2st64_b32 v[10:11], v9 offset0:20 offset1:22
	s_waitcnt lgkmcnt(3)
	v_pk_mul_f32 v[12:13], v[2:3], v[12:13]
	ds_read2st64_b32 v[14:15], v9 offset0:24 offset1:26
	ds_write2st64_b32 v9, v12, v13 offset0:16 offset1:18
	ds_read2st64_b32 v[12:13], v9 offset0:28 offset1:30
	s_waitcnt lgkmcnt(3)
	v_pk_mul_f32 v[10:11], v[2:3], v[10:11]
	ds_write2st64_b32 v9, v10, v11 offset0:20 offset1:22
	s_waitcnt lgkmcnt(3)
	v_pk_mul_f32 v[10:11], v[2:3], v[14:15]
	ds_write2st64_b32 v9, v10, v11 offset0:24 offset1:26
	s_waitcnt lgkmcnt(2)
	v_pk_mul_f32 v[10:11], v[2:3], v[12:13]
	s_add_i32 s15, s15, 16
	v_cmp_eq_u32_e32 vcc, 0, v8
	ds_write2st64_b32 v9, v10, v11 offset0:28 offset1:30
	v_add_u32_e32 v9, 0x2000, v9
	s_or_b64 s[34:35], vcc, s[34:35]
	v_mov_b32_e32 v10, s15
	s_andn2_b64 exec, exec, s[34:35]
	s_cbranch_execnz .LBB21_29
; %bb.30:
	s_or_b64 exec, exec, s[34:35]
.LBB21_31:
	s_or_b64 exec, exec, s[10:11]
	v_and_b32_e32 v7, 7, v7
	v_cmp_ne_u32_e32 vcc, 0, v7
	s_and_saveexec_b64 s[10:11], vcc
	s_cbranch_execz .LBB21_34
; %bb.32:
	v_lshlrev_b32_e32 v8, 9, v10
	s_movk_i32 s15, 0x190
	v_add3_u32 v8, v8, v22, s15
	s_mov_b64 s[34:35], 0
.LBB21_33:                              ; =>This Inner Loop Header: Depth=1
	ds_read2st64_b32 v[10:11], v8 offset1:2
	v_add_u32_e32 v7, -1, v7
	v_cmp_eq_u32_e32 vcc, 0, v7
	s_or_b64 s[34:35], vcc, s[34:35]
	s_waitcnt lgkmcnt(0)
	v_pk_mul_f32 v[10:11], v[2:3], v[10:11]
	ds_write2st64_b32 v8, v10, v11 offset1:2
	v_add_u32_e32 v8, 0x400, v8
	s_andn2_b64 exec, exec, s[34:35]
	s_cbranch_execnz .LBB21_33
.LBB21_34:
	s_or_b64 exec, exec, s[10:11]
	v_add_u32_e32 v6, 1, v6
	v_and_b32_e32 v7, 0x3fffffe, v6
	v_cmp_ne_u32_e32 vcc, v6, v7
	v_lshl_add_u32 v3, v7, 7, v0
	s_orn2_b64 s[10:11], vcc, exec
.LBB21_35:
	s_or_b64 exec, exec, s[8:9]
	s_and_b64 exec, exec, s[10:11]
	s_cbranch_execz .LBB21_38
; %bb.36:
	v_mov_b32_e32 v6, 0x190
	v_lshl_add_u32 v6, v3, 2, v6
	s_mov_b64 s[8:9], 0
.LBB21_37:                              ; =>This Inner Loop Header: Depth=1
	ds_read_b32 v7, v6
	v_add_u32_e32 v3, 0x80, v3
	v_cmp_le_i32_e32 vcc, s3, v3
	s_or_b64 s[8:9], vcc, s[8:9]
	s_waitcnt lgkmcnt(0)
	v_mul_f32_e32 v7, v2, v7
	ds_write_b32 v6, v7
	v_add_u32_e32 v6, 0x200, v6
	s_andn2_b64 exec, exec, s[8:9]
	s_cbranch_execnz .LBB21_37
.LBB21_38:
	s_or_b64 exec, exec, s[0:1]
	s_mul_i32 s0, s12, s24
	v_cmp_eq_u32_e32 vcc, 0, v0
	s_mul_i32 s8, s0, s5
	s_waitcnt lgkmcnt(0)
	s_barrier
	s_and_saveexec_b64 s[0:1], vcc
	s_cbranch_execz .LBB21_40
; %bb.39:
	s_ashr_i32 s9, s8, 31
	s_lshl_b64 s[10:11], s[8:9], 2
	s_add_u32 s5, s18, s10
	s_mul_i32 s2, s12, s2
	s_addc_u32 s9, s19, s11
	s_ashr_i32 s3, s2, 31
	s_lshl_b64 s[2:3], s[2:3], 2
	s_add_u32 s15, s5, s2
	s_addc_u32 s9, s9, s3
	s_ashr_i32 s5, s4, 31
	s_lshl_b64 s[18:19], s[4:5], 2
	s_add_u32 s34, s15, s18
	s_addc_u32 s35, s9, s19
	s_add_u32 s5, s16, s10
	s_addc_u32 s9, s17, s11
	;; [unrolled: 2-line block ×3, first 2 shown]
	s_add_u32 s2, s2, s18
	v_mov_b32_e32 v2, 0
	s_addc_u32 s3, s3, s19
	global_store_dword v2, v4, s[34:35]
	global_store_dword v2, v5, s[2:3]
.LBB21_40:
	s_or_b64 exec, exec, s[0:1]
	v_mov_b32_e32 v29, 0
	v_and_b32_e32 v28, 1, v0
	v_mov_b32_e32 v21, 0
	v_mov_b32_e32 v20, 0
	s_and_saveexec_b64 s[2:3], s[6:7]
	s_cbranch_execz .LBB21_50
; %bb.41:
	s_ashr_i32 s15, s14, 31
	s_lshl_b64 s[0:1], s[14:15], 2
	s_add_u32 s0, s30, s0
	v_lshlrev_b32_e32 v3, 4, v0
	s_addc_u32 s1, s31, s1
	v_and_b32_e32 v20, 0x3f0, v3
	v_mov_b32_e32 v21, 0
	v_and_b32_e32 v2, 4, v22
	s_add_i32 s40, s40, -1
	v_lshl_add_u64 v[22:23], s[0:1], 0, v[20:21]
	v_lshl_add_u32 v3, v24, 3, s33
	s_lshl_b64 s[0:1], s[28:29], 2
	v_add3_u32 v30, v3, v2, 3
	v_lshlrev_b32_e32 v2, 4, v28
	s_add_u32 s0, s26, s0
	v_lshl_or_b32 v2, v24, 5, v2
	s_addc_u32 s1, s27, s1
	s_mov_b32 s5, s13
	v_add_u32_e32 v31, 0x190, v2
	v_lshl_add_u64 v[24:25], v[18:19], 2, s[0:1]
	s_mov_b64 s[6:7], 0
	v_mov_b32_e32 v20, v21
	v_mov_b32_e32 v29, v21
	s_branch .LBB21_43
.LBB21_42:                              ;   in Loop: Header=BB21_43 Depth=1
	s_or_b64 exec, exec, s[0:1]
	s_waitcnt vmcnt(2) lgkmcnt(0)
	v_mul_f32_e32 v7, v3, v7
	v_fmac_f32_e32 v7, v2, v6
	s_waitcnt vmcnt(1)
	v_mul_f32_e32 v6, v3, v11
	s_waitcnt vmcnt(0)
	v_mul_f32_e32 v3, v3, v15
	v_fmac_f32_e32 v6, v2, v10
	v_fmac_f32_e32 v3, v2, v14
	;; [unrolled: 1-line block ×5, first 2 shown]
	v_add_u32_e32 v18, 2, v18
	v_fmac_f32_e32 v7, v5, v9
	v_fmac_f32_e32 v6, v5, v13
	;; [unrolled: 1-line block ×3, first 2 shown]
	v_cmp_le_i32_e32 vcc, s21, v18
	v_add_f32_e32 v20, v20, v7
	v_add_f32_e32 v21, v21, v6
	;; [unrolled: 1-line block ×3, first 2 shown]
	v_add_u32_e32 v30, 16, v30
	v_add_u32_e32 v31, 64, v31
	s_or_b64 s[6:7], vcc, s[6:7]
	v_lshl_add_u64 v[24:25], v[24:25], 0, 8
	s_andn2_b64 exec, exec, s[6:7]
	s_cbranch_execz .LBB21_49
.LBB21_43:                              ; =>This Inner Loop Header: Depth=1
	global_load_dword v2, v[24:25], off
	v_add_u32_e32 v19, -3, v30
	v_cmp_eq_u32_e32 vcc, s40, v18
	v_add_u32_e32 v33, -2, v30
	v_add_u32_e32 v32, -1, v30
	s_waitcnt vmcnt(0)
	v_mad_i64_i32 v[2:3], s[0:1], v2, s5, 0
	v_lshl_add_u64 v[14:15], v[2:3], 2, v[22:23]
	global_load_dwordx4 v[6:9], v[14:15], off
	ds_read_b128 v[2:5], v31
	s_and_saveexec_b64 s[10:11], vcc
	s_cbranch_execnz .LBB21_46
; %bb.44:                               ;   in Loop: Header=BB21_43 Depth=1
	s_or_b64 exec, exec, s[10:11]
	global_load_dwordx4 v[10:13], v[14:15], off offset:1024
	s_and_saveexec_b64 s[10:11], vcc
	s_cbranch_execnz .LBB21_47
.LBB21_45:                              ;   in Loop: Header=BB21_43 Depth=1
	s_or_b64 exec, exec, s[10:11]
	global_load_dwordx4 v[14:17], v[14:15], off offset:2048
	s_and_saveexec_b64 s[0:1], vcc
	s_cbranch_execz .LBB21_42
	s_branch .LBB21_48
.LBB21_46:                              ;   in Loop: Header=BB21_43 Depth=1
	v_cmp_gt_i32_e64 s[0:1], s25, v19
	s_waitcnt vmcnt(0)
	s_nop 0
	v_cndmask_b32_e64 v6, 0, v6, s[0:1]
	v_cmp_gt_i32_e64 s[0:1], s25, v33
	s_nop 1
	v_cndmask_b32_e64 v7, 0, v7, s[0:1]
	v_cmp_gt_i32_e64 s[0:1], s25, v32
	;; [unrolled: 3-line block ×3, first 2 shown]
	s_nop 1
	v_cndmask_b32_e64 v9, 0, v9, s[0:1]
	s_or_b64 exec, exec, s[10:11]
	global_load_dwordx4 v[10:13], v[14:15], off offset:1024
	s_and_saveexec_b64 s[10:11], vcc
	s_cbranch_execz .LBB21_45
.LBB21_47:                              ;   in Loop: Header=BB21_43 Depth=1
	v_cmp_gt_i32_e64 s[0:1], s25, v19
	s_waitcnt vmcnt(0)
	s_nop 0
	v_cndmask_b32_e64 v10, 0, v10, s[0:1]
	v_cmp_gt_i32_e64 s[0:1], s25, v33
	s_nop 1
	v_cndmask_b32_e64 v11, 0, v11, s[0:1]
	v_cmp_gt_i32_e64 s[0:1], s25, v32
	;; [unrolled: 3-line block ×3, first 2 shown]
	s_nop 1
	v_cndmask_b32_e64 v13, 0, v13, s[0:1]
	s_or_b64 exec, exec, s[10:11]
	global_load_dwordx4 v[14:17], v[14:15], off offset:2048
	s_and_saveexec_b64 s[0:1], vcc
	s_cbranch_execz .LBB21_42
.LBB21_48:                              ;   in Loop: Header=BB21_43 Depth=1
	v_cmp_gt_i32_e32 vcc, s25, v19
	s_waitcnt vmcnt(0)
	s_nop 0
	v_cndmask_b32_e32 v14, 0, v14, vcc
	v_cmp_gt_i32_e32 vcc, s25, v33
	s_nop 1
	v_cndmask_b32_e32 v15, 0, v15, vcc
	v_cmp_gt_i32_e32 vcc, s25, v32
	;; [unrolled: 3-line block ×3, first 2 shown]
	s_nop 1
	v_cndmask_b32_e32 v17, 0, v17, vcc
	s_branch .LBB21_42
.LBB21_49:
	s_or_b64 exec, exec, s[6:7]
.LBB21_50:
	s_or_b64 exec, exec, s[2:3]
	ds_bpermute_b32 v2, v27, v20
	ds_bpermute_b32 v3, v27, v21
	;; [unrolled: 1-line block ×3, first 2 shown]
	v_and_b32_e32 v5, 0x3c1, v0
	v_cmp_eq_u32_e32 vcc, 64, v5
	s_waitcnt lgkmcnt(0)
	v_pk_add_f32 v[2:3], v[20:21], v[2:3]
	v_add_f32_e32 v4, v29, v4
	s_barrier
	s_and_saveexec_b64 s[0:1], vcc
	s_cbranch_execz .LBB21_52
; %bb.51:
	v_mov_b32_e32 v6, 0x190
	v_lshl_add_u32 v6, v26, 1, v6
	ds_write2_b32 v6, v2, v3 offset1:32
	ds_write_b32 v6, v4 offset:256
.LBB21_52:
	s_or_b64 exec, exec, s[0:1]
	v_cmp_gt_u32_e32 vcc, 64, v0
	s_waitcnt lgkmcnt(0)
	s_barrier
	s_and_saveexec_b64 s[0:1], vcc
	s_cbranch_execz .LBB21_58
; %bb.53:
	v_cmp_eq_u32_e32 vcc, 0, v28
	s_and_saveexec_b64 s[2:3], vcc
	s_cbranch_execnz .LBB21_61
; %bb.54:
	s_or_b64 exec, exec, s[2:3]
	s_and_saveexec_b64 s[2:3], vcc
	s_cbranch_execnz .LBB21_62
.LBB21_55:
	s_or_b64 exec, exec, s[2:3]
	s_and_saveexec_b64 s[2:3], vcc
	s_cbranch_execz .LBB21_57
.LBB21_56:
	v_mov_b32_e32 v6, 0x190
	v_lshl_add_u32 v1, v1, 2, v6
	ds_read_b32 v1, v1 offset:256
	s_waitcnt lgkmcnt(0)
	v_add_f32_e32 v4, v4, v1
.LBB21_57:
	s_or_b64 exec, exec, s[2:3]
.LBB21_58:
	s_or_b64 exec, exec, s[0:1]
	v_cmp_eq_u32_e32 vcc, 0, v5
	s_barrier
	s_and_saveexec_b64 s[0:1], vcc
	s_cbranch_execz .LBB21_60
; %bb.59:
	s_mul_i32 s0, s8, 0x60
	s_ashr_i32 s1, s0, 31
	s_lshl_b64 s[0:1], s[0:1], 2
	s_add_u32 s2, s22, s0
	s_mul_i32 s0, s12, s20
	s_addc_u32 s3, s23, s1
	s_ashr_i32 s1, s0, 31
	s_lshl_b64 s[0:1], s[0:1], 2
	s_add_u32 s2, s2, s0
	s_mul_i32 s0, s4, 0x60
	s_addc_u32 s3, s3, s1
	s_ashr_i32 s1, s0, 31
	s_lshl_b64 s[0:1], s[0:1], 2
	s_add_u32 s0, s2, s0
	s_addc_u32 s1, s3, s1
	v_lshlrev_b32_e32 v0, 1, v0
	global_store_dword v0, v2, s[0:1]
	global_store_dword v0, v3, s[0:1] offset:128
	global_store_dword v0, v4, s[0:1] offset:256
.LBB21_60:
	s_endpgm
.LBB21_61:
	v_mov_b32_e32 v6, 0x190
	v_lshl_add_u32 v6, v1, 2, v6
	ds_read_b32 v6, v6
	s_waitcnt lgkmcnt(0)
	v_add_f32_e32 v2, v2, v6
	s_or_b64 exec, exec, s[2:3]
	s_and_saveexec_b64 s[2:3], vcc
	s_cbranch_execz .LBB21_55
.LBB21_62:
	v_mov_b32_e32 v6, 0x190
	v_lshl_add_u32 v6, v1, 2, v6
	ds_read_b32 v6, v6 offset:128
	s_waitcnt lgkmcnt(0)
	v_add_f32_e32 v3, v3, v6
	s_or_b64 exec, exec, s[2:3]
	s_and_saveexec_b64 s[2:3], vcc
	s_cbranch_execnz .LBB21_56
	s_branch .LBB21_57
	.section	.rodata,"a",@progbits
	.p2align	6, 0x0
	.amdhsa_kernel _ZN4vllm25paged_attention_v2_kernelIffLi96ELi8ELi128ELNS_18Fp8KVCacheDataTypeE0ELb0ELi512EEEvPfS2_PT_PKS3_PKT0_S9_ifPKiSB_iPKfiiiSD_SD_iiiii
		.amdhsa_group_segment_fixed_size 400
		.amdhsa_private_segment_fixed_size 0
		.amdhsa_kernarg_size 400
		.amdhsa_user_sgpr_count 2
		.amdhsa_user_sgpr_dispatch_ptr 0
		.amdhsa_user_sgpr_queue_ptr 0
		.amdhsa_user_sgpr_kernarg_segment_ptr 1
		.amdhsa_user_sgpr_dispatch_id 0
		.amdhsa_user_sgpr_kernarg_preload_length 0
		.amdhsa_user_sgpr_kernarg_preload_offset 0
		.amdhsa_user_sgpr_private_segment_size 0
		.amdhsa_uses_dynamic_stack 0
		.amdhsa_enable_private_segment 0
		.amdhsa_system_sgpr_workgroup_id_x 1
		.amdhsa_system_sgpr_workgroup_id_y 1
		.amdhsa_system_sgpr_workgroup_id_z 1
		.amdhsa_system_sgpr_workgroup_info 0
		.amdhsa_system_vgpr_workitem_id 0
		.amdhsa_next_free_vgpr 45
		.amdhsa_next_free_sgpr 42
		.amdhsa_accum_offset 48
		.amdhsa_reserve_vcc 1
		.amdhsa_float_round_mode_32 0
		.amdhsa_float_round_mode_16_64 0
		.amdhsa_float_denorm_mode_32 3
		.amdhsa_float_denorm_mode_16_64 3
		.amdhsa_dx10_clamp 1
		.amdhsa_ieee_mode 1
		.amdhsa_fp16_overflow 0
		.amdhsa_tg_split 0
		.amdhsa_exception_fp_ieee_invalid_op 0
		.amdhsa_exception_fp_denorm_src 0
		.amdhsa_exception_fp_ieee_div_zero 0
		.amdhsa_exception_fp_ieee_overflow 0
		.amdhsa_exception_fp_ieee_underflow 0
		.amdhsa_exception_fp_ieee_inexact 0
		.amdhsa_exception_int_div_zero 0
	.end_amdhsa_kernel
	.section	.text._ZN4vllm25paged_attention_v2_kernelIffLi96ELi8ELi128ELNS_18Fp8KVCacheDataTypeE0ELb0ELi512EEEvPfS2_PT_PKS3_PKT0_S9_ifPKiSB_iPKfiiiSD_SD_iiiii,"axG",@progbits,_ZN4vllm25paged_attention_v2_kernelIffLi96ELi8ELi128ELNS_18Fp8KVCacheDataTypeE0ELb0ELi512EEEvPfS2_PT_PKS3_PKT0_S9_ifPKiSB_iPKfiiiSD_SD_iiiii,comdat
.Lfunc_end21:
	.size	_ZN4vllm25paged_attention_v2_kernelIffLi96ELi8ELi128ELNS_18Fp8KVCacheDataTypeE0ELb0ELi512EEEvPfS2_PT_PKS3_PKT0_S9_ifPKiSB_iPKfiiiSD_SD_iiiii, .Lfunc_end21-_ZN4vllm25paged_attention_v2_kernelIffLi96ELi8ELi128ELNS_18Fp8KVCacheDataTypeE0ELb0ELi512EEEvPfS2_PT_PKS3_PKT0_S9_ifPKiSB_iPKfiiiSD_SD_iiiii
                                        ; -- End function
	.section	.AMDGPU.csdata,"",@progbits
; Kernel info:
; codeLenInByte = 3836
; NumSgprs: 48
; NumVgprs: 45
; NumAgprs: 0
; TotalNumVgprs: 45
; ScratchSize: 0
; MemoryBound: 0
; FloatMode: 240
; IeeeMode: 1
; LDSByteSize: 400 bytes/workgroup (compile time only)
; SGPRBlocks: 5
; VGPRBlocks: 5
; NumSGPRsForWavesPerEU: 48
; NumVGPRsForWavesPerEU: 45
; AccumOffset: 48
; Occupancy: 8
; WaveLimiterHint : 1
; COMPUTE_PGM_RSRC2:SCRATCH_EN: 0
; COMPUTE_PGM_RSRC2:USER_SGPR: 2
; COMPUTE_PGM_RSRC2:TRAP_HANDLER: 0
; COMPUTE_PGM_RSRC2:TGID_X_EN: 1
; COMPUTE_PGM_RSRC2:TGID_Y_EN: 1
; COMPUTE_PGM_RSRC2:TGID_Z_EN: 1
; COMPUTE_PGM_RSRC2:TIDIG_COMP_CNT: 0
; COMPUTE_PGM_RSRC3_GFX90A:ACCUM_OFFSET: 11
; COMPUTE_PGM_RSRC3_GFX90A:TG_SPLIT: 0
	.section	.text._ZN4vllm25paged_attention_v2_kernelIffLi112ELi8ELi128ELNS_18Fp8KVCacheDataTypeE0ELb0ELi512EEEvPfS2_PT_PKS3_PKT0_S9_ifPKiSB_iPKfiiiSD_SD_iiiii,"axG",@progbits,_ZN4vllm25paged_attention_v2_kernelIffLi112ELi8ELi128ELNS_18Fp8KVCacheDataTypeE0ELb0ELi512EEEvPfS2_PT_PKS3_PKT0_S9_ifPKiSB_iPKfiiiSD_SD_iiiii,comdat
	.protected	_ZN4vllm25paged_attention_v2_kernelIffLi112ELi8ELi128ELNS_18Fp8KVCacheDataTypeE0ELb0ELi512EEEvPfS2_PT_PKS3_PKT0_S9_ifPKiSB_iPKfiiiSD_SD_iiiii ; -- Begin function _ZN4vllm25paged_attention_v2_kernelIffLi112ELi8ELi128ELNS_18Fp8KVCacheDataTypeE0ELb0ELi512EEEvPfS2_PT_PKS3_PKT0_S9_ifPKiSB_iPKfiiiSD_SD_iiiii
	.globl	_ZN4vllm25paged_attention_v2_kernelIffLi112ELi8ELi128ELNS_18Fp8KVCacheDataTypeE0ELb0ELi512EEEvPfS2_PT_PKS3_PKT0_S9_ifPKiSB_iPKfiiiSD_SD_iiiii
	.p2align	8
	.type	_ZN4vllm25paged_attention_v2_kernelIffLi112ELi8ELi128ELNS_18Fp8KVCacheDataTypeE0ELb0ELi512EEEvPfS2_PT_PKS3_PKT0_S9_ifPKiSB_iPKfiiiSD_SD_iiiii,@function
_ZN4vllm25paged_attention_v2_kernelIffLi112ELi8ELi128ELNS_18Fp8KVCacheDataTypeE0ELb0ELi512EEEvPfS2_PT_PKS3_PKT0_S9_ifPKiSB_iPKfiiiSD_SD_iiiii: ; @_ZN4vllm25paged_attention_v2_kernelIffLi112ELi8ELi128ELNS_18Fp8KVCacheDataTypeE0ELb0ELi512EEEvPfS2_PT_PKS3_PKT0_S9_ifPKiSB_iPKfiiiSD_SD_iiiii
; %bb.0:
	s_load_dwordx2 s[6:7], s[0:1], 0x40
	s_mov_b32 s24, s3
	s_ashr_i32 s25, s3, 31
	s_lshl_b64 s[8:9], s[24:25], 2
	s_waitcnt lgkmcnt(0)
	s_add_u32 s6, s6, s8
	s_addc_u32 s7, s7, s9
	s_load_dword s25, s[6:7], 0x0
	s_lshl_b32 s40, s4, 9
	s_waitcnt lgkmcnt(0)
	s_cmp_ge_i32 s40, s25
	s_cbranch_scc1 .LBB22_72
; %bb.1:
	s_load_dword s5, s[0:1], 0x90
	s_load_dwordx2 s[10:11], s[0:1], 0x30
	s_mov_b32 s41, 0
	s_waitcnt lgkmcnt(0)
	s_abs_i32 s7, s5
	s_abs_i32 s3, s10
	v_cvt_f32_u32_e32 v1, s3
	s_sub_i32 s8, 0, s3
	s_xor_b32 s6, s5, s10
	s_ashr_i32 s6, s6, 31
	v_rcp_iflag_f32_e32 v1, v1
	s_nop 0
	v_mul_f32_e32 v1, 0x4f7ffffe, v1
	v_cvt_u32_f32_e32 v1, v1
	s_nop 0
	v_readfirstlane_b32 s9, v1
	s_mul_i32 s8, s8, s9
	s_mul_hi_u32 s8, s9, s8
	s_add_i32 s9, s9, s8
	s_mul_hi_u32 s8, s7, s9
	s_mul_i32 s9, s8, s3
	s_sub_i32 s7, s7, s9
	s_add_i32 s10, s8, 1
	s_sub_i32 s9, s7, s3
	s_cmp_ge_u32 s7, s3
	s_cselect_b32 s8, s10, s8
	s_cselect_b32 s7, s9, s7
	s_add_i32 s9, s8, 1
	s_cmp_ge_u32 s7, s3
	s_cselect_b32 s3, s9, s8
	s_xor_b32 s3, s3, s6
	s_sub_i32 s10, s3, s6
	s_abs_i32 s8, s10
	v_cvt_f32_u32_e32 v1, s8
	s_load_dwordx2 s[6:7], s[0:1], 0x50
	s_sub_i32 s3, 0, s8
	s_abs_i32 s9, s2
	v_rcp_iflag_f32_e32 v1, v1
	s_nop 0
	v_mul_f32_e32 v1, 0x4f7ffffe, v1
	v_cvt_u32_f32_e32 v1, v1
	s_nop 0
	v_readfirstlane_b32 s12, v1
	s_mul_i32 s3, s3, s12
	s_mul_hi_u32 s3, s12, s3
	s_add_i32 s12, s12, s3
	s_waitcnt lgkmcnt(0)
	s_cmp_eq_u64 s[6:7], 0
	s_mul_hi_u32 s16, s9, s12
	s_cbranch_scc1 .LBB22_3
; %bb.2:
	s_ashr_i32 s3, s2, 31
	s_lshl_b64 s[12:13], s[2:3], 2
	s_add_u32 s6, s6, s12
	s_addc_u32 s7, s7, s13
	s_load_dword s41, s[6:7], 0x0
.LBB22_3:
	s_load_dwordx4 s[12:15], s[0:1], 0x58
	s_movk_i32 s3, 0x70
	s_ashr_i32 s17, s2, 31
	s_ashr_i32 s18, s10, 31
	v_and_b32_e32 v16, 7, v0
	s_mul_i32 s20, s2, 0x70
	v_cmp_gt_u32_e32 vcc, s3, v0
	v_lshlrev_b32_e32 v24, 2, v0
	v_lshrrev_b32_e32 v1, 1, v0
	s_and_saveexec_b64 s[6:7], vcc
	s_cbranch_execz .LBB22_5
; %bb.4:
	s_load_dwordx2 s[22:23], s[0:1], 0x18
	s_waitcnt lgkmcnt(0)
	s_mul_i32 s26, s24, s12
	s_ashr_i32 s27, s26, 31
	s_lshl_b64 s[26:27], s[26:27], 2
	v_and_b32_e32 v3, 0x1fc, v1
	s_add_u32 s3, s22, s26
	s_addc_u32 s10, s23, s27
	s_ashr_i32 s21, s20, 31
	s_lshl_b64 s[22:23], s[20:21], 2
	s_add_u32 s22, s3, s22
	s_addc_u32 s23, s10, s23
	global_load_dword v2, v24, s[22:23]
	v_mad_u32_u24 v3, v16, 56, v3
	s_waitcnt vmcnt(0)
	ds_write_b32 v3, v2
.LBB22_5:
	s_or_b64 exec, exec, s[6:7]
	s_add_i32 s3, s25, 7
	s_ashr_i32 s6, s3, 31
	s_lshr_b32 s6, s6, 29
	s_add_i32 s3, s3, s6
	s_lshl_b32 s10, s4, 6
	s_mul_i32 s7, s16, s8
	s_ashr_i32 s3, s3, 3
	s_add_i32 s6, s10, 64
	s_sub_i32 s7, s9, s7
	s_min_i32 s33, s6, s3
	s_xor_b32 s6, s17, s18
	s_add_i32 s9, s16, 1
	s_waitcnt lgkmcnt(0)
	s_sub_i32 s12, s7, s8
	s_cmp_ge_u32 s7, s8
	s_cselect_b32 s9, s9, s16
	s_cselect_b32 s7, s12, s7
	s_add_i32 s12, s9, 1
	s_cmp_ge_u32 s7, s8
	s_load_dwordx2 s[26:27], s[0:1], 0x38
	s_load_dword s8, s[0:1], 0x48
	v_lshrrev_b32_e32 v26, 6, v0
	s_cselect_b32 s7, s12, s9
	s_xor_b32 s7, s7, s6
	v_or_b32_e32 v18, s10, v26
	s_waitcnt lgkmcnt(0)
	s_mul_i32 s28, s24, s8
	s_sub_i32 s12, s7, s6
	s_ashr_i32 s29, s28, 31
	v_cmp_gt_i32_e64 s[6:7], s33, v18
	v_cmp_le_i32_e32 vcc, s33, v18
	v_mbcnt_lo_u32_b32 v17, -1, 0
	s_barrier
	s_waitcnt lgkmcnt(0)
                                        ; implicit-def: $sgpr15
                                        ; implicit-def: $vgpr22
                                        ; implicit-def: $vgpr23
	s_and_saveexec_b64 s[8:9], vcc
	s_xor_b64 s[8:9], exec, s[8:9]
; %bb.6:
	v_mbcnt_hi_u32_b32 v22, -1, v17
	v_and_b32_e32 v2, 64, v22
	v_add_u32_e32 v23, 64, v2
	s_mov_b32 s15, 0xff7fffff
                                        ; implicit-def: $vgpr16
                                        ; implicit-def: $vgpr17
; %bb.7:
	s_or_saveexec_b64 s[34:35], s[8:9]
	s_load_dwordx4 s[16:19], s[0:1], 0x0
	s_load_dwordx2 s[22:23], s[0:1], 0x10
	s_load_dwordx2 s[30:31], s[0:1], 0x28
	s_load_dword s21, s[0:1], 0x98
	v_mov_b32_e32 v25, s15
	s_mul_i32 s14, s12, s14
	v_ashrrev_i32_e32 v19, 31, v18
	s_xor_b64 exec, exec, s[34:35]
	s_cbranch_execz .LBB22_13
; %bb.8:
	s_load_dwordx2 s[0:1], s[0:1], 0x20
	v_mbcnt_hi_u32_b32 v22, -1, v17
	v_and_b32_e32 v17, 64, v22
	v_add_u32_e32 v23, 64, v17
	v_xor_b32_e32 v17, 4, v22
	s_ashr_i32 s15, s14, 31
	v_cmp_lt_i32_e32 vcc, v17, v23
	s_lshl_b64 s[8:9], s[14:15], 2
	v_bfe_u32 v25, v0, 3, 3
	v_cndmask_b32_e32 v17, v22, v17, vcc
	s_waitcnt lgkmcnt(0)
	s_add_u32 s0, s0, s8
	v_lshlrev_b32_e32 v27, 2, v17
	v_xor_b32_e32 v17, 2, v22
	s_addc_u32 s1, s1, s9
	v_lshlrev_b32_e32 v20, 4, v25
	v_mov_b32_e32 v21, 0
	v_and_b32_e32 v4, 3, v0
	v_cmp_lt_i32_e32 vcc, v17, v23
	v_lshl_add_u64 v[2:3], s[0:1], 0, v[20:21]
	v_lshlrev_b32_e32 v20, 2, v4
	v_mul_u32_u24_e32 v14, 56, v16
	v_cndmask_b32_e32 v17, v22, v17, vcc
	v_lshl_add_u64 v[30:31], v[2:3], 0, v[20:21]
	ds_read2_b64 v[2:5], v14 offset1:1
	ds_read2_b64 v[6:9], v14 offset0:2 offset1:3
	ds_read2_b64 v[10:13], v14 offset0:4 offset1:5
	ds_read_b64 v[14:15], v14 offset:48
	v_lshlrev_b32_e32 v28, 2, v17
	v_xor_b32_e32 v17, 1, v22
	v_cmp_lt_i32_e32 vcc, v17, v23
	s_sub_i32 s15, 1, s25
	s_lshl_b64 s[8:9], s[28:29], 2
	v_cndmask_b32_e32 v17, v22, v17, vcc
	v_cmp_eq_u32_e32 vcc, 0, v16
	v_lshlrev_b32_e32 v16, 5, v0
	v_and_b32_e32 v20, 0x80, v16
	v_lshlrev_b32_e32 v32, 2, v25
	v_lshlrev_b32_e32 v29, 2, v17
	v_lshl_add_u64 v[16:17], v[30:31], 0, v[20:21]
	v_lshlrev_b32_e32 v20, 3, v26
	s_add_u32 s8, s26, s8
	v_add3_u32 v30, s40, v20, v25
	v_lshl_or_b32 v20, v26, 5, v32
	s_addc_u32 s9, s27, s9
	s_mov_b32 s12, s13
	v_cmp_neq_f32_e64 s[0:1], s41, 0
	v_add_u32_e32 v31, 0x1d0, v20
	v_lshl_add_u64 v[20:21], v[18:19], 2, s[8:9]
	s_mov_b64 s[36:37], 0
	v_mov_b32_e32 v25, 0xff7fffff
	v_mov_b32_e32 v32, v18
	s_branch .LBB22_10
.LBB22_9:                               ;   in Loop: Header=BB22_10 Depth=1
	s_or_b64 exec, exec, s[38:39]
	v_add_u32_e32 v32, 2, v32
	v_cmp_le_i32_e64 s[8:9], s33, v32
	v_add_u32_e32 v30, 16, v30
	v_add_u32_e32 v31, 64, v31
	s_or_b64 s[36:37], s[8:9], s[36:37]
	v_lshl_add_u64 v[20:21], v[20:21], 0, 8
	s_andn2_b64 exec, exec, s[36:37]
	s_cbranch_execz .LBB22_12
.LBB22_10:                              ; =>This Inner Loop Header: Depth=1
	global_load_dword v33, v[20:21], off
	s_waitcnt vmcnt(0) lgkmcnt(0)
	v_mad_i64_i32 v[34:35], s[8:9], v33, s12, 0
	v_lshl_add_u64 v[34:35], v[34:35], 2, v[16:17]
	global_load_dword v33, v[34:35], off offset:256
	global_load_dword v36, v[34:35], off
	global_load_dword v37, v[34:35], off offset:512
	global_load_dword v38, v[34:35], off offset:768
	;; [unrolled: 1-line block ×12, first 2 shown]
	s_waitcnt vmcnt(13) lgkmcnt(3)
	v_mul_f32_e32 v33, v3, v33
	s_waitcnt vmcnt(12)
	v_fmac_f32_e32 v33, v2, v36
	s_waitcnt vmcnt(11)
	v_fmac_f32_e32 v33, v4, v37
	s_waitcnt vmcnt(10)
	v_fmac_f32_e32 v33, v5, v38
	s_waitcnt vmcnt(9) lgkmcnt(2)
	v_fmac_f32_e32 v33, v6, v39
	s_waitcnt vmcnt(8)
	v_fmac_f32_e32 v33, v7, v40
	s_waitcnt vmcnt(7)
	v_fmac_f32_e32 v33, v8, v41
	s_waitcnt vmcnt(6)
	v_fmac_f32_e32 v33, v9, v42
	s_waitcnt vmcnt(5) lgkmcnt(1)
	v_fmac_f32_e32 v33, v10, v43
	;; [unrolled: 8-line block ×3, first 2 shown]
	s_waitcnt vmcnt(0)
	v_fmac_f32_e32 v33, v15, v48
	ds_bpermute_b32 v34, v27, v33
	s_waitcnt lgkmcnt(0)
	v_add_f32_e32 v33, v33, v34
	ds_bpermute_b32 v34, v28, v33
	s_waitcnt lgkmcnt(0)
	v_add_f32_e32 v33, v33, v34
	ds_bpermute_b32 v34, v29, v33
	s_and_saveexec_b64 s[38:39], vcc
	s_cbranch_execz .LBB22_9
; %bb.11:                               ;   in Loop: Header=BB22_10 Depth=1
	v_add_u32_e32 v35, s15, v30
	v_cvt_f32_i32_e32 v35, v35
	s_waitcnt lgkmcnt(0)
	v_add_f32_e32 v33, v33, v34
	v_cmp_gt_i32_e64 s[8:9], s25, v30
	v_max_f32_e32 v34, v25, v25
	v_mul_f32_e32 v35, s41, v35
	v_cndmask_b32_e64 v35, 0, v35, s[0:1]
	v_fmac_f32_e32 v35, s11, v33
	v_cndmask_b32_e64 v33, 0, v35, s[8:9]
	ds_write_b32 v31, v33
	v_max_f32_e32 v33, v34, v35
	v_cndmask_b32_e64 v25, v25, v33, s[8:9]
	s_branch .LBB22_9
.LBB22_12:
	s_or_b64 exec, exec, s[36:37]
.LBB22_13:
	s_or_b64 exec, exec, s[34:35]
	v_xor_b32_e32 v2, 32, v22
	v_cmp_lt_i32_e32 vcc, v2, v23
	v_xor_b32_e32 v5, 16, v22
	v_max_f32_e32 v4, v25, v25
	v_cndmask_b32_e32 v2, v22, v2, vcc
	v_lshlrev_b32_e32 v3, 2, v2
	ds_bpermute_b32 v2, v3, v25
	v_cmp_lt_i32_e32 vcc, v5, v23
	v_xor_b32_e32 v6, 8, v22
	s_waitcnt lgkmcnt(0)
	v_max_f32_e32 v2, v2, v2
	v_max_f32_e32 v2, v4, v2
	v_cndmask_b32_e32 v4, v22, v5, vcc
	v_lshlrev_b32_e32 v7, 2, v4
	ds_bpermute_b32 v4, v7, v2
	v_cmp_lt_i32_e32 vcc, v6, v23
	s_waitcnt lgkmcnt(0)
	v_max_f32_e32 v4, v4, v4
	v_max_f32_e32 v5, v2, v4
	v_cndmask_b32_e32 v2, v22, v6, vcc
	v_lshlrev_b32_e32 v8, 2, v2
	ds_bpermute_b32 v6, v8, v5
	v_and_b32_e32 v4, 63, v0
	v_cmp_eq_u32_e32 vcc, 0, v4
	v_lshlrev_b32_e32 v2, 2, v26
	s_and_saveexec_b64 s[0:1], vcc
	s_cbranch_execz .LBB22_15
; %bb.14:
	s_waitcnt lgkmcnt(0)
	v_max_f32_e32 v6, v6, v6
	v_max_f32_e32 v5, v5, v5
	;; [unrolled: 1-line block ×3, first 2 shown]
	ds_write_b32 v2, v5 offset:448
.LBB22_15:
	s_or_b64 exec, exec, s[0:1]
	v_cmp_gt_u32_e64 s[0:1], 2, v4
	v_mov_b32_e32 v5, 0xff7fffff
	s_waitcnt lgkmcnt(0)
	v_lshlrev_b32_e32 v6, 2, v4
	s_barrier
	s_and_saveexec_b64 s[8:9], s[0:1]
	s_cbranch_execz .LBB22_17
; %bb.16:
	ds_read_b32 v5, v6 offset:448
.LBB22_17:
	s_or_b64 exec, exec, s[8:9]
	v_xor_b32_e32 v9, 1, v22
	v_cmp_lt_i32_e64 s[8:9], v9, v23
	v_mov_b32_e32 v10, 0
	s_nop 0
	v_cndmask_b32_e64 v9, v22, v9, s[8:9]
	v_lshlrev_b32_e32 v32, 2, v9
	s_waitcnt lgkmcnt(0)
	ds_bpermute_b32 v9, v32, v5
	v_max_f32_e32 v5, v5, v5
	s_sub_i32 s8, s33, s10
	s_lshl_b32 s8, s8, 3
	s_add_i32 s8, s8, s40
	s_waitcnt lgkmcnt(0)
	v_max_f32_e32 v9, v9, v9
	v_max_f32_e32 v5, v5, v9
	v_lshlrev_b32_e32 v9, 2, v22
	v_and_b32_e32 v9, 0xffffff00, v9
	ds_bpermute_b32 v5, v9, v5
	s_min_i32 s15, s8, s25
	s_sub_i32 s12, s15, s40
	v_cmp_gt_i32_e64 s[8:9], s12, v0
	s_and_saveexec_b64 s[34:35], s[8:9]
	s_cbranch_execz .LBB22_21
; %bb.18:
	v_mov_b32_e32 v10, 0x1d0
	v_lshl_add_u32 v11, v0, 2, v10
	s_mov_b64 s[36:37], 0
	v_mov_b32_e32 v10, 0
	v_mov_b32_e32 v12, v0
.LBB22_19:                              ; =>This Inner Loop Header: Depth=1
	ds_read_b32 v13, v11
	v_add_u32_e32 v12, 0x80, v12
	v_cmp_le_i32_e64 s[10:11], s12, v12
	s_or_b64 s[36:37], s[10:11], s[36:37]
	s_waitcnt lgkmcnt(0)
	v_sub_f32_e32 v13, v13, v5
	v_mul_f32_e32 v13, 0x3fb8aa3b, v13
	v_exp_f32_e32 v13, v13
	ds_write_b32 v11, v13
	v_add_f32_e32 v10, v10, v13
	v_add_u32_e32 v11, 0x200, v11
	s_andn2_b64 exec, exec, s[36:37]
	s_cbranch_execnz .LBB22_19
; %bb.20:
	s_or_b64 exec, exec, s[36:37]
.LBB22_21:
	s_or_b64 exec, exec, s[34:35]
	ds_bpermute_b32 v3, v3, v10
	s_waitcnt lgkmcnt(0)
	v_add_f32_e32 v3, v10, v3
	ds_bpermute_b32 v7, v7, v3
	s_waitcnt lgkmcnt(0)
	v_add_f32_e32 v3, v3, v7
	ds_bpermute_b32 v7, v8, v3
	v_xor_b32_e32 v8, 4, v22
	v_cmp_lt_i32_e64 s[10:11], v8, v23
	s_waitcnt lgkmcnt(0)
	v_add_f32_e32 v3, v3, v7
	v_cndmask_b32_e64 v8, v22, v8, s[10:11]
	v_lshlrev_b32_e32 v8, 2, v8
	ds_bpermute_b32 v7, v8, v3
	v_xor_b32_e32 v8, 2, v22
	v_cmp_lt_i32_e64 s[10:11], v8, v23
	s_waitcnt lgkmcnt(0)
	v_add_f32_e32 v3, v3, v7
	v_cndmask_b32_e64 v8, v22, v8, s[10:11]
	v_lshlrev_b32_e32 v7, 2, v8
	ds_bpermute_b32 v7, v7, v3
	s_waitcnt lgkmcnt(0)
	v_add_f32_e32 v3, v3, v7
	ds_bpermute_b32 v7, v32, v3
	s_waitcnt lgkmcnt(0)
	v_add_f32_e32 v3, v3, v7
	s_and_saveexec_b64 s[10:11], vcc
	s_cbranch_execz .LBB22_23
; %bb.22:
	ds_write_b32 v2, v3 offset:456
.LBB22_23:
	s_or_b64 exec, exec, s[10:11]
	s_waitcnt lgkmcnt(0)
	s_barrier
	s_and_saveexec_b64 s[10:11], s[0:1]
	s_cbranch_execz .LBB22_25
; %bb.24:
	ds_read_b32 v3, v6 offset:456
.LBB22_25:
	s_or_b64 exec, exec, s[10:11]
	s_waitcnt lgkmcnt(0)
	ds_bpermute_b32 v2, v32, v3
	s_waitcnt lgkmcnt(0)
	v_add_f32_e32 v2, v3, v2
	ds_bpermute_b32 v6, v9, v2
	s_and_saveexec_b64 s[0:1], s[8:9]
	s_cbranch_execz .LBB22_38
; %bb.26:
	s_waitcnt lgkmcnt(0)
	v_add_f32_e32 v2, 0x358637bd, v6
	v_div_scale_f32 v3, s[8:9], v2, v2, 1.0
	v_rcp_f32_e32 v7, v3
	v_div_scale_f32 v8, vcc, 1.0, v2, 1.0
	s_movk_i32 s8, 0x7f
	v_fma_f32 v9, -v3, v7, 1.0
	v_fmac_f32_e32 v7, v9, v7
	v_mul_f32_e32 v9, v8, v7
	v_fma_f32 v10, -v3, v9, v8
	v_fmac_f32_e32 v9, v10, v7
	v_fma_f32 v3, -v3, v9, v8
	v_div_fmas_f32 v3, v3, v7, v9
	v_div_fixup_f32 v2, v3, v2, 1.0
	v_xad_u32 v3, v0, -1, s15
	v_subrev_u32_e32 v7, s40, v3
	v_cmp_lt_u32_e32 vcc, s8, v7
	s_mov_b64 s[10:11], -1
	v_mov_b32_e32 v3, v0
	s_and_saveexec_b64 s[8:9], vcc
	s_cbranch_execz .LBB22_35
; %bb.27:
	v_lshrrev_b32_e32 v7, 7, v7
	v_add_u32_e32 v9, -1, v7
	v_lshrrev_b32_e32 v8, 1, v9
	v_mov_b32_e32 v3, v2
	v_add_u32_e32 v8, 1, v8
	v_cmp_lt_u32_e32 vcc, 13, v9
	v_mov_b32_e32 v11, 0
	s_and_saveexec_b64 s[10:11], vcc
	s_cbranch_execz .LBB22_31
; %bb.28:
	v_mov_b32_e32 v10, 0x1d0
	v_and_b32_e32 v9, -8, v8
	v_lshl_add_u32 v10, v0, 2, v10
	s_mov_b32 s15, 0
	s_mov_b64 s[34:35], 0
.LBB22_29:                              ; =>This Inner Loop Header: Depth=1
	ds_read2st64_b32 v[12:13], v10 offset1:2
	ds_read2st64_b32 v[14:15], v10 offset0:4 offset1:6
	ds_read2st64_b32 v[16:17], v10 offset0:8 offset1:10
	;; [unrolled: 1-line block ×3, first 2 shown]
	v_add_u32_e32 v9, -8, v9
	s_waitcnt lgkmcnt(3)
	v_pk_mul_f32 v[12:13], v[2:3], v[12:13]
	s_waitcnt lgkmcnt(2)
	v_pk_mul_f32 v[14:15], v[2:3], v[14:15]
	ds_write2st64_b32 v10, v12, v13 offset1:2
	ds_write2st64_b32 v10, v14, v15 offset0:4 offset1:6
	ds_read2st64_b32 v[14:15], v10 offset0:16 offset1:18
	s_waitcnt lgkmcnt(4)
	v_pk_mul_f32 v[12:13], v[2:3], v[16:17]
	ds_write2st64_b32 v10, v12, v13 offset0:8 offset1:10
	s_waitcnt lgkmcnt(4)
	v_pk_mul_f32 v[12:13], v[2:3], v[20:21]
	ds_write2st64_b32 v10, v12, v13 offset0:12 offset1:14
	ds_read2st64_b32 v[12:13], v10 offset0:20 offset1:22
	s_waitcnt lgkmcnt(3)
	v_pk_mul_f32 v[14:15], v[2:3], v[14:15]
	ds_read2st64_b32 v[16:17], v10 offset0:24 offset1:26
	ds_write2st64_b32 v10, v14, v15 offset0:16 offset1:18
	ds_read2st64_b32 v[14:15], v10 offset0:28 offset1:30
	s_waitcnt lgkmcnt(3)
	v_pk_mul_f32 v[12:13], v[2:3], v[12:13]
	ds_write2st64_b32 v10, v12, v13 offset0:20 offset1:22
	s_waitcnt lgkmcnt(3)
	v_pk_mul_f32 v[12:13], v[2:3], v[16:17]
	ds_write2st64_b32 v10, v12, v13 offset0:24 offset1:26
	s_waitcnt lgkmcnt(2)
	v_pk_mul_f32 v[12:13], v[2:3], v[14:15]
	s_add_i32 s15, s15, 16
	v_cmp_eq_u32_e32 vcc, 0, v9
	ds_write2st64_b32 v10, v12, v13 offset0:28 offset1:30
	v_add_u32_e32 v10, 0x2000, v10
	s_or_b64 s[34:35], vcc, s[34:35]
	v_mov_b32_e32 v11, s15
	s_andn2_b64 exec, exec, s[34:35]
	s_cbranch_execnz .LBB22_29
; %bb.30:
	s_or_b64 exec, exec, s[34:35]
.LBB22_31:
	s_or_b64 exec, exec, s[10:11]
	v_and_b32_e32 v8, 7, v8
	v_cmp_ne_u32_e32 vcc, 0, v8
	s_and_saveexec_b64 s[10:11], vcc
	s_cbranch_execz .LBB22_34
; %bb.32:
	v_lshlrev_b32_e32 v9, 9, v11
	s_movk_i32 s15, 0x1d0
	v_add3_u32 v9, v9, v24, s15
	s_mov_b64 s[34:35], 0
.LBB22_33:                              ; =>This Inner Loop Header: Depth=1
	ds_read2st64_b32 v[10:11], v9 offset1:2
	v_add_u32_e32 v8, -1, v8
	v_cmp_eq_u32_e32 vcc, 0, v8
	s_or_b64 s[34:35], vcc, s[34:35]
	s_waitcnt lgkmcnt(0)
	v_pk_mul_f32 v[10:11], v[2:3], v[10:11]
	ds_write2st64_b32 v9, v10, v11 offset1:2
	v_add_u32_e32 v9, 0x400, v9
	s_andn2_b64 exec, exec, s[34:35]
	s_cbranch_execnz .LBB22_33
.LBB22_34:
	s_or_b64 exec, exec, s[10:11]
	v_add_u32_e32 v7, 1, v7
	v_and_b32_e32 v8, 0x3fffffe, v7
	v_cmp_ne_u32_e32 vcc, v7, v8
	v_lshl_add_u32 v3, v8, 7, v0
	s_orn2_b64 s[10:11], vcc, exec
.LBB22_35:
	s_or_b64 exec, exec, s[8:9]
	s_and_b64 exec, exec, s[10:11]
	s_cbranch_execz .LBB22_38
; %bb.36:
	v_mov_b32_e32 v7, 0x1d0
	v_lshl_add_u32 v7, v3, 2, v7
	s_mov_b64 s[8:9], 0
.LBB22_37:                              ; =>This Inner Loop Header: Depth=1
	ds_read_b32 v8, v7
	v_add_u32_e32 v3, 0x80, v3
	v_cmp_le_i32_e32 vcc, s12, v3
	s_or_b64 s[8:9], vcc, s[8:9]
	s_waitcnt lgkmcnt(0)
	v_mul_f32_e32 v8, v2, v8
	ds_write_b32 v7, v8
	v_add_u32_e32 v7, 0x200, v7
	s_andn2_b64 exec, exec, s[8:9]
	s_cbranch_execnz .LBB22_37
.LBB22_38:
	s_or_b64 exec, exec, s[0:1]
	s_mul_i32 s0, s21, s24
	v_cmp_eq_u32_e32 vcc, 0, v0
	s_mul_i32 s8, s0, s5
	s_waitcnt lgkmcnt(0)
	s_barrier
	s_and_saveexec_b64 s[0:1], vcc
	s_cbranch_execz .LBB22_40
; %bb.39:
	s_ashr_i32 s9, s8, 31
	s_lshl_b64 s[10:11], s[8:9], 2
	s_add_u32 s5, s18, s10
	s_mul_i32 s18, s21, s2
	s_addc_u32 s9, s19, s11
	s_ashr_i32 s19, s18, 31
	s_lshl_b64 s[18:19], s[18:19], 2
	s_add_u32 s2, s5, s18
	s_addc_u32 s9, s9, s19
	s_ashr_i32 s5, s4, 31
	s_lshl_b64 s[34:35], s[4:5], 2
	s_add_u32 s36, s2, s34
	s_addc_u32 s37, s9, s35
	s_add_u32 s2, s16, s10
	s_addc_u32 s5, s17, s11
	;; [unrolled: 2-line block ×3, first 2 shown]
	s_add_u32 s10, s2, s34
	v_mov_b32_e32 v2, 0
	s_addc_u32 s11, s5, s35
	global_store_dword v2, v5, s[36:37]
	global_store_dword v2, v6, s[10:11]
.LBB22_40:
	s_or_b64 exec, exec, s[0:1]
	v_mov_b32_e32 v21, 0
	v_lshrrev_b32_e32 v34, 1, v4
	v_and_b32_e32 v33, 1, v0
	v_mov_b32_e32 v20, v21
	v_mov_b32_e32 v23, v21
	;; [unrolled: 1-line block ×3, first 2 shown]
	s_and_saveexec_b64 s[10:11], s[6:7]
	s_cbranch_execz .LBB22_54
; %bb.41:
	s_ashr_i32 s15, s14, 31
	s_lshl_b64 s[0:1], s[14:15], 2
	s_add_u32 s6, s30, s0
	v_or_b32_e32 v4, 0x60, v34
	s_movk_i32 s0, 0x70
	v_and_b32_e32 v3, 4, v24
	s_addc_u32 s7, s31, s1
	s_add_i32 s9, s3, -1
	v_cmp_gt_u32_e32 vcc, s0, v4
	v_lshl_add_u32 v5, v26, 3, s40
	s_lshl_b64 s[0:1], s[28:29], 2
	v_lshl_or_b32 v2, v34, 3, v3
	v_lshl_or_b32 v4, v4, 3, v3
	v_add3_u32 v35, v5, v3, 3
	v_lshlrev_b32_e32 v3, 4, v33
	s_add_u32 s0, s26, s0
	v_mov_b32_e32 v25, 0
	v_lshl_or_b32 v3, v26, 5, v3
	s_addc_u32 s1, s27, s1
	s_mov_b32 s5, s13
	v_add_u32_e32 v36, 0x1d0, v3
	v_lshl_add_u64 v[26:27], v[18:19], 2, s[0:1]
	s_mov_b64 s[12:13], 0
	v_lshlrev_b32_e32 v28, 2, v2
	v_mov_b32_e32 v29, v25
	v_lshlrev_b32_e32 v24, 2, v4
	v_mov_b32_e32 v22, v25
	v_mov_b32_e32 v23, v25
	;; [unrolled: 1-line block ×4, first 2 shown]
	s_branch .LBB22_44
.LBB22_42:                              ;   in Loop: Header=BB22_44 Depth=1
	s_or_b64 exec, exec, s[14:15]
	s_waitcnt vmcnt(0)
	v_mul_f32_e32 v3, v3, v7
	v_fmac_f32_e32 v3, v2, v6
	v_fmac_f32_e32 v3, v4, v8
	;; [unrolled: 1-line block ×3, first 2 shown]
	v_add_f32_e32 v21, v21, v3
.LBB22_43:                              ;   in Loop: Header=BB22_44 Depth=1
	s_or_b64 exec, exec, s[2:3]
	v_add_u32_e32 v18, 2, v18
	v_cmp_le_i32_e64 s[0:1], s33, v18
	v_add_u32_e32 v35, 16, v35
	v_add_u32_e32 v36, 64, v36
	s_or_b64 s[12:13], s[0:1], s[12:13]
	v_lshl_add_u64 v[26:27], v[26:27], 0, 8
	s_andn2_b64 exec, exec, s[12:13]
	s_cbranch_execz .LBB22_53
.LBB22_44:                              ; =>This Inner Loop Header: Depth=1
	global_load_dword v2, v[26:27], off
	v_add_u32_e32 v19, -3, v35
	s_waitcnt vmcnt(0)
	v_mad_i64_i32 v[2:3], s[0:1], v2, s5, 0
	v_lshl_add_u64 v[30:31], v[2:3], 2, s[6:7]
	v_lshl_add_u64 v[14:15], v[30:31], 0, v[28:29]
	global_load_dwordx4 v[6:9], v[14:15], off
	ds_read_b128 v[2:5], v36
	v_cmp_eq_u32_e64 s[0:1], s9, v18
	s_and_saveexec_b64 s[14:15], s[0:1]
	s_cbranch_execnz .LBB22_51
; %bb.45:                               ;   in Loop: Header=BB22_44 Depth=1
	s_or_b64 exec, exec, s[14:15]
	global_load_dwordx4 v[10:13], v[14:15], off offset:1024
	s_and_saveexec_b64 s[14:15], s[0:1]
	s_cbranch_execnz .LBB22_52
.LBB22_46:                              ;   in Loop: Header=BB22_44 Depth=1
	s_or_b64 exec, exec, s[14:15]
	global_load_dwordx4 v[14:17], v[14:15], off offset:2048
	s_and_saveexec_b64 s[14:15], s[0:1]
	s_cbranch_execz .LBB22_48
.LBB22_47:                              ;   in Loop: Header=BB22_44 Depth=1
	v_cmp_gt_i32_e64 s[2:3], s25, v19
	v_add_u32_e32 v37, -2, v35
	s_waitcnt vmcnt(0)
	v_cndmask_b32_e64 v14, 0, v14, s[2:3]
	v_cmp_gt_i32_e64 s[2:3], s25, v37
	v_add_u32_e32 v37, -1, v35
	s_nop 0
	v_cndmask_b32_e64 v15, 0, v15, s[2:3]
	v_cmp_gt_i32_e64 s[2:3], s25, v37
	s_nop 1
	v_cndmask_b32_e64 v16, 0, v16, s[2:3]
	v_cmp_gt_i32_e64 s[2:3], s25, v35
	s_nop 1
	v_cndmask_b32_e64 v17, 0, v17, s[2:3]
.LBB22_48:                              ;   in Loop: Header=BB22_44 Depth=1
	s_or_b64 exec, exec, s[14:15]
	s_waitcnt vmcnt(2) lgkmcnt(0)
	v_mul_f32_e32 v7, v3, v7
	v_fmac_f32_e32 v7, v2, v6
	s_waitcnt vmcnt(1)
	v_mul_f32_e32 v6, v3, v11
	v_fmac_f32_e32 v6, v2, v10
	v_fmac_f32_e32 v6, v4, v12
	;; [unrolled: 1-line block ×3, first 2 shown]
	v_add_f32_e32 v23, v23, v6
	s_waitcnt vmcnt(0)
	v_mul_f32_e32 v6, v3, v15
	v_fmac_f32_e32 v6, v2, v14
	v_fmac_f32_e32 v7, v4, v8
	v_fmac_f32_e32 v6, v4, v16
	v_fmac_f32_e32 v7, v5, v9
	v_fmac_f32_e32 v6, v5, v17
	v_add_f32_e32 v22, v22, v7
	v_add_f32_e32 v20, v20, v6
	s_and_saveexec_b64 s[2:3], vcc
	s_cbranch_execz .LBB22_43
; %bb.49:                               ;   in Loop: Header=BB22_44 Depth=1
	v_lshl_add_u64 v[6:7], v[30:31], 0, v[24:25]
	global_load_dwordx4 v[6:9], v[6:7], off
	s_and_saveexec_b64 s[14:15], s[0:1]
	s_cbranch_execz .LBB22_42
; %bb.50:                               ;   in Loop: Header=BB22_44 Depth=1
	v_cmp_gt_i32_e64 s[0:1], s25, v19
	v_add_u32_e32 v10, -2, v35
	s_waitcnt vmcnt(0)
	v_cndmask_b32_e64 v6, 0, v6, s[0:1]
	v_cmp_gt_i32_e64 s[0:1], s25, v10
	v_add_u32_e32 v10, -1, v35
	s_nop 0
	v_cndmask_b32_e64 v7, 0, v7, s[0:1]
	v_cmp_gt_i32_e64 s[0:1], s25, v10
	s_nop 1
	v_cndmask_b32_e64 v8, 0, v8, s[0:1]
	v_cmp_gt_i32_e64 s[0:1], s25, v35
	s_nop 1
	v_cndmask_b32_e64 v9, 0, v9, s[0:1]
	s_branch .LBB22_42
.LBB22_51:                              ;   in Loop: Header=BB22_44 Depth=1
	v_cmp_gt_i32_e64 s[2:3], s25, v19
	v_add_u32_e32 v10, -2, v35
	s_waitcnt vmcnt(0)
	v_cndmask_b32_e64 v6, 0, v6, s[2:3]
	v_cmp_gt_i32_e64 s[2:3], s25, v10
	v_add_u32_e32 v10, -1, v35
	s_nop 0
	v_cndmask_b32_e64 v7, 0, v7, s[2:3]
	v_cmp_gt_i32_e64 s[2:3], s25, v10
	s_nop 1
	v_cndmask_b32_e64 v8, 0, v8, s[2:3]
	v_cmp_gt_i32_e64 s[2:3], s25, v35
	s_nop 1
	v_cndmask_b32_e64 v9, 0, v9, s[2:3]
	s_or_b64 exec, exec, s[14:15]
	global_load_dwordx4 v[10:13], v[14:15], off offset:1024
	s_and_saveexec_b64 s[14:15], s[0:1]
	s_cbranch_execz .LBB22_46
.LBB22_52:                              ;   in Loop: Header=BB22_44 Depth=1
	v_cmp_gt_i32_e64 s[2:3], s25, v19
	v_add_u32_e32 v16, -2, v35
	s_waitcnt vmcnt(0)
	v_cndmask_b32_e64 v10, 0, v10, s[2:3]
	v_cmp_gt_i32_e64 s[2:3], s25, v16
	v_add_u32_e32 v16, -1, v35
	s_nop 0
	v_cndmask_b32_e64 v11, 0, v11, s[2:3]
	v_cmp_gt_i32_e64 s[2:3], s25, v16
	s_nop 1
	v_cndmask_b32_e64 v12, 0, v12, s[2:3]
	v_cmp_gt_i32_e64 s[2:3], s25, v35
	s_nop 1
	v_cndmask_b32_e64 v13, 0, v13, s[2:3]
	s_or_b64 exec, exec, s[14:15]
	global_load_dwordx4 v[14:17], v[14:15], off offset:2048
	s_and_saveexec_b64 s[14:15], s[0:1]
	s_cbranch_execnz .LBB22_47
	s_branch .LBB22_48
.LBB22_53:
	s_or_b64 exec, exec, s[12:13]
.LBB22_54:
	s_or_b64 exec, exec, s[10:11]
	ds_bpermute_b32 v2, v32, v22
	ds_bpermute_b32 v3, v32, v23
	;; [unrolled: 1-line block ×4, first 2 shown]
	s_waitcnt lgkmcnt(0)
	s_barrier
	v_pk_add_f32 v[4:5], v[22:23], v[2:3]
	v_pk_add_f32 v[2:3], v[20:21], v[6:7]
	v_and_b32_e32 v6, 0x3c0, v0
	v_cmp_eq_u32_e32 vcc, 64, v6
	s_and_saveexec_b64 s[2:3], vcc
	s_cbranch_execz .LBB22_59
; %bb.55:
	v_cmp_eq_u32_e32 vcc, 0, v33
	s_and_saveexec_b64 s[0:1], vcc
	s_cbranch_execz .LBB22_57
; %bb.56:
	v_mov_b32_e32 v6, 0x1d0
	v_lshl_add_u32 v6, v34, 2, v6
	ds_write2_b32 v6, v4, v5 offset1:32
	ds_write_b32 v6, v2 offset:256
.LBB22_57:
	s_or_b64 exec, exec, s[0:1]
	v_or_b32_e32 v6, 0x60, v34
	s_movk_i32 s0, 0x70
	v_cmp_gt_u32_e64 s[0:1], s0, v6
	s_and_b64 s[0:1], vcc, s[0:1]
	s_and_b64 exec, exec, s[0:1]
	s_cbranch_execz .LBB22_59
; %bb.58:
	v_mov_b32_e32 v6, 0x1d0
	v_lshl_add_u32 v6, v34, 2, v6
	ds_write_b32 v6, v3 offset:384
.LBB22_59:
	s_or_b64 exec, exec, s[2:3]
	v_cmp_gt_u32_e32 vcc, 64, v0
	s_waitcnt lgkmcnt(0)
	s_barrier
	s_and_saveexec_b64 s[6:7], vcc
	s_cbranch_execz .LBB22_67
; %bb.60:
	v_cmp_eq_u32_e64 s[0:1], 0, v33
	s_and_saveexec_b64 s[2:3], s[0:1]
	s_cbranch_execnz .LBB22_73
; %bb.61:
	s_or_b64 exec, exec, s[2:3]
	s_and_saveexec_b64 s[2:3], s[0:1]
	s_cbranch_execnz .LBB22_74
.LBB22_62:
	s_or_b64 exec, exec, s[2:3]
	s_and_saveexec_b64 s[2:3], s[0:1]
	s_cbranch_execz .LBB22_64
.LBB22_63:
	v_mov_b32_e32 v0, 0x1d0
	v_lshl_add_u32 v0, v1, 2, v0
	ds_read_b32 v0, v0 offset:256
	s_waitcnt lgkmcnt(0)
	v_add_f32_e32 v2, v2, v0
.LBB22_64:
	s_or_b64 exec, exec, s[2:3]
	v_or_b32_e32 v0, 0x60, v1
	s_movk_i32 s2, 0x70
	v_cmp_gt_u32_e64 s[2:3], s2, v0
	s_and_b64 s[2:3], s[0:1], s[2:3]
	s_and_saveexec_b64 s[0:1], s[2:3]
	s_cbranch_execz .LBB22_66
; %bb.65:
	v_mov_b32_e32 v0, 0x1d0
	v_lshl_add_u32 v0, v1, 2, v0
	ds_read_b32 v0, v0 offset:384
	s_waitcnt lgkmcnt(0)
	v_add_f32_e32 v3, v3, v0
.LBB22_66:
	s_or_b64 exec, exec, s[0:1]
.LBB22_67:
	s_or_b64 exec, exec, s[6:7]
	s_barrier
	s_and_saveexec_b64 s[0:1], vcc
	s_cbranch_execz .LBB22_72
; %bb.68:
	s_mul_i32 s0, s8, 0x70
	s_ashr_i32 s1, s0, 31
	s_lshl_b64 s[0:1], s[0:1], 2
	s_add_u32 s2, s22, s0
	s_mul_i32 s0, s21, s20
	s_addc_u32 s3, s23, s1
	s_ashr_i32 s1, s0, 31
	s_lshl_b64 s[0:1], s[0:1], 2
	s_add_u32 s2, s2, s0
	s_mul_i32 s0, s4, 0x70
	s_addc_u32 s3, s3, s1
	s_ashr_i32 s1, s0, 31
	s_lshl_b64 s[0:1], s[0:1], 2
	s_add_u32 s2, s2, s0
	s_movk_i32 s5, 0x70
	s_addc_u32 s3, s3, s1
	v_cmp_eq_u32_e32 vcc, 0, v33
	v_lshlrev_b32_e32 v0, 2, v1
	s_and_saveexec_b64 s[0:1], vcc
	s_cbranch_execz .LBB22_70
; %bb.69:
	global_store_dword v0, v4, s[2:3]
	global_store_dword v0, v5, s[2:3] offset:128
	global_store_dword v0, v2, s[2:3] offset:256
.LBB22_70:
	s_or_b64 exec, exec, s[0:1]
	v_or_b32_e32 v1, 0x60, v1
	v_cmp_gt_u32_e64 s[0:1], s5, v1
	s_and_b64 s[0:1], vcc, s[0:1]
	s_and_b64 exec, exec, s[0:1]
	s_cbranch_execz .LBB22_72
; %bb.71:
	global_store_dword v0, v3, s[2:3] offset:384
.LBB22_72:
	s_endpgm
.LBB22_73:
	v_mov_b32_e32 v0, 0x1d0
	v_lshl_add_u32 v0, v1, 2, v0
	ds_read_b32 v0, v0
	s_waitcnt lgkmcnt(0)
	v_add_f32_e32 v4, v4, v0
	s_or_b64 exec, exec, s[2:3]
	s_and_saveexec_b64 s[2:3], s[0:1]
	s_cbranch_execz .LBB22_62
.LBB22_74:
	v_mov_b32_e32 v0, 0x1d0
	v_lshl_add_u32 v0, v1, 2, v0
	ds_read_b32 v0, v0 offset:128
	s_waitcnt lgkmcnt(0)
	v_add_f32_e32 v5, v5, v0
	s_or_b64 exec, exec, s[2:3]
	s_and_saveexec_b64 s[2:3], s[0:1]
	s_cbranch_execnz .LBB22_63
	s_branch .LBB22_64
	.section	.rodata,"a",@progbits
	.p2align	6, 0x0
	.amdhsa_kernel _ZN4vllm25paged_attention_v2_kernelIffLi112ELi8ELi128ELNS_18Fp8KVCacheDataTypeE0ELb0ELi512EEEvPfS2_PT_PKS3_PKT0_S9_ifPKiSB_iPKfiiiSD_SD_iiiii
		.amdhsa_group_segment_fixed_size 464
		.amdhsa_private_segment_fixed_size 0
		.amdhsa_kernarg_size 400
		.amdhsa_user_sgpr_count 2
		.amdhsa_user_sgpr_dispatch_ptr 0
		.amdhsa_user_sgpr_queue_ptr 0
		.amdhsa_user_sgpr_kernarg_segment_ptr 1
		.amdhsa_user_sgpr_dispatch_id 0
		.amdhsa_user_sgpr_kernarg_preload_length 0
		.amdhsa_user_sgpr_kernarg_preload_offset 0
		.amdhsa_user_sgpr_private_segment_size 0
		.amdhsa_uses_dynamic_stack 0
		.amdhsa_enable_private_segment 0
		.amdhsa_system_sgpr_workgroup_id_x 1
		.amdhsa_system_sgpr_workgroup_id_y 1
		.amdhsa_system_sgpr_workgroup_id_z 1
		.amdhsa_system_sgpr_workgroup_info 0
		.amdhsa_system_vgpr_workitem_id 0
		.amdhsa_next_free_vgpr 49
		.amdhsa_next_free_sgpr 42
		.amdhsa_accum_offset 52
		.amdhsa_reserve_vcc 1
		.amdhsa_float_round_mode_32 0
		.amdhsa_float_round_mode_16_64 0
		.amdhsa_float_denorm_mode_32 3
		.amdhsa_float_denorm_mode_16_64 3
		.amdhsa_dx10_clamp 1
		.amdhsa_ieee_mode 1
		.amdhsa_fp16_overflow 0
		.amdhsa_tg_split 0
		.amdhsa_exception_fp_ieee_invalid_op 0
		.amdhsa_exception_fp_denorm_src 0
		.amdhsa_exception_fp_ieee_div_zero 0
		.amdhsa_exception_fp_ieee_overflow 0
		.amdhsa_exception_fp_ieee_underflow 0
		.amdhsa_exception_fp_ieee_inexact 0
		.amdhsa_exception_int_div_zero 0
	.end_amdhsa_kernel
	.section	.text._ZN4vllm25paged_attention_v2_kernelIffLi112ELi8ELi128ELNS_18Fp8KVCacheDataTypeE0ELb0ELi512EEEvPfS2_PT_PKS3_PKT0_S9_ifPKiSB_iPKfiiiSD_SD_iiiii,"axG",@progbits,_ZN4vllm25paged_attention_v2_kernelIffLi112ELi8ELi128ELNS_18Fp8KVCacheDataTypeE0ELb0ELi512EEEvPfS2_PT_PKS3_PKT0_S9_ifPKiSB_iPKfiiiSD_SD_iiiii,comdat
.Lfunc_end22:
	.size	_ZN4vllm25paged_attention_v2_kernelIffLi112ELi8ELi128ELNS_18Fp8KVCacheDataTypeE0ELb0ELi512EEEvPfS2_PT_PKS3_PKT0_S9_ifPKiSB_iPKfiiiSD_SD_iiiii, .Lfunc_end22-_ZN4vllm25paged_attention_v2_kernelIffLi112ELi8ELi128ELNS_18Fp8KVCacheDataTypeE0ELb0ELi512EEEvPfS2_PT_PKS3_PKT0_S9_ifPKiSB_iPKfiiiSD_SD_iiiii
                                        ; -- End function
	.section	.AMDGPU.csdata,"",@progbits
; Kernel info:
; codeLenInByte = 4336
; NumSgprs: 48
; NumVgprs: 49
; NumAgprs: 0
; TotalNumVgprs: 49
; ScratchSize: 0
; MemoryBound: 0
; FloatMode: 240
; IeeeMode: 1
; LDSByteSize: 464 bytes/workgroup (compile time only)
; SGPRBlocks: 5
; VGPRBlocks: 6
; NumSGPRsForWavesPerEU: 48
; NumVGPRsForWavesPerEU: 49
; AccumOffset: 52
; Occupancy: 8
; WaveLimiterHint : 1
; COMPUTE_PGM_RSRC2:SCRATCH_EN: 0
; COMPUTE_PGM_RSRC2:USER_SGPR: 2
; COMPUTE_PGM_RSRC2:TRAP_HANDLER: 0
; COMPUTE_PGM_RSRC2:TGID_X_EN: 1
; COMPUTE_PGM_RSRC2:TGID_Y_EN: 1
; COMPUTE_PGM_RSRC2:TGID_Z_EN: 1
; COMPUTE_PGM_RSRC2:TIDIG_COMP_CNT: 0
; COMPUTE_PGM_RSRC3_GFX90A:ACCUM_OFFSET: 12
; COMPUTE_PGM_RSRC3_GFX90A:TG_SPLIT: 0
	.section	.text._ZN4vllm25paged_attention_v2_kernelIffLi120ELi8ELi128ELNS_18Fp8KVCacheDataTypeE0ELb0ELi512EEEvPfS2_PT_PKS3_PKT0_S9_ifPKiSB_iPKfiiiSD_SD_iiiii,"axG",@progbits,_ZN4vllm25paged_attention_v2_kernelIffLi120ELi8ELi128ELNS_18Fp8KVCacheDataTypeE0ELb0ELi512EEEvPfS2_PT_PKS3_PKT0_S9_ifPKiSB_iPKfiiiSD_SD_iiiii,comdat
	.protected	_ZN4vllm25paged_attention_v2_kernelIffLi120ELi8ELi128ELNS_18Fp8KVCacheDataTypeE0ELb0ELi512EEEvPfS2_PT_PKS3_PKT0_S9_ifPKiSB_iPKfiiiSD_SD_iiiii ; -- Begin function _ZN4vllm25paged_attention_v2_kernelIffLi120ELi8ELi128ELNS_18Fp8KVCacheDataTypeE0ELb0ELi512EEEvPfS2_PT_PKS3_PKT0_S9_ifPKiSB_iPKfiiiSD_SD_iiiii
	.globl	_ZN4vllm25paged_attention_v2_kernelIffLi120ELi8ELi128ELNS_18Fp8KVCacheDataTypeE0ELb0ELi512EEEvPfS2_PT_PKS3_PKT0_S9_ifPKiSB_iPKfiiiSD_SD_iiiii
	.p2align	8
	.type	_ZN4vllm25paged_attention_v2_kernelIffLi120ELi8ELi128ELNS_18Fp8KVCacheDataTypeE0ELb0ELi512EEEvPfS2_PT_PKS3_PKT0_S9_ifPKiSB_iPKfiiiSD_SD_iiiii,@function
_ZN4vllm25paged_attention_v2_kernelIffLi120ELi8ELi128ELNS_18Fp8KVCacheDataTypeE0ELb0ELi512EEEvPfS2_PT_PKS3_PKT0_S9_ifPKiSB_iPKfiiiSD_SD_iiiii: ; @_ZN4vllm25paged_attention_v2_kernelIffLi120ELi8ELi128ELNS_18Fp8KVCacheDataTypeE0ELb0ELi512EEEvPfS2_PT_PKS3_PKT0_S9_ifPKiSB_iPKfiiiSD_SD_iiiii
; %bb.0:
	s_load_dwordx2 s[6:7], s[0:1], 0x40
	s_mov_b32 s24, s3
	s_ashr_i32 s25, s3, 31
	s_lshl_b64 s[8:9], s[24:25], 2
	s_waitcnt lgkmcnt(0)
	s_add_u32 s6, s6, s8
	s_addc_u32 s7, s7, s9
	s_load_dword s25, s[6:7], 0x0
	s_lshl_b32 s40, s4, 9
	s_waitcnt lgkmcnt(0)
	s_cmp_ge_i32 s40, s25
	s_cbranch_scc1 .LBB23_72
; %bb.1:
	s_load_dword s5, s[0:1], 0x90
	s_load_dwordx2 s[10:11], s[0:1], 0x30
	s_mov_b32 s41, 0
	s_waitcnt lgkmcnt(0)
	s_abs_i32 s7, s5
	s_abs_i32 s3, s10
	v_cvt_f32_u32_e32 v1, s3
	s_sub_i32 s8, 0, s3
	s_xor_b32 s6, s5, s10
	s_ashr_i32 s6, s6, 31
	v_rcp_iflag_f32_e32 v1, v1
	s_nop 0
	v_mul_f32_e32 v1, 0x4f7ffffe, v1
	v_cvt_u32_f32_e32 v1, v1
	s_nop 0
	v_readfirstlane_b32 s9, v1
	s_mul_i32 s8, s8, s9
	s_mul_hi_u32 s8, s9, s8
	s_add_i32 s9, s9, s8
	s_mul_hi_u32 s8, s7, s9
	s_mul_i32 s9, s8, s3
	s_sub_i32 s7, s7, s9
	s_add_i32 s10, s8, 1
	s_sub_i32 s9, s7, s3
	s_cmp_ge_u32 s7, s3
	s_cselect_b32 s8, s10, s8
	s_cselect_b32 s7, s9, s7
	s_add_i32 s9, s8, 1
	s_cmp_ge_u32 s7, s3
	s_cselect_b32 s3, s9, s8
	s_xor_b32 s3, s3, s6
	s_sub_i32 s10, s3, s6
	s_abs_i32 s8, s10
	v_cvt_f32_u32_e32 v1, s8
	s_load_dwordx2 s[6:7], s[0:1], 0x50
	s_sub_i32 s3, 0, s8
	s_abs_i32 s9, s2
	v_rcp_iflag_f32_e32 v1, v1
	s_nop 0
	v_mul_f32_e32 v1, 0x4f7ffffe, v1
	v_cvt_u32_f32_e32 v1, v1
	s_nop 0
	v_readfirstlane_b32 s12, v1
	s_mul_i32 s3, s3, s12
	s_mul_hi_u32 s3, s12, s3
	s_add_i32 s12, s12, s3
	s_waitcnt lgkmcnt(0)
	s_cmp_eq_u64 s[6:7], 0
	s_mul_hi_u32 s16, s9, s12
	s_cbranch_scc1 .LBB23_3
; %bb.2:
	s_ashr_i32 s3, s2, 31
	s_lshl_b64 s[12:13], s[2:3], 2
	s_add_u32 s6, s6, s12
	s_addc_u32 s7, s7, s13
	s_load_dword s41, s[6:7], 0x0
.LBB23_3:
	s_load_dwordx4 s[12:15], s[0:1], 0x58
	s_movk_i32 s3, 0x78
	s_ashr_i32 s17, s2, 31
	s_ashr_i32 s18, s10, 31
	v_and_b32_e32 v16, 7, v0
	s_mul_i32 s20, s2, 0x78
	v_cmp_gt_u32_e32 vcc, s3, v0
	v_lshlrev_b32_e32 v24, 2, v0
	v_lshrrev_b32_e32 v1, 1, v0
	s_and_saveexec_b64 s[6:7], vcc
	s_cbranch_execz .LBB23_5
; %bb.4:
	s_load_dwordx2 s[22:23], s[0:1], 0x18
	s_waitcnt lgkmcnt(0)
	s_mul_i32 s26, s24, s12
	s_ashr_i32 s27, s26, 31
	s_lshl_b64 s[26:27], s[26:27], 2
	v_and_b32_e32 v3, 0x1fc, v1
	s_add_u32 s3, s22, s26
	s_addc_u32 s10, s23, s27
	s_ashr_i32 s21, s20, 31
	s_lshl_b64 s[22:23], s[20:21], 2
	s_add_u32 s22, s3, s22
	s_addc_u32 s23, s10, s23
	global_load_dword v2, v24, s[22:23]
	v_mad_u32_u24 v3, v16, 60, v3
	s_waitcnt vmcnt(0)
	ds_write_b32 v3, v2
.LBB23_5:
	s_or_b64 exec, exec, s[6:7]
	s_add_i32 s3, s25, 7
	s_ashr_i32 s6, s3, 31
	s_lshr_b32 s6, s6, 29
	s_add_i32 s3, s3, s6
	s_lshl_b32 s10, s4, 6
	s_mul_i32 s7, s16, s8
	s_ashr_i32 s3, s3, 3
	s_add_i32 s6, s10, 64
	s_sub_i32 s7, s9, s7
	s_min_i32 s33, s6, s3
	s_xor_b32 s6, s17, s18
	s_add_i32 s9, s16, 1
	s_waitcnt lgkmcnt(0)
	s_sub_i32 s12, s7, s8
	s_cmp_ge_u32 s7, s8
	s_cselect_b32 s9, s9, s16
	s_cselect_b32 s7, s12, s7
	s_add_i32 s12, s9, 1
	s_cmp_ge_u32 s7, s8
	s_load_dwordx2 s[26:27], s[0:1], 0x38
	s_load_dword s8, s[0:1], 0x48
	v_lshrrev_b32_e32 v26, 6, v0
	s_cselect_b32 s7, s12, s9
	s_xor_b32 s7, s7, s6
	v_or_b32_e32 v18, s10, v26
	s_waitcnt lgkmcnt(0)
	s_mul_i32 s28, s24, s8
	s_sub_i32 s12, s7, s6
	s_ashr_i32 s29, s28, 31
	v_cmp_gt_i32_e64 s[6:7], s33, v18
	v_cmp_le_i32_e32 vcc, s33, v18
	v_mbcnt_lo_u32_b32 v17, -1, 0
	s_barrier
	s_waitcnt lgkmcnt(0)
                                        ; implicit-def: $sgpr15
                                        ; implicit-def: $vgpr22
                                        ; implicit-def: $vgpr23
	s_and_saveexec_b64 s[8:9], vcc
	s_xor_b64 s[8:9], exec, s[8:9]
; %bb.6:
	v_mbcnt_hi_u32_b32 v22, -1, v17
	v_and_b32_e32 v2, 64, v22
	v_add_u32_e32 v23, 64, v2
	s_mov_b32 s15, 0xff7fffff
                                        ; implicit-def: $vgpr16
                                        ; implicit-def: $vgpr17
; %bb.7:
	s_or_saveexec_b64 s[34:35], s[8:9]
	s_load_dwordx4 s[16:19], s[0:1], 0x0
	s_load_dwordx2 s[22:23], s[0:1], 0x10
	s_load_dwordx2 s[30:31], s[0:1], 0x28
	s_load_dword s21, s[0:1], 0x98
	v_mov_b32_e32 v27, s15
	s_mul_i32 s14, s12, s14
	v_ashrrev_i32_e32 v19, 31, v18
	s_xor_b64 exec, exec, s[34:35]
	s_cbranch_execz .LBB23_13
; %bb.8:
	s_load_dwordx2 s[0:1], s[0:1], 0x20
	s_ashr_i32 s15, s14, 31
	s_lshl_b64 s[8:9], s[14:15], 2
	v_bfe_u32 v27, v0, 3, 3
	v_mbcnt_hi_u32_b32 v22, -1, v17
	s_waitcnt lgkmcnt(0)
	s_add_u32 s0, s0, s8
	s_addc_u32 s1, s1, s9
	v_lshlrev_b32_e32 v20, 4, v27
	v_mov_b32_e32 v21, 0
	v_and_b32_e32 v4, 3, v0
	v_and_b32_e32 v17, 64, v22
	v_lshl_add_u64 v[2:3], s[0:1], 0, v[20:21]
	v_lshlrev_b32_e32 v20, 2, v4
	v_add_u32_e32 v23, 64, v17
	v_xor_b32_e32 v17, 4, v22
	v_lshl_add_u64 v[32:33], v[2:3], 0, v[20:21]
	v_mul_u32_u24_e32 v20, 60, v16
	v_cmp_lt_i32_e32 vcc, v17, v23
	ds_read2_b32 v[2:3], v20 offset1:1
	ds_read2_b32 v[4:5], v20 offset0:2 offset1:3
	ds_read2_b32 v[6:7], v20 offset0:4 offset1:5
	;; [unrolled: 1-line block ×6, first 2 shown]
	ds_read_b32 v25, v20 offset:56
	v_cndmask_b32_e32 v17, v22, v17, vcc
	v_lshlrev_b32_e32 v28, 2, v17
	v_xor_b32_e32 v17, 2, v22
	v_cmp_lt_i32_e32 vcc, v17, v23
	s_sub_i32 s15, 1, s25
	s_lshl_b64 s[8:9], s[28:29], 2
	v_cndmask_b32_e32 v17, v22, v17, vcc
	v_lshlrev_b32_e32 v29, 2, v17
	v_xor_b32_e32 v17, 1, v22
	v_cmp_lt_i32_e32 vcc, v17, v23
	v_lshlrev_b32_e32 v34, 2, v27
	s_add_u32 s8, s26, s8
	v_cndmask_b32_e32 v17, v22, v17, vcc
	v_cmp_eq_u32_e32 vcc, 0, v16
	v_lshlrev_b32_e32 v16, 5, v0
	v_and_b32_e32 v20, 0x80, v16
	v_lshlrev_b32_e32 v30, 2, v17
	v_lshl_add_u64 v[16:17], v[32:33], 0, v[20:21]
	v_lshlrev_b32_e32 v20, 3, v26
	v_add3_u32 v31, s40, v20, v27
	v_lshl_or_b32 v20, v26, 5, v34
	s_addc_u32 s9, s27, s9
	s_mov_b32 s12, s13
	v_cmp_neq_f32_e64 s[0:1], s41, 0
	v_add_u32_e32 v32, 0x1f0, v20
	v_lshl_add_u64 v[20:21], v[18:19], 2, s[8:9]
	s_mov_b64 s[36:37], 0
	v_mov_b32_e32 v27, 0xff7fffff
	v_mov_b32_e32 v33, v18
	s_branch .LBB23_10
.LBB23_9:                               ;   in Loop: Header=BB23_10 Depth=1
	s_or_b64 exec, exec, s[38:39]
	v_add_u32_e32 v33, 2, v33
	v_cmp_le_i32_e64 s[8:9], s33, v33
	v_add_u32_e32 v31, 16, v31
	v_add_u32_e32 v32, 64, v32
	s_or_b64 s[36:37], s[8:9], s[36:37]
	v_lshl_add_u64 v[20:21], v[20:21], 0, 8
	s_andn2_b64 exec, exec, s[36:37]
	s_cbranch_execz .LBB23_12
.LBB23_10:                              ; =>This Inner Loop Header: Depth=1
	global_load_dword v34, v[20:21], off
	s_waitcnt vmcnt(0) lgkmcnt(0)
	v_mad_i64_i32 v[34:35], s[8:9], v34, s12, 0
	v_lshl_add_u64 v[34:35], v[34:35], 2, v[16:17]
	global_load_dword v36, v[34:35], off offset:256
	global_load_dword v37, v[34:35], off
	global_load_dword v38, v[34:35], off offset:512
	global_load_dword v39, v[34:35], off offset:768
	;; [unrolled: 1-line block ×13, first 2 shown]
	s_waitcnt vmcnt(14) lgkmcnt(7)
	v_mul_f32_e32 v34, v3, v36
	s_waitcnt vmcnt(13)
	v_fmac_f32_e32 v34, v2, v37
	s_waitcnt vmcnt(12) lgkmcnt(6)
	v_fmac_f32_e32 v34, v4, v38
	s_waitcnt vmcnt(11)
	v_fmac_f32_e32 v34, v5, v39
	s_waitcnt vmcnt(10) lgkmcnt(5)
	v_fmac_f32_e32 v34, v6, v40
	;; [unrolled: 4-line block ×7, first 2 shown]
	ds_bpermute_b32 v35, v28, v34
	s_waitcnt lgkmcnt(0)
	v_add_f32_e32 v34, v34, v35
	ds_bpermute_b32 v35, v29, v34
	s_waitcnt lgkmcnt(0)
	v_add_f32_e32 v34, v34, v35
	ds_bpermute_b32 v35, v30, v34
	s_and_saveexec_b64 s[38:39], vcc
	s_cbranch_execz .LBB23_9
; %bb.11:                               ;   in Loop: Header=BB23_10 Depth=1
	v_add_u32_e32 v36, s15, v31
	v_cvt_f32_i32_e32 v36, v36
	s_waitcnt lgkmcnt(0)
	v_add_f32_e32 v34, v34, v35
	v_cmp_gt_i32_e64 s[8:9], s25, v31
	v_max_f32_e32 v35, v27, v27
	v_mul_f32_e32 v36, s41, v36
	v_cndmask_b32_e64 v36, 0, v36, s[0:1]
	v_fmac_f32_e32 v36, s11, v34
	v_cndmask_b32_e64 v34, 0, v36, s[8:9]
	ds_write_b32 v32, v34
	v_max_f32_e32 v34, v35, v36
	v_cndmask_b32_e64 v27, v27, v34, s[8:9]
	s_branch .LBB23_9
.LBB23_12:
	s_or_b64 exec, exec, s[36:37]
.LBB23_13:
	s_or_b64 exec, exec, s[34:35]
	v_xor_b32_e32 v2, 32, v22
	v_cmp_lt_i32_e32 vcc, v2, v23
	v_xor_b32_e32 v5, 16, v22
	v_max_f32_e32 v4, v27, v27
	v_cndmask_b32_e32 v2, v22, v2, vcc
	v_lshlrev_b32_e32 v3, 2, v2
	ds_bpermute_b32 v2, v3, v27
	v_cmp_lt_i32_e32 vcc, v5, v23
	v_xor_b32_e32 v6, 8, v22
	s_waitcnt lgkmcnt(0)
	v_max_f32_e32 v2, v2, v2
	v_max_f32_e32 v2, v4, v2
	v_cndmask_b32_e32 v4, v22, v5, vcc
	v_lshlrev_b32_e32 v7, 2, v4
	ds_bpermute_b32 v4, v7, v2
	v_cmp_lt_i32_e32 vcc, v6, v23
	s_waitcnt lgkmcnt(0)
	v_max_f32_e32 v4, v4, v4
	v_max_f32_e32 v5, v2, v4
	v_cndmask_b32_e32 v2, v22, v6, vcc
	v_lshlrev_b32_e32 v8, 2, v2
	ds_bpermute_b32 v6, v8, v5
	v_and_b32_e32 v4, 63, v0
	v_cmp_eq_u32_e32 vcc, 0, v4
	v_lshlrev_b32_e32 v2, 2, v26
	s_and_saveexec_b64 s[0:1], vcc
	s_cbranch_execz .LBB23_15
; %bb.14:
	s_waitcnt lgkmcnt(0)
	v_max_f32_e32 v6, v6, v6
	v_max_f32_e32 v5, v5, v5
	;; [unrolled: 1-line block ×3, first 2 shown]
	ds_write_b32 v2, v5 offset:480
.LBB23_15:
	s_or_b64 exec, exec, s[0:1]
	v_cmp_gt_u32_e64 s[0:1], 2, v4
	v_mov_b32_e32 v5, 0xff7fffff
	s_waitcnt lgkmcnt(0)
	v_lshlrev_b32_e32 v6, 2, v4
	s_barrier
	s_and_saveexec_b64 s[8:9], s[0:1]
	s_cbranch_execz .LBB23_17
; %bb.16:
	ds_read_b32 v5, v6 offset:480
.LBB23_17:
	s_or_b64 exec, exec, s[8:9]
	v_xor_b32_e32 v9, 1, v22
	v_cmp_lt_i32_e64 s[8:9], v9, v23
	v_mov_b32_e32 v10, 0
	s_nop 0
	v_cndmask_b32_e64 v9, v22, v9, s[8:9]
	v_lshlrev_b32_e32 v32, 2, v9
	s_waitcnt lgkmcnt(0)
	ds_bpermute_b32 v9, v32, v5
	v_max_f32_e32 v5, v5, v5
	s_sub_i32 s8, s33, s10
	s_lshl_b32 s8, s8, 3
	s_add_i32 s8, s8, s40
	s_waitcnt lgkmcnt(0)
	v_max_f32_e32 v9, v9, v9
	v_max_f32_e32 v5, v5, v9
	v_lshlrev_b32_e32 v9, 2, v22
	v_and_b32_e32 v9, 0xffffff00, v9
	ds_bpermute_b32 v5, v9, v5
	s_min_i32 s15, s8, s25
	s_sub_i32 s12, s15, s40
	v_cmp_gt_i32_e64 s[8:9], s12, v0
	s_and_saveexec_b64 s[34:35], s[8:9]
	s_cbranch_execz .LBB23_21
; %bb.18:
	v_mov_b32_e32 v10, 0x1f0
	v_lshl_add_u32 v11, v0, 2, v10
	s_mov_b64 s[36:37], 0
	v_mov_b32_e32 v10, 0
	v_mov_b32_e32 v12, v0
.LBB23_19:                              ; =>This Inner Loop Header: Depth=1
	ds_read_b32 v13, v11
	v_add_u32_e32 v12, 0x80, v12
	v_cmp_le_i32_e64 s[10:11], s12, v12
	s_or_b64 s[36:37], s[10:11], s[36:37]
	s_waitcnt lgkmcnt(0)
	v_sub_f32_e32 v13, v13, v5
	v_mul_f32_e32 v13, 0x3fb8aa3b, v13
	v_exp_f32_e32 v13, v13
	ds_write_b32 v11, v13
	v_add_f32_e32 v10, v10, v13
	v_add_u32_e32 v11, 0x200, v11
	s_andn2_b64 exec, exec, s[36:37]
	s_cbranch_execnz .LBB23_19
; %bb.20:
	s_or_b64 exec, exec, s[36:37]
.LBB23_21:
	s_or_b64 exec, exec, s[34:35]
	ds_bpermute_b32 v3, v3, v10
	s_waitcnt lgkmcnt(0)
	v_add_f32_e32 v3, v10, v3
	ds_bpermute_b32 v7, v7, v3
	s_waitcnt lgkmcnt(0)
	v_add_f32_e32 v3, v3, v7
	ds_bpermute_b32 v7, v8, v3
	v_xor_b32_e32 v8, 4, v22
	v_cmp_lt_i32_e64 s[10:11], v8, v23
	s_waitcnt lgkmcnt(0)
	v_add_f32_e32 v3, v3, v7
	v_cndmask_b32_e64 v8, v22, v8, s[10:11]
	v_lshlrev_b32_e32 v8, 2, v8
	ds_bpermute_b32 v7, v8, v3
	v_xor_b32_e32 v8, 2, v22
	v_cmp_lt_i32_e64 s[10:11], v8, v23
	s_waitcnt lgkmcnt(0)
	v_add_f32_e32 v3, v3, v7
	v_cndmask_b32_e64 v8, v22, v8, s[10:11]
	v_lshlrev_b32_e32 v7, 2, v8
	ds_bpermute_b32 v7, v7, v3
	s_waitcnt lgkmcnt(0)
	v_add_f32_e32 v3, v3, v7
	ds_bpermute_b32 v7, v32, v3
	s_waitcnt lgkmcnt(0)
	v_add_f32_e32 v3, v3, v7
	s_and_saveexec_b64 s[10:11], vcc
	s_cbranch_execz .LBB23_23
; %bb.22:
	ds_write_b32 v2, v3 offset:488
.LBB23_23:
	s_or_b64 exec, exec, s[10:11]
	s_waitcnt lgkmcnt(0)
	s_barrier
	s_and_saveexec_b64 s[10:11], s[0:1]
	s_cbranch_execz .LBB23_25
; %bb.24:
	ds_read_b32 v3, v6 offset:488
.LBB23_25:
	s_or_b64 exec, exec, s[10:11]
	s_waitcnt lgkmcnt(0)
	ds_bpermute_b32 v2, v32, v3
	s_waitcnt lgkmcnt(0)
	v_add_f32_e32 v2, v3, v2
	ds_bpermute_b32 v6, v9, v2
	s_and_saveexec_b64 s[0:1], s[8:9]
	s_cbranch_execz .LBB23_38
; %bb.26:
	s_waitcnt lgkmcnt(0)
	v_add_f32_e32 v2, 0x358637bd, v6
	v_div_scale_f32 v3, s[8:9], v2, v2, 1.0
	v_rcp_f32_e32 v7, v3
	v_div_scale_f32 v8, vcc, 1.0, v2, 1.0
	s_movk_i32 s8, 0x7f
	v_fma_f32 v9, -v3, v7, 1.0
	v_fmac_f32_e32 v7, v9, v7
	v_mul_f32_e32 v9, v8, v7
	v_fma_f32 v10, -v3, v9, v8
	v_fmac_f32_e32 v9, v10, v7
	v_fma_f32 v3, -v3, v9, v8
	v_div_fmas_f32 v3, v3, v7, v9
	v_div_fixup_f32 v2, v3, v2, 1.0
	v_xad_u32 v3, v0, -1, s15
	v_subrev_u32_e32 v7, s40, v3
	v_cmp_lt_u32_e32 vcc, s8, v7
	s_mov_b64 s[10:11], -1
	v_mov_b32_e32 v3, v0
	s_and_saveexec_b64 s[8:9], vcc
	s_cbranch_execz .LBB23_35
; %bb.27:
	v_lshrrev_b32_e32 v7, 7, v7
	v_add_u32_e32 v9, -1, v7
	v_lshrrev_b32_e32 v8, 1, v9
	v_mov_b32_e32 v3, v2
	v_add_u32_e32 v8, 1, v8
	v_cmp_lt_u32_e32 vcc, 13, v9
	v_mov_b32_e32 v11, 0
	s_and_saveexec_b64 s[10:11], vcc
	s_cbranch_execz .LBB23_31
; %bb.28:
	v_mov_b32_e32 v10, 0x1f0
	v_and_b32_e32 v9, -8, v8
	v_lshl_add_u32 v10, v0, 2, v10
	s_mov_b32 s15, 0
	s_mov_b64 s[34:35], 0
.LBB23_29:                              ; =>This Inner Loop Header: Depth=1
	ds_read2st64_b32 v[12:13], v10 offset1:2
	ds_read2st64_b32 v[14:15], v10 offset0:4 offset1:6
	ds_read2st64_b32 v[16:17], v10 offset0:8 offset1:10
	ds_read2st64_b32 v[20:21], v10 offset0:12 offset1:14
	v_add_u32_e32 v9, -8, v9
	s_waitcnt lgkmcnt(3)
	v_pk_mul_f32 v[12:13], v[2:3], v[12:13]
	s_waitcnt lgkmcnt(2)
	v_pk_mul_f32 v[14:15], v[2:3], v[14:15]
	ds_write2st64_b32 v10, v12, v13 offset1:2
	ds_write2st64_b32 v10, v14, v15 offset0:4 offset1:6
	ds_read2st64_b32 v[14:15], v10 offset0:16 offset1:18
	s_waitcnt lgkmcnt(4)
	v_pk_mul_f32 v[12:13], v[2:3], v[16:17]
	ds_write2st64_b32 v10, v12, v13 offset0:8 offset1:10
	s_waitcnt lgkmcnt(4)
	v_pk_mul_f32 v[12:13], v[2:3], v[20:21]
	ds_write2st64_b32 v10, v12, v13 offset0:12 offset1:14
	ds_read2st64_b32 v[12:13], v10 offset0:20 offset1:22
	s_waitcnt lgkmcnt(3)
	v_pk_mul_f32 v[14:15], v[2:3], v[14:15]
	ds_read2st64_b32 v[16:17], v10 offset0:24 offset1:26
	ds_write2st64_b32 v10, v14, v15 offset0:16 offset1:18
	ds_read2st64_b32 v[14:15], v10 offset0:28 offset1:30
	s_waitcnt lgkmcnt(3)
	v_pk_mul_f32 v[12:13], v[2:3], v[12:13]
	ds_write2st64_b32 v10, v12, v13 offset0:20 offset1:22
	s_waitcnt lgkmcnt(3)
	v_pk_mul_f32 v[12:13], v[2:3], v[16:17]
	ds_write2st64_b32 v10, v12, v13 offset0:24 offset1:26
	s_waitcnt lgkmcnt(2)
	v_pk_mul_f32 v[12:13], v[2:3], v[14:15]
	s_add_i32 s15, s15, 16
	v_cmp_eq_u32_e32 vcc, 0, v9
	ds_write2st64_b32 v10, v12, v13 offset0:28 offset1:30
	v_add_u32_e32 v10, 0x2000, v10
	s_or_b64 s[34:35], vcc, s[34:35]
	v_mov_b32_e32 v11, s15
	s_andn2_b64 exec, exec, s[34:35]
	s_cbranch_execnz .LBB23_29
; %bb.30:
	s_or_b64 exec, exec, s[34:35]
.LBB23_31:
	s_or_b64 exec, exec, s[10:11]
	v_and_b32_e32 v8, 7, v8
	v_cmp_ne_u32_e32 vcc, 0, v8
	s_and_saveexec_b64 s[10:11], vcc
	s_cbranch_execz .LBB23_34
; %bb.32:
	v_lshlrev_b32_e32 v9, 9, v11
	s_movk_i32 s15, 0x1f0
	v_add3_u32 v9, v9, v24, s15
	s_mov_b64 s[34:35], 0
.LBB23_33:                              ; =>This Inner Loop Header: Depth=1
	ds_read2st64_b32 v[10:11], v9 offset1:2
	v_add_u32_e32 v8, -1, v8
	v_cmp_eq_u32_e32 vcc, 0, v8
	s_or_b64 s[34:35], vcc, s[34:35]
	s_waitcnt lgkmcnt(0)
	v_pk_mul_f32 v[10:11], v[2:3], v[10:11]
	ds_write2st64_b32 v9, v10, v11 offset1:2
	v_add_u32_e32 v9, 0x400, v9
	s_andn2_b64 exec, exec, s[34:35]
	s_cbranch_execnz .LBB23_33
.LBB23_34:
	s_or_b64 exec, exec, s[10:11]
	v_add_u32_e32 v7, 1, v7
	v_and_b32_e32 v8, 0x3fffffe, v7
	v_cmp_ne_u32_e32 vcc, v7, v8
	v_lshl_add_u32 v3, v8, 7, v0
	s_orn2_b64 s[10:11], vcc, exec
.LBB23_35:
	s_or_b64 exec, exec, s[8:9]
	s_and_b64 exec, exec, s[10:11]
	s_cbranch_execz .LBB23_38
; %bb.36:
	v_mov_b32_e32 v7, 0x1f0
	v_lshl_add_u32 v7, v3, 2, v7
	s_mov_b64 s[8:9], 0
.LBB23_37:                              ; =>This Inner Loop Header: Depth=1
	ds_read_b32 v8, v7
	v_add_u32_e32 v3, 0x80, v3
	v_cmp_le_i32_e32 vcc, s12, v3
	s_or_b64 s[8:9], vcc, s[8:9]
	s_waitcnt lgkmcnt(0)
	v_mul_f32_e32 v8, v2, v8
	ds_write_b32 v7, v8
	v_add_u32_e32 v7, 0x200, v7
	s_andn2_b64 exec, exec, s[8:9]
	s_cbranch_execnz .LBB23_37
.LBB23_38:
	s_or_b64 exec, exec, s[0:1]
	s_mul_i32 s0, s21, s24
	v_cmp_eq_u32_e32 vcc, 0, v0
	s_mul_i32 s8, s0, s5
	s_waitcnt lgkmcnt(0)
	s_barrier
	s_and_saveexec_b64 s[0:1], vcc
	s_cbranch_execz .LBB23_40
; %bb.39:
	s_ashr_i32 s9, s8, 31
	s_lshl_b64 s[10:11], s[8:9], 2
	s_add_u32 s5, s18, s10
	s_mul_i32 s18, s21, s2
	s_addc_u32 s9, s19, s11
	s_ashr_i32 s19, s18, 31
	s_lshl_b64 s[18:19], s[18:19], 2
	s_add_u32 s2, s5, s18
	s_addc_u32 s9, s9, s19
	s_ashr_i32 s5, s4, 31
	s_lshl_b64 s[34:35], s[4:5], 2
	s_add_u32 s36, s2, s34
	s_addc_u32 s37, s9, s35
	s_add_u32 s2, s16, s10
	s_addc_u32 s5, s17, s11
	;; [unrolled: 2-line block ×3, first 2 shown]
	s_add_u32 s10, s2, s34
	v_mov_b32_e32 v2, 0
	s_addc_u32 s11, s5, s35
	global_store_dword v2, v5, s[36:37]
	global_store_dword v2, v6, s[10:11]
.LBB23_40:
	s_or_b64 exec, exec, s[0:1]
	v_mov_b32_e32 v21, 0
	v_lshrrev_b32_e32 v34, 1, v4
	v_and_b32_e32 v33, 1, v0
	v_mov_b32_e32 v20, v21
	v_mov_b32_e32 v23, v21
	;; [unrolled: 1-line block ×3, first 2 shown]
	s_and_saveexec_b64 s[10:11], s[6:7]
	s_cbranch_execz .LBB23_54
; %bb.41:
	s_ashr_i32 s15, s14, 31
	s_lshl_b64 s[0:1], s[14:15], 2
	s_add_u32 s6, s30, s0
	v_or_b32_e32 v4, 0x60, v34
	s_movk_i32 s0, 0x78
	v_and_b32_e32 v3, 4, v24
	s_addc_u32 s7, s31, s1
	s_add_i32 s9, s3, -1
	v_cmp_gt_u32_e32 vcc, s0, v4
	v_lshl_add_u32 v5, v26, 3, s40
	s_lshl_b64 s[0:1], s[28:29], 2
	v_lshl_or_b32 v2, v34, 3, v3
	v_lshl_or_b32 v4, v4, 3, v3
	v_add3_u32 v35, v5, v3, 3
	v_lshlrev_b32_e32 v3, 4, v33
	s_add_u32 s0, s26, s0
	v_mov_b32_e32 v25, 0
	v_lshl_or_b32 v3, v26, 5, v3
	s_addc_u32 s1, s27, s1
	s_mov_b32 s5, s13
	v_add_u32_e32 v36, 0x1f0, v3
	v_lshl_add_u64 v[26:27], v[18:19], 2, s[0:1]
	s_mov_b64 s[12:13], 0
	v_lshlrev_b32_e32 v28, 2, v2
	v_mov_b32_e32 v29, v25
	v_lshlrev_b32_e32 v24, 2, v4
	v_mov_b32_e32 v22, v25
	v_mov_b32_e32 v23, v25
	;; [unrolled: 1-line block ×4, first 2 shown]
	s_branch .LBB23_44
.LBB23_42:                              ;   in Loop: Header=BB23_44 Depth=1
	s_or_b64 exec, exec, s[14:15]
	s_waitcnt vmcnt(0)
	v_mul_f32_e32 v3, v3, v7
	v_fmac_f32_e32 v3, v2, v6
	v_fmac_f32_e32 v3, v4, v8
	v_fmac_f32_e32 v3, v5, v9
	v_add_f32_e32 v21, v21, v3
.LBB23_43:                              ;   in Loop: Header=BB23_44 Depth=1
	s_or_b64 exec, exec, s[2:3]
	v_add_u32_e32 v18, 2, v18
	v_cmp_le_i32_e64 s[0:1], s33, v18
	v_add_u32_e32 v35, 16, v35
	v_add_u32_e32 v36, 64, v36
	s_or_b64 s[12:13], s[0:1], s[12:13]
	v_lshl_add_u64 v[26:27], v[26:27], 0, 8
	s_andn2_b64 exec, exec, s[12:13]
	s_cbranch_execz .LBB23_53
.LBB23_44:                              ; =>This Inner Loop Header: Depth=1
	global_load_dword v2, v[26:27], off
	v_add_u32_e32 v19, -3, v35
	s_waitcnt vmcnt(0)
	v_mad_i64_i32 v[2:3], s[0:1], v2, s5, 0
	v_lshl_add_u64 v[30:31], v[2:3], 2, s[6:7]
	v_lshl_add_u64 v[14:15], v[30:31], 0, v[28:29]
	global_load_dwordx4 v[6:9], v[14:15], off
	ds_read_b128 v[2:5], v36
	v_cmp_eq_u32_e64 s[0:1], s9, v18
	s_and_saveexec_b64 s[14:15], s[0:1]
	s_cbranch_execnz .LBB23_51
; %bb.45:                               ;   in Loop: Header=BB23_44 Depth=1
	s_or_b64 exec, exec, s[14:15]
	global_load_dwordx4 v[10:13], v[14:15], off offset:1024
	s_and_saveexec_b64 s[14:15], s[0:1]
	s_cbranch_execnz .LBB23_52
.LBB23_46:                              ;   in Loop: Header=BB23_44 Depth=1
	s_or_b64 exec, exec, s[14:15]
	global_load_dwordx4 v[14:17], v[14:15], off offset:2048
	s_and_saveexec_b64 s[14:15], s[0:1]
	s_cbranch_execz .LBB23_48
.LBB23_47:                              ;   in Loop: Header=BB23_44 Depth=1
	v_cmp_gt_i32_e64 s[2:3], s25, v19
	v_add_u32_e32 v37, -2, v35
	s_waitcnt vmcnt(0)
	v_cndmask_b32_e64 v14, 0, v14, s[2:3]
	v_cmp_gt_i32_e64 s[2:3], s25, v37
	v_add_u32_e32 v37, -1, v35
	s_nop 0
	v_cndmask_b32_e64 v15, 0, v15, s[2:3]
	v_cmp_gt_i32_e64 s[2:3], s25, v37
	s_nop 1
	v_cndmask_b32_e64 v16, 0, v16, s[2:3]
	v_cmp_gt_i32_e64 s[2:3], s25, v35
	s_nop 1
	v_cndmask_b32_e64 v17, 0, v17, s[2:3]
.LBB23_48:                              ;   in Loop: Header=BB23_44 Depth=1
	s_or_b64 exec, exec, s[14:15]
	s_waitcnt vmcnt(2) lgkmcnt(0)
	v_mul_f32_e32 v7, v3, v7
	v_fmac_f32_e32 v7, v2, v6
	s_waitcnt vmcnt(1)
	v_mul_f32_e32 v6, v3, v11
	v_fmac_f32_e32 v6, v2, v10
	v_fmac_f32_e32 v6, v4, v12
	;; [unrolled: 1-line block ×3, first 2 shown]
	v_add_f32_e32 v23, v23, v6
	s_waitcnt vmcnt(0)
	v_mul_f32_e32 v6, v3, v15
	v_fmac_f32_e32 v6, v2, v14
	v_fmac_f32_e32 v7, v4, v8
	;; [unrolled: 1-line block ×5, first 2 shown]
	v_add_f32_e32 v22, v22, v7
	v_add_f32_e32 v20, v20, v6
	s_and_saveexec_b64 s[2:3], vcc
	s_cbranch_execz .LBB23_43
; %bb.49:                               ;   in Loop: Header=BB23_44 Depth=1
	v_lshl_add_u64 v[6:7], v[30:31], 0, v[24:25]
	global_load_dwordx4 v[6:9], v[6:7], off
	s_and_saveexec_b64 s[14:15], s[0:1]
	s_cbranch_execz .LBB23_42
; %bb.50:                               ;   in Loop: Header=BB23_44 Depth=1
	v_cmp_gt_i32_e64 s[0:1], s25, v19
	v_add_u32_e32 v10, -2, v35
	s_waitcnt vmcnt(0)
	v_cndmask_b32_e64 v6, 0, v6, s[0:1]
	v_cmp_gt_i32_e64 s[0:1], s25, v10
	v_add_u32_e32 v10, -1, v35
	s_nop 0
	v_cndmask_b32_e64 v7, 0, v7, s[0:1]
	v_cmp_gt_i32_e64 s[0:1], s25, v10
	s_nop 1
	v_cndmask_b32_e64 v8, 0, v8, s[0:1]
	v_cmp_gt_i32_e64 s[0:1], s25, v35
	s_nop 1
	v_cndmask_b32_e64 v9, 0, v9, s[0:1]
	s_branch .LBB23_42
.LBB23_51:                              ;   in Loop: Header=BB23_44 Depth=1
	v_cmp_gt_i32_e64 s[2:3], s25, v19
	v_add_u32_e32 v10, -2, v35
	s_waitcnt vmcnt(0)
	v_cndmask_b32_e64 v6, 0, v6, s[2:3]
	v_cmp_gt_i32_e64 s[2:3], s25, v10
	v_add_u32_e32 v10, -1, v35
	s_nop 0
	v_cndmask_b32_e64 v7, 0, v7, s[2:3]
	v_cmp_gt_i32_e64 s[2:3], s25, v10
	s_nop 1
	v_cndmask_b32_e64 v8, 0, v8, s[2:3]
	v_cmp_gt_i32_e64 s[2:3], s25, v35
	s_nop 1
	v_cndmask_b32_e64 v9, 0, v9, s[2:3]
	s_or_b64 exec, exec, s[14:15]
	global_load_dwordx4 v[10:13], v[14:15], off offset:1024
	s_and_saveexec_b64 s[14:15], s[0:1]
	s_cbranch_execz .LBB23_46
.LBB23_52:                              ;   in Loop: Header=BB23_44 Depth=1
	v_cmp_gt_i32_e64 s[2:3], s25, v19
	v_add_u32_e32 v16, -2, v35
	s_waitcnt vmcnt(0)
	v_cndmask_b32_e64 v10, 0, v10, s[2:3]
	v_cmp_gt_i32_e64 s[2:3], s25, v16
	v_add_u32_e32 v16, -1, v35
	s_nop 0
	v_cndmask_b32_e64 v11, 0, v11, s[2:3]
	v_cmp_gt_i32_e64 s[2:3], s25, v16
	s_nop 1
	v_cndmask_b32_e64 v12, 0, v12, s[2:3]
	v_cmp_gt_i32_e64 s[2:3], s25, v35
	s_nop 1
	v_cndmask_b32_e64 v13, 0, v13, s[2:3]
	s_or_b64 exec, exec, s[14:15]
	global_load_dwordx4 v[14:17], v[14:15], off offset:2048
	s_and_saveexec_b64 s[14:15], s[0:1]
	s_cbranch_execnz .LBB23_47
	s_branch .LBB23_48
.LBB23_53:
	s_or_b64 exec, exec, s[12:13]
.LBB23_54:
	s_or_b64 exec, exec, s[10:11]
	ds_bpermute_b32 v2, v32, v22
	ds_bpermute_b32 v3, v32, v23
	;; [unrolled: 1-line block ×4, first 2 shown]
	s_waitcnt lgkmcnt(0)
	s_barrier
	v_pk_add_f32 v[4:5], v[22:23], v[2:3]
	v_pk_add_f32 v[2:3], v[20:21], v[6:7]
	v_and_b32_e32 v6, 0x3c0, v0
	v_cmp_eq_u32_e32 vcc, 64, v6
	s_and_saveexec_b64 s[2:3], vcc
	s_cbranch_execz .LBB23_59
; %bb.55:
	v_cmp_eq_u32_e32 vcc, 0, v33
	s_and_saveexec_b64 s[0:1], vcc
	s_cbranch_execz .LBB23_57
; %bb.56:
	v_mov_b32_e32 v6, 0x1f0
	v_lshl_add_u32 v6, v34, 2, v6
	ds_write2_b32 v6, v4, v5 offset1:32
	ds_write_b32 v6, v2 offset:256
.LBB23_57:
	s_or_b64 exec, exec, s[0:1]
	v_or_b32_e32 v6, 0x60, v34
	s_movk_i32 s0, 0x78
	v_cmp_gt_u32_e64 s[0:1], s0, v6
	s_and_b64 s[0:1], vcc, s[0:1]
	s_and_b64 exec, exec, s[0:1]
	s_cbranch_execz .LBB23_59
; %bb.58:
	v_mov_b32_e32 v6, 0x1f0
	v_lshl_add_u32 v6, v34, 2, v6
	ds_write_b32 v6, v3 offset:384
.LBB23_59:
	s_or_b64 exec, exec, s[2:3]
	v_cmp_gt_u32_e32 vcc, 64, v0
	s_waitcnt lgkmcnt(0)
	s_barrier
	s_and_saveexec_b64 s[6:7], vcc
	s_cbranch_execz .LBB23_67
; %bb.60:
	v_cmp_eq_u32_e64 s[0:1], 0, v33
	s_and_saveexec_b64 s[2:3], s[0:1]
	s_cbranch_execnz .LBB23_73
; %bb.61:
	s_or_b64 exec, exec, s[2:3]
	s_and_saveexec_b64 s[2:3], s[0:1]
	s_cbranch_execnz .LBB23_74
.LBB23_62:
	s_or_b64 exec, exec, s[2:3]
	s_and_saveexec_b64 s[2:3], s[0:1]
	s_cbranch_execz .LBB23_64
.LBB23_63:
	v_mov_b32_e32 v0, 0x1f0
	v_lshl_add_u32 v0, v1, 2, v0
	ds_read_b32 v0, v0 offset:256
	s_waitcnt lgkmcnt(0)
	v_add_f32_e32 v2, v2, v0
.LBB23_64:
	s_or_b64 exec, exec, s[2:3]
	v_or_b32_e32 v0, 0x60, v1
	s_movk_i32 s2, 0x78
	v_cmp_gt_u32_e64 s[2:3], s2, v0
	s_and_b64 s[2:3], s[0:1], s[2:3]
	s_and_saveexec_b64 s[0:1], s[2:3]
	s_cbranch_execz .LBB23_66
; %bb.65:
	v_mov_b32_e32 v0, 0x1f0
	v_lshl_add_u32 v0, v1, 2, v0
	ds_read_b32 v0, v0 offset:384
	s_waitcnt lgkmcnt(0)
	v_add_f32_e32 v3, v3, v0
.LBB23_66:
	s_or_b64 exec, exec, s[0:1]
.LBB23_67:
	s_or_b64 exec, exec, s[6:7]
	s_barrier
	s_and_saveexec_b64 s[0:1], vcc
	s_cbranch_execz .LBB23_72
; %bb.68:
	s_mul_i32 s0, s8, 0x78
	s_ashr_i32 s1, s0, 31
	s_lshl_b64 s[0:1], s[0:1], 2
	s_add_u32 s2, s22, s0
	s_mul_i32 s0, s21, s20
	s_addc_u32 s3, s23, s1
	s_ashr_i32 s1, s0, 31
	s_lshl_b64 s[0:1], s[0:1], 2
	s_add_u32 s2, s2, s0
	s_mul_i32 s0, s4, 0x78
	s_addc_u32 s3, s3, s1
	s_ashr_i32 s1, s0, 31
	s_lshl_b64 s[0:1], s[0:1], 2
	s_add_u32 s2, s2, s0
	s_movk_i32 s5, 0x78
	s_addc_u32 s3, s3, s1
	v_cmp_eq_u32_e32 vcc, 0, v33
	v_lshlrev_b32_e32 v0, 2, v1
	s_and_saveexec_b64 s[0:1], vcc
	s_cbranch_execz .LBB23_70
; %bb.69:
	global_store_dword v0, v4, s[2:3]
	global_store_dword v0, v5, s[2:3] offset:128
	global_store_dword v0, v2, s[2:3] offset:256
.LBB23_70:
	s_or_b64 exec, exec, s[0:1]
	v_or_b32_e32 v1, 0x60, v1
	v_cmp_gt_u32_e64 s[0:1], s5, v1
	s_and_b64 s[0:1], vcc, s[0:1]
	s_and_b64 exec, exec, s[0:1]
	s_cbranch_execz .LBB23_72
; %bb.71:
	global_store_dword v0, v3, s[2:3] offset:384
.LBB23_72:
	s_endpgm
.LBB23_73:
	v_mov_b32_e32 v0, 0x1f0
	v_lshl_add_u32 v0, v1, 2, v0
	ds_read_b32 v0, v0
	s_waitcnt lgkmcnt(0)
	v_add_f32_e32 v4, v4, v0
	s_or_b64 exec, exec, s[2:3]
	s_and_saveexec_b64 s[2:3], s[0:1]
	s_cbranch_execz .LBB23_62
.LBB23_74:
	v_mov_b32_e32 v0, 0x1f0
	v_lshl_add_u32 v0, v1, 2, v0
	ds_read_b32 v0, v0 offset:128
	s_waitcnt lgkmcnt(0)
	v_add_f32_e32 v5, v5, v0
	s_or_b64 exec, exec, s[2:3]
	s_and_saveexec_b64 s[2:3], s[0:1]
	s_cbranch_execnz .LBB23_63
	s_branch .LBB23_64
	.section	.rodata,"a",@progbits
	.p2align	6, 0x0
	.amdhsa_kernel _ZN4vllm25paged_attention_v2_kernelIffLi120ELi8ELi128ELNS_18Fp8KVCacheDataTypeE0ELb0ELi512EEEvPfS2_PT_PKS3_PKT0_S9_ifPKiSB_iPKfiiiSD_SD_iiiii
		.amdhsa_group_segment_fixed_size 496
		.amdhsa_private_segment_fixed_size 0
		.amdhsa_kernarg_size 400
		.amdhsa_user_sgpr_count 2
		.amdhsa_user_sgpr_dispatch_ptr 0
		.amdhsa_user_sgpr_queue_ptr 0
		.amdhsa_user_sgpr_kernarg_segment_ptr 1
		.amdhsa_user_sgpr_dispatch_id 0
		.amdhsa_user_sgpr_kernarg_preload_length 0
		.amdhsa_user_sgpr_kernarg_preload_offset 0
		.amdhsa_user_sgpr_private_segment_size 0
		.amdhsa_uses_dynamic_stack 0
		.amdhsa_enable_private_segment 0
		.amdhsa_system_sgpr_workgroup_id_x 1
		.amdhsa_system_sgpr_workgroup_id_y 1
		.amdhsa_system_sgpr_workgroup_id_z 1
		.amdhsa_system_sgpr_workgroup_info 0
		.amdhsa_system_vgpr_workitem_id 0
		.amdhsa_next_free_vgpr 51
		.amdhsa_next_free_sgpr 42
		.amdhsa_accum_offset 52
		.amdhsa_reserve_vcc 1
		.amdhsa_float_round_mode_32 0
		.amdhsa_float_round_mode_16_64 0
		.amdhsa_float_denorm_mode_32 3
		.amdhsa_float_denorm_mode_16_64 3
		.amdhsa_dx10_clamp 1
		.amdhsa_ieee_mode 1
		.amdhsa_fp16_overflow 0
		.amdhsa_tg_split 0
		.amdhsa_exception_fp_ieee_invalid_op 0
		.amdhsa_exception_fp_denorm_src 0
		.amdhsa_exception_fp_ieee_div_zero 0
		.amdhsa_exception_fp_ieee_overflow 0
		.amdhsa_exception_fp_ieee_underflow 0
		.amdhsa_exception_fp_ieee_inexact 0
		.amdhsa_exception_int_div_zero 0
	.end_amdhsa_kernel
	.section	.text._ZN4vllm25paged_attention_v2_kernelIffLi120ELi8ELi128ELNS_18Fp8KVCacheDataTypeE0ELb0ELi512EEEvPfS2_PT_PKS3_PKT0_S9_ifPKiSB_iPKfiiiSD_SD_iiiii,"axG",@progbits,_ZN4vllm25paged_attention_v2_kernelIffLi120ELi8ELi128ELNS_18Fp8KVCacheDataTypeE0ELb0ELi512EEEvPfS2_PT_PKS3_PKT0_S9_ifPKiSB_iPKfiiiSD_SD_iiiii,comdat
.Lfunc_end23:
	.size	_ZN4vllm25paged_attention_v2_kernelIffLi120ELi8ELi128ELNS_18Fp8KVCacheDataTypeE0ELb0ELi512EEEvPfS2_PT_PKS3_PKT0_S9_ifPKiSB_iPKfiiiSD_SD_iiiii, .Lfunc_end23-_ZN4vllm25paged_attention_v2_kernelIffLi120ELi8ELi128ELNS_18Fp8KVCacheDataTypeE0ELb0ELi512EEEvPfS2_PT_PKS3_PKT0_S9_ifPKiSB_iPKfiiiSD_SD_iiiii
                                        ; -- End function
	.section	.AMDGPU.csdata,"",@progbits
; Kernel info:
; codeLenInByte = 4384
; NumSgprs: 48
; NumVgprs: 51
; NumAgprs: 0
; TotalNumVgprs: 51
; ScratchSize: 0
; MemoryBound: 0
; FloatMode: 240
; IeeeMode: 1
; LDSByteSize: 496 bytes/workgroup (compile time only)
; SGPRBlocks: 5
; VGPRBlocks: 6
; NumSGPRsForWavesPerEU: 48
; NumVGPRsForWavesPerEU: 51
; AccumOffset: 52
; Occupancy: 8
; WaveLimiterHint : 1
; COMPUTE_PGM_RSRC2:SCRATCH_EN: 0
; COMPUTE_PGM_RSRC2:USER_SGPR: 2
; COMPUTE_PGM_RSRC2:TRAP_HANDLER: 0
; COMPUTE_PGM_RSRC2:TGID_X_EN: 1
; COMPUTE_PGM_RSRC2:TGID_Y_EN: 1
; COMPUTE_PGM_RSRC2:TGID_Z_EN: 1
; COMPUTE_PGM_RSRC2:TIDIG_COMP_CNT: 0
; COMPUTE_PGM_RSRC3_GFX90A:ACCUM_OFFSET: 12
; COMPUTE_PGM_RSRC3_GFX90A:TG_SPLIT: 0
	.section	.text._ZN4vllm25paged_attention_v2_kernelIffLi128ELi8ELi128ELNS_18Fp8KVCacheDataTypeE0ELb0ELi512EEEvPfS2_PT_PKS3_PKT0_S9_ifPKiSB_iPKfiiiSD_SD_iiiii,"axG",@progbits,_ZN4vllm25paged_attention_v2_kernelIffLi128ELi8ELi128ELNS_18Fp8KVCacheDataTypeE0ELb0ELi512EEEvPfS2_PT_PKS3_PKT0_S9_ifPKiSB_iPKfiiiSD_SD_iiiii,comdat
	.protected	_ZN4vllm25paged_attention_v2_kernelIffLi128ELi8ELi128ELNS_18Fp8KVCacheDataTypeE0ELb0ELi512EEEvPfS2_PT_PKS3_PKT0_S9_ifPKiSB_iPKfiiiSD_SD_iiiii ; -- Begin function _ZN4vllm25paged_attention_v2_kernelIffLi128ELi8ELi128ELNS_18Fp8KVCacheDataTypeE0ELb0ELi512EEEvPfS2_PT_PKS3_PKT0_S9_ifPKiSB_iPKfiiiSD_SD_iiiii
	.globl	_ZN4vllm25paged_attention_v2_kernelIffLi128ELi8ELi128ELNS_18Fp8KVCacheDataTypeE0ELb0ELi512EEEvPfS2_PT_PKS3_PKT0_S9_ifPKiSB_iPKfiiiSD_SD_iiiii
	.p2align	8
	.type	_ZN4vllm25paged_attention_v2_kernelIffLi128ELi8ELi128ELNS_18Fp8KVCacheDataTypeE0ELb0ELi512EEEvPfS2_PT_PKS3_PKT0_S9_ifPKiSB_iPKfiiiSD_SD_iiiii,@function
_ZN4vllm25paged_attention_v2_kernelIffLi128ELi8ELi128ELNS_18Fp8KVCacheDataTypeE0ELb0ELi512EEEvPfS2_PT_PKS3_PKT0_S9_ifPKiSB_iPKfiiiSD_SD_iiiii: ; @_ZN4vllm25paged_attention_v2_kernelIffLi128ELi8ELi128ELNS_18Fp8KVCacheDataTypeE0ELb0ELi512EEEvPfS2_PT_PKS3_PKT0_S9_ifPKiSB_iPKfiiiSD_SD_iiiii
; %bb.0:
	s_load_dwordx2 s[6:7], s[0:1], 0x40
	s_mov_b32 s24, s3
	s_ashr_i32 s25, s3, 31
	s_lshl_b64 s[8:9], s[24:25], 2
	s_waitcnt lgkmcnt(0)
	s_add_u32 s6, s6, s8
	s_addc_u32 s7, s7, s9
	s_load_dword s25, s[6:7], 0x0
	s_lshl_b32 s33, s4, 9
	s_waitcnt lgkmcnt(0)
	s_cmp_ge_i32 s33, s25
	s_cbranch_scc1 .LBB24_63
; %bb.1:
	s_load_dword s5, s[0:1], 0x90
	s_load_dwordx2 s[10:11], s[0:1], 0x30
	s_waitcnt lgkmcnt(0)
	s_abs_i32 s7, s5
	s_abs_i32 s3, s10
	v_cvt_f32_u32_e32 v1, s3
	s_sub_i32 s8, 0, s3
	s_xor_b32 s6, s5, s10
	s_ashr_i32 s6, s6, 31
	v_rcp_iflag_f32_e32 v1, v1
	s_nop 0
	v_mul_f32_e32 v1, 0x4f7ffffe, v1
	v_cvt_u32_f32_e32 v1, v1
	s_nop 0
	v_readfirstlane_b32 s9, v1
	s_mul_i32 s8, s8, s9
	s_mul_hi_u32 s8, s9, s8
	s_add_i32 s9, s9, s8
	s_mul_hi_u32 s8, s7, s9
	s_mul_i32 s9, s8, s3
	s_sub_i32 s7, s7, s9
	s_add_i32 s10, s8, 1
	s_sub_i32 s9, s7, s3
	s_cmp_ge_u32 s7, s3
	s_cselect_b32 s8, s10, s8
	s_cselect_b32 s7, s9, s7
	s_add_i32 s9, s8, 1
	s_cmp_ge_u32 s7, s3
	s_cselect_b32 s3, s9, s8
	s_xor_b32 s3, s3, s6
	s_sub_i32 s12, s3, s6
	s_abs_i32 s8, s12
	v_cvt_f32_u32_e32 v1, s8
	s_load_dwordx2 s[6:7], s[0:1], 0x50
	s_sub_i32 s3, 0, s8
	s_abs_i32 s9, s2
	v_rcp_iflag_f32_e32 v1, v1
	s_mov_b32 s10, 0
	v_mul_f32_e32 v1, 0x4f7ffffe, v1
	v_cvt_u32_f32_e32 v1, v1
	s_nop 0
	v_readfirstlane_b32 s13, v1
	s_mul_i32 s3, s3, s13
	s_mul_hi_u32 s3, s13, s3
	s_add_i32 s13, s13, s3
	s_waitcnt lgkmcnt(0)
	s_cmp_eq_u64 s[6:7], 0
	s_mul_hi_u32 s16, s9, s13
	s_cbranch_scc1 .LBB24_3
; %bb.2:
	s_ashr_i32 s3, s2, 31
	s_lshl_b64 s[14:15], s[2:3], 2
	s_add_u32 s6, s6, s14
	s_addc_u32 s7, s7, s15
	s_load_dword s10, s[6:7], 0x0
.LBB24_3:
	s_ashr_i32 s18, s12, 31
	s_load_dwordx4 s[12:15], s[0:1], 0x58
	s_movk_i32 s3, 0x80
	s_ashr_i32 s17, s2, 31
	v_and_b32_e32 v18, 7, v0
	s_lshl_b32 s20, s2, 7
	v_cmp_gt_u32_e32 vcc, s3, v0
	v_lshlrev_b32_e32 v28, 2, v0
	v_lshrrev_b32_e32 v1, 1, v0
	s_and_saveexec_b64 s[6:7], vcc
	s_cbranch_execz .LBB24_5
; %bb.4:
	s_load_dwordx2 s[22:23], s[0:1], 0x18
	s_waitcnt lgkmcnt(0)
	s_mul_i32 s26, s24, s12
	s_ashr_i32 s27, s26, 31
	s_lshl_b64 s[26:27], s[26:27], 2
	v_and_b32_e32 v3, 0x1fc, v1
	s_add_u32 s3, s22, s26
	s_addc_u32 s12, s23, s27
	s_ashr_i32 s21, s20, 31
	s_lshl_b64 s[22:23], s[20:21], 2
	s_add_u32 s22, s3, s22
	s_addc_u32 s23, s12, s23
	global_load_dword v2, v28, s[22:23]
	v_lshl_add_u32 v3, v18, 6, v3
	s_waitcnt vmcnt(0)
	ds_write_b32 v3, v2
.LBB24_5:
	s_or_b64 exec, exec, s[6:7]
	s_add_i32 s3, s25, 7
	s_ashr_i32 s6, s3, 31
	s_lshr_b32 s6, s6, 29
	s_add_i32 s3, s3, s6
	s_ashr_i32 s40, s3, 3
	s_lshl_b32 s3, s4, 6
	s_mul_i32 s7, s16, s8
	s_add_i32 s6, s3, 64
	s_sub_i32 s7, s9, s7
	s_min_i32 s21, s6, s40
	s_xor_b32 s6, s17, s18
	s_add_i32 s9, s16, 1
	s_waitcnt lgkmcnt(0)
	s_sub_i32 s12, s7, s8
	s_cmp_ge_u32 s7, s8
	s_cselect_b32 s9, s9, s16
	s_cselect_b32 s7, s12, s7
	s_add_i32 s12, s9, 1
	s_cmp_ge_u32 s7, s8
	s_load_dwordx2 s[26:27], s[0:1], 0x38
	s_load_dword s8, s[0:1], 0x48
	v_lshrrev_b32_e32 v30, 6, v0
	s_cselect_b32 s7, s12, s9
	s_xor_b32 s7, s7, s6
	v_or_b32_e32 v22, s3, v30
	s_waitcnt lgkmcnt(0)
	s_mul_i32 s28, s24, s8
	s_sub_i32 s15, s7, s6
	s_ashr_i32 s29, s28, 31
	v_cmp_gt_i32_e64 s[6:7], s21, v22
	v_cmp_le_i32_e32 vcc, s21, v22
	v_mbcnt_lo_u32_b32 v19, -1, 0
	s_barrier
	s_waitcnt lgkmcnt(0)
                                        ; implicit-def: $sgpr36
                                        ; implicit-def: $vgpr24
                                        ; implicit-def: $vgpr25
	s_and_saveexec_b64 s[8:9], vcc
	s_xor_b64 s[8:9], exec, s[8:9]
; %bb.6:
	v_mbcnt_hi_u32_b32 v24, -1, v19
	v_and_b32_e32 v2, 64, v24
	v_add_u32_e32 v25, 64, v2
	s_mov_b32 s36, 0xff7fffff
                                        ; implicit-def: $vgpr18
                                        ; implicit-def: $vgpr19
; %bb.7:
	s_or_saveexec_b64 s[34:35], s[8:9]
	s_load_dwordx4 s[16:19], s[0:1], 0x0
	s_load_dwordx2 s[22:23], s[0:1], 0x10
	s_load_dwordx2 s[30:31], s[0:1], 0x28
	s_load_dword s12, s[0:1], 0x98
	v_mov_b32_e32 v26, s36
	s_mul_i32 s14, s15, s14
	v_ashrrev_i32_e32 v23, 31, v22
	s_xor_b64 exec, exec, s[34:35]
	s_cbranch_execz .LBB24_13
; %bb.8:
	s_load_dwordx2 s[0:1], s[0:1], 0x20
	v_mbcnt_hi_u32_b32 v24, -1, v19
	v_and_b32_e32 v19, 64, v24
	v_add_u32_e32 v25, 64, v19
	v_xor_b32_e32 v19, 4, v24
	s_ashr_i32 s15, s14, 31
	v_cmp_lt_i32_e32 vcc, v19, v25
	s_lshl_b64 s[8:9], s[14:15], 2
	v_bfe_u32 v26, v0, 3, 3
	v_cndmask_b32_e32 v19, v24, v19, vcc
	s_waitcnt lgkmcnt(0)
	s_add_u32 s0, s0, s8
	v_lshlrev_b32_e32 v27, 2, v19
	v_xor_b32_e32 v19, 2, v24
	s_addc_u32 s1, s1, s9
	v_lshlrev_b32_e32 v20, 4, v26
	v_mov_b32_e32 v21, 0
	v_and_b32_e32 v4, 3, v0
	v_cmp_lt_i32_e32 vcc, v19, v25
	v_lshl_add_u64 v[2:3], s[0:1], 0, v[20:21]
	v_lshlrev_b32_e32 v20, 2, v4
	v_lshlrev_b32_e32 v14, 6, v18
	v_cndmask_b32_e32 v19, v24, v19, vcc
	v_lshl_add_u64 v[32:33], v[2:3], 0, v[20:21]
	ds_read_b128 v[2:5], v14
	ds_read_b128 v[6:9], v14 offset:16
	ds_read_b128 v[10:13], v14 offset:32
	;; [unrolled: 1-line block ×3, first 2 shown]
	v_lshlrev_b32_e32 v29, 2, v19
	v_xor_b32_e32 v19, 1, v24
	v_cmp_lt_i32_e32 vcc, v19, v25
	s_sub_i32 s15, 1, s25
	s_lshl_b64 s[8:9], s[28:29], 2
	v_cndmask_b32_e32 v19, v24, v19, vcc
	v_cmp_eq_u32_e32 vcc, 0, v18
	v_lshlrev_b32_e32 v18, 5, v0
	v_and_b32_e32 v20, 0x80, v18
	v_lshlrev_b32_e32 v34, 2, v26
	v_lshlrev_b32_e32 v31, 2, v19
	v_lshl_add_u64 v[18:19], v[32:33], 0, v[20:21]
	v_lshlrev_b32_e32 v20, 3, v30
	s_add_u32 s8, s26, s8
	v_add3_u32 v32, s33, v20, v26
	v_lshl_or_b32 v20, v30, 5, v34
	s_addc_u32 s9, s27, s9
	s_mov_b32 s41, s13
	v_cmp_neq_f32_e64 s[0:1], s10, 0
	v_add_u32_e32 v33, 0x210, v20
	v_lshl_add_u64 v[20:21], v[22:23], 2, s[8:9]
	s_mov_b64 s[36:37], 0
	v_mov_b32_e32 v26, 0xff7fffff
	v_mov_b32_e32 v34, v22
	s_branch .LBB24_10
.LBB24_9:                               ;   in Loop: Header=BB24_10 Depth=1
	s_or_b64 exec, exec, s[38:39]
	v_add_u32_e32 v34, 2, v34
	v_cmp_le_i32_e64 s[8:9], s21, v34
	v_add_u32_e32 v32, 16, v32
	v_add_u32_e32 v33, 64, v33
	s_or_b64 s[36:37], s[8:9], s[36:37]
	v_lshl_add_u64 v[20:21], v[20:21], 0, 8
	s_andn2_b64 exec, exec, s[36:37]
	s_cbranch_execz .LBB24_12
.LBB24_10:                              ; =>This Inner Loop Header: Depth=1
	global_load_dword v35, v[20:21], off
	s_waitcnt vmcnt(0) lgkmcnt(0)
	v_mad_i64_i32 v[36:37], s[8:9], v35, s41, 0
	v_lshl_add_u64 v[36:37], v[36:37], 2, v[18:19]
	global_load_dword v35, v[36:37], off offset:256
	global_load_dword v38, v[36:37], off
	global_load_dword v39, v[36:37], off offset:512
	global_load_dword v40, v[36:37], off offset:768
	;; [unrolled: 1-line block ×13, first 2 shown]
	s_nop 0
	global_load_dword v36, v[36:37], off offset:3840
	s_waitcnt vmcnt(15) lgkmcnt(3)
	v_mul_f32_e32 v35, v3, v35
	s_waitcnt vmcnt(14)
	v_fmac_f32_e32 v35, v2, v38
	s_waitcnt vmcnt(13)
	v_fmac_f32_e32 v35, v4, v39
	s_waitcnt vmcnt(12)
	v_fmac_f32_e32 v35, v5, v40
	s_waitcnt vmcnt(11) lgkmcnt(2)
	v_fmac_f32_e32 v35, v6, v41
	s_waitcnt vmcnt(10)
	v_fmac_f32_e32 v35, v7, v42
	s_waitcnt vmcnt(9)
	v_fmac_f32_e32 v35, v8, v43
	s_waitcnt vmcnt(8)
	v_fmac_f32_e32 v35, v9, v44
	s_waitcnt vmcnt(7) lgkmcnt(1)
	v_fmac_f32_e32 v35, v10, v45
	;; [unrolled: 8-line block ×3, first 2 shown]
	s_waitcnt vmcnt(2)
	v_fmac_f32_e32 v35, v15, v50
	s_waitcnt vmcnt(1)
	v_fmac_f32_e32 v35, v16, v51
	;; [unrolled: 2-line block ×3, first 2 shown]
	ds_bpermute_b32 v36, v27, v35
	s_waitcnt lgkmcnt(0)
	v_add_f32_e32 v35, v35, v36
	ds_bpermute_b32 v36, v29, v35
	s_waitcnt lgkmcnt(0)
	v_add_f32_e32 v35, v35, v36
	ds_bpermute_b32 v36, v31, v35
	s_and_saveexec_b64 s[38:39], vcc
	s_cbranch_execz .LBB24_9
; %bb.11:                               ;   in Loop: Header=BB24_10 Depth=1
	v_add_u32_e32 v37, s15, v32
	v_cvt_f32_i32_e32 v37, v37
	s_waitcnt lgkmcnt(0)
	v_add_f32_e32 v35, v35, v36
	v_cmp_gt_i32_e64 s[8:9], s25, v32
	v_max_f32_e32 v36, v26, v26
	v_mul_f32_e32 v37, s10, v37
	v_cndmask_b32_e64 v37, 0, v37, s[0:1]
	v_fmac_f32_e32 v37, s11, v35
	v_cndmask_b32_e64 v35, 0, v37, s[8:9]
	ds_write_b32 v33, v35
	v_max_f32_e32 v35, v36, v37
	v_cndmask_b32_e64 v26, v26, v35, s[8:9]
	s_branch .LBB24_9
.LBB24_12:
	s_or_b64 exec, exec, s[36:37]
.LBB24_13:
	s_or_b64 exec, exec, s[34:35]
	v_xor_b32_e32 v2, 32, v24
	v_cmp_lt_i32_e32 vcc, v2, v25
	v_xor_b32_e32 v5, 16, v24
	v_max_f32_e32 v4, v26, v26
	v_cndmask_b32_e32 v2, v24, v2, vcc
	v_lshlrev_b32_e32 v3, 2, v2
	ds_bpermute_b32 v2, v3, v26
	v_cmp_lt_i32_e32 vcc, v5, v25
	v_and_b32_e32 v32, 63, v0
	s_waitcnt lgkmcnt(0)
	v_max_f32_e32 v2, v2, v2
	v_max_f32_e32 v2, v4, v2
	v_cndmask_b32_e32 v4, v24, v5, vcc
	v_lshlrev_b32_e32 v6, 2, v4
	ds_bpermute_b32 v4, v6, v2
	v_xor_b32_e32 v5, 8, v24
	v_cmp_lt_i32_e32 vcc, v5, v25
	s_waitcnt lgkmcnt(0)
	v_max_f32_e32 v4, v4, v4
	v_max_f32_e32 v4, v2, v4
	v_cndmask_b32_e32 v2, v24, v5, vcc
	v_lshlrev_b32_e32 v7, 2, v2
	ds_bpermute_b32 v5, v7, v4
	v_cmp_eq_u32_e32 vcc, 0, v32
	v_lshlrev_b32_e32 v2, 2, v30
	s_and_saveexec_b64 s[0:1], vcc
	s_cbranch_execz .LBB24_15
; %bb.14:
	s_waitcnt lgkmcnt(0)
	v_max_f32_e32 v5, v5, v5
	v_max_f32_e32 v4, v4, v4
	;; [unrolled: 1-line block ×3, first 2 shown]
	ds_write_b32 v2, v4 offset:512
.LBB24_15:
	s_or_b64 exec, exec, s[0:1]
	v_cmp_gt_u32_e64 s[0:1], 2, v32
	v_mov_b32_e32 v4, 0xff7fffff
	s_waitcnt lgkmcnt(0)
	v_lshlrev_b32_e32 v5, 2, v32
	s_barrier
	s_and_saveexec_b64 s[8:9], s[0:1]
	s_cbranch_execz .LBB24_17
; %bb.16:
	ds_read_b32 v4, v5 offset:512
.LBB24_17:
	s_or_b64 exec, exec, s[8:9]
	v_xor_b32_e32 v8, 1, v24
	v_cmp_lt_i32_e64 s[8:9], v8, v25
	s_sub_i32 s3, s21, s3
	s_lshl_b32 s3, s3, 3
	v_cndmask_b32_e64 v8, v24, v8, s[8:9]
	v_lshlrev_b32_e32 v33, 2, v8
	s_waitcnt lgkmcnt(0)
	ds_bpermute_b32 v8, v33, v4
	v_max_f32_e32 v4, v4, v4
	s_add_i32 s3, s3, s33
	s_min_i32 s15, s3, s25
	s_sub_i32 s3, s15, s33
	s_waitcnt lgkmcnt(0)
	v_max_f32_e32 v8, v8, v8
	v_max_f32_e32 v4, v4, v8
	v_lshlrev_b32_e32 v8, 2, v24
	v_and_b32_e32 v8, 0xffffff00, v8
	ds_bpermute_b32 v4, v8, v4
	v_cmp_gt_i32_e64 s[8:9], s3, v0
	v_mov_b32_e32 v9, 0
	s_and_saveexec_b64 s[34:35], s[8:9]
	s_cbranch_execz .LBB24_21
; %bb.18:
	v_mov_b32_e32 v9, 0x210
	v_lshl_add_u32 v10, v0, 2, v9
	s_mov_b64 s[36:37], 0
	v_mov_b32_e32 v9, 0
	v_mov_b32_e32 v11, v0
.LBB24_19:                              ; =>This Inner Loop Header: Depth=1
	ds_read_b32 v12, v10
	v_add_u32_e32 v11, 0x80, v11
	v_cmp_le_i32_e64 s[10:11], s3, v11
	s_or_b64 s[36:37], s[10:11], s[36:37]
	s_waitcnt lgkmcnt(0)
	v_sub_f32_e32 v12, v12, v4
	v_mul_f32_e32 v12, 0x3fb8aa3b, v12
	v_exp_f32_e32 v12, v12
	ds_write_b32 v10, v12
	v_add_f32_e32 v9, v9, v12
	v_add_u32_e32 v10, 0x200, v10
	s_andn2_b64 exec, exec, s[36:37]
	s_cbranch_execnz .LBB24_19
; %bb.20:
	s_or_b64 exec, exec, s[36:37]
.LBB24_21:
	s_or_b64 exec, exec, s[34:35]
	ds_bpermute_b32 v3, v3, v9
	s_waitcnt lgkmcnt(0)
	v_add_f32_e32 v3, v9, v3
	ds_bpermute_b32 v6, v6, v3
	s_waitcnt lgkmcnt(0)
	v_add_f32_e32 v3, v3, v6
	ds_bpermute_b32 v6, v7, v3
	v_xor_b32_e32 v7, 4, v24
	v_cmp_lt_i32_e64 s[10:11], v7, v25
	s_waitcnt lgkmcnt(0)
	v_add_f32_e32 v3, v3, v6
	v_cndmask_b32_e64 v7, v24, v7, s[10:11]
	v_lshlrev_b32_e32 v7, 2, v7
	ds_bpermute_b32 v6, v7, v3
	v_xor_b32_e32 v7, 2, v24
	v_cmp_lt_i32_e64 s[10:11], v7, v25
	s_waitcnt lgkmcnt(0)
	v_add_f32_e32 v3, v3, v6
	v_cndmask_b32_e64 v7, v24, v7, s[10:11]
	v_lshlrev_b32_e32 v6, 2, v7
	ds_bpermute_b32 v6, v6, v3
	s_waitcnt lgkmcnt(0)
	v_add_f32_e32 v3, v3, v6
	ds_bpermute_b32 v6, v33, v3
	s_waitcnt lgkmcnt(0)
	v_add_f32_e32 v3, v3, v6
	s_and_saveexec_b64 s[10:11], vcc
	s_cbranch_execz .LBB24_23
; %bb.22:
	ds_write_b32 v2, v3 offset:520
.LBB24_23:
	s_or_b64 exec, exec, s[10:11]
	s_waitcnt lgkmcnt(0)
	s_barrier
	s_and_saveexec_b64 s[10:11], s[0:1]
	s_cbranch_execz .LBB24_25
; %bb.24:
	ds_read_b32 v3, v5 offset:520
.LBB24_25:
	s_or_b64 exec, exec, s[10:11]
	s_waitcnt lgkmcnt(0)
	ds_bpermute_b32 v2, v33, v3
	s_waitcnt lgkmcnt(0)
	v_add_f32_e32 v2, v3, v2
	ds_bpermute_b32 v5, v8, v2
	s_and_saveexec_b64 s[0:1], s[8:9]
	s_cbranch_execz .LBB24_38
; %bb.26:
	s_waitcnt lgkmcnt(0)
	v_add_f32_e32 v2, 0x358637bd, v5
	v_div_scale_f32 v3, s[8:9], v2, v2, 1.0
	v_rcp_f32_e32 v6, v3
	v_div_scale_f32 v7, vcc, 1.0, v2, 1.0
	s_movk_i32 s8, 0x7f
	v_fma_f32 v8, -v3, v6, 1.0
	v_fmac_f32_e32 v6, v8, v6
	v_mul_f32_e32 v8, v7, v6
	v_fma_f32 v9, -v3, v8, v7
	v_fmac_f32_e32 v8, v9, v6
	v_fma_f32 v3, -v3, v8, v7
	v_div_fmas_f32 v3, v3, v6, v8
	v_div_fixup_f32 v2, v3, v2, 1.0
	v_xad_u32 v3, v0, -1, s15
	v_subrev_u32_e32 v6, s33, v3
	v_cmp_lt_u32_e32 vcc, s8, v6
	s_mov_b64 s[10:11], -1
	v_mov_b32_e32 v3, v0
	s_and_saveexec_b64 s[8:9], vcc
	s_cbranch_execz .LBB24_35
; %bb.27:
	v_lshrrev_b32_e32 v6, 7, v6
	v_add_u32_e32 v8, -1, v6
	v_lshrrev_b32_e32 v7, 1, v8
	v_mov_b32_e32 v3, v2
	v_add_u32_e32 v7, 1, v7
	v_cmp_lt_u32_e32 vcc, 13, v8
	v_mov_b32_e32 v10, 0
	s_and_saveexec_b64 s[10:11], vcc
	s_cbranch_execz .LBB24_31
; %bb.28:
	v_mov_b32_e32 v9, 0x210
	v_and_b32_e32 v8, -8, v7
	v_lshl_add_u32 v9, v0, 2, v9
	s_mov_b32 s15, 0
	s_mov_b64 s[34:35], 0
.LBB24_29:                              ; =>This Inner Loop Header: Depth=1
	ds_read2st64_b32 v[10:11], v9 offset1:2
	ds_read2st64_b32 v[12:13], v9 offset0:4 offset1:6
	ds_read2st64_b32 v[14:15], v9 offset0:8 offset1:10
	;; [unrolled: 1-line block ×3, first 2 shown]
	v_add_u32_e32 v8, -8, v8
	s_waitcnt lgkmcnt(3)
	v_pk_mul_f32 v[10:11], v[2:3], v[10:11]
	s_waitcnt lgkmcnt(2)
	v_pk_mul_f32 v[12:13], v[2:3], v[12:13]
	ds_write2st64_b32 v9, v10, v11 offset1:2
	ds_write2st64_b32 v9, v12, v13 offset0:4 offset1:6
	ds_read2st64_b32 v[12:13], v9 offset0:16 offset1:18
	s_waitcnt lgkmcnt(4)
	v_pk_mul_f32 v[10:11], v[2:3], v[14:15]
	ds_write2st64_b32 v9, v10, v11 offset0:8 offset1:10
	s_waitcnt lgkmcnt(4)
	v_pk_mul_f32 v[10:11], v[2:3], v[16:17]
	ds_write2st64_b32 v9, v10, v11 offset0:12 offset1:14
	ds_read2st64_b32 v[10:11], v9 offset0:20 offset1:22
	s_waitcnt lgkmcnt(3)
	v_pk_mul_f32 v[12:13], v[2:3], v[12:13]
	ds_read2st64_b32 v[14:15], v9 offset0:24 offset1:26
	ds_write2st64_b32 v9, v12, v13 offset0:16 offset1:18
	ds_read2st64_b32 v[12:13], v9 offset0:28 offset1:30
	s_waitcnt lgkmcnt(3)
	v_pk_mul_f32 v[10:11], v[2:3], v[10:11]
	ds_write2st64_b32 v9, v10, v11 offset0:20 offset1:22
	s_waitcnt lgkmcnt(3)
	v_pk_mul_f32 v[10:11], v[2:3], v[14:15]
	ds_write2st64_b32 v9, v10, v11 offset0:24 offset1:26
	s_waitcnt lgkmcnt(2)
	v_pk_mul_f32 v[10:11], v[2:3], v[12:13]
	s_add_i32 s15, s15, 16
	v_cmp_eq_u32_e32 vcc, 0, v8
	ds_write2st64_b32 v9, v10, v11 offset0:28 offset1:30
	v_add_u32_e32 v9, 0x2000, v9
	s_or_b64 s[34:35], vcc, s[34:35]
	v_mov_b32_e32 v10, s15
	s_andn2_b64 exec, exec, s[34:35]
	s_cbranch_execnz .LBB24_29
; %bb.30:
	s_or_b64 exec, exec, s[34:35]
.LBB24_31:
	s_or_b64 exec, exec, s[10:11]
	v_and_b32_e32 v7, 7, v7
	v_cmp_ne_u32_e32 vcc, 0, v7
	s_and_saveexec_b64 s[10:11], vcc
	s_cbranch_execz .LBB24_34
; %bb.32:
	v_lshlrev_b32_e32 v8, 9, v10
	s_movk_i32 s15, 0x210
	v_add3_u32 v8, v8, v28, s15
	s_mov_b64 s[34:35], 0
.LBB24_33:                              ; =>This Inner Loop Header: Depth=1
	ds_read2st64_b32 v[10:11], v8 offset1:2
	v_add_u32_e32 v7, -1, v7
	v_cmp_eq_u32_e32 vcc, 0, v7
	s_or_b64 s[34:35], vcc, s[34:35]
	s_waitcnt lgkmcnt(0)
	v_pk_mul_f32 v[10:11], v[2:3], v[10:11]
	ds_write2st64_b32 v8, v10, v11 offset1:2
	v_add_u32_e32 v8, 0x400, v8
	s_andn2_b64 exec, exec, s[34:35]
	s_cbranch_execnz .LBB24_33
.LBB24_34:
	s_or_b64 exec, exec, s[10:11]
	v_add_u32_e32 v6, 1, v6
	v_and_b32_e32 v7, 0x3fffffe, v6
	v_cmp_ne_u32_e32 vcc, v6, v7
	v_lshl_add_u32 v3, v7, 7, v0
	s_orn2_b64 s[10:11], vcc, exec
.LBB24_35:
	s_or_b64 exec, exec, s[8:9]
	s_and_b64 exec, exec, s[10:11]
	s_cbranch_execz .LBB24_38
; %bb.36:
	v_mov_b32_e32 v6, 0x210
	v_lshl_add_u32 v6, v3, 2, v6
	s_mov_b64 s[8:9], 0
.LBB24_37:                              ; =>This Inner Loop Header: Depth=1
	ds_read_b32 v7, v6
	v_add_u32_e32 v3, 0x80, v3
	v_cmp_le_i32_e32 vcc, s3, v3
	s_or_b64 s[8:9], vcc, s[8:9]
	s_waitcnt lgkmcnt(0)
	v_mul_f32_e32 v7, v2, v7
	ds_write_b32 v6, v7
	v_add_u32_e32 v6, 0x200, v6
	s_andn2_b64 exec, exec, s[8:9]
	s_cbranch_execnz .LBB24_37
.LBB24_38:
	s_or_b64 exec, exec, s[0:1]
	s_mul_i32 s0, s12, s24
	v_cmp_eq_u32_e32 vcc, 0, v0
	s_mul_i32 s8, s0, s5
	s_waitcnt lgkmcnt(0)
	s_barrier
	s_and_saveexec_b64 s[0:1], vcc
	s_cbranch_execz .LBB24_40
; %bb.39:
	s_ashr_i32 s9, s8, 31
	s_lshl_b64 s[10:11], s[8:9], 2
	s_add_u32 s5, s18, s10
	s_mul_i32 s2, s12, s2
	s_addc_u32 s9, s19, s11
	s_ashr_i32 s3, s2, 31
	s_lshl_b64 s[2:3], s[2:3], 2
	s_add_u32 s15, s5, s2
	s_addc_u32 s9, s9, s3
	s_ashr_i32 s5, s4, 31
	s_lshl_b64 s[18:19], s[4:5], 2
	s_add_u32 s34, s15, s18
	s_addc_u32 s35, s9, s19
	s_add_u32 s5, s16, s10
	s_addc_u32 s9, s17, s11
	;; [unrolled: 2-line block ×3, first 2 shown]
	s_add_u32 s2, s2, s18
	v_mov_b32_e32 v2, 0
	s_addc_u32 s3, s3, s19
	global_store_dword v2, v4, s[34:35]
	global_store_dword v2, v5, s[2:3]
.LBB24_40:
	s_or_b64 exec, exec, s[0:1]
	v_mov_b32_e32 v27, 0
	v_and_b32_e32 v34, 1, v0
	v_mov_b32_e32 v26, 0
	v_mov_b32_e32 v25, 0
	;; [unrolled: 1-line block ×3, first 2 shown]
	s_and_saveexec_b64 s[2:3], s[6:7]
	s_cbranch_execz .LBB24_52
; %bb.41:
	s_ashr_i32 s15, s14, 31
	s_lshl_b64 s[0:1], s[14:15], 2
	s_add_u32 s0, s30, s0
	v_lshlrev_b32_e32 v3, 4, v0
	s_addc_u32 s1, s31, s1
	v_and_b32_e32 v24, 0x3f0, v3
	v_mov_b32_e32 v25, 0
	v_and_b32_e32 v2, 4, v28
	s_add_i32 s40, s40, -1
	v_lshl_add_u64 v[28:29], s[0:1], 0, v[24:25]
	v_lshl_add_u32 v3, v30, 3, s33
	s_lshl_b64 s[0:1], s[28:29], 2
	v_add3_u32 v35, v3, v2, 3
	v_lshlrev_b32_e32 v2, 4, v34
	s_add_u32 s0, s26, s0
	v_lshl_or_b32 v2, v30, 5, v2
	s_addc_u32 s1, s27, s1
	s_mov_b32 s5, s13
	v_add_u32_e32 v36, 0x210, v2
	v_lshl_add_u64 v[30:31], v[22:23], 2, s[0:1]
	s_mov_b64 s[6:7], 0
	v_mov_b32_e32 v24, v25
	v_mov_b32_e32 v26, v25
	;; [unrolled: 1-line block ×3, first 2 shown]
	s_branch .LBB24_43
.LBB24_42:                              ;   in Loop: Header=BB24_43 Depth=1
	s_or_b64 exec, exec, s[0:1]
	s_waitcnt vmcnt(3) lgkmcnt(0)
	v_mul_f32_e32 v7, v3, v7
	v_fmac_f32_e32 v7, v2, v6
	s_waitcnt vmcnt(2)
	v_mul_f32_e32 v6, v3, v11
	v_fmac_f32_e32 v6, v2, v10
	v_fmac_f32_e32 v6, v4, v12
	v_fmac_f32_e32 v6, v5, v13
	v_add_f32_e32 v25, v25, v6
	s_waitcnt vmcnt(1)
	v_mul_f32_e32 v6, v3, v15
	s_waitcnt vmcnt(0)
	v_mul_f32_e32 v3, v3, v19
	v_fmac_f32_e32 v6, v2, v14
	v_fmac_f32_e32 v3, v2, v18
	;; [unrolled: 1-line block ×5, first 2 shown]
	v_add_u32_e32 v22, 2, v22
	v_fmac_f32_e32 v7, v5, v9
	v_fmac_f32_e32 v6, v5, v17
	;; [unrolled: 1-line block ×3, first 2 shown]
	v_cmp_le_i32_e32 vcc, s21, v22
	v_add_f32_e32 v24, v24, v7
	v_add_f32_e32 v26, v26, v6
	;; [unrolled: 1-line block ×3, first 2 shown]
	v_add_u32_e32 v35, 16, v35
	v_add_u32_e32 v36, 64, v36
	s_or_b64 s[6:7], vcc, s[6:7]
	v_lshl_add_u64 v[30:31], v[30:31], 0, 8
	s_andn2_b64 exec, exec, s[6:7]
	s_cbranch_execz .LBB24_51
.LBB24_43:                              ; =>This Inner Loop Header: Depth=1
	global_load_dword v2, v[30:31], off
	v_add_u32_e32 v23, -3, v35
	v_cmp_eq_u32_e32 vcc, s40, v22
	v_add_u32_e32 v38, -2, v35
	v_add_u32_e32 v37, -1, v35
	s_waitcnt vmcnt(0)
	v_mad_i64_i32 v[2:3], s[0:1], v2, s5, 0
	v_lshl_add_u64 v[18:19], v[2:3], 2, v[28:29]
	global_load_dwordx4 v[6:9], v[18:19], off
	ds_read_b128 v[2:5], v36
	s_and_saveexec_b64 s[10:11], vcc
	s_cbranch_execnz .LBB24_47
; %bb.44:                               ;   in Loop: Header=BB24_43 Depth=1
	s_or_b64 exec, exec, s[10:11]
	global_load_dwordx4 v[10:13], v[18:19], off offset:1024
	s_and_saveexec_b64 s[10:11], vcc
	s_cbranch_execnz .LBB24_48
.LBB24_45:                              ;   in Loop: Header=BB24_43 Depth=1
	s_or_b64 exec, exec, s[10:11]
	global_load_dwordx4 v[14:17], v[18:19], off offset:2048
	s_and_saveexec_b64 s[10:11], vcc
	s_cbranch_execnz .LBB24_49
.LBB24_46:                              ;   in Loop: Header=BB24_43 Depth=1
	s_or_b64 exec, exec, s[10:11]
	global_load_dwordx4 v[18:21], v[18:19], off offset:3072
	s_and_saveexec_b64 s[0:1], vcc
	s_cbranch_execz .LBB24_42
	s_branch .LBB24_50
.LBB24_47:                              ;   in Loop: Header=BB24_43 Depth=1
	v_cmp_gt_i32_e64 s[0:1], s25, v23
	s_waitcnt vmcnt(0)
	s_nop 0
	v_cndmask_b32_e64 v6, 0, v6, s[0:1]
	v_cmp_gt_i32_e64 s[0:1], s25, v38
	s_nop 1
	v_cndmask_b32_e64 v7, 0, v7, s[0:1]
	v_cmp_gt_i32_e64 s[0:1], s25, v37
	;; [unrolled: 3-line block ×3, first 2 shown]
	s_nop 1
	v_cndmask_b32_e64 v9, 0, v9, s[0:1]
	s_or_b64 exec, exec, s[10:11]
	global_load_dwordx4 v[10:13], v[18:19], off offset:1024
	s_and_saveexec_b64 s[10:11], vcc
	s_cbranch_execz .LBB24_45
.LBB24_48:                              ;   in Loop: Header=BB24_43 Depth=1
	v_cmp_gt_i32_e64 s[0:1], s25, v23
	s_waitcnt vmcnt(0)
	s_nop 0
	v_cndmask_b32_e64 v10, 0, v10, s[0:1]
	v_cmp_gt_i32_e64 s[0:1], s25, v38
	s_nop 1
	v_cndmask_b32_e64 v11, 0, v11, s[0:1]
	v_cmp_gt_i32_e64 s[0:1], s25, v37
	;; [unrolled: 3-line block ×3, first 2 shown]
	s_nop 1
	v_cndmask_b32_e64 v13, 0, v13, s[0:1]
	s_or_b64 exec, exec, s[10:11]
	global_load_dwordx4 v[14:17], v[18:19], off offset:2048
	s_and_saveexec_b64 s[10:11], vcc
	s_cbranch_execz .LBB24_46
.LBB24_49:                              ;   in Loop: Header=BB24_43 Depth=1
	v_cmp_gt_i32_e64 s[0:1], s25, v23
	s_waitcnt vmcnt(0)
	s_nop 0
	v_cndmask_b32_e64 v14, 0, v14, s[0:1]
	v_cmp_gt_i32_e64 s[0:1], s25, v38
	s_nop 1
	v_cndmask_b32_e64 v15, 0, v15, s[0:1]
	v_cmp_gt_i32_e64 s[0:1], s25, v37
	;; [unrolled: 3-line block ×3, first 2 shown]
	s_nop 1
	v_cndmask_b32_e64 v17, 0, v17, s[0:1]
	s_or_b64 exec, exec, s[10:11]
	global_load_dwordx4 v[18:21], v[18:19], off offset:3072
	s_and_saveexec_b64 s[0:1], vcc
	s_cbranch_execz .LBB24_42
.LBB24_50:                              ;   in Loop: Header=BB24_43 Depth=1
	v_cmp_gt_i32_e32 vcc, s25, v23
	s_waitcnt vmcnt(0)
	s_nop 0
	v_cndmask_b32_e32 v18, 0, v18, vcc
	v_cmp_gt_i32_e32 vcc, s25, v38
	s_nop 1
	v_cndmask_b32_e32 v19, 0, v19, vcc
	v_cmp_gt_i32_e32 vcc, s25, v37
	;; [unrolled: 3-line block ×3, first 2 shown]
	s_nop 1
	v_cndmask_b32_e32 v21, 0, v21, vcc
	s_branch .LBB24_42
.LBB24_51:
	s_or_b64 exec, exec, s[6:7]
.LBB24_52:
	s_or_b64 exec, exec, s[2:3]
	ds_bpermute_b32 v2, v33, v24
	ds_bpermute_b32 v3, v33, v25
	ds_bpermute_b32 v4, v33, v26
	ds_bpermute_b32 v5, v33, v27
	v_and_b32_e32 v6, 0x3c1, v0
	v_cmp_eq_u32_e32 vcc, 64, v6
	s_waitcnt lgkmcnt(2)
	v_pk_add_f32 v[2:3], v[24:25], v[2:3]
	s_waitcnt lgkmcnt(0)
	v_pk_add_f32 v[4:5], v[26:27], v[4:5]
	s_barrier
	s_and_saveexec_b64 s[0:1], vcc
	s_cbranch_execz .LBB24_54
; %bb.53:
	v_mov_b32_e32 v7, 0x210
	v_lshl_add_u32 v7, v32, 1, v7
	ds_write2_b32 v7, v2, v3 offset1:32
	ds_write2_b32 v7, v4, v5 offset0:64 offset1:96
.LBB24_54:
	s_or_b64 exec, exec, s[0:1]
	v_cmp_gt_u32_e32 vcc, 64, v0
	s_waitcnt lgkmcnt(0)
	s_barrier
	s_and_saveexec_b64 s[0:1], vcc
	s_cbranch_execz .LBB24_61
; %bb.55:
	v_cmp_eq_u32_e32 vcc, 0, v34
	s_and_saveexec_b64 s[2:3], vcc
	s_cbranch_execnz .LBB24_64
; %bb.56:
	s_or_b64 exec, exec, s[2:3]
	s_and_saveexec_b64 s[2:3], vcc
	s_cbranch_execnz .LBB24_65
.LBB24_57:
	s_or_b64 exec, exec, s[2:3]
	s_and_saveexec_b64 s[2:3], vcc
	s_cbranch_execnz .LBB24_66
.LBB24_58:
	s_or_b64 exec, exec, s[2:3]
	s_and_saveexec_b64 s[2:3], vcc
	s_cbranch_execz .LBB24_60
.LBB24_59:
	v_mov_b32_e32 v7, 0x210
	v_lshl_add_u32 v1, v1, 2, v7
	ds_read_b32 v1, v1 offset:384
	s_waitcnt lgkmcnt(0)
	v_add_f32_e32 v5, v5, v1
.LBB24_60:
	s_or_b64 exec, exec, s[2:3]
.LBB24_61:
	s_or_b64 exec, exec, s[0:1]
	v_cmp_eq_u32_e32 vcc, 0, v6
	s_barrier
	s_and_saveexec_b64 s[0:1], vcc
	s_cbranch_execz .LBB24_63
; %bb.62:
	s_lshl_b32 s0, s8, 7
	s_ashr_i32 s1, s0, 31
	s_lshl_b64 s[0:1], s[0:1], 2
	s_add_u32 s2, s22, s0
	s_mul_i32 s0, s12, s20
	s_addc_u32 s3, s23, s1
	s_ashr_i32 s1, s0, 31
	s_lshl_b64 s[0:1], s[0:1], 2
	s_add_u32 s2, s2, s0
	s_addc_u32 s3, s3, s1
	s_lshl_b32 s0, s4, 7
	s_ashr_i32 s1, s0, 31
	s_lshl_b64 s[0:1], s[0:1], 2
	s_add_u32 s0, s2, s0
	s_addc_u32 s1, s3, s1
	v_lshlrev_b32_e32 v0, 1, v0
	global_store_dword v0, v2, s[0:1]
	global_store_dword v0, v3, s[0:1] offset:128
	global_store_dword v0, v4, s[0:1] offset:256
	;; [unrolled: 1-line block ×3, first 2 shown]
.LBB24_63:
	s_endpgm
.LBB24_64:
	v_mov_b32_e32 v7, 0x210
	v_lshl_add_u32 v7, v1, 2, v7
	ds_read_b32 v7, v7
	s_waitcnt lgkmcnt(0)
	v_add_f32_e32 v2, v2, v7
	s_or_b64 exec, exec, s[2:3]
	s_and_saveexec_b64 s[2:3], vcc
	s_cbranch_execz .LBB24_57
.LBB24_65:
	v_mov_b32_e32 v7, 0x210
	v_lshl_add_u32 v7, v1, 2, v7
	ds_read_b32 v7, v7 offset:128
	s_waitcnt lgkmcnt(0)
	v_add_f32_e32 v3, v3, v7
	s_or_b64 exec, exec, s[2:3]
	s_and_saveexec_b64 s[2:3], vcc
	s_cbranch_execz .LBB24_58
.LBB24_66:
	v_mov_b32_e32 v7, 0x210
	v_lshl_add_u32 v7, v1, 2, v7
	ds_read_b32 v7, v7 offset:256
	s_waitcnt lgkmcnt(0)
	v_add_f32_e32 v4, v4, v7
	s_or_b64 exec, exec, s[2:3]
	s_and_saveexec_b64 s[2:3], vcc
	s_cbranch_execnz .LBB24_59
	s_branch .LBB24_60
	.section	.rodata,"a",@progbits
	.p2align	6, 0x0
	.amdhsa_kernel _ZN4vllm25paged_attention_v2_kernelIffLi128ELi8ELi128ELNS_18Fp8KVCacheDataTypeE0ELb0ELi512EEEvPfS2_PT_PKS3_PKT0_S9_ifPKiSB_iPKfiiiSD_SD_iiiii
		.amdhsa_group_segment_fixed_size 528
		.amdhsa_private_segment_fixed_size 0
		.amdhsa_kernarg_size 400
		.amdhsa_user_sgpr_count 2
		.amdhsa_user_sgpr_dispatch_ptr 0
		.amdhsa_user_sgpr_queue_ptr 0
		.amdhsa_user_sgpr_kernarg_segment_ptr 1
		.amdhsa_user_sgpr_dispatch_id 0
		.amdhsa_user_sgpr_kernarg_preload_length 0
		.amdhsa_user_sgpr_kernarg_preload_offset 0
		.amdhsa_user_sgpr_private_segment_size 0
		.amdhsa_uses_dynamic_stack 0
		.amdhsa_enable_private_segment 0
		.amdhsa_system_sgpr_workgroup_id_x 1
		.amdhsa_system_sgpr_workgroup_id_y 1
		.amdhsa_system_sgpr_workgroup_id_z 1
		.amdhsa_system_sgpr_workgroup_info 0
		.amdhsa_system_vgpr_workitem_id 0
		.amdhsa_next_free_vgpr 52
		.amdhsa_next_free_sgpr 42
		.amdhsa_accum_offset 52
		.amdhsa_reserve_vcc 1
		.amdhsa_float_round_mode_32 0
		.amdhsa_float_round_mode_16_64 0
		.amdhsa_float_denorm_mode_32 3
		.amdhsa_float_denorm_mode_16_64 3
		.amdhsa_dx10_clamp 1
		.amdhsa_ieee_mode 1
		.amdhsa_fp16_overflow 0
		.amdhsa_tg_split 0
		.amdhsa_exception_fp_ieee_invalid_op 0
		.amdhsa_exception_fp_denorm_src 0
		.amdhsa_exception_fp_ieee_div_zero 0
		.amdhsa_exception_fp_ieee_overflow 0
		.amdhsa_exception_fp_ieee_underflow 0
		.amdhsa_exception_fp_ieee_inexact 0
		.amdhsa_exception_int_div_zero 0
	.end_amdhsa_kernel
	.section	.text._ZN4vllm25paged_attention_v2_kernelIffLi128ELi8ELi128ELNS_18Fp8KVCacheDataTypeE0ELb0ELi512EEEvPfS2_PT_PKS3_PKT0_S9_ifPKiSB_iPKfiiiSD_SD_iiiii,"axG",@progbits,_ZN4vllm25paged_attention_v2_kernelIffLi128ELi8ELi128ELNS_18Fp8KVCacheDataTypeE0ELb0ELi512EEEvPfS2_PT_PKS3_PKT0_S9_ifPKiSB_iPKfiiiSD_SD_iiiii,comdat
.Lfunc_end24:
	.size	_ZN4vllm25paged_attention_v2_kernelIffLi128ELi8ELi128ELNS_18Fp8KVCacheDataTypeE0ELb0ELi512EEEvPfS2_PT_PKS3_PKT0_S9_ifPKiSB_iPKfiiiSD_SD_iiiii, .Lfunc_end24-_ZN4vllm25paged_attention_v2_kernelIffLi128ELi8ELi128ELNS_18Fp8KVCacheDataTypeE0ELb0ELi512EEEvPfS2_PT_PKS3_PKT0_S9_ifPKiSB_iPKfiiiSD_SD_iiiii
                                        ; -- End function
	.section	.AMDGPU.csdata,"",@progbits
; Kernel info:
; codeLenInByte = 4136
; NumSgprs: 48
; NumVgprs: 52
; NumAgprs: 0
; TotalNumVgprs: 52
; ScratchSize: 0
; MemoryBound: 0
; FloatMode: 240
; IeeeMode: 1
; LDSByteSize: 528 bytes/workgroup (compile time only)
; SGPRBlocks: 5
; VGPRBlocks: 6
; NumSGPRsForWavesPerEU: 48
; NumVGPRsForWavesPerEU: 52
; AccumOffset: 52
; Occupancy: 8
; WaveLimiterHint : 1
; COMPUTE_PGM_RSRC2:SCRATCH_EN: 0
; COMPUTE_PGM_RSRC2:USER_SGPR: 2
; COMPUTE_PGM_RSRC2:TRAP_HANDLER: 0
; COMPUTE_PGM_RSRC2:TGID_X_EN: 1
; COMPUTE_PGM_RSRC2:TGID_Y_EN: 1
; COMPUTE_PGM_RSRC2:TGID_Z_EN: 1
; COMPUTE_PGM_RSRC2:TIDIG_COMP_CNT: 0
; COMPUTE_PGM_RSRC3_GFX90A:ACCUM_OFFSET: 12
; COMPUTE_PGM_RSRC3_GFX90A:TG_SPLIT: 0
	.section	.text._ZN4vllm25paged_attention_v2_kernelIffLi192ELi8ELi128ELNS_18Fp8KVCacheDataTypeE0ELb0ELi512EEEvPfS2_PT_PKS3_PKT0_S9_ifPKiSB_iPKfiiiSD_SD_iiiii,"axG",@progbits,_ZN4vllm25paged_attention_v2_kernelIffLi192ELi8ELi128ELNS_18Fp8KVCacheDataTypeE0ELb0ELi512EEEvPfS2_PT_PKS3_PKT0_S9_ifPKiSB_iPKfiiiSD_SD_iiiii,comdat
	.protected	_ZN4vllm25paged_attention_v2_kernelIffLi192ELi8ELi128ELNS_18Fp8KVCacheDataTypeE0ELb0ELi512EEEvPfS2_PT_PKS3_PKT0_S9_ifPKiSB_iPKfiiiSD_SD_iiiii ; -- Begin function _ZN4vllm25paged_attention_v2_kernelIffLi192ELi8ELi128ELNS_18Fp8KVCacheDataTypeE0ELb0ELi512EEEvPfS2_PT_PKS3_PKT0_S9_ifPKiSB_iPKfiiiSD_SD_iiiii
	.globl	_ZN4vllm25paged_attention_v2_kernelIffLi192ELi8ELi128ELNS_18Fp8KVCacheDataTypeE0ELb0ELi512EEEvPfS2_PT_PKS3_PKT0_S9_ifPKiSB_iPKfiiiSD_SD_iiiii
	.p2align	8
	.type	_ZN4vllm25paged_attention_v2_kernelIffLi192ELi8ELi128ELNS_18Fp8KVCacheDataTypeE0ELb0ELi512EEEvPfS2_PT_PKS3_PKT0_S9_ifPKiSB_iPKfiiiSD_SD_iiiii,@function
_ZN4vllm25paged_attention_v2_kernelIffLi192ELi8ELi128ELNS_18Fp8KVCacheDataTypeE0ELb0ELi512EEEvPfS2_PT_PKS3_PKT0_S9_ifPKiSB_iPKfiiiSD_SD_iiiii: ; @_ZN4vllm25paged_attention_v2_kernelIffLi192ELi8ELi128ELNS_18Fp8KVCacheDataTypeE0ELb0ELi512EEEvPfS2_PT_PKS3_PKT0_S9_ifPKiSB_iPKfiiiSD_SD_iiiii
; %bb.0:
	s_load_dwordx2 s[6:7], s[0:1], 0x40
	s_mov_b32 s28, s3
	s_ashr_i32 s29, s3, 31
	s_lshl_b64 s[8:9], s[28:29], 2
	s_waitcnt lgkmcnt(0)
	s_add_u32 s6, s6, s8
	s_addc_u32 s7, s7, s9
	s_load_dword s33, s[6:7], 0x0
	s_lshl_b32 s40, s4, 9
	s_waitcnt lgkmcnt(0)
	s_cmp_ge_i32 s40, s33
	s_cbranch_scc1 .LBB25_70
; %bb.1:
	s_load_dword s5, s[0:1], 0x90
	s_load_dwordx2 s[10:11], s[0:1], 0x30
	s_waitcnt lgkmcnt(0)
	s_abs_i32 s7, s5
	s_abs_i32 s3, s10
	v_cvt_f32_u32_e32 v1, s3
	s_sub_i32 s8, 0, s3
	s_xor_b32 s6, s5, s10
	s_ashr_i32 s6, s6, 31
	v_rcp_iflag_f32_e32 v1, v1
	s_nop 0
	v_mul_f32_e32 v1, 0x4f7ffffe, v1
	v_cvt_u32_f32_e32 v1, v1
	s_nop 0
	v_readfirstlane_b32 s9, v1
	s_mul_i32 s8, s8, s9
	s_mul_hi_u32 s8, s9, s8
	s_add_i32 s9, s9, s8
	s_mul_hi_u32 s8, s7, s9
	s_mul_i32 s9, s8, s3
	s_sub_i32 s7, s7, s9
	s_add_i32 s10, s8, 1
	s_sub_i32 s9, s7, s3
	s_cmp_ge_u32 s7, s3
	s_cselect_b32 s8, s10, s8
	s_cselect_b32 s7, s9, s7
	s_add_i32 s9, s8, 1
	s_cmp_ge_u32 s7, s3
	s_cselect_b32 s3, s9, s8
	s_xor_b32 s3, s3, s6
	s_sub_i32 s10, s3, s6
	s_abs_i32 s36, s10
	v_cvt_f32_u32_e32 v1, s36
	s_load_dwordx2 s[6:7], s[0:1], 0x50
	s_sub_i32 s3, 0, s36
	s_abs_i32 s37, s2
	v_rcp_iflag_f32_e32 v1, v1
	s_nop 0
	v_mul_f32_e32 v1, 0x4f7ffffe, v1
	v_cvt_u32_f32_e32 v1, v1
	s_nop 0
	v_readfirstlane_b32 s8, v1
	s_mul_i32 s3, s3, s8
	s_mul_hi_u32 s3, s8, s3
	s_add_i32 s8, s8, s3
	s_waitcnt lgkmcnt(0)
	s_cmp_eq_u64 s[6:7], 0
	s_mov_b32 s3, 0
	s_cbranch_scc1 .LBB25_3
; %bb.2:
	s_ashr_i32 s3, s2, 31
	s_lshl_b64 s[12:13], s[2:3], 2
	s_add_u32 s6, s6, s12
	s_addc_u32 s7, s7, s13
	s_load_dword s3, s[6:7], 0x0
.LBB25_3:
	s_load_dwordx4 s[20:23], s[0:1], 0x0
	s_load_dwordx2 s[24:25], s[0:1], 0x10
	s_load_dwordx4 s[12:15], s[0:1], 0x20
	s_load_dwordx2 s[30:31], s[0:1], 0x38
	s_load_dword s29, s[0:1], 0x98
	s_load_dwordx4 s[16:19], s[0:1], 0x58
	s_movk_i32 s6, 0xc0
	s_mul_i32 s26, s2, 0xc0
	s_mul_hi_u32 s38, s37, s8
	v_and_b32_e32 v32, 7, v0
	s_ashr_i32 s27, s26, 31
	v_cmp_gt_u32_e32 vcc, s6, v0
	s_and_saveexec_b64 s[6:7], vcc
	s_cbranch_execz .LBB25_6
; %bb.4:
	s_load_dwordx2 s[8:9], s[0:1], 0x18
	s_waitcnt lgkmcnt(0)
	s_mul_i32 s34, s28, s16
	v_lshrrev_b32_e32 v2, 3, v0
	s_ashr_i32 s35, s34, 31
	v_lshlrev_b32_e32 v3, 2, v2
	s_movk_i32 s16, 0x60
	s_lshl_b64 s[34:35], s[34:35], 2
	s_lshl_b64 s[42:43], s[26:27], 2
	v_mad_u32_u24 v4, v32, s16, v3
	s_add_u32 s16, s34, s42
	s_addc_u32 s19, s35, s43
	v_lshlrev_b32_e32 v3, 2, v32
	s_add_u32 s8, s8, s16
	v_add_u32_e32 v1, -16, v2
	v_lshl_or_b32 v2, v2, 5, v3
	v_mov_b32_e32 v3, 0
	s_addc_u32 s9, s9, s19
	v_lshl_add_u64 v[2:3], s[8:9], 0, v[2:3]
	s_mov_b64 s[8:9], 0
	s_mov_b64 s[34:35], 0x200
.LBB25_5:                               ; =>This Inner Loop Header: Depth=1
	global_load_dword v5, v[2:3], off
	v_add_u32_e32 v1, 16, v1
	v_cmp_lt_u32_e32 vcc, 7, v1
	v_lshl_add_u64 v[2:3], v[2:3], 0, s[34:35]
	s_or_b64 s[8:9], vcc, s[8:9]
	s_waitcnt vmcnt(0)
	ds_write_b32 v4, v5
	v_add_u32_e32 v4, 64, v4
	s_andn2_b64 exec, exec, s[8:9]
	s_cbranch_execnz .LBB25_5
.LBB25_6:
	s_or_b64 exec, exec, s[6:7]
	s_add_i32 s8, s33, 7
	s_ashr_i32 s9, s8, 31
	s_ashr_i32 s6, s2, 31
	;; [unrolled: 1-line block ×3, first 2 shown]
	s_lshr_b32 s9, s9, 29
	s_add_i32 s8, s8, s9
	s_lshl_b32 s10, s4, 6
	s_xor_b32 s6, s6, s7
	s_mul_i32 s7, s38, s36
	s_ashr_i32 s27, s8, 3
	s_add_i32 s8, s10, 64
	s_sub_i32 s7, s37, s7
	s_waitcnt lgkmcnt(0)
	s_min_i32 s16, s8, s27
	s_add_i32 s8, s38, 1
	s_sub_i32 s9, s7, s36
	s_cmp_ge_u32 s7, s36
	s_load_dword s0, s[0:1], 0x48
	s_cselect_b32 s8, s8, s38
	s_cselect_b32 s7, s9, s7
	s_add_i32 s9, s8, 1
	s_cmp_ge_u32 s7, s36
	v_lshrrev_b32_e32 v50, 6, v0
	s_cselect_b32 s7, s9, s8
	s_xor_b32 s7, s7, s6
	s_waitcnt lgkmcnt(0)
	s_mul_i32 s34, s28, s0
	v_or_b32_e32 v30, s10, v50
	s_sub_i32 s8, s7, s6
	s_ashr_i32 s35, s34, 31
	v_cmp_gt_i32_e64 s[0:1], s16, v30
	v_cmp_le_i32_e32 vcc, s16, v30
	v_mbcnt_lo_u32_b32 v1, -1, 0
	s_barrier
	s_waitcnt lgkmcnt(0)
                                        ; implicit-def: $sgpr9
                                        ; implicit-def: $vgpr51
                                        ; implicit-def: $vgpr52
	s_and_saveexec_b64 s[6:7], vcc
	s_xor_b64 s[6:7], exec, s[6:7]
; %bb.7:
	v_mbcnt_hi_u32_b32 v51, -1, v1
	v_and_b32_e32 v1, 64, v51
	v_add_u32_e32 v52, 64, v1
	s_mov_b32 s9, 0xff7fffff
                                        ; implicit-def: $vgpr32
                                        ; implicit-def: $vgpr1
; %bb.8:
	s_or_saveexec_b64 s[36:37], s[6:7]
	v_mov_b32_e32 v55, s9
	s_mul_i32 s18, s8, s18
	v_ashrrev_i32_e32 v31, 31, v30
	s_xor_b64 exec, exec, s[36:37]
	s_cbranch_execz .LBB25_14
; %bb.9:
	s_ashr_i32 s19, s18, 31
	s_lshl_b64 s[6:7], s[18:19], 2
	v_bfe_u32 v33, v0, 3, 3
	s_add_u32 s6, s12, s6
	s_addc_u32 s7, s13, s7
	v_lshlrev_b32_e32 v26, 4, v33
	v_mov_b32_e32 v27, 0
	v_and_b32_e32 v4, 3, v0
	v_mbcnt_hi_u32_b32 v51, -1, v1
	v_lshl_add_u64 v[2:3], s[6:7], 0, v[26:27]
	v_lshlrev_b32_e32 v5, 3, v0
	v_lshlrev_b32_e32 v26, 2, v4
	v_mul_u32_u24_e32 v22, 0x60, v32
	v_and_b32_e32 v1, 64, v51
	v_and_b32_e32 v34, 32, v5
	v_lshl_add_u64 v[28:29], v[2:3], 0, v[26:27]
	ds_read_b128 v[2:5], v22
	ds_read_b128 v[6:9], v22 offset:16
	ds_read_b128 v[10:13], v22 offset:32
	;; [unrolled: 1-line block ×5, first 2 shown]
	v_add_u32_e32 v52, 64, v1
	v_xor_b32_e32 v1, 4, v51
	v_cmp_lt_i32_e32 vcc, v1, v52
	v_xor_b32_e32 v26, 2, v51
	s_sub_i32 s19, 1, s33
	v_cndmask_b32_e32 v1, v51, v1, vcc
	v_cmp_lt_i32_e32 vcc, v26, v52
	s_lshl_b64 s[8:9], s[34:35], 2
	v_lshlrev_b32_e32 v35, 2, v33
	v_cndmask_b32_e32 v26, v51, v26, vcc
	v_lshlrev_b32_e32 v53, 2, v26
	v_xor_b32_e32 v26, 1, v51
	v_cmp_lt_i32_e32 vcc, v26, v52
	s_add_u32 s8, s30, s8
	v_or_b32_e32 v38, 0x440, v34
	v_cndmask_b32_e32 v26, v51, v26, vcc
	v_cmp_eq_u32_e32 vcc, 0, v32
	v_lshlrev_b32_e32 v32, 3, v50
	v_lshlrev_b32_e32 v54, 2, v26
	v_or_b32_e32 v26, 0x400, v34
	v_or_b32_e32 v40, 0x480, v34
	;; [unrolled: 1-line block ×7, first 2 shown]
	v_add3_u32 v56, s40, v32, v33
	v_lshl_or_b32 v32, v50, 5, v35
	s_addc_u32 s9, s31, s9
	s_mov_b32 s41, s17
	v_lshlrev_b32_e32 v1, 2, v1
	v_cmp_neq_f32_e64 s[6:7], s3, 0
	v_add_u32_e32 v57, 0x310, v32
	v_lshl_add_u64 v[32:33], v[30:31], 2, s[8:9]
	s_mov_b64 s[12:13], 0
	v_mov_b32_e32 v55, 0xff7fffff
	v_lshlrev_b32_e32 v34, 2, v34
	v_lshlrev_b32_e32 v36, 2, v26
	;; [unrolled: 1-line block ×9, first 2 shown]
	v_mov_b32_e32 v35, v27
	v_mov_b32_e32 v37, v27
	;; [unrolled: 1-line block ×4, first 2 shown]
	s_branch .LBB25_11
.LBB25_10:                              ;   in Loop: Header=BB25_11 Depth=1
	s_or_b64 exec, exec, s[38:39]
	v_add_u32_e32 v58, 2, v58
	v_cmp_le_i32_e64 s[8:9], s16, v58
	v_add_u32_e32 v56, 16, v56
	v_add_u32_e32 v57, 64, v57
	s_or_b64 s[12:13], s[8:9], s[12:13]
	v_lshl_add_u64 v[32:33], v[32:33], 0, 8
	s_andn2_b64 exec, exec, s[12:13]
	s_cbranch_execz .LBB25_13
.LBB25_11:                              ; =>This Inner Loop Header: Depth=1
	global_load_dword v41, v[32:33], off
	s_waitcnt lgkmcnt(0)
	v_mov_b32_e32 v43, v27
	v_mov_b32_e32 v45, v27
	;; [unrolled: 1-line block ×4, first 2 shown]
	s_waitcnt vmcnt(0)
	v_mad_i64_i32 v[60:61], s[8:9], v41, s41, 0
	v_lshl_add_u64 v[60:61], v[60:61], 2, v[28:29]
	v_lshl_add_u64 v[62:63], v[60:61], 0, v[34:35]
	global_load_dword v59, v[62:63], off
	global_load_dword v76, v[62:63], off offset:256
	global_load_dword v77, v[62:63], off offset:512
	global_load_dword v78, v[62:63], off offset:768
	global_load_dword v79, v[62:63], off offset:1024
	global_load_dword v80, v[62:63], off offset:1280
	global_load_dword v81, v[62:63], off offset:1536
	global_load_dword v82, v[62:63], off offset:1792
	global_load_dword v83, v[62:63], off offset:2048
	global_load_dword v84, v[62:63], off offset:2304
	global_load_dword v85, v[62:63], off offset:2560
	global_load_dword v86, v[62:63], off offset:2816
	global_load_dword v87, v[62:63], off offset:3072
	global_load_dword v88, v[62:63], off offset:3328
	global_load_dword v89, v[62:63], off offset:3584
	global_load_dword v90, v[62:63], off offset:3840
	v_mov_b32_e32 v41, v27
	v_lshl_add_u64 v[62:63], v[60:61], 0, v[36:37]
	v_lshl_add_u64 v[64:65], v[60:61], 0, v[38:39]
	;; [unrolled: 1-line block ×8, first 2 shown]
	global_load_dword v41, v[62:63], off
	global_load_dword v43, v[64:65], off
	;; [unrolled: 1-line block ×5, first 2 shown]
	s_nop 0
	global_load_dword v62, v[72:73], off
	global_load_dword v63, v[74:75], off
	s_nop 0
	global_load_dword v60, v[60:61], off
	s_waitcnt vmcnt(22) lgkmcnt(5)
	v_mul_f32_e32 v61, v3, v76
	v_fmac_f32_e32 v61, v2, v59
	s_waitcnt vmcnt(21)
	v_fmac_f32_e32 v61, v4, v77
	s_waitcnt vmcnt(20)
	v_fmac_f32_e32 v61, v5, v78
	s_waitcnt vmcnt(19) lgkmcnt(4)
	v_fmac_f32_e32 v61, v6, v79
	s_waitcnt vmcnt(18)
	v_fmac_f32_e32 v61, v7, v80
	s_waitcnt vmcnt(17)
	v_fmac_f32_e32 v61, v8, v81
	s_waitcnt vmcnt(16)
	v_fmac_f32_e32 v61, v9, v82
	s_waitcnt vmcnt(15) lgkmcnt(3)
	v_fmac_f32_e32 v61, v10, v83
	s_waitcnt vmcnt(14)
	v_fmac_f32_e32 v61, v11, v84
	s_waitcnt vmcnt(13)
	v_fmac_f32_e32 v61, v12, v85
	s_waitcnt vmcnt(12)
	v_fmac_f32_e32 v61, v13, v86
	s_waitcnt vmcnt(11) lgkmcnt(2)
	v_fmac_f32_e32 v61, v14, v87
	s_waitcnt vmcnt(10)
	v_fmac_f32_e32 v61, v15, v88
	s_waitcnt vmcnt(9)
	v_fmac_f32_e32 v61, v16, v89
	s_waitcnt vmcnt(8)
	v_fmac_f32_e32 v61, v17, v90
	s_waitcnt vmcnt(7) lgkmcnt(1)
	v_fmac_f32_e32 v61, v18, v41
	s_waitcnt vmcnt(6)
	v_fmac_f32_e32 v61, v19, v43
	s_waitcnt vmcnt(5)
	v_fmac_f32_e32 v61, v20, v45
	s_waitcnt vmcnt(4)
	v_fmac_f32_e32 v61, v21, v47
	s_waitcnt vmcnt(3) lgkmcnt(0)
	v_fmac_f32_e32 v61, v22, v49
	s_waitcnt vmcnt(2)
	v_fmac_f32_e32 v61, v23, v62
	s_waitcnt vmcnt(1)
	v_fmac_f32_e32 v61, v24, v63
	s_waitcnt vmcnt(0)
	v_fmac_f32_e32 v61, v25, v60
	ds_bpermute_b32 v41, v1, v61
	s_waitcnt lgkmcnt(0)
	v_add_f32_e32 v41, v61, v41
	ds_bpermute_b32 v43, v53, v41
	s_waitcnt lgkmcnt(0)
	v_add_f32_e32 v41, v41, v43
	ds_bpermute_b32 v43, v54, v41
	s_and_saveexec_b64 s[38:39], vcc
	s_cbranch_execz .LBB25_10
; %bb.12:                               ;   in Loop: Header=BB25_11 Depth=1
	v_add_u32_e32 v45, s19, v56
	v_cvt_f32_i32_e32 v45, v45
	s_waitcnt lgkmcnt(0)
	v_add_f32_e32 v41, v41, v43
	v_cmp_gt_i32_e64 s[8:9], s33, v56
	v_max_f32_e32 v43, v55, v55
	v_mul_f32_e32 v45, s3, v45
	v_cndmask_b32_e64 v45, 0, v45, s[6:7]
	v_fmac_f32_e32 v45, s11, v41
	v_cndmask_b32_e64 v41, 0, v45, s[8:9]
	ds_write_b32 v57, v41
	v_max_f32_e32 v41, v43, v45
	v_cndmask_b32_e64 v55, v55, v41, s[8:9]
	s_branch .LBB25_10
.LBB25_13:
	s_or_b64 exec, exec, s[12:13]
.LBB25_14:
	s_or_b64 exec, exec, s[36:37]
	v_xor_b32_e32 v1, 32, v51
	v_cmp_lt_i32_e32 vcc, v1, v52
	v_xor_b32_e32 v4, 16, v51
	v_max_f32_e32 v2, v55, v55
	v_cndmask_b32_e32 v1, v51, v1, vcc
	v_lshlrev_b32_e32 v3, 2, v1
	ds_bpermute_b32 v1, v3, v55
	v_cmp_lt_i32_e32 vcc, v4, v52
	v_xor_b32_e32 v5, 8, v51
	s_waitcnt lgkmcnt(0)
	v_max_f32_e32 v1, v1, v1
	v_max_f32_e32 v1, v2, v1
	v_cndmask_b32_e32 v2, v51, v4, vcc
	v_lshlrev_b32_e32 v6, 2, v2
	ds_bpermute_b32 v2, v6, v1
	v_cmp_lt_i32_e32 vcc, v5, v52
	s_waitcnt lgkmcnt(0)
	v_max_f32_e32 v2, v2, v2
	v_max_f32_e32 v4, v1, v2
	v_cndmask_b32_e32 v1, v51, v5, vcc
	v_lshlrev_b32_e32 v7, 2, v1
	ds_bpermute_b32 v5, v7, v4
	v_and_b32_e32 v1, 63, v0
	v_cmp_eq_u32_e32 vcc, 0, v1
	v_lshlrev_b32_e32 v2, 2, v50
	s_and_saveexec_b64 s[6:7], vcc
	s_cbranch_execz .LBB25_16
; %bb.15:
	s_waitcnt lgkmcnt(0)
	v_max_f32_e32 v5, v5, v5
	v_max_f32_e32 v4, v4, v4
	;; [unrolled: 1-line block ×3, first 2 shown]
	ds_write_b32 v2, v4 offset:768
.LBB25_16:
	s_or_b64 exec, exec, s[6:7]
	v_cmp_gt_u32_e64 s[6:7], 2, v1
	v_mov_b32_e32 v4, 0xff7fffff
	s_waitcnt lgkmcnt(0)
	v_lshlrev_b32_e32 v5, 2, v1
	s_barrier
	s_and_saveexec_b64 s[8:9], s[6:7]
	s_cbranch_execz .LBB25_18
; %bb.17:
	ds_read_b32 v4, v5 offset:768
.LBB25_18:
	s_or_b64 exec, exec, s[8:9]
	v_xor_b32_e32 v8, 1, v51
	v_cmp_lt_i32_e64 s[8:9], v8, v52
	s_sub_i32 s3, s16, s10
	s_lshl_b32 s3, s3, 3
	v_cndmask_b32_e64 v8, v51, v8, s[8:9]
	v_lshlrev_b32_e32 v46, 2, v8
	s_waitcnt lgkmcnt(0)
	ds_bpermute_b32 v8, v46, v4
	v_max_f32_e32 v4, v4, v4
	s_add_i32 s3, s3, s40
	s_min_i32 s19, s3, s33
	s_sub_i32 s3, s19, s40
	s_waitcnt lgkmcnt(0)
	v_max_f32_e32 v8, v8, v8
	v_max_f32_e32 v4, v4, v8
	v_lshlrev_b32_e32 v8, 2, v51
	v_and_b32_e32 v8, 0xffffff00, v8
	ds_bpermute_b32 v4, v8, v4
	v_cmp_gt_i32_e64 s[8:9], s3, v0
	v_mov_b32_e32 v9, 0
	s_and_saveexec_b64 s[12:13], s[8:9]
	s_cbranch_execz .LBB25_22
; %bb.19:
	v_mov_b32_e32 v9, 0x310
	v_lshl_add_u32 v10, v0, 2, v9
	s_mov_b64 s[36:37], 0
	v_mov_b32_e32 v9, 0
	v_mov_b32_e32 v11, v0
.LBB25_20:                              ; =>This Inner Loop Header: Depth=1
	ds_read_b32 v12, v10
	v_add_u32_e32 v11, 0x80, v11
	v_cmp_le_i32_e64 s[10:11], s3, v11
	s_or_b64 s[36:37], s[10:11], s[36:37]
	s_waitcnt lgkmcnt(0)
	v_sub_f32_e32 v12, v12, v4
	v_mul_f32_e32 v12, 0x3fb8aa3b, v12
	v_exp_f32_e32 v12, v12
	ds_write_b32 v10, v12
	v_add_f32_e32 v9, v9, v12
	v_add_u32_e32 v10, 0x200, v10
	s_andn2_b64 exec, exec, s[36:37]
	s_cbranch_execnz .LBB25_20
; %bb.21:
	s_or_b64 exec, exec, s[36:37]
.LBB25_22:
	s_or_b64 exec, exec, s[12:13]
	ds_bpermute_b32 v3, v3, v9
	s_waitcnt lgkmcnt(0)
	v_add_f32_e32 v3, v9, v3
	ds_bpermute_b32 v6, v6, v3
	s_waitcnt lgkmcnt(0)
	v_add_f32_e32 v3, v3, v6
	ds_bpermute_b32 v6, v7, v3
	v_xor_b32_e32 v7, 4, v51
	v_cmp_lt_i32_e64 s[10:11], v7, v52
	s_waitcnt lgkmcnt(0)
	v_add_f32_e32 v3, v3, v6
	v_cndmask_b32_e64 v7, v51, v7, s[10:11]
	v_lshlrev_b32_e32 v7, 2, v7
	ds_bpermute_b32 v6, v7, v3
	v_xor_b32_e32 v7, 2, v51
	v_cmp_lt_i32_e64 s[10:11], v7, v52
	s_waitcnt lgkmcnt(0)
	v_add_f32_e32 v3, v3, v6
	v_cndmask_b32_e64 v7, v51, v7, s[10:11]
	v_lshlrev_b32_e32 v6, 2, v7
	ds_bpermute_b32 v6, v6, v3
	s_waitcnt lgkmcnt(0)
	v_add_f32_e32 v3, v3, v6
	ds_bpermute_b32 v6, v46, v3
	s_waitcnt lgkmcnt(0)
	v_add_f32_e32 v3, v3, v6
	s_and_saveexec_b64 s[10:11], vcc
	s_cbranch_execz .LBB25_24
; %bb.23:
	ds_write_b32 v2, v3 offset:776
.LBB25_24:
	s_or_b64 exec, exec, s[10:11]
	s_waitcnt lgkmcnt(0)
	s_barrier
	s_and_saveexec_b64 s[10:11], s[6:7]
	s_cbranch_execz .LBB25_26
; %bb.25:
	ds_read_b32 v3, v5 offset:776
.LBB25_26:
	s_or_b64 exec, exec, s[10:11]
	s_waitcnt lgkmcnt(0)
	ds_bpermute_b32 v2, v46, v3
	s_waitcnt lgkmcnt(0)
	v_add_f32_e32 v2, v3, v2
	ds_bpermute_b32 v5, v8, v2
	s_and_saveexec_b64 s[6:7], s[8:9]
	s_cbranch_execz .LBB25_39
; %bb.27:
	s_waitcnt lgkmcnt(0)
	v_add_f32_e32 v2, 0x358637bd, v5
	v_div_scale_f32 v3, s[8:9], v2, v2, 1.0
	v_rcp_f32_e32 v6, v3
	v_div_scale_f32 v7, vcc, 1.0, v2, 1.0
	s_movk_i32 s8, 0x7f
	v_fma_f32 v8, -v3, v6, 1.0
	v_fmac_f32_e32 v6, v8, v6
	v_mul_f32_e32 v8, v7, v6
	v_fma_f32 v9, -v3, v8, v7
	v_fmac_f32_e32 v8, v9, v6
	v_fma_f32 v3, -v3, v8, v7
	v_div_fmas_f32 v3, v3, v6, v8
	v_div_fixup_f32 v2, v3, v2, 1.0
	v_xad_u32 v3, v0, -1, s19
	v_subrev_u32_e32 v6, s40, v3
	v_cmp_lt_u32_e32 vcc, s8, v6
	s_mov_b64 s[10:11], -1
	v_mov_b32_e32 v3, v0
	s_and_saveexec_b64 s[8:9], vcc
	s_cbranch_execz .LBB25_36
; %bb.28:
	v_lshrrev_b32_e32 v6, 7, v6
	v_add_u32_e32 v8, -1, v6
	v_lshrrev_b32_e32 v7, 1, v8
	v_mov_b32_e32 v3, v2
	v_add_u32_e32 v7, 1, v7
	v_cmp_lt_u32_e32 vcc, 13, v8
	v_mov_b32_e32 v10, 0
	s_and_saveexec_b64 s[10:11], vcc
	s_cbranch_execz .LBB25_32
; %bb.29:
	v_mov_b32_e32 v9, 0x310
	v_and_b32_e32 v8, -8, v7
	v_lshl_add_u32 v9, v0, 2, v9
	s_mov_b32 s19, 0
	s_mov_b64 s[12:13], 0
.LBB25_30:                              ; =>This Inner Loop Header: Depth=1
	ds_read2st64_b32 v[10:11], v9 offset1:2
	ds_read2st64_b32 v[12:13], v9 offset0:4 offset1:6
	ds_read2st64_b32 v[14:15], v9 offset0:8 offset1:10
	;; [unrolled: 1-line block ×3, first 2 shown]
	v_add_u32_e32 v8, -8, v8
	s_waitcnt lgkmcnt(3)
	v_pk_mul_f32 v[10:11], v[2:3], v[10:11]
	s_waitcnt lgkmcnt(2)
	v_pk_mul_f32 v[12:13], v[2:3], v[12:13]
	ds_write2st64_b32 v9, v10, v11 offset1:2
	ds_write2st64_b32 v9, v12, v13 offset0:4 offset1:6
	ds_read2st64_b32 v[12:13], v9 offset0:16 offset1:18
	s_waitcnt lgkmcnt(4)
	v_pk_mul_f32 v[10:11], v[2:3], v[14:15]
	ds_write2st64_b32 v9, v10, v11 offset0:8 offset1:10
	s_waitcnt lgkmcnt(4)
	v_pk_mul_f32 v[10:11], v[2:3], v[16:17]
	ds_write2st64_b32 v9, v10, v11 offset0:12 offset1:14
	ds_read2st64_b32 v[10:11], v9 offset0:20 offset1:22
	s_waitcnt lgkmcnt(3)
	v_pk_mul_f32 v[12:13], v[2:3], v[12:13]
	ds_read2st64_b32 v[14:15], v9 offset0:24 offset1:26
	ds_write2st64_b32 v9, v12, v13 offset0:16 offset1:18
	ds_read2st64_b32 v[12:13], v9 offset0:28 offset1:30
	s_waitcnt lgkmcnt(3)
	v_pk_mul_f32 v[10:11], v[2:3], v[10:11]
	ds_write2st64_b32 v9, v10, v11 offset0:20 offset1:22
	s_waitcnt lgkmcnt(3)
	v_pk_mul_f32 v[10:11], v[2:3], v[14:15]
	ds_write2st64_b32 v9, v10, v11 offset0:24 offset1:26
	s_waitcnt lgkmcnt(2)
	v_pk_mul_f32 v[10:11], v[2:3], v[12:13]
	s_add_i32 s19, s19, 16
	v_cmp_eq_u32_e32 vcc, 0, v8
	ds_write2st64_b32 v9, v10, v11 offset0:28 offset1:30
	v_add_u32_e32 v9, 0x2000, v9
	s_or_b64 s[12:13], vcc, s[12:13]
	v_mov_b32_e32 v10, s19
	s_andn2_b64 exec, exec, s[12:13]
	s_cbranch_execnz .LBB25_30
; %bb.31:
	s_or_b64 exec, exec, s[12:13]
.LBB25_32:
	s_or_b64 exec, exec, s[10:11]
	v_and_b32_e32 v7, 7, v7
	v_cmp_ne_u32_e32 vcc, 0, v7
	s_and_saveexec_b64 s[10:11], vcc
	s_cbranch_execz .LBB25_35
; %bb.33:
	v_lshlrev_b32_e32 v8, 9, v10
	v_lshlrev_b32_e32 v9, 2, v0
	s_movk_i32 s12, 0x310
	v_add3_u32 v8, v8, v9, s12
	s_mov_b64 s[12:13], 0
.LBB25_34:                              ; =>This Inner Loop Header: Depth=1
	ds_read2st64_b32 v[10:11], v8 offset1:2
	v_add_u32_e32 v7, -1, v7
	v_cmp_eq_u32_e32 vcc, 0, v7
	s_or_b64 s[12:13], vcc, s[12:13]
	s_waitcnt lgkmcnt(0)
	v_pk_mul_f32 v[10:11], v[2:3], v[10:11]
	ds_write2st64_b32 v8, v10, v11 offset1:2
	v_add_u32_e32 v8, 0x400, v8
	s_andn2_b64 exec, exec, s[12:13]
	s_cbranch_execnz .LBB25_34
.LBB25_35:
	s_or_b64 exec, exec, s[10:11]
	v_add_u32_e32 v6, 1, v6
	v_and_b32_e32 v7, 0x3fffffe, v6
	v_cmp_ne_u32_e32 vcc, v6, v7
	v_lshl_add_u32 v3, v7, 7, v0
	s_orn2_b64 s[10:11], vcc, exec
.LBB25_36:
	s_or_b64 exec, exec, s[8:9]
	s_and_b64 exec, exec, s[10:11]
	s_cbranch_execz .LBB25_39
; %bb.37:
	v_mov_b32_e32 v6, 0x310
	v_lshl_add_u32 v6, v3, 2, v6
	s_mov_b64 s[8:9], 0
.LBB25_38:                              ; =>This Inner Loop Header: Depth=1
	ds_read_b32 v7, v6
	v_add_u32_e32 v3, 0x80, v3
	v_cmp_le_i32_e32 vcc, s3, v3
	s_or_b64 s[8:9], vcc, s[8:9]
	s_waitcnt lgkmcnt(0)
	v_mul_f32_e32 v7, v2, v7
	ds_write_b32 v6, v7
	v_add_u32_e32 v6, 0x200, v6
	s_andn2_b64 exec, exec, s[8:9]
	s_cbranch_execnz .LBB25_38
.LBB25_39:
	s_or_b64 exec, exec, s[6:7]
	s_mul_i32 s3, s29, s28
	v_cmp_eq_u32_e32 vcc, 0, v0
	s_mul_i32 s6, s3, s5
	s_waitcnt lgkmcnt(0)
	s_barrier
	s_and_saveexec_b64 s[8:9], vcc
	s_cbranch_execz .LBB25_41
; %bb.40:
	s_ashr_i32 s7, s6, 31
	s_lshl_b64 s[10:11], s[6:7], 2
	s_add_u32 s5, s22, s10
	s_mul_i32 s2, s29, s2
	s_addc_u32 s7, s23, s11
	s_ashr_i32 s3, s2, 31
	s_lshl_b64 s[2:3], s[2:3], 2
	s_add_u32 s19, s5, s2
	s_addc_u32 s7, s7, s3
	s_ashr_i32 s5, s4, 31
	s_lshl_b64 s[12:13], s[4:5], 2
	s_add_u32 s22, s19, s12
	s_addc_u32 s23, s7, s13
	s_add_u32 s5, s20, s10
	s_addc_u32 s7, s21, s11
	;; [unrolled: 2-line block ×3, first 2 shown]
	s_add_u32 s2, s2, s12
	v_mov_b32_e32 v2, 0
	s_addc_u32 s3, s3, s13
	global_store_dword v2, v4, s[22:23]
	global_store_dword v2, v5, s[2:3]
.LBB25_41:
	s_or_b64 exec, exec, s[8:9]
	v_mov_b32_e32 v33, 0
	v_and_b32_e32 v47, 1, v0
	v_mov_b32_e32 v32, 0
	v_mov_b32_e32 v35, 0
	;; [unrolled: 1-line block ×5, first 2 shown]
	s_and_saveexec_b64 s[2:3], s[0:1]
	s_cbranch_execz .LBB25_57
; %bb.42:
	s_ashr_i32 s19, s18, 31
	s_lshl_b64 s[0:1], s[18:19], 2
	v_lshlrev_b32_e32 v2, 2, v0
	s_add_u32 s8, s14, s0
	v_and_b32_e32 v3, 4, v2
	s_addc_u32 s9, s15, s1
	s_add_i32 s27, s27, -1
	v_lshl_add_u32 v5, v50, 3, s40
	s_lshl_b64 s[0:1], s[34:35], 2
	v_and_b32_e32 v2, 0xfc, v2
	v_add3_u32 v48, v5, v3, 3
	v_lshlrev_b32_e32 v3, 4, v47
	s_add_u32 s0, s30, s0
	v_mov_b32_e32 v39, 0
	v_or_b32_e32 v4, 0x400, v2
	v_or_b32_e32 v6, 0x500, v2
	v_lshl_or_b32 v3, v50, 5, v3
	s_addc_u32 s1, s31, s1
	s_mov_b32 s5, s17
	v_add_u32_e32 v49, 0x310, v3
	v_lshl_add_u64 v[40:41], v[30:31], 2, s[0:1]
	s_mov_b64 s[10:11], 0
	v_lshlrev_b32_e32 v42, 2, v2
	v_mov_b32_e32 v43, v39
	v_lshlrev_b32_e32 v38, 2, v4
	v_lshlrev_b32_e32 v44, 2, v6
	v_mov_b32_e32 v36, v39
	v_mov_b32_e32 v37, v39
	;; [unrolled: 1-line block ×6, first 2 shown]
	s_branch .LBB25_44
.LBB25_43:                              ;   in Loop: Header=BB25_44 Depth=1
	s_or_b64 exec, exec, s[0:1]
	s_waitcnt vmcnt(5) lgkmcnt(0)
	v_mul_f32_e32 v7, v3, v7
	v_fmac_f32_e32 v7, v2, v6
	s_waitcnt vmcnt(4)
	v_mul_f32_e32 v6, v3, v11
	v_fmac_f32_e32 v6, v2, v10
	v_fmac_f32_e32 v6, v4, v12
	v_fmac_f32_e32 v6, v5, v13
	v_add_f32_e32 v37, v37, v6
	s_waitcnt vmcnt(3)
	v_mul_f32_e32 v6, v3, v15
	v_fmac_f32_e32 v6, v2, v14
	v_fmac_f32_e32 v6, v4, v16
	v_fmac_f32_e32 v6, v5, v17
	v_add_f32_e32 v34, v34, v6
	;; [unrolled: 6-line block ×3, first 2 shown]
	s_waitcnt vmcnt(1)
	v_mul_f32_e32 v6, v3, v23
	s_waitcnt vmcnt(0)
	v_mul_f32_e32 v3, v3, v27
	v_fmac_f32_e32 v6, v2, v22
	v_fmac_f32_e32 v3, v2, v26
	v_fmac_f32_e32 v7, v4, v8
	v_fmac_f32_e32 v6, v4, v24
	v_fmac_f32_e32 v3, v4, v28
	v_add_u32_e32 v30, 2, v30
	v_fmac_f32_e32 v7, v5, v9
	v_fmac_f32_e32 v6, v5, v25
	;; [unrolled: 1-line block ×3, first 2 shown]
	v_cmp_le_i32_e32 vcc, s16, v30
	v_add_f32_e32 v36, v36, v7
	v_add_f32_e32 v32, v32, v6
	;; [unrolled: 1-line block ×3, first 2 shown]
	v_add_u32_e32 v48, 16, v48
	v_add_u32_e32 v49, 64, v49
	s_or_b64 s[10:11], vcc, s[10:11]
	v_lshl_add_u64 v[40:41], v[40:41], 0, 8
	s_andn2_b64 exec, exec, s[10:11]
	s_cbranch_execz .LBB25_56
.LBB25_44:                              ; =>This Inner Loop Header: Depth=1
	global_load_dword v2, v[40:41], off
	v_add_u32_e32 v31, -3, v48
	v_cmp_eq_u32_e32 vcc, s27, v30
	v_add_u32_e32 v51, -2, v48
	v_add_u32_e32 v50, -1, v48
	s_waitcnt vmcnt(0)
	v_mad_i64_i32 v[2:3], s[0:1], v2, s5, 0
	v_lshl_add_u64 v[26:27], v[2:3], 2, s[8:9]
	v_lshl_add_u64 v[18:19], v[26:27], 0, v[42:43]
	global_load_dwordx4 v[6:9], v[18:19], off
	ds_read_b128 v[2:5], v49
	s_and_saveexec_b64 s[12:13], vcc
	s_cbranch_execnz .LBB25_53
; %bb.45:                               ;   in Loop: Header=BB25_44 Depth=1
	s_or_b64 exec, exec, s[12:13]
	global_load_dwordx4 v[10:13], v[18:19], off offset:1024
	s_and_saveexec_b64 s[12:13], vcc
	s_cbranch_execnz .LBB25_54
.LBB25_46:                              ;   in Loop: Header=BB25_44 Depth=1
	s_or_b64 exec, exec, s[12:13]
	global_load_dwordx4 v[14:17], v[18:19], off offset:2048
	s_and_saveexec_b64 s[12:13], vcc
	s_cbranch_execnz .LBB25_55
.LBB25_47:                              ;   in Loop: Header=BB25_44 Depth=1
	s_or_b64 exec, exec, s[12:13]
	global_load_dwordx4 v[18:21], v[18:19], off offset:3072
	s_and_saveexec_b64 s[12:13], vcc
	s_cbranch_execz .LBB25_49
.LBB25_48:                              ;   in Loop: Header=BB25_44 Depth=1
	v_cmp_gt_i32_e64 s[0:1], s33, v31
	s_waitcnt vmcnt(0)
	s_nop 0
	v_cndmask_b32_e64 v18, 0, v18, s[0:1]
	v_cmp_gt_i32_e64 s[0:1], s33, v51
	s_nop 1
	v_cndmask_b32_e64 v19, 0, v19, s[0:1]
	v_cmp_gt_i32_e64 s[0:1], s33, v50
	;; [unrolled: 3-line block ×3, first 2 shown]
	s_nop 1
	v_cndmask_b32_e64 v21, 0, v21, s[0:1]
.LBB25_49:                              ;   in Loop: Header=BB25_44 Depth=1
	s_or_b64 exec, exec, s[12:13]
	v_lshl_add_u64 v[22:23], v[26:27], 0, v[38:39]
	global_load_dwordx4 v[22:25], v[22:23], off
	s_and_saveexec_b64 s[12:13], vcc
	s_cbranch_execz .LBB25_51
; %bb.50:                               ;   in Loop: Header=BB25_44 Depth=1
	v_cmp_gt_i32_e64 s[0:1], s33, v31
	s_waitcnt vmcnt(0)
	s_nop 0
	v_cndmask_b32_e64 v22, 0, v22, s[0:1]
	v_cmp_gt_i32_e64 s[0:1], s33, v51
	s_nop 1
	v_cndmask_b32_e64 v23, 0, v23, s[0:1]
	v_cmp_gt_i32_e64 s[0:1], s33, v50
	;; [unrolled: 3-line block ×3, first 2 shown]
	s_nop 1
	v_cndmask_b32_e64 v25, 0, v25, s[0:1]
.LBB25_51:                              ;   in Loop: Header=BB25_44 Depth=1
	s_or_b64 exec, exec, s[12:13]
	v_mov_b32_e32 v45, v39
	v_lshl_add_u64 v[26:27], v[26:27], 0, v[44:45]
	global_load_dwordx4 v[26:29], v[26:27], off
	s_and_saveexec_b64 s[0:1], vcc
	s_cbranch_execz .LBB25_43
; %bb.52:                               ;   in Loop: Header=BB25_44 Depth=1
	v_cmp_gt_i32_e32 vcc, s33, v31
	s_waitcnt vmcnt(0)
	s_nop 0
	v_cndmask_b32_e32 v26, 0, v26, vcc
	v_cmp_gt_i32_e32 vcc, s33, v51
	s_nop 1
	v_cndmask_b32_e32 v27, 0, v27, vcc
	v_cmp_gt_i32_e32 vcc, s33, v50
	;; [unrolled: 3-line block ×3, first 2 shown]
	s_nop 1
	v_cndmask_b32_e32 v29, 0, v29, vcc
	s_branch .LBB25_43
.LBB25_53:                              ;   in Loop: Header=BB25_44 Depth=1
	v_cmp_gt_i32_e64 s[0:1], s33, v31
	s_waitcnt vmcnt(0)
	s_nop 0
	v_cndmask_b32_e64 v6, 0, v6, s[0:1]
	v_cmp_gt_i32_e64 s[0:1], s33, v51
	s_nop 1
	v_cndmask_b32_e64 v7, 0, v7, s[0:1]
	v_cmp_gt_i32_e64 s[0:1], s33, v50
	;; [unrolled: 3-line block ×3, first 2 shown]
	s_nop 1
	v_cndmask_b32_e64 v9, 0, v9, s[0:1]
	s_or_b64 exec, exec, s[12:13]
	global_load_dwordx4 v[10:13], v[18:19], off offset:1024
	s_and_saveexec_b64 s[12:13], vcc
	s_cbranch_execz .LBB25_46
.LBB25_54:                              ;   in Loop: Header=BB25_44 Depth=1
	v_cmp_gt_i32_e64 s[0:1], s33, v31
	s_waitcnt vmcnt(0)
	s_nop 0
	v_cndmask_b32_e64 v10, 0, v10, s[0:1]
	v_cmp_gt_i32_e64 s[0:1], s33, v51
	s_nop 1
	v_cndmask_b32_e64 v11, 0, v11, s[0:1]
	v_cmp_gt_i32_e64 s[0:1], s33, v50
	;; [unrolled: 3-line block ×3, first 2 shown]
	s_nop 1
	v_cndmask_b32_e64 v13, 0, v13, s[0:1]
	s_or_b64 exec, exec, s[12:13]
	global_load_dwordx4 v[14:17], v[18:19], off offset:2048
	s_and_saveexec_b64 s[12:13], vcc
	s_cbranch_execz .LBB25_47
.LBB25_55:                              ;   in Loop: Header=BB25_44 Depth=1
	v_cmp_gt_i32_e64 s[0:1], s33, v31
	s_waitcnt vmcnt(0)
	s_nop 0
	v_cndmask_b32_e64 v14, 0, v14, s[0:1]
	v_cmp_gt_i32_e64 s[0:1], s33, v51
	s_nop 1
	v_cndmask_b32_e64 v15, 0, v15, s[0:1]
	v_cmp_gt_i32_e64 s[0:1], s33, v50
	;; [unrolled: 3-line block ×3, first 2 shown]
	s_nop 1
	v_cndmask_b32_e64 v17, 0, v17, s[0:1]
	s_or_b64 exec, exec, s[12:13]
	global_load_dwordx4 v[18:21], v[18:19], off offset:3072
	s_and_saveexec_b64 s[12:13], vcc
	s_cbranch_execnz .LBB25_48
	s_branch .LBB25_49
.LBB25_56:
	s_or_b64 exec, exec, s[10:11]
.LBB25_57:
	s_or_b64 exec, exec, s[2:3]
	ds_bpermute_b32 v2, v46, v36
	ds_bpermute_b32 v3, v46, v37
	;; [unrolled: 1-line block ×6, first 2 shown]
	s_waitcnt lgkmcnt(4)
	v_pk_add_f32 v[4:5], v[36:37], v[2:3]
	s_waitcnt lgkmcnt(0)
	v_pk_add_f32 v[2:3], v[34:35], v[6:7]
	s_barrier
	v_pk_add_f32 v[6:7], v[32:33], v[8:9]
	v_and_b32_e32 v8, 0x3c1, v0
	v_cmp_eq_u32_e32 vcc, 64, v8
	s_and_saveexec_b64 s[0:1], vcc
	s_cbranch_execz .LBB25_59
; %bb.58:
	v_mov_b32_e32 v9, 0x310
	v_lshl_add_u32 v1, v1, 1, v9
	ds_write2_b32 v1, v4, v5 offset1:32
	ds_write2_b32 v1, v2, v3 offset0:64 offset1:96
	ds_write2_b32 v1, v6, v7 offset0:128 offset1:160
.LBB25_59:
	s_or_b64 exec, exec, s[0:1]
	v_cmp_gt_u32_e32 vcc, 64, v0
	s_waitcnt lgkmcnt(0)
	s_barrier
	s_and_saveexec_b64 s[0:1], vcc
	s_cbranch_execz .LBB25_68
; %bb.60:
	v_cmp_eq_u32_e32 vcc, 0, v47
	v_lshrrev_b32_e32 v1, 1, v0
	s_and_saveexec_b64 s[2:3], vcc
	s_cbranch_execnz .LBB25_71
; %bb.61:
	s_or_b64 exec, exec, s[2:3]
	s_and_saveexec_b64 s[2:3], vcc
	s_cbranch_execnz .LBB25_72
.LBB25_62:
	s_or_b64 exec, exec, s[2:3]
	s_and_saveexec_b64 s[2:3], vcc
	s_cbranch_execnz .LBB25_73
.LBB25_63:
	s_or_b64 exec, exec, s[2:3]
	s_and_saveexec_b64 s[2:3], vcc
	s_cbranch_execnz .LBB25_74
.LBB25_64:
	s_or_b64 exec, exec, s[2:3]
	s_and_saveexec_b64 s[2:3], vcc
	s_cbranch_execnz .LBB25_75
.LBB25_65:
	s_or_b64 exec, exec, s[2:3]
	s_and_saveexec_b64 s[2:3], vcc
	s_cbranch_execz .LBB25_67
.LBB25_66:
	v_mov_b32_e32 v9, 0x310
	v_lshl_add_u32 v1, v1, 2, v9
	ds_read_b32 v1, v1 offset:640
	s_waitcnt lgkmcnt(0)
	v_add_f32_e32 v7, v7, v1
.LBB25_67:
	s_or_b64 exec, exec, s[2:3]
.LBB25_68:
	s_or_b64 exec, exec, s[0:1]
	v_cmp_eq_u32_e32 vcc, 0, v8
	s_barrier
	s_and_saveexec_b64 s[0:1], vcc
	s_cbranch_execz .LBB25_70
; %bb.69:
	s_mul_i32 s0, s6, 0xc0
	s_ashr_i32 s1, s0, 31
	s_lshl_b64 s[0:1], s[0:1], 2
	s_add_u32 s2, s24, s0
	s_mul_i32 s0, s29, s26
	s_addc_u32 s3, s25, s1
	s_ashr_i32 s1, s0, 31
	s_lshl_b64 s[0:1], s[0:1], 2
	s_add_u32 s2, s2, s0
	s_mul_i32 s0, s4, 0xc0
	s_addc_u32 s3, s3, s1
	s_ashr_i32 s1, s0, 31
	s_lshl_b64 s[0:1], s[0:1], 2
	s_add_u32 s0, s2, s0
	s_addc_u32 s1, s3, s1
	v_lshlrev_b32_e32 v0, 1, v0
	global_store_dword v0, v4, s[0:1]
	global_store_dword v0, v5, s[0:1] offset:128
	global_store_dword v0, v2, s[0:1] offset:256
	;; [unrolled: 1-line block ×5, first 2 shown]
.LBB25_70:
	s_endpgm
.LBB25_71:
	v_mov_b32_e32 v9, 0x310
	v_lshl_add_u32 v9, v1, 2, v9
	ds_read_b32 v9, v9
	s_waitcnt lgkmcnt(0)
	v_add_f32_e32 v4, v4, v9
	s_or_b64 exec, exec, s[2:3]
	s_and_saveexec_b64 s[2:3], vcc
	s_cbranch_execz .LBB25_62
.LBB25_72:
	v_mov_b32_e32 v9, 0x310
	v_lshl_add_u32 v9, v1, 2, v9
	ds_read_b32 v9, v9 offset:128
	s_waitcnt lgkmcnt(0)
	v_add_f32_e32 v5, v5, v9
	s_or_b64 exec, exec, s[2:3]
	s_and_saveexec_b64 s[2:3], vcc
	s_cbranch_execz .LBB25_63
.LBB25_73:
	v_mov_b32_e32 v9, 0x310
	v_lshl_add_u32 v9, v1, 2, v9
	ds_read_b32 v9, v9 offset:256
	s_waitcnt lgkmcnt(0)
	v_add_f32_e32 v2, v2, v9
	s_or_b64 exec, exec, s[2:3]
	s_and_saveexec_b64 s[2:3], vcc
	s_cbranch_execz .LBB25_64
.LBB25_74:
	v_mov_b32_e32 v9, 0x310
	v_lshl_add_u32 v9, v1, 2, v9
	ds_read_b32 v9, v9 offset:384
	s_waitcnt lgkmcnt(0)
	v_add_f32_e32 v3, v3, v9
	s_or_b64 exec, exec, s[2:3]
	s_and_saveexec_b64 s[2:3], vcc
	s_cbranch_execz .LBB25_65
.LBB25_75:
	v_mov_b32_e32 v9, 0x310
	v_lshl_add_u32 v9, v1, 2, v9
	ds_read_b32 v9, v9 offset:512
	s_waitcnt lgkmcnt(0)
	v_add_f32_e32 v6, v6, v9
	s_or_b64 exec, exec, s[2:3]
	s_and_saveexec_b64 s[2:3], vcc
	s_cbranch_execnz .LBB25_66
	s_branch .LBB25_67
	.section	.rodata,"a",@progbits
	.p2align	6, 0x0
	.amdhsa_kernel _ZN4vllm25paged_attention_v2_kernelIffLi192ELi8ELi128ELNS_18Fp8KVCacheDataTypeE0ELb0ELi512EEEvPfS2_PT_PKS3_PKT0_S9_ifPKiSB_iPKfiiiSD_SD_iiiii
		.amdhsa_group_segment_fixed_size 784
		.amdhsa_private_segment_fixed_size 0
		.amdhsa_kernarg_size 400
		.amdhsa_user_sgpr_count 2
		.amdhsa_user_sgpr_dispatch_ptr 0
		.amdhsa_user_sgpr_queue_ptr 0
		.amdhsa_user_sgpr_kernarg_segment_ptr 1
		.amdhsa_user_sgpr_dispatch_id 0
		.amdhsa_user_sgpr_kernarg_preload_length 0
		.amdhsa_user_sgpr_kernarg_preload_offset 0
		.amdhsa_user_sgpr_private_segment_size 0
		.amdhsa_uses_dynamic_stack 0
		.amdhsa_enable_private_segment 0
		.amdhsa_system_sgpr_workgroup_id_x 1
		.amdhsa_system_sgpr_workgroup_id_y 1
		.amdhsa_system_sgpr_workgroup_id_z 1
		.amdhsa_system_sgpr_workgroup_info 0
		.amdhsa_system_vgpr_workitem_id 0
		.amdhsa_next_free_vgpr 91
		.amdhsa_next_free_sgpr 44
		.amdhsa_accum_offset 92
		.amdhsa_reserve_vcc 1
		.amdhsa_float_round_mode_32 0
		.amdhsa_float_round_mode_16_64 0
		.amdhsa_float_denorm_mode_32 3
		.amdhsa_float_denorm_mode_16_64 3
		.amdhsa_dx10_clamp 1
		.amdhsa_ieee_mode 1
		.amdhsa_fp16_overflow 0
		.amdhsa_tg_split 0
		.amdhsa_exception_fp_ieee_invalid_op 0
		.amdhsa_exception_fp_denorm_src 0
		.amdhsa_exception_fp_ieee_div_zero 0
		.amdhsa_exception_fp_ieee_overflow 0
		.amdhsa_exception_fp_ieee_underflow 0
		.amdhsa_exception_fp_ieee_inexact 0
		.amdhsa_exception_int_div_zero 0
	.end_amdhsa_kernel
	.section	.text._ZN4vllm25paged_attention_v2_kernelIffLi192ELi8ELi128ELNS_18Fp8KVCacheDataTypeE0ELb0ELi512EEEvPfS2_PT_PKS3_PKT0_S9_ifPKiSB_iPKfiiiSD_SD_iiiii,"axG",@progbits,_ZN4vllm25paged_attention_v2_kernelIffLi192ELi8ELi128ELNS_18Fp8KVCacheDataTypeE0ELb0ELi512EEEvPfS2_PT_PKS3_PKT0_S9_ifPKiSB_iPKfiiiSD_SD_iiiii,comdat
.Lfunc_end25:
	.size	_ZN4vllm25paged_attention_v2_kernelIffLi192ELi8ELi128ELNS_18Fp8KVCacheDataTypeE0ELb0ELi512EEEvPfS2_PT_PKS3_PKT0_S9_ifPKiSB_iPKfiiiSD_SD_iiiii, .Lfunc_end25-_ZN4vllm25paged_attention_v2_kernelIffLi192ELi8ELi128ELNS_18Fp8KVCacheDataTypeE0ELb0ELi512EEEvPfS2_PT_PKS3_PKT0_S9_ifPKiSB_iPKfiiiSD_SD_iiiii
                                        ; -- End function
	.section	.AMDGPU.csdata,"",@progbits
; Kernel info:
; codeLenInByte = 5048
; NumSgprs: 50
; NumVgprs: 91
; NumAgprs: 0
; TotalNumVgprs: 91
; ScratchSize: 0
; MemoryBound: 0
; FloatMode: 240
; IeeeMode: 1
; LDSByteSize: 784 bytes/workgroup (compile time only)
; SGPRBlocks: 6
; VGPRBlocks: 11
; NumSGPRsForWavesPerEU: 50
; NumVGPRsForWavesPerEU: 91
; AccumOffset: 92
; Occupancy: 5
; WaveLimiterHint : 1
; COMPUTE_PGM_RSRC2:SCRATCH_EN: 0
; COMPUTE_PGM_RSRC2:USER_SGPR: 2
; COMPUTE_PGM_RSRC2:TRAP_HANDLER: 0
; COMPUTE_PGM_RSRC2:TGID_X_EN: 1
; COMPUTE_PGM_RSRC2:TGID_Y_EN: 1
; COMPUTE_PGM_RSRC2:TGID_Z_EN: 1
; COMPUTE_PGM_RSRC2:TIDIG_COMP_CNT: 0
; COMPUTE_PGM_RSRC3_GFX90A:ACCUM_OFFSET: 22
; COMPUTE_PGM_RSRC3_GFX90A:TG_SPLIT: 0
	.section	.text._ZN4vllm25paged_attention_v2_kernelIffLi256ELi8ELi128ELNS_18Fp8KVCacheDataTypeE0ELb0ELi512EEEvPfS2_PT_PKS3_PKT0_S9_ifPKiSB_iPKfiiiSD_SD_iiiii,"axG",@progbits,_ZN4vllm25paged_attention_v2_kernelIffLi256ELi8ELi128ELNS_18Fp8KVCacheDataTypeE0ELb0ELi512EEEvPfS2_PT_PKS3_PKT0_S9_ifPKiSB_iPKfiiiSD_SD_iiiii,comdat
	.protected	_ZN4vllm25paged_attention_v2_kernelIffLi256ELi8ELi128ELNS_18Fp8KVCacheDataTypeE0ELb0ELi512EEEvPfS2_PT_PKS3_PKT0_S9_ifPKiSB_iPKfiiiSD_SD_iiiii ; -- Begin function _ZN4vllm25paged_attention_v2_kernelIffLi256ELi8ELi128ELNS_18Fp8KVCacheDataTypeE0ELb0ELi512EEEvPfS2_PT_PKS3_PKT0_S9_ifPKiSB_iPKfiiiSD_SD_iiiii
	.globl	_ZN4vllm25paged_attention_v2_kernelIffLi256ELi8ELi128ELNS_18Fp8KVCacheDataTypeE0ELb0ELi512EEEvPfS2_PT_PKS3_PKT0_S9_ifPKiSB_iPKfiiiSD_SD_iiiii
	.p2align	8
	.type	_ZN4vllm25paged_attention_v2_kernelIffLi256ELi8ELi128ELNS_18Fp8KVCacheDataTypeE0ELb0ELi512EEEvPfS2_PT_PKS3_PKT0_S9_ifPKiSB_iPKfiiiSD_SD_iiiii,@function
_ZN4vllm25paged_attention_v2_kernelIffLi256ELi8ELi128ELNS_18Fp8KVCacheDataTypeE0ELb0ELi512EEEvPfS2_PT_PKS3_PKT0_S9_ifPKiSB_iPKfiiiSD_SD_iiiii: ; @_ZN4vllm25paged_attention_v2_kernelIffLi256ELi8ELi128ELNS_18Fp8KVCacheDataTypeE0ELb0ELi512EEEvPfS2_PT_PKS3_PKT0_S9_ifPKiSB_iPKfiiiSD_SD_iiiii
; %bb.0:
	s_load_dwordx2 s[6:7], s[0:1], 0x40
	s_mov_b32 s28, s3
	s_ashr_i32 s29, s3, 31
	s_lshl_b64 s[8:9], s[28:29], 2
	s_waitcnt lgkmcnt(0)
	s_add_u32 s6, s6, s8
	s_addc_u32 s7, s7, s9
	s_load_dword s33, s[6:7], 0x0
	s_lshl_b32 s40, s4, 9
	s_waitcnt lgkmcnt(0)
	s_cmp_ge_i32 s40, s33
	s_cbranch_scc1 .LBB26_76
; %bb.1:
	s_load_dword s5, s[0:1], 0x90
	s_load_dwordx2 s[10:11], s[0:1], 0x30
	s_waitcnt lgkmcnt(0)
	s_abs_i32 s7, s5
	s_abs_i32 s3, s10
	v_cvt_f32_u32_e32 v1, s3
	s_sub_i32 s8, 0, s3
	s_xor_b32 s6, s5, s10
	s_ashr_i32 s6, s6, 31
	v_rcp_iflag_f32_e32 v1, v1
	s_nop 0
	v_mul_f32_e32 v1, 0x4f7ffffe, v1
	v_cvt_u32_f32_e32 v1, v1
	s_nop 0
	v_readfirstlane_b32 s9, v1
	s_mul_i32 s8, s8, s9
	s_mul_hi_u32 s8, s9, s8
	s_add_i32 s9, s9, s8
	s_mul_hi_u32 s8, s7, s9
	s_mul_i32 s9, s8, s3
	s_sub_i32 s7, s7, s9
	s_add_i32 s10, s8, 1
	s_sub_i32 s9, s7, s3
	s_cmp_ge_u32 s7, s3
	s_cselect_b32 s8, s10, s8
	s_cselect_b32 s7, s9, s7
	s_add_i32 s9, s8, 1
	s_cmp_ge_u32 s7, s3
	s_cselect_b32 s3, s9, s8
	s_xor_b32 s3, s3, s6
	s_sub_i32 s10, s3, s6
	s_abs_i32 s36, s10
	v_cvt_f32_u32_e32 v1, s36
	s_load_dwordx2 s[6:7], s[0:1], 0x50
	s_sub_i32 s3, 0, s36
	s_abs_i32 s37, s2
	v_rcp_iflag_f32_e32 v1, v1
	s_nop 0
	v_mul_f32_e32 v1, 0x4f7ffffe, v1
	v_cvt_u32_f32_e32 v1, v1
	s_nop 0
	v_readfirstlane_b32 s8, v1
	s_mul_i32 s3, s3, s8
	s_mul_hi_u32 s3, s8, s3
	s_add_i32 s8, s8, s3
	s_waitcnt lgkmcnt(0)
	s_cmp_eq_u64 s[6:7], 0
	s_mov_b32 s3, 0
	s_cbranch_scc1 .LBB26_3
; %bb.2:
	s_ashr_i32 s3, s2, 31
	s_lshl_b64 s[12:13], s[2:3], 2
	s_add_u32 s6, s6, s12
	s_addc_u32 s7, s7, s13
	s_load_dword s3, s[6:7], 0x0
.LBB26_3:
	s_load_dwordx4 s[20:23], s[0:1], 0x0
	s_load_dwordx2 s[24:25], s[0:1], 0x10
	s_load_dwordx4 s[12:15], s[0:1], 0x20
	s_load_dwordx2 s[30:31], s[0:1], 0x38
	s_load_dword s29, s[0:1], 0x98
	s_load_dwordx4 s[16:19], s[0:1], 0x58
	s_lshl_b32 s26, s2, 8
	s_movk_i32 s6, 0x100
	s_mul_hi_u32 s38, s37, s8
	v_and_b32_e32 v10, 7, v0
	s_ashr_i32 s27, s26, 31
	v_cmp_gt_u32_e32 vcc, s6, v0
	s_and_saveexec_b64 s[6:7], vcc
	s_cbranch_execz .LBB26_6
; %bb.4:
	s_load_dwordx2 s[8:9], s[0:1], 0x18
	s_waitcnt lgkmcnt(0)
	s_mul_i32 s34, s28, s16
	s_ashr_i32 s35, s34, 31
	s_lshl_b64 s[34:35], s[34:35], 2
	s_lshl_b64 s[42:43], s[26:27], 2
	v_lshrrev_b32_e32 v2, 3, v0
	s_add_u32 s16, s34, s42
	v_lshlrev_b32_e32 v3, 2, v2
	s_addc_u32 s19, s35, s43
	v_lshl_add_u32 v4, v10, 7, v3
	v_lshlrev_b32_e32 v3, 2, v10
	s_add_u32 s8, s8, s16
	v_add_u32_e32 v1, -16, v2
	v_lshl_or_b32 v2, v2, 5, v3
	v_mov_b32_e32 v3, 0
	s_addc_u32 s9, s9, s19
	v_lshl_add_u64 v[2:3], s[8:9], 0, v[2:3]
	s_mov_b64 s[8:9], 0
	s_mov_b64 s[34:35], 0x200
.LBB26_5:                               ; =>This Inner Loop Header: Depth=1
	global_load_dword v5, v[2:3], off
	v_add_co_u32_e32 v1, vcc, 16, v1
	s_xor_b64 s[42:43], vcc, -1
	s_and_b64 s[42:43], exec, s[42:43]
	v_lshl_add_u64 v[2:3], v[2:3], 0, s[34:35]
	s_or_b64 s[8:9], s[42:43], s[8:9]
	s_waitcnt vmcnt(0)
	ds_write_b32 v4, v5
	v_add_u32_e32 v4, 64, v4
	s_andn2_b64 exec, exec, s[8:9]
	s_cbranch_execnz .LBB26_5
.LBB26_6:
	s_or_b64 exec, exec, s[6:7]
	s_add_i32 s8, s33, 7
	s_ashr_i32 s9, s8, 31
	s_ashr_i32 s6, s2, 31
	;; [unrolled: 1-line block ×3, first 2 shown]
	s_lshr_b32 s9, s9, 29
	s_add_i32 s8, s8, s9
	s_lshl_b32 s10, s4, 6
	s_xor_b32 s6, s6, s7
	s_mul_i32 s7, s38, s36
	s_ashr_i32 s27, s8, 3
	s_add_i32 s8, s10, 64
	s_sub_i32 s7, s37, s7
	s_waitcnt lgkmcnt(0)
	s_min_i32 s16, s8, s27
	s_add_i32 s8, s38, 1
	s_sub_i32 s9, s7, s36
	s_cmp_ge_u32 s7, s36
	s_load_dword s0, s[0:1], 0x48
	s_cselect_b32 s8, s8, s38
	s_cselect_b32 s7, s9, s7
	s_add_i32 s9, s8, 1
	s_cmp_ge_u32 s7, s36
	v_lshrrev_b32_e32 v74, 6, v0
	s_cselect_b32 s7, s9, s8
	s_xor_b32 s7, s7, s6
	s_waitcnt lgkmcnt(0)
	s_mul_i32 s34, s28, s0
	v_or_b32_e32 v38, s10, v74
	s_sub_i32 s8, s7, s6
	s_ashr_i32 s35, s34, 31
	v_cmp_gt_i32_e64 s[0:1], s16, v38
	v_cmp_le_i32_e32 vcc, s16, v38
	v_mbcnt_lo_u32_b32 v1, -1, 0
	s_barrier
	s_waitcnt lgkmcnt(0)
                                        ; implicit-def: $sgpr9
                                        ; implicit-def: $vgpr75
                                        ; implicit-def: $vgpr76
	s_and_saveexec_b64 s[6:7], vcc
	s_xor_b64 s[6:7], exec, s[6:7]
; %bb.7:
	v_mbcnt_hi_u32_b32 v75, -1, v1
	v_and_b32_e32 v1, 64, v75
	v_add_u32_e32 v76, 64, v1
	s_mov_b32 s9, 0xff7fffff
                                        ; implicit-def: $vgpr10
                                        ; implicit-def: $vgpr1
; %bb.8:
	s_or_saveexec_b64 s[36:37], s[6:7]
	v_mov_b32_e32 v79, s9
	s_mul_i32 s18, s8, s18
	v_ashrrev_i32_e32 v39, 31, v38
	s_xor_b64 exec, exec, s[36:37]
	s_cbranch_execz .LBB26_14
; %bb.9:
	v_mbcnt_hi_u32_b32 v75, -1, v1
	v_and_b32_e32 v1, 64, v75
	v_add_u32_e32 v76, 64, v1
	v_xor_b32_e32 v1, 4, v75
	v_cmp_lt_i32_e32 vcc, v1, v76
	v_xor_b32_e32 v14, 2, v75
	s_ashr_i32 s19, s18, 31
	v_cndmask_b32_e32 v1, v75, v1, vcc
	v_cmp_lt_i32_e32 vcc, v14, v76
	s_lshl_b64 s[6:7], s[18:19], 2
	v_bfe_u32 v11, v0, 3, 3
	v_cndmask_b32_e32 v14, v75, v14, vcc
	v_lshlrev_b32_e32 v77, 2, v14
	v_xor_b32_e32 v14, 1, v75
	s_add_u32 s6, s12, s6
	v_lshlrev_b32_e32 v5, 3, v0
	v_cmp_lt_i32_e32 vcc, v14, v76
	s_addc_u32 s7, s13, s7
	v_lshlrev_b32_e32 v13, 2, v11
	v_lshlrev_b32_e32 v34, 4, v11
	v_mov_b32_e32 v35, 0
	v_and_b32_e32 v4, 3, v0
	v_and_b32_e32 v12, 32, v5
	v_cndmask_b32_e32 v14, v75, v14, vcc
	v_lshlrev_b32_e32 v15, 3, v74
	v_lshl_add_u64 v[2:3], s[6:7], 0, v[34:35]
	v_lshlrev_b32_e32 v34, 2, v4
	v_lshlrev_b32_e32 v31, 7, v10
	;; [unrolled: 1-line block ×3, first 2 shown]
	v_cmp_eq_u32_e32 vcc, 0, v10
	v_or_b32_e32 v10, 0x400, v12
	v_or_b32_e32 v14, 0x440, v12
	;; [unrolled: 1-line block ×11, first 2 shown]
	v_add3_u32 v80, s40, v15, v11
	v_lshl_or_b32 v11, v74, 5, v13
	v_lshl_add_u64 v[36:37], v[2:3], 0, v[34:35]
	ds_read_b128 v[2:5], v31
	ds_read_b128 v[6:9], v31 offset:16
	v_or_b32_e32 v64, 0x6c0, v12
	v_or_b32_e32 v66, 0x700, v12
	;; [unrolled: 1-line block ×5, first 2 shown]
	v_add_u32_e32 v81, 0x410, v11
	v_lshlrev_b32_e32 v34, 2, v12
	v_lshlrev_b32_e32 v42, 2, v10
	;; [unrolled: 1-line block ×12, first 2 shown]
	ds_read_b128 v[10:13], v31 offset:32
	ds_read_b128 v[14:17], v31 offset:48
	ds_read_b128 v[18:21], v31 offset:64
	ds_read_b128 v[22:25], v31 offset:80
	ds_read_b128 v[26:29], v31 offset:96
	ds_read_b128 v[30:33], v31 offset:112
	s_sub_i32 s19, 1, s33
	s_lshl_b64 s[8:9], s[34:35], 2
	s_add_u32 s8, s30, s8
	s_addc_u32 s9, s31, s9
	s_mov_b32 s41, s17
	v_lshlrev_b32_e32 v1, 2, v1
	v_cmp_neq_f32_e64 s[6:7], s3, 0
	v_lshl_add_u64 v[40:41], v[38:39], 2, s[8:9]
	s_mov_b64 s[12:13], 0
	v_mov_b32_e32 v79, 0xff7fffff
	v_lshlrev_b32_e32 v64, 2, v64
	v_lshlrev_b32_e32 v66, 2, v66
	v_lshlrev_b32_e32 v68, 2, v68
	v_lshlrev_b32_e32 v70, 2, v70
	v_lshlrev_b32_e32 v72, 2, v72
	v_mov_b32_e32 v82, v38
	s_branch .LBB26_11
.LBB26_10:                              ;   in Loop: Header=BB26_11 Depth=1
	s_or_b64 exec, exec, s[38:39]
	v_add_u32_e32 v82, 2, v82
	v_cmp_le_i32_e64 s[8:9], s16, v82
	v_add_u32_e32 v80, 16, v80
	v_add_u32_e32 v81, 64, v81
	s_or_b64 s[12:13], s[8:9], s[12:13]
	v_lshl_add_u64 v[40:41], v[40:41], 0, 8
	s_andn2_b64 exec, exec, s[12:13]
	s_cbranch_execz .LBB26_13
.LBB26_11:                              ; =>This Inner Loop Header: Depth=1
	global_load_dword v59, v[40:41], off
	v_mov_b32_e32 v55, v35
	v_mov_b32_e32 v43, v35
	s_waitcnt lgkmcnt(0)
	v_mov_b32_e32 v45, v35
	v_mov_b32_e32 v47, v35
	;; [unrolled: 1-line block ×13, first 2 shown]
	s_waitcnt vmcnt(0)
	v_mad_i64_i32 v[84:85], s[8:9], v59, s41, 0
	v_lshl_add_u64 v[84:85], v[84:85], 2, v[36:37]
	v_lshl_add_u64 v[86:87], v[84:85], 0, v[34:35]
	;; [unrolled: 1-line block ×10, first 2 shown]
	global_load_dword v43, v[86:87], off
	global_load_dword v45, v[86:87], off offset:256
	global_load_dword v47, v[86:87], off offset:512
	global_load_dword v49, v[86:87], off offset:768
	global_load_dword v51, v[86:87], off offset:1024
	global_load_dword v53, v[86:87], off offset:1280
	global_load_dword v55, v[86:87], off offset:1536
	global_load_dword v57, v[86:87], off offset:1792
	global_load_dword v83, v[86:87], off offset:2048
	global_load_dword v104, v[86:87], off offset:2304
	global_load_dword v105, v[86:87], off offset:2560
	global_load_dword v106, v[86:87], off offset:2816
	global_load_dword v107, v[86:87], off offset:3072
	global_load_dword v108, v[86:87], off offset:3328
	global_load_dword v109, v[86:87], off offset:3584
	global_load_dword v110, v[86:87], off offset:3840
	global_load_dword v111, v[88:89], off
	global_load_dword v112, v[90:91], off
	;; [unrolled: 1-line block ×6, first 2 shown]
	s_nop 0
	global_load_dword v100, v[100:101], off
	s_nop 0
	global_load_dword v101, v[102:103], off
	v_mov_b32_e32 v59, v35
	v_lshl_add_u64 v[86:87], v[84:85], 0, v[58:59]
	v_lshl_add_u64 v[88:89], v[84:85], 0, v[60:61]
	;; [unrolled: 1-line block ×8, first 2 shown]
	global_load_dword v59, v[86:87], off
	global_load_dword v61, v[88:89], off
	;; [unrolled: 1-line block ×8, first 2 shown]
	s_waitcnt vmcnt(30) lgkmcnt(7)
	v_mul_f32_e32 v45, v3, v45
	v_fmac_f32_e32 v45, v2, v43
	s_waitcnt vmcnt(29)
	v_fmac_f32_e32 v45, v4, v47
	s_waitcnt vmcnt(28)
	v_fmac_f32_e32 v45, v5, v49
	s_waitcnt vmcnt(27) lgkmcnt(6)
	v_fmac_f32_e32 v45, v6, v51
	s_waitcnt vmcnt(26)
	v_fmac_f32_e32 v45, v7, v53
	s_waitcnt vmcnt(25)
	v_fmac_f32_e32 v45, v8, v55
	s_waitcnt vmcnt(24)
	v_fmac_f32_e32 v45, v9, v57
	s_waitcnt vmcnt(23) lgkmcnt(5)
	v_fmac_f32_e32 v45, v10, v83
	s_waitcnt vmcnt(22)
	;; [unrolled: 8-line block ×7, first 2 shown]
	v_fmac_f32_e32 v45, v31, v69
	s_waitcnt vmcnt(1)
	v_fmac_f32_e32 v45, v32, v71
	s_waitcnt vmcnt(0)
	v_fmac_f32_e32 v45, v33, v73
	ds_bpermute_b32 v43, v1, v45
	s_waitcnt lgkmcnt(0)
	v_add_f32_e32 v43, v45, v43
	ds_bpermute_b32 v45, v77, v43
	s_waitcnt lgkmcnt(0)
	v_add_f32_e32 v43, v43, v45
	ds_bpermute_b32 v45, v78, v43
	s_and_saveexec_b64 s[38:39], vcc
	s_cbranch_execz .LBB26_10
; %bb.12:                               ;   in Loop: Header=BB26_11 Depth=1
	v_add_u32_e32 v47, s19, v80
	v_cvt_f32_i32_e32 v47, v47
	s_waitcnt lgkmcnt(0)
	v_add_f32_e32 v43, v43, v45
	v_cmp_gt_i32_e64 s[8:9], s33, v80
	v_max_f32_e32 v45, v79, v79
	v_mul_f32_e32 v47, s3, v47
	v_cndmask_b32_e64 v47, 0, v47, s[6:7]
	v_fmac_f32_e32 v47, s11, v43
	v_cndmask_b32_e64 v43, 0, v47, s[8:9]
	ds_write_b32 v81, v43
	v_max_f32_e32 v43, v45, v47
	v_cndmask_b32_e64 v79, v79, v43, s[8:9]
	s_branch .LBB26_10
.LBB26_13:
	s_or_b64 exec, exec, s[12:13]
.LBB26_14:
	s_or_b64 exec, exec, s[36:37]
	v_xor_b32_e32 v1, 32, v75
	v_cmp_lt_i32_e32 vcc, v1, v76
	v_xor_b32_e32 v4, 16, v75
	v_max_f32_e32 v2, v79, v79
	v_cndmask_b32_e32 v1, v75, v1, vcc
	v_lshlrev_b32_e32 v3, 2, v1
	ds_bpermute_b32 v1, v3, v79
	v_cmp_lt_i32_e32 vcc, v4, v76
	v_xor_b32_e32 v5, 8, v75
	s_waitcnt lgkmcnt(0)
	v_max_f32_e32 v1, v1, v1
	v_max_f32_e32 v1, v2, v1
	v_cndmask_b32_e32 v2, v75, v4, vcc
	v_lshlrev_b32_e32 v6, 2, v2
	ds_bpermute_b32 v2, v6, v1
	v_cmp_lt_i32_e32 vcc, v5, v76
	s_waitcnt lgkmcnt(0)
	v_max_f32_e32 v2, v2, v2
	v_max_f32_e32 v4, v1, v2
	v_cndmask_b32_e32 v1, v75, v5, vcc
	v_lshlrev_b32_e32 v7, 2, v1
	ds_bpermute_b32 v5, v7, v4
	v_and_b32_e32 v1, 63, v0
	v_cmp_eq_u32_e32 vcc, 0, v1
	v_lshlrev_b32_e32 v2, 2, v74
	s_and_saveexec_b64 s[6:7], vcc
	s_cbranch_execz .LBB26_16
; %bb.15:
	s_waitcnt lgkmcnt(0)
	v_max_f32_e32 v5, v5, v5
	v_max_f32_e32 v4, v4, v4
	;; [unrolled: 1-line block ×3, first 2 shown]
	ds_write_b32 v2, v4 offset:1024
.LBB26_16:
	s_or_b64 exec, exec, s[6:7]
	v_cmp_gt_u32_e64 s[6:7], 2, v1
	v_mov_b32_e32 v4, 0xff7fffff
	s_waitcnt lgkmcnt(0)
	v_lshlrev_b32_e32 v5, 2, v1
	s_barrier
	s_and_saveexec_b64 s[8:9], s[6:7]
	s_cbranch_execz .LBB26_18
; %bb.17:
	ds_read_b32 v4, v5 offset:1024
.LBB26_18:
	s_or_b64 exec, exec, s[8:9]
	v_xor_b32_e32 v8, 1, v75
	v_cmp_lt_i32_e64 s[8:9], v8, v76
	s_sub_i32 s3, s16, s10
	s_lshl_b32 s3, s3, 3
	v_cndmask_b32_e64 v8, v75, v8, s[8:9]
	v_lshlrev_b32_e32 v60, 2, v8
	s_waitcnt lgkmcnt(0)
	ds_bpermute_b32 v8, v60, v4
	v_max_f32_e32 v4, v4, v4
	s_add_i32 s3, s3, s40
	s_min_i32 s19, s3, s33
	s_sub_i32 s3, s19, s40
	s_waitcnt lgkmcnt(0)
	v_max_f32_e32 v8, v8, v8
	v_max_f32_e32 v4, v4, v8
	v_lshlrev_b32_e32 v8, 2, v75
	v_and_b32_e32 v8, 0xffffff00, v8
	ds_bpermute_b32 v4, v8, v4
	v_cmp_gt_i32_e64 s[8:9], s3, v0
	v_mov_b32_e32 v9, 0
	s_and_saveexec_b64 s[12:13], s[8:9]
	s_cbranch_execz .LBB26_22
; %bb.19:
	v_mov_b32_e32 v9, 0x410
	v_lshl_add_u32 v10, v0, 2, v9
	s_mov_b64 s[36:37], 0
	v_mov_b32_e32 v9, 0
	v_mov_b32_e32 v11, v0
.LBB26_20:                              ; =>This Inner Loop Header: Depth=1
	ds_read_b32 v12, v10
	v_add_u32_e32 v11, 0x80, v11
	v_cmp_le_i32_e64 s[10:11], s3, v11
	s_or_b64 s[36:37], s[10:11], s[36:37]
	s_waitcnt lgkmcnt(0)
	v_sub_f32_e32 v12, v12, v4
	v_mul_f32_e32 v12, 0x3fb8aa3b, v12
	v_exp_f32_e32 v12, v12
	ds_write_b32 v10, v12
	v_add_f32_e32 v9, v9, v12
	v_add_u32_e32 v10, 0x200, v10
	s_andn2_b64 exec, exec, s[36:37]
	s_cbranch_execnz .LBB26_20
; %bb.21:
	s_or_b64 exec, exec, s[36:37]
.LBB26_22:
	s_or_b64 exec, exec, s[12:13]
	ds_bpermute_b32 v3, v3, v9
	s_waitcnt lgkmcnt(0)
	v_add_f32_e32 v3, v9, v3
	ds_bpermute_b32 v6, v6, v3
	s_waitcnt lgkmcnt(0)
	v_add_f32_e32 v3, v3, v6
	ds_bpermute_b32 v6, v7, v3
	v_xor_b32_e32 v7, 4, v75
	v_cmp_lt_i32_e64 s[10:11], v7, v76
	s_waitcnt lgkmcnt(0)
	v_add_f32_e32 v3, v3, v6
	v_cndmask_b32_e64 v7, v75, v7, s[10:11]
	v_lshlrev_b32_e32 v7, 2, v7
	ds_bpermute_b32 v6, v7, v3
	v_xor_b32_e32 v7, 2, v75
	v_cmp_lt_i32_e64 s[10:11], v7, v76
	s_waitcnt lgkmcnt(0)
	v_add_f32_e32 v3, v3, v6
	v_cndmask_b32_e64 v7, v75, v7, s[10:11]
	v_lshlrev_b32_e32 v6, 2, v7
	ds_bpermute_b32 v6, v6, v3
	s_waitcnt lgkmcnt(0)
	v_add_f32_e32 v3, v3, v6
	ds_bpermute_b32 v6, v60, v3
	s_waitcnt lgkmcnt(0)
	v_add_f32_e32 v3, v3, v6
	s_and_saveexec_b64 s[10:11], vcc
	s_cbranch_execz .LBB26_24
; %bb.23:
	ds_write_b32 v2, v3 offset:1032
.LBB26_24:
	s_or_b64 exec, exec, s[10:11]
	s_waitcnt lgkmcnt(0)
	s_barrier
	s_and_saveexec_b64 s[10:11], s[6:7]
	s_cbranch_execz .LBB26_26
; %bb.25:
	ds_read_b32 v3, v5 offset:1032
.LBB26_26:
	s_or_b64 exec, exec, s[10:11]
	s_waitcnt lgkmcnt(0)
	ds_bpermute_b32 v2, v60, v3
	s_waitcnt lgkmcnt(0)
	v_add_f32_e32 v2, v3, v2
	ds_bpermute_b32 v5, v8, v2
	s_and_saveexec_b64 s[6:7], s[8:9]
	s_cbranch_execz .LBB26_39
; %bb.27:
	s_waitcnt lgkmcnt(0)
	v_add_f32_e32 v2, 0x358637bd, v5
	v_div_scale_f32 v3, s[8:9], v2, v2, 1.0
	v_rcp_f32_e32 v6, v3
	v_div_scale_f32 v7, vcc, 1.0, v2, 1.0
	s_movk_i32 s8, 0x7f
	v_fma_f32 v8, -v3, v6, 1.0
	v_fmac_f32_e32 v6, v8, v6
	v_mul_f32_e32 v8, v7, v6
	v_fma_f32 v9, -v3, v8, v7
	v_fmac_f32_e32 v8, v9, v6
	v_fma_f32 v3, -v3, v8, v7
	v_div_fmas_f32 v3, v3, v6, v8
	v_div_fixup_f32 v2, v3, v2, 1.0
	v_xad_u32 v3, v0, -1, s19
	v_subrev_u32_e32 v6, s40, v3
	v_cmp_lt_u32_e32 vcc, s8, v6
	s_mov_b64 s[10:11], -1
	v_mov_b32_e32 v3, v0
	s_and_saveexec_b64 s[8:9], vcc
	s_cbranch_execz .LBB26_36
; %bb.28:
	v_lshrrev_b32_e32 v6, 7, v6
	v_add_u32_e32 v8, -1, v6
	v_lshrrev_b32_e32 v7, 1, v8
	v_mov_b32_e32 v3, v2
	v_add_u32_e32 v7, 1, v7
	v_cmp_lt_u32_e32 vcc, 13, v8
	v_mov_b32_e32 v10, 0
	s_and_saveexec_b64 s[10:11], vcc
	s_cbranch_execz .LBB26_32
; %bb.29:
	v_mov_b32_e32 v9, 0x410
	v_and_b32_e32 v8, -8, v7
	v_lshl_add_u32 v9, v0, 2, v9
	s_mov_b32 s19, 0
	s_mov_b64 s[12:13], 0
.LBB26_30:                              ; =>This Inner Loop Header: Depth=1
	ds_read2st64_b32 v[10:11], v9 offset1:2
	ds_read2st64_b32 v[12:13], v9 offset0:4 offset1:6
	ds_read2st64_b32 v[14:15], v9 offset0:8 offset1:10
	;; [unrolled: 1-line block ×3, first 2 shown]
	v_add_u32_e32 v8, -8, v8
	s_waitcnt lgkmcnt(3)
	v_pk_mul_f32 v[10:11], v[2:3], v[10:11]
	s_waitcnt lgkmcnt(2)
	v_pk_mul_f32 v[12:13], v[2:3], v[12:13]
	ds_write2st64_b32 v9, v10, v11 offset1:2
	ds_write2st64_b32 v9, v12, v13 offset0:4 offset1:6
	ds_read2st64_b32 v[12:13], v9 offset0:16 offset1:18
	s_waitcnt lgkmcnt(4)
	v_pk_mul_f32 v[10:11], v[2:3], v[14:15]
	ds_write2st64_b32 v9, v10, v11 offset0:8 offset1:10
	s_waitcnt lgkmcnt(4)
	v_pk_mul_f32 v[10:11], v[2:3], v[16:17]
	ds_write2st64_b32 v9, v10, v11 offset0:12 offset1:14
	ds_read2st64_b32 v[10:11], v9 offset0:20 offset1:22
	s_waitcnt lgkmcnt(3)
	v_pk_mul_f32 v[12:13], v[2:3], v[12:13]
	ds_read2st64_b32 v[14:15], v9 offset0:24 offset1:26
	ds_write2st64_b32 v9, v12, v13 offset0:16 offset1:18
	ds_read2st64_b32 v[12:13], v9 offset0:28 offset1:30
	s_waitcnt lgkmcnt(3)
	v_pk_mul_f32 v[10:11], v[2:3], v[10:11]
	ds_write2st64_b32 v9, v10, v11 offset0:20 offset1:22
	s_waitcnt lgkmcnt(3)
	v_pk_mul_f32 v[10:11], v[2:3], v[14:15]
	ds_write2st64_b32 v9, v10, v11 offset0:24 offset1:26
	s_waitcnt lgkmcnt(2)
	v_pk_mul_f32 v[10:11], v[2:3], v[12:13]
	s_add_i32 s19, s19, 16
	v_cmp_eq_u32_e32 vcc, 0, v8
	ds_write2st64_b32 v9, v10, v11 offset0:28 offset1:30
	v_add_u32_e32 v9, 0x2000, v9
	s_or_b64 s[12:13], vcc, s[12:13]
	v_mov_b32_e32 v10, s19
	s_andn2_b64 exec, exec, s[12:13]
	s_cbranch_execnz .LBB26_30
; %bb.31:
	s_or_b64 exec, exec, s[12:13]
.LBB26_32:
	s_or_b64 exec, exec, s[10:11]
	v_and_b32_e32 v7, 7, v7
	v_cmp_ne_u32_e32 vcc, 0, v7
	s_and_saveexec_b64 s[10:11], vcc
	s_cbranch_execz .LBB26_35
; %bb.33:
	v_lshlrev_b32_e32 v8, 9, v10
	v_lshlrev_b32_e32 v9, 2, v0
	s_movk_i32 s12, 0x410
	v_add3_u32 v8, v8, v9, s12
	s_mov_b64 s[12:13], 0
.LBB26_34:                              ; =>This Inner Loop Header: Depth=1
	ds_read2st64_b32 v[10:11], v8 offset1:2
	v_add_u32_e32 v7, -1, v7
	v_cmp_eq_u32_e32 vcc, 0, v7
	s_or_b64 s[12:13], vcc, s[12:13]
	s_waitcnt lgkmcnt(0)
	v_pk_mul_f32 v[10:11], v[2:3], v[10:11]
	ds_write2st64_b32 v8, v10, v11 offset1:2
	v_add_u32_e32 v8, 0x400, v8
	s_andn2_b64 exec, exec, s[12:13]
	s_cbranch_execnz .LBB26_34
.LBB26_35:
	s_or_b64 exec, exec, s[10:11]
	v_add_u32_e32 v6, 1, v6
	v_and_b32_e32 v7, 0x3fffffe, v6
	v_cmp_ne_u32_e32 vcc, v6, v7
	v_lshl_add_u32 v3, v7, 7, v0
	s_orn2_b64 s[10:11], vcc, exec
.LBB26_36:
	s_or_b64 exec, exec, s[8:9]
	s_and_b64 exec, exec, s[10:11]
	s_cbranch_execz .LBB26_39
; %bb.37:
	v_mov_b32_e32 v6, 0x410
	v_lshl_add_u32 v6, v3, 2, v6
	s_mov_b64 s[8:9], 0
.LBB26_38:                              ; =>This Inner Loop Header: Depth=1
	ds_read_b32 v7, v6
	v_add_u32_e32 v3, 0x80, v3
	v_cmp_le_i32_e32 vcc, s3, v3
	s_or_b64 s[8:9], vcc, s[8:9]
	s_waitcnt lgkmcnt(0)
	v_mul_f32_e32 v7, v2, v7
	ds_write_b32 v6, v7
	v_add_u32_e32 v6, 0x200, v6
	s_andn2_b64 exec, exec, s[8:9]
	s_cbranch_execnz .LBB26_38
.LBB26_39:
	s_or_b64 exec, exec, s[6:7]
	s_mul_i32 s3, s29, s28
	v_cmp_eq_u32_e32 vcc, 0, v0
	s_mul_i32 s6, s3, s5
	s_waitcnt lgkmcnt(0)
	s_barrier
	s_and_saveexec_b64 s[8:9], vcc
	s_cbranch_execz .LBB26_41
; %bb.40:
	s_ashr_i32 s7, s6, 31
	s_lshl_b64 s[10:11], s[6:7], 2
	s_add_u32 s5, s22, s10
	s_mul_i32 s2, s29, s2
	s_addc_u32 s7, s23, s11
	s_ashr_i32 s3, s2, 31
	s_lshl_b64 s[2:3], s[2:3], 2
	s_add_u32 s19, s5, s2
	s_addc_u32 s7, s7, s3
	s_ashr_i32 s5, s4, 31
	s_lshl_b64 s[12:13], s[4:5], 2
	s_add_u32 s22, s19, s12
	s_addc_u32 s23, s7, s13
	s_add_u32 s5, s20, s10
	s_addc_u32 s7, s21, s11
	s_add_u32 s2, s5, s2
	s_addc_u32 s3, s7, s3
	s_add_u32 s2, s2, s12
	v_mov_b32_e32 v2, 0
	s_addc_u32 s3, s3, s13
	global_store_dword v2, v4, s[22:23]
	global_store_dword v2, v5, s[2:3]
.LBB26_41:
	s_or_b64 exec, exec, s[8:9]
	v_mov_b32_e32 v41, 0
	v_and_b32_e32 v61, 1, v0
	v_mov_b32_e32 v40, 0
	v_mov_b32_e32 v43, 0
	;; [unrolled: 1-line block ×7, first 2 shown]
	s_and_saveexec_b64 s[2:3], s[0:1]
	s_cbranch_execz .LBB26_61
; %bb.42:
	s_ashr_i32 s19, s18, 31
	s_lshl_b64 s[0:1], s[18:19], 2
	v_lshlrev_b32_e32 v2, 2, v0
	s_add_u32 s8, s14, s0
	v_and_b32_e32 v3, 4, v2
	s_addc_u32 s9, s15, s1
	s_add_i32 s27, s27, -1
	v_lshl_add_u32 v5, v74, 3, s40
	s_lshl_b64 s[0:1], s[34:35], 2
	v_and_b32_e32 v2, 0xfc, v2
	v_add3_u32 v62, v5, v3, 3
	v_lshlrev_b32_e32 v3, 4, v61
	s_add_u32 s0, s30, s0
	v_mov_b32_e32 v49, 0
	v_or_b32_e32 v4, 0x400, v2
	v_or_b32_e32 v6, 0x500, v2
	;; [unrolled: 1-line block ×4, first 2 shown]
	v_lshl_or_b32 v3, v74, 5, v3
	s_addc_u32 s1, s31, s1
	s_mov_b32 s5, s17
	v_add_u32_e32 v63, 0x410, v3
	v_lshl_add_u64 v[50:51], v[38:39], 2, s[0:1]
	s_mov_b64 s[10:11], 0
	v_lshlrev_b32_e32 v52, 2, v2
	v_mov_b32_e32 v53, v49
	v_lshlrev_b32_e32 v48, 2, v4
	v_lshlrev_b32_e32 v54, 2, v6
	;; [unrolled: 1-line block ×4, first 2 shown]
	v_mov_b32_e32 v46, v49
	v_mov_b32_e32 v47, v49
	;; [unrolled: 1-line block ×8, first 2 shown]
	s_branch .LBB26_44
.LBB26_43:                              ;   in Loop: Header=BB26_44 Depth=1
	s_or_b64 exec, exec, s[0:1]
	s_waitcnt vmcnt(7) lgkmcnt(0)
	v_mul_f32_e32 v7, v3, v7
	v_fmac_f32_e32 v7, v2, v6
	s_waitcnt vmcnt(6)
	v_mul_f32_e32 v6, v3, v11
	v_fmac_f32_e32 v6, v2, v10
	v_fmac_f32_e32 v6, v4, v12
	v_fmac_f32_e32 v6, v5, v13
	v_add_f32_e32 v47, v47, v6
	s_waitcnt vmcnt(5)
	v_mul_f32_e32 v6, v3, v15
	v_fmac_f32_e32 v6, v2, v14
	v_fmac_f32_e32 v6, v4, v16
	v_fmac_f32_e32 v6, v5, v17
	v_add_f32_e32 v44, v44, v6
	s_waitcnt vmcnt(4)
	v_mul_f32_e32 v6, v3, v19
	v_fmac_f32_e32 v6, v2, v18
	v_fmac_f32_e32 v6, v4, v20
	v_fmac_f32_e32 v6, v5, v21
	v_add_f32_e32 v45, v45, v6
	s_waitcnt vmcnt(3)
	v_mul_f32_e32 v6, v3, v23
	v_fmac_f32_e32 v6, v2, v22
	v_fmac_f32_e32 v6, v4, v24
	v_fmac_f32_e32 v6, v5, v25
	v_add_f32_e32 v42, v42, v6
	s_waitcnt vmcnt(2)
	v_mul_f32_e32 v6, v3, v27
	v_fmac_f32_e32 v6, v2, v26
	v_fmac_f32_e32 v6, v4, v28
	v_fmac_f32_e32 v6, v5, v29
	v_add_f32_e32 v43, v43, v6
	s_waitcnt vmcnt(1)
	v_mul_f32_e32 v6, v3, v31
	s_waitcnt vmcnt(0)
	v_mul_f32_e32 v3, v3, v35
	v_fmac_f32_e32 v6, v2, v30
	v_fmac_f32_e32 v3, v2, v34
	;; [unrolled: 1-line block ×5, first 2 shown]
	v_add_u32_e32 v38, 2, v38
	v_fmac_f32_e32 v7, v5, v9
	v_fmac_f32_e32 v6, v5, v33
	;; [unrolled: 1-line block ×3, first 2 shown]
	v_cmp_le_i32_e32 vcc, s16, v38
	v_add_f32_e32 v46, v46, v7
	v_add_f32_e32 v40, v40, v6
	;; [unrolled: 1-line block ×3, first 2 shown]
	v_add_u32_e32 v62, 16, v62
	v_add_u32_e32 v63, 64, v63
	s_or_b64 s[10:11], vcc, s[10:11]
	v_lshl_add_u64 v[50:51], v[50:51], 0, 8
	s_andn2_b64 exec, exec, s[10:11]
	s_cbranch_execz .LBB26_60
.LBB26_44:                              ; =>This Inner Loop Header: Depth=1
	global_load_dword v2, v[50:51], off
	v_add_u32_e32 v39, -3, v62
	v_cmp_eq_u32_e32 vcc, s27, v38
	v_add_u32_e32 v65, -2, v62
	v_add_u32_e32 v64, -1, v62
	s_waitcnt vmcnt(0)
	v_mad_i64_i32 v[2:3], s[0:1], v2, s5, 0
	v_lshl_add_u64 v[34:35], v[2:3], 2, s[8:9]
	v_lshl_add_u64 v[18:19], v[34:35], 0, v[52:53]
	global_load_dwordx4 v[6:9], v[18:19], off
	ds_read_b128 v[2:5], v63
	s_and_saveexec_b64 s[12:13], vcc
	s_cbranch_execnz .LBB26_57
; %bb.45:                               ;   in Loop: Header=BB26_44 Depth=1
	s_or_b64 exec, exec, s[12:13]
	global_load_dwordx4 v[10:13], v[18:19], off offset:1024
	s_and_saveexec_b64 s[12:13], vcc
	s_cbranch_execnz .LBB26_58
.LBB26_46:                              ;   in Loop: Header=BB26_44 Depth=1
	s_or_b64 exec, exec, s[12:13]
	global_load_dwordx4 v[14:17], v[18:19], off offset:2048
	s_and_saveexec_b64 s[12:13], vcc
	s_cbranch_execnz .LBB26_59
.LBB26_47:                              ;   in Loop: Header=BB26_44 Depth=1
	s_or_b64 exec, exec, s[12:13]
	global_load_dwordx4 v[18:21], v[18:19], off offset:3072
	s_and_saveexec_b64 s[12:13], vcc
	s_cbranch_execz .LBB26_49
.LBB26_48:                              ;   in Loop: Header=BB26_44 Depth=1
	v_cmp_gt_i32_e64 s[0:1], s33, v39
	s_waitcnt vmcnt(0)
	s_nop 0
	v_cndmask_b32_e64 v18, 0, v18, s[0:1]
	v_cmp_gt_i32_e64 s[0:1], s33, v65
	s_nop 1
	v_cndmask_b32_e64 v19, 0, v19, s[0:1]
	v_cmp_gt_i32_e64 s[0:1], s33, v64
	s_nop 1
	v_cndmask_b32_e64 v20, 0, v20, s[0:1]
	v_cmp_gt_i32_e64 s[0:1], s33, v62
	s_nop 1
	v_cndmask_b32_e64 v21, 0, v21, s[0:1]
.LBB26_49:                              ;   in Loop: Header=BB26_44 Depth=1
	s_or_b64 exec, exec, s[12:13]
	v_lshl_add_u64 v[22:23], v[34:35], 0, v[48:49]
	global_load_dwordx4 v[22:25], v[22:23], off
	s_and_saveexec_b64 s[12:13], vcc
	s_cbranch_execz .LBB26_51
; %bb.50:                               ;   in Loop: Header=BB26_44 Depth=1
	v_cmp_gt_i32_e64 s[0:1], s33, v39
	s_waitcnt vmcnt(0)
	s_nop 0
	v_cndmask_b32_e64 v22, 0, v22, s[0:1]
	v_cmp_gt_i32_e64 s[0:1], s33, v65
	s_nop 1
	v_cndmask_b32_e64 v23, 0, v23, s[0:1]
	v_cmp_gt_i32_e64 s[0:1], s33, v64
	s_nop 1
	v_cndmask_b32_e64 v24, 0, v24, s[0:1]
	v_cmp_gt_i32_e64 s[0:1], s33, v62
	s_nop 1
	v_cndmask_b32_e64 v25, 0, v25, s[0:1]
.LBB26_51:                              ;   in Loop: Header=BB26_44 Depth=1
	s_or_b64 exec, exec, s[12:13]
	v_mov_b32_e32 v55, v49
	v_lshl_add_u64 v[26:27], v[34:35], 0, v[54:55]
	global_load_dwordx4 v[26:29], v[26:27], off
	s_and_saveexec_b64 s[12:13], vcc
	s_cbranch_execz .LBB26_53
; %bb.52:                               ;   in Loop: Header=BB26_44 Depth=1
	v_cmp_gt_i32_e64 s[0:1], s33, v39
	s_waitcnt vmcnt(0)
	s_nop 0
	v_cndmask_b32_e64 v26, 0, v26, s[0:1]
	v_cmp_gt_i32_e64 s[0:1], s33, v65
	s_nop 1
	v_cndmask_b32_e64 v27, 0, v27, s[0:1]
	v_cmp_gt_i32_e64 s[0:1], s33, v64
	s_nop 1
	v_cndmask_b32_e64 v28, 0, v28, s[0:1]
	v_cmp_gt_i32_e64 s[0:1], s33, v62
	s_nop 1
	v_cndmask_b32_e64 v29, 0, v29, s[0:1]
.LBB26_53:                              ;   in Loop: Header=BB26_44 Depth=1
	s_or_b64 exec, exec, s[12:13]
	v_mov_b32_e32 v57, v49
	;; [unrolled: 21-line block ×3, first 2 shown]
	v_lshl_add_u64 v[34:35], v[34:35], 0, v[58:59]
	global_load_dwordx4 v[34:37], v[34:35], off
	s_and_saveexec_b64 s[0:1], vcc
	s_cbranch_execz .LBB26_43
; %bb.56:                               ;   in Loop: Header=BB26_44 Depth=1
	v_cmp_gt_i32_e32 vcc, s33, v39
	s_waitcnt vmcnt(0)
	s_nop 0
	v_cndmask_b32_e32 v34, 0, v34, vcc
	v_cmp_gt_i32_e32 vcc, s33, v65
	s_nop 1
	v_cndmask_b32_e32 v35, 0, v35, vcc
	v_cmp_gt_i32_e32 vcc, s33, v64
	;; [unrolled: 3-line block ×3, first 2 shown]
	s_nop 1
	v_cndmask_b32_e32 v37, 0, v37, vcc
	s_branch .LBB26_43
.LBB26_57:                              ;   in Loop: Header=BB26_44 Depth=1
	v_cmp_gt_i32_e64 s[0:1], s33, v39
	s_waitcnt vmcnt(0)
	s_nop 0
	v_cndmask_b32_e64 v6, 0, v6, s[0:1]
	v_cmp_gt_i32_e64 s[0:1], s33, v65
	s_nop 1
	v_cndmask_b32_e64 v7, 0, v7, s[0:1]
	v_cmp_gt_i32_e64 s[0:1], s33, v64
	;; [unrolled: 3-line block ×3, first 2 shown]
	s_nop 1
	v_cndmask_b32_e64 v9, 0, v9, s[0:1]
	s_or_b64 exec, exec, s[12:13]
	global_load_dwordx4 v[10:13], v[18:19], off offset:1024
	s_and_saveexec_b64 s[12:13], vcc
	s_cbranch_execz .LBB26_46
.LBB26_58:                              ;   in Loop: Header=BB26_44 Depth=1
	v_cmp_gt_i32_e64 s[0:1], s33, v39
	s_waitcnt vmcnt(0)
	s_nop 0
	v_cndmask_b32_e64 v10, 0, v10, s[0:1]
	v_cmp_gt_i32_e64 s[0:1], s33, v65
	s_nop 1
	v_cndmask_b32_e64 v11, 0, v11, s[0:1]
	v_cmp_gt_i32_e64 s[0:1], s33, v64
	s_nop 1
	v_cndmask_b32_e64 v12, 0, v12, s[0:1]
	v_cmp_gt_i32_e64 s[0:1], s33, v62
	s_nop 1
	v_cndmask_b32_e64 v13, 0, v13, s[0:1]
	s_or_b64 exec, exec, s[12:13]
	global_load_dwordx4 v[14:17], v[18:19], off offset:2048
	s_and_saveexec_b64 s[12:13], vcc
	s_cbranch_execz .LBB26_47
.LBB26_59:                              ;   in Loop: Header=BB26_44 Depth=1
	v_cmp_gt_i32_e64 s[0:1], s33, v39
	s_waitcnt vmcnt(0)
	s_nop 0
	v_cndmask_b32_e64 v14, 0, v14, s[0:1]
	v_cmp_gt_i32_e64 s[0:1], s33, v65
	s_nop 1
	v_cndmask_b32_e64 v15, 0, v15, s[0:1]
	v_cmp_gt_i32_e64 s[0:1], s33, v64
	s_nop 1
	v_cndmask_b32_e64 v16, 0, v16, s[0:1]
	v_cmp_gt_i32_e64 s[0:1], s33, v62
	s_nop 1
	v_cndmask_b32_e64 v17, 0, v17, s[0:1]
	s_or_b64 exec, exec, s[12:13]
	global_load_dwordx4 v[18:21], v[18:19], off offset:3072
	s_and_saveexec_b64 s[12:13], vcc
	s_cbranch_execnz .LBB26_48
	s_branch .LBB26_49
.LBB26_60:
	s_or_b64 exec, exec, s[10:11]
.LBB26_61:
	s_or_b64 exec, exec, s[2:3]
	ds_bpermute_b32 v2, v60, v46
	ds_bpermute_b32 v3, v60, v47
	;; [unrolled: 1-line block ×8, first 2 shown]
	s_waitcnt lgkmcnt(6)
	v_pk_add_f32 v[6:7], v[46:47], v[2:3]
	s_waitcnt lgkmcnt(4)
	v_pk_add_f32 v[2:3], v[42:43], v[8:9]
	;; [unrolled: 2-line block ×3, first 2 shown]
	v_and_b32_e32 v10, 0x3c1, v0
	s_waitcnt lgkmcnt(0)
	v_pk_add_f32 v[4:5], v[44:45], v[4:5]
	v_cmp_eq_u32_e32 vcc, 64, v10
	s_barrier
	s_and_saveexec_b64 s[0:1], vcc
	s_cbranch_execz .LBB26_63
; %bb.62:
	v_mov_b32_e32 v11, 0x410
	v_lshl_add_u32 v1, v1, 1, v11
	ds_write2_b32 v1, v6, v7 offset1:32
	ds_write2_b32 v1, v4, v5 offset0:64 offset1:96
	ds_write2_b32 v1, v2, v3 offset0:128 offset1:160
	;; [unrolled: 1-line block ×3, first 2 shown]
.LBB26_63:
	s_or_b64 exec, exec, s[0:1]
	v_cmp_gt_u32_e32 vcc, 64, v0
	s_waitcnt lgkmcnt(0)
	s_barrier
	s_and_saveexec_b64 s[0:1], vcc
	s_cbranch_execz .LBB26_74
; %bb.64:
	v_cmp_eq_u32_e32 vcc, 0, v61
	v_lshrrev_b32_e32 v1, 1, v0
	s_and_saveexec_b64 s[2:3], vcc
	s_cbranch_execnz .LBB26_77
; %bb.65:
	s_or_b64 exec, exec, s[2:3]
	s_and_saveexec_b64 s[2:3], vcc
	s_cbranch_execnz .LBB26_78
.LBB26_66:
	s_or_b64 exec, exec, s[2:3]
	s_and_saveexec_b64 s[2:3], vcc
	s_cbranch_execnz .LBB26_79
.LBB26_67:
	s_or_b64 exec, exec, s[2:3]
	s_and_saveexec_b64 s[2:3], vcc
	s_cbranch_execnz .LBB26_80
.LBB26_68:
	s_or_b64 exec, exec, s[2:3]
	s_and_saveexec_b64 s[2:3], vcc
	s_cbranch_execnz .LBB26_81
.LBB26_69:
	s_or_b64 exec, exec, s[2:3]
	s_and_saveexec_b64 s[2:3], vcc
	s_cbranch_execnz .LBB26_82
.LBB26_70:
	s_or_b64 exec, exec, s[2:3]
	s_and_saveexec_b64 s[2:3], vcc
	s_cbranch_execnz .LBB26_83
.LBB26_71:
	s_or_b64 exec, exec, s[2:3]
	s_and_saveexec_b64 s[2:3], vcc
	s_cbranch_execz .LBB26_73
.LBB26_72:
	v_mov_b32_e32 v11, 0x410
	v_lshl_add_u32 v1, v1, 2, v11
	ds_read_b32 v1, v1 offset:896
	s_waitcnt lgkmcnt(0)
	v_add_f32_e32 v9, v9, v1
.LBB26_73:
	s_or_b64 exec, exec, s[2:3]
.LBB26_74:
	s_or_b64 exec, exec, s[0:1]
	v_cmp_eq_u32_e32 vcc, 0, v10
	s_barrier
	s_and_saveexec_b64 s[0:1], vcc
	s_cbranch_execz .LBB26_76
; %bb.75:
	s_lshl_b32 s0, s6, 8
	s_ashr_i32 s1, s0, 31
	s_lshl_b64 s[0:1], s[0:1], 2
	s_add_u32 s2, s24, s0
	s_mul_i32 s0, s29, s26
	s_addc_u32 s3, s25, s1
	s_ashr_i32 s1, s0, 31
	s_lshl_b64 s[0:1], s[0:1], 2
	s_add_u32 s2, s2, s0
	s_addc_u32 s3, s3, s1
	s_lshl_b32 s0, s4, 8
	s_ashr_i32 s1, s0, 31
	s_lshl_b64 s[0:1], s[0:1], 2
	s_add_u32 s0, s2, s0
	s_addc_u32 s1, s3, s1
	v_lshlrev_b32_e32 v0, 1, v0
	global_store_dword v0, v6, s[0:1]
	global_store_dword v0, v7, s[0:1] offset:128
	global_store_dword v0, v4, s[0:1] offset:256
	;; [unrolled: 1-line block ×7, first 2 shown]
.LBB26_76:
	s_endpgm
.LBB26_77:
	v_mov_b32_e32 v11, 0x410
	v_lshl_add_u32 v11, v1, 2, v11
	ds_read_b32 v11, v11
	s_waitcnt lgkmcnt(0)
	v_add_f32_e32 v6, v6, v11
	s_or_b64 exec, exec, s[2:3]
	s_and_saveexec_b64 s[2:3], vcc
	s_cbranch_execz .LBB26_66
.LBB26_78:
	v_mov_b32_e32 v11, 0x410
	v_lshl_add_u32 v11, v1, 2, v11
	ds_read_b32 v11, v11 offset:128
	s_waitcnt lgkmcnt(0)
	v_add_f32_e32 v7, v7, v11
	s_or_b64 exec, exec, s[2:3]
	s_and_saveexec_b64 s[2:3], vcc
	s_cbranch_execz .LBB26_67
.LBB26_79:
	v_mov_b32_e32 v11, 0x410
	v_lshl_add_u32 v11, v1, 2, v11
	ds_read_b32 v11, v11 offset:256
	s_waitcnt lgkmcnt(0)
	v_add_f32_e32 v4, v4, v11
	s_or_b64 exec, exec, s[2:3]
	s_and_saveexec_b64 s[2:3], vcc
	s_cbranch_execz .LBB26_68
.LBB26_80:
	v_mov_b32_e32 v11, 0x410
	v_lshl_add_u32 v11, v1, 2, v11
	ds_read_b32 v11, v11 offset:384
	s_waitcnt lgkmcnt(0)
	v_add_f32_e32 v5, v5, v11
	s_or_b64 exec, exec, s[2:3]
	s_and_saveexec_b64 s[2:3], vcc
	s_cbranch_execz .LBB26_69
.LBB26_81:
	v_mov_b32_e32 v11, 0x410
	v_lshl_add_u32 v11, v1, 2, v11
	ds_read_b32 v11, v11 offset:512
	s_waitcnt lgkmcnt(0)
	v_add_f32_e32 v2, v2, v11
	s_or_b64 exec, exec, s[2:3]
	s_and_saveexec_b64 s[2:3], vcc
	s_cbranch_execz .LBB26_70
.LBB26_82:
	v_mov_b32_e32 v11, 0x410
	v_lshl_add_u32 v11, v1, 2, v11
	ds_read_b32 v11, v11 offset:640
	s_waitcnt lgkmcnt(0)
	v_add_f32_e32 v3, v3, v11
	s_or_b64 exec, exec, s[2:3]
	s_and_saveexec_b64 s[2:3], vcc
	s_cbranch_execz .LBB26_71
.LBB26_83:
	v_mov_b32_e32 v11, 0x410
	v_lshl_add_u32 v11, v1, 2, v11
	ds_read_b32 v11, v11 offset:768
	s_waitcnt lgkmcnt(0)
	v_add_f32_e32 v8, v8, v11
	s_or_b64 exec, exec, s[2:3]
	s_and_saveexec_b64 s[2:3], vcc
	s_cbranch_execnz .LBB26_72
	s_branch .LBB26_73
	.section	.rodata,"a",@progbits
	.p2align	6, 0x0
	.amdhsa_kernel _ZN4vllm25paged_attention_v2_kernelIffLi256ELi8ELi128ELNS_18Fp8KVCacheDataTypeE0ELb0ELi512EEEvPfS2_PT_PKS3_PKT0_S9_ifPKiSB_iPKfiiiSD_SD_iiiii
		.amdhsa_group_segment_fixed_size 1040
		.amdhsa_private_segment_fixed_size 0
		.amdhsa_kernarg_size 400
		.amdhsa_user_sgpr_count 2
		.amdhsa_user_sgpr_dispatch_ptr 0
		.amdhsa_user_sgpr_queue_ptr 0
		.amdhsa_user_sgpr_kernarg_segment_ptr 1
		.amdhsa_user_sgpr_dispatch_id 0
		.amdhsa_user_sgpr_kernarg_preload_length 0
		.amdhsa_user_sgpr_kernarg_preload_offset 0
		.amdhsa_user_sgpr_private_segment_size 0
		.amdhsa_uses_dynamic_stack 0
		.amdhsa_enable_private_segment 0
		.amdhsa_system_sgpr_workgroup_id_x 1
		.amdhsa_system_sgpr_workgroup_id_y 1
		.amdhsa_system_sgpr_workgroup_id_z 1
		.amdhsa_system_sgpr_workgroup_info 0
		.amdhsa_system_vgpr_workitem_id 0
		.amdhsa_next_free_vgpr 117
		.amdhsa_next_free_sgpr 44
		.amdhsa_accum_offset 120
		.amdhsa_reserve_vcc 1
		.amdhsa_float_round_mode_32 0
		.amdhsa_float_round_mode_16_64 0
		.amdhsa_float_denorm_mode_32 3
		.amdhsa_float_denorm_mode_16_64 3
		.amdhsa_dx10_clamp 1
		.amdhsa_ieee_mode 1
		.amdhsa_fp16_overflow 0
		.amdhsa_tg_split 0
		.amdhsa_exception_fp_ieee_invalid_op 0
		.amdhsa_exception_fp_denorm_src 0
		.amdhsa_exception_fp_ieee_div_zero 0
		.amdhsa_exception_fp_ieee_overflow 0
		.amdhsa_exception_fp_ieee_underflow 0
		.amdhsa_exception_fp_ieee_inexact 0
		.amdhsa_exception_int_div_zero 0
	.end_amdhsa_kernel
	.section	.text._ZN4vllm25paged_attention_v2_kernelIffLi256ELi8ELi128ELNS_18Fp8KVCacheDataTypeE0ELb0ELi512EEEvPfS2_PT_PKS3_PKT0_S9_ifPKiSB_iPKfiiiSD_SD_iiiii,"axG",@progbits,_ZN4vllm25paged_attention_v2_kernelIffLi256ELi8ELi128ELNS_18Fp8KVCacheDataTypeE0ELb0ELi512EEEvPfS2_PT_PKS3_PKT0_S9_ifPKiSB_iPKfiiiSD_SD_iiiii,comdat
.Lfunc_end26:
	.size	_ZN4vllm25paged_attention_v2_kernelIffLi256ELi8ELi128ELNS_18Fp8KVCacheDataTypeE0ELb0ELi512EEEvPfS2_PT_PKS3_PKT0_S9_ifPKiSB_iPKfiiiSD_SD_iiiii, .Lfunc_end26-_ZN4vllm25paged_attention_v2_kernelIffLi256ELi8ELi128ELNS_18Fp8KVCacheDataTypeE0ELb0ELi512EEEvPfS2_PT_PKS3_PKT0_S9_ifPKiSB_iPKfiiiSD_SD_iiiii
                                        ; -- End function
	.section	.AMDGPU.csdata,"",@progbits
; Kernel info:
; codeLenInByte = 5856
; NumSgprs: 50
; NumVgprs: 117
; NumAgprs: 0
; TotalNumVgprs: 117
; ScratchSize: 0
; MemoryBound: 0
; FloatMode: 240
; IeeeMode: 1
; LDSByteSize: 1040 bytes/workgroup (compile time only)
; SGPRBlocks: 6
; VGPRBlocks: 14
; NumSGPRsForWavesPerEU: 50
; NumVGPRsForWavesPerEU: 117
; AccumOffset: 120
; Occupancy: 4
; WaveLimiterHint : 1
; COMPUTE_PGM_RSRC2:SCRATCH_EN: 0
; COMPUTE_PGM_RSRC2:USER_SGPR: 2
; COMPUTE_PGM_RSRC2:TRAP_HANDLER: 0
; COMPUTE_PGM_RSRC2:TGID_X_EN: 1
; COMPUTE_PGM_RSRC2:TGID_Y_EN: 1
; COMPUTE_PGM_RSRC2:TGID_Z_EN: 1
; COMPUTE_PGM_RSRC2:TIDIG_COMP_CNT: 0
; COMPUTE_PGM_RSRC3_GFX90A:ACCUM_OFFSET: 29
; COMPUTE_PGM_RSRC3_GFX90A:TG_SPLIT: 0
	.section	.text._ZN4vllm25paged_attention_v2_kernelIffLi32ELi16ELi128ELNS_18Fp8KVCacheDataTypeE0ELb1ELi512EEEvPfS2_PT_PKS3_PKT0_S9_ifPKiSB_iPKfiiiSD_SD_iiiii,"axG",@progbits,_ZN4vllm25paged_attention_v2_kernelIffLi32ELi16ELi128ELNS_18Fp8KVCacheDataTypeE0ELb1ELi512EEEvPfS2_PT_PKS3_PKT0_S9_ifPKiSB_iPKfiiiSD_SD_iiiii,comdat
	.protected	_ZN4vllm25paged_attention_v2_kernelIffLi32ELi16ELi128ELNS_18Fp8KVCacheDataTypeE0ELb1ELi512EEEvPfS2_PT_PKS3_PKT0_S9_ifPKiSB_iPKfiiiSD_SD_iiiii ; -- Begin function _ZN4vllm25paged_attention_v2_kernelIffLi32ELi16ELi128ELNS_18Fp8KVCacheDataTypeE0ELb1ELi512EEEvPfS2_PT_PKS3_PKT0_S9_ifPKiSB_iPKfiiiSD_SD_iiiii
	.globl	_ZN4vllm25paged_attention_v2_kernelIffLi32ELi16ELi128ELNS_18Fp8KVCacheDataTypeE0ELb1ELi512EEEvPfS2_PT_PKS3_PKT0_S9_ifPKiSB_iPKfiiiSD_SD_iiiii
	.p2align	8
	.type	_ZN4vllm25paged_attention_v2_kernelIffLi32ELi16ELi128ELNS_18Fp8KVCacheDataTypeE0ELb1ELi512EEEvPfS2_PT_PKS3_PKT0_S9_ifPKiSB_iPKfiiiSD_SD_iiiii,@function
_ZN4vllm25paged_attention_v2_kernelIffLi32ELi16ELi128ELNS_18Fp8KVCacheDataTypeE0ELb1ELi512EEEvPfS2_PT_PKS3_PKT0_S9_ifPKiSB_iPKfiiiSD_SD_iiiii: ; @_ZN4vllm25paged_attention_v2_kernelIffLi32ELi16ELi128ELNS_18Fp8KVCacheDataTypeE0ELb1ELi512EEEvPfS2_PT_PKS3_PKT0_S9_ifPKiSB_iPKfiiiSD_SD_iiiii
; %bb.0:
	s_load_dwordx2 s[6:7], s[0:1], 0x40
	s_mov_b32 s28, s3
	s_ashr_i32 s29, s3, 31
	s_lshl_b64 s[8:9], s[28:29], 2
	s_waitcnt lgkmcnt(0)
	s_add_u32 s6, s6, s8
	s_addc_u32 s7, s7, s9
	s_load_dword s29, s[6:7], 0x0
	s_lshl_b32 s50, s4, 9
	s_waitcnt lgkmcnt(0)
	s_cmp_ge_i32 s50, s29
	s_cbranch_scc1 .LBB27_67
; %bb.1:
	s_load_dword s5, s[0:1], 0x90
	s_load_dwordx2 s[38:39], s[0:1], 0x30
	s_waitcnt lgkmcnt(0)
	s_abs_i32 s7, s5
	s_abs_i32 s3, s38
	v_cvt_f32_u32_e32 v1, s3
	s_sub_i32 s8, 0, s3
	s_xor_b32 s6, s5, s38
	s_ashr_i32 s6, s6, 31
	v_rcp_iflag_f32_e32 v1, v1
	s_nop 0
	v_mul_f32_e32 v1, 0x4f7ffffe, v1
	v_cvt_u32_f32_e32 v1, v1
	s_nop 0
	v_readfirstlane_b32 s9, v1
	s_mul_i32 s8, s8, s9
	s_mul_hi_u32 s8, s9, s8
	s_add_i32 s9, s9, s8
	s_mul_hi_u32 s8, s7, s9
	s_mul_i32 s9, s8, s3
	s_sub_i32 s7, s7, s9
	s_add_i32 s10, s8, 1
	s_sub_i32 s9, s7, s3
	s_cmp_ge_u32 s7, s3
	s_cselect_b32 s8, s10, s8
	s_cselect_b32 s7, s9, s7
	s_add_i32 s9, s8, 1
	s_cmp_ge_u32 s7, s3
	s_cselect_b32 s3, s9, s8
	s_xor_b32 s3, s3, s6
	s_sub_i32 s11, s3, s6
	s_abs_i32 s8, s11
	v_cvt_f32_u32_e32 v1, s8
	s_load_dwordx2 s[6:7], s[0:1], 0x50
	s_sub_i32 s10, 0, s8
	s_abs_i32 s9, s2
	v_rcp_iflag_f32_e32 v1, v1
	s_mov_b32 s3, 0
	v_mul_f32_e32 v1, 0x4f7ffffe, v1
	v_cvt_u32_f32_e32 v1, v1
	s_nop 0
	v_readfirstlane_b32 s12, v1
	s_mul_i32 s10, s10, s12
	s_mul_hi_u32 s10, s12, s10
	s_add_i32 s12, s12, s10
	s_waitcnt lgkmcnt(0)
	s_cmp_eq_u64 s[6:7], 0
	s_mul_hi_u32 s10, s9, s12
	s_cbranch_scc1 .LBB27_3
; %bb.2:
	s_ashr_i32 s3, s2, 31
	s_lshl_b64 s[12:13], s[2:3], 2
	s_add_u32 s6, s6, s12
	s_addc_u32 s7, s7, s13
	s_load_dword s3, s[6:7], 0x0
.LBB27_3:
	s_load_dwordx4 s[12:15], s[0:1], 0x58
	v_lshrrev_b32_e32 v22, 2, v0
	s_ashr_i32 s16, s2, 31
	s_ashr_i32 s11, s11, 31
	v_and_b32_e32 v23, 3, v0
	s_lshl_b32 s24, s2, 5
	v_cmp_gt_u32_e32 vcc, 32, v0
	v_lshlrev_b32_e32 v6, 2, v0
	v_lshlrev_b32_e32 v1, 2, v22
	s_and_saveexec_b64 s[6:7], vcc
	s_cbranch_execz .LBB27_5
; %bb.4:
	s_load_dwordx2 s[18:19], s[0:1], 0x18
	s_waitcnt lgkmcnt(0)
	s_mul_i32 s20, s28, s12
	s_ashr_i32 s21, s20, 31
	s_lshl_b64 s[20:21], s[20:21], 2
	v_lshl_add_u32 v3, v23, 5, v1
	s_add_u32 s12, s18, s20
	s_addc_u32 s15, s19, s21
	s_ashr_i32 s25, s24, 31
	s_lshl_b64 s[18:19], s[24:25], 2
	s_add_u32 s18, s12, s18
	s_addc_u32 s19, s15, s19
	global_load_dword v2, v6, s[18:19]
	s_waitcnt vmcnt(0)
	ds_write_b32 v3, v2
.LBB27_5:
	s_or_b64 exec, exec, s[6:7]
	s_mul_i32 s7, s10, s8
	s_sub_i32 s7, s9, s7
	s_xor_b32 s6, s16, s11
	s_add_i32 s9, s10, 1
	s_sub_i32 s11, s7, s8
	s_load_dwordx4 s[16:19], s[0:1], 0x78
	s_cmp_ge_u32 s7, s8
	s_cselect_b32 s9, s9, s10
	s_cselect_b32 s7, s11, s7
	s_load_dword s11, s[0:1], 0x88
	s_add_i32 s10, s9, 1
	s_cmp_ge_u32 s7, s8
	s_cselect_b32 s7, s10, s9
	s_waitcnt lgkmcnt(0)
	s_abs_i32 s25, s19
	v_cvt_f32_u32_e32 v2, s25
	s_xor_b32 s7, s7, s6
	s_sub_i32 s8, s7, s6
	s_sub_i32 s6, 0, s25
	v_rcp_iflag_f32_e32 v2, v2
	s_add_i32 s12, s29, -1
	s_abs_i32 s9, s12
	v_mul_f32_e32 v2, 0x4f7ffffe, v2
	v_cvt_u32_f32_e32 v2, v2
	s_barrier
	v_readfirstlane_b32 s33, v2
	s_mul_i32 s6, s6, s33
	s_mul_hi_u32 s6, s33, s6
	s_add_i32 s33, s33, s6
	s_cmp_lt_i32 s11, 0
	s_mul_hi_u32 s10, s9, s33
	s_cbranch_scc0 .LBB27_7
; %bb.6:
	s_mul_i32 s6, s16, s38
	s_add_i32 s6, s8, s6
	s_mul_i32 s6, s6, s11
	s_sub_i32 s46, 1, s6
	s_mov_b64 s[6:7], 0
	s_branch .LBB27_8
.LBB27_7:
	s_mov_b64 s[6:7], -1
                                        ; implicit-def: $sgpr46
.LBB27_8:
	s_load_dwordx2 s[30:31], s[0:1], 0x38
	s_ashr_i32 s12, s12, 31
	s_andn2_b64 vcc, exec, s[6:7]
	s_ashr_i32 s19, s19, 31
	s_cbranch_vccnz .LBB27_10
; %bb.9:
	s_mul_i32 s6, s5, s16
	s_add_i32 s6, s6, s2
	s_mul_i32 s6, s6, s11
	s_add_i32 s46, s6, 1
.LBB27_10:
	s_load_dword s6, s[0:1], 0x48
	s_load_dwordx2 s[36:37], s[0:1], 0x28
	s_load_dword s16, s[0:1], 0x98
	s_load_dwordx4 s[20:23], s[0:1], 0x0
	s_load_dwordx2 s[26:27], s[0:1], 0x10
	s_mul_i32 s7, s10, s25
	s_waitcnt lgkmcnt(0)
	s_mul_i32 s34, s28, s6
	s_sub_i32 s7, s9, s7
	s_ashr_i32 s35, s34, 31
	s_xor_b32 s6, s12, s19
	s_add_i32 s9, s10, 1
	s_sub_i32 s11, s7, s25
	s_cmp_ge_u32 s7, s25
	s_cselect_b32 s9, s9, s10
	s_cselect_b32 s7, s11, s7
	s_add_i32 s10, s9, 1
	s_cmp_ge_u32 s7, s25
	s_cselect_b32 s7, s10, s9
	s_xor_b32 s7, s7, s6
	s_sub_i32 s49, s7, s6
	s_add_i32 s6, s29, 15
	s_ashr_i32 s7, s6, 31
	s_lshr_b32 s7, s7, 28
	s_add_i32 s6, s6, s7
	s_lshl_b32 s12, s4, 5
	s_ashr_i32 s48, s6, 4
	s_add_i32 s6, s12, 32
	v_lshrrev_b32_e32 v7, 6, v0
	s_min_i32 s47, s6, s48
	v_or_b32_e32 v14, s12, v7
	v_cmp_gt_i32_e64 s[6:7], s47, v14
	v_mov_b32_e32 v10, 0xff7fffff
	s_mul_i32 s14, s8, s14
	v_ashrrev_i32_e32 v15, 31, v14
	v_lshl_add_u32 v24, v7, 4, s50
	v_mbcnt_lo_u32_b32 v8, -1, 0
	s_and_saveexec_b64 s[40:41], s[6:7]
	s_cbranch_execz .LBB27_20
; %bb.11:
	s_load_dwordx2 s[0:1], s[0:1], 0x20
	s_ashr_i32 s15, s14, 31
	s_sub_i32 s38, s49, s17
	s_lshl_b64 s[8:9], s[14:15], 2
	v_bfe_u32 v9, v0, 2, 4
	s_waitcnt lgkmcnt(0)
	s_add_u32 s0, s0, s8
	s_addc_u32 s1, s1, s9
	s_abs_i32 s15, s18
	v_cvt_f32_u32_e32 v4, s15
	v_lshlrev_b32_e32 v2, 4, v9
	v_mov_b32_e32 v3, 0
	v_lshlrev_b32_e32 v10, 2, v9
	v_rcp_iflag_f32_e32 v11, v4
	v_lshl_add_u64 v[4:5], s[0:1], 0, v[2:3]
	v_lshlrev_b32_e32 v2, 2, v23
	v_lshl_add_u64 v[2:3], v[4:5], 0, v[2:3]
	v_mul_f32_e32 v4, 0x4f7ffffe, v11
	v_cvt_u32_f32_e32 v4, v4
	s_sub_i32 s8, 0, s15
	v_lshl_or_b32 v10, v7, 6, v10
	v_add_u32_e32 v16, 0x90, v10
	v_mul_lo_u32 v5, s8, v4
	s_lshl_b64 s[8:9], s[34:35], 2
	s_add_u32 s8, s30, s8
	v_subrev_u32_e32 v10, s29, v9
	v_mbcnt_hi_u32_b32 v19, -1, v8
	v_mul_hi_u32 v5, v4, v5
	s_addc_u32 s9, s31, s9
	v_add_u32_e32 v17, 1, v10
	v_and_b32_e32 v10, 64, v19
	v_cmp_eq_u32_e32 vcc, 0, v23
	s_mov_b32 s51, s13
	v_lshlrev_b32_e32 v11, 5, v23
	v_cmp_neq_f32_e64 s[0:1], s3, 0
	v_add_u32_e32 v12, v4, v5
	v_lshl_add_u64 v[4:5], v[14:15], 2, s[8:9]
	v_lshl_add_u32 v13, v7, 4, s50
	s_mov_b64 s[42:43], 0
	v_mov_b32_e32 v18, 0xff7fffff
	v_add_u32_e32 v20, 64, v10
	v_xor_b32_e32 v21, 2, v19
	v_xor_b32_e32 v25, 1, v19
	v_mov_b32_e32 v10, 0xff7fffff
	v_mov_b32_e32 v26, v14
	s_branch .LBB27_14
.LBB27_12:                              ;   in Loop: Header=BB27_14 Depth=1
	s_or_b64 exec, exec, s[44:45]
.LBB27_13:                              ;   in Loop: Header=BB27_14 Depth=1
	s_or_b64 exec, exec, s[10:11]
	v_add_u32_e32 v26, 2, v26
	v_cmp_le_i32_e64 s[8:9], s47, v26
	v_lshl_add_u64 v[4:5], v[4:5], 0, 8
	v_add_u32_e32 v13, 32, v13
	s_or_b64 s[42:43], s[8:9], s[42:43]
	v_add_u32_e32 v16, 0x80, v16
	s_andn2_b64 exec, exec, s[42:43]
	s_cbranch_execz .LBB27_19
.LBB27_14:                              ; =>This Inner Loop Header: Depth=1
	s_waitcnt lgkmcnt(0)
	v_sub_u32_e32 v28, 0, v13
	v_max_i32_e32 v28, v13, v28
	v_mul_hi_u32 v29, v28, s33
	v_mul_lo_u32 v30, v29, s25
	v_sub_u32_e32 v28, v28, v30
	v_add_u32_e32 v30, 1, v29
	v_cmp_le_u32_e64 s[8:9], s25, v28
	v_ashrrev_i32_e32 v27, 31, v13
	v_xor_b32_e32 v27, s19, v27
	v_cndmask_b32_e64 v29, v29, v30, s[8:9]
	v_subrev_u32_e32 v30, s25, v28
	v_cndmask_b32_e64 v28, v28, v30, s[8:9]
	v_add_u32_e32 v30, 1, v29
	v_cmp_le_u32_e64 s[8:9], s25, v28
	s_nop 1
	v_cndmask_b32_e64 v28, v29, v30, s[8:9]
	v_xor_b32_e32 v28, v28, v27
	v_sub_u32_e32 v27, v28, v27
	v_add_u32_e32 v28, s46, v27
	v_sub_u32_e32 v30, 0, v28
	v_ashrrev_i32_e32 v29, 31, v28
	v_max_i32_e32 v28, v28, v30
	v_mul_hi_u32 v30, v28, v12
	v_mul_lo_u32 v30, v30, s15
	v_sub_u32_e32 v28, v28, v30
	v_subrev_u32_e32 v30, s15, v28
	v_cmp_le_u32_e64 s[8:9], s15, v28
	v_cmp_ge_i32_e64 s[10:11], s38, v27
	s_nop 0
	v_cndmask_b32_e64 v28, v28, v30, s[8:9]
	v_subrev_u32_e32 v30, s15, v28
	v_cmp_le_u32_e64 s[8:9], s15, v28
	s_nop 1
	v_cndmask_b32_e64 v28, v28, v30, s[8:9]
	v_xor_b32_e32 v28, v28, v29
	v_sub_u32_e32 v28, v28, v29
	v_cmp_ne_u32_e64 s[8:9], 0, v28
	s_and_b64 s[8:9], s[8:9], s[10:11]
	s_and_b64 s[44:45], vcc, s[8:9]
	s_and_saveexec_b64 s[10:11], s[44:45]
	s_cbranch_execz .LBB27_16
; %bb.15:                               ;   in Loop: Header=BB27_14 Depth=1
	ds_write_b32 v16, v18
.LBB27_16:                              ;   in Loop: Header=BB27_14 Depth=1
	s_or_b64 exec, exec, s[10:11]
	s_xor_b64 s[8:9], s[8:9], -1
	s_and_saveexec_b64 s[10:11], s[8:9]
	s_cbranch_execz .LBB27_13
; %bb.17:                               ;   in Loop: Header=BB27_14 Depth=1
	global_load_dword v27, v[4:5], off
	s_waitcnt vmcnt(0)
	v_mad_i64_i32 v[28:29], s[8:9], v27, s51, 0
	v_lshl_add_u64 v[28:29], v[28:29], 2, v[2:3]
	global_load_dword v27, v[28:29], off offset:256
	global_load_dword v36, v[28:29], off
	global_load_dword v37, v[28:29], off offset:512
	global_load_dword v38, v[28:29], off offset:768
	;; [unrolled: 1-line block ×6, first 2 shown]
	ds_read_b128 v[28:31], v11
	ds_read_b128 v[32:35], v11 offset:16
	v_cmp_lt_i32_e64 s[8:9], v21, v20
	s_waitcnt vmcnt(7) lgkmcnt(1)
	v_mul_f32_e32 v27, v29, v27
	s_waitcnt vmcnt(6)
	v_fmac_f32_e32 v27, v28, v36
	s_waitcnt vmcnt(5)
	v_fmac_f32_e32 v27, v30, v37
	;; [unrolled: 2-line block ×3, first 2 shown]
	s_waitcnt vmcnt(3) lgkmcnt(0)
	v_fmac_f32_e32 v27, v32, v39
	s_waitcnt vmcnt(2)
	v_fmac_f32_e32 v27, v33, v40
	v_cndmask_b32_e64 v43, v19, v21, s[8:9]
	s_waitcnt vmcnt(1)
	v_fmac_f32_e32 v27, v34, v41
	v_lshlrev_b32_e32 v43, 2, v43
	s_waitcnt vmcnt(0)
	v_fmac_f32_e32 v27, v35, v42
	ds_bpermute_b32 v28, v43, v27
	v_cmp_lt_i32_e64 s[8:9], v25, v20
	s_waitcnt lgkmcnt(0)
	v_add_f32_e32 v27, v27, v28
	v_cndmask_b32_e64 v29, v19, v25, s[8:9]
	v_lshlrev_b32_e32 v29, 2, v29
	ds_bpermute_b32 v28, v29, v27
	s_and_saveexec_b64 s[44:45], vcc
	s_cbranch_execz .LBB27_12
; %bb.18:                               ;   in Loop: Header=BB27_14 Depth=1
	v_add_u32_e32 v29, v17, v13
	v_cvt_f32_i32_e32 v29, v29
	s_waitcnt lgkmcnt(0)
	v_add_f32_e32 v27, v27, v28
	v_add_u32_e32 v30, v9, v13
	v_cmp_gt_i32_e64 s[8:9], s29, v30
	v_mul_f32_e32 v28, s3, v29
	v_cndmask_b32_e64 v28, 0, v28, s[0:1]
	v_fmac_f32_e32 v28, s39, v27
	v_cndmask_b32_e64 v27, 0, v28, s[8:9]
	ds_write_b32 v16, v27
	v_max_f32_e32 v27, v10, v10
	v_max_f32_e32 v27, v27, v28
	v_cndmask_b32_e64 v10, v10, v27, s[8:9]
	s_branch .LBB27_12
.LBB27_19:
	s_or_b64 exec, exec, s[42:43]
.LBB27_20:
	s_or_b64 exec, exec, s[40:41]
	v_mbcnt_hi_u32_b32 v2, -1, v8
	v_and_b32_e32 v3, 64, v2
	v_add_u32_e32 v3, 64, v3
	v_xor_b32_e32 v4, 32, v2
	v_cmp_lt_i32_e32 vcc, v4, v3
	v_xor_b32_e32 v9, 16, v2
	v_max_f32_e32 v8, v10, v10
	v_cndmask_b32_e32 v4, v2, v4, vcc
	v_lshlrev_b32_e32 v5, 2, v4
	ds_bpermute_b32 v4, v5, v10
	v_cmp_lt_i32_e32 vcc, v9, v3
	v_xor_b32_e32 v10, 8, v2
	v_and_b32_e32 v25, 63, v0
	s_waitcnt lgkmcnt(0)
	v_max_f32_e32 v4, v4, v4
	v_max_f32_e32 v4, v8, v4
	v_cndmask_b32_e32 v8, v2, v9, vcc
	v_lshlrev_b32_e32 v8, 2, v8
	ds_bpermute_b32 v9, v8, v4
	v_cmp_lt_i32_e32 vcc, v10, v3
	s_waitcnt lgkmcnt(0)
	v_max_f32_e32 v9, v9, v9
	v_max_f32_e32 v4, v4, v9
	v_cndmask_b32_e32 v9, v2, v10, vcc
	v_lshlrev_b32_e32 v11, 2, v9
	ds_bpermute_b32 v9, v11, v4
	v_xor_b32_e32 v10, 4, v2
	v_cmp_lt_i32_e32 vcc, v10, v3
	s_waitcnt lgkmcnt(0)
	v_max_f32_e32 v9, v9, v9
	v_max_f32_e32 v4, v4, v9
	v_cndmask_b32_e32 v9, v2, v10, vcc
	v_lshlrev_b32_e32 v12, 2, v9
	ds_bpermute_b32 v10, v12, v4
	v_cmp_eq_u32_e32 vcc, 0, v25
	v_lshlrev_b32_e32 v9, 2, v7
	s_and_saveexec_b64 s[0:1], vcc
	s_cbranch_execz .LBB27_22
; %bb.21:
	s_waitcnt lgkmcnt(0)
	v_max_f32_e32 v10, v10, v10
	v_max_f32_e32 v4, v4, v4
	;; [unrolled: 1-line block ×3, first 2 shown]
	ds_write_b32 v9, v4 offset:128
.LBB27_22:
	s_or_b64 exec, exec, s[0:1]
	v_cmp_gt_u32_e64 s[0:1], 2, v25
	v_mov_b32_e32 v4, 0xff7fffff
	s_waitcnt lgkmcnt(0)
	v_lshlrev_b32_e32 v10, 2, v25
	s_barrier
	s_and_saveexec_b64 s[8:9], s[0:1]
	s_cbranch_execz .LBB27_24
; %bb.23:
	ds_read_b32 v4, v10 offset:128
.LBB27_24:
	s_or_b64 exec, exec, s[8:9]
	v_xor_b32_e32 v13, 1, v2
	v_cmp_lt_i32_e64 s[8:9], v13, v3
	s_sub_i32 s3, s47, s12
	s_lshl_b32 s3, s3, 4
	v_cndmask_b32_e64 v13, v2, v13, s[8:9]
	v_lshlrev_b32_e32 v26, 2, v13
	s_waitcnt lgkmcnt(0)
	ds_bpermute_b32 v13, v26, v4
	v_max_f32_e32 v4, v4, v4
	s_add_i32 s3, s3, s50
	s_min_i32 s15, s3, s29
	s_sub_i32 s3, s15, s50
	s_waitcnt lgkmcnt(0)
	v_max_f32_e32 v13, v13, v13
	v_max_f32_e32 v4, v4, v13
	v_lshlrev_b32_e32 v13, 2, v2
	v_and_b32_e32 v13, 0x100, v13
	ds_bpermute_b32 v4, v13, v4
	v_cmp_gt_i32_e64 s[8:9], s3, v0
	v_mov_b32_e32 v16, 0
	s_and_saveexec_b64 s[38:39], s[8:9]
	s_cbranch_execz .LBB27_28
; %bb.25:
	v_mov_b32_e32 v16, 0x90
	v_lshl_add_u32 v17, v0, 2, v16
	s_mov_b64 s[40:41], 0
	v_mov_b32_e32 v16, 0
	v_mov_b32_e32 v18, v0
.LBB27_26:                              ; =>This Inner Loop Header: Depth=1
	ds_read_b32 v19, v17
	v_add_u32_e32 v18, 0x80, v18
	v_cmp_le_i32_e64 s[10:11], s3, v18
	s_or_b64 s[40:41], s[10:11], s[40:41]
	s_waitcnt lgkmcnt(0)
	v_sub_f32_e32 v19, v19, v4
	v_mul_f32_e32 v19, 0x3fb8aa3b, v19
	v_exp_f32_e32 v19, v19
	ds_write_b32 v17, v19
	v_add_f32_e32 v16, v16, v19
	v_add_u32_e32 v17, 0x200, v17
	s_andn2_b64 exec, exec, s[40:41]
	s_cbranch_execnz .LBB27_26
; %bb.27:
	s_or_b64 exec, exec, s[40:41]
.LBB27_28:
	s_or_b64 exec, exec, s[38:39]
	ds_bpermute_b32 v5, v5, v16
	s_waitcnt lgkmcnt(0)
	v_add_f32_e32 v5, v16, v5
	ds_bpermute_b32 v8, v8, v5
	s_waitcnt lgkmcnt(0)
	v_add_f32_e32 v5, v5, v8
	ds_bpermute_b32 v8, v11, v5
	v_xor_b32_e32 v11, 2, v2
	v_cmp_lt_i32_e64 s[10:11], v11, v3
	s_waitcnt lgkmcnt(0)
	v_add_f32_e32 v5, v5, v8
	ds_bpermute_b32 v8, v12, v5
	v_cndmask_b32_e64 v2, v2, v11, s[10:11]
	v_lshlrev_b32_e32 v27, 2, v2
	s_waitcnt lgkmcnt(0)
	v_add_f32_e32 v3, v5, v8
	ds_bpermute_b32 v2, v27, v3
	s_waitcnt lgkmcnt(0)
	v_add_f32_e32 v2, v3, v2
	ds_bpermute_b32 v3, v26, v2
	s_waitcnt lgkmcnt(0)
	v_add_f32_e32 v2, v2, v3
	s_and_saveexec_b64 s[10:11], vcc
	s_cbranch_execz .LBB27_30
; %bb.29:
	ds_write_b32 v9, v2 offset:136
.LBB27_30:
	s_or_b64 exec, exec, s[10:11]
	s_waitcnt lgkmcnt(0)
	s_barrier
	s_and_saveexec_b64 s[10:11], s[0:1]
	s_cbranch_execz .LBB27_32
; %bb.31:
	ds_read_b32 v2, v10 offset:136
.LBB27_32:
	s_or_b64 exec, exec, s[10:11]
	s_waitcnt lgkmcnt(0)
	ds_bpermute_b32 v3, v26, v2
	s_waitcnt lgkmcnt(0)
	v_add_f32_e32 v2, v2, v3
	ds_bpermute_b32 v5, v13, v2
	s_and_saveexec_b64 s[0:1], s[8:9]
	s_cbranch_execz .LBB27_45
; %bb.33:
	s_waitcnt lgkmcnt(0)
	v_add_f32_e32 v2, 0x358637bd, v5
	v_div_scale_f32 v3, s[8:9], v2, v2, 1.0
	v_rcp_f32_e32 v8, v3
	v_div_scale_f32 v9, vcc, 1.0, v2, 1.0
	s_movk_i32 s8, 0x7f
	v_fma_f32 v10, -v3, v8, 1.0
	v_fmac_f32_e32 v8, v10, v8
	v_mul_f32_e32 v10, v9, v8
	v_fma_f32 v11, -v3, v10, v9
	v_fmac_f32_e32 v10, v11, v8
	v_fma_f32 v3, -v3, v10, v9
	v_div_fmas_f32 v3, v3, v8, v10
	v_div_fixup_f32 v2, v3, v2, 1.0
	v_xad_u32 v3, v0, -1, s15
	v_subrev_u32_e32 v8, s50, v3
	v_cmp_lt_u32_e32 vcc, s8, v8
	s_mov_b64 s[10:11], -1
	v_mov_b32_e32 v3, v0
	s_and_saveexec_b64 s[8:9], vcc
	s_cbranch_execz .LBB27_42
; %bb.34:
	v_lshrrev_b32_e32 v8, 7, v8
	v_add_u32_e32 v10, -1, v8
	v_lshrrev_b32_e32 v9, 1, v10
	v_mov_b32_e32 v3, v2
	v_add_u32_e32 v9, 1, v9
	v_cmp_lt_u32_e32 vcc, 13, v10
	v_mov_b32_e32 v12, 0
	s_and_saveexec_b64 s[10:11], vcc
	s_cbranch_execz .LBB27_38
; %bb.35:
	v_mov_b32_e32 v11, 0x90
	v_and_b32_e32 v10, -8, v9
	v_lshl_add_u32 v11, v0, 2, v11
	s_mov_b32 s15, 0
	s_mov_b64 s[38:39], 0
.LBB27_36:                              ; =>This Inner Loop Header: Depth=1
	ds_read2st64_b32 v[12:13], v11 offset1:2
	ds_read2st64_b32 v[16:17], v11 offset0:4 offset1:6
	ds_read2st64_b32 v[18:19], v11 offset0:8 offset1:10
	;; [unrolled: 1-line block ×3, first 2 shown]
	v_add_u32_e32 v10, -8, v10
	s_waitcnt lgkmcnt(3)
	v_pk_mul_f32 v[12:13], v[2:3], v[12:13]
	s_waitcnt lgkmcnt(2)
	v_pk_mul_f32 v[16:17], v[2:3], v[16:17]
	ds_write2st64_b32 v11, v12, v13 offset1:2
	ds_write2st64_b32 v11, v16, v17 offset0:4 offset1:6
	ds_read2st64_b32 v[16:17], v11 offset0:16 offset1:18
	s_waitcnt lgkmcnt(4)
	v_pk_mul_f32 v[12:13], v[2:3], v[18:19]
	ds_write2st64_b32 v11, v12, v13 offset0:8 offset1:10
	s_waitcnt lgkmcnt(4)
	v_pk_mul_f32 v[12:13], v[2:3], v[20:21]
	ds_write2st64_b32 v11, v12, v13 offset0:12 offset1:14
	ds_read2st64_b32 v[12:13], v11 offset0:20 offset1:22
	s_waitcnt lgkmcnt(3)
	v_pk_mul_f32 v[16:17], v[2:3], v[16:17]
	ds_read2st64_b32 v[18:19], v11 offset0:24 offset1:26
	ds_write2st64_b32 v11, v16, v17 offset0:16 offset1:18
	ds_read2st64_b32 v[16:17], v11 offset0:28 offset1:30
	s_waitcnt lgkmcnt(3)
	v_pk_mul_f32 v[12:13], v[2:3], v[12:13]
	ds_write2st64_b32 v11, v12, v13 offset0:20 offset1:22
	s_waitcnt lgkmcnt(3)
	v_pk_mul_f32 v[12:13], v[2:3], v[18:19]
	ds_write2st64_b32 v11, v12, v13 offset0:24 offset1:26
	s_waitcnt lgkmcnt(2)
	v_pk_mul_f32 v[12:13], v[2:3], v[16:17]
	s_add_i32 s15, s15, 16
	v_cmp_eq_u32_e32 vcc, 0, v10
	ds_write2st64_b32 v11, v12, v13 offset0:28 offset1:30
	v_add_u32_e32 v11, 0x2000, v11
	s_or_b64 s[38:39], vcc, s[38:39]
	v_mov_b32_e32 v12, s15
	s_andn2_b64 exec, exec, s[38:39]
	s_cbranch_execnz .LBB27_36
; %bb.37:
	s_or_b64 exec, exec, s[38:39]
.LBB27_38:
	s_or_b64 exec, exec, s[10:11]
	v_and_b32_e32 v9, 7, v9
	v_cmp_ne_u32_e32 vcc, 0, v9
	s_and_saveexec_b64 s[10:11], vcc
	s_cbranch_execz .LBB27_41
; %bb.39:
	v_lshlrev_b32_e32 v10, 9, v12
	s_movk_i32 s15, 0x90
	v_add3_u32 v10, v10, v6, s15
	s_mov_b64 s[38:39], 0
.LBB27_40:                              ; =>This Inner Loop Header: Depth=1
	ds_read2st64_b32 v[12:13], v10 offset1:2
	v_add_u32_e32 v9, -1, v9
	v_cmp_eq_u32_e32 vcc, 0, v9
	s_or_b64 s[38:39], vcc, s[38:39]
	s_waitcnt lgkmcnt(0)
	v_pk_mul_f32 v[12:13], v[2:3], v[12:13]
	ds_write2st64_b32 v10, v12, v13 offset1:2
	v_add_u32_e32 v10, 0x400, v10
	s_andn2_b64 exec, exec, s[38:39]
	s_cbranch_execnz .LBB27_40
.LBB27_41:
	s_or_b64 exec, exec, s[10:11]
	v_add_u32_e32 v8, 1, v8
	v_and_b32_e32 v9, 0x3fffffe, v8
	v_cmp_ne_u32_e32 vcc, v8, v9
	v_lshl_add_u32 v3, v9, 7, v0
	s_orn2_b64 s[10:11], vcc, exec
.LBB27_42:
	s_or_b64 exec, exec, s[8:9]
	s_and_b64 exec, exec, s[10:11]
	s_cbranch_execz .LBB27_45
; %bb.43:
	v_mov_b32_e32 v8, 0x90
	v_lshl_add_u32 v8, v3, 2, v8
	s_mov_b64 s[8:9], 0
.LBB27_44:                              ; =>This Inner Loop Header: Depth=1
	ds_read_b32 v9, v8
	v_add_u32_e32 v3, 0x80, v3
	v_cmp_le_i32_e32 vcc, s3, v3
	s_or_b64 s[8:9], vcc, s[8:9]
	s_waitcnt lgkmcnt(0)
	v_mul_f32_e32 v9, v2, v9
	ds_write_b32 v8, v9
	v_add_u32_e32 v8, 0x200, v8
	s_andn2_b64 exec, exec, s[8:9]
	s_cbranch_execnz .LBB27_44
.LBB27_45:
	s_or_b64 exec, exec, s[0:1]
	s_mul_i32 s0, s16, s28
	v_cmp_eq_u32_e32 vcc, 0, v0
	s_mul_i32 s8, s0, s5
	s_waitcnt lgkmcnt(0)
	s_barrier
	s_and_saveexec_b64 s[0:1], vcc
	s_cbranch_execz .LBB27_47
; %bb.46:
	s_ashr_i32 s9, s8, 31
	s_lshl_b64 s[10:11], s[8:9], 2
	s_add_u32 s5, s22, s10
	s_mul_i32 s2, s16, s2
	s_addc_u32 s9, s23, s11
	s_ashr_i32 s3, s2, 31
	s_lshl_b64 s[2:3], s[2:3], 2
	s_add_u32 s15, s5, s2
	s_addc_u32 s9, s9, s3
	s_ashr_i32 s5, s4, 31
	s_lshl_b64 s[4:5], s[4:5], 2
	s_add_u32 s22, s15, s4
	s_addc_u32 s23, s9, s5
	s_add_u32 s9, s20, s10
	s_addc_u32 s10, s21, s11
	;; [unrolled: 2-line block ×3, first 2 shown]
	s_add_u32 s2, s2, s4
	v_mov_b32_e32 v2, 0
	s_addc_u32 s3, s3, s5
	global_store_dword v2, v4, s[22:23]
	global_store_dword v2, v5, s[2:3]
.LBB27_47:
	s_or_b64 exec, exec, s[0:1]
	v_mov_b32_e32 v17, 0
	v_mov_b32_e32 v16, 0
	s_and_saveexec_b64 s[2:3], s[6:7]
	s_cbranch_execz .LBB27_57
; %bb.48:
	s_ashr_i32 s15, s14, 31
	s_sub_i32 s9, s49, s17
	s_lshl_b64 s[0:1], s[14:15], 2
	s_add_u32 s0, s36, s0
	s_addc_u32 s1, s37, s1
	s_abs_i32 s14, s18
	v_cvt_f32_u32_e32 v2, s14
	v_lshlrev_b32_e32 v3, 4, v0
	s_sub_i32 s4, 0, s14
	v_mov_b32_e32 v17, 0
	v_rcp_iflag_f32_e32 v2, v2
	v_and_b32_e32 v16, 0x3f0, v3
	s_add_i32 s48, s48, -1
	v_lshl_add_u64 v[18:19], s[0:1], 0, v[16:17]
	v_mul_f32_e32 v2, 0x4f7ffffe, v2
	v_cvt_u32_f32_e32 v2, v2
	s_lshl_b64 s[0:1], s[34:35], 2
	s_add_u32 s0, s30, s0
	s_addc_u32 s1, s31, s1
	v_mul_lo_u32 v3, s4, v2
	v_mul_hi_u32 v3, v2, v3
	v_add_u32_e32 v29, v2, v3
	v_lshlrev_b32_e32 v2, 4, v23
	v_lshl_or_b32 v2, v7, 6, v2
	v_and_b32_e32 v28, 12, v6
	v_lshl_add_u64 v[20:21], v[14:15], 2, s[0:1]
	v_add_u32_e32 v15, 0x90, v2
	s_mov_b64 s[4:5], 0
	v_mov_b32_e32 v16, v17
	s_branch .LBB27_51
.LBB27_49:                              ;   in Loop: Header=BB27_51 Depth=1
	s_or_b64 exec, exec, s[0:1]
	s_waitcnt vmcnt(1) lgkmcnt(0)
	v_mul_f32_e32 v7, v3, v7
	s_waitcnt vmcnt(0)
	v_mul_f32_e32 v3, v3, v11
	v_fmac_f32_e32 v7, v2, v6
	v_fmac_f32_e32 v3, v2, v10
	;; [unrolled: 1-line block ×6, first 2 shown]
	v_add_f32_e32 v16, v16, v7
	v_add_f32_e32 v17, v17, v3
.LBB27_50:                              ;   in Loop: Header=BB27_51 Depth=1
	s_or_b64 exec, exec, s[6:7]
	v_add_u32_e32 v14, 2, v14
	v_cmp_le_i32_e32 vcc, s47, v14
	v_lshl_add_u64 v[20:21], v[20:21], 0, 8
	v_add_u32_e32 v24, 32, v24
	s_or_b64 s[4:5], vcc, s[4:5]
	v_add_u32_e32 v15, 0x80, v15
	s_andn2_b64 exec, exec, s[4:5]
	s_cbranch_execz .LBB27_56
.LBB27_51:                              ; =>This Inner Loop Header: Depth=1
	v_sub_u32_e32 v3, 0, v24
	v_max_i32_e32 v3, v24, v3
	v_mul_hi_u32 v4, v3, s33
	v_mul_lo_u32 v5, v4, s25
	v_sub_u32_e32 v3, v3, v5
	v_add_u32_e32 v5, 1, v4
	v_cmp_le_u32_e32 vcc, s25, v3
	v_ashrrev_i32_e32 v2, 31, v24
	v_xor_b32_e32 v2, s19, v2
	v_cndmask_b32_e32 v4, v4, v5, vcc
	v_subrev_u32_e32 v5, s25, v3
	v_cndmask_b32_e32 v3, v3, v5, vcc
	v_add_u32_e32 v5, 1, v4
	v_cmp_le_u32_e32 vcc, s25, v3
	s_nop 1
	v_cndmask_b32_e32 v3, v4, v5, vcc
	v_xor_b32_e32 v3, v3, v2
	v_sub_u32_e32 v2, v3, v2
	v_add_u32_e32 v3, s46, v2
	v_sub_u32_e32 v5, 0, v3
	v_ashrrev_i32_e32 v4, 31, v3
	v_max_i32_e32 v3, v3, v5
	v_mul_hi_u32 v5, v3, v29
	v_mul_lo_u32 v5, v5, s14
	v_sub_u32_e32 v3, v3, v5
	v_subrev_u32_e32 v5, s14, v3
	v_cmp_le_u32_e32 vcc, s14, v3
	v_cmp_lt_i32_e64 s[0:1], s9, v2
	s_nop 0
	v_cndmask_b32_e32 v3, v3, v5, vcc
	v_subrev_u32_e32 v5, s14, v3
	v_cmp_le_u32_e32 vcc, s14, v3
	s_nop 1
	v_cndmask_b32_e32 v3, v3, v5, vcc
	v_xor_b32_e32 v3, v3, v4
	v_sub_u32_e32 v3, v3, v4
	v_cmp_eq_u32_e32 vcc, 0, v3
	s_or_b64 s[0:1], vcc, s[0:1]
	s_and_saveexec_b64 s[6:7], s[0:1]
	s_cbranch_execz .LBB27_50
; %bb.52:                               ;   in Loop: Header=BB27_51 Depth=1
	global_load_dword v2, v[20:21], off
	v_add_u32_e32 v30, v28, v24
	v_cmp_eq_u32_e32 vcc, s48, v14
	v_add_u32_e32 v33, 1, v30
	v_add_u32_e32 v32, 2, v30
	;; [unrolled: 1-line block ×3, first 2 shown]
	s_waitcnt vmcnt(0)
	v_mad_i64_i32 v[2:3], s[0:1], v2, s13, 0
	v_lshl_add_u64 v[10:11], v[2:3], 2, v[18:19]
	global_load_dwordx4 v[6:9], v[10:11], off
	ds_read_b128 v[2:5], v15
	s_and_saveexec_b64 s[10:11], vcc
	s_cbranch_execz .LBB27_54
; %bb.53:                               ;   in Loop: Header=BB27_51 Depth=1
	v_cmp_gt_i32_e64 s[0:1], s29, v30
	s_waitcnt vmcnt(0)
	s_nop 0
	v_cndmask_b32_e64 v6, 0, v6, s[0:1]
	v_cmp_gt_i32_e64 s[0:1], s29, v33
	s_nop 1
	v_cndmask_b32_e64 v7, 0, v7, s[0:1]
	v_cmp_gt_i32_e64 s[0:1], s29, v32
	;; [unrolled: 3-line block ×3, first 2 shown]
	s_nop 1
	v_cndmask_b32_e64 v9, 0, v9, s[0:1]
.LBB27_54:                              ;   in Loop: Header=BB27_51 Depth=1
	s_or_b64 exec, exec, s[10:11]
	global_load_dwordx4 v[10:13], v[10:11], off offset:1024
	s_and_saveexec_b64 s[0:1], vcc
	s_cbranch_execz .LBB27_49
; %bb.55:                               ;   in Loop: Header=BB27_51 Depth=1
	v_cmp_gt_i32_e32 vcc, s29, v30
	s_waitcnt vmcnt(0)
	s_nop 0
	v_cndmask_b32_e32 v10, 0, v10, vcc
	v_cmp_gt_i32_e32 vcc, s29, v33
	s_nop 1
	v_cndmask_b32_e32 v11, 0, v11, vcc
	v_cmp_gt_i32_e32 vcc, s29, v32
	;; [unrolled: 3-line block ×3, first 2 shown]
	s_nop 1
	v_cndmask_b32_e32 v13, 0, v13, vcc
	s_branch .LBB27_49
.LBB27_56:
	s_or_b64 exec, exec, s[4:5]
.LBB27_57:
	s_or_b64 exec, exec, s[2:3]
	ds_bpermute_b32 v2, v27, v16
	ds_bpermute_b32 v3, v27, v17
	v_and_b32_e32 v4, 0x3c3, v0
	v_cmp_eq_u32_e32 vcc, 64, v4
	s_waitcnt lgkmcnt(0)
	s_barrier
	v_pk_add_f32 v[2:3], v[16:17], v[2:3]
	ds_bpermute_b32 v6, v26, v2
	ds_bpermute_b32 v7, v26, v3
	s_waitcnt lgkmcnt(0)
	v_pk_add_f32 v[2:3], v[2:3], v[6:7]
	s_and_saveexec_b64 s[0:1], vcc
	s_cbranch_execz .LBB27_59
; %bb.58:
	v_add_u32_e32 v6, 0x90, v25
	v_add_u32_e32 v5, 0x90, v0
	ds_write_b32 v6, v2
	ds_write_b32 v5, v3
.LBB27_59:
	s_or_b64 exec, exec, s[0:1]
	v_cmp_gt_u32_e32 vcc, 64, v0
	s_waitcnt lgkmcnt(0)
	s_barrier
	s_and_saveexec_b64 s[0:1], vcc
	s_cbranch_execz .LBB27_65
; %bb.60:
	v_cmp_eq_u32_e32 vcc, 0, v23
	s_and_saveexec_b64 s[2:3], vcc
	s_cbranch_execz .LBB27_62
; %bb.61:
	v_mov_b32_e32 v0, 0x90
	v_lshl_add_u32 v0, v22, 2, v0
	ds_read_b32 v0, v0
	s_waitcnt lgkmcnt(0)
	v_add_f32_e32 v2, v2, v0
.LBB27_62:
	s_or_b64 exec, exec, s[2:3]
	s_and_saveexec_b64 s[2:3], vcc
	s_cbranch_execz .LBB27_64
; %bb.63:
	v_mov_b32_e32 v0, 0x90
	v_lshl_add_u32 v0, v22, 2, v0
	ds_read_b32 v0, v0 offset:64
	s_waitcnt lgkmcnt(0)
	v_add_f32_e32 v3, v3, v0
.LBB27_64:
	s_or_b64 exec, exec, s[2:3]
.LBB27_65:
	s_or_b64 exec, exec, s[0:1]
	v_cmp_eq_u32_e32 vcc, 0, v4
	s_barrier
	s_and_saveexec_b64 s[0:1], vcc
	s_cbranch_execz .LBB27_67
; %bb.66:
	s_lshl_b32 s0, s8, 5
	s_ashr_i32 s1, s0, 31
	s_lshl_b64 s[0:1], s[0:1], 2
	s_add_u32 s2, s26, s0
	s_mul_i32 s0, s16, s24
	s_addc_u32 s3, s27, s1
	s_ashr_i32 s1, s0, 31
	s_lshl_b64 s[0:1], s[0:1], 2
	s_add_u32 s2, s2, s0
	s_addc_u32 s3, s3, s1
	s_ashr_i32 s13, s12, 31
	s_lshl_b64 s[0:1], s[12:13], 2
	s_add_u32 s0, s2, s0
	s_addc_u32 s1, s3, s1
	global_store_dword v1, v2, s[0:1]
	global_store_dword v1, v3, s[0:1] offset:64
.LBB27_67:
	s_endpgm
	.section	.rodata,"a",@progbits
	.p2align	6, 0x0
	.amdhsa_kernel _ZN4vllm25paged_attention_v2_kernelIffLi32ELi16ELi128ELNS_18Fp8KVCacheDataTypeE0ELb1ELi512EEEvPfS2_PT_PKS3_PKT0_S9_ifPKiSB_iPKfiiiSD_SD_iiiii
		.amdhsa_group_segment_fixed_size 144
		.amdhsa_private_segment_fixed_size 0
		.amdhsa_kernarg_size 400
		.amdhsa_user_sgpr_count 2
		.amdhsa_user_sgpr_dispatch_ptr 0
		.amdhsa_user_sgpr_queue_ptr 0
		.amdhsa_user_sgpr_kernarg_segment_ptr 1
		.amdhsa_user_sgpr_dispatch_id 0
		.amdhsa_user_sgpr_kernarg_preload_length 0
		.amdhsa_user_sgpr_kernarg_preload_offset 0
		.amdhsa_user_sgpr_private_segment_size 0
		.amdhsa_uses_dynamic_stack 0
		.amdhsa_enable_private_segment 0
		.amdhsa_system_sgpr_workgroup_id_x 1
		.amdhsa_system_sgpr_workgroup_id_y 1
		.amdhsa_system_sgpr_workgroup_id_z 1
		.amdhsa_system_sgpr_workgroup_info 0
		.amdhsa_system_vgpr_workitem_id 0
		.amdhsa_next_free_vgpr 44
		.amdhsa_next_free_sgpr 52
		.amdhsa_accum_offset 44
		.amdhsa_reserve_vcc 1
		.amdhsa_float_round_mode_32 0
		.amdhsa_float_round_mode_16_64 0
		.amdhsa_float_denorm_mode_32 3
		.amdhsa_float_denorm_mode_16_64 3
		.amdhsa_dx10_clamp 1
		.amdhsa_ieee_mode 1
		.amdhsa_fp16_overflow 0
		.amdhsa_tg_split 0
		.amdhsa_exception_fp_ieee_invalid_op 0
		.amdhsa_exception_fp_denorm_src 0
		.amdhsa_exception_fp_ieee_div_zero 0
		.amdhsa_exception_fp_ieee_overflow 0
		.amdhsa_exception_fp_ieee_underflow 0
		.amdhsa_exception_fp_ieee_inexact 0
		.amdhsa_exception_int_div_zero 0
	.end_amdhsa_kernel
	.section	.text._ZN4vllm25paged_attention_v2_kernelIffLi32ELi16ELi128ELNS_18Fp8KVCacheDataTypeE0ELb1ELi512EEEvPfS2_PT_PKS3_PKT0_S9_ifPKiSB_iPKfiiiSD_SD_iiiii,"axG",@progbits,_ZN4vllm25paged_attention_v2_kernelIffLi32ELi16ELi128ELNS_18Fp8KVCacheDataTypeE0ELb1ELi512EEEvPfS2_PT_PKS3_PKT0_S9_ifPKiSB_iPKfiiiSD_SD_iiiii,comdat
.Lfunc_end27:
	.size	_ZN4vllm25paged_attention_v2_kernelIffLi32ELi16ELi128ELNS_18Fp8KVCacheDataTypeE0ELb1ELi512EEEvPfS2_PT_PKS3_PKT0_S9_ifPKiSB_iPKfiiiSD_SD_iiiii, .Lfunc_end27-_ZN4vllm25paged_attention_v2_kernelIffLi32ELi16ELi128ELNS_18Fp8KVCacheDataTypeE0ELb1ELi512EEEvPfS2_PT_PKS3_PKT0_S9_ifPKiSB_iPKfiiiSD_SD_iiiii
                                        ; -- End function
	.section	.AMDGPU.csdata,"",@progbits
; Kernel info:
; codeLenInByte = 4184
; NumSgprs: 58
; NumVgprs: 44
; NumAgprs: 0
; TotalNumVgprs: 44
; ScratchSize: 0
; MemoryBound: 0
; FloatMode: 240
; IeeeMode: 1
; LDSByteSize: 144 bytes/workgroup (compile time only)
; SGPRBlocks: 7
; VGPRBlocks: 5
; NumSGPRsForWavesPerEU: 58
; NumVGPRsForWavesPerEU: 44
; AccumOffset: 44
; Occupancy: 8
; WaveLimiterHint : 1
; COMPUTE_PGM_RSRC2:SCRATCH_EN: 0
; COMPUTE_PGM_RSRC2:USER_SGPR: 2
; COMPUTE_PGM_RSRC2:TRAP_HANDLER: 0
; COMPUTE_PGM_RSRC2:TGID_X_EN: 1
; COMPUTE_PGM_RSRC2:TGID_Y_EN: 1
; COMPUTE_PGM_RSRC2:TGID_Z_EN: 1
; COMPUTE_PGM_RSRC2:TIDIG_COMP_CNT: 0
; COMPUTE_PGM_RSRC3_GFX90A:ACCUM_OFFSET: 10
; COMPUTE_PGM_RSRC3_GFX90A:TG_SPLIT: 0
	.section	.text._ZN4vllm25paged_attention_v2_kernelIffLi64ELi16ELi128ELNS_18Fp8KVCacheDataTypeE0ELb1ELi512EEEvPfS2_PT_PKS3_PKT0_S9_ifPKiSB_iPKfiiiSD_SD_iiiii,"axG",@progbits,_ZN4vllm25paged_attention_v2_kernelIffLi64ELi16ELi128ELNS_18Fp8KVCacheDataTypeE0ELb1ELi512EEEvPfS2_PT_PKS3_PKT0_S9_ifPKiSB_iPKfiiiSD_SD_iiiii,comdat
	.protected	_ZN4vllm25paged_attention_v2_kernelIffLi64ELi16ELi128ELNS_18Fp8KVCacheDataTypeE0ELb1ELi512EEEvPfS2_PT_PKS3_PKT0_S9_ifPKiSB_iPKfiiiSD_SD_iiiii ; -- Begin function _ZN4vllm25paged_attention_v2_kernelIffLi64ELi16ELi128ELNS_18Fp8KVCacheDataTypeE0ELb1ELi512EEEvPfS2_PT_PKS3_PKT0_S9_ifPKiSB_iPKfiiiSD_SD_iiiii
	.globl	_ZN4vllm25paged_attention_v2_kernelIffLi64ELi16ELi128ELNS_18Fp8KVCacheDataTypeE0ELb1ELi512EEEvPfS2_PT_PKS3_PKT0_S9_ifPKiSB_iPKfiiiSD_SD_iiiii
	.p2align	8
	.type	_ZN4vllm25paged_attention_v2_kernelIffLi64ELi16ELi128ELNS_18Fp8KVCacheDataTypeE0ELb1ELi512EEEvPfS2_PT_PKS3_PKT0_S9_ifPKiSB_iPKfiiiSD_SD_iiiii,@function
_ZN4vllm25paged_attention_v2_kernelIffLi64ELi16ELi128ELNS_18Fp8KVCacheDataTypeE0ELb1ELi512EEEvPfS2_PT_PKS3_PKT0_S9_ifPKiSB_iPKfiiiSD_SD_iiiii: ; @_ZN4vllm25paged_attention_v2_kernelIffLi64ELi16ELi128ELNS_18Fp8KVCacheDataTypeE0ELb1ELi512EEEvPfS2_PT_PKS3_PKT0_S9_ifPKiSB_iPKfiiiSD_SD_iiiii
; %bb.0:
	s_load_dwordx2 s[6:7], s[0:1], 0x40
	s_mov_b32 s30, s3
	s_ashr_i32 s31, s3, 31
	s_lshl_b64 s[8:9], s[30:31], 2
	s_waitcnt lgkmcnt(0)
	s_add_u32 s6, s6, s8
	s_addc_u32 s7, s7, s9
	s_load_dword s31, s[6:7], 0x0
	s_lshl_b32 s51, s4, 9
	s_waitcnt lgkmcnt(0)
	s_cmp_ge_i32 s51, s31
	s_cbranch_scc1 .LBB28_72
; %bb.1:
	s_load_dword s5, s[0:1], 0x90
	s_load_dwordx2 s[40:41], s[0:1], 0x30
	s_waitcnt lgkmcnt(0)
	s_abs_i32 s7, s5
	s_abs_i32 s3, s40
	v_cvt_f32_u32_e32 v1, s3
	s_sub_i32 s8, 0, s3
	s_xor_b32 s6, s5, s40
	s_ashr_i32 s6, s6, 31
	v_rcp_iflag_f32_e32 v1, v1
	s_nop 0
	v_mul_f32_e32 v1, 0x4f7ffffe, v1
	v_cvt_u32_f32_e32 v1, v1
	s_nop 0
	v_readfirstlane_b32 s9, v1
	s_mul_i32 s8, s8, s9
	s_mul_hi_u32 s8, s9, s8
	s_add_i32 s9, s9, s8
	s_mul_hi_u32 s8, s7, s9
	s_mul_i32 s9, s8, s3
	s_sub_i32 s7, s7, s9
	s_add_i32 s10, s8, 1
	s_sub_i32 s9, s7, s3
	s_cmp_ge_u32 s7, s3
	s_cselect_b32 s8, s10, s8
	s_cselect_b32 s7, s9, s7
	s_add_i32 s9, s8, 1
	s_cmp_ge_u32 s7, s3
	s_cselect_b32 s3, s9, s8
	s_xor_b32 s3, s3, s6
	s_sub_i32 s8, s3, s6
	s_abs_i32 s10, s8
	v_cvt_f32_u32_e32 v1, s10
	s_load_dwordx2 s[6:7], s[0:1], 0x50
	s_sub_i32 s9, 0, s10
	s_abs_i32 s11, s2
	v_rcp_iflag_f32_e32 v1, v1
	s_mov_b32 s3, 0
	v_mul_f32_e32 v1, 0x4f7ffffe, v1
	v_cvt_u32_f32_e32 v1, v1
	s_nop 0
	v_readfirstlane_b32 s12, v1
	s_mul_i32 s9, s9, s12
	s_mul_hi_u32 s9, s12, s9
	s_add_i32 s12, s12, s9
	s_waitcnt lgkmcnt(0)
	s_cmp_eq_u64 s[6:7], 0
	s_mul_hi_u32 s12, s11, s12
	s_cbranch_scc1 .LBB28_3
; %bb.2:
	s_ashr_i32 s3, s2, 31
	s_lshl_b64 s[14:15], s[2:3], 2
	s_add_u32 s6, s6, s14
	s_addc_u32 s7, s7, s15
	s_load_dword s3, s[6:7], 0x0
.LBB28_3:
	s_load_dwordx4 s[16:19], s[0:1], 0x58
	v_lshrrev_b32_e32 v32, 2, v0
	s_ashr_i32 s13, s2, 31
	s_ashr_i32 s20, s8, 31
	v_and_b32_e32 v33, 3, v0
	s_lshl_b32 s14, s2, 6
	v_cmp_gt_u32_e64 s[8:9], 64, v0
	v_lshlrev_b32_e32 v6, 2, v0
	v_lshlrev_b32_e32 v1, 2, v32
	s_and_saveexec_b64 s[6:7], s[8:9]
	s_cbranch_execz .LBB28_5
; %bb.4:
	s_load_dwordx2 s[22:23], s[0:1], 0x18
	s_waitcnt lgkmcnt(0)
	s_mul_i32 s24, s30, s16
	s_ashr_i32 s25, s24, 31
	s_lshl_b64 s[24:25], s[24:25], 2
	v_lshl_add_u32 v3, v33, 6, v1
	s_add_u32 s16, s22, s24
	s_addc_u32 s19, s23, s25
	s_ashr_i32 s15, s14, 31
	s_lshl_b64 s[22:23], s[14:15], 2
	s_add_u32 s22, s16, s22
	s_addc_u32 s23, s19, s23
	global_load_dword v2, v6, s[22:23]
	s_waitcnt vmcnt(0)
	ds_write_b32 v3, v2
.LBB28_5:
	s_or_b64 exec, exec, s[6:7]
	s_mul_i32 s7, s12, s10
	s_sub_i32 s7, s11, s7
	s_xor_b32 s6, s13, s20
	s_add_i32 s11, s12, 1
	s_sub_i32 s13, s7, s10
	s_load_dwordx4 s[20:23], s[0:1], 0x78
	s_cmp_ge_u32 s7, s10
	s_cselect_b32 s11, s11, s12
	s_cselect_b32 s7, s13, s7
	s_load_dword s13, s[0:1], 0x88
	s_add_i32 s12, s11, 1
	s_cmp_ge_u32 s7, s10
	s_cselect_b32 s7, s12, s11
	s_waitcnt lgkmcnt(0)
	s_abs_i32 s33, s23
	v_cvt_f32_u32_e32 v2, s33
	s_xor_b32 s7, s7, s6
	s_sub_i32 s10, s7, s6
	s_sub_i32 s6, 0, s33
	v_rcp_iflag_f32_e32 v2, v2
	s_add_i32 s15, s31, -1
	s_abs_i32 s11, s15
	v_mul_f32_e32 v2, 0x4f7ffffe, v2
	v_cvt_u32_f32_e32 v2, v2
	s_barrier
	v_readfirstlane_b32 s48, v2
	s_mul_i32 s6, s6, s48
	s_mul_hi_u32 s6, s48, s6
	s_add_i32 s48, s48, s6
	s_cmp_lt_i32 s13, 0
	s_mul_hi_u32 s12, s11, s48
	s_cbranch_scc0 .LBB28_7
; %bb.6:
	s_mul_i32 s6, s20, s40
	s_add_i32 s6, s10, s6
	s_mul_i32 s6, s6, s13
	s_sub_i32 s49, 1, s6
	s_mov_b64 s[6:7], 0
	s_branch .LBB28_8
.LBB28_7:
	s_mov_b64 s[6:7], -1
                                        ; implicit-def: $sgpr49
.LBB28_8:
	s_load_dwordx2 s[34:35], s[0:1], 0x38
	s_ashr_i32 s16, s15, 31
	s_andn2_b64 vcc, exec, s[6:7]
	s_ashr_i32 s23, s23, 31
	s_cbranch_vccnz .LBB28_10
; %bb.9:
	s_mul_i32 s6, s5, s20
	s_add_i32 s6, s6, s2
	s_mul_i32 s6, s6, s13
	s_add_i32 s49, s6, 1
.LBB28_10:
	s_load_dword s6, s[0:1], 0x48
	s_load_dwordx2 s[38:39], s[0:1], 0x28
	s_load_dword s15, s[0:1], 0x98
	s_load_dwordx4 s[24:27], s[0:1], 0x0
	s_load_dwordx2 s[28:29], s[0:1], 0x10
	s_mul_i32 s7, s12, s33
	s_waitcnt lgkmcnt(0)
	s_mul_i32 s36, s30, s6
	s_sub_i32 s7, s11, s7
	s_ashr_i32 s37, s36, 31
	s_xor_b32 s6, s16, s23
	s_add_i32 s11, s12, 1
	s_sub_i32 s13, s7, s33
	s_cmp_ge_u32 s7, s33
	s_cselect_b32 s11, s11, s12
	s_cselect_b32 s7, s13, s7
	s_add_i32 s12, s11, 1
	s_cmp_ge_u32 s7, s33
	s_cselect_b32 s7, s12, s11
	s_xor_b32 s7, s7, s6
	s_sub_i32 s50, s7, s6
	s_add_i32 s6, s31, 15
	s_ashr_i32 s7, s6, 31
	s_lshr_b32 s7, s7, 28
	s_add_i32 s6, s6, s7
	s_lshl_b32 s40, s4, 5
	s_ashr_i32 s16, s6, 4
	s_add_i32 s6, s40, 32
	v_lshrrev_b32_e32 v7, 6, v0
	s_min_i32 s20, s6, s16
	v_or_b32_e32 v26, s40, v7
	v_cmp_gt_i32_e64 s[6:7], s20, v26
	v_mov_b32_e32 v10, 0xff7fffff
	s_mul_i32 s18, s10, s18
	v_ashrrev_i32_e32 v27, 31, v26
	v_lshl_add_u32 v34, v7, 4, s51
	v_mbcnt_lo_u32_b32 v8, -1, 0
	s_and_saveexec_b64 s[42:43], s[6:7]
	s_cbranch_execz .LBB28_20
; %bb.11:
	s_load_dwordx2 s[0:1], s[0:1], 0x20
	s_ashr_i32 s19, s18, 31
	s_sub_i32 s52, s50, s21
	s_lshl_b64 s[10:11], s[18:19], 2
	v_bfe_u32 v9, v0, 2, 4
	s_waitcnt lgkmcnt(0)
	s_add_u32 s0, s0, s10
	s_addc_u32 s1, s1, s11
	s_abs_i32 s19, s22
	v_cvt_f32_u32_e32 v4, s19
	v_lshlrev_b32_e32 v2, 4, v9
	v_mov_b32_e32 v3, 0
	v_lshlrev_b32_e32 v10, 2, v9
	v_rcp_iflag_f32_e32 v11, v4
	v_lshl_add_u64 v[4:5], s[0:1], 0, v[2:3]
	v_lshlrev_b32_e32 v2, 2, v33
	v_lshl_add_u64 v[2:3], v[4:5], 0, v[2:3]
	v_mul_f32_e32 v4, 0x4f7ffffe, v11
	v_cvt_u32_f32_e32 v4, v4
	s_sub_i32 s10, 0, s19
	v_lshl_or_b32 v10, v7, 6, v10
	v_add_u32_e32 v14, 0x110, v10
	v_mul_lo_u32 v5, s10, v4
	s_lshl_b64 s[10:11], s[36:37], 2
	s_add_u32 s10, s34, s10
	v_subrev_u32_e32 v10, s31, v9
	v_mbcnt_hi_u32_b32 v17, -1, v8
	v_mul_hi_u32 v5, v4, v5
	s_addc_u32 s11, s35, s11
	v_add_u32_e32 v15, 1, v10
	v_and_b32_e32 v10, 64, v17
	v_cmp_eq_u32_e32 vcc, 0, v33
	s_mov_b32 s53, s17
	v_lshlrev_b32_e32 v11, 6, v33
	v_cmp_neq_f32_e64 s[0:1], s3, 0
	v_add_u32_e32 v12, v4, v5
	v_lshl_add_u64 v[4:5], v[26:27], 2, s[10:11]
	v_lshl_add_u32 v13, v7, 4, s51
	s_mov_b64 s[44:45], 0
	v_mov_b32_e32 v16, 0xff7fffff
	v_add_u32_e32 v18, 64, v10
	v_xor_b32_e32 v19, 2, v17
	v_xor_b32_e32 v20, 1, v17
	v_mov_b32_e32 v10, 0xff7fffff
	v_mov_b32_e32 v21, v26
	s_branch .LBB28_14
.LBB28_12:                              ;   in Loop: Header=BB28_14 Depth=1
	s_or_b64 exec, exec, s[46:47]
.LBB28_13:                              ;   in Loop: Header=BB28_14 Depth=1
	s_or_b64 exec, exec, s[12:13]
	v_add_u32_e32 v21, 2, v21
	v_cmp_le_i32_e64 s[10:11], s20, v21
	v_lshl_add_u64 v[4:5], v[4:5], 0, 8
	v_add_u32_e32 v13, 32, v13
	s_or_b64 s[44:45], s[10:11], s[44:45]
	v_add_u32_e32 v14, 0x80, v14
	s_andn2_b64 exec, exec, s[44:45]
	s_cbranch_execz .LBB28_19
.LBB28_14:                              ; =>This Inner Loop Header: Depth=1
	s_waitcnt lgkmcnt(0)
	v_sub_u32_e32 v23, 0, v13
	v_max_i32_e32 v23, v13, v23
	v_mul_hi_u32 v24, v23, s48
	v_mul_lo_u32 v25, v24, s33
	v_sub_u32_e32 v23, v23, v25
	v_add_u32_e32 v25, 1, v24
	v_cmp_le_u32_e64 s[10:11], s33, v23
	v_ashrrev_i32_e32 v22, 31, v13
	v_xor_b32_e32 v22, s23, v22
	v_cndmask_b32_e64 v24, v24, v25, s[10:11]
	v_subrev_u32_e32 v25, s33, v23
	v_cndmask_b32_e64 v23, v23, v25, s[10:11]
	v_add_u32_e32 v25, 1, v24
	v_cmp_le_u32_e64 s[10:11], s33, v23
	s_nop 1
	v_cndmask_b32_e64 v23, v24, v25, s[10:11]
	v_xor_b32_e32 v23, v23, v22
	v_sub_u32_e32 v22, v23, v22
	v_add_u32_e32 v23, s49, v22
	v_sub_u32_e32 v25, 0, v23
	v_ashrrev_i32_e32 v24, 31, v23
	v_max_i32_e32 v23, v23, v25
	v_mul_hi_u32 v25, v23, v12
	v_mul_lo_u32 v25, v25, s19
	v_sub_u32_e32 v23, v23, v25
	v_subrev_u32_e32 v25, s19, v23
	v_cmp_le_u32_e64 s[10:11], s19, v23
	v_cmp_ge_i32_e64 s[12:13], s52, v22
	s_nop 0
	v_cndmask_b32_e64 v23, v23, v25, s[10:11]
	v_subrev_u32_e32 v25, s19, v23
	v_cmp_le_u32_e64 s[10:11], s19, v23
	s_nop 1
	v_cndmask_b32_e64 v23, v23, v25, s[10:11]
	v_xor_b32_e32 v23, v23, v24
	v_sub_u32_e32 v23, v23, v24
	v_cmp_ne_u32_e64 s[10:11], 0, v23
	s_and_b64 s[10:11], s[10:11], s[12:13]
	s_and_b64 s[46:47], vcc, s[10:11]
	s_and_saveexec_b64 s[12:13], s[46:47]
	s_cbranch_execz .LBB28_16
; %bb.15:                               ;   in Loop: Header=BB28_14 Depth=1
	ds_write_b32 v14, v16
.LBB28_16:                              ;   in Loop: Header=BB28_14 Depth=1
	s_or_b64 exec, exec, s[12:13]
	s_xor_b64 s[10:11], s[10:11], -1
	s_and_saveexec_b64 s[12:13], s[10:11]
	s_cbranch_execz .LBB28_13
; %bb.17:                               ;   in Loop: Header=BB28_14 Depth=1
	global_load_dword v22, v[4:5], off
	s_waitcnt vmcnt(0)
	v_mad_i64_i32 v[22:23], s[10:11], v22, s53, 0
	v_lshl_add_u64 v[22:23], v[22:23], 2, v[2:3]
	global_load_dword v35, v[22:23], off offset:256
	global_load_dword v44, v[22:23], off
	global_load_dword v45, v[22:23], off offset:512
	global_load_dword v46, v[22:23], off offset:768
	;; [unrolled: 1-line block ×14, first 2 shown]
	ds_read_b128 v[22:25], v11
	ds_read_b128 v[28:31], v11 offset:16
	ds_read_b128 v[36:39], v11 offset:32
	;; [unrolled: 1-line block ×3, first 2 shown]
	v_cmp_lt_i32_e64 s[10:11], v19, v18
	s_waitcnt vmcnt(15) lgkmcnt(3)
	v_mul_f32_e32 v23, v23, v35
	s_waitcnt vmcnt(14)
	v_fmac_f32_e32 v23, v22, v44
	s_waitcnt vmcnt(13)
	v_fmac_f32_e32 v23, v24, v45
	s_waitcnt vmcnt(12)
	v_fmac_f32_e32 v23, v25, v46
	s_waitcnt vmcnt(11) lgkmcnt(2)
	v_fmac_f32_e32 v23, v28, v47
	s_waitcnt vmcnt(10)
	v_fmac_f32_e32 v23, v29, v48
	s_waitcnt vmcnt(9)
	v_fmac_f32_e32 v23, v30, v49
	s_waitcnt vmcnt(8)
	v_fmac_f32_e32 v23, v31, v50
	s_waitcnt vmcnt(7) lgkmcnt(1)
	v_fmac_f32_e32 v23, v36, v51
	;; [unrolled: 8-line block ×3, first 2 shown]
	s_waitcnt vmcnt(2)
	v_fmac_f32_e32 v23, v41, v56
	v_cndmask_b32_e64 v59, v17, v19, s[10:11]
	s_waitcnt vmcnt(1)
	v_fmac_f32_e32 v23, v42, v57
	v_lshlrev_b32_e32 v59, 2, v59
	s_waitcnt vmcnt(0)
	v_fmac_f32_e32 v23, v43, v58
	ds_bpermute_b32 v22, v59, v23
	v_cmp_lt_i32_e64 s[10:11], v20, v18
	s_waitcnt lgkmcnt(0)
	v_add_f32_e32 v22, v23, v22
	v_cndmask_b32_e64 v24, v17, v20, s[10:11]
	v_lshlrev_b32_e32 v24, 2, v24
	ds_bpermute_b32 v23, v24, v22
	s_and_saveexec_b64 s[46:47], vcc
	s_cbranch_execz .LBB28_12
; %bb.18:                               ;   in Loop: Header=BB28_14 Depth=1
	v_add_u32_e32 v24, v15, v13
	v_cvt_f32_i32_e32 v24, v24
	s_waitcnt lgkmcnt(0)
	v_add_f32_e32 v22, v22, v23
	v_add_u32_e32 v25, v9, v13
	v_cmp_gt_i32_e64 s[10:11], s31, v25
	v_mul_f32_e32 v23, s3, v24
	v_cndmask_b32_e64 v23, 0, v23, s[0:1]
	v_fmac_f32_e32 v23, s41, v22
	v_cndmask_b32_e64 v22, 0, v23, s[10:11]
	ds_write_b32 v14, v22
	v_max_f32_e32 v22, v10, v10
	v_max_f32_e32 v22, v22, v23
	v_cndmask_b32_e64 v10, v10, v22, s[10:11]
	s_branch .LBB28_12
.LBB28_19:
	s_or_b64 exec, exec, s[44:45]
.LBB28_20:
	s_or_b64 exec, exec, s[42:43]
	v_mbcnt_hi_u32_b32 v2, -1, v8
	v_and_b32_e32 v3, 64, v2
	v_add_u32_e32 v3, 64, v3
	v_xor_b32_e32 v4, 32, v2
	v_cmp_lt_i32_e32 vcc, v4, v3
	v_xor_b32_e32 v9, 16, v2
	v_max_f32_e32 v8, v10, v10
	v_cndmask_b32_e32 v4, v2, v4, vcc
	v_lshlrev_b32_e32 v5, 2, v4
	ds_bpermute_b32 v4, v5, v10
	v_cmp_lt_i32_e32 vcc, v9, v3
	v_xor_b32_e32 v10, 8, v2
	v_and_b32_e32 v35, 63, v0
	s_waitcnt lgkmcnt(0)
	v_max_f32_e32 v4, v4, v4
	v_max_f32_e32 v4, v8, v4
	v_cndmask_b32_e32 v8, v2, v9, vcc
	v_lshlrev_b32_e32 v8, 2, v8
	ds_bpermute_b32 v9, v8, v4
	v_cmp_lt_i32_e32 vcc, v10, v3
	s_waitcnt lgkmcnt(0)
	v_max_f32_e32 v9, v9, v9
	v_max_f32_e32 v4, v4, v9
	v_cndmask_b32_e32 v9, v2, v10, vcc
	v_lshlrev_b32_e32 v11, 2, v9
	ds_bpermute_b32 v9, v11, v4
	v_xor_b32_e32 v10, 4, v2
	v_cmp_lt_i32_e32 vcc, v10, v3
	s_waitcnt lgkmcnt(0)
	v_max_f32_e32 v9, v9, v9
	v_max_f32_e32 v4, v4, v9
	v_cndmask_b32_e32 v9, v2, v10, vcc
	v_lshlrev_b32_e32 v12, 2, v9
	ds_bpermute_b32 v10, v12, v4
	v_cmp_eq_u32_e32 vcc, 0, v35
	v_lshlrev_b32_e32 v9, 2, v7
	s_and_saveexec_b64 s[0:1], vcc
	s_cbranch_execz .LBB28_22
; %bb.21:
	s_waitcnt lgkmcnt(0)
	v_max_f32_e32 v10, v10, v10
	v_max_f32_e32 v4, v4, v4
	;; [unrolled: 1-line block ×3, first 2 shown]
	ds_write_b32 v9, v4 offset:256
.LBB28_22:
	s_or_b64 exec, exec, s[0:1]
	v_cmp_gt_u32_e64 s[0:1], 2, v35
	v_mov_b32_e32 v4, 0xff7fffff
	s_waitcnt lgkmcnt(0)
	v_lshlrev_b32_e32 v10, 2, v35
	s_barrier
	s_and_saveexec_b64 s[10:11], s[0:1]
	s_cbranch_execz .LBB28_24
; %bb.23:
	ds_read_b32 v4, v10 offset:256
.LBB28_24:
	s_or_b64 exec, exec, s[10:11]
	v_xor_b32_e32 v13, 1, v2
	v_cmp_lt_i32_e64 s[10:11], v13, v3
	s_sub_i32 s3, s20, s40
	s_lshl_b32 s3, s3, 4
	v_cndmask_b32_e64 v13, v2, v13, s[10:11]
	v_lshlrev_b32_e32 v36, 2, v13
	s_waitcnt lgkmcnt(0)
	ds_bpermute_b32 v13, v36, v4
	v_max_f32_e32 v4, v4, v4
	s_add_i32 s3, s3, s51
	s_min_i32 s19, s3, s31
	s_sub_i32 s3, s19, s51
	s_waitcnt lgkmcnt(0)
	v_max_f32_e32 v13, v13, v13
	v_max_f32_e32 v4, v4, v13
	v_lshlrev_b32_e32 v13, 2, v2
	v_and_b32_e32 v13, 0x100, v13
	ds_bpermute_b32 v4, v13, v4
	v_cmp_gt_i32_e64 s[10:11], s3, v0
	v_mov_b32_e32 v14, 0
	s_and_saveexec_b64 s[40:41], s[10:11]
	s_cbranch_execz .LBB28_28
; %bb.25:
	v_mov_b32_e32 v14, 0x110
	v_lshl_add_u32 v15, v0, 2, v14
	s_mov_b64 s[42:43], 0
	v_mov_b32_e32 v14, 0
	v_mov_b32_e32 v16, v0
.LBB28_26:                              ; =>This Inner Loop Header: Depth=1
	ds_read_b32 v17, v15
	v_add_u32_e32 v16, 0x80, v16
	v_cmp_le_i32_e64 s[12:13], s3, v16
	s_or_b64 s[42:43], s[12:13], s[42:43]
	s_waitcnt lgkmcnt(0)
	v_sub_f32_e32 v17, v17, v4
	v_mul_f32_e32 v17, 0x3fb8aa3b, v17
	v_exp_f32_e32 v17, v17
	ds_write_b32 v15, v17
	v_add_f32_e32 v14, v14, v17
	v_add_u32_e32 v15, 0x200, v15
	s_andn2_b64 exec, exec, s[42:43]
	s_cbranch_execnz .LBB28_26
; %bb.27:
	s_or_b64 exec, exec, s[42:43]
.LBB28_28:
	s_or_b64 exec, exec, s[40:41]
	ds_bpermute_b32 v5, v5, v14
	s_waitcnt lgkmcnt(0)
	v_add_f32_e32 v5, v14, v5
	ds_bpermute_b32 v8, v8, v5
	s_waitcnt lgkmcnt(0)
	v_add_f32_e32 v5, v5, v8
	ds_bpermute_b32 v8, v11, v5
	v_xor_b32_e32 v11, 2, v2
	v_cmp_lt_i32_e64 s[12:13], v11, v3
	s_waitcnt lgkmcnt(0)
	v_add_f32_e32 v5, v5, v8
	ds_bpermute_b32 v8, v12, v5
	v_cndmask_b32_e64 v2, v2, v11, s[12:13]
	v_lshlrev_b32_e32 v37, 2, v2
	s_waitcnt lgkmcnt(0)
	v_add_f32_e32 v3, v5, v8
	ds_bpermute_b32 v2, v37, v3
	s_waitcnt lgkmcnt(0)
	v_add_f32_e32 v2, v3, v2
	ds_bpermute_b32 v3, v36, v2
	s_waitcnt lgkmcnt(0)
	v_add_f32_e32 v2, v2, v3
	s_and_saveexec_b64 s[12:13], vcc
	s_cbranch_execz .LBB28_30
; %bb.29:
	ds_write_b32 v9, v2 offset:264
.LBB28_30:
	s_or_b64 exec, exec, s[12:13]
	s_waitcnt lgkmcnt(0)
	s_barrier
	s_and_saveexec_b64 s[12:13], s[0:1]
	s_cbranch_execz .LBB28_32
; %bb.31:
	ds_read_b32 v2, v10 offset:264
.LBB28_32:
	s_or_b64 exec, exec, s[12:13]
	s_waitcnt lgkmcnt(0)
	ds_bpermute_b32 v3, v36, v2
	s_waitcnt lgkmcnt(0)
	v_add_f32_e32 v2, v2, v3
	ds_bpermute_b32 v5, v13, v2
	s_and_saveexec_b64 s[0:1], s[10:11]
	s_cbranch_execz .LBB28_45
; %bb.33:
	s_waitcnt lgkmcnt(0)
	v_add_f32_e32 v2, 0x358637bd, v5
	v_div_scale_f32 v3, s[10:11], v2, v2, 1.0
	v_rcp_f32_e32 v8, v3
	v_div_scale_f32 v9, vcc, 1.0, v2, 1.0
	s_movk_i32 s10, 0x7f
	v_fma_f32 v10, -v3, v8, 1.0
	v_fmac_f32_e32 v8, v10, v8
	v_mul_f32_e32 v10, v9, v8
	v_fma_f32 v11, -v3, v10, v9
	v_fmac_f32_e32 v10, v11, v8
	v_fma_f32 v3, -v3, v10, v9
	v_div_fmas_f32 v3, v3, v8, v10
	v_div_fixup_f32 v2, v3, v2, 1.0
	v_xad_u32 v3, v0, -1, s19
	v_subrev_u32_e32 v8, s51, v3
	v_cmp_lt_u32_e32 vcc, s10, v8
	s_mov_b64 s[12:13], -1
	v_mov_b32_e32 v3, v0
	s_and_saveexec_b64 s[10:11], vcc
	s_cbranch_execz .LBB28_42
; %bb.34:
	v_lshrrev_b32_e32 v8, 7, v8
	v_add_u32_e32 v10, -1, v8
	v_lshrrev_b32_e32 v9, 1, v10
	v_mov_b32_e32 v3, v2
	v_add_u32_e32 v9, 1, v9
	v_cmp_lt_u32_e32 vcc, 13, v10
	v_mov_b32_e32 v12, 0
	s_and_saveexec_b64 s[12:13], vcc
	s_cbranch_execz .LBB28_38
; %bb.35:
	v_mov_b32_e32 v11, 0x110
	v_and_b32_e32 v10, -8, v9
	v_lshl_add_u32 v11, v0, 2, v11
	s_mov_b32 s19, 0
	s_mov_b64 s[40:41], 0
.LBB28_36:                              ; =>This Inner Loop Header: Depth=1
	ds_read2st64_b32 v[12:13], v11 offset1:2
	ds_read2st64_b32 v[14:15], v11 offset0:4 offset1:6
	ds_read2st64_b32 v[16:17], v11 offset0:8 offset1:10
	;; [unrolled: 1-line block ×3, first 2 shown]
	v_add_u32_e32 v10, -8, v10
	s_waitcnt lgkmcnt(3)
	v_pk_mul_f32 v[12:13], v[2:3], v[12:13]
	s_waitcnt lgkmcnt(2)
	v_pk_mul_f32 v[14:15], v[2:3], v[14:15]
	ds_write2st64_b32 v11, v12, v13 offset1:2
	ds_write2st64_b32 v11, v14, v15 offset0:4 offset1:6
	ds_read2st64_b32 v[14:15], v11 offset0:16 offset1:18
	s_waitcnt lgkmcnt(4)
	v_pk_mul_f32 v[12:13], v[2:3], v[16:17]
	ds_write2st64_b32 v11, v12, v13 offset0:8 offset1:10
	s_waitcnt lgkmcnt(4)
	v_pk_mul_f32 v[12:13], v[2:3], v[18:19]
	ds_write2st64_b32 v11, v12, v13 offset0:12 offset1:14
	ds_read2st64_b32 v[12:13], v11 offset0:20 offset1:22
	s_waitcnt lgkmcnt(3)
	v_pk_mul_f32 v[14:15], v[2:3], v[14:15]
	ds_read2st64_b32 v[16:17], v11 offset0:24 offset1:26
	ds_write2st64_b32 v11, v14, v15 offset0:16 offset1:18
	ds_read2st64_b32 v[14:15], v11 offset0:28 offset1:30
	s_waitcnt lgkmcnt(3)
	v_pk_mul_f32 v[12:13], v[2:3], v[12:13]
	ds_write2st64_b32 v11, v12, v13 offset0:20 offset1:22
	s_waitcnt lgkmcnt(3)
	v_pk_mul_f32 v[12:13], v[2:3], v[16:17]
	ds_write2st64_b32 v11, v12, v13 offset0:24 offset1:26
	s_waitcnt lgkmcnt(2)
	v_pk_mul_f32 v[12:13], v[2:3], v[14:15]
	s_add_i32 s19, s19, 16
	v_cmp_eq_u32_e32 vcc, 0, v10
	ds_write2st64_b32 v11, v12, v13 offset0:28 offset1:30
	v_add_u32_e32 v11, 0x2000, v11
	s_or_b64 s[40:41], vcc, s[40:41]
	v_mov_b32_e32 v12, s19
	s_andn2_b64 exec, exec, s[40:41]
	s_cbranch_execnz .LBB28_36
; %bb.37:
	s_or_b64 exec, exec, s[40:41]
.LBB28_38:
	s_or_b64 exec, exec, s[12:13]
	v_and_b32_e32 v9, 7, v9
	v_cmp_ne_u32_e32 vcc, 0, v9
	s_and_saveexec_b64 s[12:13], vcc
	s_cbranch_execz .LBB28_41
; %bb.39:
	v_lshlrev_b32_e32 v10, 9, v12
	s_movk_i32 s19, 0x110
	v_add3_u32 v10, v10, v6, s19
	s_mov_b64 s[40:41], 0
.LBB28_40:                              ; =>This Inner Loop Header: Depth=1
	ds_read2st64_b32 v[12:13], v10 offset1:2
	v_add_u32_e32 v9, -1, v9
	v_cmp_eq_u32_e32 vcc, 0, v9
	s_or_b64 s[40:41], vcc, s[40:41]
	s_waitcnt lgkmcnt(0)
	v_pk_mul_f32 v[12:13], v[2:3], v[12:13]
	ds_write2st64_b32 v10, v12, v13 offset1:2
	v_add_u32_e32 v10, 0x400, v10
	s_andn2_b64 exec, exec, s[40:41]
	s_cbranch_execnz .LBB28_40
.LBB28_41:
	s_or_b64 exec, exec, s[12:13]
	v_add_u32_e32 v8, 1, v8
	v_and_b32_e32 v9, 0x3fffffe, v8
	v_cmp_ne_u32_e32 vcc, v8, v9
	v_lshl_add_u32 v3, v9, 7, v0
	s_orn2_b64 s[12:13], vcc, exec
.LBB28_42:
	s_or_b64 exec, exec, s[10:11]
	s_and_b64 exec, exec, s[12:13]
	s_cbranch_execz .LBB28_45
; %bb.43:
	v_mov_b32_e32 v8, 0x110
	v_lshl_add_u32 v8, v3, 2, v8
	s_mov_b64 s[10:11], 0
.LBB28_44:                              ; =>This Inner Loop Header: Depth=1
	ds_read_b32 v9, v8
	v_add_u32_e32 v3, 0x80, v3
	v_cmp_le_i32_e32 vcc, s3, v3
	s_or_b64 s[10:11], vcc, s[10:11]
	s_waitcnt lgkmcnt(0)
	v_mul_f32_e32 v9, v2, v9
	ds_write_b32 v8, v9
	v_add_u32_e32 v8, 0x200, v8
	s_andn2_b64 exec, exec, s[10:11]
	s_cbranch_execnz .LBB28_44
.LBB28_45:
	s_or_b64 exec, exec, s[0:1]
	s_mul_i32 s0, s15, s30
	v_cmp_eq_u32_e32 vcc, 0, v0
	s_mul_i32 s10, s0, s5
	s_waitcnt lgkmcnt(0)
	s_barrier
	s_and_saveexec_b64 s[0:1], vcc
	s_cbranch_execz .LBB28_47
; %bb.46:
	s_ashr_i32 s11, s10, 31
	s_lshl_b64 s[12:13], s[10:11], 2
	s_add_u32 s5, s26, s12
	s_mul_i32 s2, s15, s2
	s_addc_u32 s11, s27, s13
	s_ashr_i32 s3, s2, 31
	s_lshl_b64 s[2:3], s[2:3], 2
	s_add_u32 s19, s5, s2
	s_addc_u32 s11, s11, s3
	s_ashr_i32 s5, s4, 31
	s_lshl_b64 s[26:27], s[4:5], 2
	s_add_u32 s40, s19, s26
	s_addc_u32 s41, s11, s27
	s_add_u32 s5, s24, s12
	s_addc_u32 s11, s25, s13
	;; [unrolled: 2-line block ×3, first 2 shown]
	s_add_u32 s2, s2, s26
	v_mov_b32_e32 v2, 0
	s_addc_u32 s3, s3, s27
	global_store_dword v2, v4, s[40:41]
	global_store_dword v2, v5, s[2:3]
.LBB28_47:
	s_or_b64 exec, exec, s[0:1]
	v_mov_b32_e32 v5, 0
	v_mov_b32_e32 v4, 0
	;; [unrolled: 1-line block ×4, first 2 shown]
	s_and_saveexec_b64 s[2:3], s[6:7]
	s_cbranch_execz .LBB28_61
; %bb.48:
	s_ashr_i32 s19, s18, 31
	s_sub_i32 s5, s50, s21
	s_lshl_b64 s[0:1], s[18:19], 2
	s_add_u32 s0, s38, s0
	s_addc_u32 s1, s39, s1
	s_abs_i32 s11, s22
	v_cvt_f32_u32_e32 v2, s11
	s_sub_i32 s6, 0, s11
	v_lshlrev_b32_e32 v4, 4, v0
	v_mov_b32_e32 v3, 0
	v_rcp_iflag_f32_e32 v2, v2
	s_add_i32 s19, s16, -1
	s_mov_b32 s24, 0
	s_mov_b32 s25, s24
	v_mul_f32_e32 v2, 0x4f7ffffe, v2
	v_cvt_u32_f32_e32 v2, v2
	s_mov_b32 s26, s24
	s_mov_b32 s27, s24
	v_and_b32_e32 v38, 12, v6
	v_mul_lo_u32 v5, s6, v2
	v_mul_hi_u32 v5, v2, v5
	v_add_u32_e32 v39, v2, v5
	v_and_b32_e32 v2, 0x3f0, v4
	v_lshl_add_u64 v[28:29], s[0:1], 0, v[2:3]
	s_lshl_b64 s[0:1], s[36:37], 2
	s_add_u32 s0, s34, s0
	v_lshlrev_b32_e32 v2, 4, v33
	s_addc_u32 s1, s35, s1
	v_lshl_or_b32 v2, v7, 6, v2
	v_lshl_add_u64 v[30:31], v[26:27], 2, s[0:1]
	v_add_u32_e32 v27, 0x110, v2
	v_mov_b64_e32 v[2:3], s[24:25]
	s_mov_b32 s18, s17
	s_mov_b64 s[6:7], 0
	v_mov_b64_e32 v[4:5], s[26:27]
	s_branch .LBB28_51
.LBB28_49:                              ;   in Loop: Header=BB28_51 Depth=1
	s_or_b64 exec, exec, s[0:1]
	s_waitcnt vmcnt(3) lgkmcnt(0)
	v_mul_f32_e32 v11, v7, v11
	v_fmac_f32_e32 v11, v6, v10
	s_waitcnt vmcnt(2)
	v_mul_f32_e32 v10, v7, v15
	v_fmac_f32_e32 v10, v6, v14
	v_fmac_f32_e32 v10, v8, v16
	;; [unrolled: 1-line block ×3, first 2 shown]
	v_add_f32_e32 v3, v3, v10
	s_waitcnt vmcnt(1)
	v_mul_f32_e32 v10, v7, v19
	s_waitcnt vmcnt(0)
	v_mul_f32_e32 v7, v7, v23
	v_fmac_f32_e32 v10, v6, v18
	v_fmac_f32_e32 v7, v6, v22
	;; [unrolled: 1-line block ×8, first 2 shown]
	v_add_f32_e32 v2, v2, v11
	v_add_f32_e32 v4, v4, v10
	;; [unrolled: 1-line block ×3, first 2 shown]
.LBB28_50:                              ;   in Loop: Header=BB28_51 Depth=1
	s_or_b64 exec, exec, s[12:13]
	v_add_u32_e32 v26, 2, v26
	v_cmp_le_i32_e32 vcc, s20, v26
	v_lshl_add_u64 v[30:31], v[30:31], 0, 8
	v_add_u32_e32 v34, 32, v34
	s_or_b64 s[6:7], vcc, s[6:7]
	v_add_u32_e32 v27, 0x80, v27
	s_andn2_b64 exec, exec, s[6:7]
	s_cbranch_execz .LBB28_60
.LBB28_51:                              ; =>This Inner Loop Header: Depth=1
	v_sub_u32_e32 v7, 0, v34
	v_max_i32_e32 v7, v34, v7
	v_mul_hi_u32 v8, v7, s48
	v_mul_lo_u32 v9, v8, s33
	v_sub_u32_e32 v7, v7, v9
	v_add_u32_e32 v9, 1, v8
	v_cmp_le_u32_e32 vcc, s33, v7
	v_ashrrev_i32_e32 v6, 31, v34
	v_xor_b32_e32 v6, s23, v6
	v_cndmask_b32_e32 v8, v8, v9, vcc
	v_subrev_u32_e32 v9, s33, v7
	v_cndmask_b32_e32 v7, v7, v9, vcc
	v_add_u32_e32 v9, 1, v8
	v_cmp_le_u32_e32 vcc, s33, v7
	s_nop 1
	v_cndmask_b32_e32 v7, v8, v9, vcc
	v_xor_b32_e32 v7, v7, v6
	v_sub_u32_e32 v6, v7, v6
	v_add_u32_e32 v7, s49, v6
	v_sub_u32_e32 v9, 0, v7
	v_ashrrev_i32_e32 v8, 31, v7
	v_max_i32_e32 v7, v7, v9
	v_mul_hi_u32 v9, v7, v39
	v_mul_lo_u32 v9, v9, s11
	v_sub_u32_e32 v7, v7, v9
	v_subrev_u32_e32 v9, s11, v7
	v_cmp_le_u32_e32 vcc, s11, v7
	v_cmp_lt_i32_e64 s[0:1], s5, v6
	s_nop 0
	v_cndmask_b32_e32 v7, v7, v9, vcc
	v_subrev_u32_e32 v9, s11, v7
	v_cmp_le_u32_e32 vcc, s11, v7
	s_nop 1
	v_cndmask_b32_e32 v7, v7, v9, vcc
	v_xor_b32_e32 v7, v7, v8
	v_sub_u32_e32 v7, v7, v8
	v_cmp_eq_u32_e32 vcc, 0, v7
	s_or_b64 s[0:1], vcc, s[0:1]
	s_and_saveexec_b64 s[12:13], s[0:1]
	s_cbranch_execz .LBB28_50
; %bb.52:                               ;   in Loop: Header=BB28_51 Depth=1
	global_load_dword v6, v[30:31], off
	v_add_u32_e32 v40, v38, v34
	v_cmp_eq_u32_e32 vcc, s19, v26
	v_add_u32_e32 v43, 1, v40
	v_add_u32_e32 v42, 2, v40
	;; [unrolled: 1-line block ×3, first 2 shown]
	s_waitcnt vmcnt(0)
	v_mad_i64_i32 v[6:7], s[0:1], v6, s18, 0
	v_lshl_add_u64 v[22:23], v[6:7], 2, v[28:29]
	global_load_dwordx4 v[10:13], v[22:23], off
	ds_read_b128 v[6:9], v27
	s_and_saveexec_b64 s[16:17], vcc
	s_cbranch_execnz .LBB28_56
; %bb.53:                               ;   in Loop: Header=BB28_51 Depth=1
	s_or_b64 exec, exec, s[16:17]
	global_load_dwordx4 v[14:17], v[22:23], off offset:1024
	s_and_saveexec_b64 s[16:17], vcc
	s_cbranch_execnz .LBB28_57
.LBB28_54:                              ;   in Loop: Header=BB28_51 Depth=1
	s_or_b64 exec, exec, s[16:17]
	global_load_dwordx4 v[18:21], v[22:23], off offset:2048
	s_and_saveexec_b64 s[16:17], vcc
	s_cbranch_execnz .LBB28_58
.LBB28_55:                              ;   in Loop: Header=BB28_51 Depth=1
	s_or_b64 exec, exec, s[16:17]
	global_load_dwordx4 v[22:25], v[22:23], off offset:3072
	s_and_saveexec_b64 s[0:1], vcc
	s_cbranch_execz .LBB28_49
	s_branch .LBB28_59
.LBB28_56:                              ;   in Loop: Header=BB28_51 Depth=1
	v_cmp_gt_i32_e64 s[0:1], s31, v40
	s_waitcnt vmcnt(0)
	s_nop 0
	v_cndmask_b32_e64 v10, 0, v10, s[0:1]
	v_cmp_gt_i32_e64 s[0:1], s31, v43
	s_nop 1
	v_cndmask_b32_e64 v11, 0, v11, s[0:1]
	v_cmp_gt_i32_e64 s[0:1], s31, v42
	;; [unrolled: 3-line block ×3, first 2 shown]
	s_nop 1
	v_cndmask_b32_e64 v13, 0, v13, s[0:1]
	s_or_b64 exec, exec, s[16:17]
	global_load_dwordx4 v[14:17], v[22:23], off offset:1024
	s_and_saveexec_b64 s[16:17], vcc
	s_cbranch_execz .LBB28_54
.LBB28_57:                              ;   in Loop: Header=BB28_51 Depth=1
	v_cmp_gt_i32_e64 s[0:1], s31, v40
	s_waitcnt vmcnt(0)
	s_nop 0
	v_cndmask_b32_e64 v14, 0, v14, s[0:1]
	v_cmp_gt_i32_e64 s[0:1], s31, v43
	s_nop 1
	v_cndmask_b32_e64 v15, 0, v15, s[0:1]
	v_cmp_gt_i32_e64 s[0:1], s31, v42
	;; [unrolled: 3-line block ×3, first 2 shown]
	s_nop 1
	v_cndmask_b32_e64 v17, 0, v17, s[0:1]
	s_or_b64 exec, exec, s[16:17]
	global_load_dwordx4 v[18:21], v[22:23], off offset:2048
	s_and_saveexec_b64 s[16:17], vcc
	s_cbranch_execz .LBB28_55
.LBB28_58:                              ;   in Loop: Header=BB28_51 Depth=1
	v_cmp_gt_i32_e64 s[0:1], s31, v40
	s_waitcnt vmcnt(0)
	s_nop 0
	v_cndmask_b32_e64 v18, 0, v18, s[0:1]
	v_cmp_gt_i32_e64 s[0:1], s31, v43
	s_nop 1
	v_cndmask_b32_e64 v19, 0, v19, s[0:1]
	v_cmp_gt_i32_e64 s[0:1], s31, v42
	;; [unrolled: 3-line block ×3, first 2 shown]
	s_nop 1
	v_cndmask_b32_e64 v21, 0, v21, s[0:1]
	s_or_b64 exec, exec, s[16:17]
	global_load_dwordx4 v[22:25], v[22:23], off offset:3072
	s_and_saveexec_b64 s[0:1], vcc
	s_cbranch_execz .LBB28_49
.LBB28_59:                              ;   in Loop: Header=BB28_51 Depth=1
	v_cmp_gt_i32_e32 vcc, s31, v40
	s_waitcnt vmcnt(0)
	s_nop 0
	v_cndmask_b32_e32 v22, 0, v22, vcc
	v_cmp_gt_i32_e32 vcc, s31, v43
	s_nop 1
	v_cndmask_b32_e32 v23, 0, v23, vcc
	v_cmp_gt_i32_e32 vcc, s31, v42
	s_nop 1
	v_cndmask_b32_e32 v24, 0, v24, vcc
	v_cmp_gt_i32_e32 vcc, s31, v41
	s_nop 1
	v_cndmask_b32_e32 v25, 0, v25, vcc
	s_branch .LBB28_49
.LBB28_60:
	s_or_b64 exec, exec, s[6:7]
.LBB28_61:
	s_or_b64 exec, exec, s[2:3]
	ds_bpermute_b32 v6, v37, v2
	ds_bpermute_b32 v7, v37, v3
	;; [unrolled: 1-line block ×4, first 2 shown]
	v_and_b32_e32 v0, 0x3c3, v0
	v_cmp_eq_u32_e32 vcc, 64, v0
	s_waitcnt lgkmcnt(2)
	v_pk_add_f32 v[2:3], v[2:3], v[6:7]
	ds_bpermute_b32 v6, v36, v2
	s_waitcnt lgkmcnt(1)
	v_pk_add_f32 v[4:5], v[4:5], v[8:9]
	ds_bpermute_b32 v7, v36, v3
	ds_bpermute_b32 v8, v36, v4
	;; [unrolled: 1-line block ×3, first 2 shown]
	s_waitcnt lgkmcnt(0)
	s_barrier
	v_pk_add_f32 v[2:3], v[2:3], v[6:7]
	v_pk_add_f32 v[4:5], v[4:5], v[8:9]
	s_and_saveexec_b64 s[0:1], vcc
	s_cbranch_execz .LBB28_63
; %bb.62:
	v_add_u32_e32 v6, 0x110, v35
	ds_write2_b32 v6, v2, v3 offset1:16
	ds_write2_b32 v6, v4, v5 offset0:32 offset1:48
.LBB28_63:
	s_or_b64 exec, exec, s[0:1]
	s_waitcnt lgkmcnt(0)
	s_barrier
	s_and_saveexec_b64 s[0:1], s[8:9]
	s_cbranch_execz .LBB28_70
; %bb.64:
	v_cmp_eq_u32_e32 vcc, 0, v33
	s_and_saveexec_b64 s[2:3], vcc
	s_cbranch_execnz .LBB28_73
; %bb.65:
	s_or_b64 exec, exec, s[2:3]
	s_and_saveexec_b64 s[2:3], vcc
	s_cbranch_execnz .LBB28_74
.LBB28_66:
	s_or_b64 exec, exec, s[2:3]
	s_and_saveexec_b64 s[2:3], vcc
	s_cbranch_execnz .LBB28_75
.LBB28_67:
	s_or_b64 exec, exec, s[2:3]
	s_and_saveexec_b64 s[2:3], vcc
	s_cbranch_execz .LBB28_69
.LBB28_68:
	v_mov_b32_e32 v6, 0x110
	v_lshl_add_u32 v6, v32, 2, v6
	ds_read_b32 v6, v6 offset:192
	s_waitcnt lgkmcnt(0)
	v_add_f32_e32 v5, v5, v6
.LBB28_69:
	s_or_b64 exec, exec, s[2:3]
.LBB28_70:
	s_or_b64 exec, exec, s[0:1]
	v_cmp_eq_u32_e32 vcc, 0, v0
	s_barrier
	s_and_saveexec_b64 s[0:1], vcc
	s_cbranch_execz .LBB28_72
; %bb.71:
	s_lshl_b32 s0, s10, 6
	s_ashr_i32 s1, s0, 31
	s_lshl_b64 s[0:1], s[0:1], 2
	s_add_u32 s2, s28, s0
	s_mul_i32 s0, s15, s14
	s_addc_u32 s3, s29, s1
	s_ashr_i32 s1, s0, 31
	s_lshl_b64 s[0:1], s[0:1], 2
	s_add_u32 s2, s2, s0
	s_addc_u32 s3, s3, s1
	s_lshl_b32 s0, s4, 6
	s_ashr_i32 s1, s0, 31
	s_lshl_b64 s[0:1], s[0:1], 2
	s_add_u32 s0, s2, s0
	s_addc_u32 s1, s3, s1
	global_store_dword v1, v2, s[0:1]
	global_store_dword v1, v3, s[0:1] offset:64
	global_store_dword v1, v4, s[0:1] offset:128
	;; [unrolled: 1-line block ×3, first 2 shown]
.LBB28_72:
	s_endpgm
.LBB28_73:
	v_mov_b32_e32 v6, 0x110
	v_lshl_add_u32 v6, v32, 2, v6
	ds_read_b32 v6, v6
	s_waitcnt lgkmcnt(0)
	v_add_f32_e32 v2, v2, v6
	s_or_b64 exec, exec, s[2:3]
	s_and_saveexec_b64 s[2:3], vcc
	s_cbranch_execz .LBB28_66
.LBB28_74:
	v_mov_b32_e32 v6, 0x110
	v_lshl_add_u32 v6, v32, 2, v6
	ds_read_b32 v6, v6 offset:64
	s_waitcnt lgkmcnt(0)
	v_add_f32_e32 v3, v3, v6
	s_or_b64 exec, exec, s[2:3]
	s_and_saveexec_b64 s[2:3], vcc
	s_cbranch_execz .LBB28_67
.LBB28_75:
	v_mov_b32_e32 v6, 0x110
	v_lshl_add_u32 v6, v32, 2, v6
	ds_read_b32 v6, v6 offset:128
	s_waitcnt lgkmcnt(0)
	v_add_f32_e32 v4, v4, v6
	s_or_b64 exec, exec, s[2:3]
	s_and_saveexec_b64 s[2:3], vcc
	s_cbranch_execnz .LBB28_68
	s_branch .LBB28_69
	.section	.rodata,"a",@progbits
	.p2align	6, 0x0
	.amdhsa_kernel _ZN4vllm25paged_attention_v2_kernelIffLi64ELi16ELi128ELNS_18Fp8KVCacheDataTypeE0ELb1ELi512EEEvPfS2_PT_PKS3_PKT0_S9_ifPKiSB_iPKfiiiSD_SD_iiiii
		.amdhsa_group_segment_fixed_size 272
		.amdhsa_private_segment_fixed_size 0
		.amdhsa_kernarg_size 400
		.amdhsa_user_sgpr_count 2
		.amdhsa_user_sgpr_dispatch_ptr 0
		.amdhsa_user_sgpr_queue_ptr 0
		.amdhsa_user_sgpr_kernarg_segment_ptr 1
		.amdhsa_user_sgpr_dispatch_id 0
		.amdhsa_user_sgpr_kernarg_preload_length 0
		.amdhsa_user_sgpr_kernarg_preload_offset 0
		.amdhsa_user_sgpr_private_segment_size 0
		.amdhsa_uses_dynamic_stack 0
		.amdhsa_enable_private_segment 0
		.amdhsa_system_sgpr_workgroup_id_x 1
		.amdhsa_system_sgpr_workgroup_id_y 1
		.amdhsa_system_sgpr_workgroup_id_z 1
		.amdhsa_system_sgpr_workgroup_info 0
		.amdhsa_system_vgpr_workitem_id 0
		.amdhsa_next_free_vgpr 60
		.amdhsa_next_free_sgpr 54
		.amdhsa_accum_offset 60
		.amdhsa_reserve_vcc 1
		.amdhsa_float_round_mode_32 0
		.amdhsa_float_round_mode_16_64 0
		.amdhsa_float_denorm_mode_32 3
		.amdhsa_float_denorm_mode_16_64 3
		.amdhsa_dx10_clamp 1
		.amdhsa_ieee_mode 1
		.amdhsa_fp16_overflow 0
		.amdhsa_tg_split 0
		.amdhsa_exception_fp_ieee_invalid_op 0
		.amdhsa_exception_fp_denorm_src 0
		.amdhsa_exception_fp_ieee_div_zero 0
		.amdhsa_exception_fp_ieee_overflow 0
		.amdhsa_exception_fp_ieee_underflow 0
		.amdhsa_exception_fp_ieee_inexact 0
		.amdhsa_exception_int_div_zero 0
	.end_amdhsa_kernel
	.section	.text._ZN4vllm25paged_attention_v2_kernelIffLi64ELi16ELi128ELNS_18Fp8KVCacheDataTypeE0ELb1ELi512EEEvPfS2_PT_PKS3_PKT0_S9_ifPKiSB_iPKfiiiSD_SD_iiiii,"axG",@progbits,_ZN4vllm25paged_attention_v2_kernelIffLi64ELi16ELi128ELNS_18Fp8KVCacheDataTypeE0ELb1ELi512EEEvPfS2_PT_PKS3_PKT0_S9_ifPKiSB_iPKfiiiSD_SD_iiiii,comdat
.Lfunc_end28:
	.size	_ZN4vllm25paged_attention_v2_kernelIffLi64ELi16ELi128ELNS_18Fp8KVCacheDataTypeE0ELb1ELi512EEEvPfS2_PT_PKS3_PKT0_S9_ifPKiSB_iPKfiiiSD_SD_iiiii, .Lfunc_end28-_ZN4vllm25paged_attention_v2_kernelIffLi64ELi16ELi128ELNS_18Fp8KVCacheDataTypeE0ELb1ELi512EEEvPfS2_PT_PKS3_PKT0_S9_ifPKiSB_iPKfiiiSD_SD_iiiii
                                        ; -- End function
	.section	.AMDGPU.csdata,"",@progbits
; Kernel info:
; codeLenInByte = 4872
; NumSgprs: 60
; NumVgprs: 60
; NumAgprs: 0
; TotalNumVgprs: 60
; ScratchSize: 0
; MemoryBound: 0
; FloatMode: 240
; IeeeMode: 1
; LDSByteSize: 272 bytes/workgroup (compile time only)
; SGPRBlocks: 7
; VGPRBlocks: 7
; NumSGPRsForWavesPerEU: 60
; NumVGPRsForWavesPerEU: 60
; AccumOffset: 60
; Occupancy: 8
; WaveLimiterHint : 1
; COMPUTE_PGM_RSRC2:SCRATCH_EN: 0
; COMPUTE_PGM_RSRC2:USER_SGPR: 2
; COMPUTE_PGM_RSRC2:TRAP_HANDLER: 0
; COMPUTE_PGM_RSRC2:TGID_X_EN: 1
; COMPUTE_PGM_RSRC2:TGID_Y_EN: 1
; COMPUTE_PGM_RSRC2:TGID_Z_EN: 1
; COMPUTE_PGM_RSRC2:TIDIG_COMP_CNT: 0
; COMPUTE_PGM_RSRC3_GFX90A:ACCUM_OFFSET: 14
; COMPUTE_PGM_RSRC3_GFX90A:TG_SPLIT: 0
	.section	.text._ZN4vllm25paged_attention_v2_kernelIffLi80ELi16ELi128ELNS_18Fp8KVCacheDataTypeE0ELb1ELi512EEEvPfS2_PT_PKS3_PKT0_S9_ifPKiSB_iPKfiiiSD_SD_iiiii,"axG",@progbits,_ZN4vllm25paged_attention_v2_kernelIffLi80ELi16ELi128ELNS_18Fp8KVCacheDataTypeE0ELb1ELi512EEEvPfS2_PT_PKS3_PKT0_S9_ifPKiSB_iPKfiiiSD_SD_iiiii,comdat
	.protected	_ZN4vllm25paged_attention_v2_kernelIffLi80ELi16ELi128ELNS_18Fp8KVCacheDataTypeE0ELb1ELi512EEEvPfS2_PT_PKS3_PKT0_S9_ifPKiSB_iPKfiiiSD_SD_iiiii ; -- Begin function _ZN4vllm25paged_attention_v2_kernelIffLi80ELi16ELi128ELNS_18Fp8KVCacheDataTypeE0ELb1ELi512EEEvPfS2_PT_PKS3_PKT0_S9_ifPKiSB_iPKfiiiSD_SD_iiiii
	.globl	_ZN4vllm25paged_attention_v2_kernelIffLi80ELi16ELi128ELNS_18Fp8KVCacheDataTypeE0ELb1ELi512EEEvPfS2_PT_PKS3_PKT0_S9_ifPKiSB_iPKfiiiSD_SD_iiiii
	.p2align	8
	.type	_ZN4vllm25paged_attention_v2_kernelIffLi80ELi16ELi128ELNS_18Fp8KVCacheDataTypeE0ELb1ELi512EEEvPfS2_PT_PKS3_PKT0_S9_ifPKiSB_iPKfiiiSD_SD_iiiii,@function
_ZN4vllm25paged_attention_v2_kernelIffLi80ELi16ELi128ELNS_18Fp8KVCacheDataTypeE0ELb1ELi512EEEvPfS2_PT_PKS3_PKT0_S9_ifPKiSB_iPKfiiiSD_SD_iiiii: ; @_ZN4vllm25paged_attention_v2_kernelIffLi80ELi16ELi128ELNS_18Fp8KVCacheDataTypeE0ELb1ELi512EEEvPfS2_PT_PKS3_PKT0_S9_ifPKiSB_iPKfiiiSD_SD_iiiii
; %bb.0:
	s_load_dwordx2 s[6:7], s[0:1], 0x40
	s_mov_b32 s28, s3
	s_ashr_i32 s29, s3, 31
	s_lshl_b64 s[8:9], s[28:29], 2
	s_waitcnt lgkmcnt(0)
	s_add_u32 s6, s6, s8
	s_addc_u32 s7, s7, s9
	s_load_dword s33, s[6:7], 0x0
	s_lshl_b32 s29, s4, 9
	s_waitcnt lgkmcnt(0)
	s_cmp_ge_i32 s29, s33
	s_cbranch_scc1 .LBB29_75
; %bb.1:
	s_load_dword s5, s[0:1], 0x90
	s_load_dwordx2 s[38:39], s[0:1], 0x30
	s_waitcnt lgkmcnt(0)
	s_abs_i32 s7, s5
	s_abs_i32 s3, s38
	v_cvt_f32_u32_e32 v1, s3
	s_sub_i32 s8, 0, s3
	s_xor_b32 s6, s5, s38
	s_ashr_i32 s6, s6, 31
	v_rcp_iflag_f32_e32 v1, v1
	s_nop 0
	v_mul_f32_e32 v1, 0x4f7ffffe, v1
	v_cvt_u32_f32_e32 v1, v1
	s_nop 0
	v_readfirstlane_b32 s9, v1
	s_mul_i32 s8, s8, s9
	s_mul_hi_u32 s8, s9, s8
	s_add_i32 s9, s9, s8
	s_mul_hi_u32 s8, s7, s9
	s_mul_i32 s9, s8, s3
	s_sub_i32 s7, s7, s9
	s_add_i32 s10, s8, 1
	s_sub_i32 s9, s7, s3
	s_cmp_ge_u32 s7, s3
	s_cselect_b32 s8, s10, s8
	s_cselect_b32 s7, s9, s7
	s_add_i32 s9, s8, 1
	s_cmp_ge_u32 s7, s3
	s_cselect_b32 s3, s9, s8
	s_xor_b32 s3, s3, s6
	s_sub_i32 s12, s3, s6
	s_abs_i32 s8, s12
	v_cvt_f32_u32_e32 v1, s8
	s_load_dwordx2 s[6:7], s[0:1], 0x50
	s_sub_i32 s10, 0, s8
	s_abs_i32 s9, s2
	v_rcp_iflag_f32_e32 v1, v1
	s_mov_b32 s3, 0
	v_mul_f32_e32 v1, 0x4f7ffffe, v1
	v_cvt_u32_f32_e32 v1, v1
	s_nop 0
	v_readfirstlane_b32 s11, v1
	s_mul_i32 s10, s10, s11
	s_mul_hi_u32 s10, s11, s10
	s_add_i32 s11, s11, s10
	s_waitcnt lgkmcnt(0)
	s_cmp_eq_u64 s[6:7], 0
	s_mul_hi_u32 s10, s9, s11
	s_cbranch_scc1 .LBB29_3
; %bb.2:
	s_ashr_i32 s3, s2, 31
	s_lshl_b64 s[14:15], s[2:3], 2
	s_add_u32 s6, s6, s14
	s_addc_u32 s7, s7, s15
	s_load_dword s3, s[6:7], 0x0
.LBB29_3:
	s_ashr_i32 s16, s12, 31
	s_load_dwordx4 s[12:15], s[0:1], 0x58
	v_lshrrev_b32_e32 v40, 2, v0
	s_waitcnt lgkmcnt(0)
	s_movk_i32 s15, 0x50
	s_ashr_i32 s11, s2, 31
	v_and_b32_e32 v41, 3, v0
	s_mul_i32 s24, s2, 0x50
	v_cmp_gt_u32_e32 vcc, s15, v0
	v_lshlrev_b32_e32 v8, 2, v0
	v_lshlrev_b32_e32 v1, 2, v40
	s_and_saveexec_b64 s[6:7], vcc
	s_cbranch_execz .LBB29_5
; %bb.4:
	s_load_dwordx2 s[18:19], s[0:1], 0x18
	s_mul_i32 s20, s28, s12
	s_ashr_i32 s21, s20, 31
	s_lshl_b64 s[20:21], s[20:21], 2
	v_mad_u32_u24 v3, v41, s15, v1
	s_waitcnt lgkmcnt(0)
	s_add_u32 s12, s18, s20
	s_addc_u32 s17, s19, s21
	s_ashr_i32 s25, s24, 31
	s_lshl_b64 s[18:19], s[24:25], 2
	s_add_u32 s18, s12, s18
	s_addc_u32 s19, s17, s19
	global_load_dword v2, v8, s[18:19]
	s_waitcnt vmcnt(0)
	ds_write_b32 v3, v2
.LBB29_5:
	s_or_b64 exec, exec, s[6:7]
	s_mul_i32 s7, s10, s8
	s_sub_i32 s7, s9, s7
	s_xor_b32 s6, s11, s16
	s_add_i32 s9, s10, 1
	s_sub_i32 s11, s7, s8
	s_load_dwordx4 s[16:19], s[0:1], 0x78
	s_cmp_ge_u32 s7, s8
	s_cselect_b32 s9, s9, s10
	s_cselect_b32 s7, s11, s7
	s_load_dword s11, s[0:1], 0x88
	s_add_i32 s10, s9, 1
	s_cmp_ge_u32 s7, s8
	s_cselect_b32 s7, s10, s9
	s_waitcnt lgkmcnt(0)
	s_abs_i32 s25, s19
	v_cvt_f32_u32_e32 v2, s25
	s_xor_b32 s7, s7, s6
	s_sub_i32 s8, s7, s6
	s_sub_i32 s6, 0, s25
	v_rcp_iflag_f32_e32 v2, v2
	s_add_i32 s12, s33, -1
	s_abs_i32 s9, s12
	v_mul_f32_e32 v2, 0x4f7ffffe, v2
	v_cvt_u32_f32_e32 v2, v2
	s_barrier
	v_readfirstlane_b32 s46, v2
	s_mul_i32 s6, s6, s46
	s_mul_hi_u32 s6, s46, s6
	s_add_i32 s46, s46, s6
	s_cmp_lt_i32 s11, 0
	s_mul_hi_u32 s10, s9, s46
	s_cbranch_scc0 .LBB29_7
; %bb.6:
	s_mul_i32 s6, s16, s38
	s_add_i32 s6, s8, s6
	s_mul_i32 s6, s6, s11
	s_sub_i32 s47, 1, s6
	s_mov_b64 s[6:7], 0
	s_branch .LBB29_8
.LBB29_7:
	s_mov_b64 s[6:7], -1
                                        ; implicit-def: $sgpr47
.LBB29_8:
	s_load_dwordx2 s[30:31], s[0:1], 0x38
	s_ashr_i32 s12, s12, 31
	s_andn2_b64 vcc, exec, s[6:7]
	s_ashr_i32 s19, s19, 31
	s_cbranch_vccnz .LBB29_10
; %bb.9:
	s_mul_i32 s6, s5, s16
	s_add_i32 s6, s6, s2
	s_mul_i32 s6, s6, s11
	s_add_i32 s47, s6, 1
.LBB29_10:
	s_load_dword s6, s[0:1], 0x48
	s_load_dwordx2 s[36:37], s[0:1], 0x28
	s_load_dword s16, s[0:1], 0x98
	s_load_dwordx4 s[20:23], s[0:1], 0x0
	s_load_dwordx2 s[26:27], s[0:1], 0x10
	s_mul_i32 s7, s10, s25
	s_waitcnt lgkmcnt(0)
	s_mul_i32 s34, s28, s6
	s_sub_i32 s7, s9, s7
	s_ashr_i32 s35, s34, 31
	s_xor_b32 s6, s12, s19
	s_add_i32 s9, s10, 1
	s_sub_i32 s11, s7, s25
	s_cmp_ge_u32 s7, s25
	s_cselect_b32 s9, s9, s10
	s_cselect_b32 s7, s11, s7
	s_add_i32 s10, s9, 1
	s_cmp_ge_u32 s7, s25
	s_cselect_b32 s7, s10, s9
	s_xor_b32 s7, s7, s6
	s_sub_i32 s49, s7, s6
	s_add_i32 s6, s33, 15
	s_ashr_i32 s7, s6, 31
	s_lshr_b32 s7, s7, 28
	s_add_i32 s6, s6, s7
	s_lshl_b32 s38, s4, 5
	s_ashr_i32 s12, s6, 4
	s_add_i32 s6, s38, 32
	v_lshrrev_b32_e32 v9, 6, v0
	s_min_i32 s48, s6, s12
	v_or_b32_e32 v32, s38, v9
	v_cmp_gt_i32_e64 s[6:7], s48, v32
	v_mov_b32_e32 v12, 0xff7fffff
	s_mul_i32 s14, s8, s14
	v_ashrrev_i32_e32 v33, 31, v32
	v_lshl_add_u32 v7, v9, 4, s29
	v_mbcnt_lo_u32_b32 v6, -1, 0
	s_and_saveexec_b64 s[40:41], s[6:7]
	s_cbranch_execz .LBB29_20
; %bb.11:
	s_load_dwordx2 s[0:1], s[0:1], 0x20
	s_ashr_i32 s15, s14, 31
	s_sub_i32 s50, s49, s17
	s_lshl_b64 s[8:9], s[14:15], 2
	v_bfe_u32 v10, v0, 2, 4
	s_waitcnt lgkmcnt(0)
	s_add_u32 s0, s0, s8
	s_addc_u32 s1, s1, s9
	s_abs_i32 s15, s18
	v_cvt_f32_u32_e32 v4, s15
	v_lshlrev_b32_e32 v2, 4, v10
	v_mov_b32_e32 v3, 0
	v_lshlrev_b32_e32 v12, 2, v10
	v_rcp_iflag_f32_e32 v11, v4
	v_lshl_add_u64 v[4:5], s[0:1], 0, v[2:3]
	v_lshlrev_b32_e32 v2, 2, v41
	v_lshl_add_u64 v[2:3], v[4:5], 0, v[2:3]
	v_mul_f32_e32 v4, 0x4f7ffffe, v11
	v_cvt_u32_f32_e32 v4, v4
	s_sub_i32 s8, 0, s15
	v_lshl_or_b32 v12, v9, 6, v12
	v_add_u32_e32 v15, 0x150, v12
	v_mul_lo_u32 v5, s8, v4
	s_lshl_b64 s[8:9], s[34:35], 2
	s_add_u32 s8, s30, s8
	v_subrev_u32_e32 v12, s33, v10
	v_mbcnt_hi_u32_b32 v18, -1, v6
	v_mul_hi_u32 v5, v4, v5
	s_addc_u32 s9, s31, s9
	v_add_u32_e32 v16, 1, v12
	v_and_b32_e32 v12, 64, v18
	v_cmp_eq_u32_e32 vcc, 0, v41
	s_mov_b32 s51, s13
	v_mul_u32_u24_e32 v11, 0x50, v41
	v_cmp_neq_f32_e64 s[0:1], s3, 0
	v_add_u32_e32 v13, v4, v5
	v_lshl_add_u64 v[4:5], v[32:33], 2, s[8:9]
	v_lshl_add_u32 v14, v9, 4, s29
	s_mov_b64 s[42:43], 0
	v_mov_b32_e32 v17, 0xff7fffff
	s_movk_i32 s52, 0x1000
	v_add_u32_e32 v19, 64, v12
	v_xor_b32_e32 v20, 2, v18
	v_xor_b32_e32 v21, 1, v18
	v_mov_b32_e32 v12, 0xff7fffff
	v_mov_b32_e32 v22, v32
	s_branch .LBB29_14
.LBB29_12:                              ;   in Loop: Header=BB29_14 Depth=1
	s_or_b64 exec, exec, s[44:45]
.LBB29_13:                              ;   in Loop: Header=BB29_14 Depth=1
	s_or_b64 exec, exec, s[10:11]
	v_add_u32_e32 v22, 2, v22
	v_cmp_le_i32_e64 s[8:9], s48, v22
	v_lshl_add_u64 v[4:5], v[4:5], 0, 8
	v_add_u32_e32 v14, 32, v14
	s_or_b64 s[42:43], s[8:9], s[42:43]
	v_add_u32_e32 v15, 0x80, v15
	s_andn2_b64 exec, exec, s[42:43]
	s_cbranch_execz .LBB29_19
.LBB29_14:                              ; =>This Inner Loop Header: Depth=1
	s_waitcnt lgkmcnt(0)
	v_sub_u32_e32 v24, 0, v14
	v_max_i32_e32 v24, v14, v24
	v_mul_hi_u32 v25, v24, s46
	v_mul_lo_u32 v26, v25, s25
	v_sub_u32_e32 v24, v24, v26
	v_add_u32_e32 v26, 1, v25
	v_cmp_le_u32_e64 s[8:9], s25, v24
	v_ashrrev_i32_e32 v23, 31, v14
	v_xor_b32_e32 v23, s19, v23
	v_cndmask_b32_e64 v25, v25, v26, s[8:9]
	v_subrev_u32_e32 v26, s25, v24
	v_cndmask_b32_e64 v24, v24, v26, s[8:9]
	v_add_u32_e32 v26, 1, v25
	v_cmp_le_u32_e64 s[8:9], s25, v24
	s_nop 1
	v_cndmask_b32_e64 v24, v25, v26, s[8:9]
	v_xor_b32_e32 v24, v24, v23
	v_sub_u32_e32 v23, v24, v23
	v_add_u32_e32 v24, s47, v23
	v_sub_u32_e32 v26, 0, v24
	v_ashrrev_i32_e32 v25, 31, v24
	v_max_i32_e32 v24, v24, v26
	v_mul_hi_u32 v26, v24, v13
	v_mul_lo_u32 v26, v26, s15
	v_sub_u32_e32 v24, v24, v26
	v_subrev_u32_e32 v26, s15, v24
	v_cmp_le_u32_e64 s[8:9], s15, v24
	v_cmp_ge_i32_e64 s[10:11], s50, v23
	s_nop 0
	v_cndmask_b32_e64 v24, v24, v26, s[8:9]
	v_subrev_u32_e32 v26, s15, v24
	v_cmp_le_u32_e64 s[8:9], s15, v24
	s_nop 1
	v_cndmask_b32_e64 v24, v24, v26, s[8:9]
	v_xor_b32_e32 v24, v24, v25
	v_sub_u32_e32 v24, v24, v25
	v_cmp_ne_u32_e64 s[8:9], 0, v24
	s_and_b64 s[8:9], s[8:9], s[10:11]
	s_and_b64 s[44:45], vcc, s[8:9]
	s_and_saveexec_b64 s[10:11], s[44:45]
	s_cbranch_execz .LBB29_16
; %bb.15:                               ;   in Loop: Header=BB29_14 Depth=1
	ds_write_b32 v15, v17
.LBB29_16:                              ;   in Loop: Header=BB29_14 Depth=1
	s_or_b64 exec, exec, s[10:11]
	s_xor_b64 s[8:9], s[8:9], -1
	s_and_saveexec_b64 s[10:11], s[8:9]
	s_cbranch_execz .LBB29_13
; %bb.17:                               ;   in Loop: Header=BB29_14 Depth=1
	global_load_dword v23, v[4:5], off
	s_waitcnt vmcnt(0)
	v_mad_i64_i32 v[24:25], s[8:9], v23, s51, 0
	v_lshl_add_u64 v[24:25], v[24:25], 2, v[2:3]
	global_load_dword v23, v[24:25], off
	global_load_dword v38, v[24:25], off offset:256
	global_load_dword v39, v[24:25], off offset:512
	;; [unrolled: 1-line block ×15, first 2 shown]
	v_add_co_u32_e64 v24, s[8:9], s52, v24
	s_nop 1
	v_addc_co_u32_e64 v25, s[8:9], 0, v25, s[8:9]
	global_load_dword v63, v[24:25], off
	global_load_dword v64, v[24:25], off offset:256
	global_load_dword v65, v[24:25], off offset:512
	global_load_dword v66, v[24:25], off offset:768
	ds_read_b128 v[24:27], v11
	ds_read_b128 v[28:31], v11 offset:16
	ds_read_b128 v[34:37], v11 offset:32
	;; [unrolled: 1-line block ×4, first 2 shown]
	v_cmp_lt_i32_e64 s[8:9], v20, v19
	s_waitcnt vmcnt(18) lgkmcnt(4)
	v_mul_f32_e32 v25, v25, v38
	v_fmac_f32_e32 v25, v24, v23
	s_waitcnt vmcnt(17)
	v_fmac_f32_e32 v25, v26, v39
	s_waitcnt vmcnt(16)
	v_fmac_f32_e32 v25, v27, v50
	s_waitcnt vmcnt(15) lgkmcnt(3)
	v_fmac_f32_e32 v25, v28, v51
	s_waitcnt vmcnt(14)
	v_fmac_f32_e32 v25, v29, v52
	s_waitcnt vmcnt(13)
	v_fmac_f32_e32 v25, v30, v53
	s_waitcnt vmcnt(12)
	v_fmac_f32_e32 v25, v31, v54
	s_waitcnt vmcnt(11) lgkmcnt(2)
	v_fmac_f32_e32 v25, v34, v55
	s_waitcnt vmcnt(10)
	;; [unrolled: 8-line block ×3, first 2 shown]
	v_fmac_f32_e32 v25, v43, v60
	s_waitcnt vmcnt(5)
	v_fmac_f32_e32 v25, v44, v61
	s_waitcnt vmcnt(4)
	v_fmac_f32_e32 v25, v45, v62
	v_cndmask_b32_e64 v67, v18, v20, s[8:9]
	s_waitcnt vmcnt(3) lgkmcnt(0)
	v_fmac_f32_e32 v25, v46, v63
	s_waitcnt vmcnt(2)
	v_fmac_f32_e32 v25, v47, v64
	s_waitcnt vmcnt(1)
	v_fmac_f32_e32 v25, v48, v65
	v_lshlrev_b32_e32 v67, 2, v67
	s_waitcnt vmcnt(0)
	v_fmac_f32_e32 v25, v49, v66
	ds_bpermute_b32 v23, v67, v25
	v_cmp_lt_i32_e64 s[8:9], v21, v19
	s_waitcnt lgkmcnt(0)
	v_add_f32_e32 v23, v25, v23
	v_cndmask_b32_e64 v24, v18, v21, s[8:9]
	v_lshlrev_b32_e32 v24, 2, v24
	ds_bpermute_b32 v24, v24, v23
	s_and_saveexec_b64 s[44:45], vcc
	s_cbranch_execz .LBB29_12
; %bb.18:                               ;   in Loop: Header=BB29_14 Depth=1
	v_add_u32_e32 v25, v16, v14
	v_cvt_f32_i32_e32 v25, v25
	s_waitcnt lgkmcnt(0)
	v_add_f32_e32 v23, v23, v24
	v_add_u32_e32 v26, v10, v14
	v_cmp_gt_i32_e64 s[8:9], s33, v26
	v_mul_f32_e32 v24, s3, v25
	v_cndmask_b32_e64 v24, 0, v24, s[0:1]
	v_fmac_f32_e32 v24, s39, v23
	v_cndmask_b32_e64 v23, 0, v24, s[8:9]
	ds_write_b32 v15, v23
	v_max_f32_e32 v23, v12, v12
	v_max_f32_e32 v23, v23, v24
	v_cndmask_b32_e64 v12, v12, v23, s[8:9]
	s_branch .LBB29_12
.LBB29_19:
	s_or_b64 exec, exec, s[42:43]
.LBB29_20:
	s_or_b64 exec, exec, s[40:41]
	v_mbcnt_hi_u32_b32 v2, -1, v6
	v_and_b32_e32 v3, 64, v2
	v_add_u32_e32 v3, 64, v3
	v_xor_b32_e32 v4, 32, v2
	v_cmp_lt_i32_e32 vcc, v4, v3
	v_xor_b32_e32 v10, 16, v2
	v_max_f32_e32 v6, v12, v12
	v_cndmask_b32_e32 v4, v2, v4, vcc
	v_lshlrev_b32_e32 v5, 2, v4
	ds_bpermute_b32 v4, v5, v12
	v_cmp_lt_i32_e32 vcc, v10, v3
	v_xor_b32_e32 v11, 8, v2
	v_and_b32_e32 v42, 63, v0
	s_waitcnt lgkmcnt(0)
	v_max_f32_e32 v4, v4, v4
	v_max_f32_e32 v4, v6, v4
	v_cndmask_b32_e32 v6, v2, v10, vcc
	v_lshlrev_b32_e32 v6, 2, v6
	ds_bpermute_b32 v10, v6, v4
	v_cmp_lt_i32_e32 vcc, v11, v3
	s_waitcnt lgkmcnt(0)
	v_max_f32_e32 v10, v10, v10
	v_max_f32_e32 v4, v4, v10
	v_cndmask_b32_e32 v10, v2, v11, vcc
	v_lshlrev_b32_e32 v12, 2, v10
	ds_bpermute_b32 v10, v12, v4
	v_xor_b32_e32 v11, 4, v2
	v_cmp_lt_i32_e32 vcc, v11, v3
	s_waitcnt lgkmcnt(0)
	v_max_f32_e32 v10, v10, v10
	v_max_f32_e32 v4, v4, v10
	v_cndmask_b32_e32 v10, v2, v11, vcc
	v_lshlrev_b32_e32 v13, 2, v10
	ds_bpermute_b32 v11, v13, v4
	v_cmp_eq_u32_e32 vcc, 0, v42
	v_lshlrev_b32_e32 v10, 2, v9
	s_and_saveexec_b64 s[0:1], vcc
	s_cbranch_execz .LBB29_22
; %bb.21:
	s_waitcnt lgkmcnt(0)
	v_max_f32_e32 v11, v11, v11
	v_max_f32_e32 v4, v4, v4
	v_max_f32_e32 v4, v4, v11
	ds_write_b32 v10, v4 offset:320
.LBB29_22:
	s_or_b64 exec, exec, s[0:1]
	v_cmp_gt_u32_e64 s[0:1], 2, v42
	v_mov_b32_e32 v4, 0xff7fffff
	s_waitcnt lgkmcnt(0)
	v_lshlrev_b32_e32 v11, 2, v42
	s_barrier
	s_and_saveexec_b64 s[8:9], s[0:1]
	s_cbranch_execz .LBB29_24
; %bb.23:
	ds_read_b32 v4, v11 offset:320
.LBB29_24:
	s_or_b64 exec, exec, s[8:9]
	v_xor_b32_e32 v14, 1, v2
	v_cmp_lt_i32_e64 s[8:9], v14, v3
	s_sub_i32 s3, s48, s38
	s_lshl_b32 s3, s3, 4
	v_cndmask_b32_e64 v14, v2, v14, s[8:9]
	v_lshlrev_b32_e32 v43, 2, v14
	s_waitcnt lgkmcnt(0)
	ds_bpermute_b32 v14, v43, v4
	v_max_f32_e32 v4, v4, v4
	s_add_i32 s3, s3, s29
	s_min_i32 s15, s3, s33
	s_sub_i32 s3, s15, s29
	s_waitcnt lgkmcnt(0)
	v_max_f32_e32 v14, v14, v14
	v_max_f32_e32 v4, v4, v14
	v_lshlrev_b32_e32 v14, 2, v2
	v_and_b32_e32 v14, 0x100, v14
	ds_bpermute_b32 v4, v14, v4
	v_cmp_gt_i32_e64 s[8:9], s3, v0
	v_mov_b32_e32 v15, 0
	s_and_saveexec_b64 s[38:39], s[8:9]
	s_cbranch_execz .LBB29_28
; %bb.25:
	v_mov_b32_e32 v15, 0x150
	v_lshl_add_u32 v16, v0, 2, v15
	s_mov_b64 s[40:41], 0
	v_mov_b32_e32 v15, 0
	v_mov_b32_e32 v17, v0
.LBB29_26:                              ; =>This Inner Loop Header: Depth=1
	ds_read_b32 v18, v16
	v_add_u32_e32 v17, 0x80, v17
	v_cmp_le_i32_e64 s[10:11], s3, v17
	s_or_b64 s[40:41], s[10:11], s[40:41]
	s_waitcnt lgkmcnt(0)
	v_sub_f32_e32 v18, v18, v4
	v_mul_f32_e32 v18, 0x3fb8aa3b, v18
	v_exp_f32_e32 v18, v18
	ds_write_b32 v16, v18
	v_add_f32_e32 v15, v15, v18
	v_add_u32_e32 v16, 0x200, v16
	s_andn2_b64 exec, exec, s[40:41]
	s_cbranch_execnz .LBB29_26
; %bb.27:
	s_or_b64 exec, exec, s[40:41]
.LBB29_28:
	s_or_b64 exec, exec, s[38:39]
	ds_bpermute_b32 v5, v5, v15
	s_waitcnt lgkmcnt(0)
	v_add_f32_e32 v5, v15, v5
	ds_bpermute_b32 v6, v6, v5
	s_waitcnt lgkmcnt(0)
	v_add_f32_e32 v5, v5, v6
	ds_bpermute_b32 v6, v12, v5
	v_xor_b32_e32 v12, 2, v2
	v_cmp_lt_i32_e64 s[10:11], v12, v3
	s_waitcnt lgkmcnt(0)
	v_add_f32_e32 v5, v5, v6
	ds_bpermute_b32 v6, v13, v5
	v_cndmask_b32_e64 v2, v2, v12, s[10:11]
	v_lshlrev_b32_e32 v44, 2, v2
	s_waitcnt lgkmcnt(0)
	v_add_f32_e32 v3, v5, v6
	ds_bpermute_b32 v2, v44, v3
	s_waitcnt lgkmcnt(0)
	v_add_f32_e32 v2, v3, v2
	ds_bpermute_b32 v3, v43, v2
	s_waitcnt lgkmcnt(0)
	v_add_f32_e32 v2, v2, v3
	s_and_saveexec_b64 s[10:11], vcc
	s_cbranch_execz .LBB29_30
; %bb.29:
	ds_write_b32 v10, v2 offset:328
.LBB29_30:
	s_or_b64 exec, exec, s[10:11]
	s_waitcnt lgkmcnt(0)
	s_barrier
	s_and_saveexec_b64 s[10:11], s[0:1]
	s_cbranch_execz .LBB29_32
; %bb.31:
	ds_read_b32 v2, v11 offset:328
.LBB29_32:
	s_or_b64 exec, exec, s[10:11]
	s_waitcnt lgkmcnt(0)
	ds_bpermute_b32 v3, v43, v2
	s_waitcnt lgkmcnt(0)
	v_add_f32_e32 v2, v2, v3
	ds_bpermute_b32 v5, v14, v2
	s_and_saveexec_b64 s[0:1], s[8:9]
	s_cbranch_execz .LBB29_45
; %bb.33:
	s_waitcnt lgkmcnt(0)
	v_add_f32_e32 v2, 0x358637bd, v5
	v_div_scale_f32 v3, s[8:9], v2, v2, 1.0
	v_rcp_f32_e32 v6, v3
	v_div_scale_f32 v10, vcc, 1.0, v2, 1.0
	s_movk_i32 s8, 0x7f
	v_fma_f32 v11, -v3, v6, 1.0
	v_fmac_f32_e32 v6, v11, v6
	v_mul_f32_e32 v11, v10, v6
	v_fma_f32 v12, -v3, v11, v10
	v_fmac_f32_e32 v11, v12, v6
	v_fma_f32 v3, -v3, v11, v10
	v_div_fmas_f32 v3, v3, v6, v11
	v_div_fixup_f32 v2, v3, v2, 1.0
	v_xad_u32 v3, v0, -1, s15
	v_subrev_u32_e32 v6, s29, v3
	v_cmp_lt_u32_e32 vcc, s8, v6
	s_mov_b64 s[10:11], -1
	v_mov_b32_e32 v3, v0
	s_and_saveexec_b64 s[8:9], vcc
	s_cbranch_execz .LBB29_42
; %bb.34:
	v_lshrrev_b32_e32 v6, 7, v6
	v_add_u32_e32 v11, -1, v6
	v_lshrrev_b32_e32 v10, 1, v11
	v_mov_b32_e32 v3, v2
	v_add_u32_e32 v10, 1, v10
	v_cmp_lt_u32_e32 vcc, 13, v11
	v_mov_b32_e32 v13, 0
	s_and_saveexec_b64 s[10:11], vcc
	s_cbranch_execz .LBB29_38
; %bb.35:
	v_mov_b32_e32 v12, 0x150
	v_and_b32_e32 v11, -8, v10
	v_lshl_add_u32 v12, v0, 2, v12
	s_mov_b32 s15, 0
	s_mov_b64 s[38:39], 0
.LBB29_36:                              ; =>This Inner Loop Header: Depth=1
	ds_read2st64_b32 v[14:15], v12 offset1:2
	ds_read2st64_b32 v[16:17], v12 offset0:4 offset1:6
	ds_read2st64_b32 v[18:19], v12 offset0:8 offset1:10
	;; [unrolled: 1-line block ×3, first 2 shown]
	v_add_u32_e32 v11, -8, v11
	s_waitcnt lgkmcnt(3)
	v_pk_mul_f32 v[14:15], v[2:3], v[14:15]
	s_waitcnt lgkmcnt(2)
	v_pk_mul_f32 v[16:17], v[2:3], v[16:17]
	ds_write2st64_b32 v12, v14, v15 offset1:2
	ds_write2st64_b32 v12, v16, v17 offset0:4 offset1:6
	ds_read2st64_b32 v[16:17], v12 offset0:16 offset1:18
	s_waitcnt lgkmcnt(4)
	v_pk_mul_f32 v[14:15], v[2:3], v[18:19]
	ds_write2st64_b32 v12, v14, v15 offset0:8 offset1:10
	s_waitcnt lgkmcnt(4)
	v_pk_mul_f32 v[14:15], v[2:3], v[20:21]
	ds_write2st64_b32 v12, v14, v15 offset0:12 offset1:14
	ds_read2st64_b32 v[14:15], v12 offset0:20 offset1:22
	s_waitcnt lgkmcnt(3)
	v_pk_mul_f32 v[16:17], v[2:3], v[16:17]
	ds_read2st64_b32 v[18:19], v12 offset0:24 offset1:26
	ds_write2st64_b32 v12, v16, v17 offset0:16 offset1:18
	ds_read2st64_b32 v[16:17], v12 offset0:28 offset1:30
	s_waitcnt lgkmcnt(3)
	v_pk_mul_f32 v[14:15], v[2:3], v[14:15]
	ds_write2st64_b32 v12, v14, v15 offset0:20 offset1:22
	s_waitcnt lgkmcnt(3)
	v_pk_mul_f32 v[14:15], v[2:3], v[18:19]
	ds_write2st64_b32 v12, v14, v15 offset0:24 offset1:26
	s_waitcnt lgkmcnt(2)
	v_pk_mul_f32 v[14:15], v[2:3], v[16:17]
	s_add_i32 s15, s15, 16
	v_cmp_eq_u32_e32 vcc, 0, v11
	ds_write2st64_b32 v12, v14, v15 offset0:28 offset1:30
	v_add_u32_e32 v12, 0x2000, v12
	s_or_b64 s[38:39], vcc, s[38:39]
	v_mov_b32_e32 v13, s15
	s_andn2_b64 exec, exec, s[38:39]
	s_cbranch_execnz .LBB29_36
; %bb.37:
	s_or_b64 exec, exec, s[38:39]
.LBB29_38:
	s_or_b64 exec, exec, s[10:11]
	v_and_b32_e32 v10, 7, v10
	v_cmp_ne_u32_e32 vcc, 0, v10
	s_and_saveexec_b64 s[10:11], vcc
	s_cbranch_execz .LBB29_41
; %bb.39:
	v_lshlrev_b32_e32 v11, 9, v13
	s_movk_i32 s15, 0x150
	v_add3_u32 v11, v11, v8, s15
	s_mov_b64 s[38:39], 0
.LBB29_40:                              ; =>This Inner Loop Header: Depth=1
	ds_read2st64_b32 v[12:13], v11 offset1:2
	v_add_u32_e32 v10, -1, v10
	v_cmp_eq_u32_e32 vcc, 0, v10
	s_or_b64 s[38:39], vcc, s[38:39]
	s_waitcnt lgkmcnt(0)
	v_pk_mul_f32 v[12:13], v[2:3], v[12:13]
	ds_write2st64_b32 v11, v12, v13 offset1:2
	v_add_u32_e32 v11, 0x400, v11
	s_andn2_b64 exec, exec, s[38:39]
	s_cbranch_execnz .LBB29_40
.LBB29_41:
	s_or_b64 exec, exec, s[10:11]
	v_add_u32_e32 v6, 1, v6
	v_and_b32_e32 v10, 0x3fffffe, v6
	v_cmp_ne_u32_e32 vcc, v6, v10
	v_lshl_add_u32 v3, v10, 7, v0
	s_orn2_b64 s[10:11], vcc, exec
.LBB29_42:
	s_or_b64 exec, exec, s[8:9]
	s_and_b64 exec, exec, s[10:11]
	s_cbranch_execz .LBB29_45
; %bb.43:
	v_mov_b32_e32 v6, 0x150
	v_lshl_add_u32 v6, v3, 2, v6
	s_mov_b64 s[8:9], 0
.LBB29_44:                              ; =>This Inner Loop Header: Depth=1
	ds_read_b32 v10, v6
	v_add_u32_e32 v3, 0x80, v3
	v_cmp_le_i32_e32 vcc, s3, v3
	s_or_b64 s[8:9], vcc, s[8:9]
	s_waitcnt lgkmcnt(0)
	v_mul_f32_e32 v10, v2, v10
	ds_write_b32 v6, v10
	v_add_u32_e32 v6, 0x200, v6
	s_andn2_b64 exec, exec, s[8:9]
	s_cbranch_execnz .LBB29_44
.LBB29_45:
	s_or_b64 exec, exec, s[0:1]
	s_mul_i32 s0, s16, s28
	v_cmp_eq_u32_e32 vcc, 0, v0
	s_mul_i32 s28, s0, s5
	s_waitcnt lgkmcnt(0)
	s_barrier
	s_and_saveexec_b64 s[0:1], vcc
	s_cbranch_execz .LBB29_47
; %bb.46:
	s_ashr_i32 s29, s28, 31
	s_lshl_b64 s[8:9], s[28:29], 2
	s_add_u32 s5, s22, s8
	s_mul_i32 s2, s16, s2
	s_addc_u32 s10, s23, s9
	s_ashr_i32 s3, s2, 31
	s_lshl_b64 s[2:3], s[2:3], 2
	s_add_u32 s15, s5, s2
	s_addc_u32 s23, s10, s3
	s_ashr_i32 s5, s4, 31
	s_lshl_b64 s[10:11], s[4:5], 2
	s_add_u32 s22, s15, s10
	s_addc_u32 s23, s23, s11
	s_add_u32 s5, s20, s8
	s_addc_u32 s8, s21, s9
	;; [unrolled: 2-line block ×3, first 2 shown]
	s_add_u32 s2, s2, s10
	v_mov_b32_e32 v2, 0
	s_addc_u32 s3, s3, s11
	global_store_dword v2, v4, s[22:23]
	global_store_dword v2, v5, s[2:3]
.LBB29_47:
	s_or_b64 exec, exec, s[0:1]
	s_mov_b32 s8, 0
	v_mov_b32_e32 v6, 0
	v_mov_b32_e32 v5, 0
	;; [unrolled: 1-line block ×5, first 2 shown]
	s_and_saveexec_b64 s[2:3], s[6:7]
	s_cbranch_execz .LBB29_63
; %bb.48:
	s_ashr_i32 s15, s14, 31
	s_sub_i32 s5, s49, s17
	s_lshl_b64 s[0:1], s[14:15], 2
	s_add_u32 s6, s36, s0
	s_addc_u32 s7, s37, s1
	s_abs_i32 s17, s18
	v_cvt_f32_u32_e32 v2, s17
	s_sub_i32 s0, 0, s17
	s_add_i32 s18, s12, -1
	v_and_b32_e32 v45, 12, v8
	v_rcp_iflag_f32_e32 v2, v2
	v_and_b32_e32 v8, 0xfc, v8
	v_or_b32_e32 v10, 0x400, v8
	s_mov_b32 s9, s8
	v_mul_f32_e32 v2, 0x4f7ffffe, v2
	v_cvt_u32_f32_e32 v2, v2
	s_mov_b32 s10, s8
	s_mov_b32 s11, s8
	;; [unrolled: 1-line block ×3, first 2 shown]
	v_mul_lo_u32 v3, s0, v2
	v_mul_hi_u32 v3, v2, v3
	s_lshl_b64 s[0:1], s[34:35], 2
	v_add_u32_e32 v46, v2, v3
	s_add_u32 s0, s30, s0
	v_lshlrev_b32_e32 v2, 4, v41
	s_addc_u32 s1, s31, s1
	v_lshl_or_b32 v2, v9, 6, v2
	v_lshl_add_u64 v[36:37], v[32:33], 2, s[0:1]
	v_add_u32_e32 v33, 0x150, v2
	v_mov_b32_e32 v2, s8
	v_mov_b32_e32 v35, 0
	s_mov_b64 s[14:15], 0
	v_mov_b32_e32 v3, s9
	v_mov_b32_e32 v4, s10
	;; [unrolled: 1-line block ×4, first 2 shown]
	v_lshlrev_b32_e32 v38, 2, v8
	v_lshlrev_b32_e32 v34, 2, v10
	s_branch .LBB29_51
.LBB29_49:                              ;   in Loop: Header=BB29_51 Depth=1
	s_or_b64 exec, exec, s[0:1]
	s_waitcnt vmcnt(4) lgkmcnt(0)
	v_mul_f32_e32 v13, v9, v13
	v_fmac_f32_e32 v13, v8, v12
	s_waitcnt vmcnt(3)
	v_mul_f32_e32 v12, v9, v17
	v_fmac_f32_e32 v12, v8, v16
	v_fmac_f32_e32 v12, v10, v18
	;; [unrolled: 1-line block ×3, first 2 shown]
	v_add_f32_e32 v3, v3, v12
	s_waitcnt vmcnt(2)
	v_mul_f32_e32 v12, v9, v21
	v_fmac_f32_e32 v12, v8, v20
	v_fmac_f32_e32 v12, v10, v22
	;; [unrolled: 1-line block ×3, first 2 shown]
	v_add_f32_e32 v4, v4, v12
	s_waitcnt vmcnt(1)
	v_mul_f32_e32 v12, v9, v25
	s_waitcnt vmcnt(0)
	v_mul_f32_e32 v9, v9, v29
	v_fmac_f32_e32 v12, v8, v24
	v_fmac_f32_e32 v9, v8, v28
	;; [unrolled: 1-line block ×8, first 2 shown]
	v_add_f32_e32 v2, v2, v13
	v_add_f32_e32 v5, v5, v12
	;; [unrolled: 1-line block ×3, first 2 shown]
.LBB29_50:                              ;   in Loop: Header=BB29_51 Depth=1
	s_or_b64 exec, exec, s[8:9]
	v_add_u32_e32 v32, 2, v32
	v_cmp_le_i32_e32 vcc, s48, v32
	v_lshl_add_u64 v[36:37], v[36:37], 0, 8
	v_add_u32_e32 v7, 32, v7
	s_or_b64 s[14:15], vcc, s[14:15]
	v_add_u32_e32 v33, 0x80, v33
	s_andn2_b64 exec, exec, s[14:15]
	s_cbranch_execz .LBB29_62
.LBB29_51:                              ; =>This Inner Loop Header: Depth=1
	v_sub_u32_e32 v9, 0, v7
	v_max_i32_e32 v9, v7, v9
	v_mul_hi_u32 v10, v9, s46
	v_mul_lo_u32 v11, v10, s25
	v_sub_u32_e32 v9, v9, v11
	v_add_u32_e32 v11, 1, v10
	v_cmp_le_u32_e32 vcc, s25, v9
	v_ashrrev_i32_e32 v8, 31, v7
	v_xor_b32_e32 v8, s19, v8
	v_cndmask_b32_e32 v10, v10, v11, vcc
	v_subrev_u32_e32 v11, s25, v9
	v_cndmask_b32_e32 v9, v9, v11, vcc
	v_add_u32_e32 v11, 1, v10
	v_cmp_le_u32_e32 vcc, s25, v9
	s_nop 1
	v_cndmask_b32_e32 v9, v10, v11, vcc
	v_xor_b32_e32 v9, v9, v8
	v_sub_u32_e32 v8, v9, v8
	v_add_u32_e32 v9, s47, v8
	v_sub_u32_e32 v11, 0, v9
	v_ashrrev_i32_e32 v10, 31, v9
	v_max_i32_e32 v9, v9, v11
	v_mul_hi_u32 v11, v9, v46
	v_mul_lo_u32 v11, v11, s17
	v_sub_u32_e32 v9, v9, v11
	v_subrev_u32_e32 v11, s17, v9
	v_cmp_le_u32_e32 vcc, s17, v9
	v_cmp_lt_i32_e64 s[0:1], s5, v8
	s_nop 0
	v_cndmask_b32_e32 v9, v9, v11, vcc
	v_subrev_u32_e32 v11, s17, v9
	v_cmp_le_u32_e32 vcc, s17, v9
	s_nop 1
	v_cndmask_b32_e32 v9, v9, v11, vcc
	v_xor_b32_e32 v9, v9, v10
	v_sub_u32_e32 v9, v9, v10
	v_cmp_eq_u32_e32 vcc, 0, v9
	s_or_b64 s[0:1], vcc, s[0:1]
	s_and_saveexec_b64 s[8:9], s[0:1]
	s_cbranch_execz .LBB29_50
; %bb.52:                               ;   in Loop: Header=BB29_51 Depth=1
	global_load_dword v8, v[36:37], off
	v_mov_b32_e32 v39, v35
	v_cmp_eq_u32_e32 vcc, s18, v32
	s_waitcnt vmcnt(0)
	v_mad_i64_i32 v[8:9], s[0:1], v8, s13, 0
	v_lshl_add_u64 v[28:29], v[8:9], 2, s[6:7]
	v_lshl_add_u64 v[24:25], v[28:29], 0, v[38:39]
	global_load_dwordx4 v[12:15], v[24:25], off
	ds_read_b128 v[8:11], v33
	v_add_u32_e32 v39, v45, v7
	v_add_u32_e32 v49, 1, v39
	;; [unrolled: 1-line block ×4, first 2 shown]
	s_and_saveexec_b64 s[10:11], vcc
	s_cbranch_execnz .LBB29_59
; %bb.53:                               ;   in Loop: Header=BB29_51 Depth=1
	s_or_b64 exec, exec, s[10:11]
	global_load_dwordx4 v[16:19], v[24:25], off offset:1024
	s_and_saveexec_b64 s[10:11], vcc
	s_cbranch_execnz .LBB29_60
.LBB29_54:                              ;   in Loop: Header=BB29_51 Depth=1
	s_or_b64 exec, exec, s[10:11]
	global_load_dwordx4 v[20:23], v[24:25], off offset:2048
	s_and_saveexec_b64 s[10:11], vcc
	s_cbranch_execnz .LBB29_61
.LBB29_55:                              ;   in Loop: Header=BB29_51 Depth=1
	s_or_b64 exec, exec, s[10:11]
	global_load_dwordx4 v[24:27], v[24:25], off offset:3072
	s_and_saveexec_b64 s[10:11], vcc
	s_cbranch_execz .LBB29_57
.LBB29_56:                              ;   in Loop: Header=BB29_51 Depth=1
	v_cmp_gt_i32_e64 s[0:1], s33, v39
	s_waitcnt vmcnt(0)
	s_nop 0
	v_cndmask_b32_e64 v24, 0, v24, s[0:1]
	v_cmp_gt_i32_e64 s[0:1], s33, v49
	s_nop 1
	v_cndmask_b32_e64 v25, 0, v25, s[0:1]
	v_cmp_gt_i32_e64 s[0:1], s33, v48
	;; [unrolled: 3-line block ×3, first 2 shown]
	s_nop 1
	v_cndmask_b32_e64 v27, 0, v27, s[0:1]
.LBB29_57:                              ;   in Loop: Header=BB29_51 Depth=1
	s_or_b64 exec, exec, s[10:11]
	v_lshl_add_u64 v[28:29], v[28:29], 0, v[34:35]
	global_load_dwordx4 v[28:31], v[28:29], off
	s_and_saveexec_b64 s[0:1], vcc
	s_cbranch_execz .LBB29_49
; %bb.58:                               ;   in Loop: Header=BB29_51 Depth=1
	v_cmp_gt_i32_e32 vcc, s33, v39
	s_waitcnt vmcnt(0)
	s_nop 0
	v_cndmask_b32_e32 v28, 0, v28, vcc
	v_cmp_gt_i32_e32 vcc, s33, v49
	s_nop 1
	v_cndmask_b32_e32 v29, 0, v29, vcc
	v_cmp_gt_i32_e32 vcc, s33, v48
	;; [unrolled: 3-line block ×3, first 2 shown]
	s_nop 1
	v_cndmask_b32_e32 v31, 0, v31, vcc
	s_branch .LBB29_49
.LBB29_59:                              ;   in Loop: Header=BB29_51 Depth=1
	v_cmp_gt_i32_e64 s[0:1], s33, v39
	s_waitcnt vmcnt(0)
	s_nop 0
	v_cndmask_b32_e64 v12, 0, v12, s[0:1]
	v_cmp_gt_i32_e64 s[0:1], s33, v49
	s_nop 1
	v_cndmask_b32_e64 v13, 0, v13, s[0:1]
	v_cmp_gt_i32_e64 s[0:1], s33, v48
	;; [unrolled: 3-line block ×3, first 2 shown]
	s_nop 1
	v_cndmask_b32_e64 v15, 0, v15, s[0:1]
	s_or_b64 exec, exec, s[10:11]
	global_load_dwordx4 v[16:19], v[24:25], off offset:1024
	s_and_saveexec_b64 s[10:11], vcc
	s_cbranch_execz .LBB29_54
.LBB29_60:                              ;   in Loop: Header=BB29_51 Depth=1
	v_cmp_gt_i32_e64 s[0:1], s33, v39
	s_waitcnt vmcnt(0)
	s_nop 0
	v_cndmask_b32_e64 v16, 0, v16, s[0:1]
	v_cmp_gt_i32_e64 s[0:1], s33, v49
	s_nop 1
	v_cndmask_b32_e64 v17, 0, v17, s[0:1]
	v_cmp_gt_i32_e64 s[0:1], s33, v48
	;; [unrolled: 3-line block ×3, first 2 shown]
	s_nop 1
	v_cndmask_b32_e64 v19, 0, v19, s[0:1]
	s_or_b64 exec, exec, s[10:11]
	global_load_dwordx4 v[20:23], v[24:25], off offset:2048
	s_and_saveexec_b64 s[10:11], vcc
	s_cbranch_execz .LBB29_55
.LBB29_61:                              ;   in Loop: Header=BB29_51 Depth=1
	v_cmp_gt_i32_e64 s[0:1], s33, v39
	s_waitcnt vmcnt(0)
	s_nop 0
	v_cndmask_b32_e64 v20, 0, v20, s[0:1]
	v_cmp_gt_i32_e64 s[0:1], s33, v49
	s_nop 1
	v_cndmask_b32_e64 v21, 0, v21, s[0:1]
	v_cmp_gt_i32_e64 s[0:1], s33, v48
	;; [unrolled: 3-line block ×3, first 2 shown]
	s_nop 1
	v_cndmask_b32_e64 v23, 0, v23, s[0:1]
	s_or_b64 exec, exec, s[10:11]
	global_load_dwordx4 v[24:27], v[24:25], off offset:3072
	s_and_saveexec_b64 s[10:11], vcc
	s_cbranch_execnz .LBB29_56
	s_branch .LBB29_57
.LBB29_62:
	s_or_b64 exec, exec, s[14:15]
.LBB29_63:
	s_or_b64 exec, exec, s[2:3]
	ds_bpermute_b32 v8, v44, v2
	ds_bpermute_b32 v9, v44, v3
	;; [unrolled: 1-line block ×5, first 2 shown]
	s_waitcnt lgkmcnt(0)
	v_pk_add_f32 v[2:3], v[2:3], v[8:9]
	ds_bpermute_b32 v8, v43, v2
	v_pk_add_f32 v[4:5], v[4:5], v[10:11]
	ds_bpermute_b32 v9, v43, v3
	ds_bpermute_b32 v10, v43, v4
	;; [unrolled: 1-line block ×3, first 2 shown]
	v_add_f32_e32 v12, v6, v7
	ds_bpermute_b32 v13, v43, v12
	s_waitcnt lgkmcnt(3)
	v_pk_add_f32 v[6:7], v[2:3], v[8:9]
	s_barrier
	s_waitcnt lgkmcnt(1)
	v_pk_add_f32 v[2:3], v[4:5], v[10:11]
	v_and_b32_e32 v5, 0x3c3, v0
	s_waitcnt lgkmcnt(0)
	v_add_f32_e32 v4, v12, v13
	v_cmp_eq_u32_e32 vcc, 64, v5
	s_and_saveexec_b64 s[0:1], vcc
	s_cbranch_execz .LBB29_65
; %bb.64:
	v_add_u32_e32 v8, 0x150, v42
	ds_write2_b32 v8, v6, v7 offset1:16
	ds_write2_b32 v8, v2, v3 offset0:32 offset1:48
	ds_write_b32 v8, v4 offset:256
.LBB29_65:
	s_or_b64 exec, exec, s[0:1]
	v_cmp_gt_u32_e32 vcc, 64, v0
	s_waitcnt lgkmcnt(0)
	s_barrier
	s_and_saveexec_b64 s[0:1], vcc
	s_cbranch_execz .LBB29_73
; %bb.66:
	v_cmp_eq_u32_e32 vcc, 0, v41
	s_and_saveexec_b64 s[2:3], vcc
	s_cbranch_execnz .LBB29_76
; %bb.67:
	s_or_b64 exec, exec, s[2:3]
	s_and_saveexec_b64 s[2:3], vcc
	s_cbranch_execnz .LBB29_77
.LBB29_68:
	s_or_b64 exec, exec, s[2:3]
	s_and_saveexec_b64 s[2:3], vcc
	s_cbranch_execnz .LBB29_78
.LBB29_69:
	s_or_b64 exec, exec, s[2:3]
	s_and_saveexec_b64 s[2:3], vcc
	s_cbranch_execnz .LBB29_79
.LBB29_70:
	s_or_b64 exec, exec, s[2:3]
	s_and_saveexec_b64 s[2:3], vcc
	s_cbranch_execz .LBB29_72
.LBB29_71:
	v_mov_b32_e32 v0, 0x150
	v_lshl_add_u32 v0, v40, 2, v0
	ds_read_b32 v0, v0 offset:256
	s_waitcnt lgkmcnt(0)
	v_add_f32_e32 v4, v4, v0
.LBB29_72:
	s_or_b64 exec, exec, s[2:3]
.LBB29_73:
	s_or_b64 exec, exec, s[0:1]
	v_cmp_eq_u32_e32 vcc, 0, v5
	s_barrier
	s_and_saveexec_b64 s[0:1], vcc
	s_cbranch_execz .LBB29_75
; %bb.74:
	s_mul_i32 s0, s28, 0x50
	s_ashr_i32 s1, s0, 31
	s_lshl_b64 s[0:1], s[0:1], 2
	s_add_u32 s2, s26, s0
	s_mul_i32 s0, s16, s24
	s_addc_u32 s3, s27, s1
	s_ashr_i32 s1, s0, 31
	s_lshl_b64 s[0:1], s[0:1], 2
	s_add_u32 s2, s2, s0
	s_mul_i32 s0, s4, 0x50
	s_addc_u32 s3, s3, s1
	s_ashr_i32 s1, s0, 31
	s_lshl_b64 s[0:1], s[0:1], 2
	s_add_u32 s0, s2, s0
	s_addc_u32 s1, s3, s1
	global_store_dword v1, v6, s[0:1]
	global_store_dword v1, v7, s[0:1] offset:64
	global_store_dword v1, v2, s[0:1] offset:128
	;; [unrolled: 1-line block ×4, first 2 shown]
.LBB29_75:
	s_endpgm
.LBB29_76:
	v_mov_b32_e32 v0, 0x150
	v_lshl_add_u32 v0, v40, 2, v0
	ds_read_b32 v0, v0
	s_waitcnt lgkmcnt(0)
	v_add_f32_e32 v6, v6, v0
	s_or_b64 exec, exec, s[2:3]
	s_and_saveexec_b64 s[2:3], vcc
	s_cbranch_execz .LBB29_68
.LBB29_77:
	v_mov_b32_e32 v0, 0x150
	v_lshl_add_u32 v0, v40, 2, v0
	ds_read_b32 v0, v0 offset:64
	s_waitcnt lgkmcnt(0)
	v_add_f32_e32 v7, v7, v0
	s_or_b64 exec, exec, s[2:3]
	s_and_saveexec_b64 s[2:3], vcc
	s_cbranch_execz .LBB29_69
.LBB29_78:
	v_mov_b32_e32 v0, 0x150
	v_lshl_add_u32 v0, v40, 2, v0
	ds_read_b32 v0, v0 offset:128
	s_waitcnt lgkmcnt(0)
	v_add_f32_e32 v2, v2, v0
	s_or_b64 exec, exec, s[2:3]
	s_and_saveexec_b64 s[2:3], vcc
	s_cbranch_execz .LBB29_70
.LBB29_79:
	v_mov_b32_e32 v0, 0x150
	v_lshl_add_u32 v0, v40, 2, v0
	ds_read_b32 v0, v0 offset:192
	s_waitcnt lgkmcnt(0)
	v_add_f32_e32 v3, v3, v0
	s_or_b64 exec, exec, s[2:3]
	s_and_saveexec_b64 s[2:3], vcc
	s_cbranch_execnz .LBB29_71
	s_branch .LBB29_72
	.section	.rodata,"a",@progbits
	.p2align	6, 0x0
	.amdhsa_kernel _ZN4vllm25paged_attention_v2_kernelIffLi80ELi16ELi128ELNS_18Fp8KVCacheDataTypeE0ELb1ELi512EEEvPfS2_PT_PKS3_PKT0_S9_ifPKiSB_iPKfiiiSD_SD_iiiii
		.amdhsa_group_segment_fixed_size 336
		.amdhsa_private_segment_fixed_size 0
		.amdhsa_kernarg_size 400
		.amdhsa_user_sgpr_count 2
		.amdhsa_user_sgpr_dispatch_ptr 0
		.amdhsa_user_sgpr_queue_ptr 0
		.amdhsa_user_sgpr_kernarg_segment_ptr 1
		.amdhsa_user_sgpr_dispatch_id 0
		.amdhsa_user_sgpr_kernarg_preload_length 0
		.amdhsa_user_sgpr_kernarg_preload_offset 0
		.amdhsa_user_sgpr_private_segment_size 0
		.amdhsa_uses_dynamic_stack 0
		.amdhsa_enable_private_segment 0
		.amdhsa_system_sgpr_workgroup_id_x 1
		.amdhsa_system_sgpr_workgroup_id_y 1
		.amdhsa_system_sgpr_workgroup_id_z 1
		.amdhsa_system_sgpr_workgroup_info 0
		.amdhsa_system_vgpr_workitem_id 0
		.amdhsa_next_free_vgpr 68
		.amdhsa_next_free_sgpr 53
		.amdhsa_accum_offset 68
		.amdhsa_reserve_vcc 1
		.amdhsa_float_round_mode_32 0
		.amdhsa_float_round_mode_16_64 0
		.amdhsa_float_denorm_mode_32 3
		.amdhsa_float_denorm_mode_16_64 3
		.amdhsa_dx10_clamp 1
		.amdhsa_ieee_mode 1
		.amdhsa_fp16_overflow 0
		.amdhsa_tg_split 0
		.amdhsa_exception_fp_ieee_invalid_op 0
		.amdhsa_exception_fp_denorm_src 0
		.amdhsa_exception_fp_ieee_div_zero 0
		.amdhsa_exception_fp_ieee_overflow 0
		.amdhsa_exception_fp_ieee_underflow 0
		.amdhsa_exception_fp_ieee_inexact 0
		.amdhsa_exception_int_div_zero 0
	.end_amdhsa_kernel
	.section	.text._ZN4vllm25paged_attention_v2_kernelIffLi80ELi16ELi128ELNS_18Fp8KVCacheDataTypeE0ELb1ELi512EEEvPfS2_PT_PKS3_PKT0_S9_ifPKiSB_iPKfiiiSD_SD_iiiii,"axG",@progbits,_ZN4vllm25paged_attention_v2_kernelIffLi80ELi16ELi128ELNS_18Fp8KVCacheDataTypeE0ELb1ELi512EEEvPfS2_PT_PKS3_PKT0_S9_ifPKiSB_iPKfiiiSD_SD_iiiii,comdat
.Lfunc_end29:
	.size	_ZN4vllm25paged_attention_v2_kernelIffLi80ELi16ELi128ELNS_18Fp8KVCacheDataTypeE0ELb1ELi512EEEvPfS2_PT_PKS3_PKT0_S9_ifPKiSB_iPKfiiiSD_SD_iiiii, .Lfunc_end29-_ZN4vllm25paged_attention_v2_kernelIffLi80ELi16ELi128ELNS_18Fp8KVCacheDataTypeE0ELb1ELi512EEEvPfS2_PT_PKS3_PKT0_S9_ifPKiSB_iPKfiiiSD_SD_iiiii
                                        ; -- End function
	.section	.AMDGPU.csdata,"",@progbits
; Kernel info:
; codeLenInByte = 5256
; NumSgprs: 59
; NumVgprs: 68
; NumAgprs: 0
; TotalNumVgprs: 68
; ScratchSize: 0
; MemoryBound: 0
; FloatMode: 240
; IeeeMode: 1
; LDSByteSize: 336 bytes/workgroup (compile time only)
; SGPRBlocks: 7
; VGPRBlocks: 8
; NumSGPRsForWavesPerEU: 59
; NumVGPRsForWavesPerEU: 68
; AccumOffset: 68
; Occupancy: 7
; WaveLimiterHint : 1
; COMPUTE_PGM_RSRC2:SCRATCH_EN: 0
; COMPUTE_PGM_RSRC2:USER_SGPR: 2
; COMPUTE_PGM_RSRC2:TRAP_HANDLER: 0
; COMPUTE_PGM_RSRC2:TGID_X_EN: 1
; COMPUTE_PGM_RSRC2:TGID_Y_EN: 1
; COMPUTE_PGM_RSRC2:TGID_Z_EN: 1
; COMPUTE_PGM_RSRC2:TIDIG_COMP_CNT: 0
; COMPUTE_PGM_RSRC3_GFX90A:ACCUM_OFFSET: 16
; COMPUTE_PGM_RSRC3_GFX90A:TG_SPLIT: 0
	.section	.text._ZN4vllm25paged_attention_v2_kernelIffLi96ELi16ELi128ELNS_18Fp8KVCacheDataTypeE0ELb1ELi512EEEvPfS2_PT_PKS3_PKT0_S9_ifPKiSB_iPKfiiiSD_SD_iiiii,"axG",@progbits,_ZN4vllm25paged_attention_v2_kernelIffLi96ELi16ELi128ELNS_18Fp8KVCacheDataTypeE0ELb1ELi512EEEvPfS2_PT_PKS3_PKT0_S9_ifPKiSB_iPKfiiiSD_SD_iiiii,comdat
	.protected	_ZN4vllm25paged_attention_v2_kernelIffLi96ELi16ELi128ELNS_18Fp8KVCacheDataTypeE0ELb1ELi512EEEvPfS2_PT_PKS3_PKT0_S9_ifPKiSB_iPKfiiiSD_SD_iiiii ; -- Begin function _ZN4vllm25paged_attention_v2_kernelIffLi96ELi16ELi128ELNS_18Fp8KVCacheDataTypeE0ELb1ELi512EEEvPfS2_PT_PKS3_PKT0_S9_ifPKiSB_iPKfiiiSD_SD_iiiii
	.globl	_ZN4vllm25paged_attention_v2_kernelIffLi96ELi16ELi128ELNS_18Fp8KVCacheDataTypeE0ELb1ELi512EEEvPfS2_PT_PKS3_PKT0_S9_ifPKiSB_iPKfiiiSD_SD_iiiii
	.p2align	8
	.type	_ZN4vllm25paged_attention_v2_kernelIffLi96ELi16ELi128ELNS_18Fp8KVCacheDataTypeE0ELb1ELi512EEEvPfS2_PT_PKS3_PKT0_S9_ifPKiSB_iPKfiiiSD_SD_iiiii,@function
_ZN4vllm25paged_attention_v2_kernelIffLi96ELi16ELi128ELNS_18Fp8KVCacheDataTypeE0ELb1ELi512EEEvPfS2_PT_PKS3_PKT0_S9_ifPKiSB_iPKfiiiSD_SD_iiiii: ; @_ZN4vllm25paged_attention_v2_kernelIffLi96ELi16ELi128ELNS_18Fp8KVCacheDataTypeE0ELb1ELi512EEEvPfS2_PT_PKS3_PKT0_S9_ifPKiSB_iPKfiiiSD_SD_iiiii
; %bb.0:
	s_load_dwordx2 s[6:7], s[0:1], 0x40
	s_mov_b32 s28, s3
	s_ashr_i32 s29, s3, 31
	s_lshl_b64 s[8:9], s[28:29], 2
	s_waitcnt lgkmcnt(0)
	s_add_u32 s6, s6, s8
	s_addc_u32 s7, s7, s9
	s_load_dword s33, s[6:7], 0x0
	s_lshl_b32 s29, s4, 9
	s_waitcnt lgkmcnt(0)
	s_cmp_ge_i32 s29, s33
	s_cbranch_scc1 .LBB30_78
; %bb.1:
	s_load_dword s5, s[0:1], 0x90
	s_load_dwordx2 s[38:39], s[0:1], 0x30
	s_waitcnt lgkmcnt(0)
	s_abs_i32 s7, s5
	s_abs_i32 s3, s38
	v_cvt_f32_u32_e32 v1, s3
	s_sub_i32 s8, 0, s3
	s_xor_b32 s6, s5, s38
	s_ashr_i32 s6, s6, 31
	v_rcp_iflag_f32_e32 v1, v1
	s_nop 0
	v_mul_f32_e32 v1, 0x4f7ffffe, v1
	v_cvt_u32_f32_e32 v1, v1
	s_nop 0
	v_readfirstlane_b32 s9, v1
	s_mul_i32 s8, s8, s9
	s_mul_hi_u32 s8, s9, s8
	s_add_i32 s9, s9, s8
	s_mul_hi_u32 s8, s7, s9
	s_mul_i32 s9, s8, s3
	s_sub_i32 s7, s7, s9
	s_add_i32 s10, s8, 1
	s_sub_i32 s9, s7, s3
	s_cmp_ge_u32 s7, s3
	s_cselect_b32 s8, s10, s8
	s_cselect_b32 s7, s9, s7
	s_add_i32 s9, s8, 1
	s_cmp_ge_u32 s7, s3
	s_cselect_b32 s3, s9, s8
	s_xor_b32 s3, s3, s6
	s_sub_i32 s12, s3, s6
	s_abs_i32 s8, s12
	v_cvt_f32_u32_e32 v1, s8
	s_load_dwordx2 s[6:7], s[0:1], 0x50
	s_sub_i32 s10, 0, s8
	s_abs_i32 s9, s2
	v_rcp_iflag_f32_e32 v1, v1
	s_mov_b32 s3, 0
	v_mul_f32_e32 v1, 0x4f7ffffe, v1
	v_cvt_u32_f32_e32 v1, v1
	s_nop 0
	v_readfirstlane_b32 s11, v1
	s_mul_i32 s10, s10, s11
	s_mul_hi_u32 s10, s11, s10
	s_add_i32 s11, s11, s10
	s_waitcnt lgkmcnt(0)
	s_cmp_eq_u64 s[6:7], 0
	s_mul_hi_u32 s10, s9, s11
	s_cbranch_scc1 .LBB30_3
; %bb.2:
	s_ashr_i32 s3, s2, 31
	s_lshl_b64 s[14:15], s[2:3], 2
	s_add_u32 s6, s6, s14
	s_addc_u32 s7, s7, s15
	s_load_dword s3, s[6:7], 0x0
.LBB30_3:
	s_ashr_i32 s16, s12, 31
	s_load_dwordx4 s[12:15], s[0:1], 0x58
	v_lshrrev_b32_e32 v46, 2, v0
	s_waitcnt lgkmcnt(0)
	s_movk_i32 s15, 0x60
	s_ashr_i32 s11, s2, 31
	v_and_b32_e32 v47, 3, v0
	s_mul_i32 s24, s2, 0x60
	v_cmp_gt_u32_e32 vcc, s15, v0
	v_lshlrev_b32_e32 v8, 2, v0
	v_lshlrev_b32_e32 v1, 2, v46
	s_and_saveexec_b64 s[6:7], vcc
	s_cbranch_execz .LBB30_5
; %bb.4:
	s_load_dwordx2 s[18:19], s[0:1], 0x18
	s_mul_i32 s20, s28, s12
	s_ashr_i32 s21, s20, 31
	s_lshl_b64 s[20:21], s[20:21], 2
	v_mad_u32_u24 v3, v47, s15, v1
	s_waitcnt lgkmcnt(0)
	s_add_u32 s12, s18, s20
	s_addc_u32 s17, s19, s21
	s_ashr_i32 s25, s24, 31
	s_lshl_b64 s[18:19], s[24:25], 2
	s_add_u32 s18, s12, s18
	s_addc_u32 s19, s17, s19
	global_load_dword v2, v8, s[18:19]
	s_waitcnt vmcnt(0)
	ds_write_b32 v3, v2
.LBB30_5:
	s_or_b64 exec, exec, s[6:7]
	s_mul_i32 s7, s10, s8
	s_sub_i32 s7, s9, s7
	s_xor_b32 s6, s11, s16
	s_add_i32 s9, s10, 1
	s_sub_i32 s11, s7, s8
	s_load_dwordx4 s[16:19], s[0:1], 0x78
	s_cmp_ge_u32 s7, s8
	s_cselect_b32 s9, s9, s10
	s_cselect_b32 s7, s11, s7
	s_load_dword s11, s[0:1], 0x88
	s_add_i32 s10, s9, 1
	s_cmp_ge_u32 s7, s8
	s_cselect_b32 s7, s10, s9
	s_waitcnt lgkmcnt(0)
	s_abs_i32 s25, s19
	v_cvt_f32_u32_e32 v2, s25
	s_xor_b32 s7, s7, s6
	s_sub_i32 s8, s7, s6
	s_sub_i32 s6, 0, s25
	v_rcp_iflag_f32_e32 v2, v2
	s_add_i32 s12, s33, -1
	s_abs_i32 s9, s12
	v_mul_f32_e32 v2, 0x4f7ffffe, v2
	v_cvt_u32_f32_e32 v2, v2
	s_barrier
	v_readfirstlane_b32 s46, v2
	s_mul_i32 s6, s6, s46
	s_mul_hi_u32 s6, s46, s6
	s_add_i32 s46, s46, s6
	s_cmp_lt_i32 s11, 0
	s_mul_hi_u32 s10, s9, s46
	s_cbranch_scc0 .LBB30_7
; %bb.6:
	s_mul_i32 s6, s16, s38
	s_add_i32 s6, s8, s6
	s_mul_i32 s6, s6, s11
	s_sub_i32 s47, 1, s6
	s_mov_b64 s[6:7], 0
	s_branch .LBB30_8
.LBB30_7:
	s_mov_b64 s[6:7], -1
                                        ; implicit-def: $sgpr47
.LBB30_8:
	s_load_dwordx2 s[30:31], s[0:1], 0x38
	s_ashr_i32 s12, s12, 31
	s_andn2_b64 vcc, exec, s[6:7]
	s_ashr_i32 s19, s19, 31
	s_cbranch_vccnz .LBB30_10
; %bb.9:
	s_mul_i32 s6, s5, s16
	s_add_i32 s6, s6, s2
	s_mul_i32 s6, s6, s11
	s_add_i32 s47, s6, 1
.LBB30_10:
	s_load_dword s6, s[0:1], 0x48
	s_load_dwordx2 s[36:37], s[0:1], 0x28
	s_load_dword s16, s[0:1], 0x98
	s_load_dwordx4 s[20:23], s[0:1], 0x0
	s_load_dwordx2 s[26:27], s[0:1], 0x10
	s_mul_i32 s7, s10, s25
	s_waitcnt lgkmcnt(0)
	s_mul_i32 s34, s28, s6
	s_sub_i32 s7, s9, s7
	s_ashr_i32 s35, s34, 31
	s_xor_b32 s6, s12, s19
	s_add_i32 s9, s10, 1
	s_sub_i32 s11, s7, s25
	s_cmp_ge_u32 s7, s25
	s_cselect_b32 s9, s9, s10
	s_cselect_b32 s7, s11, s7
	s_add_i32 s10, s9, 1
	s_cmp_ge_u32 s7, s25
	s_cselect_b32 s7, s10, s9
	s_xor_b32 s7, s7, s6
	s_sub_i32 s49, s7, s6
	s_add_i32 s6, s33, 15
	s_ashr_i32 s7, s6, 31
	s_lshr_b32 s7, s7, 28
	s_add_i32 s6, s6, s7
	s_lshl_b32 s38, s4, 5
	s_ashr_i32 s12, s6, 4
	s_add_i32 s6, s38, 32
	v_lshrrev_b32_e32 v9, 6, v0
	s_min_i32 s48, s6, s12
	v_or_b32_e32 v36, s38, v9
	v_cmp_gt_i32_e64 s[6:7], s48, v36
	v_mov_b32_e32 v11, 0xff7fffff
	s_mul_i32 s14, s8, s14
	v_ashrrev_i32_e32 v37, 31, v36
	v_lshl_add_u32 v48, v9, 4, s29
	v_mbcnt_lo_u32_b32 v6, -1, 0
	s_and_saveexec_b64 s[40:41], s[6:7]
	s_cbranch_execz .LBB30_20
; %bb.11:
	s_load_dwordx2 s[0:1], s[0:1], 0x20
	s_ashr_i32 s15, s14, 31
	s_sub_i32 s50, s49, s17
	s_lshl_b64 s[8:9], s[14:15], 2
	v_bfe_u32 v7, v0, 2, 4
	s_waitcnt lgkmcnt(0)
	s_add_u32 s0, s0, s8
	s_addc_u32 s1, s1, s9
	s_abs_i32 s15, s18
	v_cvt_f32_u32_e32 v4, s15
	v_lshlrev_b32_e32 v2, 4, v7
	v_mov_b32_e32 v3, 0
	v_lshlrev_b32_e32 v11, 2, v7
	v_rcp_iflag_f32_e32 v10, v4
	v_lshl_add_u64 v[4:5], s[0:1], 0, v[2:3]
	v_lshlrev_b32_e32 v2, 2, v47
	v_lshl_add_u64 v[2:3], v[4:5], 0, v[2:3]
	v_mul_f32_e32 v4, 0x4f7ffffe, v10
	v_cvt_u32_f32_e32 v4, v4
	s_sub_i32 s8, 0, s15
	v_lshl_or_b32 v11, v9, 6, v11
	v_add_u32_e32 v14, 0x190, v11
	v_mul_lo_u32 v5, s8, v4
	s_lshl_b64 s[8:9], s[34:35], 2
	s_add_u32 s8, s30, s8
	v_subrev_u32_e32 v11, s33, v7
	v_mbcnt_hi_u32_b32 v17, -1, v6
	v_mul_hi_u32 v5, v4, v5
	s_addc_u32 s9, s31, s9
	v_add_u32_e32 v15, 1, v11
	v_and_b32_e32 v11, 64, v17
	v_cmp_eq_u32_e32 vcc, 0, v47
	s_mov_b32 s51, s13
	v_mul_u32_u24_e32 v10, 0x60, v47
	v_cmp_neq_f32_e64 s[0:1], s3, 0
	v_add_u32_e32 v12, v4, v5
	v_lshl_add_u64 v[4:5], v[36:37], 2, s[8:9]
	v_lshl_add_u32 v13, v9, 4, s29
	s_mov_b64 s[42:43], 0
	v_mov_b32_e32 v16, 0xff7fffff
	s_movk_i32 s52, 0x1000
	v_add_u32_e32 v18, 64, v11
	v_xor_b32_e32 v19, 2, v17
	v_xor_b32_e32 v20, 1, v17
	v_mov_b32_e32 v11, 0xff7fffff
	v_mov_b32_e32 v21, v36
	s_branch .LBB30_14
.LBB30_12:                              ;   in Loop: Header=BB30_14 Depth=1
	s_or_b64 exec, exec, s[44:45]
.LBB30_13:                              ;   in Loop: Header=BB30_14 Depth=1
	s_or_b64 exec, exec, s[10:11]
	v_add_u32_e32 v21, 2, v21
	v_cmp_le_i32_e64 s[8:9], s48, v21
	v_lshl_add_u64 v[4:5], v[4:5], 0, 8
	v_add_u32_e32 v13, 32, v13
	s_or_b64 s[42:43], s[8:9], s[42:43]
	v_add_u32_e32 v14, 0x80, v14
	s_andn2_b64 exec, exec, s[42:43]
	s_cbranch_execz .LBB30_19
.LBB30_14:                              ; =>This Inner Loop Header: Depth=1
	s_waitcnt lgkmcnt(0)
	v_sub_u32_e32 v23, 0, v13
	v_max_i32_e32 v23, v13, v23
	v_mul_hi_u32 v24, v23, s46
	v_mul_lo_u32 v25, v24, s25
	v_sub_u32_e32 v23, v23, v25
	v_add_u32_e32 v25, 1, v24
	v_cmp_le_u32_e64 s[8:9], s25, v23
	v_ashrrev_i32_e32 v22, 31, v13
	v_xor_b32_e32 v22, s19, v22
	v_cndmask_b32_e64 v24, v24, v25, s[8:9]
	v_subrev_u32_e32 v25, s25, v23
	v_cndmask_b32_e64 v23, v23, v25, s[8:9]
	v_add_u32_e32 v25, 1, v24
	v_cmp_le_u32_e64 s[8:9], s25, v23
	s_nop 1
	v_cndmask_b32_e64 v23, v24, v25, s[8:9]
	v_xor_b32_e32 v23, v23, v22
	v_sub_u32_e32 v22, v23, v22
	v_add_u32_e32 v23, s47, v22
	v_sub_u32_e32 v25, 0, v23
	v_ashrrev_i32_e32 v24, 31, v23
	v_max_i32_e32 v23, v23, v25
	v_mul_hi_u32 v25, v23, v12
	v_mul_lo_u32 v25, v25, s15
	v_sub_u32_e32 v23, v23, v25
	v_subrev_u32_e32 v25, s15, v23
	v_cmp_le_u32_e64 s[8:9], s15, v23
	v_cmp_ge_i32_e64 s[10:11], s50, v22
	s_nop 0
	v_cndmask_b32_e64 v23, v23, v25, s[8:9]
	v_subrev_u32_e32 v25, s15, v23
	v_cmp_le_u32_e64 s[8:9], s15, v23
	s_nop 1
	v_cndmask_b32_e64 v23, v23, v25, s[8:9]
	v_xor_b32_e32 v23, v23, v24
	v_sub_u32_e32 v23, v23, v24
	v_cmp_ne_u32_e64 s[8:9], 0, v23
	s_and_b64 s[8:9], s[8:9], s[10:11]
	s_and_b64 s[44:45], vcc, s[8:9]
	s_and_saveexec_b64 s[10:11], s[44:45]
	s_cbranch_execz .LBB30_16
; %bb.15:                               ;   in Loop: Header=BB30_14 Depth=1
	ds_write_b32 v14, v16
.LBB30_16:                              ;   in Loop: Header=BB30_14 Depth=1
	s_or_b64 exec, exec, s[10:11]
	s_xor_b64 s[8:9], s[8:9], -1
	s_and_saveexec_b64 s[10:11], s[8:9]
	s_cbranch_execz .LBB30_13
; %bb.17:                               ;   in Loop: Header=BB30_14 Depth=1
	global_load_dword v22, v[4:5], off
	s_waitcnt vmcnt(0)
	v_mad_i64_i32 v[22:23], s[8:9], v22, s51, 0
	v_lshl_add_u64 v[22:23], v[22:23], 2, v[2:3]
	global_load_dword v34, v[22:23], off
	global_load_dword v35, v[22:23], off offset:256
	global_load_dword v49, v[22:23], off offset:512
	;; [unrolled: 1-line block ×15, first 2 shown]
	v_add_co_u32_e64 v22, s[8:9], s52, v22
	s_nop 1
	v_addc_co_u32_e64 v23, s[8:9], 0, v23, s[8:9]
	global_load_dword v67, v[22:23], off
	global_load_dword v68, v[22:23], off offset:256
	global_load_dword v69, v[22:23], off offset:512
	;; [unrolled: 1-line block ×7, first 2 shown]
	ds_read_b128 v[22:25], v10
	ds_read_b128 v[26:29], v10 offset:16
	ds_read_b128 v[30:33], v10 offset:32
	;; [unrolled: 1-line block ×5, first 2 shown]
	v_cmp_lt_i32_e64 s[8:9], v19, v18
	s_waitcnt vmcnt(22) lgkmcnt(5)
	v_mul_f32_e32 v23, v23, v35
	v_fmac_f32_e32 v23, v22, v34
	s_waitcnt vmcnt(21)
	v_fmac_f32_e32 v23, v24, v49
	s_waitcnt vmcnt(20)
	v_fmac_f32_e32 v23, v25, v54
	s_waitcnt vmcnt(19) lgkmcnt(4)
	v_fmac_f32_e32 v23, v26, v55
	s_waitcnt vmcnt(18)
	v_fmac_f32_e32 v23, v27, v56
	s_waitcnt vmcnt(17)
	v_fmac_f32_e32 v23, v28, v57
	s_waitcnt vmcnt(16)
	v_fmac_f32_e32 v23, v29, v58
	s_waitcnt vmcnt(15) lgkmcnt(3)
	v_fmac_f32_e32 v23, v30, v59
	s_waitcnt vmcnt(14)
	;; [unrolled: 8-line block ×5, first 2 shown]
	v_fmac_f32_e32 v23, v51, v72
	v_cndmask_b32_e64 v75, v17, v19, s[8:9]
	s_waitcnt vmcnt(1)
	v_fmac_f32_e32 v23, v52, v73
	v_lshlrev_b32_e32 v75, 2, v75
	s_waitcnt vmcnt(0)
	v_fmac_f32_e32 v23, v53, v74
	ds_bpermute_b32 v22, v75, v23
	v_cmp_lt_i32_e64 s[8:9], v20, v18
	s_waitcnt lgkmcnt(0)
	v_add_f32_e32 v22, v23, v22
	v_cndmask_b32_e64 v24, v17, v20, s[8:9]
	v_lshlrev_b32_e32 v24, 2, v24
	ds_bpermute_b32 v23, v24, v22
	s_and_saveexec_b64 s[44:45], vcc
	s_cbranch_execz .LBB30_12
; %bb.18:                               ;   in Loop: Header=BB30_14 Depth=1
	v_add_u32_e32 v24, v15, v13
	v_cvt_f32_i32_e32 v24, v24
	s_waitcnt lgkmcnt(0)
	v_add_f32_e32 v22, v22, v23
	v_add_u32_e32 v25, v7, v13
	v_cmp_gt_i32_e64 s[8:9], s33, v25
	v_mul_f32_e32 v23, s3, v24
	v_cndmask_b32_e64 v23, 0, v23, s[0:1]
	v_fmac_f32_e32 v23, s39, v22
	v_cndmask_b32_e64 v22, 0, v23, s[8:9]
	ds_write_b32 v14, v22
	v_max_f32_e32 v22, v11, v11
	v_max_f32_e32 v22, v22, v23
	v_cndmask_b32_e64 v11, v11, v22, s[8:9]
	s_branch .LBB30_12
.LBB30_19:
	s_or_b64 exec, exec, s[42:43]
.LBB30_20:
	s_or_b64 exec, exec, s[40:41]
	v_mbcnt_hi_u32_b32 v2, -1, v6
	v_and_b32_e32 v3, 64, v2
	v_add_u32_e32 v3, 64, v3
	v_xor_b32_e32 v4, 32, v2
	v_cmp_lt_i32_e32 vcc, v4, v3
	v_xor_b32_e32 v7, 16, v2
	v_max_f32_e32 v6, v11, v11
	v_cndmask_b32_e32 v4, v2, v4, vcc
	v_lshlrev_b32_e32 v5, 2, v4
	ds_bpermute_b32 v4, v5, v11
	v_cmp_lt_i32_e32 vcc, v7, v3
	v_xor_b32_e32 v10, 8, v2
	v_and_b32_e32 v49, 63, v0
	s_waitcnt lgkmcnt(0)
	v_max_f32_e32 v4, v4, v4
	v_max_f32_e32 v4, v6, v4
	v_cndmask_b32_e32 v6, v2, v7, vcc
	v_lshlrev_b32_e32 v6, 2, v6
	ds_bpermute_b32 v7, v6, v4
	v_cmp_lt_i32_e32 vcc, v10, v3
	s_waitcnt lgkmcnt(0)
	v_max_f32_e32 v7, v7, v7
	v_max_f32_e32 v4, v4, v7
	v_cndmask_b32_e32 v7, v2, v10, vcc
	v_lshlrev_b32_e32 v11, 2, v7
	ds_bpermute_b32 v7, v11, v4
	v_xor_b32_e32 v10, 4, v2
	v_cmp_lt_i32_e32 vcc, v10, v3
	s_waitcnt lgkmcnt(0)
	v_max_f32_e32 v7, v7, v7
	v_max_f32_e32 v4, v4, v7
	v_cndmask_b32_e32 v7, v2, v10, vcc
	v_lshlrev_b32_e32 v12, 2, v7
	ds_bpermute_b32 v10, v12, v4
	v_cmp_eq_u32_e32 vcc, 0, v49
	v_lshlrev_b32_e32 v7, 2, v9
	s_and_saveexec_b64 s[0:1], vcc
	s_cbranch_execz .LBB30_22
; %bb.21:
	s_waitcnt lgkmcnt(0)
	v_max_f32_e32 v10, v10, v10
	v_max_f32_e32 v4, v4, v4
	;; [unrolled: 1-line block ×3, first 2 shown]
	ds_write_b32 v7, v4 offset:384
.LBB30_22:
	s_or_b64 exec, exec, s[0:1]
	v_cmp_gt_u32_e64 s[0:1], 2, v49
	v_mov_b32_e32 v4, 0xff7fffff
	s_waitcnt lgkmcnt(0)
	v_lshlrev_b32_e32 v10, 2, v49
	s_barrier
	s_and_saveexec_b64 s[8:9], s[0:1]
	s_cbranch_execz .LBB30_24
; %bb.23:
	ds_read_b32 v4, v10 offset:384
.LBB30_24:
	s_or_b64 exec, exec, s[8:9]
	v_xor_b32_e32 v13, 1, v2
	v_cmp_lt_i32_e64 s[8:9], v13, v3
	s_sub_i32 s3, s48, s38
	s_lshl_b32 s3, s3, 4
	v_cndmask_b32_e64 v13, v2, v13, s[8:9]
	v_lshlrev_b32_e32 v50, 2, v13
	s_waitcnt lgkmcnt(0)
	ds_bpermute_b32 v13, v50, v4
	v_max_f32_e32 v4, v4, v4
	s_add_i32 s3, s3, s29
	s_min_i32 s15, s3, s33
	s_sub_i32 s3, s15, s29
	s_waitcnt lgkmcnt(0)
	v_max_f32_e32 v13, v13, v13
	v_max_f32_e32 v4, v4, v13
	v_lshlrev_b32_e32 v13, 2, v2
	v_and_b32_e32 v13, 0x100, v13
	ds_bpermute_b32 v4, v13, v4
	v_cmp_gt_i32_e64 s[8:9], s3, v0
	v_mov_b32_e32 v14, 0
	s_and_saveexec_b64 s[38:39], s[8:9]
	s_cbranch_execz .LBB30_28
; %bb.25:
	v_mov_b32_e32 v14, 0x190
	v_lshl_add_u32 v15, v0, 2, v14
	s_mov_b64 s[40:41], 0
	v_mov_b32_e32 v14, 0
	v_mov_b32_e32 v16, v0
.LBB30_26:                              ; =>This Inner Loop Header: Depth=1
	ds_read_b32 v17, v15
	v_add_u32_e32 v16, 0x80, v16
	v_cmp_le_i32_e64 s[10:11], s3, v16
	s_or_b64 s[40:41], s[10:11], s[40:41]
	s_waitcnt lgkmcnt(0)
	v_sub_f32_e32 v17, v17, v4
	v_mul_f32_e32 v17, 0x3fb8aa3b, v17
	v_exp_f32_e32 v17, v17
	ds_write_b32 v15, v17
	v_add_f32_e32 v14, v14, v17
	v_add_u32_e32 v15, 0x200, v15
	s_andn2_b64 exec, exec, s[40:41]
	s_cbranch_execnz .LBB30_26
; %bb.27:
	s_or_b64 exec, exec, s[40:41]
.LBB30_28:
	s_or_b64 exec, exec, s[38:39]
	ds_bpermute_b32 v5, v5, v14
	s_waitcnt lgkmcnt(0)
	v_add_f32_e32 v5, v14, v5
	ds_bpermute_b32 v6, v6, v5
	s_waitcnt lgkmcnt(0)
	v_add_f32_e32 v5, v5, v6
	ds_bpermute_b32 v6, v11, v5
	v_xor_b32_e32 v11, 2, v2
	v_cmp_lt_i32_e64 s[10:11], v11, v3
	s_waitcnt lgkmcnt(0)
	v_add_f32_e32 v5, v5, v6
	ds_bpermute_b32 v6, v12, v5
	v_cndmask_b32_e64 v2, v2, v11, s[10:11]
	v_lshlrev_b32_e32 v51, 2, v2
	s_waitcnt lgkmcnt(0)
	v_add_f32_e32 v3, v5, v6
	ds_bpermute_b32 v2, v51, v3
	s_waitcnt lgkmcnt(0)
	v_add_f32_e32 v2, v3, v2
	ds_bpermute_b32 v3, v50, v2
	s_waitcnt lgkmcnt(0)
	v_add_f32_e32 v2, v2, v3
	s_and_saveexec_b64 s[10:11], vcc
	s_cbranch_execz .LBB30_30
; %bb.29:
	ds_write_b32 v7, v2 offset:392
.LBB30_30:
	s_or_b64 exec, exec, s[10:11]
	s_waitcnt lgkmcnt(0)
	s_barrier
	s_and_saveexec_b64 s[10:11], s[0:1]
	s_cbranch_execz .LBB30_32
; %bb.31:
	ds_read_b32 v2, v10 offset:392
.LBB30_32:
	s_or_b64 exec, exec, s[10:11]
	s_waitcnt lgkmcnt(0)
	ds_bpermute_b32 v3, v50, v2
	s_waitcnt lgkmcnt(0)
	v_add_f32_e32 v2, v2, v3
	ds_bpermute_b32 v5, v13, v2
	s_and_saveexec_b64 s[0:1], s[8:9]
	s_cbranch_execz .LBB30_45
; %bb.33:
	s_waitcnt lgkmcnt(0)
	v_add_f32_e32 v2, 0x358637bd, v5
	v_div_scale_f32 v3, s[8:9], v2, v2, 1.0
	v_rcp_f32_e32 v6, v3
	v_div_scale_f32 v7, vcc, 1.0, v2, 1.0
	s_movk_i32 s8, 0x7f
	v_fma_f32 v10, -v3, v6, 1.0
	v_fmac_f32_e32 v6, v10, v6
	v_mul_f32_e32 v10, v7, v6
	v_fma_f32 v11, -v3, v10, v7
	v_fmac_f32_e32 v10, v11, v6
	v_fma_f32 v3, -v3, v10, v7
	v_div_fmas_f32 v3, v3, v6, v10
	v_div_fixup_f32 v2, v3, v2, 1.0
	v_xad_u32 v3, v0, -1, s15
	v_subrev_u32_e32 v6, s29, v3
	v_cmp_lt_u32_e32 vcc, s8, v6
	s_mov_b64 s[10:11], -1
	v_mov_b32_e32 v3, v0
	s_and_saveexec_b64 s[8:9], vcc
	s_cbranch_execz .LBB30_42
; %bb.34:
	v_lshrrev_b32_e32 v6, 7, v6
	v_add_u32_e32 v10, -1, v6
	v_lshrrev_b32_e32 v7, 1, v10
	v_mov_b32_e32 v3, v2
	v_add_u32_e32 v7, 1, v7
	v_cmp_lt_u32_e32 vcc, 13, v10
	v_mov_b32_e32 v12, 0
	s_and_saveexec_b64 s[10:11], vcc
	s_cbranch_execz .LBB30_38
; %bb.35:
	v_mov_b32_e32 v11, 0x190
	v_and_b32_e32 v10, -8, v7
	v_lshl_add_u32 v11, v0, 2, v11
	s_mov_b32 s15, 0
	s_mov_b64 s[38:39], 0
.LBB30_36:                              ; =>This Inner Loop Header: Depth=1
	ds_read2st64_b32 v[12:13], v11 offset1:2
	ds_read2st64_b32 v[14:15], v11 offset0:4 offset1:6
	ds_read2st64_b32 v[16:17], v11 offset0:8 offset1:10
	;; [unrolled: 1-line block ×3, first 2 shown]
	v_add_u32_e32 v10, -8, v10
	s_waitcnt lgkmcnt(3)
	v_pk_mul_f32 v[12:13], v[2:3], v[12:13]
	s_waitcnt lgkmcnt(2)
	v_pk_mul_f32 v[14:15], v[2:3], v[14:15]
	ds_write2st64_b32 v11, v12, v13 offset1:2
	ds_write2st64_b32 v11, v14, v15 offset0:4 offset1:6
	ds_read2st64_b32 v[14:15], v11 offset0:16 offset1:18
	s_waitcnt lgkmcnt(4)
	v_pk_mul_f32 v[12:13], v[2:3], v[16:17]
	ds_write2st64_b32 v11, v12, v13 offset0:8 offset1:10
	s_waitcnt lgkmcnt(4)
	v_pk_mul_f32 v[12:13], v[2:3], v[18:19]
	ds_write2st64_b32 v11, v12, v13 offset0:12 offset1:14
	ds_read2st64_b32 v[12:13], v11 offset0:20 offset1:22
	s_waitcnt lgkmcnt(3)
	v_pk_mul_f32 v[14:15], v[2:3], v[14:15]
	ds_read2st64_b32 v[16:17], v11 offset0:24 offset1:26
	ds_write2st64_b32 v11, v14, v15 offset0:16 offset1:18
	ds_read2st64_b32 v[14:15], v11 offset0:28 offset1:30
	s_waitcnt lgkmcnt(3)
	v_pk_mul_f32 v[12:13], v[2:3], v[12:13]
	ds_write2st64_b32 v11, v12, v13 offset0:20 offset1:22
	s_waitcnt lgkmcnt(3)
	v_pk_mul_f32 v[12:13], v[2:3], v[16:17]
	ds_write2st64_b32 v11, v12, v13 offset0:24 offset1:26
	s_waitcnt lgkmcnt(2)
	v_pk_mul_f32 v[12:13], v[2:3], v[14:15]
	s_add_i32 s15, s15, 16
	v_cmp_eq_u32_e32 vcc, 0, v10
	ds_write2st64_b32 v11, v12, v13 offset0:28 offset1:30
	v_add_u32_e32 v11, 0x2000, v11
	s_or_b64 s[38:39], vcc, s[38:39]
	v_mov_b32_e32 v12, s15
	s_andn2_b64 exec, exec, s[38:39]
	s_cbranch_execnz .LBB30_36
; %bb.37:
	s_or_b64 exec, exec, s[38:39]
.LBB30_38:
	s_or_b64 exec, exec, s[10:11]
	v_and_b32_e32 v7, 7, v7
	v_cmp_ne_u32_e32 vcc, 0, v7
	s_and_saveexec_b64 s[10:11], vcc
	s_cbranch_execz .LBB30_41
; %bb.39:
	v_lshlrev_b32_e32 v10, 9, v12
	s_movk_i32 s15, 0x190
	v_add3_u32 v10, v10, v8, s15
	s_mov_b64 s[38:39], 0
.LBB30_40:                              ; =>This Inner Loop Header: Depth=1
	ds_read2st64_b32 v[12:13], v10 offset1:2
	v_add_u32_e32 v7, -1, v7
	v_cmp_eq_u32_e32 vcc, 0, v7
	s_or_b64 s[38:39], vcc, s[38:39]
	s_waitcnt lgkmcnt(0)
	v_pk_mul_f32 v[12:13], v[2:3], v[12:13]
	ds_write2st64_b32 v10, v12, v13 offset1:2
	v_add_u32_e32 v10, 0x400, v10
	s_andn2_b64 exec, exec, s[38:39]
	s_cbranch_execnz .LBB30_40
.LBB30_41:
	s_or_b64 exec, exec, s[10:11]
	v_add_u32_e32 v6, 1, v6
	v_and_b32_e32 v7, 0x3fffffe, v6
	v_cmp_ne_u32_e32 vcc, v6, v7
	v_lshl_add_u32 v3, v7, 7, v0
	s_orn2_b64 s[10:11], vcc, exec
.LBB30_42:
	s_or_b64 exec, exec, s[8:9]
	s_and_b64 exec, exec, s[10:11]
	s_cbranch_execz .LBB30_45
; %bb.43:
	v_mov_b32_e32 v6, 0x190
	v_lshl_add_u32 v6, v3, 2, v6
	s_mov_b64 s[8:9], 0
.LBB30_44:                              ; =>This Inner Loop Header: Depth=1
	ds_read_b32 v7, v6
	v_add_u32_e32 v3, 0x80, v3
	v_cmp_le_i32_e32 vcc, s3, v3
	s_or_b64 s[8:9], vcc, s[8:9]
	s_waitcnt lgkmcnt(0)
	v_mul_f32_e32 v7, v2, v7
	ds_write_b32 v6, v7
	v_add_u32_e32 v6, 0x200, v6
	s_andn2_b64 exec, exec, s[8:9]
	s_cbranch_execnz .LBB30_44
.LBB30_45:
	s_or_b64 exec, exec, s[0:1]
	s_mul_i32 s0, s16, s28
	v_cmp_eq_u32_e32 vcc, 0, v0
	s_mul_i32 s28, s0, s5
	s_waitcnt lgkmcnt(0)
	s_barrier
	s_and_saveexec_b64 s[0:1], vcc
	s_cbranch_execz .LBB30_47
; %bb.46:
	s_ashr_i32 s29, s28, 31
	s_lshl_b64 s[8:9], s[28:29], 2
	s_add_u32 s5, s22, s8
	s_mul_i32 s2, s16, s2
	s_addc_u32 s10, s23, s9
	s_ashr_i32 s3, s2, 31
	s_lshl_b64 s[2:3], s[2:3], 2
	s_add_u32 s15, s5, s2
	s_addc_u32 s23, s10, s3
	s_ashr_i32 s5, s4, 31
	s_lshl_b64 s[10:11], s[4:5], 2
	s_add_u32 s22, s15, s10
	s_addc_u32 s23, s23, s11
	s_add_u32 s5, s20, s8
	s_addc_u32 s8, s21, s9
	;; [unrolled: 2-line block ×3, first 2 shown]
	s_add_u32 s2, s2, s10
	v_mov_b32_e32 v2, 0
	s_addc_u32 s3, s3, s11
	global_store_dword v2, v4, s[22:23]
	global_store_dword v2, v5, s[2:3]
.LBB30_47:
	s_or_b64 exec, exec, s[0:1]
	s_mov_b32 s8, 0
	v_mov_b32_e32 v7, 0
	v_mov_b32_e32 v6, 0
	;; [unrolled: 1-line block ×6, first 2 shown]
	s_and_saveexec_b64 s[2:3], s[6:7]
	s_cbranch_execz .LBB30_65
; %bb.48:
	s_ashr_i32 s15, s14, 31
	s_sub_i32 s5, s49, s17
	s_lshl_b64 s[0:1], s[14:15], 2
	s_add_u32 s6, s36, s0
	s_addc_u32 s7, s37, s1
	s_abs_i32 s17, s18
	v_cvt_f32_u32_e32 v2, s17
	s_sub_i32 s0, 0, s17
	s_add_i32 s20, s12, -1
	v_and_b32_e32 v52, 12, v8
	v_rcp_iflag_f32_e32 v2, v2
	v_and_b32_e32 v8, 0xfc, v8
	s_mov_b32 s9, s8
	s_mov_b32 s18, s13
	v_mul_f32_e32 v2, 0x4f7ffffe, v2
	v_cvt_u32_f32_e32 v2, v2
	v_or_b32_e32 v10, 0x400, v8
	v_or_b32_e32 v12, 0x500, v8
	s_mov_b32 s10, s8
	v_mul_lo_u32 v3, s0, v2
	v_mul_hi_u32 v3, v2, v3
	s_lshl_b64 s[0:1], s[34:35], 2
	v_add_u32_e32 v53, v2, v3
	s_add_u32 s0, s30, s0
	v_lshlrev_b32_e32 v2, 4, v47
	s_addc_u32 s1, s31, s1
	v_lshl_or_b32 v2, v9, 6, v2
	v_lshl_add_u64 v[40:41], v[36:37], 2, s[0:1]
	v_add_u32_e32 v37, 0x190, v2
	s_mov_b32 s11, s8
	s_mov_b32 s12, s8
	;; [unrolled: 1-line block ×3, first 2 shown]
	v_mov_b64_e32 v[2:3], s[8:9]
	v_mov_b32_e32 v39, 0
	s_mov_b64 s[14:15], 0
	v_mov_b64_e32 v[4:5], s[10:11]
	v_mov_b64_e32 v[6:7], s[12:13]
	v_lshlrev_b32_e32 v42, 2, v8
	v_lshlrev_b32_e32 v38, 2, v10
	;; [unrolled: 1-line block ×3, first 2 shown]
	s_branch .LBB30_51
.LBB30_49:                              ;   in Loop: Header=BB30_51 Depth=1
	s_or_b64 exec, exec, s[0:1]
	s_waitcnt vmcnt(5) lgkmcnt(0)
	v_mul_f32_e32 v13, v9, v13
	v_fmac_f32_e32 v13, v8, v12
	s_waitcnt vmcnt(4)
	v_mul_f32_e32 v12, v9, v17
	v_fmac_f32_e32 v12, v8, v16
	v_fmac_f32_e32 v12, v10, v18
	v_fmac_f32_e32 v12, v11, v19
	v_add_f32_e32 v3, v3, v12
	s_waitcnt vmcnt(3)
	v_mul_f32_e32 v12, v9, v21
	v_fmac_f32_e32 v12, v8, v20
	v_fmac_f32_e32 v12, v10, v22
	v_fmac_f32_e32 v12, v11, v23
	v_add_f32_e32 v4, v4, v12
	;; [unrolled: 6-line block ×3, first 2 shown]
	s_waitcnt vmcnt(1)
	v_mul_f32_e32 v12, v9, v29
	s_waitcnt vmcnt(0)
	v_mul_f32_e32 v9, v9, v33
	v_fmac_f32_e32 v12, v8, v28
	v_fmac_f32_e32 v9, v8, v32
	;; [unrolled: 1-line block ×8, first 2 shown]
	v_add_f32_e32 v2, v2, v13
	v_add_f32_e32 v6, v6, v12
	;; [unrolled: 1-line block ×3, first 2 shown]
.LBB30_50:                              ;   in Loop: Header=BB30_51 Depth=1
	s_or_b64 exec, exec, s[8:9]
	v_add_u32_e32 v36, 2, v36
	v_cmp_le_i32_e32 vcc, s48, v36
	v_lshl_add_u64 v[40:41], v[40:41], 0, 8
	v_add_u32_e32 v48, 32, v48
	s_or_b64 s[14:15], vcc, s[14:15]
	v_add_u32_e32 v37, 0x80, v37
	s_andn2_b64 exec, exec, s[14:15]
	s_cbranch_execz .LBB30_64
.LBB30_51:                              ; =>This Inner Loop Header: Depth=1
	v_sub_u32_e32 v9, 0, v48
	v_max_i32_e32 v9, v48, v9
	v_mul_hi_u32 v10, v9, s46
	v_mul_lo_u32 v11, v10, s25
	v_sub_u32_e32 v9, v9, v11
	v_add_u32_e32 v11, 1, v10
	v_cmp_le_u32_e32 vcc, s25, v9
	v_ashrrev_i32_e32 v8, 31, v48
	v_xor_b32_e32 v8, s19, v8
	v_cndmask_b32_e32 v10, v10, v11, vcc
	v_subrev_u32_e32 v11, s25, v9
	v_cndmask_b32_e32 v9, v9, v11, vcc
	v_add_u32_e32 v11, 1, v10
	v_cmp_le_u32_e32 vcc, s25, v9
	s_nop 1
	v_cndmask_b32_e32 v9, v10, v11, vcc
	v_xor_b32_e32 v9, v9, v8
	v_sub_u32_e32 v8, v9, v8
	v_add_u32_e32 v9, s47, v8
	v_sub_u32_e32 v11, 0, v9
	v_ashrrev_i32_e32 v10, 31, v9
	v_max_i32_e32 v9, v9, v11
	v_mul_hi_u32 v11, v9, v53
	v_mul_lo_u32 v11, v11, s17
	v_sub_u32_e32 v9, v9, v11
	v_subrev_u32_e32 v11, s17, v9
	v_cmp_le_u32_e32 vcc, s17, v9
	v_cmp_lt_i32_e64 s[0:1], s5, v8
	s_nop 0
	v_cndmask_b32_e32 v9, v9, v11, vcc
	v_subrev_u32_e32 v11, s17, v9
	v_cmp_le_u32_e32 vcc, s17, v9
	s_nop 1
	v_cndmask_b32_e32 v9, v9, v11, vcc
	v_xor_b32_e32 v9, v9, v10
	v_sub_u32_e32 v9, v9, v10
	v_cmp_eq_u32_e32 vcc, 0, v9
	s_or_b64 s[0:1], vcc, s[0:1]
	s_and_saveexec_b64 s[8:9], s[0:1]
	s_cbranch_execz .LBB30_50
; %bb.52:                               ;   in Loop: Header=BB30_51 Depth=1
	global_load_dword v8, v[40:41], off
	v_mov_b32_e32 v43, v39
	v_cmp_eq_u32_e32 vcc, s20, v36
	s_waitcnt vmcnt(0)
	v_mad_i64_i32 v[8:9], s[0:1], v8, s18, 0
	v_lshl_add_u64 v[32:33], v[8:9], 2, s[6:7]
	v_lshl_add_u64 v[24:25], v[32:33], 0, v[42:43]
	global_load_dwordx4 v[12:15], v[24:25], off
	ds_read_b128 v[8:11], v37
	v_add_u32_e32 v43, v52, v48
	v_add_u32_e32 v56, 1, v43
	;; [unrolled: 1-line block ×4, first 2 shown]
	s_and_saveexec_b64 s[10:11], vcc
	s_cbranch_execnz .LBB30_61
; %bb.53:                               ;   in Loop: Header=BB30_51 Depth=1
	s_or_b64 exec, exec, s[10:11]
	global_load_dwordx4 v[16:19], v[24:25], off offset:1024
	s_and_saveexec_b64 s[10:11], vcc
	s_cbranch_execnz .LBB30_62
.LBB30_54:                              ;   in Loop: Header=BB30_51 Depth=1
	s_or_b64 exec, exec, s[10:11]
	global_load_dwordx4 v[20:23], v[24:25], off offset:2048
	s_and_saveexec_b64 s[10:11], vcc
	s_cbranch_execnz .LBB30_63
.LBB30_55:                              ;   in Loop: Header=BB30_51 Depth=1
	s_or_b64 exec, exec, s[10:11]
	global_load_dwordx4 v[24:27], v[24:25], off offset:3072
	s_and_saveexec_b64 s[10:11], vcc
	s_cbranch_execz .LBB30_57
.LBB30_56:                              ;   in Loop: Header=BB30_51 Depth=1
	v_cmp_gt_i32_e64 s[0:1], s33, v43
	s_waitcnt vmcnt(0)
	s_nop 0
	v_cndmask_b32_e64 v24, 0, v24, s[0:1]
	v_cmp_gt_i32_e64 s[0:1], s33, v56
	s_nop 1
	v_cndmask_b32_e64 v25, 0, v25, s[0:1]
	v_cmp_gt_i32_e64 s[0:1], s33, v55
	;; [unrolled: 3-line block ×3, first 2 shown]
	s_nop 1
	v_cndmask_b32_e64 v27, 0, v27, s[0:1]
.LBB30_57:                              ;   in Loop: Header=BB30_51 Depth=1
	s_or_b64 exec, exec, s[10:11]
	v_lshl_add_u64 v[28:29], v[32:33], 0, v[38:39]
	global_load_dwordx4 v[28:31], v[28:29], off
	s_and_saveexec_b64 s[10:11], vcc
	s_cbranch_execz .LBB30_59
; %bb.58:                               ;   in Loop: Header=BB30_51 Depth=1
	v_cmp_gt_i32_e64 s[0:1], s33, v43
	s_waitcnt vmcnt(0)
	s_nop 0
	v_cndmask_b32_e64 v28, 0, v28, s[0:1]
	v_cmp_gt_i32_e64 s[0:1], s33, v56
	s_nop 1
	v_cndmask_b32_e64 v29, 0, v29, s[0:1]
	v_cmp_gt_i32_e64 s[0:1], s33, v55
	;; [unrolled: 3-line block ×3, first 2 shown]
	s_nop 1
	v_cndmask_b32_e64 v31, 0, v31, s[0:1]
.LBB30_59:                              ;   in Loop: Header=BB30_51 Depth=1
	s_or_b64 exec, exec, s[10:11]
	v_mov_b32_e32 v45, v39
	v_lshl_add_u64 v[32:33], v[32:33], 0, v[44:45]
	global_load_dwordx4 v[32:35], v[32:33], off
	s_and_saveexec_b64 s[0:1], vcc
	s_cbranch_execz .LBB30_49
; %bb.60:                               ;   in Loop: Header=BB30_51 Depth=1
	v_cmp_gt_i32_e32 vcc, s33, v43
	s_waitcnt vmcnt(0)
	s_nop 0
	v_cndmask_b32_e32 v32, 0, v32, vcc
	v_cmp_gt_i32_e32 vcc, s33, v56
	s_nop 1
	v_cndmask_b32_e32 v33, 0, v33, vcc
	v_cmp_gt_i32_e32 vcc, s33, v55
	;; [unrolled: 3-line block ×3, first 2 shown]
	s_nop 1
	v_cndmask_b32_e32 v35, 0, v35, vcc
	s_branch .LBB30_49
.LBB30_61:                              ;   in Loop: Header=BB30_51 Depth=1
	v_cmp_gt_i32_e64 s[0:1], s33, v43
	s_waitcnt vmcnt(0)
	s_nop 0
	v_cndmask_b32_e64 v12, 0, v12, s[0:1]
	v_cmp_gt_i32_e64 s[0:1], s33, v56
	s_nop 1
	v_cndmask_b32_e64 v13, 0, v13, s[0:1]
	v_cmp_gt_i32_e64 s[0:1], s33, v55
	;; [unrolled: 3-line block ×3, first 2 shown]
	s_nop 1
	v_cndmask_b32_e64 v15, 0, v15, s[0:1]
	s_or_b64 exec, exec, s[10:11]
	global_load_dwordx4 v[16:19], v[24:25], off offset:1024
	s_and_saveexec_b64 s[10:11], vcc
	s_cbranch_execz .LBB30_54
.LBB30_62:                              ;   in Loop: Header=BB30_51 Depth=1
	v_cmp_gt_i32_e64 s[0:1], s33, v43
	s_waitcnt vmcnt(0)
	s_nop 0
	v_cndmask_b32_e64 v16, 0, v16, s[0:1]
	v_cmp_gt_i32_e64 s[0:1], s33, v56
	s_nop 1
	v_cndmask_b32_e64 v17, 0, v17, s[0:1]
	v_cmp_gt_i32_e64 s[0:1], s33, v55
	;; [unrolled: 3-line block ×3, first 2 shown]
	s_nop 1
	v_cndmask_b32_e64 v19, 0, v19, s[0:1]
	s_or_b64 exec, exec, s[10:11]
	global_load_dwordx4 v[20:23], v[24:25], off offset:2048
	s_and_saveexec_b64 s[10:11], vcc
	s_cbranch_execz .LBB30_55
.LBB30_63:                              ;   in Loop: Header=BB30_51 Depth=1
	v_cmp_gt_i32_e64 s[0:1], s33, v43
	s_waitcnt vmcnt(0)
	s_nop 0
	v_cndmask_b32_e64 v20, 0, v20, s[0:1]
	v_cmp_gt_i32_e64 s[0:1], s33, v56
	s_nop 1
	v_cndmask_b32_e64 v21, 0, v21, s[0:1]
	v_cmp_gt_i32_e64 s[0:1], s33, v55
	;; [unrolled: 3-line block ×3, first 2 shown]
	s_nop 1
	v_cndmask_b32_e64 v23, 0, v23, s[0:1]
	s_or_b64 exec, exec, s[10:11]
	global_load_dwordx4 v[24:27], v[24:25], off offset:3072
	s_and_saveexec_b64 s[10:11], vcc
	s_cbranch_execnz .LBB30_56
	s_branch .LBB30_57
.LBB30_64:
	s_or_b64 exec, exec, s[14:15]
.LBB30_65:
	s_or_b64 exec, exec, s[2:3]
	ds_bpermute_b32 v8, v51, v2
	ds_bpermute_b32 v9, v51, v3
	ds_bpermute_b32 v10, v51, v4
	ds_bpermute_b32 v11, v51, v5
	ds_bpermute_b32 v12, v51, v6
	ds_bpermute_b32 v13, v51, v7
	s_waitcnt lgkmcnt(4)
	v_pk_add_f32 v[2:3], v[2:3], v[8:9]
	ds_bpermute_b32 v8, v50, v2
	ds_bpermute_b32 v9, v50, v3
	s_waitcnt lgkmcnt(4)
	v_pk_add_f32 v[4:5], v[4:5], v[10:11]
	s_waitcnt lgkmcnt(2)
	v_pk_add_f32 v[12:13], v[6:7], v[12:13]
	ds_bpermute_b32 v10, v50, v4
	ds_bpermute_b32 v11, v50, v5
	;; [unrolled: 1-line block ×4, first 2 shown]
	s_waitcnt lgkmcnt(4)
	v_pk_add_f32 v[6:7], v[2:3], v[8:9]
	v_and_b32_e32 v8, 0x3c3, v0
	s_waitcnt lgkmcnt(2)
	v_pk_add_f32 v[2:3], v[4:5], v[10:11]
	v_cmp_eq_u32_e32 vcc, 64, v8
	s_waitcnt lgkmcnt(0)
	v_pk_add_f32 v[4:5], v[12:13], v[14:15]
	s_barrier
	s_and_saveexec_b64 s[0:1], vcc
	s_cbranch_execz .LBB30_67
; %bb.66:
	v_add_u32_e32 v9, 0x190, v49
	ds_write2_b32 v9, v6, v7 offset1:16
	ds_write2_b32 v9, v2, v3 offset0:32 offset1:48
	ds_write2_b32 v9, v4, v5 offset0:64 offset1:80
.LBB30_67:
	s_or_b64 exec, exec, s[0:1]
	v_cmp_gt_u32_e32 vcc, 64, v0
	s_waitcnt lgkmcnt(0)
	s_barrier
	s_and_saveexec_b64 s[0:1], vcc
	s_cbranch_execz .LBB30_76
; %bb.68:
	v_cmp_eq_u32_e32 vcc, 0, v47
	s_and_saveexec_b64 s[2:3], vcc
	s_cbranch_execnz .LBB30_79
; %bb.69:
	s_or_b64 exec, exec, s[2:3]
	s_and_saveexec_b64 s[2:3], vcc
	s_cbranch_execnz .LBB30_80
.LBB30_70:
	s_or_b64 exec, exec, s[2:3]
	s_and_saveexec_b64 s[2:3], vcc
	s_cbranch_execnz .LBB30_81
.LBB30_71:
	s_or_b64 exec, exec, s[2:3]
	s_and_saveexec_b64 s[2:3], vcc
	s_cbranch_execnz .LBB30_82
.LBB30_72:
	s_or_b64 exec, exec, s[2:3]
	s_and_saveexec_b64 s[2:3], vcc
	s_cbranch_execnz .LBB30_83
.LBB30_73:
	s_or_b64 exec, exec, s[2:3]
	s_and_saveexec_b64 s[2:3], vcc
	s_cbranch_execz .LBB30_75
.LBB30_74:
	v_mov_b32_e32 v0, 0x190
	v_lshl_add_u32 v0, v46, 2, v0
	ds_read_b32 v0, v0 offset:320
	s_waitcnt lgkmcnt(0)
	v_add_f32_e32 v5, v5, v0
.LBB30_75:
	s_or_b64 exec, exec, s[2:3]
.LBB30_76:
	s_or_b64 exec, exec, s[0:1]
	v_cmp_eq_u32_e32 vcc, 0, v8
	s_barrier
	s_and_saveexec_b64 s[0:1], vcc
	s_cbranch_execz .LBB30_78
; %bb.77:
	s_mul_i32 s0, s28, 0x60
	s_ashr_i32 s1, s0, 31
	s_lshl_b64 s[0:1], s[0:1], 2
	s_add_u32 s2, s26, s0
	s_mul_i32 s0, s16, s24
	s_addc_u32 s3, s27, s1
	s_ashr_i32 s1, s0, 31
	s_lshl_b64 s[0:1], s[0:1], 2
	s_add_u32 s2, s2, s0
	s_mul_i32 s0, s4, 0x60
	s_addc_u32 s3, s3, s1
	s_ashr_i32 s1, s0, 31
	s_lshl_b64 s[0:1], s[0:1], 2
	s_add_u32 s0, s2, s0
	s_addc_u32 s1, s3, s1
	global_store_dword v1, v6, s[0:1]
	global_store_dword v1, v7, s[0:1] offset:64
	global_store_dword v1, v2, s[0:1] offset:128
	;; [unrolled: 1-line block ×5, first 2 shown]
.LBB30_78:
	s_endpgm
.LBB30_79:
	v_mov_b32_e32 v0, 0x190
	v_lshl_add_u32 v0, v46, 2, v0
	ds_read_b32 v0, v0
	s_waitcnt lgkmcnt(0)
	v_add_f32_e32 v6, v6, v0
	s_or_b64 exec, exec, s[2:3]
	s_and_saveexec_b64 s[2:3], vcc
	s_cbranch_execz .LBB30_70
.LBB30_80:
	v_mov_b32_e32 v0, 0x190
	v_lshl_add_u32 v0, v46, 2, v0
	ds_read_b32 v0, v0 offset:64
	s_waitcnt lgkmcnt(0)
	v_add_f32_e32 v7, v7, v0
	s_or_b64 exec, exec, s[2:3]
	s_and_saveexec_b64 s[2:3], vcc
	s_cbranch_execz .LBB30_71
.LBB30_81:
	v_mov_b32_e32 v0, 0x190
	v_lshl_add_u32 v0, v46, 2, v0
	ds_read_b32 v0, v0 offset:128
	s_waitcnt lgkmcnt(0)
	v_add_f32_e32 v2, v2, v0
	s_or_b64 exec, exec, s[2:3]
	s_and_saveexec_b64 s[2:3], vcc
	s_cbranch_execz .LBB30_72
.LBB30_82:
	v_mov_b32_e32 v0, 0x190
	v_lshl_add_u32 v0, v46, 2, v0
	ds_read_b32 v0, v0 offset:192
	s_waitcnt lgkmcnt(0)
	v_add_f32_e32 v3, v3, v0
	s_or_b64 exec, exec, s[2:3]
	s_and_saveexec_b64 s[2:3], vcc
	s_cbranch_execz .LBB30_73
.LBB30_83:
	v_mov_b32_e32 v0, 0x190
	v_lshl_add_u32 v0, v46, 2, v0
	ds_read_b32 v0, v0 offset:256
	s_waitcnt lgkmcnt(0)
	v_add_f32_e32 v4, v4, v0
	s_or_b64 exec, exec, s[2:3]
	s_and_saveexec_b64 s[2:3], vcc
	s_cbranch_execnz .LBB30_74
	s_branch .LBB30_75
	.section	.rodata,"a",@progbits
	.p2align	6, 0x0
	.amdhsa_kernel _ZN4vllm25paged_attention_v2_kernelIffLi96ELi16ELi128ELNS_18Fp8KVCacheDataTypeE0ELb1ELi512EEEvPfS2_PT_PKS3_PKT0_S9_ifPKiSB_iPKfiiiSD_SD_iiiii
		.amdhsa_group_segment_fixed_size 400
		.amdhsa_private_segment_fixed_size 0
		.amdhsa_kernarg_size 400
		.amdhsa_user_sgpr_count 2
		.amdhsa_user_sgpr_dispatch_ptr 0
		.amdhsa_user_sgpr_queue_ptr 0
		.amdhsa_user_sgpr_kernarg_segment_ptr 1
		.amdhsa_user_sgpr_dispatch_id 0
		.amdhsa_user_sgpr_kernarg_preload_length 0
		.amdhsa_user_sgpr_kernarg_preload_offset 0
		.amdhsa_user_sgpr_private_segment_size 0
		.amdhsa_uses_dynamic_stack 0
		.amdhsa_enable_private_segment 0
		.amdhsa_system_sgpr_workgroup_id_x 1
		.amdhsa_system_sgpr_workgroup_id_y 1
		.amdhsa_system_sgpr_workgroup_id_z 1
		.amdhsa_system_sgpr_workgroup_info 0
		.amdhsa_system_vgpr_workitem_id 0
		.amdhsa_next_free_vgpr 76
		.amdhsa_next_free_sgpr 53
		.amdhsa_accum_offset 76
		.amdhsa_reserve_vcc 1
		.amdhsa_float_round_mode_32 0
		.amdhsa_float_round_mode_16_64 0
		.amdhsa_float_denorm_mode_32 3
		.amdhsa_float_denorm_mode_16_64 3
		.amdhsa_dx10_clamp 1
		.amdhsa_ieee_mode 1
		.amdhsa_fp16_overflow 0
		.amdhsa_tg_split 0
		.amdhsa_exception_fp_ieee_invalid_op 0
		.amdhsa_exception_fp_denorm_src 0
		.amdhsa_exception_fp_ieee_div_zero 0
		.amdhsa_exception_fp_ieee_overflow 0
		.amdhsa_exception_fp_ieee_underflow 0
		.amdhsa_exception_fp_ieee_inexact 0
		.amdhsa_exception_int_div_zero 0
	.end_amdhsa_kernel
	.section	.text._ZN4vllm25paged_attention_v2_kernelIffLi96ELi16ELi128ELNS_18Fp8KVCacheDataTypeE0ELb1ELi512EEEvPfS2_PT_PKS3_PKT0_S9_ifPKiSB_iPKfiiiSD_SD_iiiii,"axG",@progbits,_ZN4vllm25paged_attention_v2_kernelIffLi96ELi16ELi128ELNS_18Fp8KVCacheDataTypeE0ELb1ELi512EEEvPfS2_PT_PKS3_PKT0_S9_ifPKiSB_iPKfiiiSD_SD_iiiii,comdat
.Lfunc_end30:
	.size	_ZN4vllm25paged_attention_v2_kernelIffLi96ELi16ELi128ELNS_18Fp8KVCacheDataTypeE0ELb1ELi512EEEvPfS2_PT_PKS3_PKT0_S9_ifPKiSB_iPKfiiiSD_SD_iiiii, .Lfunc_end30-_ZN4vllm25paged_attention_v2_kernelIffLi96ELi16ELi128ELNS_18Fp8KVCacheDataTypeE0ELb1ELi512EEEvPfS2_PT_PKS3_PKT0_S9_ifPKiSB_iPKfiiiSD_SD_iiiii
                                        ; -- End function
	.section	.AMDGPU.csdata,"",@progbits
; Kernel info:
; codeLenInByte = 5580
; NumSgprs: 59
; NumVgprs: 76
; NumAgprs: 0
; TotalNumVgprs: 76
; ScratchSize: 0
; MemoryBound: 0
; FloatMode: 240
; IeeeMode: 1
; LDSByteSize: 400 bytes/workgroup (compile time only)
; SGPRBlocks: 7
; VGPRBlocks: 9
; NumSGPRsForWavesPerEU: 59
; NumVGPRsForWavesPerEU: 76
; AccumOffset: 76
; Occupancy: 6
; WaveLimiterHint : 1
; COMPUTE_PGM_RSRC2:SCRATCH_EN: 0
; COMPUTE_PGM_RSRC2:USER_SGPR: 2
; COMPUTE_PGM_RSRC2:TRAP_HANDLER: 0
; COMPUTE_PGM_RSRC2:TGID_X_EN: 1
; COMPUTE_PGM_RSRC2:TGID_Y_EN: 1
; COMPUTE_PGM_RSRC2:TGID_Z_EN: 1
; COMPUTE_PGM_RSRC2:TIDIG_COMP_CNT: 0
; COMPUTE_PGM_RSRC3_GFX90A:ACCUM_OFFSET: 18
; COMPUTE_PGM_RSRC3_GFX90A:TG_SPLIT: 0
	.section	.text._ZN4vllm25paged_attention_v2_kernelIffLi112ELi16ELi128ELNS_18Fp8KVCacheDataTypeE0ELb1ELi512EEEvPfS2_PT_PKS3_PKT0_S9_ifPKiSB_iPKfiiiSD_SD_iiiii,"axG",@progbits,_ZN4vllm25paged_attention_v2_kernelIffLi112ELi16ELi128ELNS_18Fp8KVCacheDataTypeE0ELb1ELi512EEEvPfS2_PT_PKS3_PKT0_S9_ifPKiSB_iPKfiiiSD_SD_iiiii,comdat
	.protected	_ZN4vllm25paged_attention_v2_kernelIffLi112ELi16ELi128ELNS_18Fp8KVCacheDataTypeE0ELb1ELi512EEEvPfS2_PT_PKS3_PKT0_S9_ifPKiSB_iPKfiiiSD_SD_iiiii ; -- Begin function _ZN4vllm25paged_attention_v2_kernelIffLi112ELi16ELi128ELNS_18Fp8KVCacheDataTypeE0ELb1ELi512EEEvPfS2_PT_PKS3_PKT0_S9_ifPKiSB_iPKfiiiSD_SD_iiiii
	.globl	_ZN4vllm25paged_attention_v2_kernelIffLi112ELi16ELi128ELNS_18Fp8KVCacheDataTypeE0ELb1ELi512EEEvPfS2_PT_PKS3_PKT0_S9_ifPKiSB_iPKfiiiSD_SD_iiiii
	.p2align	8
	.type	_ZN4vllm25paged_attention_v2_kernelIffLi112ELi16ELi128ELNS_18Fp8KVCacheDataTypeE0ELb1ELi512EEEvPfS2_PT_PKS3_PKT0_S9_ifPKiSB_iPKfiiiSD_SD_iiiii,@function
_ZN4vllm25paged_attention_v2_kernelIffLi112ELi16ELi128ELNS_18Fp8KVCacheDataTypeE0ELb1ELi512EEEvPfS2_PT_PKS3_PKT0_S9_ifPKiSB_iPKfiiiSD_SD_iiiii: ; @_ZN4vllm25paged_attention_v2_kernelIffLi112ELi16ELi128ELNS_18Fp8KVCacheDataTypeE0ELb1ELi512EEEvPfS2_PT_PKS3_PKT0_S9_ifPKiSB_iPKfiiiSD_SD_iiiii
; %bb.0:
	s_load_dwordx2 s[6:7], s[0:1], 0x40
	s_mov_b32 s28, s3
	s_ashr_i32 s29, s3, 31
	s_lshl_b64 s[8:9], s[28:29], 2
	s_waitcnt lgkmcnt(0)
	s_add_u32 s6, s6, s8
	s_addc_u32 s7, s7, s9
	s_load_dword s29, s[6:7], 0x0
	s_lshl_b32 s50, s4, 9
	s_waitcnt lgkmcnt(0)
	s_cmp_ge_i32 s50, s29
	s_cbranch_scc1 .LBB31_81
; %bb.1:
	s_load_dword s5, s[0:1], 0x90
	s_load_dwordx2 s[38:39], s[0:1], 0x30
	s_waitcnt lgkmcnt(0)
	s_abs_i32 s7, s5
	s_abs_i32 s3, s38
	v_cvt_f32_u32_e32 v1, s3
	s_sub_i32 s8, 0, s3
	s_xor_b32 s6, s5, s38
	s_ashr_i32 s6, s6, 31
	v_rcp_iflag_f32_e32 v1, v1
	s_nop 0
	v_mul_f32_e32 v1, 0x4f7ffffe, v1
	v_cvt_u32_f32_e32 v1, v1
	s_nop 0
	v_readfirstlane_b32 s9, v1
	s_mul_i32 s8, s8, s9
	s_mul_hi_u32 s8, s9, s8
	s_add_i32 s9, s9, s8
	s_mul_hi_u32 s8, s7, s9
	s_mul_i32 s9, s8, s3
	s_sub_i32 s7, s7, s9
	s_add_i32 s10, s8, 1
	s_sub_i32 s9, s7, s3
	s_cmp_ge_u32 s7, s3
	s_cselect_b32 s8, s10, s8
	s_cselect_b32 s7, s9, s7
	s_add_i32 s9, s8, 1
	s_cmp_ge_u32 s7, s3
	s_cselect_b32 s3, s9, s8
	s_xor_b32 s3, s3, s6
	s_sub_i32 s12, s3, s6
	s_abs_i32 s8, s12
	v_cvt_f32_u32_e32 v1, s8
	s_load_dwordx2 s[6:7], s[0:1], 0x50
	s_sub_i32 s10, 0, s8
	s_abs_i32 s9, s2
	v_rcp_iflag_f32_e32 v1, v1
	s_mov_b32 s3, 0
	v_mul_f32_e32 v1, 0x4f7ffffe, v1
	v_cvt_u32_f32_e32 v1, v1
	s_nop 0
	v_readfirstlane_b32 s11, v1
	s_mul_i32 s10, s10, s11
	s_mul_hi_u32 s10, s11, s10
	s_add_i32 s11, s11, s10
	s_waitcnt lgkmcnt(0)
	s_cmp_eq_u64 s[6:7], 0
	s_mul_hi_u32 s10, s9, s11
	s_cbranch_scc1 .LBB31_3
; %bb.2:
	s_ashr_i32 s3, s2, 31
	s_lshl_b64 s[14:15], s[2:3], 2
	s_add_u32 s6, s6, s14
	s_addc_u32 s7, s7, s15
	s_load_dword s3, s[6:7], 0x0
.LBB31_3:
	s_ashr_i32 s16, s12, 31
	s_load_dwordx4 s[12:15], s[0:1], 0x58
	v_lshrrev_b32_e32 v54, 2, v0
	s_waitcnt lgkmcnt(0)
	s_movk_i32 s15, 0x70
	s_ashr_i32 s11, s2, 31
	v_and_b32_e32 v55, 3, v0
	s_mul_i32 s24, s2, 0x70
	v_cmp_gt_u32_e32 vcc, s15, v0
	v_lshlrev_b32_e32 v10, 2, v0
	v_lshlrev_b32_e32 v1, 2, v54
	s_and_saveexec_b64 s[6:7], vcc
	s_cbranch_execz .LBB31_5
; %bb.4:
	s_load_dwordx2 s[18:19], s[0:1], 0x18
	s_mul_i32 s20, s28, s12
	s_ashr_i32 s21, s20, 31
	s_lshl_b64 s[20:21], s[20:21], 2
	v_mad_u32_u24 v3, v55, s15, v1
	s_waitcnt lgkmcnt(0)
	s_add_u32 s12, s18, s20
	s_addc_u32 s17, s19, s21
	s_ashr_i32 s25, s24, 31
	s_lshl_b64 s[18:19], s[24:25], 2
	s_add_u32 s18, s12, s18
	s_addc_u32 s19, s17, s19
	global_load_dword v2, v10, s[18:19]
	s_waitcnt vmcnt(0)
	ds_write_b32 v3, v2
.LBB31_5:
	s_or_b64 exec, exec, s[6:7]
	s_mul_i32 s7, s10, s8
	s_sub_i32 s7, s9, s7
	s_xor_b32 s6, s11, s16
	s_add_i32 s9, s10, 1
	s_sub_i32 s11, s7, s8
	s_load_dwordx4 s[16:19], s[0:1], 0x78
	s_cmp_ge_u32 s7, s8
	s_cselect_b32 s9, s9, s10
	s_cselect_b32 s7, s11, s7
	s_load_dword s11, s[0:1], 0x88
	s_add_i32 s10, s9, 1
	s_cmp_ge_u32 s7, s8
	s_cselect_b32 s7, s10, s9
	s_waitcnt lgkmcnt(0)
	s_abs_i32 s25, s19
	v_cvt_f32_u32_e32 v2, s25
	s_xor_b32 s7, s7, s6
	s_sub_i32 s10, s7, s6
	s_sub_i32 s6, 0, s25
	v_rcp_iflag_f32_e32 v2, v2
	s_add_i32 s12, s29, -1
	s_abs_i32 s8, s12
	v_mul_f32_e32 v2, 0x4f7ffffe, v2
	v_cvt_u32_f32_e32 v2, v2
	s_barrier
	v_readfirstlane_b32 s33, v2
	s_mul_i32 s6, s6, s33
	s_mul_hi_u32 s6, s33, s6
	s_add_i32 s33, s33, s6
	s_cmp_lt_i32 s11, 0
	s_mul_hi_u32 s9, s8, s33
	s_cbranch_scc0 .LBB31_7
; %bb.6:
	s_mul_i32 s6, s16, s38
	s_add_i32 s6, s10, s6
	s_mul_i32 s6, s6, s11
	s_sub_i32 s46, 1, s6
	s_mov_b64 s[6:7], 0
	s_branch .LBB31_8
.LBB31_7:
	s_mov_b64 s[6:7], -1
                                        ; implicit-def: $sgpr46
.LBB31_8:
	s_load_dwordx2 s[30:31], s[0:1], 0x38
	s_ashr_i32 s12, s12, 31
	s_andn2_b64 vcc, exec, s[6:7]
	s_ashr_i32 s47, s19, 31
	s_cbranch_vccnz .LBB31_10
; %bb.9:
	s_mul_i32 s6, s5, s16
	s_add_i32 s6, s6, s2
	s_mul_i32 s6, s6, s11
	s_add_i32 s46, s6, 1
.LBB31_10:
	s_load_dword s6, s[0:1], 0x48
	s_load_dwordx2 s[36:37], s[0:1], 0x28
	s_load_dword s19, s[0:1], 0x98
	s_load_dwordx4 s[20:23], s[0:1], 0x0
	s_load_dwordx2 s[26:27], s[0:1], 0x10
	s_mul_i32 s7, s9, s25
	s_waitcnt lgkmcnt(0)
	s_mul_i32 s34, s28, s6
	s_sub_i32 s7, s8, s7
	s_ashr_i32 s35, s34, 31
	s_xor_b32 s6, s12, s47
	s_add_i32 s8, s9, 1
	s_sub_i32 s11, s7, s25
	s_cmp_ge_u32 s7, s25
	s_cselect_b32 s8, s8, s9
	s_cselect_b32 s7, s11, s7
	s_add_i32 s9, s8, 1
	s_cmp_ge_u32 s7, s25
	s_cselect_b32 s7, s9, s8
	s_xor_b32 s7, s7, s6
	s_sub_i32 s49, s7, s6
	s_add_i32 s6, s29, 15
	s_ashr_i32 s7, s6, 31
	s_lshr_b32 s7, s7, 28
	s_add_i32 s6, s6, s7
	s_lshl_b32 s12, s4, 5
	s_ashr_i32 s16, s6, 4
	s_add_i32 s6, s12, 32
	v_lshrrev_b32_e32 v11, 6, v0
	s_min_i32 s48, s6, s16
	v_or_b32_e32 v42, s12, v11
	v_cmp_gt_i32_e64 s[8:9], s48, v42
	v_mov_b32_e32 v12, 0xff7fffff
	s_mul_i32 s14, s10, s14
	v_ashrrev_i32_e32 v43, 31, v42
	v_lshl_add_u32 v9, v11, 4, s50
	v_mbcnt_lo_u32_b32 v6, -1, 0
	s_and_saveexec_b64 s[40:41], s[8:9]
	s_cbranch_execz .LBB31_20
; %bb.11:
	s_load_dwordx2 s[0:1], s[0:1], 0x20
	s_ashr_i32 s15, s14, 31
	s_sub_i32 s38, s49, s17
	s_lshl_b64 s[6:7], s[14:15], 2
	v_bfe_u32 v7, v0, 2, 4
	s_waitcnt lgkmcnt(0)
	s_add_u32 s0, s0, s6
	s_addc_u32 s1, s1, s7
	s_abs_i32 s15, s18
	v_cvt_f32_u32_e32 v4, s15
	v_lshlrev_b32_e32 v2, 4, v7
	v_mov_b32_e32 v3, 0
	v_lshlrev_b32_e32 v12, 2, v7
	v_rcp_iflag_f32_e32 v8, v4
	v_lshl_add_u64 v[4:5], s[0:1], 0, v[2:3]
	v_lshlrev_b32_e32 v2, 2, v55
	v_lshl_add_u64 v[2:3], v[4:5], 0, v[2:3]
	v_mul_f32_e32 v4, 0x4f7ffffe, v8
	v_cvt_u32_f32_e32 v4, v4
	s_sub_i32 s0, 0, s15
	v_lshl_or_b32 v12, v11, 6, v12
	v_add_u32_e32 v15, 0x1d0, v12
	v_mul_lo_u32 v5, s0, v4
	s_lshl_b64 s[0:1], s[34:35], 2
	s_add_u32 s0, s30, s0
	v_subrev_u32_e32 v12, s29, v7
	v_mbcnt_hi_u32_b32 v18, -1, v6
	v_mul_hi_u32 v5, v4, v5
	s_addc_u32 s1, s31, s1
	v_add_u32_e32 v16, 1, v12
	v_and_b32_e32 v12, 64, v18
	v_cmp_eq_u32_e32 vcc, 0, v55
	s_mov_b32 s51, s13
	v_mul_u32_u24_e32 v8, 0x70, v55
	v_cmp_neq_f32_e64 s[6:7], s3, 0
	v_add_u32_e32 v13, v4, v5
	v_lshl_add_u64 v[4:5], v[42:43], 2, s[0:1]
	v_lshl_add_u32 v14, v11, 4, s50
	s_mov_b64 s[42:43], 0
	v_mov_b32_e32 v17, 0xff7fffff
	s_movk_i32 s52, 0x1000
	v_add_u32_e32 v19, 64, v12
	v_xor_b32_e32 v20, 2, v18
	v_xor_b32_e32 v21, 1, v18
	v_mov_b32_e32 v12, 0xff7fffff
	v_mov_b32_e32 v22, v42
	s_branch .LBB31_14
.LBB31_12:                              ;   in Loop: Header=BB31_14 Depth=1
	s_or_b64 exec, exec, s[44:45]
.LBB31_13:                              ;   in Loop: Header=BB31_14 Depth=1
	s_or_b64 exec, exec, s[10:11]
	v_add_u32_e32 v22, 2, v22
	v_cmp_le_i32_e64 s[0:1], s48, v22
	v_lshl_add_u64 v[4:5], v[4:5], 0, 8
	v_add_u32_e32 v14, 32, v14
	s_or_b64 s[42:43], s[0:1], s[42:43]
	v_add_u32_e32 v15, 0x80, v15
	s_andn2_b64 exec, exec, s[42:43]
	s_cbranch_execz .LBB31_19
.LBB31_14:                              ; =>This Inner Loop Header: Depth=1
	s_waitcnt lgkmcnt(0)
	v_sub_u32_e32 v24, 0, v14
	v_max_i32_e32 v24, v14, v24
	v_mul_hi_u32 v25, v24, s33
	v_mul_lo_u32 v26, v25, s25
	v_sub_u32_e32 v24, v24, v26
	v_add_u32_e32 v26, 1, v25
	v_cmp_le_u32_e64 s[0:1], s25, v24
	v_ashrrev_i32_e32 v23, 31, v14
	v_xor_b32_e32 v23, s47, v23
	v_cndmask_b32_e64 v25, v25, v26, s[0:1]
	v_subrev_u32_e32 v26, s25, v24
	v_cndmask_b32_e64 v24, v24, v26, s[0:1]
	v_add_u32_e32 v26, 1, v25
	v_cmp_le_u32_e64 s[0:1], s25, v24
	s_nop 1
	v_cndmask_b32_e64 v24, v25, v26, s[0:1]
	v_xor_b32_e32 v24, v24, v23
	v_sub_u32_e32 v23, v24, v23
	v_add_u32_e32 v24, s46, v23
	v_sub_u32_e32 v26, 0, v24
	v_ashrrev_i32_e32 v25, 31, v24
	v_max_i32_e32 v24, v24, v26
	v_mul_hi_u32 v26, v24, v13
	v_mul_lo_u32 v26, v26, s15
	v_sub_u32_e32 v24, v24, v26
	v_subrev_u32_e32 v26, s15, v24
	v_cmp_le_u32_e64 s[0:1], s15, v24
	v_cmp_ge_i32_e64 s[10:11], s38, v23
	s_nop 0
	v_cndmask_b32_e64 v24, v24, v26, s[0:1]
	v_subrev_u32_e32 v26, s15, v24
	v_cmp_le_u32_e64 s[0:1], s15, v24
	s_nop 1
	v_cndmask_b32_e64 v24, v24, v26, s[0:1]
	v_xor_b32_e32 v24, v24, v25
	v_sub_u32_e32 v24, v24, v25
	v_cmp_ne_u32_e64 s[0:1], 0, v24
	s_and_b64 s[0:1], s[0:1], s[10:11]
	s_and_b64 s[44:45], vcc, s[0:1]
	s_and_saveexec_b64 s[10:11], s[44:45]
	s_cbranch_execz .LBB31_16
; %bb.15:                               ;   in Loop: Header=BB31_14 Depth=1
	ds_write_b32 v15, v17
.LBB31_16:                              ;   in Loop: Header=BB31_14 Depth=1
	s_or_b64 exec, exec, s[10:11]
	s_xor_b64 s[0:1], s[0:1], -1
	s_and_saveexec_b64 s[10:11], s[0:1]
	s_cbranch_execz .LBB31_13
; %bb.17:                               ;   in Loop: Header=BB31_14 Depth=1
	global_load_dword v23, v[4:5], off
	s_waitcnt vmcnt(0)
	v_mad_i64_i32 v[24:25], s[0:1], v23, s51, 0
	v_lshl_add_u64 v[24:25], v[24:25], 2, v[2:3]
	global_load_dword v23, v[24:25], off offset:512
	global_load_dword v40, v[24:25], off offset:768
	;; [unrolled: 1-line block ×7, first 2 shown]
	global_load_dword v62, v[24:25], off
	global_load_dword v63, v[24:25], off offset:2048
	global_load_dword v64, v[24:25], off offset:2304
	;; [unrolled: 1-line block ×8, first 2 shown]
	v_add_co_u32_e64 v24, s[0:1], s52, v24
	s_nop 1
	v_addc_co_u32_e64 v25, s[0:1], 0, v25, s[0:1]
	global_load_dword v71, v[24:25], off
	global_load_dword v72, v[24:25], off offset:256
	global_load_dword v73, v[24:25], off offset:512
	;; [unrolled: 1-line block ×11, first 2 shown]
	ds_read_b128 v[24:27], v8
	ds_read_b128 v[28:31], v8 offset:16
	ds_read_b128 v[32:35], v8 offset:32
	;; [unrolled: 1-line block ×6, first 2 shown]
	v_cmp_lt_i32_e64 s[0:1], v20, v19
	s_waitcnt vmcnt(21) lgkmcnt(6)
	v_mul_f32_e32 v25, v25, v61
	s_waitcnt vmcnt(20)
	v_fmac_f32_e32 v25, v24, v62
	v_fmac_f32_e32 v25, v26, v23
	;; [unrolled: 1-line block ×3, first 2 shown]
	s_waitcnt lgkmcnt(5)
	v_fmac_f32_e32 v25, v28, v41
	v_fmac_f32_e32 v25, v29, v52
	;; [unrolled: 1-line block ×4, first 2 shown]
	s_waitcnt vmcnt(19) lgkmcnt(4)
	v_fmac_f32_e32 v25, v32, v63
	s_waitcnt vmcnt(18)
	v_fmac_f32_e32 v25, v33, v64
	s_waitcnt vmcnt(17)
	v_fmac_f32_e32 v25, v34, v65
	s_waitcnt vmcnt(16)
	v_fmac_f32_e32 v25, v35, v66
	s_waitcnt vmcnt(15) lgkmcnt(3)
	v_fmac_f32_e32 v25, v36, v67
	s_waitcnt vmcnt(14)
	v_fmac_f32_e32 v25, v37, v68
	s_waitcnt vmcnt(13)
	v_fmac_f32_e32 v25, v38, v69
	s_waitcnt vmcnt(12)
	v_fmac_f32_e32 v25, v39, v70
	;; [unrolled: 8-line block ×4, first 2 shown]
	s_waitcnt vmcnt(3) lgkmcnt(0)
	v_fmac_f32_e32 v25, v56, v79
	s_waitcnt vmcnt(2)
	v_fmac_f32_e32 v25, v57, v80
	v_cndmask_b32_e64 v83, v18, v20, s[0:1]
	s_waitcnt vmcnt(1)
	v_fmac_f32_e32 v25, v58, v81
	v_lshlrev_b32_e32 v23, 2, v83
	s_waitcnt vmcnt(0)
	v_fmac_f32_e32 v25, v59, v82
	ds_bpermute_b32 v23, v23, v25
	v_cmp_lt_i32_e64 s[0:1], v21, v19
	s_waitcnt lgkmcnt(0)
	v_add_f32_e32 v23, v25, v23
	v_cndmask_b32_e64 v24, v18, v21, s[0:1]
	v_lshlrev_b32_e32 v24, 2, v24
	ds_bpermute_b32 v24, v24, v23
	s_and_saveexec_b64 s[44:45], vcc
	s_cbranch_execz .LBB31_12
; %bb.18:                               ;   in Loop: Header=BB31_14 Depth=1
	v_add_u32_e32 v25, v16, v14
	v_cvt_f32_i32_e32 v25, v25
	s_waitcnt lgkmcnt(0)
	v_add_f32_e32 v23, v23, v24
	v_add_u32_e32 v26, v7, v14
	v_cmp_gt_i32_e64 s[0:1], s29, v26
	v_mul_f32_e32 v24, s3, v25
	v_cndmask_b32_e64 v24, 0, v24, s[6:7]
	v_fmac_f32_e32 v24, s39, v23
	v_cndmask_b32_e64 v23, 0, v24, s[0:1]
	ds_write_b32 v15, v23
	v_max_f32_e32 v23, v12, v12
	v_max_f32_e32 v23, v23, v24
	v_cndmask_b32_e64 v12, v12, v23, s[0:1]
	s_branch .LBB31_12
.LBB31_19:
	s_or_b64 exec, exec, s[42:43]
.LBB31_20:
	s_or_b64 exec, exec, s[40:41]
	v_mbcnt_hi_u32_b32 v2, -1, v6
	v_and_b32_e32 v3, 64, v2
	v_add_u32_e32 v3, 64, v3
	v_xor_b32_e32 v4, 32, v2
	v_cmp_lt_i32_e32 vcc, v4, v3
	v_xor_b32_e32 v7, 16, v2
	v_max_f32_e32 v6, v12, v12
	v_cndmask_b32_e32 v4, v2, v4, vcc
	v_lshlrev_b32_e32 v5, 2, v4
	ds_bpermute_b32 v4, v5, v12
	v_cmp_lt_i32_e32 vcc, v7, v3
	v_xor_b32_e32 v8, 8, v2
	v_and_b32_e32 v56, 63, v0
	s_waitcnt lgkmcnt(0)
	v_max_f32_e32 v4, v4, v4
	v_max_f32_e32 v4, v6, v4
	v_cndmask_b32_e32 v6, v2, v7, vcc
	v_lshlrev_b32_e32 v6, 2, v6
	ds_bpermute_b32 v7, v6, v4
	v_cmp_lt_i32_e32 vcc, v8, v3
	s_waitcnt lgkmcnt(0)
	v_max_f32_e32 v7, v7, v7
	v_max_f32_e32 v4, v4, v7
	v_cndmask_b32_e32 v7, v2, v8, vcc
	v_lshlrev_b32_e32 v12, 2, v7
	ds_bpermute_b32 v7, v12, v4
	v_xor_b32_e32 v8, 4, v2
	v_cmp_lt_i32_e32 vcc, v8, v3
	s_waitcnt lgkmcnt(0)
	v_max_f32_e32 v7, v7, v7
	v_max_f32_e32 v4, v4, v7
	v_cndmask_b32_e32 v7, v2, v8, vcc
	v_lshlrev_b32_e32 v13, 2, v7
	ds_bpermute_b32 v8, v13, v4
	v_cmp_eq_u32_e32 vcc, 0, v56
	v_lshlrev_b32_e32 v7, 2, v11
	s_and_saveexec_b64 s[0:1], vcc
	s_cbranch_execz .LBB31_22
; %bb.21:
	s_waitcnt lgkmcnt(0)
	v_max_f32_e32 v8, v8, v8
	v_max_f32_e32 v4, v4, v4
	;; [unrolled: 1-line block ×3, first 2 shown]
	ds_write_b32 v7, v4 offset:448
.LBB31_22:
	s_or_b64 exec, exec, s[0:1]
	v_cmp_gt_u32_e64 s[0:1], 2, v56
	v_mov_b32_e32 v4, 0xff7fffff
	s_waitcnt lgkmcnt(0)
	v_lshlrev_b32_e32 v8, 2, v56
	s_barrier
	s_and_saveexec_b64 s[6:7], s[0:1]
	s_cbranch_execz .LBB31_24
; %bb.23:
	ds_read_b32 v4, v8 offset:448
.LBB31_24:
	s_or_b64 exec, exec, s[6:7]
	v_xor_b32_e32 v14, 1, v2
	v_cmp_lt_i32_e64 s[6:7], v14, v3
	s_sub_i32 s3, s48, s12
	s_lshl_b32 s3, s3, 4
	v_cndmask_b32_e64 v14, v2, v14, s[6:7]
	v_lshlrev_b32_e32 v57, 2, v14
	s_waitcnt lgkmcnt(0)
	ds_bpermute_b32 v14, v57, v4
	v_max_f32_e32 v4, v4, v4
	s_add_i32 s3, s3, s50
	s_min_i32 s12, s3, s29
	s_sub_i32 s3, s12, s50
	s_waitcnt lgkmcnt(0)
	v_max_f32_e32 v14, v14, v14
	v_max_f32_e32 v4, v4, v14
	v_lshlrev_b32_e32 v14, 2, v2
	v_and_b32_e32 v14, 0x100, v14
	ds_bpermute_b32 v4, v14, v4
	v_cmp_gt_i32_e64 s[6:7], s3, v0
	v_mov_b32_e32 v15, 0
	s_and_saveexec_b64 s[38:39], s[6:7]
	s_cbranch_execz .LBB31_28
; %bb.25:
	v_mov_b32_e32 v15, 0x1d0
	v_lshl_add_u32 v16, v0, 2, v15
	s_mov_b64 s[40:41], 0
	v_mov_b32_e32 v15, 0
	v_mov_b32_e32 v17, v0
.LBB31_26:                              ; =>This Inner Loop Header: Depth=1
	ds_read_b32 v18, v16
	v_add_u32_e32 v17, 0x80, v17
	v_cmp_le_i32_e64 s[10:11], s3, v17
	s_or_b64 s[40:41], s[10:11], s[40:41]
	s_waitcnt lgkmcnt(0)
	v_sub_f32_e32 v18, v18, v4
	v_mul_f32_e32 v18, 0x3fb8aa3b, v18
	v_exp_f32_e32 v18, v18
	ds_write_b32 v16, v18
	v_add_f32_e32 v15, v15, v18
	v_add_u32_e32 v16, 0x200, v16
	s_andn2_b64 exec, exec, s[40:41]
	s_cbranch_execnz .LBB31_26
; %bb.27:
	s_or_b64 exec, exec, s[40:41]
.LBB31_28:
	s_or_b64 exec, exec, s[38:39]
	ds_bpermute_b32 v5, v5, v15
	s_waitcnt lgkmcnt(0)
	v_add_f32_e32 v5, v15, v5
	ds_bpermute_b32 v6, v6, v5
	s_waitcnt lgkmcnt(0)
	v_add_f32_e32 v5, v5, v6
	ds_bpermute_b32 v6, v12, v5
	v_xor_b32_e32 v12, 2, v2
	v_cmp_lt_i32_e64 s[10:11], v12, v3
	s_waitcnt lgkmcnt(0)
	v_add_f32_e32 v5, v5, v6
	ds_bpermute_b32 v6, v13, v5
	v_cndmask_b32_e64 v2, v2, v12, s[10:11]
	v_lshlrev_b32_e32 v58, 2, v2
	s_waitcnt lgkmcnt(0)
	v_add_f32_e32 v3, v5, v6
	ds_bpermute_b32 v2, v58, v3
	s_waitcnt lgkmcnt(0)
	v_add_f32_e32 v2, v3, v2
	ds_bpermute_b32 v3, v57, v2
	s_waitcnt lgkmcnt(0)
	v_add_f32_e32 v2, v2, v3
	s_and_saveexec_b64 s[10:11], vcc
	s_cbranch_execz .LBB31_30
; %bb.29:
	ds_write_b32 v7, v2 offset:456
.LBB31_30:
	s_or_b64 exec, exec, s[10:11]
	s_waitcnt lgkmcnt(0)
	s_barrier
	s_and_saveexec_b64 s[10:11], s[0:1]
	s_cbranch_execz .LBB31_32
; %bb.31:
	ds_read_b32 v2, v8 offset:456
.LBB31_32:
	s_or_b64 exec, exec, s[10:11]
	s_waitcnt lgkmcnt(0)
	ds_bpermute_b32 v3, v57, v2
	s_waitcnt lgkmcnt(0)
	v_add_f32_e32 v2, v2, v3
	ds_bpermute_b32 v5, v14, v2
	s_and_saveexec_b64 s[0:1], s[6:7]
	s_cbranch_execz .LBB31_45
; %bb.33:
	s_waitcnt lgkmcnt(0)
	v_add_f32_e32 v2, 0x358637bd, v5
	v_div_scale_f32 v3, s[6:7], v2, v2, 1.0
	v_rcp_f32_e32 v6, v3
	v_div_scale_f32 v7, vcc, 1.0, v2, 1.0
	s_movk_i32 s6, 0x7f
	v_fma_f32 v8, -v3, v6, 1.0
	v_fmac_f32_e32 v6, v8, v6
	v_mul_f32_e32 v8, v7, v6
	v_fma_f32 v12, -v3, v8, v7
	v_fmac_f32_e32 v8, v12, v6
	v_fma_f32 v3, -v3, v8, v7
	v_div_fmas_f32 v3, v3, v6, v8
	v_div_fixup_f32 v2, v3, v2, 1.0
	v_xad_u32 v3, v0, -1, s12
	v_subrev_u32_e32 v6, s50, v3
	v_cmp_lt_u32_e32 vcc, s6, v6
	s_mov_b64 s[10:11], -1
	v_mov_b32_e32 v3, v0
	s_and_saveexec_b64 s[6:7], vcc
	s_cbranch_execz .LBB31_42
; %bb.34:
	v_lshrrev_b32_e32 v6, 7, v6
	v_add_u32_e32 v8, -1, v6
	v_lshrrev_b32_e32 v7, 1, v8
	v_mov_b32_e32 v3, v2
	v_add_u32_e32 v7, 1, v7
	v_cmp_lt_u32_e32 vcc, 13, v8
	v_mov_b32_e32 v13, 0
	s_and_saveexec_b64 s[10:11], vcc
	s_cbranch_execz .LBB31_38
; %bb.35:
	v_mov_b32_e32 v12, 0x1d0
	v_and_b32_e32 v8, -8, v7
	v_lshl_add_u32 v12, v0, 2, v12
	s_mov_b32 s12, 0
	s_mov_b64 s[38:39], 0
.LBB31_36:                              ; =>This Inner Loop Header: Depth=1
	ds_read2st64_b32 v[14:15], v12 offset1:2
	ds_read2st64_b32 v[16:17], v12 offset0:4 offset1:6
	ds_read2st64_b32 v[18:19], v12 offset0:8 offset1:10
	;; [unrolled: 1-line block ×3, first 2 shown]
	v_add_u32_e32 v8, -8, v8
	s_waitcnt lgkmcnt(3)
	v_pk_mul_f32 v[14:15], v[2:3], v[14:15]
	s_waitcnt lgkmcnt(2)
	v_pk_mul_f32 v[16:17], v[2:3], v[16:17]
	ds_write2st64_b32 v12, v14, v15 offset1:2
	ds_write2st64_b32 v12, v16, v17 offset0:4 offset1:6
	ds_read2st64_b32 v[16:17], v12 offset0:16 offset1:18
	s_waitcnt lgkmcnt(4)
	v_pk_mul_f32 v[14:15], v[2:3], v[18:19]
	ds_write2st64_b32 v12, v14, v15 offset0:8 offset1:10
	s_waitcnt lgkmcnt(4)
	v_pk_mul_f32 v[14:15], v[2:3], v[20:21]
	ds_write2st64_b32 v12, v14, v15 offset0:12 offset1:14
	ds_read2st64_b32 v[14:15], v12 offset0:20 offset1:22
	s_waitcnt lgkmcnt(3)
	v_pk_mul_f32 v[16:17], v[2:3], v[16:17]
	ds_read2st64_b32 v[18:19], v12 offset0:24 offset1:26
	ds_write2st64_b32 v12, v16, v17 offset0:16 offset1:18
	ds_read2st64_b32 v[16:17], v12 offset0:28 offset1:30
	s_waitcnt lgkmcnt(3)
	v_pk_mul_f32 v[14:15], v[2:3], v[14:15]
	ds_write2st64_b32 v12, v14, v15 offset0:20 offset1:22
	s_waitcnt lgkmcnt(3)
	v_pk_mul_f32 v[14:15], v[2:3], v[18:19]
	ds_write2st64_b32 v12, v14, v15 offset0:24 offset1:26
	s_waitcnt lgkmcnt(2)
	v_pk_mul_f32 v[14:15], v[2:3], v[16:17]
	s_add_i32 s12, s12, 16
	v_cmp_eq_u32_e32 vcc, 0, v8
	ds_write2st64_b32 v12, v14, v15 offset0:28 offset1:30
	v_add_u32_e32 v12, 0x2000, v12
	s_or_b64 s[38:39], vcc, s[38:39]
	v_mov_b32_e32 v13, s12
	s_andn2_b64 exec, exec, s[38:39]
	s_cbranch_execnz .LBB31_36
; %bb.37:
	s_or_b64 exec, exec, s[38:39]
.LBB31_38:
	s_or_b64 exec, exec, s[10:11]
	v_and_b32_e32 v7, 7, v7
	v_cmp_ne_u32_e32 vcc, 0, v7
	s_and_saveexec_b64 s[10:11], vcc
	s_cbranch_execz .LBB31_41
; %bb.39:
	v_lshlrev_b32_e32 v8, 9, v13
	s_movk_i32 s12, 0x1d0
	v_add3_u32 v8, v8, v10, s12
	s_mov_b64 s[38:39], 0
.LBB31_40:                              ; =>This Inner Loop Header: Depth=1
	ds_read2st64_b32 v[12:13], v8 offset1:2
	v_add_u32_e32 v7, -1, v7
	v_cmp_eq_u32_e32 vcc, 0, v7
	s_or_b64 s[38:39], vcc, s[38:39]
	s_waitcnt lgkmcnt(0)
	v_pk_mul_f32 v[12:13], v[2:3], v[12:13]
	ds_write2st64_b32 v8, v12, v13 offset1:2
	v_add_u32_e32 v8, 0x400, v8
	s_andn2_b64 exec, exec, s[38:39]
	s_cbranch_execnz .LBB31_40
.LBB31_41:
	s_or_b64 exec, exec, s[10:11]
	v_add_u32_e32 v6, 1, v6
	v_and_b32_e32 v7, 0x3fffffe, v6
	v_cmp_ne_u32_e32 vcc, v6, v7
	v_lshl_add_u32 v3, v7, 7, v0
	s_orn2_b64 s[10:11], vcc, exec
.LBB31_42:
	s_or_b64 exec, exec, s[6:7]
	s_and_b64 exec, exec, s[10:11]
	s_cbranch_execz .LBB31_45
; %bb.43:
	v_mov_b32_e32 v6, 0x1d0
	v_lshl_add_u32 v6, v3, 2, v6
	s_mov_b64 s[6:7], 0
.LBB31_44:                              ; =>This Inner Loop Header: Depth=1
	ds_read_b32 v7, v6
	v_add_u32_e32 v3, 0x80, v3
	v_cmp_le_i32_e32 vcc, s3, v3
	s_or_b64 s[6:7], vcc, s[6:7]
	s_waitcnt lgkmcnt(0)
	v_mul_f32_e32 v7, v2, v7
	ds_write_b32 v6, v7
	v_add_u32_e32 v6, 0x200, v6
	s_andn2_b64 exec, exec, s[6:7]
	s_cbranch_execnz .LBB31_44
.LBB31_45:
	s_or_b64 exec, exec, s[0:1]
	s_mul_i32 s0, s19, s28
	v_cmp_eq_u32_e32 vcc, 0, v0
	s_mul_i32 s6, s0, s5
	s_waitcnt lgkmcnt(0)
	s_barrier
	s_and_saveexec_b64 s[0:1], vcc
	s_cbranch_execz .LBB31_47
; %bb.46:
	s_ashr_i32 s7, s6, 31
	s_lshl_b64 s[10:11], s[6:7], 2
	s_add_u32 s5, s22, s10
	s_mul_i32 s2, s19, s2
	s_addc_u32 s7, s23, s11
	s_ashr_i32 s3, s2, 31
	s_lshl_b64 s[2:3], s[2:3], 2
	s_add_u32 s12, s5, s2
	s_addc_u32 s7, s7, s3
	s_ashr_i32 s5, s4, 31
	s_lshl_b64 s[22:23], s[4:5], 2
	s_add_u32 s38, s12, s22
	s_addc_u32 s39, s7, s23
	s_add_u32 s5, s20, s10
	s_addc_u32 s7, s21, s11
	;; [unrolled: 2-line block ×3, first 2 shown]
	s_add_u32 s2, s2, s22
	v_mov_b32_e32 v2, 0
	s_addc_u32 s3, s3, s23
	global_store_dword v2, v4, s[38:39]
	global_store_dword v2, v5, s[2:3]
.LBB31_47:
	s_or_b64 exec, exec, s[0:1]
	s_mov_b32 s12, 0
	v_mov_b32_e32 v8, 0
	v_mov_b32_e32 v7, 0
	;; [unrolled: 1-line block ×7, first 2 shown]
	s_and_saveexec_b64 s[2:3], s[8:9]
	s_cbranch_execz .LBB31_67
; %bb.48:
	s_ashr_i32 s15, s14, 31
	s_sub_i32 s5, s49, s17
	s_lshl_b64 s[0:1], s[14:15], 2
	s_add_u32 s8, s36, s0
	s_addc_u32 s9, s37, s1
	s_abs_i32 s7, s18
	v_cvt_f32_u32_e32 v2, s7
	s_sub_i32 s0, 0, s7
	s_add_i32 s21, s16, -1
	v_and_b32_e32 v59, 12, v10
	v_rcp_iflag_f32_e32 v2, v2
	v_and_b32_e32 v10, 0xfc, v10
	s_mov_b32 s20, s13
	v_or_b32_e32 v12, 0x400, v10
	v_mul_f32_e32 v2, 0x4f7ffffe, v2
	v_cvt_u32_f32_e32 v2, v2
	v_or_b32_e32 v14, 0x500, v10
	v_or_b32_e32 v16, 0x600, v10
	s_mov_b32 s13, s12
	v_mul_lo_u32 v3, s0, v2
	v_mul_hi_u32 v3, v2, v3
	s_lshl_b64 s[0:1], s[34:35], 2
	v_add_u32_e32 v60, v2, v3
	s_add_u32 s0, s30, s0
	v_lshlrev_b32_e32 v2, 4, v55
	s_addc_u32 s1, s31, s1
	v_lshl_or_b32 v2, v11, 6, v2
	v_lshl_add_u64 v[46:47], v[42:43], 2, s[0:1]
	v_add_u32_e32 v43, 0x1d0, v2
	s_mov_b32 s14, s12
	s_mov_b32 s15, s12
	;; [unrolled: 1-line block ×5, first 2 shown]
	v_mov_b32_e32 v2, s12
	v_mov_b32_e32 v45, 0
	s_mov_b64 s[10:11], 0
	v_mov_b32_e32 v3, s13
	v_mov_b32_e32 v4, s14
	;; [unrolled: 1-line block ×6, first 2 shown]
	v_lshlrev_b32_e32 v48, 2, v10
	v_lshlrev_b32_e32 v44, 2, v12
	v_lshlrev_b32_e32 v50, 2, v14
	v_lshlrev_b32_e32 v52, 2, v16
	s_branch .LBB31_51
.LBB31_49:                              ;   in Loop: Header=BB31_51 Depth=1
	s_or_b64 exec, exec, s[0:1]
	s_waitcnt vmcnt(6) lgkmcnt(0)
	v_mul_f32_e32 v15, v11, v15
	v_fmac_f32_e32 v15, v10, v14
	s_waitcnt vmcnt(5)
	v_mul_f32_e32 v14, v11, v19
	v_fmac_f32_e32 v14, v10, v18
	v_fmac_f32_e32 v14, v12, v20
	v_fmac_f32_e32 v14, v13, v21
	v_add_f32_e32 v3, v3, v14
	s_waitcnt vmcnt(4)
	v_mul_f32_e32 v14, v11, v23
	v_fmac_f32_e32 v14, v10, v22
	v_fmac_f32_e32 v14, v12, v24
	v_fmac_f32_e32 v14, v13, v25
	v_add_f32_e32 v4, v4, v14
	;; [unrolled: 6-line block ×4, first 2 shown]
	s_waitcnt vmcnt(1)
	v_mul_f32_e32 v14, v11, v35
	s_waitcnt vmcnt(0)
	v_mul_f32_e32 v11, v11, v39
	v_fmac_f32_e32 v14, v10, v34
	v_fmac_f32_e32 v11, v10, v38
	;; [unrolled: 1-line block ×8, first 2 shown]
	v_add_f32_e32 v2, v2, v15
	v_add_f32_e32 v7, v7, v14
	;; [unrolled: 1-line block ×3, first 2 shown]
.LBB31_50:                              ;   in Loop: Header=BB31_51 Depth=1
	s_or_b64 exec, exec, s[12:13]
	v_add_u32_e32 v42, 2, v42
	v_cmp_le_i32_e32 vcc, s48, v42
	v_lshl_add_u64 v[46:47], v[46:47], 0, 8
	v_add_u32_e32 v9, 32, v9
	s_or_b64 s[10:11], vcc, s[10:11]
	v_add_u32_e32 v43, 0x80, v43
	s_andn2_b64 exec, exec, s[10:11]
	s_cbranch_execz .LBB31_66
.LBB31_51:                              ; =>This Inner Loop Header: Depth=1
	v_sub_u32_e32 v11, 0, v9
	v_max_i32_e32 v11, v9, v11
	v_mul_hi_u32 v12, v11, s33
	v_mul_lo_u32 v13, v12, s25
	v_sub_u32_e32 v11, v11, v13
	v_add_u32_e32 v13, 1, v12
	v_cmp_le_u32_e32 vcc, s25, v11
	v_ashrrev_i32_e32 v10, 31, v9
	v_xor_b32_e32 v10, s47, v10
	v_cndmask_b32_e32 v12, v12, v13, vcc
	v_subrev_u32_e32 v13, s25, v11
	v_cndmask_b32_e32 v11, v11, v13, vcc
	v_add_u32_e32 v13, 1, v12
	v_cmp_le_u32_e32 vcc, s25, v11
	s_nop 1
	v_cndmask_b32_e32 v11, v12, v13, vcc
	v_xor_b32_e32 v11, v11, v10
	v_sub_u32_e32 v10, v11, v10
	v_add_u32_e32 v11, s46, v10
	v_sub_u32_e32 v13, 0, v11
	v_ashrrev_i32_e32 v12, 31, v11
	v_max_i32_e32 v11, v11, v13
	v_mul_hi_u32 v13, v11, v60
	v_mul_lo_u32 v13, v13, s7
	v_sub_u32_e32 v11, v11, v13
	v_subrev_u32_e32 v13, s7, v11
	v_cmp_le_u32_e32 vcc, s7, v11
	v_cmp_lt_i32_e64 s[0:1], s5, v10
	s_nop 0
	v_cndmask_b32_e32 v11, v11, v13, vcc
	v_subrev_u32_e32 v13, s7, v11
	v_cmp_le_u32_e32 vcc, s7, v11
	s_nop 1
	v_cndmask_b32_e32 v11, v11, v13, vcc
	v_xor_b32_e32 v11, v11, v12
	v_sub_u32_e32 v11, v11, v12
	v_cmp_eq_u32_e32 vcc, 0, v11
	s_or_b64 s[0:1], vcc, s[0:1]
	s_and_saveexec_b64 s[12:13], s[0:1]
	s_cbranch_execz .LBB31_50
; %bb.52:                               ;   in Loop: Header=BB31_51 Depth=1
	global_load_dword v10, v[46:47], off
	v_mov_b32_e32 v49, v45
	v_cmp_eq_u32_e32 vcc, s21, v42
	s_waitcnt vmcnt(0)
	v_mad_i64_i32 v[10:11], s[0:1], v10, s20, 0
	v_lshl_add_u64 v[38:39], v[10:11], 2, s[8:9]
	v_lshl_add_u64 v[26:27], v[38:39], 0, v[48:49]
	global_load_dwordx4 v[14:17], v[26:27], off
	ds_read_b128 v[10:13], v43
	v_add_u32_e32 v49, v59, v9
	v_add_u32_e32 v63, 1, v49
	;; [unrolled: 1-line block ×4, first 2 shown]
	s_and_saveexec_b64 s[14:15], vcc
	s_cbranch_execnz .LBB31_63
; %bb.53:                               ;   in Loop: Header=BB31_51 Depth=1
	s_or_b64 exec, exec, s[14:15]
	global_load_dwordx4 v[18:21], v[26:27], off offset:1024
	s_and_saveexec_b64 s[14:15], vcc
	s_cbranch_execnz .LBB31_64
.LBB31_54:                              ;   in Loop: Header=BB31_51 Depth=1
	s_or_b64 exec, exec, s[14:15]
	global_load_dwordx4 v[22:25], v[26:27], off offset:2048
	s_and_saveexec_b64 s[14:15], vcc
	s_cbranch_execnz .LBB31_65
.LBB31_55:                              ;   in Loop: Header=BB31_51 Depth=1
	s_or_b64 exec, exec, s[14:15]
	global_load_dwordx4 v[26:29], v[26:27], off offset:3072
	s_and_saveexec_b64 s[14:15], vcc
	s_cbranch_execz .LBB31_57
.LBB31_56:                              ;   in Loop: Header=BB31_51 Depth=1
	v_cmp_gt_i32_e64 s[0:1], s29, v49
	s_waitcnt vmcnt(0)
	s_nop 0
	v_cndmask_b32_e64 v26, 0, v26, s[0:1]
	v_cmp_gt_i32_e64 s[0:1], s29, v63
	s_nop 1
	v_cndmask_b32_e64 v27, 0, v27, s[0:1]
	v_cmp_gt_i32_e64 s[0:1], s29, v62
	;; [unrolled: 3-line block ×3, first 2 shown]
	s_nop 1
	v_cndmask_b32_e64 v29, 0, v29, s[0:1]
.LBB31_57:                              ;   in Loop: Header=BB31_51 Depth=1
	s_or_b64 exec, exec, s[14:15]
	v_lshl_add_u64 v[30:31], v[38:39], 0, v[44:45]
	global_load_dwordx4 v[30:33], v[30:31], off
	s_and_saveexec_b64 s[14:15], vcc
	s_cbranch_execz .LBB31_59
; %bb.58:                               ;   in Loop: Header=BB31_51 Depth=1
	v_cmp_gt_i32_e64 s[0:1], s29, v49
	s_waitcnt vmcnt(0)
	s_nop 0
	v_cndmask_b32_e64 v30, 0, v30, s[0:1]
	v_cmp_gt_i32_e64 s[0:1], s29, v63
	s_nop 1
	v_cndmask_b32_e64 v31, 0, v31, s[0:1]
	v_cmp_gt_i32_e64 s[0:1], s29, v62
	;; [unrolled: 3-line block ×3, first 2 shown]
	s_nop 1
	v_cndmask_b32_e64 v33, 0, v33, s[0:1]
.LBB31_59:                              ;   in Loop: Header=BB31_51 Depth=1
	s_or_b64 exec, exec, s[14:15]
	v_mov_b32_e32 v51, v45
	v_lshl_add_u64 v[34:35], v[38:39], 0, v[50:51]
	global_load_dwordx4 v[34:37], v[34:35], off
	s_and_saveexec_b64 s[14:15], vcc
	s_cbranch_execz .LBB31_61
; %bb.60:                               ;   in Loop: Header=BB31_51 Depth=1
	v_cmp_gt_i32_e64 s[0:1], s29, v49
	s_waitcnt vmcnt(0)
	s_nop 0
	v_cndmask_b32_e64 v34, 0, v34, s[0:1]
	v_cmp_gt_i32_e64 s[0:1], s29, v63
	s_nop 1
	v_cndmask_b32_e64 v35, 0, v35, s[0:1]
	v_cmp_gt_i32_e64 s[0:1], s29, v62
	;; [unrolled: 3-line block ×3, first 2 shown]
	s_nop 1
	v_cndmask_b32_e64 v37, 0, v37, s[0:1]
.LBB31_61:                              ;   in Loop: Header=BB31_51 Depth=1
	s_or_b64 exec, exec, s[14:15]
	v_mov_b32_e32 v53, v45
	v_lshl_add_u64 v[38:39], v[38:39], 0, v[52:53]
	global_load_dwordx4 v[38:41], v[38:39], off
	s_and_saveexec_b64 s[0:1], vcc
	s_cbranch_execz .LBB31_49
; %bb.62:                               ;   in Loop: Header=BB31_51 Depth=1
	v_cmp_gt_i32_e32 vcc, s29, v49
	s_waitcnt vmcnt(0)
	s_nop 0
	v_cndmask_b32_e32 v38, 0, v38, vcc
	v_cmp_gt_i32_e32 vcc, s29, v63
	s_nop 1
	v_cndmask_b32_e32 v39, 0, v39, vcc
	v_cmp_gt_i32_e32 vcc, s29, v62
	;; [unrolled: 3-line block ×3, first 2 shown]
	s_nop 1
	v_cndmask_b32_e32 v41, 0, v41, vcc
	s_branch .LBB31_49
.LBB31_63:                              ;   in Loop: Header=BB31_51 Depth=1
	v_cmp_gt_i32_e64 s[0:1], s29, v49
	s_waitcnt vmcnt(0)
	s_nop 0
	v_cndmask_b32_e64 v14, 0, v14, s[0:1]
	v_cmp_gt_i32_e64 s[0:1], s29, v63
	s_nop 1
	v_cndmask_b32_e64 v15, 0, v15, s[0:1]
	v_cmp_gt_i32_e64 s[0:1], s29, v62
	;; [unrolled: 3-line block ×3, first 2 shown]
	s_nop 1
	v_cndmask_b32_e64 v17, 0, v17, s[0:1]
	s_or_b64 exec, exec, s[14:15]
	global_load_dwordx4 v[18:21], v[26:27], off offset:1024
	s_and_saveexec_b64 s[14:15], vcc
	s_cbranch_execz .LBB31_54
.LBB31_64:                              ;   in Loop: Header=BB31_51 Depth=1
	v_cmp_gt_i32_e64 s[0:1], s29, v49
	s_waitcnt vmcnt(0)
	s_nop 0
	v_cndmask_b32_e64 v18, 0, v18, s[0:1]
	v_cmp_gt_i32_e64 s[0:1], s29, v63
	s_nop 1
	v_cndmask_b32_e64 v19, 0, v19, s[0:1]
	v_cmp_gt_i32_e64 s[0:1], s29, v62
	;; [unrolled: 3-line block ×3, first 2 shown]
	s_nop 1
	v_cndmask_b32_e64 v21, 0, v21, s[0:1]
	s_or_b64 exec, exec, s[14:15]
	global_load_dwordx4 v[22:25], v[26:27], off offset:2048
	s_and_saveexec_b64 s[14:15], vcc
	s_cbranch_execz .LBB31_55
.LBB31_65:                              ;   in Loop: Header=BB31_51 Depth=1
	v_cmp_gt_i32_e64 s[0:1], s29, v49
	s_waitcnt vmcnt(0)
	s_nop 0
	v_cndmask_b32_e64 v22, 0, v22, s[0:1]
	v_cmp_gt_i32_e64 s[0:1], s29, v63
	s_nop 1
	v_cndmask_b32_e64 v23, 0, v23, s[0:1]
	v_cmp_gt_i32_e64 s[0:1], s29, v62
	;; [unrolled: 3-line block ×3, first 2 shown]
	s_nop 1
	v_cndmask_b32_e64 v25, 0, v25, s[0:1]
	s_or_b64 exec, exec, s[14:15]
	global_load_dwordx4 v[26:29], v[26:27], off offset:3072
	s_and_saveexec_b64 s[14:15], vcc
	s_cbranch_execnz .LBB31_56
	s_branch .LBB31_57
.LBB31_66:
	s_or_b64 exec, exec, s[10:11]
.LBB31_67:
	s_or_b64 exec, exec, s[2:3]
	ds_bpermute_b32 v10, v58, v2
	ds_bpermute_b32 v11, v58, v3
	;; [unrolled: 1-line block ×7, first 2 shown]
	s_waitcnt lgkmcnt(5)
	v_pk_add_f32 v[2:3], v[2:3], v[10:11]
	s_waitcnt lgkmcnt(3)
	v_pk_add_f32 v[6:7], v[6:7], v[14:15]
	ds_bpermute_b32 v10, v57, v2
	ds_bpermute_b32 v11, v57, v3
	s_waitcnt lgkmcnt(3)
	v_pk_add_f32 v[4:5], v[4:5], v[12:13]
	ds_bpermute_b32 v14, v57, v6
	ds_bpermute_b32 v15, v57, v7
	s_waitcnt lgkmcnt(4)
	v_add_f32_e32 v16, v8, v9
	ds_bpermute_b32 v12, v57, v4
	ds_bpermute_b32 v13, v57, v5
	;; [unrolled: 1-line block ×3, first 2 shown]
	s_waitcnt lgkmcnt(5)
	v_pk_add_f32 v[8:9], v[2:3], v[10:11]
	s_waitcnt lgkmcnt(3)
	v_pk_add_f32 v[2:3], v[6:7], v[14:15]
	v_and_b32_e32 v7, 0x3c3, v0
	s_waitcnt lgkmcnt(1)
	v_pk_add_f32 v[4:5], v[4:5], v[12:13]
	s_waitcnt lgkmcnt(0)
	v_add_f32_e32 v6, v16, v17
	v_cmp_eq_u32_e32 vcc, 64, v7
	s_barrier
	s_and_saveexec_b64 s[0:1], vcc
	s_cbranch_execz .LBB31_69
; %bb.68:
	v_add_u32_e32 v10, 0x1d0, v56
	ds_write2_b32 v10, v8, v9 offset1:16
	ds_write2_b32 v10, v4, v5 offset0:32 offset1:48
	ds_write2_b32 v10, v2, v3 offset0:64 offset1:80
	ds_write_b32 v10, v6 offset:384
.LBB31_69:
	s_or_b64 exec, exec, s[0:1]
	v_cmp_gt_u32_e32 vcc, 64, v0
	s_waitcnt lgkmcnt(0)
	s_barrier
	s_and_saveexec_b64 s[0:1], vcc
	s_cbranch_execz .LBB31_79
; %bb.70:
	v_cmp_eq_u32_e32 vcc, 0, v55
	s_and_saveexec_b64 s[2:3], vcc
	s_cbranch_execnz .LBB31_82
; %bb.71:
	s_or_b64 exec, exec, s[2:3]
	s_and_saveexec_b64 s[2:3], vcc
	s_cbranch_execnz .LBB31_83
.LBB31_72:
	s_or_b64 exec, exec, s[2:3]
	s_and_saveexec_b64 s[2:3], vcc
	s_cbranch_execnz .LBB31_84
.LBB31_73:
	s_or_b64 exec, exec, s[2:3]
	s_and_saveexec_b64 s[2:3], vcc
	s_cbranch_execnz .LBB31_85
.LBB31_74:
	s_or_b64 exec, exec, s[2:3]
	s_and_saveexec_b64 s[2:3], vcc
	s_cbranch_execnz .LBB31_86
.LBB31_75:
	s_or_b64 exec, exec, s[2:3]
	s_and_saveexec_b64 s[2:3], vcc
	s_cbranch_execnz .LBB31_87
.LBB31_76:
	s_or_b64 exec, exec, s[2:3]
	s_and_saveexec_b64 s[2:3], vcc
	s_cbranch_execz .LBB31_78
.LBB31_77:
	v_mov_b32_e32 v0, 0x1d0
	v_lshl_add_u32 v0, v54, 2, v0
	ds_read_b32 v0, v0 offset:384
	s_waitcnt lgkmcnt(0)
	v_add_f32_e32 v6, v6, v0
.LBB31_78:
	s_or_b64 exec, exec, s[2:3]
.LBB31_79:
	s_or_b64 exec, exec, s[0:1]
	v_cmp_eq_u32_e32 vcc, 0, v7
	s_barrier
	s_and_saveexec_b64 s[0:1], vcc
	s_cbranch_execz .LBB31_81
; %bb.80:
	s_mul_i32 s0, s6, 0x70
	s_ashr_i32 s1, s0, 31
	s_lshl_b64 s[0:1], s[0:1], 2
	s_add_u32 s2, s26, s0
	s_mul_i32 s0, s19, s24
	s_addc_u32 s3, s27, s1
	s_ashr_i32 s1, s0, 31
	s_lshl_b64 s[0:1], s[0:1], 2
	s_add_u32 s2, s2, s0
	s_mul_i32 s0, s4, 0x70
	s_addc_u32 s3, s3, s1
	s_ashr_i32 s1, s0, 31
	s_lshl_b64 s[0:1], s[0:1], 2
	s_add_u32 s0, s2, s0
	s_addc_u32 s1, s3, s1
	global_store_dword v1, v8, s[0:1]
	global_store_dword v1, v9, s[0:1] offset:64
	global_store_dword v1, v4, s[0:1] offset:128
	;; [unrolled: 1-line block ×6, first 2 shown]
.LBB31_81:
	s_endpgm
.LBB31_82:
	v_mov_b32_e32 v0, 0x1d0
	v_lshl_add_u32 v0, v54, 2, v0
	ds_read_b32 v0, v0
	s_waitcnt lgkmcnt(0)
	v_add_f32_e32 v8, v8, v0
	s_or_b64 exec, exec, s[2:3]
	s_and_saveexec_b64 s[2:3], vcc
	s_cbranch_execz .LBB31_72
.LBB31_83:
	v_mov_b32_e32 v0, 0x1d0
	v_lshl_add_u32 v0, v54, 2, v0
	ds_read_b32 v0, v0 offset:64
	s_waitcnt lgkmcnt(0)
	v_add_f32_e32 v9, v9, v0
	s_or_b64 exec, exec, s[2:3]
	s_and_saveexec_b64 s[2:3], vcc
	s_cbranch_execz .LBB31_73
.LBB31_84:
	v_mov_b32_e32 v0, 0x1d0
	v_lshl_add_u32 v0, v54, 2, v0
	ds_read_b32 v0, v0 offset:128
	s_waitcnt lgkmcnt(0)
	v_add_f32_e32 v4, v4, v0
	s_or_b64 exec, exec, s[2:3]
	s_and_saveexec_b64 s[2:3], vcc
	s_cbranch_execz .LBB31_74
.LBB31_85:
	v_mov_b32_e32 v0, 0x1d0
	v_lshl_add_u32 v0, v54, 2, v0
	ds_read_b32 v0, v0 offset:192
	s_waitcnt lgkmcnt(0)
	v_add_f32_e32 v5, v5, v0
	s_or_b64 exec, exec, s[2:3]
	s_and_saveexec_b64 s[2:3], vcc
	s_cbranch_execz .LBB31_75
.LBB31_86:
	v_mov_b32_e32 v0, 0x1d0
	v_lshl_add_u32 v0, v54, 2, v0
	ds_read_b32 v0, v0 offset:256
	s_waitcnt lgkmcnt(0)
	v_add_f32_e32 v2, v2, v0
	s_or_b64 exec, exec, s[2:3]
	s_and_saveexec_b64 s[2:3], vcc
	s_cbranch_execz .LBB31_76
.LBB31_87:
	v_mov_b32_e32 v0, 0x1d0
	v_lshl_add_u32 v0, v54, 2, v0
	ds_read_b32 v0, v0 offset:320
	s_waitcnt lgkmcnt(0)
	v_add_f32_e32 v3, v3, v0
	s_or_b64 exec, exec, s[2:3]
	s_and_saveexec_b64 s[2:3], vcc
	s_cbranch_execnz .LBB31_77
	s_branch .LBB31_78
	.section	.rodata,"a",@progbits
	.p2align	6, 0x0
	.amdhsa_kernel _ZN4vllm25paged_attention_v2_kernelIffLi112ELi16ELi128ELNS_18Fp8KVCacheDataTypeE0ELb1ELi512EEEvPfS2_PT_PKS3_PKT0_S9_ifPKiSB_iPKfiiiSD_SD_iiiii
		.amdhsa_group_segment_fixed_size 464
		.amdhsa_private_segment_fixed_size 0
		.amdhsa_kernarg_size 400
		.amdhsa_user_sgpr_count 2
		.amdhsa_user_sgpr_dispatch_ptr 0
		.amdhsa_user_sgpr_queue_ptr 0
		.amdhsa_user_sgpr_kernarg_segment_ptr 1
		.amdhsa_user_sgpr_dispatch_id 0
		.amdhsa_user_sgpr_kernarg_preload_length 0
		.amdhsa_user_sgpr_kernarg_preload_offset 0
		.amdhsa_user_sgpr_private_segment_size 0
		.amdhsa_uses_dynamic_stack 0
		.amdhsa_enable_private_segment 0
		.amdhsa_system_sgpr_workgroup_id_x 1
		.amdhsa_system_sgpr_workgroup_id_y 1
		.amdhsa_system_sgpr_workgroup_id_z 1
		.amdhsa_system_sgpr_workgroup_info 0
		.amdhsa_system_vgpr_workitem_id 0
		.amdhsa_next_free_vgpr 84
		.amdhsa_next_free_sgpr 53
		.amdhsa_accum_offset 84
		.amdhsa_reserve_vcc 1
		.amdhsa_float_round_mode_32 0
		.amdhsa_float_round_mode_16_64 0
		.amdhsa_float_denorm_mode_32 3
		.amdhsa_float_denorm_mode_16_64 3
		.amdhsa_dx10_clamp 1
		.amdhsa_ieee_mode 1
		.amdhsa_fp16_overflow 0
		.amdhsa_tg_split 0
		.amdhsa_exception_fp_ieee_invalid_op 0
		.amdhsa_exception_fp_denorm_src 0
		.amdhsa_exception_fp_ieee_div_zero 0
		.amdhsa_exception_fp_ieee_overflow 0
		.amdhsa_exception_fp_ieee_underflow 0
		.amdhsa_exception_fp_ieee_inexact 0
		.amdhsa_exception_int_div_zero 0
	.end_amdhsa_kernel
	.section	.text._ZN4vllm25paged_attention_v2_kernelIffLi112ELi16ELi128ELNS_18Fp8KVCacheDataTypeE0ELb1ELi512EEEvPfS2_PT_PKS3_PKT0_S9_ifPKiSB_iPKfiiiSD_SD_iiiii,"axG",@progbits,_ZN4vllm25paged_attention_v2_kernelIffLi112ELi16ELi128ELNS_18Fp8KVCacheDataTypeE0ELb1ELi512EEEvPfS2_PT_PKS3_PKT0_S9_ifPKiSB_iPKfiiiSD_SD_iiiii,comdat
.Lfunc_end31:
	.size	_ZN4vllm25paged_attention_v2_kernelIffLi112ELi16ELi128ELNS_18Fp8KVCacheDataTypeE0ELb1ELi512EEEvPfS2_PT_PKS3_PKT0_S9_ifPKiSB_iPKfiiiSD_SD_iiiii, .Lfunc_end31-_ZN4vllm25paged_attention_v2_kernelIffLi112ELi16ELi128ELNS_18Fp8KVCacheDataTypeE0ELb1ELi512EEEvPfS2_PT_PKS3_PKT0_S9_ifPKiSB_iPKfiiiSD_SD_iiiii
                                        ; -- End function
	.section	.AMDGPU.csdata,"",@progbits
; Kernel info:
; codeLenInByte = 5916
; NumSgprs: 59
; NumVgprs: 84
; NumAgprs: 0
; TotalNumVgprs: 84
; ScratchSize: 0
; MemoryBound: 0
; FloatMode: 240
; IeeeMode: 1
; LDSByteSize: 464 bytes/workgroup (compile time only)
; SGPRBlocks: 7
; VGPRBlocks: 10
; NumSGPRsForWavesPerEU: 59
; NumVGPRsForWavesPerEU: 84
; AccumOffset: 84
; Occupancy: 5
; WaveLimiterHint : 1
; COMPUTE_PGM_RSRC2:SCRATCH_EN: 0
; COMPUTE_PGM_RSRC2:USER_SGPR: 2
; COMPUTE_PGM_RSRC2:TRAP_HANDLER: 0
; COMPUTE_PGM_RSRC2:TGID_X_EN: 1
; COMPUTE_PGM_RSRC2:TGID_Y_EN: 1
; COMPUTE_PGM_RSRC2:TGID_Z_EN: 1
; COMPUTE_PGM_RSRC2:TIDIG_COMP_CNT: 0
; COMPUTE_PGM_RSRC3_GFX90A:ACCUM_OFFSET: 20
; COMPUTE_PGM_RSRC3_GFX90A:TG_SPLIT: 0
	.section	.text._ZN4vllm25paged_attention_v2_kernelIffLi120ELi16ELi128ELNS_18Fp8KVCacheDataTypeE0ELb1ELi512EEEvPfS2_PT_PKS3_PKT0_S9_ifPKiSB_iPKfiiiSD_SD_iiiii,"axG",@progbits,_ZN4vllm25paged_attention_v2_kernelIffLi120ELi16ELi128ELNS_18Fp8KVCacheDataTypeE0ELb1ELi512EEEvPfS2_PT_PKS3_PKT0_S9_ifPKiSB_iPKfiiiSD_SD_iiiii,comdat
	.protected	_ZN4vllm25paged_attention_v2_kernelIffLi120ELi16ELi128ELNS_18Fp8KVCacheDataTypeE0ELb1ELi512EEEvPfS2_PT_PKS3_PKT0_S9_ifPKiSB_iPKfiiiSD_SD_iiiii ; -- Begin function _ZN4vllm25paged_attention_v2_kernelIffLi120ELi16ELi128ELNS_18Fp8KVCacheDataTypeE0ELb1ELi512EEEvPfS2_PT_PKS3_PKT0_S9_ifPKiSB_iPKfiiiSD_SD_iiiii
	.globl	_ZN4vllm25paged_attention_v2_kernelIffLi120ELi16ELi128ELNS_18Fp8KVCacheDataTypeE0ELb1ELi512EEEvPfS2_PT_PKS3_PKT0_S9_ifPKiSB_iPKfiiiSD_SD_iiiii
	.p2align	8
	.type	_ZN4vllm25paged_attention_v2_kernelIffLi120ELi16ELi128ELNS_18Fp8KVCacheDataTypeE0ELb1ELi512EEEvPfS2_PT_PKS3_PKT0_S9_ifPKiSB_iPKfiiiSD_SD_iiiii,@function
_ZN4vllm25paged_attention_v2_kernelIffLi120ELi16ELi128ELNS_18Fp8KVCacheDataTypeE0ELb1ELi512EEEvPfS2_PT_PKS3_PKT0_S9_ifPKiSB_iPKfiiiSD_SD_iiiii: ; @_ZN4vllm25paged_attention_v2_kernelIffLi120ELi16ELi128ELNS_18Fp8KVCacheDataTypeE0ELb1ELi512EEEvPfS2_PT_PKS3_PKT0_S9_ifPKiSB_iPKfiiiSD_SD_iiiii
; %bb.0:
	s_load_dwordx2 s[6:7], s[0:1], 0x40
	s_mov_b32 s28, s3
	s_ashr_i32 s29, s3, 31
	s_lshl_b64 s[8:9], s[28:29], 2
	s_waitcnt lgkmcnt(0)
	s_add_u32 s6, s6, s8
	s_addc_u32 s7, s7, s9
	s_load_dword s29, s[6:7], 0x0
	s_lshl_b32 s49, s4, 9
	s_waitcnt lgkmcnt(0)
	s_cmp_ge_i32 s49, s29
	s_cbranch_scc1 .LBB32_111
; %bb.1:
	s_load_dword s5, s[0:1], 0x90
	s_load_dwordx2 s[38:39], s[0:1], 0x30
	s_mov_b32 s50, 0
	s_waitcnt lgkmcnt(0)
	s_abs_i32 s7, s5
	s_abs_i32 s3, s38
	v_cvt_f32_u32_e32 v1, s3
	s_sub_i32 s8, 0, s3
	s_xor_b32 s6, s5, s38
	s_ashr_i32 s6, s6, 31
	v_rcp_iflag_f32_e32 v1, v1
	s_nop 0
	v_mul_f32_e32 v1, 0x4f7ffffe, v1
	v_cvt_u32_f32_e32 v1, v1
	s_nop 0
	v_readfirstlane_b32 s9, v1
	s_mul_i32 s8, s8, s9
	s_mul_hi_u32 s8, s9, s8
	s_add_i32 s9, s9, s8
	s_mul_hi_u32 s8, s7, s9
	s_mul_i32 s9, s8, s3
	s_sub_i32 s7, s7, s9
	s_add_i32 s10, s8, 1
	s_sub_i32 s9, s7, s3
	s_cmp_ge_u32 s7, s3
	s_cselect_b32 s8, s10, s8
	s_cselect_b32 s7, s9, s7
	s_add_i32 s9, s8, 1
	s_cmp_ge_u32 s7, s3
	s_cselect_b32 s3, s9, s8
	s_xor_b32 s3, s3, s6
	s_sub_i32 s11, s3, s6
	s_abs_i32 s8, s11
	v_cvt_f32_u32_e32 v1, s8
	s_load_dwordx2 s[6:7], s[0:1], 0x50
	s_sub_i32 s3, 0, s8
	s_abs_i32 s9, s2
	v_rcp_iflag_f32_e32 v1, v1
	s_nop 0
	v_mul_f32_e32 v1, 0x4f7ffffe, v1
	v_cvt_u32_f32_e32 v1, v1
	s_nop 0
	v_readfirstlane_b32 s10, v1
	s_mul_i32 s3, s3, s10
	s_mul_hi_u32 s3, s10, s3
	s_add_i32 s10, s10, s3
	s_waitcnt lgkmcnt(0)
	s_cmp_eq_u64 s[6:7], 0
	s_mul_hi_u32 s10, s9, s10
	s_cbranch_scc1 .LBB32_3
; %bb.2:
	s_ashr_i32 s3, s2, 31
	s_lshl_b64 s[12:13], s[2:3], 2
	s_add_u32 s6, s6, s12
	s_addc_u32 s7, s7, s13
	s_load_dword s50, s[6:7], 0x0
.LBB32_3:
	s_load_dwordx4 s[12:15], s[0:1], 0x58
	v_lshrrev_b32_e32 v60, 2, v0
	s_waitcnt lgkmcnt(0)
	s_movk_i32 s15, 0x78
	s_ashr_i32 s3, s2, 31
	s_ashr_i32 s11, s11, 31
	v_and_b32_e32 v61, 3, v0
	s_mul_i32 s24, s2, 0x78
	v_cmp_gt_u32_e32 vcc, s15, v0
	v_lshlrev_b32_e32 v6, 2, v0
	v_lshlrev_b32_e32 v1, 2, v60
	s_and_saveexec_b64 s[6:7], vcc
	s_cbranch_execz .LBB32_5
; %bb.4:
	s_load_dwordx2 s[16:17], s[0:1], 0x18
	s_mul_i32 s18, s28, s12
	s_ashr_i32 s19, s18, 31
	s_lshl_b64 s[18:19], s[18:19], 2
	v_mad_u32_u24 v3, v61, s15, v1
	s_waitcnt lgkmcnt(0)
	s_add_u32 s12, s16, s18
	s_addc_u32 s18, s17, s19
	s_ashr_i32 s25, s24, 31
	s_lshl_b64 s[16:17], s[24:25], 2
	s_add_u32 s16, s12, s16
	s_addc_u32 s17, s18, s17
	global_load_dword v2, v6, s[16:17]
	s_waitcnt vmcnt(0)
	ds_write_b32 v3, v2
.LBB32_5:
	s_or_b64 exec, exec, s[6:7]
	s_mul_i32 s6, s10, s8
	s_sub_i32 s6, s9, s6
	s_xor_b32 s3, s3, s11
	s_add_i32 s7, s10, 1
	s_sub_i32 s9, s6, s8
	s_load_dwordx4 s[16:19], s[0:1], 0x78
	s_cmp_ge_u32 s6, s8
	s_cselect_b32 s7, s7, s10
	s_cselect_b32 s6, s9, s6
	s_add_i32 s9, s7, 1
	s_cmp_ge_u32 s6, s8
	s_cselect_b32 s6, s9, s7
	s_load_dword s9, s[0:1], 0x88
	s_waitcnt lgkmcnt(0)
	s_abs_i32 s25, s19
	v_cvt_f32_u32_e32 v2, s25
	s_xor_b32 s6, s6, s3
	s_sub_i32 s10, s6, s3
	s_sub_i32 s6, 0, s25
	v_rcp_iflag_f32_e32 v2, v2
	s_add_i32 s11, s29, -1
	s_abs_i32 s3, s11
	v_mul_f32_e32 v2, 0x4f7ffffe, v2
	v_cvt_u32_f32_e32 v2, v2
	s_barrier
	v_readfirstlane_b32 s33, v2
	s_mul_i32 s6, s6, s33
	s_mul_hi_u32 s6, s33, s6
	s_add_i32 s33, s33, s6
	s_cmp_lt_i32 s9, 0
	s_mul_hi_u32 s8, s3, s33
	s_cbranch_scc0 .LBB32_7
; %bb.6:
	s_mul_i32 s6, s16, s38
	s_add_i32 s6, s10, s6
	s_mul_i32 s6, s6, s9
	s_sub_i32 s46, 1, s6
	s_mov_b64 s[6:7], 0
	s_branch .LBB32_8
.LBB32_7:
	s_mov_b64 s[6:7], -1
                                        ; implicit-def: $sgpr46
.LBB32_8:
	s_load_dwordx2 s[30:31], s[0:1], 0x38
	s_ashr_i32 s11, s11, 31
	s_andn2_b64 vcc, exec, s[6:7]
	s_ashr_i32 s47, s19, 31
	s_cbranch_vccnz .LBB32_10
; %bb.9:
	s_mul_i32 s6, s5, s16
	s_add_i32 s6, s6, s2
	s_mul_i32 s6, s6, s9
	s_add_i32 s46, s6, 1
.LBB32_10:
	s_load_dword s6, s[0:1], 0x48
	s_load_dwordx2 s[36:37], s[0:1], 0x28
	s_load_dword s19, s[0:1], 0x98
	s_load_dwordx4 s[20:23], s[0:1], 0x0
	s_load_dwordx2 s[26:27], s[0:1], 0x10
	s_mul_i32 s7, s8, s25
	s_waitcnt lgkmcnt(0)
	s_mul_i32 s34, s28, s6
	s_sub_i32 s3, s3, s7
	s_ashr_i32 s35, s34, 31
	s_xor_b32 s6, s11, s47
	s_add_i32 s7, s8, 1
	s_sub_i32 s9, s3, s25
	s_cmp_ge_u32 s3, s25
	s_cselect_b32 s7, s7, s8
	s_cselect_b32 s3, s9, s3
	s_add_i32 s8, s7, 1
	s_cmp_ge_u32 s3, s25
	s_cselect_b32 s3, s8, s7
	s_xor_b32 s3, s3, s6
	s_sub_i32 s12, s3, s6
	s_add_i32 s3, s29, 15
	s_ashr_i32 s6, s3, 31
	s_lshr_b32 s6, s6, 28
	s_add_i32 s3, s3, s6
	s_lshl_b32 s16, s4, 5
	s_ashr_i32 s3, s3, 4
	s_add_i32 s6, s16, 32
	v_lshrrev_b32_e32 v7, 6, v0
	s_min_i32 s48, s6, s3
	v_or_b32_e32 v38, s16, v7
	v_cmp_gt_i32_e64 s[8:9], s48, v38
	v_mov_b32_e32 v11, 0xff7fffff
	s_mul_i32 s14, s10, s14
	v_ashrrev_i32_e32 v39, 31, v38
	v_lshl_add_u32 v62, v7, 4, s49
	v_mbcnt_lo_u32_b32 v8, -1, 0
	s_and_saveexec_b64 s[40:41], s[8:9]
	s_cbranch_execz .LBB32_20
; %bb.11:
	s_load_dwordx2 s[0:1], s[0:1], 0x20
	s_ashr_i32 s15, s14, 31
	s_sub_i32 s38, s12, s17
	s_lshl_b64 s[6:7], s[14:15], 2
	v_bfe_u32 v9, v0, 2, 4
	s_waitcnt lgkmcnt(0)
	s_add_u32 s0, s0, s6
	s_addc_u32 s1, s1, s7
	s_abs_i32 s15, s18
	v_cvt_f32_u32_e32 v4, s15
	v_lshlrev_b32_e32 v2, 4, v9
	v_mov_b32_e32 v3, 0
	v_lshlrev_b32_e32 v11, 2, v9
	v_rcp_iflag_f32_e32 v10, v4
	v_lshl_add_u64 v[4:5], s[0:1], 0, v[2:3]
	v_lshlrev_b32_e32 v2, 2, v61
	v_lshl_add_u64 v[2:3], v[4:5], 0, v[2:3]
	v_mul_f32_e32 v4, 0x4f7ffffe, v10
	v_cvt_u32_f32_e32 v4, v4
	s_sub_i32 s0, 0, s15
	v_lshl_or_b32 v11, v7, 6, v11
	v_add_u32_e32 v14, 0x1f0, v11
	v_mul_lo_u32 v5, s0, v4
	s_lshl_b64 s[0:1], s[34:35], 2
	s_add_u32 s0, s30, s0
	v_subrev_u32_e32 v11, s29, v9
	v_mbcnt_hi_u32_b32 v17, -1, v8
	v_mul_hi_u32 v5, v4, v5
	s_addc_u32 s1, s31, s1
	v_add_u32_e32 v15, 1, v11
	v_and_b32_e32 v11, 64, v17
	v_cmp_eq_u32_e32 vcc, 0, v61
	s_mov_b32 s51, s13
	v_mul_u32_u24_e32 v10, 0x78, v61
	v_cmp_neq_f32_e64 s[6:7], s50, 0
	v_add_u32_e32 v12, v4, v5
	v_lshl_add_u64 v[4:5], v[38:39], 2, s[0:1]
	v_lshl_add_u32 v13, v7, 4, s49
	s_mov_b64 s[42:43], 0
	v_mov_b32_e32 v16, 0xff7fffff
	s_movk_i32 s52, 0x1000
	v_add_u32_e32 v18, 64, v11
	v_xor_b32_e32 v19, 2, v17
	v_xor_b32_e32 v20, 1, v17
	v_mov_b32_e32 v11, 0xff7fffff
	v_mov_b32_e32 v21, v38
	s_branch .LBB32_14
.LBB32_12:                              ;   in Loop: Header=BB32_14 Depth=1
	s_or_b64 exec, exec, s[44:45]
.LBB32_13:                              ;   in Loop: Header=BB32_14 Depth=1
	s_or_b64 exec, exec, s[10:11]
	v_add_u32_e32 v21, 2, v21
	v_cmp_le_i32_e64 s[0:1], s48, v21
	v_lshl_add_u64 v[4:5], v[4:5], 0, 8
	v_add_u32_e32 v13, 32, v13
	s_or_b64 s[42:43], s[0:1], s[42:43]
	v_add_u32_e32 v14, 0x80, v14
	s_andn2_b64 exec, exec, s[42:43]
	s_cbranch_execz .LBB32_19
.LBB32_14:                              ; =>This Inner Loop Header: Depth=1
	s_waitcnt lgkmcnt(0)
	v_sub_u32_e32 v23, 0, v13
	v_max_i32_e32 v23, v13, v23
	v_mul_hi_u32 v24, v23, s33
	v_mul_lo_u32 v25, v24, s25
	v_sub_u32_e32 v23, v23, v25
	v_add_u32_e32 v25, 1, v24
	v_cmp_le_u32_e64 s[0:1], s25, v23
	v_ashrrev_i32_e32 v22, 31, v13
	v_xor_b32_e32 v22, s47, v22
	v_cndmask_b32_e64 v24, v24, v25, s[0:1]
	v_subrev_u32_e32 v25, s25, v23
	v_cndmask_b32_e64 v23, v23, v25, s[0:1]
	v_add_u32_e32 v25, 1, v24
	v_cmp_le_u32_e64 s[0:1], s25, v23
	s_nop 1
	v_cndmask_b32_e64 v23, v24, v25, s[0:1]
	v_xor_b32_e32 v23, v23, v22
	v_sub_u32_e32 v22, v23, v22
	v_add_u32_e32 v23, s46, v22
	v_sub_u32_e32 v25, 0, v23
	v_ashrrev_i32_e32 v24, 31, v23
	v_max_i32_e32 v23, v23, v25
	v_mul_hi_u32 v25, v23, v12
	v_mul_lo_u32 v25, v25, s15
	v_sub_u32_e32 v23, v23, v25
	v_subrev_u32_e32 v25, s15, v23
	v_cmp_le_u32_e64 s[0:1], s15, v23
	v_cmp_ge_i32_e64 s[10:11], s38, v22
	s_nop 0
	v_cndmask_b32_e64 v23, v23, v25, s[0:1]
	v_subrev_u32_e32 v25, s15, v23
	v_cmp_le_u32_e64 s[0:1], s15, v23
	s_nop 1
	v_cndmask_b32_e64 v23, v23, v25, s[0:1]
	v_xor_b32_e32 v23, v23, v24
	v_sub_u32_e32 v23, v23, v24
	v_cmp_ne_u32_e64 s[0:1], 0, v23
	s_and_b64 s[0:1], s[0:1], s[10:11]
	s_and_b64 s[44:45], vcc, s[0:1]
	s_and_saveexec_b64 s[10:11], s[44:45]
	s_cbranch_execz .LBB32_16
; %bb.15:                               ;   in Loop: Header=BB32_14 Depth=1
	ds_write_b32 v14, v16
.LBB32_16:                              ;   in Loop: Header=BB32_14 Depth=1
	s_or_b64 exec, exec, s[10:11]
	s_xor_b64 s[0:1], s[0:1], -1
	s_and_saveexec_b64 s[10:11], s[0:1]
	s_cbranch_execz .LBB32_13
; %bb.17:                               ;   in Loop: Header=BB32_14 Depth=1
	global_load_dword v22, v[4:5], off
	s_waitcnt vmcnt(0)
	v_mad_i64_i32 v[22:23], s[0:1], v22, s51, 0
	v_lshl_add_u64 v[22:23], v[22:23], 2, v[2:3]
	global_load_dword v54, v[22:23], off offset:512
	global_load_dword v55, v[22:23], off offset:768
	;; [unrolled: 1-line block ×7, first 2 shown]
	global_load_dword v64, v[22:23], off
	global_load_dword v65, v[22:23], off offset:2048
	global_load_dword v66, v[22:23], off offset:2304
	;; [unrolled: 1-line block ×8, first 2 shown]
	v_add_co_u32_e64 v22, s[0:1], s52, v22
	s_nop 1
	v_addc_co_u32_e64 v23, s[0:1], 0, v23, s[0:1]
	global_load_dword v73, v[22:23], off
	global_load_dword v74, v[22:23], off offset:256
	global_load_dword v75, v[22:23], off offset:512
	;; [unrolled: 1-line block ×13, first 2 shown]
	ds_read2_b64 v[22:25], v10 offset1:1
	ds_read2_b64 v[26:29], v10 offset0:2 offset1:3
	ds_read2_b64 v[30:33], v10 offset0:4 offset1:5
	;; [unrolled: 1-line block ×6, first 2 shown]
	ds_read_b64 v[52:53], v10 offset:112
	v_cmp_lt_i32_e64 s[0:1], v19, v18
	s_waitcnt vmcnt(23) lgkmcnt(7)
	v_mul_f32_e32 v23, v23, v63
	s_waitcnt vmcnt(22)
	v_fmac_f32_e32 v23, v22, v64
	v_fmac_f32_e32 v23, v24, v54
	;; [unrolled: 1-line block ×3, first 2 shown]
	s_waitcnt lgkmcnt(6)
	v_fmac_f32_e32 v23, v26, v56
	v_fmac_f32_e32 v23, v27, v57
	;; [unrolled: 1-line block ×4, first 2 shown]
	s_waitcnt vmcnt(21) lgkmcnt(5)
	v_fmac_f32_e32 v23, v30, v65
	s_waitcnt vmcnt(20)
	v_fmac_f32_e32 v23, v31, v66
	s_waitcnt vmcnt(19)
	v_fmac_f32_e32 v23, v32, v67
	s_waitcnt vmcnt(18)
	v_fmac_f32_e32 v23, v33, v68
	s_waitcnt vmcnt(17) lgkmcnt(4)
	v_fmac_f32_e32 v23, v34, v69
	s_waitcnt vmcnt(16)
	v_fmac_f32_e32 v23, v35, v70
	s_waitcnt vmcnt(15)
	v_fmac_f32_e32 v23, v36, v71
	s_waitcnt vmcnt(14)
	v_fmac_f32_e32 v23, v37, v72
	;; [unrolled: 8-line block ×5, first 2 shown]
	v_cndmask_b32_e64 v87, v17, v19, s[0:1]
	s_waitcnt vmcnt(1) lgkmcnt(0)
	v_fmac_f32_e32 v23, v52, v85
	v_lshlrev_b32_e32 v22, 2, v87
	s_waitcnt vmcnt(0)
	v_fmac_f32_e32 v23, v53, v86
	ds_bpermute_b32 v22, v22, v23
	v_cmp_lt_i32_e64 s[0:1], v20, v18
	s_waitcnt lgkmcnt(0)
	v_add_f32_e32 v22, v23, v22
	v_cndmask_b32_e64 v24, v17, v20, s[0:1]
	v_lshlrev_b32_e32 v24, 2, v24
	ds_bpermute_b32 v23, v24, v22
	s_and_saveexec_b64 s[44:45], vcc
	s_cbranch_execz .LBB32_12
; %bb.18:                               ;   in Loop: Header=BB32_14 Depth=1
	v_add_u32_e32 v24, v15, v13
	v_cvt_f32_i32_e32 v24, v24
	s_waitcnt lgkmcnt(0)
	v_add_f32_e32 v22, v22, v23
	v_add_u32_e32 v25, v9, v13
	v_cmp_gt_i32_e64 s[0:1], s29, v25
	v_mul_f32_e32 v23, s50, v24
	v_cndmask_b32_e64 v23, 0, v23, s[6:7]
	v_fmac_f32_e32 v23, s39, v22
	v_cndmask_b32_e64 v22, 0, v23, s[0:1]
	ds_write_b32 v14, v22
	v_max_f32_e32 v22, v11, v11
	v_max_f32_e32 v22, v22, v23
	v_cndmask_b32_e64 v11, v11, v22, s[0:1]
	s_branch .LBB32_12
.LBB32_19:
	s_or_b64 exec, exec, s[42:43]
.LBB32_20:
	s_or_b64 exec, exec, s[40:41]
	v_mbcnt_hi_u32_b32 v2, -1, v8
	v_and_b32_e32 v3, 64, v2
	v_add_u32_e32 v3, 64, v3
	v_xor_b32_e32 v4, 32, v2
	v_cmp_lt_i32_e32 vcc, v4, v3
	v_xor_b32_e32 v9, 16, v2
	v_max_f32_e32 v5, v11, v11
	v_cndmask_b32_e32 v4, v2, v4, vcc
	v_lshlrev_b32_e32 v8, 2, v4
	ds_bpermute_b32 v4, v8, v11
	v_cmp_lt_i32_e32 vcc, v9, v3
	v_xor_b32_e32 v10, 8, v2
	s_waitcnt lgkmcnt(0)
	v_max_f32_e32 v4, v4, v4
	v_max_f32_e32 v4, v5, v4
	v_cndmask_b32_e32 v5, v2, v9, vcc
	v_lshlrev_b32_e32 v9, 2, v5
	ds_bpermute_b32 v5, v9, v4
	v_cmp_lt_i32_e32 vcc, v10, v3
	s_waitcnt lgkmcnt(0)
	v_max_f32_e32 v5, v5, v5
	v_max_f32_e32 v4, v4, v5
	v_cndmask_b32_e32 v5, v2, v10, vcc
	v_lshlrev_b32_e32 v12, 2, v5
	ds_bpermute_b32 v5, v12, v4
	v_xor_b32_e32 v10, 4, v2
	v_cmp_lt_i32_e32 vcc, v10, v3
	s_waitcnt lgkmcnt(0)
	v_max_f32_e32 v5, v5, v5
	v_max_f32_e32 v5, v4, v5
	v_cndmask_b32_e32 v4, v2, v10, vcc
	v_lshlrev_b32_e32 v13, 2, v4
	ds_bpermute_b32 v11, v13, v5
	v_and_b32_e32 v4, 63, v0
	v_cmp_eq_u32_e32 vcc, 0, v4
	v_lshlrev_b32_e32 v10, 2, v7
	s_and_saveexec_b64 s[0:1], vcc
	s_cbranch_execz .LBB32_22
; %bb.21:
	s_waitcnt lgkmcnt(0)
	v_max_f32_e32 v11, v11, v11
	v_max_f32_e32 v5, v5, v5
	v_max_f32_e32 v5, v5, v11
	ds_write_b32 v10, v5 offset:480
.LBB32_22:
	s_or_b64 exec, exec, s[0:1]
	v_cmp_gt_u32_e64 s[0:1], 2, v4
	v_mov_b32_e32 v5, 0xff7fffff
	s_waitcnt lgkmcnt(0)
	v_lshlrev_b32_e32 v11, 2, v4
	s_barrier
	s_and_saveexec_b64 s[6:7], s[0:1]
	s_cbranch_execz .LBB32_24
; %bb.23:
	ds_read_b32 v5, v11 offset:480
.LBB32_24:
	s_or_b64 exec, exec, s[6:7]
	v_xor_b32_e32 v14, 1, v2
	v_cmp_lt_i32_e64 s[6:7], v14, v3
	v_mov_b32_e32 v15, 0
	s_nop 0
	v_cndmask_b32_e64 v14, v2, v14, s[6:7]
	v_lshlrev_b32_e32 v63, 2, v14
	s_waitcnt lgkmcnt(0)
	ds_bpermute_b32 v14, v63, v5
	v_max_f32_e32 v5, v5, v5
	s_sub_i32 s6, s48, s16
	s_lshl_b32 s6, s6, 4
	s_add_i32 s6, s6, s49
	s_waitcnt lgkmcnt(0)
	v_max_f32_e32 v14, v14, v14
	v_max_f32_e32 v5, v5, v14
	v_lshlrev_b32_e32 v14, 2, v2
	v_and_b32_e32 v14, 0x100, v14
	ds_bpermute_b32 v5, v14, v5
	s_min_i32 s16, s6, s29
	s_sub_i32 s15, s16, s49
	v_cmp_gt_i32_e64 s[6:7], s15, v0
	s_and_saveexec_b64 s[38:39], s[6:7]
	s_cbranch_execz .LBB32_28
; %bb.25:
	v_mov_b32_e32 v15, 0x1f0
	v_lshl_add_u32 v16, v0, 2, v15
	s_mov_b64 s[40:41], 0
	v_mov_b32_e32 v15, 0
	v_mov_b32_e32 v17, v0
.LBB32_26:                              ; =>This Inner Loop Header: Depth=1
	ds_read_b32 v18, v16
	v_add_u32_e32 v17, 0x80, v17
	v_cmp_le_i32_e64 s[10:11], s15, v17
	s_or_b64 s[40:41], s[10:11], s[40:41]
	s_waitcnt lgkmcnt(0)
	v_sub_f32_e32 v18, v18, v5
	v_mul_f32_e32 v18, 0x3fb8aa3b, v18
	v_exp_f32_e32 v18, v18
	ds_write_b32 v16, v18
	v_add_f32_e32 v15, v15, v18
	v_add_u32_e32 v16, 0x200, v16
	s_andn2_b64 exec, exec, s[40:41]
	s_cbranch_execnz .LBB32_26
; %bb.27:
	s_or_b64 exec, exec, s[40:41]
.LBB32_28:
	s_or_b64 exec, exec, s[38:39]
	ds_bpermute_b32 v8, v8, v15
	s_waitcnt lgkmcnt(0)
	v_add_f32_e32 v8, v15, v8
	ds_bpermute_b32 v9, v9, v8
	s_waitcnt lgkmcnt(0)
	v_add_f32_e32 v8, v8, v9
	ds_bpermute_b32 v9, v12, v8
	v_xor_b32_e32 v12, 2, v2
	v_cmp_lt_i32_e64 s[10:11], v12, v3
	s_waitcnt lgkmcnt(0)
	v_add_f32_e32 v8, v8, v9
	ds_bpermute_b32 v9, v13, v8
	v_cndmask_b32_e64 v2, v2, v12, s[10:11]
	v_lshlrev_b32_e32 v64, 2, v2
	s_waitcnt lgkmcnt(0)
	v_add_f32_e32 v3, v8, v9
	ds_bpermute_b32 v2, v64, v3
	s_waitcnt lgkmcnt(0)
	v_add_f32_e32 v2, v3, v2
	ds_bpermute_b32 v3, v63, v2
	s_waitcnt lgkmcnt(0)
	v_add_f32_e32 v2, v2, v3
	s_and_saveexec_b64 s[10:11], vcc
	s_cbranch_execz .LBB32_30
; %bb.29:
	ds_write_b32 v10, v2 offset:488
.LBB32_30:
	s_or_b64 exec, exec, s[10:11]
	s_waitcnt lgkmcnt(0)
	s_barrier
	s_and_saveexec_b64 s[10:11], s[0:1]
	s_cbranch_execz .LBB32_32
; %bb.31:
	ds_read_b32 v2, v11 offset:488
.LBB32_32:
	s_or_b64 exec, exec, s[10:11]
	s_waitcnt lgkmcnt(0)
	ds_bpermute_b32 v3, v63, v2
	s_waitcnt lgkmcnt(0)
	v_add_f32_e32 v2, v2, v3
	ds_bpermute_b32 v8, v14, v2
	s_and_saveexec_b64 s[0:1], s[6:7]
	s_cbranch_execz .LBB32_45
; %bb.33:
	s_waitcnt lgkmcnt(0)
	v_add_f32_e32 v2, 0x358637bd, v8
	v_div_scale_f32 v3, s[6:7], v2, v2, 1.0
	v_rcp_f32_e32 v9, v3
	v_div_scale_f32 v10, vcc, 1.0, v2, 1.0
	s_movk_i32 s6, 0x7f
	v_fma_f32 v11, -v3, v9, 1.0
	v_fmac_f32_e32 v9, v11, v9
	v_mul_f32_e32 v11, v10, v9
	v_fma_f32 v12, -v3, v11, v10
	v_fmac_f32_e32 v11, v12, v9
	v_fma_f32 v3, -v3, v11, v10
	v_div_fmas_f32 v3, v3, v9, v11
	v_div_fixup_f32 v2, v3, v2, 1.0
	v_xad_u32 v3, v0, -1, s16
	v_subrev_u32_e32 v9, s49, v3
	v_cmp_lt_u32_e32 vcc, s6, v9
	s_mov_b64 s[10:11], -1
	v_mov_b32_e32 v3, v0
	s_and_saveexec_b64 s[6:7], vcc
	s_cbranch_execz .LBB32_42
; %bb.34:
	v_lshrrev_b32_e32 v9, 7, v9
	v_add_u32_e32 v11, -1, v9
	v_lshrrev_b32_e32 v10, 1, v11
	v_mov_b32_e32 v3, v2
	v_add_u32_e32 v10, 1, v10
	v_cmp_lt_u32_e32 vcc, 13, v11
	v_mov_b32_e32 v13, 0
	s_and_saveexec_b64 s[10:11], vcc
	s_cbranch_execz .LBB32_38
; %bb.35:
	v_mov_b32_e32 v12, 0x1f0
	v_and_b32_e32 v11, -8, v10
	v_lshl_add_u32 v12, v0, 2, v12
	s_mov_b32 s16, 0
	s_mov_b64 s[38:39], 0
.LBB32_36:                              ; =>This Inner Loop Header: Depth=1
	ds_read2st64_b32 v[14:15], v12 offset1:2
	ds_read2st64_b32 v[16:17], v12 offset0:4 offset1:6
	ds_read2st64_b32 v[18:19], v12 offset0:8 offset1:10
	;; [unrolled: 1-line block ×3, first 2 shown]
	v_add_u32_e32 v11, -8, v11
	s_waitcnt lgkmcnt(3)
	v_pk_mul_f32 v[14:15], v[2:3], v[14:15]
	s_waitcnt lgkmcnt(2)
	v_pk_mul_f32 v[16:17], v[2:3], v[16:17]
	ds_write2st64_b32 v12, v14, v15 offset1:2
	ds_write2st64_b32 v12, v16, v17 offset0:4 offset1:6
	ds_read2st64_b32 v[16:17], v12 offset0:16 offset1:18
	s_waitcnt lgkmcnt(4)
	v_pk_mul_f32 v[14:15], v[2:3], v[18:19]
	ds_write2st64_b32 v12, v14, v15 offset0:8 offset1:10
	s_waitcnt lgkmcnt(4)
	v_pk_mul_f32 v[14:15], v[2:3], v[20:21]
	ds_write2st64_b32 v12, v14, v15 offset0:12 offset1:14
	ds_read2st64_b32 v[14:15], v12 offset0:20 offset1:22
	s_waitcnt lgkmcnt(3)
	v_pk_mul_f32 v[16:17], v[2:3], v[16:17]
	ds_read2st64_b32 v[18:19], v12 offset0:24 offset1:26
	ds_write2st64_b32 v12, v16, v17 offset0:16 offset1:18
	ds_read2st64_b32 v[16:17], v12 offset0:28 offset1:30
	s_waitcnt lgkmcnt(3)
	v_pk_mul_f32 v[14:15], v[2:3], v[14:15]
	ds_write2st64_b32 v12, v14, v15 offset0:20 offset1:22
	s_waitcnt lgkmcnt(3)
	v_pk_mul_f32 v[14:15], v[2:3], v[18:19]
	ds_write2st64_b32 v12, v14, v15 offset0:24 offset1:26
	s_waitcnt lgkmcnt(2)
	v_pk_mul_f32 v[14:15], v[2:3], v[16:17]
	s_add_i32 s16, s16, 16
	v_cmp_eq_u32_e32 vcc, 0, v11
	ds_write2st64_b32 v12, v14, v15 offset0:28 offset1:30
	v_add_u32_e32 v12, 0x2000, v12
	s_or_b64 s[38:39], vcc, s[38:39]
	v_mov_b32_e32 v13, s16
	s_andn2_b64 exec, exec, s[38:39]
	s_cbranch_execnz .LBB32_36
; %bb.37:
	s_or_b64 exec, exec, s[38:39]
.LBB32_38:
	s_or_b64 exec, exec, s[10:11]
	v_and_b32_e32 v10, 7, v10
	v_cmp_ne_u32_e32 vcc, 0, v10
	s_and_saveexec_b64 s[10:11], vcc
	s_cbranch_execz .LBB32_41
; %bb.39:
	v_lshlrev_b32_e32 v11, 9, v13
	s_movk_i32 s16, 0x1f0
	v_add3_u32 v11, v11, v6, s16
	s_mov_b64 s[38:39], 0
.LBB32_40:                              ; =>This Inner Loop Header: Depth=1
	ds_read2st64_b32 v[12:13], v11 offset1:2
	v_add_u32_e32 v10, -1, v10
	v_cmp_eq_u32_e32 vcc, 0, v10
	s_or_b64 s[38:39], vcc, s[38:39]
	s_waitcnt lgkmcnt(0)
	v_pk_mul_f32 v[12:13], v[2:3], v[12:13]
	ds_write2st64_b32 v11, v12, v13 offset1:2
	v_add_u32_e32 v11, 0x400, v11
	s_andn2_b64 exec, exec, s[38:39]
	s_cbranch_execnz .LBB32_40
.LBB32_41:
	s_or_b64 exec, exec, s[10:11]
	v_add_u32_e32 v9, 1, v9
	v_and_b32_e32 v10, 0x3fffffe, v9
	v_cmp_ne_u32_e32 vcc, v9, v10
	v_lshl_add_u32 v3, v10, 7, v0
	s_orn2_b64 s[10:11], vcc, exec
.LBB32_42:
	s_or_b64 exec, exec, s[6:7]
	s_and_b64 exec, exec, s[10:11]
	s_cbranch_execz .LBB32_45
; %bb.43:
	v_mov_b32_e32 v9, 0x1f0
	v_lshl_add_u32 v9, v3, 2, v9
	s_mov_b64 s[6:7], 0
.LBB32_44:                              ; =>This Inner Loop Header: Depth=1
	ds_read_b32 v10, v9
	v_add_u32_e32 v3, 0x80, v3
	v_cmp_le_i32_e32 vcc, s15, v3
	s_or_b64 s[6:7], vcc, s[6:7]
	s_waitcnt lgkmcnt(0)
	v_mul_f32_e32 v10, v2, v10
	ds_write_b32 v9, v10
	v_add_u32_e32 v9, 0x200, v9
	s_andn2_b64 exec, exec, s[6:7]
	s_cbranch_execnz .LBB32_44
.LBB32_45:
	s_or_b64 exec, exec, s[0:1]
	s_mul_i32 s0, s19, s28
	v_cmp_eq_u32_e32 vcc, 0, v0
	s_mul_i32 s6, s0, s5
	s_waitcnt lgkmcnt(0)
	s_barrier
	s_and_saveexec_b64 s[0:1], vcc
	s_cbranch_execz .LBB32_47
; %bb.46:
	s_ashr_i32 s7, s6, 31
	s_lshl_b64 s[10:11], s[6:7], 2
	s_add_u32 s5, s22, s10
	s_mul_i32 s22, s19, s2
	s_addc_u32 s7, s23, s11
	s_ashr_i32 s23, s22, 31
	s_lshl_b64 s[22:23], s[22:23], 2
	s_add_u32 s2, s5, s22
	s_addc_u32 s7, s7, s23
	s_ashr_i32 s5, s4, 31
	s_lshl_b64 s[38:39], s[4:5], 2
	s_add_u32 s40, s2, s38
	s_addc_u32 s41, s7, s39
	s_add_u32 s2, s20, s10
	s_addc_u32 s5, s21, s11
	;; [unrolled: 2-line block ×3, first 2 shown]
	s_add_u32 s10, s2, s38
	v_mov_b32_e32 v2, 0
	s_addc_u32 s11, s5, s39
	global_store_dword v2, v5, s[40:41]
	global_store_dword v2, v8, s[10:11]
.LBB32_47:
	s_or_b64 exec, exec, s[0:1]
	v_mov_b32_e32 v41, 0
	v_lshrrev_b32_e32 v65, 2, v4
	v_mov_b32_e32 v40, 0
	v_mov_b32_e32 v43, 0
	v_mov_b32_e32 v42, 0
	v_mov_b32_e32 v45, 0
	v_mov_b32_e32 v44, 0
	v_mov_b32_e32 v47, 0
	v_mov_b32_e32 v46, 0
	s_and_saveexec_b64 s[10:11], s[8:9]
	s_cbranch_execz .LBB32_71
; %bb.48:
	s_ashr_i32 s15, s14, 31
	s_sub_i32 s5, s12, s17
	s_lshl_b64 s[0:1], s[14:15], 2
	s_add_u32 s8, s36, s0
	s_addc_u32 s9, s37, s1
	s_abs_i32 s18, s18
	v_cvt_f32_u32_e32 v3, s18
	v_or_b32_e32 v5, 0x70, v65
	s_movk_i32 s0, 0x78
	v_and_b32_e32 v66, 12, v6
	v_rcp_iflag_f32_e32 v3, v3
	v_cmp_gt_u32_e32 vcc, s0, v5
	s_sub_i32 s0, 0, s18
	v_lshl_or_b32 v10, v5, 4, v66
	v_mul_f32_e32 v3, 0x4f7ffffe, v3
	v_cvt_u32_f32_e32 v3, v3
	s_add_i32 s20, s3, -1
	v_lshl_or_b32 v2, v65, 4, v66
	v_mov_b32_e32 v49, 0
	v_mul_lo_u32 v5, s0, v3
	v_mul_hi_u32 v5, v3, v5
	s_lshl_b64 s[0:1], s[34:35], 2
	v_add_u32_e32 v67, v3, v5
	s_add_u32 s0, s30, s0
	v_lshlrev_b32_e32 v3, 4, v61
	v_or_b32_e32 v4, 0x400, v2
	v_or_b32_e32 v6, 0x500, v2
	;; [unrolled: 1-line block ×3, first 2 shown]
	s_addc_u32 s1, s31, s1
	v_lshl_or_b32 v3, v7, 6, v3
	s_mov_b32 s7, s13
	v_lshl_add_u64 v[50:51], v[38:39], 2, s[0:1]
	v_add_u32_e32 v39, 0x1f0, v3
	s_mov_b64 s[12:13], 0
	v_lshlrev_b32_e32 v52, 2, v2
	v_lshlrev_b32_e32 v48, 2, v4
	;; [unrolled: 1-line block ×5, first 2 shown]
	v_mov_b32_e32 v46, v49
	v_mov_b32_e32 v47, v49
	;; [unrolled: 1-line block ×8, first 2 shown]
	s_branch .LBB32_52
.LBB32_49:                              ;   in Loop: Header=BB32_52 Depth=1
	s_or_b64 exec, exec, s[16:17]
	s_waitcnt vmcnt(0) lgkmcnt(0)
	v_mul_f32_e32 v35, v3, v35
	v_fmac_f32_e32 v35, v2, v34
	v_fmac_f32_e32 v35, v4, v36
	v_fmac_f32_e32 v35, v5, v37
	v_add_f32_e32 v41, v41, v35
.LBB32_50:                              ;   in Loop: Header=BB32_52 Depth=1
	s_or_b64 exec, exec, s[2:3]
	s_waitcnt vmcnt(6) lgkmcnt(0)
	v_mul_f32_e32 v7, v3, v7
	v_fmac_f32_e32 v7, v2, v6
	s_waitcnt vmcnt(5)
	v_mul_f32_e32 v6, v3, v11
	v_fmac_f32_e32 v6, v2, v10
	v_fmac_f32_e32 v6, v4, v12
	v_fmac_f32_e32 v6, v5, v13
	v_add_f32_e32 v47, v47, v6
	s_waitcnt vmcnt(4)
	v_mul_f32_e32 v6, v3, v15
	v_fmac_f32_e32 v6, v2, v14
	v_fmac_f32_e32 v6, v4, v16
	v_fmac_f32_e32 v6, v5, v17
	v_add_f32_e32 v44, v44, v6
	;; [unrolled: 6-line block ×4, first 2 shown]
	s_waitcnt vmcnt(1)
	v_mul_f32_e32 v6, v3, v27
	s_waitcnt vmcnt(0)
	v_mul_f32_e32 v3, v3, v31
	v_fmac_f32_e32 v6, v2, v26
	v_fmac_f32_e32 v3, v2, v30
	;; [unrolled: 1-line block ×8, first 2 shown]
	v_add_f32_e32 v46, v46, v7
	v_add_f32_e32 v43, v43, v6
	;; [unrolled: 1-line block ×3, first 2 shown]
.LBB32_51:                              ;   in Loop: Header=BB32_52 Depth=1
	s_or_b64 exec, exec, s[14:15]
	v_add_u32_e32 v38, 2, v38
	v_cmp_le_i32_e64 s[0:1], s48, v38
	v_lshl_add_u64 v[50:51], v[50:51], 0, 8
	v_add_u32_e32 v62, 32, v62
	s_or_b64 s[12:13], s[0:1], s[12:13]
	v_add_u32_e32 v39, 0x80, v39
	s_andn2_b64 exec, exec, s[12:13]
	s_cbranch_execz .LBB32_70
.LBB32_52:                              ; =>This Inner Loop Header: Depth=1
	v_sub_u32_e32 v3, 0, v62
	v_max_i32_e32 v3, v62, v3
	v_mul_hi_u32 v4, v3, s33
	v_mul_lo_u32 v5, v4, s25
	v_sub_u32_e32 v3, v3, v5
	v_add_u32_e32 v5, 1, v4
	v_cmp_le_u32_e64 s[0:1], s25, v3
	v_ashrrev_i32_e32 v2, 31, v62
	v_xor_b32_e32 v2, s47, v2
	v_cndmask_b32_e64 v4, v4, v5, s[0:1]
	v_subrev_u32_e32 v5, s25, v3
	v_cndmask_b32_e64 v3, v3, v5, s[0:1]
	v_add_u32_e32 v5, 1, v4
	v_cmp_le_u32_e64 s[0:1], s25, v3
	s_nop 1
	v_cndmask_b32_e64 v3, v4, v5, s[0:1]
	v_xor_b32_e32 v3, v3, v2
	v_sub_u32_e32 v2, v3, v2
	v_add_u32_e32 v3, s46, v2
	v_sub_u32_e32 v5, 0, v3
	v_ashrrev_i32_e32 v4, 31, v3
	v_max_i32_e32 v3, v3, v5
	v_mul_hi_u32 v5, v3, v67
	v_mul_lo_u32 v5, v5, s18
	v_sub_u32_e32 v3, v3, v5
	v_subrev_u32_e32 v5, s18, v3
	v_cmp_le_u32_e64 s[0:1], s18, v3
	v_cmp_lt_i32_e64 s[2:3], s5, v2
	s_nop 0
	v_cndmask_b32_e64 v3, v3, v5, s[0:1]
	v_subrev_u32_e32 v5, s18, v3
	v_cmp_le_u32_e64 s[0:1], s18, v3
	s_nop 1
	v_cndmask_b32_e64 v3, v3, v5, s[0:1]
	v_xor_b32_e32 v3, v3, v4
	v_sub_u32_e32 v3, v3, v4
	v_cmp_eq_u32_e64 s[0:1], 0, v3
	s_or_b64 s[0:1], s[0:1], s[2:3]
	s_and_saveexec_b64 s[14:15], s[0:1]
	s_cbranch_execz .LBB32_51
; %bb.53:                               ;   in Loop: Header=BB32_52 Depth=1
	global_load_dword v2, v[50:51], off
	v_mov_b32_e32 v53, v49
	s_waitcnt vmcnt(0)
	v_mad_i64_i32 v[2:3], s[0:1], v2, s7, 0
	v_lshl_add_u64 v[34:35], v[2:3], 2, s[8:9]
	v_lshl_add_u64 v[18:19], v[34:35], 0, v[52:53]
	global_load_dwordx4 v[6:9], v[18:19], off
	ds_read_b128 v[2:5], v39
	v_add_u32_e32 v53, v66, v62
	v_cmp_eq_u32_e64 s[0:1], s20, v38
	s_and_saveexec_b64 s[16:17], s[0:1]
	s_cbranch_execnz .LBB32_67
; %bb.54:                               ;   in Loop: Header=BB32_52 Depth=1
	s_or_b64 exec, exec, s[16:17]
	global_load_dwordx4 v[10:13], v[18:19], off offset:1024
	s_and_saveexec_b64 s[16:17], s[0:1]
	s_cbranch_execnz .LBB32_68
.LBB32_55:                              ;   in Loop: Header=BB32_52 Depth=1
	s_or_b64 exec, exec, s[16:17]
	global_load_dwordx4 v[14:17], v[18:19], off offset:2048
	s_and_saveexec_b64 s[16:17], s[0:1]
	s_cbranch_execnz .LBB32_69
.LBB32_56:                              ;   in Loop: Header=BB32_52 Depth=1
	s_or_b64 exec, exec, s[16:17]
	global_load_dwordx4 v[18:21], v[18:19], off offset:3072
	s_and_saveexec_b64 s[16:17], s[0:1]
	s_cbranch_execz .LBB32_58
.LBB32_57:                              ;   in Loop: Header=BB32_52 Depth=1
	v_cmp_gt_i32_e64 s[2:3], s29, v53
	v_add_u32_e32 v22, 1, v53
	s_waitcnt vmcnt(0)
	v_cndmask_b32_e64 v18, 0, v18, s[2:3]
	v_cmp_gt_i32_e64 s[2:3], s29, v22
	v_add_u32_e32 v22, 2, v53
	s_nop 0
	v_cndmask_b32_e64 v19, 0, v19, s[2:3]
	v_cmp_gt_i32_e64 s[2:3], s29, v22
	v_add_u32_e32 v22, 3, v53
	s_nop 0
	v_cndmask_b32_e64 v20, 0, v20, s[2:3]
	v_cmp_gt_i32_e64 s[2:3], s29, v22
	s_nop 1
	v_cndmask_b32_e64 v21, 0, v21, s[2:3]
.LBB32_58:                              ;   in Loop: Header=BB32_52 Depth=1
	s_or_b64 exec, exec, s[16:17]
	v_lshl_add_u64 v[22:23], v[34:35], 0, v[48:49]
	global_load_dwordx4 v[22:25], v[22:23], off
	s_and_saveexec_b64 s[16:17], s[0:1]
	s_cbranch_execz .LBB32_60
; %bb.59:                               ;   in Loop: Header=BB32_52 Depth=1
	v_cmp_gt_i32_e64 s[2:3], s29, v53
	v_add_u32_e32 v26, 1, v53
	s_waitcnt vmcnt(0)
	v_cndmask_b32_e64 v22, 0, v22, s[2:3]
	v_cmp_gt_i32_e64 s[2:3], s29, v26
	v_add_u32_e32 v26, 2, v53
	s_nop 0
	v_cndmask_b32_e64 v23, 0, v23, s[2:3]
	v_cmp_gt_i32_e64 s[2:3], s29, v26
	v_add_u32_e32 v26, 3, v53
	s_nop 0
	v_cndmask_b32_e64 v24, 0, v24, s[2:3]
	v_cmp_gt_i32_e64 s[2:3], s29, v26
	s_nop 1
	v_cndmask_b32_e64 v25, 0, v25, s[2:3]
.LBB32_60:                              ;   in Loop: Header=BB32_52 Depth=1
	s_or_b64 exec, exec, s[16:17]
	v_mov_b32_e32 v55, v49
	v_lshl_add_u64 v[26:27], v[34:35], 0, v[54:55]
	global_load_dwordx4 v[26:29], v[26:27], off
	s_and_saveexec_b64 s[16:17], s[0:1]
	s_cbranch_execz .LBB32_62
; %bb.61:                               ;   in Loop: Header=BB32_52 Depth=1
	v_cmp_gt_i32_e64 s[2:3], s29, v53
	v_add_u32_e32 v30, 1, v53
	s_waitcnt vmcnt(0)
	v_cndmask_b32_e64 v26, 0, v26, s[2:3]
	v_cmp_gt_i32_e64 s[2:3], s29, v30
	v_add_u32_e32 v30, 2, v53
	s_nop 0
	v_cndmask_b32_e64 v27, 0, v27, s[2:3]
	v_cmp_gt_i32_e64 s[2:3], s29, v30
	v_add_u32_e32 v30, 3, v53
	s_nop 0
	v_cndmask_b32_e64 v28, 0, v28, s[2:3]
	v_cmp_gt_i32_e64 s[2:3], s29, v30
	s_nop 1
	v_cndmask_b32_e64 v29, 0, v29, s[2:3]
.LBB32_62:                              ;   in Loop: Header=BB32_52 Depth=1
	s_or_b64 exec, exec, s[16:17]
	v_mov_b32_e32 v57, v49
	v_lshl_add_u64 v[30:31], v[34:35], 0, v[56:57]
	global_load_dwordx4 v[30:33], v[30:31], off
	s_and_saveexec_b64 s[16:17], s[0:1]
	s_cbranch_execz .LBB32_64
; %bb.63:                               ;   in Loop: Header=BB32_52 Depth=1
	v_cmp_gt_i32_e64 s[2:3], s29, v53
	v_add_u32_e32 v36, 1, v53
	s_waitcnt vmcnt(0)
	v_cndmask_b32_e64 v30, 0, v30, s[2:3]
	v_cmp_gt_i32_e64 s[2:3], s29, v36
	v_add_u32_e32 v36, 2, v53
	s_nop 0
	v_cndmask_b32_e64 v31, 0, v31, s[2:3]
	v_cmp_gt_i32_e64 s[2:3], s29, v36
	v_add_u32_e32 v36, 3, v53
	s_nop 0
	v_cndmask_b32_e64 v32, 0, v32, s[2:3]
	v_cmp_gt_i32_e64 s[2:3], s29, v36
	s_nop 1
	v_cndmask_b32_e64 v33, 0, v33, s[2:3]
.LBB32_64:                              ;   in Loop: Header=BB32_52 Depth=1
	s_or_b64 exec, exec, s[16:17]
	s_and_saveexec_b64 s[2:3], vcc
	s_cbranch_execz .LBB32_50
; %bb.65:                               ;   in Loop: Header=BB32_52 Depth=1
	v_mov_b32_e32 v59, v49
	v_lshl_add_u64 v[34:35], v[34:35], 0, v[58:59]
	global_load_dwordx4 v[34:37], v[34:35], off
	s_and_saveexec_b64 s[16:17], s[0:1]
	s_cbranch_execz .LBB32_49
; %bb.66:                               ;   in Loop: Header=BB32_52 Depth=1
	v_cmp_gt_i32_e64 s[0:1], s29, v53
	v_add_u32_e32 v55, 1, v53
	s_waitcnt vmcnt(0)
	v_cndmask_b32_e64 v34, 0, v34, s[0:1]
	v_cmp_gt_i32_e64 s[0:1], s29, v55
	v_add_u32_e32 v55, 2, v53
	v_add_u32_e32 v53, 3, v53
	v_cndmask_b32_e64 v35, 0, v35, s[0:1]
	v_cmp_gt_i32_e64 s[0:1], s29, v55
	s_nop 1
	v_cndmask_b32_e64 v36, 0, v36, s[0:1]
	v_cmp_gt_i32_e64 s[0:1], s29, v53
	s_nop 1
	v_cndmask_b32_e64 v37, 0, v37, s[0:1]
	s_branch .LBB32_49
.LBB32_67:                              ;   in Loop: Header=BB32_52 Depth=1
	v_cmp_gt_i32_e64 s[2:3], s29, v53
	v_add_u32_e32 v10, 1, v53
	s_waitcnt vmcnt(0)
	v_cndmask_b32_e64 v6, 0, v6, s[2:3]
	v_cmp_gt_i32_e64 s[2:3], s29, v10
	v_add_u32_e32 v10, 2, v53
	s_nop 0
	v_cndmask_b32_e64 v7, 0, v7, s[2:3]
	v_cmp_gt_i32_e64 s[2:3], s29, v10
	v_add_u32_e32 v10, 3, v53
	s_nop 0
	v_cndmask_b32_e64 v8, 0, v8, s[2:3]
	v_cmp_gt_i32_e64 s[2:3], s29, v10
	s_nop 1
	v_cndmask_b32_e64 v9, 0, v9, s[2:3]
	s_or_b64 exec, exec, s[16:17]
	global_load_dwordx4 v[10:13], v[18:19], off offset:1024
	s_and_saveexec_b64 s[16:17], s[0:1]
	s_cbranch_execz .LBB32_55
.LBB32_68:                              ;   in Loop: Header=BB32_52 Depth=1
	v_cmp_gt_i32_e64 s[2:3], s29, v53
	v_add_u32_e32 v14, 1, v53
	s_waitcnt vmcnt(0)
	v_cndmask_b32_e64 v10, 0, v10, s[2:3]
	v_cmp_gt_i32_e64 s[2:3], s29, v14
	v_add_u32_e32 v14, 2, v53
	s_nop 0
	v_cndmask_b32_e64 v11, 0, v11, s[2:3]
	v_cmp_gt_i32_e64 s[2:3], s29, v14
	v_add_u32_e32 v14, 3, v53
	s_nop 0
	v_cndmask_b32_e64 v12, 0, v12, s[2:3]
	v_cmp_gt_i32_e64 s[2:3], s29, v14
	s_nop 1
	v_cndmask_b32_e64 v13, 0, v13, s[2:3]
	s_or_b64 exec, exec, s[16:17]
	global_load_dwordx4 v[14:17], v[18:19], off offset:2048
	s_and_saveexec_b64 s[16:17], s[0:1]
	s_cbranch_execz .LBB32_56
.LBB32_69:                              ;   in Loop: Header=BB32_52 Depth=1
	v_cmp_gt_i32_e64 s[2:3], s29, v53
	v_add_u32_e32 v20, 1, v53
	s_waitcnt vmcnt(0)
	v_cndmask_b32_e64 v14, 0, v14, s[2:3]
	v_cmp_gt_i32_e64 s[2:3], s29, v20
	v_add_u32_e32 v20, 2, v53
	s_nop 0
	v_cndmask_b32_e64 v15, 0, v15, s[2:3]
	v_cmp_gt_i32_e64 s[2:3], s29, v20
	v_add_u32_e32 v20, 3, v53
	s_nop 0
	v_cndmask_b32_e64 v16, 0, v16, s[2:3]
	v_cmp_gt_i32_e64 s[2:3], s29, v20
	s_nop 1
	v_cndmask_b32_e64 v17, 0, v17, s[2:3]
	s_or_b64 exec, exec, s[16:17]
	global_load_dwordx4 v[18:21], v[18:19], off offset:3072
	s_and_saveexec_b64 s[16:17], s[0:1]
	s_cbranch_execnz .LBB32_57
	s_branch .LBB32_58
.LBB32_70:
	s_or_b64 exec, exec, s[12:13]
.LBB32_71:
	s_or_b64 exec, exec, s[10:11]
	ds_bpermute_b32 v2, v64, v46
	ds_bpermute_b32 v3, v64, v47
	;; [unrolled: 1-line block ×8, first 2 shown]
	s_waitcnt lgkmcnt(6)
	v_pk_add_f32 v[2:3], v[46:47], v[2:3]
	s_waitcnt lgkmcnt(4)
	v_pk_add_f32 v[4:5], v[44:45], v[4:5]
	ds_bpermute_b32 v6, v63, v2
	ds_bpermute_b32 v7, v63, v3
	;; [unrolled: 1-line block ×4, first 2 shown]
	s_waitcnt lgkmcnt(6)
	v_pk_add_f32 v[14:15], v[42:43], v[8:9]
	s_waitcnt lgkmcnt(4)
	v_pk_add_f32 v[12:13], v[40:41], v[12:13]
	ds_bpermute_b32 v16, v63, v14
	ds_bpermute_b32 v17, v63, v15
	;; [unrolled: 1-line block ×4, first 2 shown]
	s_waitcnt lgkmcnt(6)
	v_pk_add_f32 v[8:9], v[2:3], v[6:7]
	s_waitcnt lgkmcnt(4)
	v_pk_add_f32 v[6:7], v[4:5], v[10:11]
	v_and_b32_e32 v10, 0x3c0, v0
	s_waitcnt lgkmcnt(2)
	v_pk_add_f32 v[4:5], v[14:15], v[16:17]
	s_waitcnt lgkmcnt(0)
	v_pk_add_f32 v[2:3], v[12:13], v[18:19]
	v_cmp_eq_u32_e32 vcc, 64, v10
	s_barrier
	s_and_saveexec_b64 s[2:3], vcc
	s_cbranch_execz .LBB32_76
; %bb.72:
	v_cmp_eq_u32_e32 vcc, 0, v61
	s_and_saveexec_b64 s[0:1], vcc
	s_cbranch_execz .LBB32_74
; %bb.73:
	v_mov_b32_e32 v10, 0x1f0
	v_lshl_add_u32 v10, v65, 2, v10
	ds_write2_b32 v10, v8, v9 offset1:16
	ds_write2_b32 v10, v6, v7 offset0:32 offset1:48
	ds_write2_b32 v10, v4, v5 offset0:64 offset1:80
	ds_write_b32 v10, v2 offset:384
.LBB32_74:
	s_or_b64 exec, exec, s[0:1]
	v_or_b32_e32 v10, 0x70, v65
	s_movk_i32 s0, 0x78
	v_cmp_gt_u32_e64 s[0:1], s0, v10
	s_and_b64 s[0:1], vcc, s[0:1]
	s_and_b64 exec, exec, s[0:1]
	s_cbranch_execz .LBB32_76
; %bb.75:
	v_mov_b32_e32 v10, 0x1f0
	v_lshl_add_u32 v10, v65, 2, v10
	ds_write_b32 v10, v3 offset:448
.LBB32_76:
	s_or_b64 exec, exec, s[2:3]
	v_cmp_gt_u32_e32 vcc, 64, v0
	s_waitcnt lgkmcnt(0)
	s_barrier
	s_and_saveexec_b64 s[8:9], vcc
	s_cbranch_execz .LBB32_94
; %bb.77:
	v_cmp_eq_u32_e64 s[0:1], 0, v61
	s_and_saveexec_b64 s[2:3], s[0:1]
	s_cbranch_execz .LBB32_79
; %bb.78:
	v_mov_b32_e32 v0, 0x1f0
	v_lshl_add_u32 v0, v60, 2, v0
	ds_read_b32 v0, v0
	s_waitcnt lgkmcnt(0)
	v_add_f32_e32 v8, v8, v0
.LBB32_79:
	s_or_b64 exec, exec, s[2:3]
	v_or_b32_e32 v0, 16, v60
	s_movk_i32 s5, 0x78
	v_cmp_gt_u32_e64 s[2:3], s5, v0
	s_and_b64 s[10:11], s[0:1], s[2:3]
	s_and_saveexec_b64 s[2:3], s[10:11]
	s_cbranch_execz .LBB32_81
; %bb.80:
	v_mov_b32_e32 v0, 0x1f0
	v_lshl_add_u32 v0, v60, 2, v0
	ds_read_b32 v0, v0 offset:64
	s_waitcnt lgkmcnt(0)
	v_add_f32_e32 v9, v9, v0
.LBB32_81:
	s_or_b64 exec, exec, s[2:3]
	v_or_b32_e32 v0, 32, v60
	v_cmp_gt_u32_e64 s[2:3], s5, v0
	s_and_b64 s[10:11], s[0:1], s[2:3]
	s_and_saveexec_b64 s[2:3], s[10:11]
	s_cbranch_execz .LBB32_83
; %bb.82:
	v_mov_b32_e32 v0, 0x1f0
	v_lshl_add_u32 v0, v60, 2, v0
	ds_read_b32 v0, v0 offset:128
	s_waitcnt lgkmcnt(0)
	v_add_f32_e32 v6, v6, v0
.LBB32_83:
	s_or_b64 exec, exec, s[2:3]
	v_or_b32_e32 v0, 48, v60
	;; [unrolled: 13-line block ×6, first 2 shown]
	s_movk_i32 s2, 0x78
	v_cmp_gt_u32_e64 s[2:3], s2, v0
	s_and_b64 s[2:3], s[0:1], s[2:3]
	s_and_saveexec_b64 s[0:1], s[2:3]
	s_cbranch_execz .LBB32_93
; %bb.92:
	v_mov_b32_e32 v0, 0x1f0
	v_lshl_add_u32 v0, v60, 2, v0
	ds_read_b32 v0, v0 offset:448
	s_waitcnt lgkmcnt(0)
	v_add_f32_e32 v3, v3, v0
.LBB32_93:
	s_or_b64 exec, exec, s[0:1]
.LBB32_94:
	s_or_b64 exec, exec, s[8:9]
	s_barrier
	s_and_saveexec_b64 s[0:1], vcc
	s_cbranch_execz .LBB32_111
; %bb.95:
	s_mul_i32 s0, s6, 0x78
	s_ashr_i32 s1, s0, 31
	s_lshl_b64 s[0:1], s[0:1], 2
	s_add_u32 s2, s26, s0
	s_mul_i32 s0, s19, s24
	s_addc_u32 s3, s27, s1
	s_ashr_i32 s1, s0, 31
	s_lshl_b64 s[0:1], s[0:1], 2
	s_add_u32 s2, s2, s0
	s_mul_i32 s0, s4, 0x78
	s_addc_u32 s3, s3, s1
	s_ashr_i32 s1, s0, 31
	s_lshl_b64 s[0:1], s[0:1], 2
	s_add_u32 s2, s2, s0
	s_movk_i32 s5, 0x78
	s_addc_u32 s3, s3, s1
	v_cmp_eq_u32_e32 vcc, 0, v61
	s_and_saveexec_b64 s[0:1], vcc
	s_cbranch_execz .LBB32_97
; %bb.96:
	global_store_dword v1, v8, s[2:3]
.LBB32_97:
	s_or_b64 exec, exec, s[0:1]
	v_or_b32_e32 v0, 16, v60
	v_cmp_gt_u32_e64 s[0:1], s5, v0
	s_and_b64 s[4:5], vcc, s[0:1]
	s_and_saveexec_b64 s[0:1], s[4:5]
	s_cbranch_execz .LBB32_99
; %bb.98:
	global_store_dword v1, v9, s[2:3] offset:64
.LBB32_99:
	s_or_b64 exec, exec, s[0:1]
	v_or_b32_e32 v0, 32, v60
	s_movk_i32 s4, 0x78
	v_cmp_gt_u32_e64 s[0:1], s4, v0
	s_and_b64 s[6:7], vcc, s[0:1]
	s_and_saveexec_b64 s[0:1], s[6:7]
	s_cbranch_execz .LBB32_101
; %bb.100:
	global_store_dword v1, v6, s[2:3] offset:128
.LBB32_101:
	s_or_b64 exec, exec, s[0:1]
	v_or_b32_e32 v0, 48, v60
	v_cmp_gt_u32_e64 s[0:1], s4, v0
	s_and_b64 s[4:5], vcc, s[0:1]
	s_and_saveexec_b64 s[0:1], s[4:5]
	s_cbranch_execz .LBB32_103
; %bb.102:
	global_store_dword v1, v7, s[2:3] offset:192
.LBB32_103:
	s_or_b64 exec, exec, s[0:1]
	v_or_b32_e32 v0, 64, v60
	s_movk_i32 s4, 0x78
	v_cmp_gt_u32_e64 s[0:1], s4, v0
	s_and_b64 s[6:7], vcc, s[0:1]
	s_and_saveexec_b64 s[0:1], s[6:7]
	s_cbranch_execz .LBB32_105
; %bb.104:
	global_store_dword v1, v4, s[2:3] offset:256
.LBB32_105:
	;; [unrolled: 19-line block ×3, first 2 shown]
	s_or_b64 exec, exec, s[0:1]
	v_or_b32_e32 v0, 0x70, v60
	v_cmp_gt_u32_e64 s[0:1], s4, v0
	s_and_b64 s[0:1], vcc, s[0:1]
	s_and_b64 exec, exec, s[0:1]
	s_cbranch_execz .LBB32_111
; %bb.110:
	global_store_dword v1, v3, s[2:3] offset:448
.LBB32_111:
	s_endpgm
	.section	.rodata,"a",@progbits
	.p2align	6, 0x0
	.amdhsa_kernel _ZN4vllm25paged_attention_v2_kernelIffLi120ELi16ELi128ELNS_18Fp8KVCacheDataTypeE0ELb1ELi512EEEvPfS2_PT_PKS3_PKT0_S9_ifPKiSB_iPKfiiiSD_SD_iiiii
		.amdhsa_group_segment_fixed_size 496
		.amdhsa_private_segment_fixed_size 0
		.amdhsa_kernarg_size 400
		.amdhsa_user_sgpr_count 2
		.amdhsa_user_sgpr_dispatch_ptr 0
		.amdhsa_user_sgpr_queue_ptr 0
		.amdhsa_user_sgpr_kernarg_segment_ptr 1
		.amdhsa_user_sgpr_dispatch_id 0
		.amdhsa_user_sgpr_kernarg_preload_length 0
		.amdhsa_user_sgpr_kernarg_preload_offset 0
		.amdhsa_user_sgpr_private_segment_size 0
		.amdhsa_uses_dynamic_stack 0
		.amdhsa_enable_private_segment 0
		.amdhsa_system_sgpr_workgroup_id_x 1
		.amdhsa_system_sgpr_workgroup_id_y 1
		.amdhsa_system_sgpr_workgroup_id_z 1
		.amdhsa_system_sgpr_workgroup_info 0
		.amdhsa_system_vgpr_workitem_id 0
		.amdhsa_next_free_vgpr 88
		.amdhsa_next_free_sgpr 53
		.amdhsa_accum_offset 88
		.amdhsa_reserve_vcc 1
		.amdhsa_float_round_mode_32 0
		.amdhsa_float_round_mode_16_64 0
		.amdhsa_float_denorm_mode_32 3
		.amdhsa_float_denorm_mode_16_64 3
		.amdhsa_dx10_clamp 1
		.amdhsa_ieee_mode 1
		.amdhsa_fp16_overflow 0
		.amdhsa_tg_split 0
		.amdhsa_exception_fp_ieee_invalid_op 0
		.amdhsa_exception_fp_denorm_src 0
		.amdhsa_exception_fp_ieee_div_zero 0
		.amdhsa_exception_fp_ieee_overflow 0
		.amdhsa_exception_fp_ieee_underflow 0
		.amdhsa_exception_fp_ieee_inexact 0
		.amdhsa_exception_int_div_zero 0
	.end_amdhsa_kernel
	.section	.text._ZN4vllm25paged_attention_v2_kernelIffLi120ELi16ELi128ELNS_18Fp8KVCacheDataTypeE0ELb1ELi512EEEvPfS2_PT_PKS3_PKT0_S9_ifPKiSB_iPKfiiiSD_SD_iiiii,"axG",@progbits,_ZN4vllm25paged_attention_v2_kernelIffLi120ELi16ELi128ELNS_18Fp8KVCacheDataTypeE0ELb1ELi512EEEvPfS2_PT_PKS3_PKT0_S9_ifPKiSB_iPKfiiiSD_SD_iiiii,comdat
.Lfunc_end32:
	.size	_ZN4vllm25paged_attention_v2_kernelIffLi120ELi16ELi128ELNS_18Fp8KVCacheDataTypeE0ELb1ELi512EEEvPfS2_PT_PKS3_PKT0_S9_ifPKiSB_iPKfiiiSD_SD_iiiii, .Lfunc_end32-_ZN4vllm25paged_attention_v2_kernelIffLi120ELi16ELi128ELNS_18Fp8KVCacheDataTypeE0ELb1ELi512EEEvPfS2_PT_PKS3_PKT0_S9_ifPKiSB_iPKfiiiSD_SD_iiiii
                                        ; -- End function
	.section	.AMDGPU.csdata,"",@progbits
; Kernel info:
; codeLenInByte = 6704
; NumSgprs: 59
; NumVgprs: 88
; NumAgprs: 0
; TotalNumVgprs: 88
; ScratchSize: 0
; MemoryBound: 0
; FloatMode: 240
; IeeeMode: 1
; LDSByteSize: 496 bytes/workgroup (compile time only)
; SGPRBlocks: 7
; VGPRBlocks: 10
; NumSGPRsForWavesPerEU: 59
; NumVGPRsForWavesPerEU: 88
; AccumOffset: 88
; Occupancy: 5
; WaveLimiterHint : 1
; COMPUTE_PGM_RSRC2:SCRATCH_EN: 0
; COMPUTE_PGM_RSRC2:USER_SGPR: 2
; COMPUTE_PGM_RSRC2:TRAP_HANDLER: 0
; COMPUTE_PGM_RSRC2:TGID_X_EN: 1
; COMPUTE_PGM_RSRC2:TGID_Y_EN: 1
; COMPUTE_PGM_RSRC2:TGID_Z_EN: 1
; COMPUTE_PGM_RSRC2:TIDIG_COMP_CNT: 0
; COMPUTE_PGM_RSRC3_GFX90A:ACCUM_OFFSET: 21
; COMPUTE_PGM_RSRC3_GFX90A:TG_SPLIT: 0
	.section	.text._ZN4vllm25paged_attention_v2_kernelIffLi128ELi16ELi128ELNS_18Fp8KVCacheDataTypeE0ELb1ELi512EEEvPfS2_PT_PKS3_PKT0_S9_ifPKiSB_iPKfiiiSD_SD_iiiii,"axG",@progbits,_ZN4vllm25paged_attention_v2_kernelIffLi128ELi16ELi128ELNS_18Fp8KVCacheDataTypeE0ELb1ELi512EEEvPfS2_PT_PKS3_PKT0_S9_ifPKiSB_iPKfiiiSD_SD_iiiii,comdat
	.protected	_ZN4vllm25paged_attention_v2_kernelIffLi128ELi16ELi128ELNS_18Fp8KVCacheDataTypeE0ELb1ELi512EEEvPfS2_PT_PKS3_PKT0_S9_ifPKiSB_iPKfiiiSD_SD_iiiii ; -- Begin function _ZN4vllm25paged_attention_v2_kernelIffLi128ELi16ELi128ELNS_18Fp8KVCacheDataTypeE0ELb1ELi512EEEvPfS2_PT_PKS3_PKT0_S9_ifPKiSB_iPKfiiiSD_SD_iiiii
	.globl	_ZN4vllm25paged_attention_v2_kernelIffLi128ELi16ELi128ELNS_18Fp8KVCacheDataTypeE0ELb1ELi512EEEvPfS2_PT_PKS3_PKT0_S9_ifPKiSB_iPKfiiiSD_SD_iiiii
	.p2align	8
	.type	_ZN4vllm25paged_attention_v2_kernelIffLi128ELi16ELi128ELNS_18Fp8KVCacheDataTypeE0ELb1ELi512EEEvPfS2_PT_PKS3_PKT0_S9_ifPKiSB_iPKfiiiSD_SD_iiiii,@function
_ZN4vllm25paged_attention_v2_kernelIffLi128ELi16ELi128ELNS_18Fp8KVCacheDataTypeE0ELb1ELi512EEEvPfS2_PT_PKS3_PKT0_S9_ifPKiSB_iPKfiiiSD_SD_iiiii: ; @_ZN4vllm25paged_attention_v2_kernelIffLi128ELi16ELi128ELNS_18Fp8KVCacheDataTypeE0ELb1ELi512EEEvPfS2_PT_PKS3_PKT0_S9_ifPKiSB_iPKfiiiSD_SD_iiiii
; %bb.0:
	s_load_dwordx2 s[6:7], s[0:1], 0x40
	s_mov_b32 s28, s3
	s_ashr_i32 s29, s3, 31
	s_lshl_b64 s[8:9], s[28:29], 2
	s_waitcnt lgkmcnt(0)
	s_add_u32 s6, s6, s8
	s_addc_u32 s7, s7, s9
	s_load_dword s29, s[6:7], 0x0
	s_lshl_b32 s50, s4, 9
	s_waitcnt lgkmcnt(0)
	s_cmp_ge_i32 s50, s29
	s_cbranch_scc1 .LBB33_84
; %bb.1:
	s_load_dword s5, s[0:1], 0x90
	s_load_dwordx2 s[38:39], s[0:1], 0x30
	s_waitcnt lgkmcnt(0)
	s_abs_i32 s7, s5
	s_abs_i32 s3, s38
	v_cvt_f32_u32_e32 v1, s3
	s_sub_i32 s8, 0, s3
	s_xor_b32 s6, s5, s38
	s_ashr_i32 s6, s6, 31
	v_rcp_iflag_f32_e32 v1, v1
	s_nop 0
	v_mul_f32_e32 v1, 0x4f7ffffe, v1
	v_cvt_u32_f32_e32 v1, v1
	s_nop 0
	v_readfirstlane_b32 s9, v1
	s_mul_i32 s8, s8, s9
	s_mul_hi_u32 s8, s9, s8
	s_add_i32 s9, s9, s8
	s_mul_hi_u32 s8, s7, s9
	s_mul_i32 s9, s8, s3
	s_sub_i32 s7, s7, s9
	s_add_i32 s10, s8, 1
	s_sub_i32 s9, s7, s3
	s_cmp_ge_u32 s7, s3
	s_cselect_b32 s8, s10, s8
	s_cselect_b32 s7, s9, s7
	s_add_i32 s9, s8, 1
	s_cmp_ge_u32 s7, s3
	s_cselect_b32 s3, s9, s8
	s_xor_b32 s3, s3, s6
	s_sub_i32 s12, s3, s6
	s_abs_i32 s8, s12
	v_cvt_f32_u32_e32 v1, s8
	s_load_dwordx2 s[6:7], s[0:1], 0x50
	s_sub_i32 s10, 0, s8
	s_abs_i32 s9, s2
	v_rcp_iflag_f32_e32 v1, v1
	s_mov_b32 s3, 0
	v_mul_f32_e32 v1, 0x4f7ffffe, v1
	v_cvt_u32_f32_e32 v1, v1
	s_nop 0
	v_readfirstlane_b32 s11, v1
	s_mul_i32 s10, s10, s11
	s_mul_hi_u32 s10, s11, s10
	s_add_i32 s11, s11, s10
	s_waitcnt lgkmcnt(0)
	s_cmp_eq_u64 s[6:7], 0
	s_mul_hi_u32 s10, s9, s11
	s_cbranch_scc1 .LBB33_3
; %bb.2:
	s_ashr_i32 s3, s2, 31
	s_lshl_b64 s[14:15], s[2:3], 2
	s_add_u32 s6, s6, s14
	s_addc_u32 s7, s7, s15
	s_load_dword s3, s[6:7], 0x0
.LBB33_3:
	s_ashr_i32 s16, s12, 31
	s_load_dwordx4 s[12:15], s[0:1], 0x58
	v_lshrrev_b32_e32 v60, 2, v0
	s_movk_i32 s6, 0x80
	s_ashr_i32 s11, s2, 31
	v_and_b32_e32 v61, 3, v0
	s_lshl_b32 s24, s2, 7
	v_cmp_gt_u32_e32 vcc, s6, v0
	v_lshlrev_b32_e32 v10, 2, v0
	v_lshlrev_b32_e32 v1, 2, v60
	s_and_saveexec_b64 s[6:7], vcc
	s_cbranch_execz .LBB33_5
; %bb.4:
	s_load_dwordx2 s[18:19], s[0:1], 0x18
	s_waitcnt lgkmcnt(0)
	s_mul_i32 s20, s28, s12
	s_ashr_i32 s21, s20, 31
	s_lshl_b64 s[20:21], s[20:21], 2
	v_lshl_add_u32 v3, v61, 7, v1
	s_add_u32 s12, s18, s20
	s_addc_u32 s15, s19, s21
	s_ashr_i32 s25, s24, 31
	s_lshl_b64 s[18:19], s[24:25], 2
	s_add_u32 s18, s12, s18
	s_addc_u32 s19, s15, s19
	global_load_dword v2, v10, s[18:19]
	s_waitcnt vmcnt(0)
	ds_write_b32 v3, v2
.LBB33_5:
	s_or_b64 exec, exec, s[6:7]
	s_mul_i32 s7, s10, s8
	s_sub_i32 s7, s9, s7
	s_xor_b32 s6, s11, s16
	s_add_i32 s9, s10, 1
	s_sub_i32 s11, s7, s8
	s_load_dwordx4 s[16:19], s[0:1], 0x78
	s_cmp_ge_u32 s7, s8
	s_cselect_b32 s9, s9, s10
	s_cselect_b32 s7, s11, s7
	s_load_dword s11, s[0:1], 0x88
	s_add_i32 s10, s9, 1
	s_cmp_ge_u32 s7, s8
	s_cselect_b32 s7, s10, s9
	s_waitcnt lgkmcnt(0)
	s_abs_i32 s33, s19
	v_cvt_f32_u32_e32 v2, s33
	s_xor_b32 s7, s7, s6
	s_sub_i32 s10, s7, s6
	s_sub_i32 s6, 0, s33
	v_rcp_iflag_f32_e32 v2, v2
	s_add_i32 s12, s29, -1
	s_abs_i32 s8, s12
	v_mul_f32_e32 v2, 0x4f7ffffe, v2
	v_cvt_u32_f32_e32 v2, v2
	s_barrier
	v_readfirstlane_b32 s46, v2
	s_mul_i32 s6, s6, s46
	s_mul_hi_u32 s6, s46, s6
	s_add_i32 s46, s46, s6
	s_cmp_lt_i32 s11, 0
	s_mul_hi_u32 s9, s8, s46
	s_cbranch_scc0 .LBB33_7
; %bb.6:
	s_mul_i32 s6, s16, s38
	s_add_i32 s6, s10, s6
	s_mul_i32 s6, s6, s11
	s_sub_i32 s47, 1, s6
	s_mov_b64 s[6:7], 0
	s_branch .LBB33_8
.LBB33_7:
	s_mov_b64 s[6:7], -1
                                        ; implicit-def: $sgpr47
.LBB33_8:
	s_load_dwordx2 s[30:31], s[0:1], 0x38
	s_ashr_i32 s12, s12, 31
	s_andn2_b64 vcc, exec, s[6:7]
	s_ashr_i32 s48, s19, 31
	s_cbranch_vccnz .LBB33_10
; %bb.9:
	s_mul_i32 s6, s5, s16
	s_add_i32 s6, s6, s2
	s_mul_i32 s6, s6, s11
	s_add_i32 s47, s6, 1
.LBB33_10:
	s_load_dword s6, s[0:1], 0x48
	s_load_dwordx2 s[36:37], s[0:1], 0x28
	s_load_dword s25, s[0:1], 0x98
	s_load_dwordx4 s[20:23], s[0:1], 0x0
	s_load_dwordx2 s[26:27], s[0:1], 0x10
	s_mul_i32 s7, s9, s33
	s_waitcnt lgkmcnt(0)
	s_mul_i32 s34, s28, s6
	s_sub_i32 s7, s8, s7
	s_ashr_i32 s35, s34, 31
	s_xor_b32 s6, s12, s48
	s_add_i32 s8, s9, 1
	s_sub_i32 s11, s7, s33
	s_cmp_ge_u32 s7, s33
	s_cselect_b32 s8, s8, s9
	s_cselect_b32 s7, s11, s7
	s_add_i32 s9, s8, 1
	s_cmp_ge_u32 s7, s33
	s_cselect_b32 s7, s9, s8
	s_xor_b32 s7, s7, s6
	s_sub_i32 s19, s7, s6
	s_add_i32 s6, s29, 15
	s_ashr_i32 s7, s6, 31
	s_lshr_b32 s7, s7, 28
	s_add_i32 s6, s6, s7
	s_lshl_b32 s12, s4, 5
	s_ashr_i32 s16, s6, 4
	s_add_i32 s6, s12, 32
	v_lshrrev_b32_e32 v11, 6, v0
	s_min_i32 s49, s6, s16
	v_or_b32_e32 v46, s12, v11
	v_cmp_gt_i32_e64 s[8:9], s49, v46
	v_mov_b32_e32 v9, 0xff7fffff
	s_mul_i32 s14, s10, s14
	v_ashrrev_i32_e32 v47, 31, v46
	v_lshl_add_u32 v62, v11, 4, s50
	v_mbcnt_lo_u32_b32 v6, -1, 0
	s_and_saveexec_b64 s[40:41], s[8:9]
	s_cbranch_execz .LBB33_20
; %bb.11:
	s_load_dwordx2 s[0:1], s[0:1], 0x20
	s_ashr_i32 s15, s14, 31
	s_sub_i32 s38, s19, s17
	s_lshl_b64 s[6:7], s[14:15], 2
	v_bfe_u32 v7, v0, 2, 4
	s_waitcnt lgkmcnt(0)
	s_add_u32 s0, s0, s6
	s_addc_u32 s1, s1, s7
	s_abs_i32 s15, s18
	v_cvt_f32_u32_e32 v4, s15
	v_lshlrev_b32_e32 v2, 4, v7
	v_mov_b32_e32 v3, 0
	v_lshlrev_b32_e32 v9, 2, v7
	v_rcp_iflag_f32_e32 v8, v4
	v_lshl_add_u64 v[4:5], s[0:1], 0, v[2:3]
	v_lshlrev_b32_e32 v2, 2, v61
	v_lshl_add_u64 v[2:3], v[4:5], 0, v[2:3]
	v_mul_f32_e32 v4, 0x4f7ffffe, v8
	v_cvt_u32_f32_e32 v4, v4
	s_sub_i32 s0, 0, s15
	v_lshl_or_b32 v9, v11, 6, v9
	v_add_u32_e32 v14, 0x210, v9
	v_mul_lo_u32 v5, s0, v4
	s_lshl_b64 s[0:1], s[34:35], 2
	s_add_u32 s0, s30, s0
	v_subrev_u32_e32 v9, s29, v7
	v_mbcnt_hi_u32_b32 v17, -1, v6
	v_mul_hi_u32 v5, v4, v5
	s_addc_u32 s1, s31, s1
	v_add_u32_e32 v15, 1, v9
	v_and_b32_e32 v9, 64, v17
	v_cmp_eq_u32_e32 vcc, 0, v61
	s_mov_b32 s51, s13
	v_lshlrev_b32_e32 v8, 7, v61
	v_cmp_neq_f32_e64 s[6:7], s3, 0
	v_add_u32_e32 v12, v4, v5
	v_lshl_add_u64 v[4:5], v[46:47], 2, s[0:1]
	v_lshl_add_u32 v13, v11, 4, s50
	s_mov_b64 s[42:43], 0
	v_mov_b32_e32 v16, 0xff7fffff
	s_movk_i32 s52, 0x1000
	v_add_u32_e32 v18, 64, v9
	v_xor_b32_e32 v19, 2, v17
	v_xor_b32_e32 v20, 1, v17
	v_mov_b32_e32 v9, 0xff7fffff
	v_mov_b32_e32 v21, v46
	s_branch .LBB33_14
.LBB33_12:                              ;   in Loop: Header=BB33_14 Depth=1
	s_or_b64 exec, exec, s[44:45]
.LBB33_13:                              ;   in Loop: Header=BB33_14 Depth=1
	s_or_b64 exec, exec, s[10:11]
	v_add_u32_e32 v21, 2, v21
	v_cmp_le_i32_e64 s[0:1], s49, v21
	v_lshl_add_u64 v[4:5], v[4:5], 0, 8
	v_add_u32_e32 v13, 32, v13
	s_or_b64 s[42:43], s[0:1], s[42:43]
	v_add_u32_e32 v14, 0x80, v14
	s_andn2_b64 exec, exec, s[42:43]
	s_cbranch_execz .LBB33_19
.LBB33_14:                              ; =>This Inner Loop Header: Depth=1
	s_waitcnt lgkmcnt(0)
	v_sub_u32_e32 v23, 0, v13
	v_max_i32_e32 v23, v13, v23
	v_mul_hi_u32 v24, v23, s46
	v_mul_lo_u32 v25, v24, s33
	v_sub_u32_e32 v23, v23, v25
	v_add_u32_e32 v25, 1, v24
	v_cmp_le_u32_e64 s[0:1], s33, v23
	v_ashrrev_i32_e32 v22, 31, v13
	v_xor_b32_e32 v22, s48, v22
	v_cndmask_b32_e64 v24, v24, v25, s[0:1]
	v_subrev_u32_e32 v25, s33, v23
	v_cndmask_b32_e64 v23, v23, v25, s[0:1]
	v_add_u32_e32 v25, 1, v24
	v_cmp_le_u32_e64 s[0:1], s33, v23
	s_nop 1
	v_cndmask_b32_e64 v23, v24, v25, s[0:1]
	v_xor_b32_e32 v23, v23, v22
	v_sub_u32_e32 v22, v23, v22
	v_add_u32_e32 v23, s47, v22
	v_sub_u32_e32 v25, 0, v23
	v_ashrrev_i32_e32 v24, 31, v23
	v_max_i32_e32 v23, v23, v25
	v_mul_hi_u32 v25, v23, v12
	v_mul_lo_u32 v25, v25, s15
	v_sub_u32_e32 v23, v23, v25
	v_subrev_u32_e32 v25, s15, v23
	v_cmp_le_u32_e64 s[0:1], s15, v23
	v_cmp_ge_i32_e64 s[10:11], s38, v22
	s_nop 0
	v_cndmask_b32_e64 v23, v23, v25, s[0:1]
	v_subrev_u32_e32 v25, s15, v23
	v_cmp_le_u32_e64 s[0:1], s15, v23
	s_nop 1
	v_cndmask_b32_e64 v23, v23, v25, s[0:1]
	v_xor_b32_e32 v23, v23, v24
	v_sub_u32_e32 v23, v23, v24
	v_cmp_ne_u32_e64 s[0:1], 0, v23
	s_and_b64 s[0:1], s[0:1], s[10:11]
	s_and_b64 s[44:45], vcc, s[0:1]
	s_and_saveexec_b64 s[10:11], s[44:45]
	s_cbranch_execz .LBB33_16
; %bb.15:                               ;   in Loop: Header=BB33_14 Depth=1
	ds_write_b32 v14, v16
.LBB33_16:                              ;   in Loop: Header=BB33_14 Depth=1
	s_or_b64 exec, exec, s[10:11]
	s_xor_b64 s[0:1], s[0:1], -1
	s_and_saveexec_b64 s[10:11], s[0:1]
	s_cbranch_execz .LBB33_13
; %bb.17:                               ;   in Loop: Header=BB33_14 Depth=1
	global_load_dword v22, v[4:5], off
	s_waitcnt vmcnt(0)
	v_mad_i64_i32 v[22:23], s[0:1], v22, s51, 0
	v_lshl_add_u64 v[22:23], v[22:23], 2, v[2:3]
	global_load_dword v56, v[22:23], off offset:512
	global_load_dword v57, v[22:23], off offset:768
	;; [unrolled: 1-line block ×7, first 2 shown]
	global_load_dword v66, v[22:23], off
	global_load_dword v67, v[22:23], off offset:2048
	global_load_dword v68, v[22:23], off offset:2304
	;; [unrolled: 1-line block ×8, first 2 shown]
	v_add_co_u32_e64 v22, s[0:1], s52, v22
	s_nop 1
	v_addc_co_u32_e64 v23, s[0:1], 0, v23, s[0:1]
	global_load_dword v75, v[22:23], off
	global_load_dword v76, v[22:23], off offset:256
	global_load_dword v77, v[22:23], off offset:512
	;; [unrolled: 1-line block ×15, first 2 shown]
	ds_read_b128 v[22:25], v8
	ds_read_b128 v[26:29], v8 offset:16
	ds_read_b128 v[30:33], v8 offset:32
	;; [unrolled: 1-line block ×7, first 2 shown]
	v_cmp_lt_i32_e64 s[0:1], v19, v18
	s_waitcnt vmcnt(25) lgkmcnt(7)
	v_mul_f32_e32 v23, v23, v65
	s_waitcnt vmcnt(24)
	v_fmac_f32_e32 v23, v22, v66
	v_fmac_f32_e32 v23, v24, v56
	;; [unrolled: 1-line block ×3, first 2 shown]
	s_waitcnt lgkmcnt(6)
	v_fmac_f32_e32 v23, v26, v58
	v_fmac_f32_e32 v23, v27, v59
	;; [unrolled: 1-line block ×4, first 2 shown]
	s_waitcnt vmcnt(23) lgkmcnt(5)
	v_fmac_f32_e32 v23, v30, v67
	s_waitcnt vmcnt(22)
	v_fmac_f32_e32 v23, v31, v68
	s_waitcnt vmcnt(21)
	v_fmac_f32_e32 v23, v32, v69
	s_waitcnt vmcnt(20)
	v_fmac_f32_e32 v23, v33, v70
	s_waitcnt vmcnt(19) lgkmcnt(4)
	v_fmac_f32_e32 v23, v34, v71
	s_waitcnt vmcnt(18)
	v_fmac_f32_e32 v23, v35, v72
	s_waitcnt vmcnt(17)
	v_fmac_f32_e32 v23, v36, v73
	s_waitcnt vmcnt(16)
	v_fmac_f32_e32 v23, v37, v74
	;; [unrolled: 8-line block ×5, first 2 shown]
	s_waitcnt vmcnt(3) lgkmcnt(0)
	v_fmac_f32_e32 v23, v52, v87
	s_waitcnt vmcnt(2)
	v_fmac_f32_e32 v23, v53, v88
	v_cndmask_b32_e64 v91, v17, v19, s[0:1]
	s_waitcnt vmcnt(1)
	v_fmac_f32_e32 v23, v54, v89
	v_lshlrev_b32_e32 v22, 2, v91
	s_waitcnt vmcnt(0)
	v_fmac_f32_e32 v23, v55, v90
	ds_bpermute_b32 v22, v22, v23
	v_cmp_lt_i32_e64 s[0:1], v20, v18
	s_waitcnt lgkmcnt(0)
	v_add_f32_e32 v22, v23, v22
	v_cndmask_b32_e64 v24, v17, v20, s[0:1]
	v_lshlrev_b32_e32 v24, 2, v24
	ds_bpermute_b32 v23, v24, v22
	s_and_saveexec_b64 s[44:45], vcc
	s_cbranch_execz .LBB33_12
; %bb.18:                               ;   in Loop: Header=BB33_14 Depth=1
	v_add_u32_e32 v24, v15, v13
	v_cvt_f32_i32_e32 v24, v24
	s_waitcnt lgkmcnt(0)
	v_add_f32_e32 v22, v22, v23
	v_add_u32_e32 v25, v7, v13
	v_cmp_gt_i32_e64 s[0:1], s29, v25
	v_mul_f32_e32 v23, s3, v24
	v_cndmask_b32_e64 v23, 0, v23, s[6:7]
	v_fmac_f32_e32 v23, s39, v22
	v_cndmask_b32_e64 v22, 0, v23, s[0:1]
	ds_write_b32 v14, v22
	v_max_f32_e32 v22, v9, v9
	v_max_f32_e32 v22, v22, v23
	v_cndmask_b32_e64 v9, v9, v22, s[0:1]
	s_branch .LBB33_12
.LBB33_19:
	s_or_b64 exec, exec, s[42:43]
.LBB33_20:
	s_or_b64 exec, exec, s[40:41]
	v_mbcnt_hi_u32_b32 v2, -1, v6
	v_and_b32_e32 v3, 64, v2
	v_add_u32_e32 v3, 64, v3
	v_xor_b32_e32 v4, 32, v2
	v_cmp_lt_i32_e32 vcc, v4, v3
	v_xor_b32_e32 v7, 16, v2
	v_max_f32_e32 v6, v9, v9
	v_cndmask_b32_e32 v4, v2, v4, vcc
	v_lshlrev_b32_e32 v5, 2, v4
	ds_bpermute_b32 v4, v5, v9
	v_cmp_lt_i32_e32 vcc, v7, v3
	v_xor_b32_e32 v8, 8, v2
	v_and_b32_e32 v63, 63, v0
	s_waitcnt lgkmcnt(0)
	v_max_f32_e32 v4, v4, v4
	v_max_f32_e32 v4, v6, v4
	v_cndmask_b32_e32 v6, v2, v7, vcc
	v_lshlrev_b32_e32 v6, 2, v6
	ds_bpermute_b32 v7, v6, v4
	v_cmp_lt_i32_e32 vcc, v8, v3
	s_waitcnt lgkmcnt(0)
	v_max_f32_e32 v7, v7, v7
	v_max_f32_e32 v4, v4, v7
	v_cndmask_b32_e32 v7, v2, v8, vcc
	v_lshlrev_b32_e32 v9, 2, v7
	ds_bpermute_b32 v7, v9, v4
	v_xor_b32_e32 v8, 4, v2
	v_cmp_lt_i32_e32 vcc, v8, v3
	s_waitcnt lgkmcnt(0)
	v_max_f32_e32 v7, v7, v7
	v_max_f32_e32 v4, v4, v7
	v_cndmask_b32_e32 v7, v2, v8, vcc
	v_lshlrev_b32_e32 v12, 2, v7
	ds_bpermute_b32 v8, v12, v4
	v_cmp_eq_u32_e32 vcc, 0, v63
	v_lshlrev_b32_e32 v7, 2, v11
	s_and_saveexec_b64 s[0:1], vcc
	s_cbranch_execz .LBB33_22
; %bb.21:
	s_waitcnt lgkmcnt(0)
	v_max_f32_e32 v8, v8, v8
	v_max_f32_e32 v4, v4, v4
	;; [unrolled: 1-line block ×3, first 2 shown]
	ds_write_b32 v7, v4 offset:512
.LBB33_22:
	s_or_b64 exec, exec, s[0:1]
	v_cmp_gt_u32_e64 s[0:1], 2, v63
	v_mov_b32_e32 v4, 0xff7fffff
	s_waitcnt lgkmcnt(0)
	v_lshlrev_b32_e32 v8, 2, v63
	s_barrier
	s_and_saveexec_b64 s[6:7], s[0:1]
	s_cbranch_execz .LBB33_24
; %bb.23:
	ds_read_b32 v4, v8 offset:512
.LBB33_24:
	s_or_b64 exec, exec, s[6:7]
	v_xor_b32_e32 v13, 1, v2
	v_cmp_lt_i32_e64 s[6:7], v13, v3
	s_sub_i32 s3, s49, s12
	s_lshl_b32 s3, s3, 4
	v_cndmask_b32_e64 v13, v2, v13, s[6:7]
	v_lshlrev_b32_e32 v64, 2, v13
	s_waitcnt lgkmcnt(0)
	ds_bpermute_b32 v13, v64, v4
	v_max_f32_e32 v4, v4, v4
	s_add_i32 s3, s3, s50
	s_min_i32 s12, s3, s29
	s_sub_i32 s3, s12, s50
	s_waitcnt lgkmcnt(0)
	v_max_f32_e32 v13, v13, v13
	v_max_f32_e32 v4, v4, v13
	v_lshlrev_b32_e32 v13, 2, v2
	v_and_b32_e32 v13, 0x100, v13
	ds_bpermute_b32 v4, v13, v4
	v_cmp_gt_i32_e64 s[6:7], s3, v0
	v_mov_b32_e32 v14, 0
	s_and_saveexec_b64 s[38:39], s[6:7]
	s_cbranch_execz .LBB33_28
; %bb.25:
	v_mov_b32_e32 v14, 0x210
	v_lshl_add_u32 v15, v0, 2, v14
	s_mov_b64 s[40:41], 0
	v_mov_b32_e32 v14, 0
	v_mov_b32_e32 v16, v0
.LBB33_26:                              ; =>This Inner Loop Header: Depth=1
	ds_read_b32 v17, v15
	v_add_u32_e32 v16, 0x80, v16
	v_cmp_le_i32_e64 s[10:11], s3, v16
	s_or_b64 s[40:41], s[10:11], s[40:41]
	s_waitcnt lgkmcnt(0)
	v_sub_f32_e32 v17, v17, v4
	v_mul_f32_e32 v17, 0x3fb8aa3b, v17
	v_exp_f32_e32 v17, v17
	ds_write_b32 v15, v17
	v_add_f32_e32 v14, v14, v17
	v_add_u32_e32 v15, 0x200, v15
	s_andn2_b64 exec, exec, s[40:41]
	s_cbranch_execnz .LBB33_26
; %bb.27:
	s_or_b64 exec, exec, s[40:41]
.LBB33_28:
	s_or_b64 exec, exec, s[38:39]
	ds_bpermute_b32 v5, v5, v14
	s_waitcnt lgkmcnt(0)
	v_add_f32_e32 v5, v14, v5
	ds_bpermute_b32 v6, v6, v5
	s_waitcnt lgkmcnt(0)
	v_add_f32_e32 v5, v5, v6
	ds_bpermute_b32 v6, v9, v5
	v_xor_b32_e32 v9, 2, v2
	v_cmp_lt_i32_e64 s[10:11], v9, v3
	s_waitcnt lgkmcnt(0)
	v_add_f32_e32 v5, v5, v6
	ds_bpermute_b32 v6, v12, v5
	v_cndmask_b32_e64 v2, v2, v9, s[10:11]
	v_lshlrev_b32_e32 v65, 2, v2
	s_waitcnt lgkmcnt(0)
	v_add_f32_e32 v3, v5, v6
	ds_bpermute_b32 v2, v65, v3
	s_waitcnt lgkmcnt(0)
	v_add_f32_e32 v2, v3, v2
	ds_bpermute_b32 v3, v64, v2
	s_waitcnt lgkmcnt(0)
	v_add_f32_e32 v2, v2, v3
	s_and_saveexec_b64 s[10:11], vcc
	s_cbranch_execz .LBB33_30
; %bb.29:
	ds_write_b32 v7, v2 offset:520
.LBB33_30:
	s_or_b64 exec, exec, s[10:11]
	s_waitcnt lgkmcnt(0)
	s_barrier
	s_and_saveexec_b64 s[10:11], s[0:1]
	s_cbranch_execz .LBB33_32
; %bb.31:
	ds_read_b32 v2, v8 offset:520
.LBB33_32:
	s_or_b64 exec, exec, s[10:11]
	s_waitcnt lgkmcnt(0)
	ds_bpermute_b32 v3, v64, v2
	s_waitcnt lgkmcnt(0)
	v_add_f32_e32 v2, v2, v3
	ds_bpermute_b32 v5, v13, v2
	s_and_saveexec_b64 s[0:1], s[6:7]
	s_cbranch_execz .LBB33_45
; %bb.33:
	s_waitcnt lgkmcnt(0)
	v_add_f32_e32 v2, 0x358637bd, v5
	v_div_scale_f32 v3, s[6:7], v2, v2, 1.0
	v_rcp_f32_e32 v6, v3
	v_div_scale_f32 v7, vcc, 1.0, v2, 1.0
	s_movk_i32 s6, 0x7f
	v_fma_f32 v8, -v3, v6, 1.0
	v_fmac_f32_e32 v6, v8, v6
	v_mul_f32_e32 v8, v7, v6
	v_fma_f32 v9, -v3, v8, v7
	v_fmac_f32_e32 v8, v9, v6
	v_fma_f32 v3, -v3, v8, v7
	v_div_fmas_f32 v3, v3, v6, v8
	v_div_fixup_f32 v2, v3, v2, 1.0
	v_xad_u32 v3, v0, -1, s12
	v_subrev_u32_e32 v6, s50, v3
	v_cmp_lt_u32_e32 vcc, s6, v6
	s_mov_b64 s[10:11], -1
	v_mov_b32_e32 v3, v0
	s_and_saveexec_b64 s[6:7], vcc
	s_cbranch_execz .LBB33_42
; %bb.34:
	v_lshrrev_b32_e32 v6, 7, v6
	v_add_u32_e32 v8, -1, v6
	v_lshrrev_b32_e32 v7, 1, v8
	v_mov_b32_e32 v3, v2
	v_add_u32_e32 v7, 1, v7
	v_cmp_lt_u32_e32 vcc, 13, v8
	v_mov_b32_e32 v12, 0
	s_and_saveexec_b64 s[10:11], vcc
	s_cbranch_execz .LBB33_38
; %bb.35:
	v_mov_b32_e32 v9, 0x210
	v_and_b32_e32 v8, -8, v7
	v_lshl_add_u32 v9, v0, 2, v9
	s_mov_b32 s12, 0
	s_mov_b64 s[38:39], 0
.LBB33_36:                              ; =>This Inner Loop Header: Depth=1
	ds_read2st64_b32 v[12:13], v9 offset1:2
	ds_read2st64_b32 v[14:15], v9 offset0:4 offset1:6
	ds_read2st64_b32 v[16:17], v9 offset0:8 offset1:10
	;; [unrolled: 1-line block ×3, first 2 shown]
	v_add_u32_e32 v8, -8, v8
	s_waitcnt lgkmcnt(3)
	v_pk_mul_f32 v[12:13], v[2:3], v[12:13]
	s_waitcnt lgkmcnt(2)
	v_pk_mul_f32 v[14:15], v[2:3], v[14:15]
	ds_write2st64_b32 v9, v12, v13 offset1:2
	ds_write2st64_b32 v9, v14, v15 offset0:4 offset1:6
	ds_read2st64_b32 v[14:15], v9 offset0:16 offset1:18
	s_waitcnt lgkmcnt(4)
	v_pk_mul_f32 v[12:13], v[2:3], v[16:17]
	ds_write2st64_b32 v9, v12, v13 offset0:8 offset1:10
	s_waitcnt lgkmcnt(4)
	v_pk_mul_f32 v[12:13], v[2:3], v[18:19]
	ds_write2st64_b32 v9, v12, v13 offset0:12 offset1:14
	ds_read2st64_b32 v[12:13], v9 offset0:20 offset1:22
	s_waitcnt lgkmcnt(3)
	v_pk_mul_f32 v[14:15], v[2:3], v[14:15]
	ds_read2st64_b32 v[16:17], v9 offset0:24 offset1:26
	ds_write2st64_b32 v9, v14, v15 offset0:16 offset1:18
	ds_read2st64_b32 v[14:15], v9 offset0:28 offset1:30
	s_waitcnt lgkmcnt(3)
	v_pk_mul_f32 v[12:13], v[2:3], v[12:13]
	ds_write2st64_b32 v9, v12, v13 offset0:20 offset1:22
	s_waitcnt lgkmcnt(3)
	v_pk_mul_f32 v[12:13], v[2:3], v[16:17]
	ds_write2st64_b32 v9, v12, v13 offset0:24 offset1:26
	s_waitcnt lgkmcnt(2)
	v_pk_mul_f32 v[12:13], v[2:3], v[14:15]
	s_add_i32 s12, s12, 16
	v_cmp_eq_u32_e32 vcc, 0, v8
	ds_write2st64_b32 v9, v12, v13 offset0:28 offset1:30
	v_add_u32_e32 v9, 0x2000, v9
	s_or_b64 s[38:39], vcc, s[38:39]
	v_mov_b32_e32 v12, s12
	s_andn2_b64 exec, exec, s[38:39]
	s_cbranch_execnz .LBB33_36
; %bb.37:
	s_or_b64 exec, exec, s[38:39]
.LBB33_38:
	s_or_b64 exec, exec, s[10:11]
	v_and_b32_e32 v7, 7, v7
	v_cmp_ne_u32_e32 vcc, 0, v7
	s_and_saveexec_b64 s[10:11], vcc
	s_cbranch_execz .LBB33_41
; %bb.39:
	v_lshlrev_b32_e32 v8, 9, v12
	s_movk_i32 s12, 0x210
	v_add3_u32 v8, v8, v10, s12
	s_mov_b64 s[38:39], 0
.LBB33_40:                              ; =>This Inner Loop Header: Depth=1
	ds_read2st64_b32 v[12:13], v8 offset1:2
	v_add_u32_e32 v7, -1, v7
	v_cmp_eq_u32_e32 vcc, 0, v7
	s_or_b64 s[38:39], vcc, s[38:39]
	s_waitcnt lgkmcnt(0)
	v_pk_mul_f32 v[12:13], v[2:3], v[12:13]
	ds_write2st64_b32 v8, v12, v13 offset1:2
	v_add_u32_e32 v8, 0x400, v8
	s_andn2_b64 exec, exec, s[38:39]
	s_cbranch_execnz .LBB33_40
.LBB33_41:
	s_or_b64 exec, exec, s[10:11]
	v_add_u32_e32 v6, 1, v6
	v_and_b32_e32 v7, 0x3fffffe, v6
	v_cmp_ne_u32_e32 vcc, v6, v7
	v_lshl_add_u32 v3, v7, 7, v0
	s_orn2_b64 s[10:11], vcc, exec
.LBB33_42:
	s_or_b64 exec, exec, s[6:7]
	s_and_b64 exec, exec, s[10:11]
	s_cbranch_execz .LBB33_45
; %bb.43:
	v_mov_b32_e32 v6, 0x210
	v_lshl_add_u32 v6, v3, 2, v6
	s_mov_b64 s[6:7], 0
.LBB33_44:                              ; =>This Inner Loop Header: Depth=1
	ds_read_b32 v7, v6
	v_add_u32_e32 v3, 0x80, v3
	v_cmp_le_i32_e32 vcc, s3, v3
	s_or_b64 s[6:7], vcc, s[6:7]
	s_waitcnt lgkmcnt(0)
	v_mul_f32_e32 v7, v2, v7
	ds_write_b32 v6, v7
	v_add_u32_e32 v6, 0x200, v6
	s_andn2_b64 exec, exec, s[6:7]
	s_cbranch_execnz .LBB33_44
.LBB33_45:
	s_or_b64 exec, exec, s[0:1]
	s_mul_i32 s0, s25, s28
	v_cmp_eq_u32_e32 vcc, 0, v0
	s_mul_i32 s6, s0, s5
	s_waitcnt lgkmcnt(0)
	s_barrier
	s_and_saveexec_b64 s[0:1], vcc
	s_cbranch_execz .LBB33_47
; %bb.46:
	s_ashr_i32 s7, s6, 31
	s_lshl_b64 s[10:11], s[6:7], 2
	s_add_u32 s5, s22, s10
	s_mul_i32 s2, s25, s2
	s_addc_u32 s7, s23, s11
	s_ashr_i32 s3, s2, 31
	s_lshl_b64 s[2:3], s[2:3], 2
	s_add_u32 s12, s5, s2
	s_addc_u32 s7, s7, s3
	s_ashr_i32 s5, s4, 31
	s_lshl_b64 s[22:23], s[4:5], 2
	s_add_u32 s38, s12, s22
	s_addc_u32 s39, s7, s23
	s_add_u32 s5, s20, s10
	s_addc_u32 s7, s21, s11
	;; [unrolled: 2-line block ×3, first 2 shown]
	s_add_u32 s2, s2, s22
	v_mov_b32_e32 v2, 0
	s_addc_u32 s3, s3, s23
	global_store_dword v2, v4, s[38:39]
	global_store_dword v2, v5, s[2:3]
.LBB33_47:
	s_or_b64 exec, exec, s[0:1]
	s_mov_b32 s12, 0
	v_mov_b32_e32 v9, 0
	v_mov_b32_e32 v8, 0
	v_mov_b32_e32 v7, 0
	v_mov_b32_e32 v6, 0
	v_mov_b32_e32 v5, 0
	v_mov_b32_e32 v4, 0
	v_mov_b32_e32 v3, 0
	v_mov_b32_e32 v2, 0
	s_and_saveexec_b64 s[2:3], s[8:9]
	s_cbranch_execz .LBB33_69
; %bb.48:
	s_ashr_i32 s15, s14, 31
	s_sub_i32 s5, s19, s17
	s_lshl_b64 s[0:1], s[14:15], 2
	s_add_u32 s8, s36, s0
	s_addc_u32 s9, s37, s1
	s_abs_i32 s7, s18
	v_cvt_f32_u32_e32 v2, s7
	s_sub_i32 s0, 0, s7
	s_add_i32 s21, s16, -1
	v_and_b32_e32 v66, 12, v10
	v_rcp_iflag_f32_e32 v2, v2
	s_mov_b32 s20, s13
	v_and_b32_e32 v10, 0xfc, v10
	s_mov_b32 s13, s12
	v_mul_f32_e32 v2, 0x4f7ffffe, v2
	v_cvt_u32_f32_e32 v2, v2
	v_or_b32_e32 v12, 0x400, v10
	v_or_b32_e32 v14, 0x500, v10
	;; [unrolled: 1-line block ×3, first 2 shown]
	v_mul_lo_u32 v3, s0, v2
	v_mul_hi_u32 v3, v2, v3
	s_lshl_b64 s[0:1], s[34:35], 2
	v_add_u32_e32 v67, v2, v3
	s_add_u32 s0, s30, s0
	v_lshlrev_b32_e32 v2, 4, v61
	s_addc_u32 s1, s31, s1
	v_lshl_or_b32 v2, v11, 6, v2
	v_or_b32_e32 v18, 0x700, v10
	v_lshl_add_u64 v[50:51], v[46:47], 2, s[0:1]
	v_add_u32_e32 v47, 0x210, v2
	s_mov_b32 s14, s12
	s_mov_b32 s15, s12
	;; [unrolled: 1-line block ×6, first 2 shown]
	v_mov_b64_e32 v[2:3], s[12:13]
	v_mov_b32_e32 v49, 0
	s_mov_b64 s[10:11], 0
	v_mov_b64_e32 v[4:5], s[14:15]
	v_mov_b64_e32 v[6:7], s[16:17]
	;; [unrolled: 1-line block ×3, first 2 shown]
	v_lshlrev_b32_e32 v52, 2, v10
	v_lshlrev_b32_e32 v48, 2, v12
	;; [unrolled: 1-line block ×5, first 2 shown]
	s_branch .LBB33_51
.LBB33_49:                              ;   in Loop: Header=BB33_51 Depth=1
	s_or_b64 exec, exec, s[0:1]
	s_waitcnt vmcnt(7) lgkmcnt(0)
	v_mul_f32_e32 v15, v11, v15
	v_fmac_f32_e32 v15, v10, v14
	s_waitcnt vmcnt(6)
	v_mul_f32_e32 v14, v11, v19
	v_fmac_f32_e32 v14, v10, v18
	v_fmac_f32_e32 v14, v12, v20
	v_fmac_f32_e32 v14, v13, v21
	v_add_f32_e32 v3, v3, v14
	s_waitcnt vmcnt(5)
	v_mul_f32_e32 v14, v11, v23
	v_fmac_f32_e32 v14, v10, v22
	v_fmac_f32_e32 v14, v12, v24
	v_fmac_f32_e32 v14, v13, v25
	v_add_f32_e32 v4, v4, v14
	;; [unrolled: 6-line block ×5, first 2 shown]
	s_waitcnt vmcnt(1)
	v_mul_f32_e32 v14, v11, v39
	s_waitcnt vmcnt(0)
	v_mul_f32_e32 v11, v11, v43
	v_fmac_f32_e32 v14, v10, v38
	v_fmac_f32_e32 v11, v10, v42
	;; [unrolled: 1-line block ×8, first 2 shown]
	v_add_f32_e32 v2, v2, v15
	v_add_f32_e32 v8, v8, v14
	;; [unrolled: 1-line block ×3, first 2 shown]
.LBB33_50:                              ;   in Loop: Header=BB33_51 Depth=1
	s_or_b64 exec, exec, s[12:13]
	v_add_u32_e32 v46, 2, v46
	v_cmp_le_i32_e32 vcc, s49, v46
	v_lshl_add_u64 v[50:51], v[50:51], 0, 8
	v_add_u32_e32 v62, 32, v62
	s_or_b64 s[10:11], vcc, s[10:11]
	v_add_u32_e32 v47, 0x80, v47
	s_andn2_b64 exec, exec, s[10:11]
	s_cbranch_execz .LBB33_68
.LBB33_51:                              ; =>This Inner Loop Header: Depth=1
	v_sub_u32_e32 v11, 0, v62
	v_max_i32_e32 v11, v62, v11
	v_mul_hi_u32 v12, v11, s46
	v_mul_lo_u32 v13, v12, s33
	v_sub_u32_e32 v11, v11, v13
	v_add_u32_e32 v13, 1, v12
	v_cmp_le_u32_e32 vcc, s33, v11
	v_ashrrev_i32_e32 v10, 31, v62
	v_xor_b32_e32 v10, s48, v10
	v_cndmask_b32_e32 v12, v12, v13, vcc
	v_subrev_u32_e32 v13, s33, v11
	v_cndmask_b32_e32 v11, v11, v13, vcc
	v_add_u32_e32 v13, 1, v12
	v_cmp_le_u32_e32 vcc, s33, v11
	s_nop 1
	v_cndmask_b32_e32 v11, v12, v13, vcc
	v_xor_b32_e32 v11, v11, v10
	v_sub_u32_e32 v10, v11, v10
	v_add_u32_e32 v11, s47, v10
	v_sub_u32_e32 v13, 0, v11
	v_ashrrev_i32_e32 v12, 31, v11
	v_max_i32_e32 v11, v11, v13
	v_mul_hi_u32 v13, v11, v67
	v_mul_lo_u32 v13, v13, s7
	v_sub_u32_e32 v11, v11, v13
	v_subrev_u32_e32 v13, s7, v11
	v_cmp_le_u32_e32 vcc, s7, v11
	v_cmp_lt_i32_e64 s[0:1], s5, v10
	s_nop 0
	v_cndmask_b32_e32 v11, v11, v13, vcc
	v_subrev_u32_e32 v13, s7, v11
	v_cmp_le_u32_e32 vcc, s7, v11
	s_nop 1
	v_cndmask_b32_e32 v11, v11, v13, vcc
	v_xor_b32_e32 v11, v11, v12
	v_sub_u32_e32 v11, v11, v12
	v_cmp_eq_u32_e32 vcc, 0, v11
	s_or_b64 s[0:1], vcc, s[0:1]
	s_and_saveexec_b64 s[12:13], s[0:1]
	s_cbranch_execz .LBB33_50
; %bb.52:                               ;   in Loop: Header=BB33_51 Depth=1
	global_load_dword v10, v[50:51], off
	v_mov_b32_e32 v53, v49
	v_cmp_eq_u32_e32 vcc, s21, v46
	s_waitcnt vmcnt(0)
	v_mad_i64_i32 v[10:11], s[0:1], v10, s20, 0
	v_lshl_add_u64 v[42:43], v[10:11], 2, s[8:9]
	v_lshl_add_u64 v[26:27], v[42:43], 0, v[52:53]
	global_load_dwordx4 v[14:17], v[26:27], off
	ds_read_b128 v[10:13], v47
	v_add_u32_e32 v53, v66, v62
	v_add_u32_e32 v70, 1, v53
	;; [unrolled: 1-line block ×4, first 2 shown]
	s_and_saveexec_b64 s[14:15], vcc
	s_cbranch_execnz .LBB33_65
; %bb.53:                               ;   in Loop: Header=BB33_51 Depth=1
	s_or_b64 exec, exec, s[14:15]
	global_load_dwordx4 v[18:21], v[26:27], off offset:1024
	s_and_saveexec_b64 s[14:15], vcc
	s_cbranch_execnz .LBB33_66
.LBB33_54:                              ;   in Loop: Header=BB33_51 Depth=1
	s_or_b64 exec, exec, s[14:15]
	global_load_dwordx4 v[22:25], v[26:27], off offset:2048
	s_and_saveexec_b64 s[14:15], vcc
	s_cbranch_execnz .LBB33_67
.LBB33_55:                              ;   in Loop: Header=BB33_51 Depth=1
	s_or_b64 exec, exec, s[14:15]
	global_load_dwordx4 v[26:29], v[26:27], off offset:3072
	s_and_saveexec_b64 s[14:15], vcc
	s_cbranch_execz .LBB33_57
.LBB33_56:                              ;   in Loop: Header=BB33_51 Depth=1
	v_cmp_gt_i32_e64 s[0:1], s29, v53
	s_waitcnt vmcnt(0)
	s_nop 0
	v_cndmask_b32_e64 v26, 0, v26, s[0:1]
	v_cmp_gt_i32_e64 s[0:1], s29, v70
	s_nop 1
	v_cndmask_b32_e64 v27, 0, v27, s[0:1]
	v_cmp_gt_i32_e64 s[0:1], s29, v69
	;; [unrolled: 3-line block ×3, first 2 shown]
	s_nop 1
	v_cndmask_b32_e64 v29, 0, v29, s[0:1]
.LBB33_57:                              ;   in Loop: Header=BB33_51 Depth=1
	s_or_b64 exec, exec, s[14:15]
	v_lshl_add_u64 v[30:31], v[42:43], 0, v[48:49]
	global_load_dwordx4 v[30:33], v[30:31], off
	s_and_saveexec_b64 s[14:15], vcc
	s_cbranch_execz .LBB33_59
; %bb.58:                               ;   in Loop: Header=BB33_51 Depth=1
	v_cmp_gt_i32_e64 s[0:1], s29, v53
	s_waitcnt vmcnt(0)
	s_nop 0
	v_cndmask_b32_e64 v30, 0, v30, s[0:1]
	v_cmp_gt_i32_e64 s[0:1], s29, v70
	s_nop 1
	v_cndmask_b32_e64 v31, 0, v31, s[0:1]
	v_cmp_gt_i32_e64 s[0:1], s29, v69
	s_nop 1
	v_cndmask_b32_e64 v32, 0, v32, s[0:1]
	v_cmp_gt_i32_e64 s[0:1], s29, v68
	s_nop 1
	v_cndmask_b32_e64 v33, 0, v33, s[0:1]
.LBB33_59:                              ;   in Loop: Header=BB33_51 Depth=1
	s_or_b64 exec, exec, s[14:15]
	v_mov_b32_e32 v55, v49
	v_lshl_add_u64 v[34:35], v[42:43], 0, v[54:55]
	global_load_dwordx4 v[34:37], v[34:35], off
	s_and_saveexec_b64 s[14:15], vcc
	s_cbranch_execz .LBB33_61
; %bb.60:                               ;   in Loop: Header=BB33_51 Depth=1
	v_cmp_gt_i32_e64 s[0:1], s29, v53
	s_waitcnt vmcnt(0)
	s_nop 0
	v_cndmask_b32_e64 v34, 0, v34, s[0:1]
	v_cmp_gt_i32_e64 s[0:1], s29, v70
	s_nop 1
	v_cndmask_b32_e64 v35, 0, v35, s[0:1]
	v_cmp_gt_i32_e64 s[0:1], s29, v69
	s_nop 1
	v_cndmask_b32_e64 v36, 0, v36, s[0:1]
	v_cmp_gt_i32_e64 s[0:1], s29, v68
	s_nop 1
	v_cndmask_b32_e64 v37, 0, v37, s[0:1]
.LBB33_61:                              ;   in Loop: Header=BB33_51 Depth=1
	s_or_b64 exec, exec, s[14:15]
	v_mov_b32_e32 v57, v49
	;; [unrolled: 21-line block ×3, first 2 shown]
	v_lshl_add_u64 v[42:43], v[42:43], 0, v[58:59]
	global_load_dwordx4 v[42:45], v[42:43], off
	s_and_saveexec_b64 s[0:1], vcc
	s_cbranch_execz .LBB33_49
; %bb.64:                               ;   in Loop: Header=BB33_51 Depth=1
	v_cmp_gt_i32_e32 vcc, s29, v53
	s_waitcnt vmcnt(0)
	s_nop 0
	v_cndmask_b32_e32 v42, 0, v42, vcc
	v_cmp_gt_i32_e32 vcc, s29, v70
	s_nop 1
	v_cndmask_b32_e32 v43, 0, v43, vcc
	v_cmp_gt_i32_e32 vcc, s29, v69
	;; [unrolled: 3-line block ×3, first 2 shown]
	s_nop 1
	v_cndmask_b32_e32 v45, 0, v45, vcc
	s_branch .LBB33_49
.LBB33_65:                              ;   in Loop: Header=BB33_51 Depth=1
	v_cmp_gt_i32_e64 s[0:1], s29, v53
	s_waitcnt vmcnt(0)
	s_nop 0
	v_cndmask_b32_e64 v14, 0, v14, s[0:1]
	v_cmp_gt_i32_e64 s[0:1], s29, v70
	s_nop 1
	v_cndmask_b32_e64 v15, 0, v15, s[0:1]
	v_cmp_gt_i32_e64 s[0:1], s29, v69
	;; [unrolled: 3-line block ×3, first 2 shown]
	s_nop 1
	v_cndmask_b32_e64 v17, 0, v17, s[0:1]
	s_or_b64 exec, exec, s[14:15]
	global_load_dwordx4 v[18:21], v[26:27], off offset:1024
	s_and_saveexec_b64 s[14:15], vcc
	s_cbranch_execz .LBB33_54
.LBB33_66:                              ;   in Loop: Header=BB33_51 Depth=1
	v_cmp_gt_i32_e64 s[0:1], s29, v53
	s_waitcnt vmcnt(0)
	s_nop 0
	v_cndmask_b32_e64 v18, 0, v18, s[0:1]
	v_cmp_gt_i32_e64 s[0:1], s29, v70
	s_nop 1
	v_cndmask_b32_e64 v19, 0, v19, s[0:1]
	v_cmp_gt_i32_e64 s[0:1], s29, v69
	;; [unrolled: 3-line block ×3, first 2 shown]
	s_nop 1
	v_cndmask_b32_e64 v21, 0, v21, s[0:1]
	s_or_b64 exec, exec, s[14:15]
	global_load_dwordx4 v[22:25], v[26:27], off offset:2048
	s_and_saveexec_b64 s[14:15], vcc
	s_cbranch_execz .LBB33_55
.LBB33_67:                              ;   in Loop: Header=BB33_51 Depth=1
	v_cmp_gt_i32_e64 s[0:1], s29, v53
	s_waitcnt vmcnt(0)
	s_nop 0
	v_cndmask_b32_e64 v22, 0, v22, s[0:1]
	v_cmp_gt_i32_e64 s[0:1], s29, v70
	s_nop 1
	v_cndmask_b32_e64 v23, 0, v23, s[0:1]
	v_cmp_gt_i32_e64 s[0:1], s29, v69
	;; [unrolled: 3-line block ×3, first 2 shown]
	s_nop 1
	v_cndmask_b32_e64 v25, 0, v25, s[0:1]
	s_or_b64 exec, exec, s[14:15]
	global_load_dwordx4 v[26:29], v[26:27], off offset:3072
	s_and_saveexec_b64 s[14:15], vcc
	s_cbranch_execnz .LBB33_56
	s_branch .LBB33_57
.LBB33_68:
	s_or_b64 exec, exec, s[10:11]
.LBB33_69:
	s_or_b64 exec, exec, s[2:3]
	ds_bpermute_b32 v12, v65, v4
	ds_bpermute_b32 v13, v65, v5
	;; [unrolled: 1-line block ×6, first 2 shown]
	s_waitcnt lgkmcnt(4)
	v_pk_add_f32 v[4:5], v[4:5], v[12:13]
	ds_bpermute_b32 v12, v65, v6
	ds_bpermute_b32 v13, v65, v7
	s_waitcnt lgkmcnt(4)
	v_pk_add_f32 v[2:3], v[2:3], v[10:11]
	ds_bpermute_b32 v10, v64, v2
	ds_bpermute_b32 v11, v64, v3
	s_waitcnt lgkmcnt(4)
	v_pk_add_f32 v[16:17], v[8:9], v[16:17]
	s_waitcnt lgkmcnt(2)
	v_pk_add_f32 v[12:13], v[6:7], v[12:13]
	ds_bpermute_b32 v14, v64, v4
	ds_bpermute_b32 v15, v64, v5
	ds_bpermute_b32 v18, v64, v12
	ds_bpermute_b32 v19, v64, v13
	ds_bpermute_b32 v20, v64, v16
	ds_bpermute_b32 v21, v64, v17
	s_waitcnt lgkmcnt(6)
	v_pk_add_f32 v[8:9], v[2:3], v[10:11]
	v_and_b32_e32 v10, 0x3c3, v0
	s_waitcnt lgkmcnt(4)
	v_pk_add_f32 v[6:7], v[4:5], v[14:15]
	s_waitcnt lgkmcnt(2)
	v_pk_add_f32 v[2:3], v[12:13], v[18:19]
	s_waitcnt lgkmcnt(0)
	v_pk_add_f32 v[4:5], v[16:17], v[20:21]
	v_cmp_eq_u32_e32 vcc, 64, v10
	s_barrier
	s_and_saveexec_b64 s[0:1], vcc
	s_cbranch_execz .LBB33_71
; %bb.70:
	v_add_u32_e32 v11, 0x210, v63
	ds_write2_b32 v11, v8, v9 offset1:16
	ds_write2_b32 v11, v6, v7 offset0:32 offset1:48
	ds_write2_b32 v11, v2, v3 offset0:64 offset1:80
	ds_write2_b32 v11, v4, v5 offset0:96 offset1:112
.LBB33_71:
	s_or_b64 exec, exec, s[0:1]
	v_cmp_gt_u32_e32 vcc, 64, v0
	s_waitcnt lgkmcnt(0)
	s_barrier
	s_and_saveexec_b64 s[0:1], vcc
	s_cbranch_execz .LBB33_82
; %bb.72:
	v_cmp_eq_u32_e32 vcc, 0, v61
	s_and_saveexec_b64 s[2:3], vcc
	s_cbranch_execnz .LBB33_85
; %bb.73:
	s_or_b64 exec, exec, s[2:3]
	s_and_saveexec_b64 s[2:3], vcc
	s_cbranch_execnz .LBB33_86
.LBB33_74:
	s_or_b64 exec, exec, s[2:3]
	s_and_saveexec_b64 s[2:3], vcc
	s_cbranch_execnz .LBB33_87
.LBB33_75:
	s_or_b64 exec, exec, s[2:3]
	s_and_saveexec_b64 s[2:3], vcc
	s_cbranch_execnz .LBB33_88
.LBB33_76:
	s_or_b64 exec, exec, s[2:3]
	s_and_saveexec_b64 s[2:3], vcc
	s_cbranch_execnz .LBB33_89
.LBB33_77:
	s_or_b64 exec, exec, s[2:3]
	s_and_saveexec_b64 s[2:3], vcc
	s_cbranch_execnz .LBB33_90
.LBB33_78:
	s_or_b64 exec, exec, s[2:3]
	s_and_saveexec_b64 s[2:3], vcc
	s_cbranch_execnz .LBB33_91
.LBB33_79:
	s_or_b64 exec, exec, s[2:3]
	s_and_saveexec_b64 s[2:3], vcc
	s_cbranch_execz .LBB33_81
.LBB33_80:
	v_mov_b32_e32 v0, 0x210
	v_lshl_add_u32 v0, v60, 2, v0
	ds_read_b32 v0, v0 offset:448
	s_waitcnt lgkmcnt(0)
	v_add_f32_e32 v5, v5, v0
.LBB33_81:
	s_or_b64 exec, exec, s[2:3]
.LBB33_82:
	s_or_b64 exec, exec, s[0:1]
	v_cmp_eq_u32_e32 vcc, 0, v10
	s_barrier
	s_and_saveexec_b64 s[0:1], vcc
	s_cbranch_execz .LBB33_84
; %bb.83:
	s_lshl_b32 s0, s6, 7
	s_ashr_i32 s1, s0, 31
	s_lshl_b64 s[0:1], s[0:1], 2
	s_add_u32 s2, s26, s0
	s_mul_i32 s0, s25, s24
	s_addc_u32 s3, s27, s1
	s_ashr_i32 s1, s0, 31
	s_lshl_b64 s[0:1], s[0:1], 2
	s_add_u32 s2, s2, s0
	s_addc_u32 s3, s3, s1
	s_lshl_b32 s0, s4, 7
	s_ashr_i32 s1, s0, 31
	s_lshl_b64 s[0:1], s[0:1], 2
	s_add_u32 s0, s2, s0
	s_addc_u32 s1, s3, s1
	global_store_dword v1, v8, s[0:1]
	global_store_dword v1, v9, s[0:1] offset:64
	global_store_dword v1, v6, s[0:1] offset:128
	;; [unrolled: 1-line block ×7, first 2 shown]
.LBB33_84:
	s_endpgm
.LBB33_85:
	v_mov_b32_e32 v0, 0x210
	v_lshl_add_u32 v0, v60, 2, v0
	ds_read_b32 v0, v0
	s_waitcnt lgkmcnt(0)
	v_add_f32_e32 v8, v8, v0
	s_or_b64 exec, exec, s[2:3]
	s_and_saveexec_b64 s[2:3], vcc
	s_cbranch_execz .LBB33_74
.LBB33_86:
	v_mov_b32_e32 v0, 0x210
	v_lshl_add_u32 v0, v60, 2, v0
	ds_read_b32 v0, v0 offset:64
	s_waitcnt lgkmcnt(0)
	v_add_f32_e32 v9, v9, v0
	s_or_b64 exec, exec, s[2:3]
	s_and_saveexec_b64 s[2:3], vcc
	s_cbranch_execz .LBB33_75
.LBB33_87:
	v_mov_b32_e32 v0, 0x210
	v_lshl_add_u32 v0, v60, 2, v0
	ds_read_b32 v0, v0 offset:128
	s_waitcnt lgkmcnt(0)
	v_add_f32_e32 v6, v6, v0
	s_or_b64 exec, exec, s[2:3]
	s_and_saveexec_b64 s[2:3], vcc
	s_cbranch_execz .LBB33_76
.LBB33_88:
	v_mov_b32_e32 v0, 0x210
	v_lshl_add_u32 v0, v60, 2, v0
	ds_read_b32 v0, v0 offset:192
	s_waitcnt lgkmcnt(0)
	v_add_f32_e32 v7, v7, v0
	s_or_b64 exec, exec, s[2:3]
	s_and_saveexec_b64 s[2:3], vcc
	s_cbranch_execz .LBB33_77
.LBB33_89:
	v_mov_b32_e32 v0, 0x210
	v_lshl_add_u32 v0, v60, 2, v0
	ds_read_b32 v0, v0 offset:256
	s_waitcnt lgkmcnt(0)
	v_add_f32_e32 v2, v2, v0
	s_or_b64 exec, exec, s[2:3]
	s_and_saveexec_b64 s[2:3], vcc
	s_cbranch_execz .LBB33_78
.LBB33_90:
	v_mov_b32_e32 v0, 0x210
	v_lshl_add_u32 v0, v60, 2, v0
	ds_read_b32 v0, v0 offset:320
	s_waitcnt lgkmcnt(0)
	v_add_f32_e32 v3, v3, v0
	s_or_b64 exec, exec, s[2:3]
	s_and_saveexec_b64 s[2:3], vcc
	s_cbranch_execz .LBB33_79
.LBB33_91:
	v_mov_b32_e32 v0, 0x210
	v_lshl_add_u32 v0, v60, 2, v0
	ds_read_b32 v0, v0 offset:384
	s_waitcnt lgkmcnt(0)
	v_add_f32_e32 v4, v4, v0
	s_or_b64 exec, exec, s[2:3]
	s_and_saveexec_b64 s[2:3], vcc
	s_cbranch_execnz .LBB33_80
	s_branch .LBB33_81
	.section	.rodata,"a",@progbits
	.p2align	6, 0x0
	.amdhsa_kernel _ZN4vllm25paged_attention_v2_kernelIffLi128ELi16ELi128ELNS_18Fp8KVCacheDataTypeE0ELb1ELi512EEEvPfS2_PT_PKS3_PKT0_S9_ifPKiSB_iPKfiiiSD_SD_iiiii
		.amdhsa_group_segment_fixed_size 528
		.amdhsa_private_segment_fixed_size 0
		.amdhsa_kernarg_size 400
		.amdhsa_user_sgpr_count 2
		.amdhsa_user_sgpr_dispatch_ptr 0
		.amdhsa_user_sgpr_queue_ptr 0
		.amdhsa_user_sgpr_kernarg_segment_ptr 1
		.amdhsa_user_sgpr_dispatch_id 0
		.amdhsa_user_sgpr_kernarg_preload_length 0
		.amdhsa_user_sgpr_kernarg_preload_offset 0
		.amdhsa_user_sgpr_private_segment_size 0
		.amdhsa_uses_dynamic_stack 0
		.amdhsa_enable_private_segment 0
		.amdhsa_system_sgpr_workgroup_id_x 1
		.amdhsa_system_sgpr_workgroup_id_y 1
		.amdhsa_system_sgpr_workgroup_id_z 1
		.amdhsa_system_sgpr_workgroup_info 0
		.amdhsa_system_vgpr_workitem_id 0
		.amdhsa_next_free_vgpr 92
		.amdhsa_next_free_sgpr 53
		.amdhsa_accum_offset 92
		.amdhsa_reserve_vcc 1
		.amdhsa_float_round_mode_32 0
		.amdhsa_float_round_mode_16_64 0
		.amdhsa_float_denorm_mode_32 3
		.amdhsa_float_denorm_mode_16_64 3
		.amdhsa_dx10_clamp 1
		.amdhsa_ieee_mode 1
		.amdhsa_fp16_overflow 0
		.amdhsa_tg_split 0
		.amdhsa_exception_fp_ieee_invalid_op 0
		.amdhsa_exception_fp_denorm_src 0
		.amdhsa_exception_fp_ieee_div_zero 0
		.amdhsa_exception_fp_ieee_overflow 0
		.amdhsa_exception_fp_ieee_underflow 0
		.amdhsa_exception_fp_ieee_inexact 0
		.amdhsa_exception_int_div_zero 0
	.end_amdhsa_kernel
	.section	.text._ZN4vllm25paged_attention_v2_kernelIffLi128ELi16ELi128ELNS_18Fp8KVCacheDataTypeE0ELb1ELi512EEEvPfS2_PT_PKS3_PKT0_S9_ifPKiSB_iPKfiiiSD_SD_iiiii,"axG",@progbits,_ZN4vllm25paged_attention_v2_kernelIffLi128ELi16ELi128ELNS_18Fp8KVCacheDataTypeE0ELb1ELi512EEEvPfS2_PT_PKS3_PKT0_S9_ifPKiSB_iPKfiiiSD_SD_iiiii,comdat
.Lfunc_end33:
	.size	_ZN4vllm25paged_attention_v2_kernelIffLi128ELi16ELi128ELNS_18Fp8KVCacheDataTypeE0ELb1ELi512EEEvPfS2_PT_PKS3_PKT0_S9_ifPKiSB_iPKfiiiSD_SD_iiiii, .Lfunc_end33-_ZN4vllm25paged_attention_v2_kernelIffLi128ELi16ELi128ELNS_18Fp8KVCacheDataTypeE0ELb1ELi512EEEvPfS2_PT_PKS3_PKT0_S9_ifPKiSB_iPKfiiiSD_SD_iiiii
                                        ; -- End function
	.section	.AMDGPU.csdata,"",@progbits
; Kernel info:
; codeLenInByte = 6204
; NumSgprs: 59
; NumVgprs: 92
; NumAgprs: 0
; TotalNumVgprs: 92
; ScratchSize: 0
; MemoryBound: 0
; FloatMode: 240
; IeeeMode: 1
; LDSByteSize: 528 bytes/workgroup (compile time only)
; SGPRBlocks: 7
; VGPRBlocks: 11
; NumSGPRsForWavesPerEU: 59
; NumVGPRsForWavesPerEU: 92
; AccumOffset: 92
; Occupancy: 5
; WaveLimiterHint : 1
; COMPUTE_PGM_RSRC2:SCRATCH_EN: 0
; COMPUTE_PGM_RSRC2:USER_SGPR: 2
; COMPUTE_PGM_RSRC2:TRAP_HANDLER: 0
; COMPUTE_PGM_RSRC2:TGID_X_EN: 1
; COMPUTE_PGM_RSRC2:TGID_Y_EN: 1
; COMPUTE_PGM_RSRC2:TGID_Z_EN: 1
; COMPUTE_PGM_RSRC2:TIDIG_COMP_CNT: 0
; COMPUTE_PGM_RSRC3_GFX90A:ACCUM_OFFSET: 22
; COMPUTE_PGM_RSRC3_GFX90A:TG_SPLIT: 0
	.section	.text._ZN4vllm25paged_attention_v2_kernelIffLi192ELi16ELi128ELNS_18Fp8KVCacheDataTypeE0ELb1ELi512EEEvPfS2_PT_PKS3_PKT0_S9_ifPKiSB_iPKfiiiSD_SD_iiiii,"axG",@progbits,_ZN4vllm25paged_attention_v2_kernelIffLi192ELi16ELi128ELNS_18Fp8KVCacheDataTypeE0ELb1ELi512EEEvPfS2_PT_PKS3_PKT0_S9_ifPKiSB_iPKfiiiSD_SD_iiiii,comdat
	.protected	_ZN4vllm25paged_attention_v2_kernelIffLi192ELi16ELi128ELNS_18Fp8KVCacheDataTypeE0ELb1ELi512EEEvPfS2_PT_PKS3_PKT0_S9_ifPKiSB_iPKfiiiSD_SD_iiiii ; -- Begin function _ZN4vllm25paged_attention_v2_kernelIffLi192ELi16ELi128ELNS_18Fp8KVCacheDataTypeE0ELb1ELi512EEEvPfS2_PT_PKS3_PKT0_S9_ifPKiSB_iPKfiiiSD_SD_iiiii
	.globl	_ZN4vllm25paged_attention_v2_kernelIffLi192ELi16ELi128ELNS_18Fp8KVCacheDataTypeE0ELb1ELi512EEEvPfS2_PT_PKS3_PKT0_S9_ifPKiSB_iPKfiiiSD_SD_iiiii
	.p2align	8
	.type	_ZN4vllm25paged_attention_v2_kernelIffLi192ELi16ELi128ELNS_18Fp8KVCacheDataTypeE0ELb1ELi512EEEvPfS2_PT_PKS3_PKT0_S9_ifPKiSB_iPKfiiiSD_SD_iiiii,@function
_ZN4vllm25paged_attention_v2_kernelIffLi192ELi16ELi128ELNS_18Fp8KVCacheDataTypeE0ELb1ELi512EEEvPfS2_PT_PKS3_PKT0_S9_ifPKiSB_iPKfiiiSD_SD_iiiii: ; @_ZN4vllm25paged_attention_v2_kernelIffLi192ELi16ELi128ELNS_18Fp8KVCacheDataTypeE0ELb1ELi512EEEvPfS2_PT_PKS3_PKT0_S9_ifPKiSB_iPKfiiiSD_SD_iiiii
; %bb.0:
	s_load_dwordx2 s[6:7], s[0:1], 0x40
	s_mov_b32 s36, s3
	s_ashr_i32 s37, s3, 31
	s_lshl_b64 s[8:9], s[36:37], 2
	s_waitcnt lgkmcnt(0)
	s_add_u32 s6, s6, s8
	s_addc_u32 s7, s7, s9
	s_load_dword s37, s[6:7], 0x0
	s_lshl_b32 s49, s4, 9
	s_waitcnt lgkmcnt(0)
	s_cmp_ge_i32 s49, s37
	s_cbranch_scc1 .LBB34_98
; %bb.1:
	s_load_dword s5, s[0:1], 0x90
	s_load_dwordx2 s[40:41], s[0:1], 0x30
	s_waitcnt lgkmcnt(0)
	s_abs_i32 s7, s5
	s_abs_i32 s3, s40
	v_cvt_f32_u32_e32 v1, s3
	s_sub_i32 s8, 0, s3
	s_xor_b32 s6, s5, s40
	s_ashr_i32 s6, s6, 31
	v_rcp_iflag_f32_e32 v1, v1
	s_nop 0
	v_mul_f32_e32 v1, 0x4f7ffffe, v1
	v_cvt_u32_f32_e32 v1, v1
	s_nop 0
	v_readfirstlane_b32 s9, v1
	s_mul_i32 s8, s8, s9
	s_mul_hi_u32 s8, s9, s8
	s_add_i32 s9, s9, s8
	s_mul_hi_u32 s8, s7, s9
	s_mul_i32 s9, s8, s3
	s_sub_i32 s7, s7, s9
	s_add_i32 s10, s8, 1
	s_sub_i32 s9, s7, s3
	s_cmp_ge_u32 s7, s3
	s_cselect_b32 s8, s10, s8
	s_cselect_b32 s7, s9, s7
	s_add_i32 s9, s8, 1
	s_cmp_ge_u32 s7, s3
	s_cselect_b32 s3, s9, s8
	s_xor_b32 s3, s3, s6
	s_sub_i32 s24, s3, s6
	s_abs_i32 s38, s24
	v_cvt_f32_u32_e32 v1, s38
	s_load_dwordx2 s[6:7], s[0:1], 0x50
	s_sub_i32 s3, 0, s38
	s_abs_i32 s25, s2
	v_rcp_iflag_f32_e32 v1, v1
	s_nop 0
	v_mul_f32_e32 v1, 0x4f7ffffe, v1
	v_cvt_u32_f32_e32 v1, v1
	s_nop 0
	v_readfirstlane_b32 s8, v1
	s_mul_i32 s3, s3, s8
	s_mul_hi_u32 s3, s8, s3
	s_add_i32 s8, s8, s3
	s_waitcnt lgkmcnt(0)
	s_cmp_eq_u64 s[6:7], 0
	s_mov_b32 s3, 0
	s_cbranch_scc1 .LBB34_3
; %bb.2:
	s_ashr_i32 s3, s2, 31
	s_lshl_b64 s[10:11], s[2:3], 2
	s_add_u32 s6, s6, s10
	s_addc_u32 s7, s7, s11
	s_load_dword s3, s[6:7], 0x0
.LBB34_3:
	s_load_dwordx4 s[20:23], s[0:1], 0x0
	s_load_dwordx2 s[28:29], s[0:1], 0x10
	s_load_dwordx4 s[12:15], s[0:1], 0x20
	s_load_dwordx2 s[34:35], s[0:1], 0x38
	s_load_dword s33, s[0:1], 0x98
	s_load_dwordx4 s[16:19], s[0:1], 0x58
	s_mul_hi_u32 s26, s25, s8
	v_lshrrev_b32_e32 v88, 2, v0
	s_movk_i32 s8, 0xc0
	s_mul_i32 s30, s2, 0xc0
	v_and_b32_e32 v89, 3, v0
	s_ashr_i32 s31, s30, 31
	v_cmp_gt_u32_e32 vcc, s8, v0
	v_lshlrev_b32_e32 v1, 2, v88
	s_and_saveexec_b64 s[6:7], vcc
	s_cbranch_execz .LBB34_6
; %bb.4:
	s_load_dwordx2 s[10:11], s[0:1], 0x18
	s_waitcnt lgkmcnt(0)
	s_mul_i32 s42, s36, s16
	s_ashr_i32 s43, s42, 31
	v_mad_u32_u24 v5, v89, s8, v1
	s_lshl_b64 s[8:9], s[42:43], 2
	s_lshl_b64 s[42:43], s[30:31], 2
	s_add_u32 s8, s8, s42
	s_addc_u32 s9, s9, s43
	v_or_b32_e32 v2, v1, v89
	s_add_u32 s8, s10, s8
	v_lshlrev_b32_e32 v2, 2, v2
	v_mov_b32_e32 v3, 0
	s_addc_u32 s9, s11, s9
	v_subrev_u32_e32 v4, 32, v88
	v_lshl_add_u64 v[2:3], s[8:9], 0, v[2:3]
	s_mov_b64 s[8:9], 0
	s_mov_b64 s[10:11], 0x200
.LBB34_5:                               ; =>This Inner Loop Header: Depth=1
	global_load_dword v6, v[2:3], off
	v_add_u32_e32 v4, 32, v4
	v_cmp_lt_u32_e32 vcc, 15, v4
	v_lshl_add_u64 v[2:3], v[2:3], 0, s[10:11]
	s_or_b64 s[8:9], vcc, s[8:9]
	s_waitcnt vmcnt(0)
	ds_write_b32 v5, v6
	v_add_u32_e32 v5, 0x80, v5
	s_andn2_b64 exec, exec, s[8:9]
	s_cbranch_execnz .LBB34_5
.LBB34_6:
	s_or_b64 exec, exec, s[6:7]
	s_ashr_i32 s6, s2, 31
	s_ashr_i32 s7, s24, 31
	s_xor_b32 s6, s6, s7
	s_mul_i32 s7, s26, s38
	s_sub_i32 s7, s25, s7
	s_add_i32 s8, s26, 1
	s_sub_i32 s9, s7, s38
	s_cmp_ge_u32 s7, s38
	s_cselect_b32 s8, s8, s26
	s_load_dwordx4 s[24:27], s[0:1], 0x78
	s_cselect_b32 s7, s9, s7
	s_add_i32 s9, s8, 1
	s_cmp_ge_u32 s7, s38
	s_cselect_b32 s7, s9, s8
	s_load_dword s9, s[0:1], 0x88
	s_waitcnt lgkmcnt(0)
	s_abs_i32 s16, s27
	v_cvt_f32_u32_e32 v2, s16
	s_xor_b32 s7, s7, s6
	s_sub_i32 s8, s7, s6
	s_sub_i32 s6, 0, s16
	v_rcp_iflag_f32_e32 v2, v2
	s_add_i32 s19, s37, -1
	s_abs_i32 s10, s19
	v_mul_f32_e32 v2, 0x4f7ffffe, v2
	v_cvt_u32_f32_e32 v2, v2
	s_barrier
	v_readfirstlane_b32 s31, v2
	s_mul_i32 s6, s6, s31
	s_mul_hi_u32 s6, s31, s6
	s_add_i32 s31, s31, s6
	s_cmp_lt_i32 s9, 0
	s_mul_hi_u32 s11, s10, s31
	s_cbranch_scc0 .LBB34_8
; %bb.7:
	s_mul_i32 s6, s24, s40
	s_add_i32 s6, s8, s6
	s_mul_i32 s6, s6, s9
	s_sub_i32 s46, 1, s6
	s_ashr_i32 s19, s19, 31
	s_ashr_i32 s27, s27, 31
	s_cbranch_execz .LBB34_9
	s_branch .LBB34_10
.LBB34_8:
                                        ; implicit-def: $sgpr46
	s_ashr_i32 s19, s19, 31
	s_ashr_i32 s27, s27, 31
.LBB34_9:
	s_mul_i32 s6, s5, s24
	s_add_i32 s6, s6, s2
	s_mul_i32 s6, s6, s9
	s_add_i32 s46, s6, 1
.LBB34_10:
	s_load_dword s0, s[0:1], 0x48
	s_mul_i32 s6, s11, s16
	s_sub_i32 s6, s10, s6
	s_xor_b32 s1, s19, s27
	s_add_i32 s7, s11, 1
	s_waitcnt lgkmcnt(0)
	s_mul_i32 s38, s36, s0
	s_ashr_i32 s39, s38, 31
	s_sub_i32 s0, s6, s16
	s_cmp_ge_u32 s6, s16
	s_cselect_b32 s7, s7, s11
	s_cselect_b32 s0, s0, s6
	s_add_i32 s6, s7, 1
	s_cmp_ge_u32 s0, s16
	s_cselect_b32 s0, s6, s7
	s_xor_b32 s0, s0, s1
	s_sub_i32 s48, s0, s1
	s_add_i32 s0, s37, 15
	s_ashr_i32 s1, s0, 31
	s_lshr_b32 s1, s1, 28
	s_add_i32 s0, s0, s1
	s_lshl_b32 s40, s4, 5
	s_ashr_i32 s47, s0, 4
	s_add_i32 s0, s40, 32
	v_lshrrev_b32_e32 v6, 6, v0
	s_min_i32 s24, s0, s47
	v_or_b32_e32 v54, s40, v6
	v_cmp_gt_i32_e64 s[0:1], s24, v54
	v_mov_b32_e32 v10, 0xff7fffff
	s_mul_i32 s18, s8, s18
	v_ashrrev_i32_e32 v55, 31, v54
	v_lshl_add_u32 v90, v6, 4, s49
	v_mbcnt_lo_u32_b32 v7, -1, 0
	s_and_saveexec_b64 s[42:43], s[0:1]
	s_cbranch_execz .LBB34_20
; %bb.11:
	s_ashr_i32 s19, s18, 31
	s_sub_i32 s50, s48, s25
	s_lshl_b64 s[6:7], s[18:19], 2
	s_add_u32 s6, s12, s6
	s_addc_u32 s7, s13, s7
	s_abs_i32 s19, s26
	v_cvt_f32_u32_e32 v4, s19
	v_bfe_u32 v8, v0, 2, 4
	v_lshlrev_b32_e32 v2, 4, v8
	v_mov_b32_e32 v3, 0
	v_rcp_iflag_f32_e32 v9, v4
	v_lshl_add_u64 v[4:5], s[6:7], 0, v[2:3]
	v_lshlrev_b32_e32 v2, 2, v89
	v_lshl_add_u64 v[2:3], v[4:5], 0, v[2:3]
	v_mul_f32_e32 v4, 0x4f7ffffe, v9
	v_cvt_u32_f32_e32 v4, v4
	v_lshlrev_b32_e32 v10, 2, v8
	s_sub_i32 s8, 0, s19
	v_lshl_or_b32 v10, v6, 6, v10
	v_mul_lo_u32 v5, s8, v4
	s_lshl_b64 s[8:9], s[38:39], 2
	s_add_u32 s8, s34, s8
	v_add_u32_e32 v13, 0x310, v10
	v_subrev_u32_e32 v10, s37, v8
	v_mbcnt_hi_u32_b32 v16, -1, v7
	v_mul_hi_u32 v5, v4, v5
	s_addc_u32 s9, s35, s9
	v_add_u32_e32 v14, 1, v10
	v_and_b32_e32 v10, 64, v16
	v_cmp_eq_u32_e32 vcc, 0, v89
	s_mov_b32 s51, s17
	v_mul_u32_u24_e32 v9, 0xc0, v89
	v_cmp_neq_f32_e64 s[6:7], s3, 0
	v_add_u32_e32 v11, v4, v5
	v_lshl_add_u64 v[4:5], v[54:55], 2, s[8:9]
	v_lshl_add_u32 v12, v6, 4, s49
	s_mov_b64 s[12:13], 0
	v_mov_b32_e32 v15, 0xff7fffff
	s_movk_i32 s52, 0x1000
	s_movk_i32 s53, 0x2000
	v_add_u32_e32 v17, 64, v10
	v_xor_b32_e32 v18, 2, v16
	v_xor_b32_e32 v19, 1, v16
	v_mov_b32_e32 v10, 0xff7fffff
	v_mov_b32_e32 v20, v54
	s_branch .LBB34_14
.LBB34_12:                              ;   in Loop: Header=BB34_14 Depth=1
	s_or_b64 exec, exec, s[44:45]
.LBB34_13:                              ;   in Loop: Header=BB34_14 Depth=1
	s_or_b64 exec, exec, s[10:11]
	v_add_u32_e32 v20, 2, v20
	v_cmp_le_i32_e64 s[8:9], s24, v20
	v_lshl_add_u64 v[4:5], v[4:5], 0, 8
	v_add_u32_e32 v12, 32, v12
	s_or_b64 s[12:13], s[8:9], s[12:13]
	v_add_u32_e32 v13, 0x80, v13
	s_andn2_b64 exec, exec, s[12:13]
	s_cbranch_execz .LBB34_19
.LBB34_14:                              ; =>This Inner Loop Header: Depth=1
	s_waitcnt lgkmcnt(0)
	v_sub_u32_e32 v22, 0, v12
	v_max_i32_e32 v22, v12, v22
	v_mul_hi_u32 v23, v22, s31
	v_mul_lo_u32 v24, v23, s16
	v_sub_u32_e32 v22, v22, v24
	v_add_u32_e32 v24, 1, v23
	v_cmp_le_u32_e64 s[8:9], s16, v22
	v_ashrrev_i32_e32 v21, 31, v12
	v_xor_b32_e32 v21, s27, v21
	v_cndmask_b32_e64 v23, v23, v24, s[8:9]
	v_subrev_u32_e32 v24, s16, v22
	v_cndmask_b32_e64 v22, v22, v24, s[8:9]
	v_add_u32_e32 v24, 1, v23
	v_cmp_le_u32_e64 s[8:9], s16, v22
	s_nop 1
	v_cndmask_b32_e64 v22, v23, v24, s[8:9]
	v_xor_b32_e32 v22, v22, v21
	v_sub_u32_e32 v21, v22, v21
	v_add_u32_e32 v22, s46, v21
	v_sub_u32_e32 v24, 0, v22
	v_ashrrev_i32_e32 v23, 31, v22
	v_max_i32_e32 v22, v22, v24
	v_mul_hi_u32 v24, v22, v11
	v_mul_lo_u32 v24, v24, s19
	v_sub_u32_e32 v22, v22, v24
	v_subrev_u32_e32 v24, s19, v22
	v_cmp_le_u32_e64 s[8:9], s19, v22
	v_cmp_ge_i32_e64 s[10:11], s50, v21
	s_nop 0
	v_cndmask_b32_e64 v22, v22, v24, s[8:9]
	v_subrev_u32_e32 v24, s19, v22
	v_cmp_le_u32_e64 s[8:9], s19, v22
	s_nop 1
	v_cndmask_b32_e64 v22, v22, v24, s[8:9]
	v_xor_b32_e32 v22, v22, v23
	v_sub_u32_e32 v22, v22, v23
	v_cmp_ne_u32_e64 s[8:9], 0, v22
	s_and_b64 s[8:9], s[8:9], s[10:11]
	s_and_b64 s[44:45], vcc, s[8:9]
	s_and_saveexec_b64 s[10:11], s[44:45]
	s_cbranch_execz .LBB34_16
; %bb.15:                               ;   in Loop: Header=BB34_14 Depth=1
	ds_write_b32 v13, v15
.LBB34_16:                              ;   in Loop: Header=BB34_14 Depth=1
	s_or_b64 exec, exec, s[10:11]
	s_xor_b64 s[8:9], s[8:9], -1
	s_and_saveexec_b64 s[10:11], s[8:9]
	s_cbranch_execz .LBB34_13
; %bb.17:                               ;   in Loop: Header=BB34_14 Depth=1
	global_load_dword v21, v[4:5], off
	s_waitcnt vmcnt(0)
	v_mad_i64_i32 v[22:23], s[8:9], v21, s51, 0
	v_lshl_add_u64 v[22:23], v[22:23], 2, v[2:3]
	global_load_dword v21, v[22:23], off offset:512
	global_load_dword v56, v[22:23], off offset:768
	global_load_dword v60, v[22:23], off offset:1024
	global_load_dword v61, v[22:23], off offset:1280
	global_load_dword v62, v[22:23], off offset:1536
	global_load_dword v63, v[22:23], off offset:1792
	global_load_dword v57, v[22:23], off offset:256
	global_load_dword v58, v[22:23], off
	global_load_dword v64, v[22:23], off offset:2048
	global_load_dword v65, v[22:23], off offset:2304
	;; [unrolled: 1-line block ×8, first 2 shown]
	v_add_co_u32_e64 v24, s[8:9], s52, v22
	s_nop 1
	v_addc_co_u32_e64 v25, s[8:9], 0, v23, s[8:9]
	v_add_co_u32_e64 v22, s[8:9], s53, v22
	s_nop 1
	v_addc_co_u32_e64 v23, s[8:9], 0, v23, s[8:9]
	global_load_dword v72, v[22:23], off offset:-4096
	global_load_dword v73, v[24:25], off offset:256
	global_load_dword v74, v[24:25], off offset:512
	;; [unrolled: 1-line block ×15, first 2 shown]
	global_load_dword v91, v[22:23], off
	global_load_dword v92, v[22:23], off offset:256
	global_load_dword v93, v[22:23], off offset:512
	;; [unrolled: 1-line block ×15, first 2 shown]
	ds_read_b128 v[22:25], v9
	ds_read_b128 v[26:29], v9 offset:16
	ds_read_b128 v[30:33], v9 offset:32
	;; [unrolled: 1-line block ×7, first 2 shown]
	v_cmp_lt_i32_e64 s[8:9], v18, v17
	s_waitcnt vmcnt(41) lgkmcnt(7)
	v_mul_f32_e32 v107, v23, v57
	s_waitcnt vmcnt(40)
	v_fmac_f32_e32 v107, v22, v58
	v_fmac_f32_e32 v107, v24, v21
	;; [unrolled: 1-line block ×3, first 2 shown]
	s_waitcnt lgkmcnt(6)
	v_fmac_f32_e32 v107, v26, v60
	v_fmac_f32_e32 v107, v27, v61
	;; [unrolled: 1-line block ×4, first 2 shown]
	s_waitcnt vmcnt(39) lgkmcnt(5)
	v_fmac_f32_e32 v107, v30, v64
	s_waitcnt vmcnt(38)
	v_fmac_f32_e32 v107, v31, v65
	s_waitcnt vmcnt(37)
	v_fmac_f32_e32 v107, v32, v66
	s_waitcnt vmcnt(36)
	v_fmac_f32_e32 v107, v33, v67
	s_waitcnt vmcnt(35) lgkmcnt(4)
	v_fmac_f32_e32 v107, v34, v68
	s_waitcnt vmcnt(34)
	v_fmac_f32_e32 v107, v35, v69
	s_waitcnt vmcnt(33)
	v_fmac_f32_e32 v107, v36, v70
	s_waitcnt vmcnt(32)
	v_fmac_f32_e32 v107, v37, v71
	;; [unrolled: 8-line block ×5, first 2 shown]
	ds_read_b128 v[22:25], v9 offset:128
	ds_read_b128 v[56:59], v9 offset:144
	s_waitcnt vmcnt(19) lgkmcnt(2)
	v_fmac_f32_e32 v107, v50, v84
	s_waitcnt vmcnt(18)
	v_fmac_f32_e32 v107, v51, v85
	s_waitcnt vmcnt(17)
	;; [unrolled: 2-line block ×3, first 2 shown]
	v_fmac_f32_e32 v107, v53, v87
	s_waitcnt vmcnt(15) lgkmcnt(1)
	v_fmac_f32_e32 v107, v22, v91
	s_waitcnt vmcnt(14)
	v_fmac_f32_e32 v107, v23, v92
	s_waitcnt vmcnt(13)
	;; [unrolled: 2-line block ×3, first 2 shown]
	v_fmac_f32_e32 v107, v25, v94
	ds_read_b128 v[26:29], v9 offset:160
	ds_read_b128 v[60:63], v9 offset:176
	s_waitcnt vmcnt(11) lgkmcnt(2)
	v_fmac_f32_e32 v107, v56, v95
	s_waitcnt vmcnt(10)
	v_fmac_f32_e32 v107, v57, v96
	s_waitcnt vmcnt(9)
	v_fmac_f32_e32 v107, v58, v97
	s_waitcnt vmcnt(8)
	v_fmac_f32_e32 v107, v59, v98
	s_waitcnt vmcnt(7) lgkmcnt(1)
	v_fmac_f32_e32 v107, v26, v99
	s_waitcnt vmcnt(6)
	v_fmac_f32_e32 v107, v27, v100
	s_waitcnt vmcnt(5)
	;; [unrolled: 2-line block ×3, first 2 shown]
	v_fmac_f32_e32 v107, v29, v102
	s_waitcnt vmcnt(3) lgkmcnt(0)
	v_fmac_f32_e32 v107, v60, v103
	s_waitcnt vmcnt(2)
	v_fmac_f32_e32 v107, v61, v104
	v_cndmask_b32_e64 v21, v16, v18, s[8:9]
	s_waitcnt vmcnt(1)
	v_fmac_f32_e32 v107, v62, v105
	v_lshlrev_b32_e32 v21, 2, v21
	s_waitcnt vmcnt(0)
	v_fmac_f32_e32 v107, v63, v106
	ds_bpermute_b32 v21, v21, v107
	v_cmp_lt_i32_e64 s[8:9], v19, v17
	s_waitcnt lgkmcnt(0)
	v_add_f32_e32 v21, v107, v21
	v_cndmask_b32_e64 v22, v16, v19, s[8:9]
	v_lshlrev_b32_e32 v22, 2, v22
	ds_bpermute_b32 v22, v22, v21
	s_and_saveexec_b64 s[44:45], vcc
	s_cbranch_execz .LBB34_12
; %bb.18:                               ;   in Loop: Header=BB34_14 Depth=1
	v_add_u32_e32 v23, v14, v12
	v_cvt_f32_i32_e32 v23, v23
	s_waitcnt lgkmcnt(0)
	v_add_f32_e32 v21, v21, v22
	v_add_u32_e32 v24, v8, v12
	v_cmp_gt_i32_e64 s[8:9], s37, v24
	v_mul_f32_e32 v22, s3, v23
	v_cndmask_b32_e64 v22, 0, v22, s[6:7]
	v_fmac_f32_e32 v22, s41, v21
	v_cndmask_b32_e64 v21, 0, v22, s[8:9]
	ds_write_b32 v13, v21
	v_max_f32_e32 v21, v10, v10
	v_max_f32_e32 v21, v21, v22
	v_cndmask_b32_e64 v10, v10, v21, s[8:9]
	s_branch .LBB34_12
.LBB34_19:
	s_or_b64 exec, exec, s[12:13]
.LBB34_20:
	s_or_b64 exec, exec, s[42:43]
	v_mbcnt_hi_u32_b32 v2, -1, v7
	v_and_b32_e32 v3, 64, v2
	v_add_u32_e32 v3, 64, v3
	v_xor_b32_e32 v4, 32, v2
	v_cmp_lt_i32_e32 vcc, v4, v3
	v_xor_b32_e32 v8, 16, v2
	v_max_f32_e32 v7, v10, v10
	v_cndmask_b32_e32 v4, v2, v4, vcc
	v_lshlrev_b32_e32 v5, 2, v4
	ds_bpermute_b32 v4, v5, v10
	v_cmp_lt_i32_e32 vcc, v8, v3
	v_xor_b32_e32 v9, 8, v2
	v_and_b32_e32 v91, 63, v0
	s_waitcnt lgkmcnt(0)
	v_max_f32_e32 v4, v4, v4
	v_max_f32_e32 v4, v7, v4
	v_cndmask_b32_e32 v7, v2, v8, vcc
	v_lshlrev_b32_e32 v7, 2, v7
	ds_bpermute_b32 v8, v7, v4
	v_cmp_lt_i32_e32 vcc, v9, v3
	s_waitcnt lgkmcnt(0)
	v_max_f32_e32 v8, v8, v8
	v_max_f32_e32 v4, v4, v8
	v_cndmask_b32_e32 v8, v2, v9, vcc
	v_lshlrev_b32_e32 v10, 2, v8
	ds_bpermute_b32 v8, v10, v4
	v_xor_b32_e32 v9, 4, v2
	v_cmp_lt_i32_e32 vcc, v9, v3
	s_waitcnt lgkmcnt(0)
	v_max_f32_e32 v8, v8, v8
	v_max_f32_e32 v4, v4, v8
	v_cndmask_b32_e32 v8, v2, v9, vcc
	v_lshlrev_b32_e32 v11, 2, v8
	ds_bpermute_b32 v9, v11, v4
	v_cmp_eq_u32_e32 vcc, 0, v91
	v_lshlrev_b32_e32 v8, 2, v6
	s_and_saveexec_b64 s[6:7], vcc
	s_cbranch_execz .LBB34_22
; %bb.21:
	s_waitcnt lgkmcnt(0)
	v_max_f32_e32 v9, v9, v9
	v_max_f32_e32 v4, v4, v4
	;; [unrolled: 1-line block ×3, first 2 shown]
	ds_write_b32 v8, v4 offset:768
.LBB34_22:
	s_or_b64 exec, exec, s[6:7]
	v_cmp_gt_u32_e64 s[6:7], 2, v91
	v_mov_b32_e32 v4, 0xff7fffff
	s_waitcnt lgkmcnt(0)
	v_lshlrev_b32_e32 v9, 2, v91
	s_barrier
	s_and_saveexec_b64 s[8:9], s[6:7]
	s_cbranch_execz .LBB34_24
; %bb.23:
	ds_read_b32 v4, v9 offset:768
.LBB34_24:
	s_or_b64 exec, exec, s[8:9]
	v_xor_b32_e32 v12, 1, v2
	v_cmp_lt_i32_e64 s[8:9], v12, v3
	s_sub_i32 s3, s24, s40
	s_lshl_b32 s3, s3, 4
	v_cndmask_b32_e64 v12, v2, v12, s[8:9]
	v_lshlrev_b32_e32 v92, 2, v12
	s_waitcnt lgkmcnt(0)
	ds_bpermute_b32 v12, v92, v4
	v_max_f32_e32 v4, v4, v4
	s_add_i32 s3, s3, s49
	s_min_i32 s19, s3, s37
	s_sub_i32 s3, s19, s49
	s_waitcnt lgkmcnt(0)
	v_max_f32_e32 v12, v12, v12
	v_max_f32_e32 v4, v4, v12
	v_lshlrev_b32_e32 v12, 2, v2
	v_and_b32_e32 v12, 0x100, v12
	ds_bpermute_b32 v4, v12, v4
	v_cmp_gt_i32_e64 s[8:9], s3, v0
	v_mov_b32_e32 v13, 0
	s_and_saveexec_b64 s[12:13], s[8:9]
	s_cbranch_execz .LBB34_28
; %bb.25:
	v_mov_b32_e32 v13, 0x310
	v_lshl_add_u32 v14, v0, 2, v13
	s_mov_b64 s[40:41], 0
	v_mov_b32_e32 v13, 0
	v_mov_b32_e32 v15, v0
.LBB34_26:                              ; =>This Inner Loop Header: Depth=1
	ds_read_b32 v16, v14
	v_add_u32_e32 v15, 0x80, v15
	v_cmp_le_i32_e64 s[10:11], s3, v15
	s_or_b64 s[40:41], s[10:11], s[40:41]
	s_waitcnt lgkmcnt(0)
	v_sub_f32_e32 v16, v16, v4
	v_mul_f32_e32 v16, 0x3fb8aa3b, v16
	v_exp_f32_e32 v16, v16
	ds_write_b32 v14, v16
	v_add_f32_e32 v13, v13, v16
	v_add_u32_e32 v14, 0x200, v14
	s_andn2_b64 exec, exec, s[40:41]
	s_cbranch_execnz .LBB34_26
; %bb.27:
	s_or_b64 exec, exec, s[40:41]
.LBB34_28:
	s_or_b64 exec, exec, s[12:13]
	ds_bpermute_b32 v5, v5, v13
	s_waitcnt lgkmcnt(0)
	v_add_f32_e32 v5, v13, v5
	ds_bpermute_b32 v7, v7, v5
	s_waitcnt lgkmcnt(0)
	v_add_f32_e32 v5, v5, v7
	ds_bpermute_b32 v7, v10, v5
	v_xor_b32_e32 v10, 2, v2
	v_cmp_lt_i32_e64 s[10:11], v10, v3
	s_waitcnt lgkmcnt(0)
	v_add_f32_e32 v5, v5, v7
	ds_bpermute_b32 v7, v11, v5
	v_cndmask_b32_e64 v2, v2, v10, s[10:11]
	v_lshlrev_b32_e32 v93, 2, v2
	s_waitcnt lgkmcnt(0)
	v_add_f32_e32 v3, v5, v7
	ds_bpermute_b32 v2, v93, v3
	s_waitcnt lgkmcnt(0)
	v_add_f32_e32 v2, v3, v2
	ds_bpermute_b32 v3, v92, v2
	s_waitcnt lgkmcnt(0)
	v_add_f32_e32 v2, v2, v3
	s_and_saveexec_b64 s[10:11], vcc
	s_cbranch_execz .LBB34_30
; %bb.29:
	ds_write_b32 v8, v2 offset:776
.LBB34_30:
	s_or_b64 exec, exec, s[10:11]
	s_waitcnt lgkmcnt(0)
	s_barrier
	s_and_saveexec_b64 s[10:11], s[6:7]
	s_cbranch_execz .LBB34_32
; %bb.31:
	ds_read_b32 v2, v9 offset:776
.LBB34_32:
	s_or_b64 exec, exec, s[10:11]
	s_waitcnt lgkmcnt(0)
	ds_bpermute_b32 v3, v92, v2
	s_waitcnt lgkmcnt(0)
	v_add_f32_e32 v2, v2, v3
	ds_bpermute_b32 v5, v12, v2
	s_and_saveexec_b64 s[6:7], s[8:9]
	s_cbranch_execz .LBB34_45
; %bb.33:
	s_waitcnt lgkmcnt(0)
	v_add_f32_e32 v2, 0x358637bd, v5
	v_div_scale_f32 v3, s[8:9], v2, v2, 1.0
	v_rcp_f32_e32 v7, v3
	v_div_scale_f32 v8, vcc, 1.0, v2, 1.0
	s_movk_i32 s8, 0x7f
	v_fma_f32 v9, -v3, v7, 1.0
	v_fmac_f32_e32 v7, v9, v7
	v_mul_f32_e32 v9, v8, v7
	v_fma_f32 v10, -v3, v9, v8
	v_fmac_f32_e32 v9, v10, v7
	v_fma_f32 v3, -v3, v9, v8
	v_div_fmas_f32 v3, v3, v7, v9
	v_div_fixup_f32 v2, v3, v2, 1.0
	v_xad_u32 v3, v0, -1, s19
	v_subrev_u32_e32 v7, s49, v3
	v_cmp_lt_u32_e32 vcc, s8, v7
	s_mov_b64 s[10:11], -1
	v_mov_b32_e32 v3, v0
	s_and_saveexec_b64 s[8:9], vcc
	s_cbranch_execz .LBB34_42
; %bb.34:
	v_lshrrev_b32_e32 v7, 7, v7
	v_add_u32_e32 v9, -1, v7
	v_lshrrev_b32_e32 v8, 1, v9
	v_mov_b32_e32 v3, v2
	v_add_u32_e32 v8, 1, v8
	v_cmp_lt_u32_e32 vcc, 13, v9
	v_mov_b32_e32 v11, 0
	s_and_saveexec_b64 s[10:11], vcc
	s_cbranch_execz .LBB34_38
; %bb.35:
	v_mov_b32_e32 v10, 0x310
	v_and_b32_e32 v9, -8, v8
	v_lshl_add_u32 v10, v0, 2, v10
	s_mov_b32 s19, 0
	s_mov_b64 s[12:13], 0
.LBB34_36:                              ; =>This Inner Loop Header: Depth=1
	ds_read2st64_b32 v[12:13], v10 offset1:2
	ds_read2st64_b32 v[14:15], v10 offset0:4 offset1:6
	ds_read2st64_b32 v[16:17], v10 offset0:8 offset1:10
	;; [unrolled: 1-line block ×3, first 2 shown]
	v_add_u32_e32 v9, -8, v9
	s_waitcnt lgkmcnt(3)
	v_pk_mul_f32 v[12:13], v[2:3], v[12:13]
	s_waitcnt lgkmcnt(2)
	v_pk_mul_f32 v[14:15], v[2:3], v[14:15]
	ds_write2st64_b32 v10, v12, v13 offset1:2
	ds_write2st64_b32 v10, v14, v15 offset0:4 offset1:6
	ds_read2st64_b32 v[14:15], v10 offset0:16 offset1:18
	s_waitcnt lgkmcnt(4)
	v_pk_mul_f32 v[12:13], v[2:3], v[16:17]
	ds_write2st64_b32 v10, v12, v13 offset0:8 offset1:10
	s_waitcnt lgkmcnt(4)
	v_pk_mul_f32 v[12:13], v[2:3], v[18:19]
	ds_write2st64_b32 v10, v12, v13 offset0:12 offset1:14
	ds_read2st64_b32 v[12:13], v10 offset0:20 offset1:22
	s_waitcnt lgkmcnt(3)
	v_pk_mul_f32 v[14:15], v[2:3], v[14:15]
	ds_read2st64_b32 v[16:17], v10 offset0:24 offset1:26
	ds_write2st64_b32 v10, v14, v15 offset0:16 offset1:18
	ds_read2st64_b32 v[14:15], v10 offset0:28 offset1:30
	s_waitcnt lgkmcnt(3)
	v_pk_mul_f32 v[12:13], v[2:3], v[12:13]
	ds_write2st64_b32 v10, v12, v13 offset0:20 offset1:22
	s_waitcnt lgkmcnt(3)
	v_pk_mul_f32 v[12:13], v[2:3], v[16:17]
	ds_write2st64_b32 v10, v12, v13 offset0:24 offset1:26
	s_waitcnt lgkmcnt(2)
	v_pk_mul_f32 v[12:13], v[2:3], v[14:15]
	s_add_i32 s19, s19, 16
	v_cmp_eq_u32_e32 vcc, 0, v9
	ds_write2st64_b32 v10, v12, v13 offset0:28 offset1:30
	v_add_u32_e32 v10, 0x2000, v10
	s_or_b64 s[12:13], vcc, s[12:13]
	v_mov_b32_e32 v11, s19
	s_andn2_b64 exec, exec, s[12:13]
	s_cbranch_execnz .LBB34_36
; %bb.37:
	s_or_b64 exec, exec, s[12:13]
.LBB34_38:
	s_or_b64 exec, exec, s[10:11]
	v_and_b32_e32 v8, 7, v8
	v_cmp_ne_u32_e32 vcc, 0, v8
	s_and_saveexec_b64 s[10:11], vcc
	s_cbranch_execz .LBB34_41
; %bb.39:
	v_lshlrev_b32_e32 v9, 9, v11
	v_lshlrev_b32_e32 v10, 2, v0
	s_movk_i32 s12, 0x310
	v_add3_u32 v9, v9, v10, s12
	s_mov_b64 s[12:13], 0
.LBB34_40:                              ; =>This Inner Loop Header: Depth=1
	ds_read2st64_b32 v[10:11], v9 offset1:2
	v_add_u32_e32 v8, -1, v8
	v_cmp_eq_u32_e32 vcc, 0, v8
	s_or_b64 s[12:13], vcc, s[12:13]
	s_waitcnt lgkmcnt(0)
	v_pk_mul_f32 v[10:11], v[2:3], v[10:11]
	ds_write2st64_b32 v9, v10, v11 offset1:2
	v_add_u32_e32 v9, 0x400, v9
	s_andn2_b64 exec, exec, s[12:13]
	s_cbranch_execnz .LBB34_40
.LBB34_41:
	s_or_b64 exec, exec, s[10:11]
	v_add_u32_e32 v7, 1, v7
	v_and_b32_e32 v8, 0x3fffffe, v7
	v_cmp_ne_u32_e32 vcc, v7, v8
	v_lshl_add_u32 v3, v8, 7, v0
	s_orn2_b64 s[10:11], vcc, exec
.LBB34_42:
	s_or_b64 exec, exec, s[8:9]
	s_and_b64 exec, exec, s[10:11]
	s_cbranch_execz .LBB34_45
; %bb.43:
	v_mov_b32_e32 v7, 0x310
	v_lshl_add_u32 v7, v3, 2, v7
	s_mov_b64 s[8:9], 0
.LBB34_44:                              ; =>This Inner Loop Header: Depth=1
	ds_read_b32 v8, v7
	v_add_u32_e32 v3, 0x80, v3
	v_cmp_le_i32_e32 vcc, s3, v3
	s_or_b64 s[8:9], vcc, s[8:9]
	s_waitcnt lgkmcnt(0)
	v_mul_f32_e32 v8, v2, v8
	ds_write_b32 v7, v8
	v_add_u32_e32 v7, 0x200, v7
	s_andn2_b64 exec, exec, s[8:9]
	s_cbranch_execnz .LBB34_44
.LBB34_45:
	s_or_b64 exec, exec, s[6:7]
	s_mul_i32 s3, s33, s36
	v_cmp_eq_u32_e32 vcc, 0, v0
	s_mul_i32 s6, s3, s5
	s_waitcnt lgkmcnt(0)
	s_barrier
	s_and_saveexec_b64 s[8:9], vcc
	s_cbranch_execz .LBB34_47
; %bb.46:
	s_ashr_i32 s7, s6, 31
	s_lshl_b64 s[10:11], s[6:7], 2
	s_add_u32 s5, s22, s10
	s_mul_i32 s2, s33, s2
	s_addc_u32 s7, s23, s11
	s_ashr_i32 s3, s2, 31
	s_lshl_b64 s[2:3], s[2:3], 2
	s_add_u32 s19, s5, s2
	s_addc_u32 s7, s7, s3
	s_ashr_i32 s5, s4, 31
	s_lshl_b64 s[12:13], s[4:5], 2
	s_add_u32 s22, s19, s12
	s_addc_u32 s23, s7, s13
	s_add_u32 s5, s20, s10
	s_addc_u32 s7, s21, s11
	;; [unrolled: 2-line block ×3, first 2 shown]
	s_add_u32 s2, s2, s12
	v_mov_b32_e32 v2, 0
	s_addc_u32 s3, s3, s13
	global_store_dword v2, v4, s[22:23]
	global_store_dword v2, v5, s[2:3]
.LBB34_47:
	s_or_b64 exec, exec, s[8:9]
	v_mov_b32_e32 v57, 0
	v_mov_b32_e32 v56, 0
	;; [unrolled: 1-line block ×12, first 2 shown]
	s_and_saveexec_b64 s[2:3], s[0:1]
	s_cbranch_execz .LBB34_77
; %bb.48:
	s_ashr_i32 s19, s18, 31
	s_sub_i32 s5, s48, s25
	s_lshl_b64 s[0:1], s[18:19], 2
	s_add_u32 s8, s14, s0
	s_mov_b32 s7, s17
	s_addc_u32 s9, s15, s1
	s_abs_i32 s17, s26
	v_cvt_f32_u32_e32 v3, s17
	s_sub_i32 s0, 0, s17
	v_lshlrev_b32_e32 v2, 2, v0
	s_add_i32 s47, s47, -1
	v_rcp_iflag_f32_e32 v3, v3
	v_and_b32_e32 v94, 12, v2
	v_and_b32_e32 v2, 0xfc, v2
	v_mov_b32_e32 v67, 0
	v_mul_f32_e32 v3, 0x4f7ffffe, v3
	v_cvt_u32_f32_e32 v3, v3
	v_or_b32_e32 v4, 0x400, v2
	v_or_b32_e32 v8, 0x500, v2
	;; [unrolled: 1-line block ×3, first 2 shown]
	v_mul_lo_u32 v5, s0, v3
	v_mul_hi_u32 v5, v3, v5
	s_lshl_b64 s[0:1], s[38:39], 2
	v_add_u32_e32 v95, v3, v5
	s_add_u32 s0, s34, s0
	v_lshlrev_b32_e32 v3, 4, v89
	v_or_b32_e32 v12, 0x700, v2
	v_or_b32_e32 v14, 0x800, v2
	;; [unrolled: 1-line block ×5, first 2 shown]
	s_addc_u32 s1, s35, s1
	v_lshl_or_b32 v3, v6, 6, v3
	v_lshl_add_u64 v[70:71], v[54:55], 2, s[0:1]
	v_add_u32_e32 v55, 0x310, v3
	s_mov_b64 s[10:11], 0
	v_lshlrev_b32_e32 v72, 2, v2
	v_lshlrev_b32_e32 v66, 2, v4
	;; [unrolled: 1-line block ×9, first 2 shown]
	v_mov_b32_e32 v57, v67
	v_mov_b32_e32 v56, v67
	;; [unrolled: 1-line block ×12, first 2 shown]
	s_branch .LBB34_51
.LBB34_49:                              ;   in Loop: Header=BB34_51 Depth=1
	s_or_b64 exec, exec, s[0:1]
	s_waitcnt vmcnt(1) lgkmcnt(0)
	v_mul_f32_e32 v51, v3, v51
	v_mul_f32_e32 v47, v3, v47
	;; [unrolled: 1-line block ×11, first 2 shown]
	s_waitcnt vmcnt(0)
	v_mul_f32_e32 v3, v3, v43
	v_fmac_f32_e32 v51, v2, v50
	v_fmac_f32_e32 v47, v2, v46
	;; [unrolled: 1-line block ×36, first 2 shown]
	v_add_f32_e32 v56, v56, v51
	v_add_f32_e32 v59, v59, v47
	;; [unrolled: 1-line block ×12, first 2 shown]
.LBB34_50:                              ;   in Loop: Header=BB34_51 Depth=1
	s_or_b64 exec, exec, s[12:13]
	v_add_u32_e32 v54, 2, v54
	v_cmp_le_i32_e32 vcc, s24, v54
	v_lshl_add_u64 v[70:71], v[70:71], 0, 8
	v_add_u32_e32 v90, 32, v90
	s_or_b64 s[10:11], vcc, s[10:11]
	v_add_u32_e32 v55, 0x80, v55
	s_andn2_b64 exec, exec, s[10:11]
	s_cbranch_execz .LBB34_76
.LBB34_51:                              ; =>This Inner Loop Header: Depth=1
	v_sub_u32_e32 v3, 0, v90
	v_max_i32_e32 v3, v90, v3
	v_mul_hi_u32 v4, v3, s31
	v_mul_lo_u32 v5, v4, s16
	v_sub_u32_e32 v3, v3, v5
	v_add_u32_e32 v5, 1, v4
	v_cmp_le_u32_e32 vcc, s16, v3
	v_ashrrev_i32_e32 v2, 31, v90
	v_xor_b32_e32 v2, s27, v2
	v_cndmask_b32_e32 v4, v4, v5, vcc
	v_subrev_u32_e32 v5, s16, v3
	v_cndmask_b32_e32 v3, v3, v5, vcc
	v_add_u32_e32 v5, 1, v4
	v_cmp_le_u32_e32 vcc, s16, v3
	s_nop 1
	v_cndmask_b32_e32 v3, v4, v5, vcc
	v_xor_b32_e32 v3, v3, v2
	v_sub_u32_e32 v2, v3, v2
	v_add_u32_e32 v3, s46, v2
	v_sub_u32_e32 v5, 0, v3
	v_ashrrev_i32_e32 v4, 31, v3
	v_max_i32_e32 v3, v3, v5
	v_mul_hi_u32 v5, v3, v95
	v_mul_lo_u32 v5, v5, s17
	v_sub_u32_e32 v3, v3, v5
	v_subrev_u32_e32 v5, s17, v3
	v_cmp_le_u32_e32 vcc, s17, v3
	v_cmp_lt_i32_e64 s[0:1], s5, v2
	s_nop 0
	v_cndmask_b32_e32 v3, v3, v5, vcc
	v_subrev_u32_e32 v5, s17, v3
	v_cmp_le_u32_e32 vcc, s17, v3
	s_nop 1
	v_cndmask_b32_e32 v3, v3, v5, vcc
	v_xor_b32_e32 v3, v3, v4
	v_sub_u32_e32 v3, v3, v4
	v_cmp_eq_u32_e32 vcc, 0, v3
	s_or_b64 s[0:1], vcc, s[0:1]
	s_and_saveexec_b64 s[12:13], s[0:1]
	s_cbranch_execz .LBB34_50
; %bb.52:                               ;   in Loop: Header=BB34_51 Depth=1
	global_load_dword v2, v[70:71], off
	v_mov_b32_e32 v73, v67
	v_cmp_eq_u32_e32 vcc, s47, v54
	s_waitcnt vmcnt(0)
	v_mad_i64_i32 v[2:3], s[0:1], v2, s7, 0
	v_lshl_add_u64 v[42:43], v[2:3], 2, s[8:9]
	v_lshl_add_u64 v[18:19], v[42:43], 0, v[72:73]
	global_load_dwordx4 v[6:9], v[18:19], off
	ds_read_b128 v[2:5], v55
	v_add_u32_e32 v73, v94, v90
	v_add_u32_e32 v98, 1, v73
	;; [unrolled: 1-line block ×4, first 2 shown]
	s_and_saveexec_b64 s[14:15], vcc
	s_cbranch_execnz .LBB34_73
; %bb.53:                               ;   in Loop: Header=BB34_51 Depth=1
	s_or_b64 exec, exec, s[14:15]
	global_load_dwordx4 v[10:13], v[18:19], off offset:1024
	s_and_saveexec_b64 s[14:15], vcc
	s_cbranch_execnz .LBB34_74
.LBB34_54:                              ;   in Loop: Header=BB34_51 Depth=1
	s_or_b64 exec, exec, s[14:15]
	global_load_dwordx4 v[14:17], v[18:19], off offset:2048
	s_and_saveexec_b64 s[14:15], vcc
	s_cbranch_execnz .LBB34_75
.LBB34_55:                              ;   in Loop: Header=BB34_51 Depth=1
	s_or_b64 exec, exec, s[14:15]
	global_load_dwordx4 v[18:21], v[18:19], off offset:3072
	s_and_saveexec_b64 s[14:15], vcc
	s_cbranch_execz .LBB34_57
.LBB34_56:                              ;   in Loop: Header=BB34_51 Depth=1
	v_cmp_gt_i32_e64 s[0:1], s37, v73
	s_waitcnt vmcnt(0)
	s_nop 0
	v_cndmask_b32_e64 v18, 0, v18, s[0:1]
	v_cmp_gt_i32_e64 s[0:1], s37, v98
	s_nop 1
	v_cndmask_b32_e64 v19, 0, v19, s[0:1]
	v_cmp_gt_i32_e64 s[0:1], s37, v97
	;; [unrolled: 3-line block ×3, first 2 shown]
	s_nop 1
	v_cndmask_b32_e64 v21, 0, v21, s[0:1]
.LBB34_57:                              ;   in Loop: Header=BB34_51 Depth=1
	s_or_b64 exec, exec, s[14:15]
	v_lshl_add_u64 v[22:23], v[42:43], 0, v[66:67]
	global_load_dwordx4 v[22:25], v[22:23], off
	s_and_saveexec_b64 s[14:15], vcc
	s_cbranch_execz .LBB34_59
; %bb.58:                               ;   in Loop: Header=BB34_51 Depth=1
	v_cmp_gt_i32_e64 s[0:1], s37, v73
	s_waitcnt vmcnt(0)
	s_nop 0
	v_cndmask_b32_e64 v22, 0, v22, s[0:1]
	v_cmp_gt_i32_e64 s[0:1], s37, v98
	s_nop 1
	v_cndmask_b32_e64 v23, 0, v23, s[0:1]
	v_cmp_gt_i32_e64 s[0:1], s37, v97
	s_nop 1
	v_cndmask_b32_e64 v24, 0, v24, s[0:1]
	v_cmp_gt_i32_e64 s[0:1], s37, v96
	s_nop 1
	v_cndmask_b32_e64 v25, 0, v25, s[0:1]
.LBB34_59:                              ;   in Loop: Header=BB34_51 Depth=1
	s_or_b64 exec, exec, s[14:15]
	v_mov_b32_e32 v75, v67
	v_lshl_add_u64 v[26:27], v[42:43], 0, v[74:75]
	global_load_dwordx4 v[26:29], v[26:27], off
	s_and_saveexec_b64 s[14:15], vcc
	s_cbranch_execz .LBB34_61
; %bb.60:                               ;   in Loop: Header=BB34_51 Depth=1
	v_cmp_gt_i32_e64 s[0:1], s37, v73
	s_waitcnt vmcnt(0)
	s_nop 0
	v_cndmask_b32_e64 v26, 0, v26, s[0:1]
	v_cmp_gt_i32_e64 s[0:1], s37, v98
	s_nop 1
	v_cndmask_b32_e64 v27, 0, v27, s[0:1]
	v_cmp_gt_i32_e64 s[0:1], s37, v97
	s_nop 1
	v_cndmask_b32_e64 v28, 0, v28, s[0:1]
	v_cmp_gt_i32_e64 s[0:1], s37, v96
	s_nop 1
	v_cndmask_b32_e64 v29, 0, v29, s[0:1]
.LBB34_61:                              ;   in Loop: Header=BB34_51 Depth=1
	s_or_b64 exec, exec, s[14:15]
	v_mov_b32_e32 v77, v67
	;; [unrolled: 21-line block ×7, first 2 shown]
	v_lshl_add_u64 v[42:43], v[42:43], 0, v[86:87]
	global_load_dwordx4 v[42:45], v[42:43], off
	s_and_saveexec_b64 s[0:1], vcc
	s_cbranch_execz .LBB34_49
; %bb.72:                               ;   in Loop: Header=BB34_51 Depth=1
	v_cmp_gt_i32_e32 vcc, s37, v73
	s_waitcnt vmcnt(0)
	s_nop 0
	v_cndmask_b32_e32 v42, 0, v42, vcc
	v_cmp_gt_i32_e32 vcc, s37, v98
	s_nop 1
	v_cndmask_b32_e32 v43, 0, v43, vcc
	v_cmp_gt_i32_e32 vcc, s37, v97
	;; [unrolled: 3-line block ×3, first 2 shown]
	s_nop 1
	v_cndmask_b32_e32 v45, 0, v45, vcc
	s_branch .LBB34_49
.LBB34_73:                              ;   in Loop: Header=BB34_51 Depth=1
	v_cmp_gt_i32_e64 s[0:1], s37, v73
	s_waitcnt vmcnt(0)
	s_nop 0
	v_cndmask_b32_e64 v6, 0, v6, s[0:1]
	v_cmp_gt_i32_e64 s[0:1], s37, v98
	s_nop 1
	v_cndmask_b32_e64 v7, 0, v7, s[0:1]
	v_cmp_gt_i32_e64 s[0:1], s37, v97
	;; [unrolled: 3-line block ×3, first 2 shown]
	s_nop 1
	v_cndmask_b32_e64 v9, 0, v9, s[0:1]
	s_or_b64 exec, exec, s[14:15]
	global_load_dwordx4 v[10:13], v[18:19], off offset:1024
	s_and_saveexec_b64 s[14:15], vcc
	s_cbranch_execz .LBB34_54
.LBB34_74:                              ;   in Loop: Header=BB34_51 Depth=1
	v_cmp_gt_i32_e64 s[0:1], s37, v73
	s_waitcnt vmcnt(0)
	s_nop 0
	v_cndmask_b32_e64 v10, 0, v10, s[0:1]
	v_cmp_gt_i32_e64 s[0:1], s37, v98
	s_nop 1
	v_cndmask_b32_e64 v11, 0, v11, s[0:1]
	v_cmp_gt_i32_e64 s[0:1], s37, v97
	;; [unrolled: 3-line block ×3, first 2 shown]
	s_nop 1
	v_cndmask_b32_e64 v13, 0, v13, s[0:1]
	s_or_b64 exec, exec, s[14:15]
	global_load_dwordx4 v[14:17], v[18:19], off offset:2048
	s_and_saveexec_b64 s[14:15], vcc
	s_cbranch_execz .LBB34_55
.LBB34_75:                              ;   in Loop: Header=BB34_51 Depth=1
	v_cmp_gt_i32_e64 s[0:1], s37, v73
	s_waitcnt vmcnt(0)
	s_nop 0
	v_cndmask_b32_e64 v14, 0, v14, s[0:1]
	v_cmp_gt_i32_e64 s[0:1], s37, v98
	s_nop 1
	v_cndmask_b32_e64 v15, 0, v15, s[0:1]
	v_cmp_gt_i32_e64 s[0:1], s37, v97
	;; [unrolled: 3-line block ×3, first 2 shown]
	s_nop 1
	v_cndmask_b32_e64 v17, 0, v17, s[0:1]
	s_or_b64 exec, exec, s[14:15]
	global_load_dwordx4 v[18:21], v[18:19], off offset:3072
	s_and_saveexec_b64 s[14:15], vcc
	s_cbranch_execnz .LBB34_56
	s_branch .LBB34_57
.LBB34_76:
	s_or_b64 exec, exec, s[10:11]
.LBB34_77:
	s_or_b64 exec, exec, s[2:3]
	ds_bpermute_b32 v2, v93, v68
	ds_bpermute_b32 v3, v93, v69
	;; [unrolled: 1-line block ×6, first 2 shown]
	s_waitcnt lgkmcnt(4)
	v_pk_add_f32 v[2:3], v[68:69], v[2:3]
	ds_bpermute_b32 v6, v92, v2
	ds_bpermute_b32 v7, v92, v3
	;; [unrolled: 1-line block ×4, first 2 shown]
	s_waitcnt lgkmcnt(4)
	v_pk_add_f32 v[4:5], v[64:65], v[4:5]
	ds_bpermute_b32 v22, v93, v56
	s_waitcnt lgkmcnt(3)
	v_pk_add_f32 v[2:3], v[2:3], v[6:7]
	v_pk_add_f32 v[6:7], v[62:63], v[8:9]
	ds_bpermute_b32 v8, v93, v60
	ds_bpermute_b32 v9, v93, v61
	;; [unrolled: 1-line block ×4, first 2 shown]
	s_waitcnt lgkmcnt(5)
	v_pk_add_f32 v[14:15], v[58:59], v[14:15]
	ds_bpermute_b32 v23, v93, v57
	ds_bpermute_b32 v10, v92, v4
	;; [unrolled: 1-line block ×5, first 2 shown]
	s_waitcnt lgkmcnt(7)
	v_pk_add_f32 v[16:17], v[60:61], v[8:9]
	ds_bpermute_b32 v18, v92, v16
	ds_bpermute_b32 v19, v92, v17
	s_waitcnt lgkmcnt(7)
	v_pk_add_f32 v[8:9], v[6:7], v[12:13]
	s_waitcnt lgkmcnt(6)
	v_pk_add_f32 v[12:13], v[56:57], v[22:23]
	;; [unrolled: 2-line block ×4, first 2 shown]
	ds_bpermute_b32 v14, v92, v12
	ds_bpermute_b32 v15, v92, v13
	s_waitcnt lgkmcnt(2)
	v_pk_add_f32 v[6:7], v[16:17], v[18:19]
	v_and_b32_e32 v16, 0x3c3, v0
	v_cmp_ne_u32_e32 vcc, 64, v16
	s_waitcnt lgkmcnt(0)
	s_barrier
	s_and_saveexec_b64 s[0:1], vcc
	s_xor_b64 s[0:1], exec, s[0:1]
; %bb.78:
                                        ; implicit-def: $vgpr91
; %bb.79:
	s_or_saveexec_b64 s[0:1], s[0:1]
	v_pk_add_f32 v[12:13], v[12:13], v[14:15]
	s_xor_b64 exec, exec, s[0:1]
	s_cbranch_execz .LBB34_81
; %bb.80:
	v_add_u32_e32 v14, 0x310, v91
	ds_write2_b32 v14, v2, v3 offset1:16
	ds_write2_b32 v14, v10, v11 offset0:32 offset1:48
	ds_write2_b32 v14, v8, v9 offset0:64 offset1:80
	;; [unrolled: 1-line block ×5, first 2 shown]
.LBB34_81:
	s_or_b64 exec, exec, s[0:1]
	v_cmp_gt_u32_e32 vcc, 64, v0
	s_waitcnt lgkmcnt(0)
	s_barrier
	s_and_saveexec_b64 s[0:1], vcc
	s_cbranch_execz .LBB34_96
; %bb.82:
	v_cmp_eq_u32_e32 vcc, 0, v89
	s_and_saveexec_b64 s[2:3], vcc
	s_cbranch_execnz .LBB34_99
; %bb.83:
	s_or_b64 exec, exec, s[2:3]
	s_and_saveexec_b64 s[2:3], vcc
	s_cbranch_execnz .LBB34_100
.LBB34_84:
	s_or_b64 exec, exec, s[2:3]
	s_and_saveexec_b64 s[2:3], vcc
	s_cbranch_execnz .LBB34_101
.LBB34_85:
	s_or_b64 exec, exec, s[2:3]
	s_and_saveexec_b64 s[2:3], vcc
	s_cbranch_execnz .LBB34_102
.LBB34_86:
	s_or_b64 exec, exec, s[2:3]
	s_and_saveexec_b64 s[2:3], vcc
	s_cbranch_execnz .LBB34_103
.LBB34_87:
	s_or_b64 exec, exec, s[2:3]
	s_and_saveexec_b64 s[2:3], vcc
	s_cbranch_execnz .LBB34_104
.LBB34_88:
	s_or_b64 exec, exec, s[2:3]
	s_and_saveexec_b64 s[2:3], vcc
	s_cbranch_execnz .LBB34_105
.LBB34_89:
	s_or_b64 exec, exec, s[2:3]
	s_and_saveexec_b64 s[2:3], vcc
	s_cbranch_execnz .LBB34_106
.LBB34_90:
	s_or_b64 exec, exec, s[2:3]
	s_and_saveexec_b64 s[2:3], vcc
	s_cbranch_execnz .LBB34_107
.LBB34_91:
	s_or_b64 exec, exec, s[2:3]
	s_and_saveexec_b64 s[2:3], vcc
	s_cbranch_execnz .LBB34_108
.LBB34_92:
	s_or_b64 exec, exec, s[2:3]
	s_and_saveexec_b64 s[2:3], vcc
	s_cbranch_execnz .LBB34_109
.LBB34_93:
	s_or_b64 exec, exec, s[2:3]
	s_and_saveexec_b64 s[2:3], vcc
	s_cbranch_execz .LBB34_95
.LBB34_94:
	v_mov_b32_e32 v0, 0x310
	v_lshl_add_u32 v0, v88, 2, v0
	ds_read_b32 v0, v0 offset:704
	s_waitcnt lgkmcnt(0)
	v_add_f32_e32 v13, v13, v0
.LBB34_95:
	s_or_b64 exec, exec, s[2:3]
.LBB34_96:
	s_or_b64 exec, exec, s[0:1]
	v_cmp_eq_u32_e32 vcc, 0, v16
	s_barrier
	s_and_saveexec_b64 s[0:1], vcc
	s_cbranch_execz .LBB34_98
; %bb.97:
	s_mul_i32 s0, s6, 0xc0
	s_ashr_i32 s1, s0, 31
	s_lshl_b64 s[0:1], s[0:1], 2
	s_add_u32 s2, s28, s0
	s_mul_i32 s0, s33, s30
	s_addc_u32 s3, s29, s1
	s_ashr_i32 s1, s0, 31
	s_lshl_b64 s[0:1], s[0:1], 2
	s_add_u32 s2, s2, s0
	s_mul_i32 s0, s4, 0xc0
	s_addc_u32 s3, s3, s1
	s_ashr_i32 s1, s0, 31
	s_lshl_b64 s[0:1], s[0:1], 2
	s_add_u32 s0, s2, s0
	s_addc_u32 s1, s3, s1
	global_store_dword v1, v2, s[0:1]
	global_store_dword v1, v3, s[0:1] offset:64
	global_store_dword v1, v10, s[0:1] offset:128
	;; [unrolled: 1-line block ×11, first 2 shown]
.LBB34_98:
	s_endpgm
.LBB34_99:
	v_mov_b32_e32 v0, 0x310
	v_lshl_add_u32 v0, v88, 2, v0
	ds_read_b32 v0, v0
	s_waitcnt lgkmcnt(0)
	v_add_f32_e32 v2, v2, v0
	s_or_b64 exec, exec, s[2:3]
	s_and_saveexec_b64 s[2:3], vcc
	s_cbranch_execz .LBB34_84
.LBB34_100:
	v_mov_b32_e32 v0, 0x310
	v_lshl_add_u32 v0, v88, 2, v0
	ds_read_b32 v0, v0 offset:64
	s_waitcnt lgkmcnt(0)
	v_add_f32_e32 v3, v3, v0
	s_or_b64 exec, exec, s[2:3]
	s_and_saveexec_b64 s[2:3], vcc
	s_cbranch_execz .LBB34_85
.LBB34_101:
	v_mov_b32_e32 v0, 0x310
	v_lshl_add_u32 v0, v88, 2, v0
	ds_read_b32 v0, v0 offset:128
	s_waitcnt lgkmcnt(0)
	v_add_f32_e32 v10, v10, v0
	s_or_b64 exec, exec, s[2:3]
	s_and_saveexec_b64 s[2:3], vcc
	s_cbranch_execz .LBB34_86
.LBB34_102:
	v_mov_b32_e32 v0, 0x310
	v_lshl_add_u32 v0, v88, 2, v0
	ds_read_b32 v0, v0 offset:192
	s_waitcnt lgkmcnt(0)
	v_add_f32_e32 v11, v11, v0
	s_or_b64 exec, exec, s[2:3]
	s_and_saveexec_b64 s[2:3], vcc
	s_cbranch_execz .LBB34_87
.LBB34_103:
	v_mov_b32_e32 v0, 0x310
	v_lshl_add_u32 v0, v88, 2, v0
	ds_read_b32 v0, v0 offset:256
	s_waitcnt lgkmcnt(0)
	v_add_f32_e32 v8, v8, v0
	s_or_b64 exec, exec, s[2:3]
	s_and_saveexec_b64 s[2:3], vcc
	s_cbranch_execz .LBB34_88
.LBB34_104:
	v_mov_b32_e32 v0, 0x310
	v_lshl_add_u32 v0, v88, 2, v0
	ds_read_b32 v0, v0 offset:320
	s_waitcnt lgkmcnt(0)
	v_add_f32_e32 v9, v9, v0
	s_or_b64 exec, exec, s[2:3]
	s_and_saveexec_b64 s[2:3], vcc
	s_cbranch_execz .LBB34_89
.LBB34_105:
	v_mov_b32_e32 v0, 0x310
	v_lshl_add_u32 v0, v88, 2, v0
	ds_read_b32 v0, v0 offset:384
	s_waitcnt lgkmcnt(0)
	v_add_f32_e32 v6, v6, v0
	s_or_b64 exec, exec, s[2:3]
	s_and_saveexec_b64 s[2:3], vcc
	s_cbranch_execz .LBB34_90
.LBB34_106:
	v_mov_b32_e32 v0, 0x310
	v_lshl_add_u32 v0, v88, 2, v0
	ds_read_b32 v0, v0 offset:448
	s_waitcnt lgkmcnt(0)
	v_add_f32_e32 v7, v7, v0
	s_or_b64 exec, exec, s[2:3]
	s_and_saveexec_b64 s[2:3], vcc
	s_cbranch_execz .LBB34_91
.LBB34_107:
	v_mov_b32_e32 v0, 0x310
	v_lshl_add_u32 v0, v88, 2, v0
	ds_read_b32 v0, v0 offset:512
	s_waitcnt lgkmcnt(0)
	v_add_f32_e32 v4, v4, v0
	s_or_b64 exec, exec, s[2:3]
	s_and_saveexec_b64 s[2:3], vcc
	s_cbranch_execz .LBB34_92
.LBB34_108:
	v_mov_b32_e32 v0, 0x310
	v_lshl_add_u32 v0, v88, 2, v0
	ds_read_b32 v0, v0 offset:576
	s_waitcnt lgkmcnt(0)
	v_add_f32_e32 v5, v5, v0
	s_or_b64 exec, exec, s[2:3]
	s_and_saveexec_b64 s[2:3], vcc
	s_cbranch_execz .LBB34_93
.LBB34_109:
	v_mov_b32_e32 v0, 0x310
	v_lshl_add_u32 v0, v88, 2, v0
	ds_read_b32 v0, v0 offset:640
	s_waitcnt lgkmcnt(0)
	v_add_f32_e32 v12, v12, v0
	s_or_b64 exec, exec, s[2:3]
	s_and_saveexec_b64 s[2:3], vcc
	s_cbranch_execnz .LBB34_94
	s_branch .LBB34_95
	.section	.rodata,"a",@progbits
	.p2align	6, 0x0
	.amdhsa_kernel _ZN4vllm25paged_attention_v2_kernelIffLi192ELi16ELi128ELNS_18Fp8KVCacheDataTypeE0ELb1ELi512EEEvPfS2_PT_PKS3_PKT0_S9_ifPKiSB_iPKfiiiSD_SD_iiiii
		.amdhsa_group_segment_fixed_size 784
		.amdhsa_private_segment_fixed_size 0
		.amdhsa_kernarg_size 400
		.amdhsa_user_sgpr_count 2
		.amdhsa_user_sgpr_dispatch_ptr 0
		.amdhsa_user_sgpr_queue_ptr 0
		.amdhsa_user_sgpr_kernarg_segment_ptr 1
		.amdhsa_user_sgpr_dispatch_id 0
		.amdhsa_user_sgpr_kernarg_preload_length 0
		.amdhsa_user_sgpr_kernarg_preload_offset 0
		.amdhsa_user_sgpr_private_segment_size 0
		.amdhsa_uses_dynamic_stack 0
		.amdhsa_enable_private_segment 0
		.amdhsa_system_sgpr_workgroup_id_x 1
		.amdhsa_system_sgpr_workgroup_id_y 1
		.amdhsa_system_sgpr_workgroup_id_z 1
		.amdhsa_system_sgpr_workgroup_info 0
		.amdhsa_system_vgpr_workitem_id 0
		.amdhsa_next_free_vgpr 108
		.amdhsa_next_free_sgpr 54
		.amdhsa_accum_offset 108
		.amdhsa_reserve_vcc 1
		.amdhsa_float_round_mode_32 0
		.amdhsa_float_round_mode_16_64 0
		.amdhsa_float_denorm_mode_32 3
		.amdhsa_float_denorm_mode_16_64 3
		.amdhsa_dx10_clamp 1
		.amdhsa_ieee_mode 1
		.amdhsa_fp16_overflow 0
		.amdhsa_tg_split 0
		.amdhsa_exception_fp_ieee_invalid_op 0
		.amdhsa_exception_fp_denorm_src 0
		.amdhsa_exception_fp_ieee_div_zero 0
		.amdhsa_exception_fp_ieee_overflow 0
		.amdhsa_exception_fp_ieee_underflow 0
		.amdhsa_exception_fp_ieee_inexact 0
		.amdhsa_exception_int_div_zero 0
	.end_amdhsa_kernel
	.section	.text._ZN4vllm25paged_attention_v2_kernelIffLi192ELi16ELi128ELNS_18Fp8KVCacheDataTypeE0ELb1ELi512EEEvPfS2_PT_PKS3_PKT0_S9_ifPKiSB_iPKfiiiSD_SD_iiiii,"axG",@progbits,_ZN4vllm25paged_attention_v2_kernelIffLi192ELi16ELi128ELNS_18Fp8KVCacheDataTypeE0ELb1ELi512EEEvPfS2_PT_PKS3_PKT0_S9_ifPKiSB_iPKfiiiSD_SD_iiiii,comdat
.Lfunc_end34:
	.size	_ZN4vllm25paged_attention_v2_kernelIffLi192ELi16ELi128ELNS_18Fp8KVCacheDataTypeE0ELb1ELi512EEEvPfS2_PT_PKS3_PKT0_S9_ifPKiSB_iPKfiiiSD_SD_iiiii, .Lfunc_end34-_ZN4vllm25paged_attention_v2_kernelIffLi192ELi16ELi128ELNS_18Fp8KVCacheDataTypeE0ELb1ELi512EEEvPfS2_PT_PKS3_PKT0_S9_ifPKiSB_iPKfiiiSD_SD_iiiii
                                        ; -- End function
	.section	.AMDGPU.csdata,"",@progbits
; Kernel info:
; codeLenInByte = 7572
; NumSgprs: 60
; NumVgprs: 108
; NumAgprs: 0
; TotalNumVgprs: 108
; ScratchSize: 0
; MemoryBound: 0
; FloatMode: 240
; IeeeMode: 1
; LDSByteSize: 784 bytes/workgroup (compile time only)
; SGPRBlocks: 7
; VGPRBlocks: 13
; NumSGPRsForWavesPerEU: 60
; NumVGPRsForWavesPerEU: 108
; AccumOffset: 108
; Occupancy: 4
; WaveLimiterHint : 1
; COMPUTE_PGM_RSRC2:SCRATCH_EN: 0
; COMPUTE_PGM_RSRC2:USER_SGPR: 2
; COMPUTE_PGM_RSRC2:TRAP_HANDLER: 0
; COMPUTE_PGM_RSRC2:TGID_X_EN: 1
; COMPUTE_PGM_RSRC2:TGID_Y_EN: 1
; COMPUTE_PGM_RSRC2:TGID_Z_EN: 1
; COMPUTE_PGM_RSRC2:TIDIG_COMP_CNT: 0
; COMPUTE_PGM_RSRC3_GFX90A:ACCUM_OFFSET: 26
; COMPUTE_PGM_RSRC3_GFX90A:TG_SPLIT: 0
	.section	.text._ZN4vllm25paged_attention_v2_kernelIffLi256ELi16ELi128ELNS_18Fp8KVCacheDataTypeE0ELb1ELi512EEEvPfS2_PT_PKS3_PKT0_S9_ifPKiSB_iPKfiiiSD_SD_iiiii,"axG",@progbits,_ZN4vllm25paged_attention_v2_kernelIffLi256ELi16ELi128ELNS_18Fp8KVCacheDataTypeE0ELb1ELi512EEEvPfS2_PT_PKS3_PKT0_S9_ifPKiSB_iPKfiiiSD_SD_iiiii,comdat
	.protected	_ZN4vllm25paged_attention_v2_kernelIffLi256ELi16ELi128ELNS_18Fp8KVCacheDataTypeE0ELb1ELi512EEEvPfS2_PT_PKS3_PKT0_S9_ifPKiSB_iPKfiiiSD_SD_iiiii ; -- Begin function _ZN4vllm25paged_attention_v2_kernelIffLi256ELi16ELi128ELNS_18Fp8KVCacheDataTypeE0ELb1ELi512EEEvPfS2_PT_PKS3_PKT0_S9_ifPKiSB_iPKfiiiSD_SD_iiiii
	.globl	_ZN4vllm25paged_attention_v2_kernelIffLi256ELi16ELi128ELNS_18Fp8KVCacheDataTypeE0ELb1ELi512EEEvPfS2_PT_PKS3_PKT0_S9_ifPKiSB_iPKfiiiSD_SD_iiiii
	.p2align	8
	.type	_ZN4vllm25paged_attention_v2_kernelIffLi256ELi16ELi128ELNS_18Fp8KVCacheDataTypeE0ELb1ELi512EEEvPfS2_PT_PKS3_PKT0_S9_ifPKiSB_iPKfiiiSD_SD_iiiii,@function
_ZN4vllm25paged_attention_v2_kernelIffLi256ELi16ELi128ELNS_18Fp8KVCacheDataTypeE0ELb1ELi512EEEvPfS2_PT_PKS3_PKT0_S9_ifPKiSB_iPKfiiiSD_SD_iiiii: ; @_ZN4vllm25paged_attention_v2_kernelIffLi256ELi16ELi128ELNS_18Fp8KVCacheDataTypeE0ELb1ELi512EEEvPfS2_PT_PKS3_PKT0_S9_ifPKiSB_iPKfiiiSD_SD_iiiii
; %bb.0:
	s_load_dwordx2 s[6:7], s[0:1], 0x40
	s_mov_b32 s36, s3
	s_ashr_i32 s37, s3, 31
	s_lshl_b64 s[8:9], s[36:37], 2
	s_waitcnt lgkmcnt(0)
	s_add_u32 s6, s6, s8
	s_addc_u32 s7, s7, s9
	s_load_dword s37, s[6:7], 0x0
	s_lshl_b32 s49, s4, 9
	s_waitcnt lgkmcnt(0)
	s_cmp_ge_i32 s49, s37
	s_cbranch_scc1 .LBB35_110
; %bb.1:
	s_load_dword s5, s[0:1], 0x90
	s_load_dwordx2 s[40:41], s[0:1], 0x30
	s_waitcnt lgkmcnt(0)
	s_abs_i32 s7, s5
	s_abs_i32 s3, s40
	v_cvt_f32_u32_e32 v1, s3
	s_sub_i32 s8, 0, s3
	s_xor_b32 s6, s5, s40
	s_ashr_i32 s6, s6, 31
	v_rcp_iflag_f32_e32 v1, v1
	s_nop 0
	v_mul_f32_e32 v1, 0x4f7ffffe, v1
	v_cvt_u32_f32_e32 v1, v1
	s_nop 0
	v_readfirstlane_b32 s9, v1
	s_mul_i32 s8, s8, s9
	s_mul_hi_u32 s8, s9, s8
	s_add_i32 s9, s9, s8
	s_mul_hi_u32 s8, s7, s9
	s_mul_i32 s9, s8, s3
	s_sub_i32 s7, s7, s9
	s_add_i32 s10, s8, 1
	s_sub_i32 s9, s7, s3
	s_cmp_ge_u32 s7, s3
	s_cselect_b32 s8, s10, s8
	s_cselect_b32 s7, s9, s7
	s_add_i32 s9, s8, 1
	s_cmp_ge_u32 s7, s3
	s_cselect_b32 s3, s9, s8
	s_xor_b32 s3, s3, s6
	s_sub_i32 s24, s3, s6
	s_abs_i32 s38, s24
	v_cvt_f32_u32_e32 v1, s38
	s_load_dwordx2 s[6:7], s[0:1], 0x50
	s_sub_i32 s3, 0, s38
	s_abs_i32 s25, s2
	v_rcp_iflag_f32_e32 v1, v1
	s_nop 0
	v_mul_f32_e32 v1, 0x4f7ffffe, v1
	v_cvt_u32_f32_e32 v1, v1
	s_nop 0
	v_readfirstlane_b32 s8, v1
	s_mul_i32 s3, s3, s8
	s_mul_hi_u32 s3, s8, s3
	s_add_i32 s8, s8, s3
	s_waitcnt lgkmcnt(0)
	s_cmp_eq_u64 s[6:7], 0
	s_mov_b32 s3, 0
	s_cbranch_scc1 .LBB35_3
; %bb.2:
	s_ashr_i32 s3, s2, 31
	s_lshl_b64 s[10:11], s[2:3], 2
	s_add_u32 s6, s6, s10
	s_addc_u32 s7, s7, s11
	s_load_dword s3, s[6:7], 0x0
.LBB35_3:
	s_load_dwordx4 s[20:23], s[0:1], 0x0
	s_load_dwordx2 s[28:29], s[0:1], 0x10
	s_load_dwordx4 s[12:15], s[0:1], 0x20
	s_load_dwordx2 s[34:35], s[0:1], 0x38
	s_load_dword s33, s[0:1], 0x98
	s_load_dwordx4 s[16:19], s[0:1], 0x58
	v_lshrrev_b32_e32 v116, 2, v0
	s_lshl_b32 s30, s2, 8
	s_movk_i32 s6, 0x100
	s_mul_hi_u32 s26, s25, s8
	v_and_b32_e32 v117, 3, v0
	s_ashr_i32 s31, s30, 31
	v_cmp_gt_u32_e32 vcc, s6, v0
	v_lshlrev_b32_e32 v1, 2, v116
	s_and_saveexec_b64 s[6:7], vcc
	s_cbranch_execz .LBB35_6
; %bb.4:
	s_load_dwordx2 s[8:9], s[0:1], 0x18
	s_waitcnt lgkmcnt(0)
	s_mul_i32 s10, s36, s16
	s_ashr_i32 s11, s10, 31
	s_lshl_b64 s[10:11], s[10:11], 2
	s_lshl_b64 s[42:43], s[30:31], 2
	s_add_u32 s10, s10, s42
	s_addc_u32 s11, s11, s43
	v_or_b32_e32 v2, v1, v117
	s_add_u32 s8, s8, s10
	v_lshlrev_b32_e32 v2, 2, v2
	v_mov_b32_e32 v3, 0
	s_addc_u32 s9, s9, s11
	v_subrev_u32_e32 v4, 32, v116
	v_lshl_add_u32 v5, v117, 8, v1
	v_lshl_add_u64 v[2:3], s[8:9], 0, v[2:3]
	s_mov_b64 s[8:9], 0
	s_mov_b64 s[10:11], 0x200
.LBB35_5:                               ; =>This Inner Loop Header: Depth=1
	global_load_dword v6, v[2:3], off
	v_add_co_u32_e32 v4, vcc, 32, v4
	s_xor_b64 s[42:43], vcc, -1
	s_and_b64 s[42:43], exec, s[42:43]
	v_lshl_add_u64 v[2:3], v[2:3], 0, s[10:11]
	s_or_b64 s[8:9], s[42:43], s[8:9]
	s_waitcnt vmcnt(0)
	ds_write_b32 v5, v6
	v_add_u32_e32 v5, 0x80, v5
	s_andn2_b64 exec, exec, s[8:9]
	s_cbranch_execnz .LBB35_5
.LBB35_6:
	s_or_b64 exec, exec, s[6:7]
	s_ashr_i32 s6, s2, 31
	s_ashr_i32 s7, s24, 31
	s_xor_b32 s6, s6, s7
	s_mul_i32 s7, s26, s38
	s_sub_i32 s7, s25, s7
	s_add_i32 s8, s26, 1
	s_sub_i32 s9, s7, s38
	s_cmp_ge_u32 s7, s38
	s_cselect_b32 s8, s8, s26
	s_load_dwordx4 s[24:27], s[0:1], 0x78
	s_cselect_b32 s7, s9, s7
	s_add_i32 s9, s8, 1
	s_cmp_ge_u32 s7, s38
	s_cselect_b32 s7, s9, s8
	s_load_dword s9, s[0:1], 0x88
	s_waitcnt lgkmcnt(0)
	s_abs_i32 s16, s27
	v_cvt_f32_u32_e32 v2, s16
	s_xor_b32 s7, s7, s6
	s_sub_i32 s8, s7, s6
	s_sub_i32 s6, 0, s16
	v_rcp_iflag_f32_e32 v2, v2
	s_add_i32 s19, s37, -1
	s_abs_i32 s10, s19
	v_mul_f32_e32 v2, 0x4f7ffffe, v2
	v_cvt_u32_f32_e32 v2, v2
	s_barrier
	v_readfirstlane_b32 s31, v2
	s_mul_i32 s6, s6, s31
	s_mul_hi_u32 s6, s31, s6
	s_add_i32 s31, s31, s6
	s_cmp_lt_i32 s9, 0
	s_mul_hi_u32 s11, s10, s31
	s_cbranch_scc0 .LBB35_8
; %bb.7:
	s_mul_i32 s6, s24, s40
	s_add_i32 s6, s8, s6
	s_mul_i32 s6, s6, s9
	s_sub_i32 s46, 1, s6
	s_ashr_i32 s19, s19, 31
	s_ashr_i32 s27, s27, 31
	s_cbranch_execz .LBB35_9
	s_branch .LBB35_10
.LBB35_8:
                                        ; implicit-def: $sgpr46
	s_ashr_i32 s19, s19, 31
	s_ashr_i32 s27, s27, 31
.LBB35_9:
	s_mul_i32 s6, s5, s24
	s_add_i32 s6, s6, s2
	s_mul_i32 s6, s6, s9
	s_add_i32 s46, s6, 1
.LBB35_10:
	s_load_dword s0, s[0:1], 0x48
	s_mul_i32 s6, s11, s16
	s_sub_i32 s6, s10, s6
	s_xor_b32 s1, s19, s27
	s_add_i32 s7, s11, 1
	s_waitcnt lgkmcnt(0)
	s_mul_i32 s38, s36, s0
	s_ashr_i32 s39, s38, 31
	s_sub_i32 s0, s6, s16
	s_cmp_ge_u32 s6, s16
	s_cselect_b32 s7, s7, s11
	s_cselect_b32 s0, s0, s6
	s_add_i32 s6, s7, 1
	s_cmp_ge_u32 s0, s16
	s_cselect_b32 s0, s6, s7
	s_xor_b32 s0, s0, s1
	s_sub_i32 s48, s0, s1
	s_add_i32 s0, s37, 15
	s_ashr_i32 s1, s0, 31
	s_lshr_b32 s1, s1, 28
	s_add_i32 s0, s0, s1
	s_lshl_b32 s40, s4, 5
	s_ashr_i32 s47, s0, 4
	s_add_i32 s0, s40, 32
	v_lshrrev_b32_e32 v8, 6, v0
	s_min_i32 s24, s0, s47
	v_or_b32_e32 v70, s40, v8
	v_cmp_gt_i32_e64 s[0:1], s24, v70
	v_mov_b32_e32 v12, 0xff7fffff
	s_mul_i32 s18, s8, s18
	v_ashrrev_i32_e32 v71, 31, v70
	v_lshl_add_u32 v118, v8, 4, s49
	v_mbcnt_lo_u32_b32 v9, -1, 0
	s_and_saveexec_b64 s[42:43], s[0:1]
	s_cbranch_execz .LBB35_20
; %bb.11:
	s_ashr_i32 s19, s18, 31
	s_sub_i32 s50, s48, s25
	s_lshl_b64 s[6:7], s[18:19], 2
	s_add_u32 s6, s12, s6
	s_addc_u32 s7, s13, s7
	s_abs_i32 s19, s26
	v_cvt_f32_u32_e32 v4, s19
	v_bfe_u32 v10, v0, 2, 4
	v_lshlrev_b32_e32 v2, 4, v10
	v_mov_b32_e32 v3, 0
	v_rcp_iflag_f32_e32 v7, v4
	v_lshl_add_u64 v[4:5], s[6:7], 0, v[2:3]
	v_lshlrev_b32_e32 v2, 2, v117
	v_lshl_add_u64 v[2:3], v[4:5], 0, v[2:3]
	v_mul_f32_e32 v4, 0x4f7ffffe, v7
	v_cvt_u32_f32_e32 v4, v4
	v_lshlrev_b32_e32 v6, 2, v10
	s_sub_i32 s8, 0, s19
	v_lshl_or_b32 v6, v8, 6, v6
	v_mul_lo_u32 v5, s8, v4
	s_lshl_b64 s[8:9], s[38:39], 2
	s_add_u32 s8, s34, s8
	v_add_u32_e32 v15, 0x410, v6
	v_subrev_u32_e32 v6, s37, v10
	v_mbcnt_hi_u32_b32 v18, -1, v9
	v_mul_hi_u32 v5, v4, v5
	s_addc_u32 s9, s35, s9
	v_add_u32_e32 v16, 1, v6
	v_and_b32_e32 v6, 64, v18
	v_cmp_eq_u32_e32 vcc, 0, v117
	s_mov_b32 s51, s17
	v_lshlrev_b32_e32 v11, 8, v117
	v_cmp_neq_f32_e64 s[6:7], s3, 0
	v_add_u32_e32 v13, v4, v5
	v_lshl_add_u64 v[4:5], v[70:71], 2, s[8:9]
	v_lshl_add_u32 v14, v8, 4, s49
	s_mov_b64 s[12:13], 0
	v_mov_b32_e32 v17, 0xff7fffff
	s_movk_i32 s52, 0x1000
	s_movk_i32 s53, 0x2000
	;; [unrolled: 1-line block ×3, first 2 shown]
	v_add_u32_e32 v19, 64, v6
	v_xor_b32_e32 v20, 2, v18
	v_xor_b32_e32 v21, 1, v18
	v_mov_b32_e32 v12, 0xff7fffff
	v_mov_b32_e32 v22, v70
	s_branch .LBB35_14
.LBB35_12:                              ;   in Loop: Header=BB35_14 Depth=1
	s_or_b64 exec, exec, s[44:45]
.LBB35_13:                              ;   in Loop: Header=BB35_14 Depth=1
	s_or_b64 exec, exec, s[10:11]
	v_add_u32_e32 v22, 2, v22
	v_cmp_le_i32_e64 s[8:9], s24, v22
	v_lshl_add_u64 v[4:5], v[4:5], 0, 8
	v_add_u32_e32 v14, 32, v14
	s_or_b64 s[12:13], s[8:9], s[12:13]
	v_add_u32_e32 v15, 0x80, v15
	s_andn2_b64 exec, exec, s[12:13]
	s_cbranch_execz .LBB35_19
.LBB35_14:                              ; =>This Inner Loop Header: Depth=1
	s_waitcnt lgkmcnt(0)
	v_sub_u32_e32 v7, 0, v14
	v_max_i32_e32 v7, v14, v7
	v_mul_hi_u32 v23, v7, s31
	v_mul_lo_u32 v24, v23, s16
	v_sub_u32_e32 v7, v7, v24
	v_add_u32_e32 v24, 1, v23
	v_cmp_le_u32_e64 s[8:9], s16, v7
	v_ashrrev_i32_e32 v6, 31, v14
	v_xor_b32_e32 v6, s27, v6
	v_cndmask_b32_e64 v23, v23, v24, s[8:9]
	v_subrev_u32_e32 v24, s16, v7
	v_cndmask_b32_e64 v7, v7, v24, s[8:9]
	v_add_u32_e32 v24, 1, v23
	v_cmp_le_u32_e64 s[8:9], s16, v7
	s_nop 1
	v_cndmask_b32_e64 v7, v23, v24, s[8:9]
	v_xor_b32_e32 v7, v7, v6
	v_sub_u32_e32 v6, v7, v6
	v_add_u32_e32 v7, s46, v6
	v_sub_u32_e32 v24, 0, v7
	v_ashrrev_i32_e32 v23, 31, v7
	v_max_i32_e32 v7, v7, v24
	v_mul_hi_u32 v24, v7, v13
	v_mul_lo_u32 v24, v24, s19
	v_sub_u32_e32 v7, v7, v24
	v_subrev_u32_e32 v24, s19, v7
	v_cmp_le_u32_e64 s[8:9], s19, v7
	v_cmp_ge_i32_e64 s[10:11], s50, v6
	s_nop 0
	v_cndmask_b32_e64 v7, v7, v24, s[8:9]
	v_subrev_u32_e32 v24, s19, v7
	v_cmp_le_u32_e64 s[8:9], s19, v7
	s_nop 1
	v_cndmask_b32_e64 v7, v7, v24, s[8:9]
	v_xor_b32_e32 v7, v7, v23
	v_sub_u32_e32 v7, v7, v23
	v_cmp_ne_u32_e64 s[8:9], 0, v7
	s_and_b64 s[8:9], s[8:9], s[10:11]
	s_and_b64 s[44:45], vcc, s[8:9]
	s_and_saveexec_b64 s[10:11], s[44:45]
	s_cbranch_execz .LBB35_16
; %bb.15:                               ;   in Loop: Header=BB35_14 Depth=1
	ds_write_b32 v15, v17
.LBB35_16:                              ;   in Loop: Header=BB35_14 Depth=1
	s_or_b64 exec, exec, s[10:11]
	s_xor_b64 s[8:9], s[8:9], -1
	s_and_saveexec_b64 s[10:11], s[8:9]
	s_cbranch_execz .LBB35_13
; %bb.17:                               ;   in Loop: Header=BB35_14 Depth=1
	global_load_dword v6, v[4:5], off
	s_waitcnt vmcnt(0)
	v_mad_i64_i32 v[6:7], s[8:9], v6, s51, 0
	v_lshl_add_u64 v[6:7], v[6:7], 2, v[2:3]
	global_load_dword v23, v[6:7], off offset:256
	global_load_dword v40, v[6:7], off
	global_load_dword v41, v[6:7], off offset:512
	global_load_dword v42, v[6:7], off offset:768
	;; [unrolled: 1-line block ×14, first 2 shown]
	v_add_co_u32_e64 v36, s[8:9], s52, v6
	s_nop 1
	v_addc_co_u32_e64 v37, s[8:9], 0, v7, s[8:9]
	v_add_co_u32_e64 v38, s[8:9], s53, v6
	s_nop 1
	v_addc_co_u32_e64 v39, s[8:9], 0, v7, s[8:9]
	global_load_dword v55, v[38:39], off offset:-4096
	global_load_dword v56, v[36:37], off offset:256
	global_load_dword v57, v[36:37], off offset:512
	;; [unrolled: 1-line block ×3, first 2 shown]
	ds_read_b128 v[24:27], v11
	ds_read_b128 v[28:31], v11 offset:16
	ds_read_b128 v[32:35], v11 offset:32
	global_load_dword v59, v[36:37], off offset:1024
	global_load_dword v60, v[36:37], off offset:1280
	;; [unrolled: 1-line block ×11, first 2 shown]
	s_nop 0
	global_load_dword v36, v[36:37], off offset:3840
	v_add_co_u32_e64 v6, s[8:9], s54, v6
	s_waitcnt vmcnt(31) lgkmcnt(2)
	v_mul_f32_e32 v23, v25, v23
	s_waitcnt vmcnt(30)
	v_fmac_f32_e32 v23, v24, v40
	s_waitcnt vmcnt(29)
	v_fmac_f32_e32 v23, v26, v41
	;; [unrolled: 2-line block ×3, first 2 shown]
	global_load_dword v40, v[38:39], off
	global_load_dword v41, v[38:39], off offset:256
	global_load_dword v42, v[38:39], off offset:512
	;; [unrolled: 1-line block ×7, first 2 shown]
	s_waitcnt vmcnt(35) lgkmcnt(1)
	v_fmac_f32_e32 v23, v28, v43
	s_waitcnt vmcnt(34)
	v_fmac_f32_e32 v23, v29, v44
	s_waitcnt vmcnt(33)
	;; [unrolled: 2-line block ×3, first 2 shown]
	v_fmac_f32_e32 v23, v31, v46
	s_waitcnt vmcnt(31) lgkmcnt(0)
	v_fmac_f32_e32 v23, v32, v47
	global_load_dword v44, v[38:39], off offset:2048
	global_load_dword v45, v[38:39], off offset:2304
	;; [unrolled: 1-line block ×8, first 2 shown]
	ds_read_b128 v[24:27], v11 offset:48
	s_waitcnt vmcnt(38)
	v_fmac_f32_e32 v23, v33, v48
	v_addc_co_u32_e64 v7, s[8:9], 0, v7, s[8:9]
	s_waitcnt vmcnt(37)
	v_fmac_f32_e32 v23, v34, v49
	s_waitcnt vmcnt(36)
	v_fmac_f32_e32 v23, v35, v50
	ds_read_b128 v[28:31], v11 offset:64
	ds_read_b128 v[32:35], v11 offset:80
	global_load_dword v47, v[6:7], off
	global_load_dword v48, v[6:7], off offset:3840
	s_waitcnt vmcnt(37) lgkmcnt(2)
	v_fmac_f32_e32 v23, v24, v51
	s_waitcnt vmcnt(36)
	v_fmac_f32_e32 v23, v25, v52
	s_waitcnt vmcnt(35)
	;; [unrolled: 2-line block ×3, first 2 shown]
	v_fmac_f32_e32 v23, v27, v54
	s_waitcnt vmcnt(33) lgkmcnt(1)
	v_fmac_f32_e32 v23, v28, v55
	s_waitcnt vmcnt(32)
	v_fmac_f32_e32 v23, v29, v56
	global_load_dword v49, v[6:7], off offset:256
	global_load_dword v50, v[6:7], off offset:512
	;; [unrolled: 1-line block ×8, first 2 shown]
	s_waitcnt vmcnt(39)
	v_fmac_f32_e32 v23, v30, v57
	s_waitcnt vmcnt(38)
	v_fmac_f32_e32 v23, v31, v58
	global_load_dword v57, v[6:7], off offset:2304
	global_load_dword v58, v[6:7], off offset:2560
	;; [unrolled: 1-line block ×5, first 2 shown]
	s_nop 0
	global_load_dword v6, v[6:7], off offset:3584
	ds_read_b128 v[24:27], v11 offset:96
	ds_read_b128 v[28:31], v11 offset:112
	s_waitcnt vmcnt(43) lgkmcnt(2)
	v_fmac_f32_e32 v23, v32, v59
	s_waitcnt vmcnt(42)
	v_fmac_f32_e32 v23, v33, v60
	s_waitcnt vmcnt(41)
	;; [unrolled: 2-line block ×3, first 2 shown]
	v_fmac_f32_e32 v23, v35, v62
	s_waitcnt vmcnt(39) lgkmcnt(1)
	v_fmac_f32_e32 v23, v24, v63
	s_waitcnt vmcnt(38)
	v_fmac_f32_e32 v23, v25, v64
	s_waitcnt vmcnt(37)
	;; [unrolled: 2-line block ×3, first 2 shown]
	v_fmac_f32_e32 v23, v27, v66
	ds_read_b128 v[24:27], v11 offset:128
	ds_read_b128 v[32:35], v11 offset:144
	s_waitcnt vmcnt(35) lgkmcnt(2)
	v_fmac_f32_e32 v23, v28, v67
	s_waitcnt vmcnt(34)
	v_fmac_f32_e32 v23, v29, v68
	s_waitcnt vmcnt(33)
	;; [unrolled: 2-line block ×3, first 2 shown]
	v_fmac_f32_e32 v23, v31, v36
	ds_read_b128 v[28:31], v11 offset:160
	ds_read_b128 v[36:39], v11 offset:176
	v_cmp_lt_i32_e64 s[8:9], v20, v19
	s_waitcnt vmcnt(31) lgkmcnt(3)
	v_fmac_f32_e32 v23, v24, v40
	s_waitcnt vmcnt(30)
	v_fmac_f32_e32 v23, v25, v41
	s_waitcnt vmcnt(29)
	v_fmac_f32_e32 v23, v26, v42
	s_waitcnt vmcnt(28)
	v_fmac_f32_e32 v23, v27, v72
	s_waitcnt vmcnt(27) lgkmcnt(2)
	v_fmac_f32_e32 v23, v32, v73
	s_waitcnt vmcnt(26)
	v_fmac_f32_e32 v23, v33, v74
	s_waitcnt vmcnt(25)
	v_fmac_f32_e32 v23, v34, v75
	s_waitcnt vmcnt(24)
	v_fmac_f32_e32 v23, v35, v76
	;; [unrolled: 8-line block ×3, first 2 shown]
	ds_read_b128 v[24:27], v11 offset:192
	ds_read_b128 v[40:43], v11 offset:208
	s_waitcnt vmcnt(19) lgkmcnt(2)
	v_fmac_f32_e32 v23, v36, v78
	s_waitcnt vmcnt(18)
	v_fmac_f32_e32 v23, v37, v79
	s_waitcnt vmcnt(17)
	;; [unrolled: 2-line block ×3, first 2 shown]
	v_fmac_f32_e32 v23, v39, v81
	ds_read_b128 v[28:31], v11 offset:240
	v_cndmask_b32_e64 v7, v18, v20, s[8:9]
	v_lshlrev_b32_e32 v7, 2, v7
	v_cmp_lt_i32_e64 s[8:9], v21, v19
	s_waitcnt vmcnt(15) lgkmcnt(2)
	v_fmac_f32_e32 v23, v24, v47
	s_waitcnt vmcnt(13)
	v_fmac_f32_e32 v23, v25, v49
	s_waitcnt vmcnt(12)
	;; [unrolled: 2-line block ×3, first 2 shown]
	v_fmac_f32_e32 v23, v51, v27
	ds_read_b128 v[24:27], v11 offset:224
	s_waitcnt vmcnt(10) lgkmcnt(2)
	v_fmac_f32_e32 v23, v52, v40
	s_waitcnt vmcnt(9)
	v_fmac_f32_e32 v23, v53, v41
	s_waitcnt vmcnt(8)
	;; [unrolled: 2-line block ×3, first 2 shown]
	v_fmac_f32_e32 v23, v55, v43
	s_waitcnt vmcnt(6) lgkmcnt(0)
	v_fmac_f32_e32 v23, v56, v24
	s_waitcnt vmcnt(5)
	v_fmac_f32_e32 v23, v57, v25
	s_waitcnt vmcnt(4)
	;; [unrolled: 2-line block ×6, first 2 shown]
	v_fmac_f32_e32 v23, v6, v30
	v_fmac_f32_e32 v23, v48, v31
	ds_bpermute_b32 v6, v7, v23
	v_cndmask_b32_e64 v7, v18, v21, s[8:9]
	v_lshlrev_b32_e32 v7, 2, v7
	s_waitcnt lgkmcnt(0)
	v_add_f32_e32 v6, v23, v6
	ds_bpermute_b32 v7, v7, v6
	s_and_saveexec_b64 s[44:45], vcc
	s_cbranch_execz .LBB35_12
; %bb.18:                               ;   in Loop: Header=BB35_14 Depth=1
	v_add_u32_e32 v23, v16, v14
	v_cvt_f32_i32_e32 v23, v23
	s_waitcnt lgkmcnt(0)
	v_add_f32_e32 v6, v6, v7
	v_add_u32_e32 v24, v10, v14
	v_cmp_gt_i32_e64 s[8:9], s37, v24
	v_mul_f32_e32 v7, s3, v23
	v_cndmask_b32_e64 v7, 0, v7, s[6:7]
	v_fmac_f32_e32 v7, s41, v6
	v_cndmask_b32_e64 v6, 0, v7, s[8:9]
	ds_write_b32 v15, v6
	v_max_f32_e32 v6, v12, v12
	v_max_f32_e32 v6, v6, v7
	v_cndmask_b32_e64 v12, v12, v6, s[8:9]
	s_branch .LBB35_12
.LBB35_19:
	s_or_b64 exec, exec, s[12:13]
.LBB35_20:
	s_or_b64 exec, exec, s[42:43]
	v_mbcnt_hi_u32_b32 v2, -1, v9
	v_and_b32_e32 v3, 64, v2
	v_add_u32_e32 v3, 64, v3
	v_xor_b32_e32 v4, 32, v2
	v_cmp_lt_i32_e32 vcc, v4, v3
	s_waitcnt lgkmcnt(0)
	v_xor_b32_e32 v7, 16, v2
	v_max_f32_e32 v6, v12, v12
	v_cndmask_b32_e32 v4, v2, v4, vcc
	v_lshlrev_b32_e32 v5, 2, v4
	ds_bpermute_b32 v4, v5, v12
	v_cmp_lt_i32_e32 vcc, v7, v3
	v_xor_b32_e32 v9, 8, v2
	v_and_b32_e32 v119, 63, v0
	s_waitcnt lgkmcnt(0)
	v_max_f32_e32 v4, v4, v4
	v_max_f32_e32 v4, v6, v4
	v_cndmask_b32_e32 v6, v2, v7, vcc
	v_lshlrev_b32_e32 v6, 2, v6
	ds_bpermute_b32 v7, v6, v4
	v_cmp_lt_i32_e32 vcc, v9, v3
	s_waitcnt lgkmcnt(0)
	v_max_f32_e32 v7, v7, v7
	v_max_f32_e32 v4, v4, v7
	v_cndmask_b32_e32 v7, v2, v9, vcc
	v_lshlrev_b32_e32 v10, 2, v7
	ds_bpermute_b32 v7, v10, v4
	v_xor_b32_e32 v9, 4, v2
	v_cmp_lt_i32_e32 vcc, v9, v3
	s_waitcnt lgkmcnt(0)
	v_max_f32_e32 v7, v7, v7
	v_max_f32_e32 v4, v4, v7
	v_cndmask_b32_e32 v7, v2, v9, vcc
	v_lshlrev_b32_e32 v11, 2, v7
	ds_bpermute_b32 v9, v11, v4
	v_cmp_eq_u32_e32 vcc, 0, v119
	v_lshlrev_b32_e32 v7, 2, v8
	s_and_saveexec_b64 s[6:7], vcc
	s_cbranch_execz .LBB35_22
; %bb.21:
	s_waitcnt lgkmcnt(0)
	v_max_f32_e32 v9, v9, v9
	v_max_f32_e32 v4, v4, v4
	;; [unrolled: 1-line block ×3, first 2 shown]
	ds_write_b32 v7, v4 offset:1024
.LBB35_22:
	s_or_b64 exec, exec, s[6:7]
	v_cmp_gt_u32_e64 s[6:7], 2, v119
	v_mov_b32_e32 v4, 0xff7fffff
	s_waitcnt lgkmcnt(0)
	v_lshlrev_b32_e32 v9, 2, v119
	s_barrier
	s_and_saveexec_b64 s[8:9], s[6:7]
	s_cbranch_execz .LBB35_24
; %bb.23:
	ds_read_b32 v4, v9 offset:1024
.LBB35_24:
	s_or_b64 exec, exec, s[8:9]
	v_xor_b32_e32 v12, 1, v2
	v_cmp_lt_i32_e64 s[8:9], v12, v3
	s_sub_i32 s3, s24, s40
	s_lshl_b32 s3, s3, 4
	v_cndmask_b32_e64 v12, v2, v12, s[8:9]
	v_lshlrev_b32_e32 v120, 2, v12
	s_waitcnt lgkmcnt(0)
	ds_bpermute_b32 v12, v120, v4
	v_max_f32_e32 v4, v4, v4
	s_add_i32 s3, s3, s49
	s_min_i32 s19, s3, s37
	s_sub_i32 s3, s19, s49
	s_waitcnt lgkmcnt(0)
	v_max_f32_e32 v12, v12, v12
	v_max_f32_e32 v4, v4, v12
	v_lshlrev_b32_e32 v12, 2, v2
	v_and_b32_e32 v12, 0x100, v12
	ds_bpermute_b32 v4, v12, v4
	v_cmp_gt_i32_e64 s[8:9], s3, v0
	v_mov_b32_e32 v13, 0
	s_and_saveexec_b64 s[12:13], s[8:9]
	s_cbranch_execz .LBB35_28
; %bb.25:
	v_mov_b32_e32 v13, 0x410
	v_lshl_add_u32 v14, v0, 2, v13
	s_mov_b64 s[40:41], 0
	v_mov_b32_e32 v13, 0
	v_mov_b32_e32 v15, v0
.LBB35_26:                              ; =>This Inner Loop Header: Depth=1
	ds_read_b32 v16, v14
	v_add_u32_e32 v15, 0x80, v15
	v_cmp_le_i32_e64 s[10:11], s3, v15
	s_or_b64 s[40:41], s[10:11], s[40:41]
	s_waitcnt lgkmcnt(0)
	v_sub_f32_e32 v16, v16, v4
	v_mul_f32_e32 v16, 0x3fb8aa3b, v16
	v_exp_f32_e32 v16, v16
	ds_write_b32 v14, v16
	v_add_f32_e32 v13, v13, v16
	v_add_u32_e32 v14, 0x200, v14
	s_andn2_b64 exec, exec, s[40:41]
	s_cbranch_execnz .LBB35_26
; %bb.27:
	s_or_b64 exec, exec, s[40:41]
.LBB35_28:
	s_or_b64 exec, exec, s[12:13]
	ds_bpermute_b32 v5, v5, v13
	s_waitcnt lgkmcnt(0)
	v_add_f32_e32 v5, v13, v5
	ds_bpermute_b32 v6, v6, v5
	s_waitcnt lgkmcnt(0)
	v_add_f32_e32 v5, v5, v6
	ds_bpermute_b32 v6, v10, v5
	v_xor_b32_e32 v10, 2, v2
	v_cmp_lt_i32_e64 s[10:11], v10, v3
	s_waitcnt lgkmcnt(0)
	v_add_f32_e32 v5, v5, v6
	ds_bpermute_b32 v6, v11, v5
	v_cndmask_b32_e64 v2, v2, v10, s[10:11]
	v_lshlrev_b32_e32 v121, 2, v2
	s_waitcnt lgkmcnt(0)
	v_add_f32_e32 v3, v5, v6
	ds_bpermute_b32 v2, v121, v3
	s_waitcnt lgkmcnt(0)
	v_add_f32_e32 v2, v3, v2
	ds_bpermute_b32 v3, v120, v2
	s_waitcnt lgkmcnt(0)
	v_add_f32_e32 v2, v2, v3
	s_and_saveexec_b64 s[10:11], vcc
	s_cbranch_execz .LBB35_30
; %bb.29:
	ds_write_b32 v7, v2 offset:1032
.LBB35_30:
	s_or_b64 exec, exec, s[10:11]
	s_waitcnt lgkmcnt(0)
	s_barrier
	s_and_saveexec_b64 s[10:11], s[6:7]
	s_cbranch_execz .LBB35_32
; %bb.31:
	ds_read_b32 v2, v9 offset:1032
.LBB35_32:
	s_or_b64 exec, exec, s[10:11]
	s_waitcnt lgkmcnt(0)
	ds_bpermute_b32 v3, v120, v2
	s_waitcnt lgkmcnt(0)
	v_add_f32_e32 v2, v2, v3
	ds_bpermute_b32 v5, v12, v2
	s_and_saveexec_b64 s[6:7], s[8:9]
	s_cbranch_execz .LBB35_45
; %bb.33:
	s_waitcnt lgkmcnt(0)
	v_add_f32_e32 v2, 0x358637bd, v5
	v_div_scale_f32 v3, s[8:9], v2, v2, 1.0
	v_rcp_f32_e32 v6, v3
	v_div_scale_f32 v7, vcc, 1.0, v2, 1.0
	s_movk_i32 s8, 0x7f
	v_fma_f32 v9, -v3, v6, 1.0
	v_fmac_f32_e32 v6, v9, v6
	v_mul_f32_e32 v9, v7, v6
	v_fma_f32 v10, -v3, v9, v7
	v_fmac_f32_e32 v9, v10, v6
	v_fma_f32 v3, -v3, v9, v7
	v_div_fmas_f32 v3, v3, v6, v9
	v_div_fixup_f32 v2, v3, v2, 1.0
	v_xad_u32 v3, v0, -1, s19
	v_subrev_u32_e32 v6, s49, v3
	v_cmp_lt_u32_e32 vcc, s8, v6
	s_mov_b64 s[10:11], -1
	v_mov_b32_e32 v3, v0
	s_and_saveexec_b64 s[8:9], vcc
	s_cbranch_execz .LBB35_42
; %bb.34:
	v_lshrrev_b32_e32 v6, 7, v6
	v_add_u32_e32 v9, -1, v6
	v_lshrrev_b32_e32 v7, 1, v9
	v_mov_b32_e32 v3, v2
	v_add_u32_e32 v7, 1, v7
	v_cmp_lt_u32_e32 vcc, 13, v9
	v_mov_b32_e32 v11, 0
	s_and_saveexec_b64 s[10:11], vcc
	s_cbranch_execz .LBB35_38
; %bb.35:
	v_mov_b32_e32 v10, 0x410
	v_and_b32_e32 v9, -8, v7
	v_lshl_add_u32 v10, v0, 2, v10
	s_mov_b32 s19, 0
	s_mov_b64 s[12:13], 0
.LBB35_36:                              ; =>This Inner Loop Header: Depth=1
	ds_read2st64_b32 v[12:13], v10 offset1:2
	ds_read2st64_b32 v[14:15], v10 offset0:4 offset1:6
	ds_read2st64_b32 v[16:17], v10 offset0:8 offset1:10
	;; [unrolled: 1-line block ×3, first 2 shown]
	v_add_u32_e32 v9, -8, v9
	s_waitcnt lgkmcnt(3)
	v_pk_mul_f32 v[12:13], v[2:3], v[12:13]
	s_waitcnt lgkmcnt(2)
	v_pk_mul_f32 v[14:15], v[2:3], v[14:15]
	ds_write2st64_b32 v10, v12, v13 offset1:2
	ds_write2st64_b32 v10, v14, v15 offset0:4 offset1:6
	ds_read2st64_b32 v[14:15], v10 offset0:16 offset1:18
	s_waitcnt lgkmcnt(4)
	v_pk_mul_f32 v[12:13], v[2:3], v[16:17]
	ds_write2st64_b32 v10, v12, v13 offset0:8 offset1:10
	s_waitcnt lgkmcnt(4)
	v_pk_mul_f32 v[12:13], v[2:3], v[18:19]
	ds_write2st64_b32 v10, v12, v13 offset0:12 offset1:14
	ds_read2st64_b32 v[12:13], v10 offset0:20 offset1:22
	s_waitcnt lgkmcnt(3)
	v_pk_mul_f32 v[14:15], v[2:3], v[14:15]
	ds_read2st64_b32 v[16:17], v10 offset0:24 offset1:26
	ds_write2st64_b32 v10, v14, v15 offset0:16 offset1:18
	ds_read2st64_b32 v[14:15], v10 offset0:28 offset1:30
	s_waitcnt lgkmcnt(3)
	v_pk_mul_f32 v[12:13], v[2:3], v[12:13]
	ds_write2st64_b32 v10, v12, v13 offset0:20 offset1:22
	s_waitcnt lgkmcnt(3)
	v_pk_mul_f32 v[12:13], v[2:3], v[16:17]
	ds_write2st64_b32 v10, v12, v13 offset0:24 offset1:26
	s_waitcnt lgkmcnt(2)
	v_pk_mul_f32 v[12:13], v[2:3], v[14:15]
	s_add_i32 s19, s19, 16
	v_cmp_eq_u32_e32 vcc, 0, v9
	ds_write2st64_b32 v10, v12, v13 offset0:28 offset1:30
	v_add_u32_e32 v10, 0x2000, v10
	s_or_b64 s[12:13], vcc, s[12:13]
	v_mov_b32_e32 v11, s19
	s_andn2_b64 exec, exec, s[12:13]
	s_cbranch_execnz .LBB35_36
; %bb.37:
	s_or_b64 exec, exec, s[12:13]
.LBB35_38:
	s_or_b64 exec, exec, s[10:11]
	v_and_b32_e32 v7, 7, v7
	v_cmp_ne_u32_e32 vcc, 0, v7
	s_and_saveexec_b64 s[10:11], vcc
	s_cbranch_execz .LBB35_41
; %bb.39:
	v_lshlrev_b32_e32 v9, 9, v11
	v_lshlrev_b32_e32 v10, 2, v0
	s_movk_i32 s12, 0x410
	v_add3_u32 v9, v9, v10, s12
	s_mov_b64 s[12:13], 0
.LBB35_40:                              ; =>This Inner Loop Header: Depth=1
	ds_read2st64_b32 v[10:11], v9 offset1:2
	v_add_u32_e32 v7, -1, v7
	v_cmp_eq_u32_e32 vcc, 0, v7
	s_or_b64 s[12:13], vcc, s[12:13]
	s_waitcnt lgkmcnt(0)
	v_pk_mul_f32 v[10:11], v[2:3], v[10:11]
	ds_write2st64_b32 v9, v10, v11 offset1:2
	v_add_u32_e32 v9, 0x400, v9
	s_andn2_b64 exec, exec, s[12:13]
	s_cbranch_execnz .LBB35_40
.LBB35_41:
	s_or_b64 exec, exec, s[10:11]
	v_add_u32_e32 v6, 1, v6
	v_and_b32_e32 v7, 0x3fffffe, v6
	v_cmp_ne_u32_e32 vcc, v6, v7
	v_lshl_add_u32 v3, v7, 7, v0
	s_orn2_b64 s[10:11], vcc, exec
.LBB35_42:
	s_or_b64 exec, exec, s[8:9]
	s_and_b64 exec, exec, s[10:11]
	s_cbranch_execz .LBB35_45
; %bb.43:
	v_mov_b32_e32 v6, 0x410
	v_lshl_add_u32 v6, v3, 2, v6
	s_mov_b64 s[8:9], 0
.LBB35_44:                              ; =>This Inner Loop Header: Depth=1
	ds_read_b32 v7, v6
	v_add_u32_e32 v3, 0x80, v3
	v_cmp_le_i32_e32 vcc, s3, v3
	s_or_b64 s[8:9], vcc, s[8:9]
	s_waitcnt lgkmcnt(0)
	v_mul_f32_e32 v7, v2, v7
	ds_write_b32 v6, v7
	v_add_u32_e32 v6, 0x200, v6
	s_andn2_b64 exec, exec, s[8:9]
	s_cbranch_execnz .LBB35_44
.LBB35_45:
	s_or_b64 exec, exec, s[6:7]
	s_mul_i32 s3, s33, s36
	v_cmp_eq_u32_e32 vcc, 0, v0
	s_mul_i32 s6, s3, s5
	s_waitcnt lgkmcnt(0)
	s_barrier
	s_and_saveexec_b64 s[8:9], vcc
	s_cbranch_execz .LBB35_47
; %bb.46:
	s_ashr_i32 s7, s6, 31
	s_lshl_b64 s[10:11], s[6:7], 2
	s_add_u32 s5, s22, s10
	s_mul_i32 s2, s33, s2
	s_addc_u32 s7, s23, s11
	s_ashr_i32 s3, s2, 31
	s_lshl_b64 s[2:3], s[2:3], 2
	s_add_u32 s19, s5, s2
	s_addc_u32 s7, s7, s3
	s_ashr_i32 s5, s4, 31
	s_lshl_b64 s[12:13], s[4:5], 2
	s_add_u32 s22, s19, s12
	s_addc_u32 s23, s7, s13
	s_add_u32 s5, s20, s10
	s_addc_u32 s7, s21, s11
	s_add_u32 s2, s5, s2
	s_addc_u32 s3, s7, s3
	s_add_u32 s2, s2, s12
	v_mov_b32_e32 v2, 0
	s_addc_u32 s3, s3, s13
	global_store_dword v2, v4, s[22:23]
	global_store_dword v2, v5, s[2:3]
.LBB35_47:
	s_or_b64 exec, exec, s[8:9]
	v_mov_b32_e32 v88, 0
	v_mov_b32_e32 v89, 0
	;; [unrolled: 1-line block ×16, first 2 shown]
	s_and_saveexec_b64 s[2:3], s[0:1]
	s_cbranch_execz .LBB35_85
; %bb.48:
	s_ashr_i32 s19, s18, 31
	s_sub_i32 s5, s48, s25
	s_lshl_b64 s[0:1], s[18:19], 2
	s_add_u32 s8, s14, s0
	s_mov_b32 s7, s17
	s_addc_u32 s9, s15, s1
	s_abs_i32 s17, s26
	v_cvt_f32_u32_e32 v5, s17
	v_lshlrev_b32_e32 v3, 2, v0
	s_sub_i32 s0, 0, s17
	v_and_b32_e32 v122, 12, v3
	v_rcp_iflag_f32_e32 v5, v5
	v_and_b32_e32 v2, 0xfc, v3
	v_or_b32_e32 v28, 0xf00, v3
	s_add_i32 s47, s47, -1
	v_mul_f32_e32 v5, 0x4f7ffffe, v5
	v_cvt_u32_f32_e32 v5, v5
	v_mov_b32_e32 v87, 0
	v_or_b32_e32 v4, 0x400, v2
	v_or_b32_e32 v6, 0x500, v2
	v_mul_lo_u32 v3, s0, v5
	v_mul_hi_u32 v3, v5, v3
	s_lshl_b64 s[0:1], s[38:39], 2
	v_add_u32_e32 v123, v5, v3
	s_add_u32 s0, s34, s0
	v_lshlrev_b32_e32 v3, 4, v117
	v_or_b32_e32 v10, 0x600, v2
	v_or_b32_e32 v12, 0x700, v2
	;; [unrolled: 1-line block ×9, first 2 shown]
	s_addc_u32 s1, s35, s1
	v_lshl_or_b32 v3, v8, 6, v3
	v_lshl_add_u64 v[90:91], v[70:71], 2, s[0:1]
	v_add_u32_e32 v71, 0x410, v3
	s_mov_b64 s[10:11], 0
	v_lshlrev_b32_e32 v92, 2, v2
	v_lshlrev_b32_e32 v86, 2, v4
	;; [unrolled: 1-line block ×13, first 2 shown]
	v_mov_b32_e32 v73, v87
	v_mov_b32_e32 v72, v87
	;; [unrolled: 1-line block ×16, first 2 shown]
	s_branch .LBB35_51
.LBB35_49:                              ;   in Loop: Header=BB35_51 Depth=1
	s_or_b64 exec, exec, s[0:1]
	s_waitcnt vmcnt(1) lgkmcnt(0)
	v_mul_f32_e32 v67, v3, v67
	v_mul_f32_e32 v63, v3, v63
	;; [unrolled: 1-line block ×15, first 2 shown]
	s_waitcnt vmcnt(0)
	v_mul_f32_e32 v3, v3, v59
	v_fmac_f32_e32 v67, v2, v66
	v_fmac_f32_e32 v63, v2, v62
	v_fmac_f32_e32 v55, v2, v54
	v_fmac_f32_e32 v51, v2, v50
	v_fmac_f32_e32 v47, v2, v46
	v_fmac_f32_e32 v43, v2, v42
	v_fmac_f32_e32 v39, v2, v38
	v_fmac_f32_e32 v35, v2, v34
	v_fmac_f32_e32 v31, v2, v30
	v_fmac_f32_e32 v27, v2, v26
	v_fmac_f32_e32 v23, v2, v22
	v_fmac_f32_e32 v19, v2, v18
	v_fmac_f32_e32 v15, v2, v14
	v_fmac_f32_e32 v11, v2, v10
	v_fmac_f32_e32 v7, v2, v6
	v_fmac_f32_e32 v3, v2, v58
	v_fmac_f32_e32 v67, v4, v68
	v_fmac_f32_e32 v63, v4, v64
	v_fmac_f32_e32 v55, v4, v56
	v_fmac_f32_e32 v51, v4, v52
	v_fmac_f32_e32 v47, v4, v48
	v_fmac_f32_e32 v43, v4, v44
	v_fmac_f32_e32 v39, v4, v40
	v_fmac_f32_e32 v35, v4, v36
	v_fmac_f32_e32 v31, v4, v32
	v_fmac_f32_e32 v27, v4, v28
	v_fmac_f32_e32 v23, v4, v24
	v_fmac_f32_e32 v19, v4, v20
	v_fmac_f32_e32 v15, v4, v16
	v_fmac_f32_e32 v11, v4, v12
	v_fmac_f32_e32 v7, v4, v8
	v_fmac_f32_e32 v3, v4, v60
	v_fmac_f32_e32 v67, v5, v69
	v_fmac_f32_e32 v63, v5, v65
	v_fmac_f32_e32 v55, v5, v57
	v_fmac_f32_e32 v51, v5, v53
	v_fmac_f32_e32 v47, v5, v49
	v_fmac_f32_e32 v43, v5, v45
	v_fmac_f32_e32 v39, v5, v41
	v_fmac_f32_e32 v35, v5, v37
	v_fmac_f32_e32 v31, v5, v33
	v_fmac_f32_e32 v27, v5, v29
	v_fmac_f32_e32 v23, v5, v25
	v_fmac_f32_e32 v19, v5, v21
	v_fmac_f32_e32 v15, v5, v17
	v_fmac_f32_e32 v11, v5, v13
	v_fmac_f32_e32 v7, v5, v9
	v_fmac_f32_e32 v3, v5, v61
	v_add_f32_e32 v72, v72, v67
	v_add_f32_e32 v75, v75, v63
	;; [unrolled: 1-line block ×16, first 2 shown]
.LBB35_50:                              ;   in Loop: Header=BB35_51 Depth=1
	s_or_b64 exec, exec, s[12:13]
	v_add_u32_e32 v70, 2, v70
	v_cmp_le_i32_e32 vcc, s24, v70
	v_lshl_add_u64 v[90:91], v[90:91], 0, 8
	v_add_u32_e32 v118, 32, v118
	s_or_b64 s[10:11], vcc, s[10:11]
	v_add_u32_e32 v71, 0x80, v71
	s_andn2_b64 exec, exec, s[10:11]
	s_cbranch_execz .LBB35_84
.LBB35_51:                              ; =>This Inner Loop Header: Depth=1
	v_sub_u32_e32 v3, 0, v118
	v_max_i32_e32 v3, v118, v3
	v_mul_hi_u32 v4, v3, s31
	v_mul_lo_u32 v5, v4, s16
	v_sub_u32_e32 v3, v3, v5
	v_add_u32_e32 v5, 1, v4
	v_cmp_le_u32_e32 vcc, s16, v3
	v_ashrrev_i32_e32 v2, 31, v118
	v_xor_b32_e32 v2, s27, v2
	v_cndmask_b32_e32 v4, v4, v5, vcc
	v_subrev_u32_e32 v5, s16, v3
	v_cndmask_b32_e32 v3, v3, v5, vcc
	v_add_u32_e32 v5, 1, v4
	v_cmp_le_u32_e32 vcc, s16, v3
	s_nop 1
	v_cndmask_b32_e32 v3, v4, v5, vcc
	v_xor_b32_e32 v3, v3, v2
	v_sub_u32_e32 v2, v3, v2
	v_add_u32_e32 v3, s46, v2
	v_sub_u32_e32 v5, 0, v3
	v_ashrrev_i32_e32 v4, 31, v3
	v_max_i32_e32 v3, v3, v5
	v_mul_hi_u32 v5, v3, v123
	v_mul_lo_u32 v5, v5, s17
	v_sub_u32_e32 v3, v3, v5
	v_subrev_u32_e32 v5, s17, v3
	v_cmp_le_u32_e32 vcc, s17, v3
	v_cmp_lt_i32_e64 s[0:1], s5, v2
	s_nop 0
	v_cndmask_b32_e32 v3, v3, v5, vcc
	v_subrev_u32_e32 v5, s17, v3
	v_cmp_le_u32_e32 vcc, s17, v3
	s_nop 1
	v_cndmask_b32_e32 v3, v3, v5, vcc
	v_xor_b32_e32 v3, v3, v4
	v_sub_u32_e32 v3, v3, v4
	v_cmp_eq_u32_e32 vcc, 0, v3
	s_or_b64 s[0:1], vcc, s[0:1]
	s_and_saveexec_b64 s[12:13], s[0:1]
	s_cbranch_execz .LBB35_50
; %bb.52:                               ;   in Loop: Header=BB35_51 Depth=1
	global_load_dword v2, v[90:91], off
	v_mov_b32_e32 v93, v87
	v_cmp_eq_u32_e32 vcc, s47, v70
	s_waitcnt vmcnt(0)
	v_mad_i64_i32 v[2:3], s[0:1], v2, s7, 0
	v_lshl_add_u64 v[58:59], v[2:3], 2, s[8:9]
	v_lshl_add_u64 v[18:19], v[58:59], 0, v[92:93]
	global_load_dwordx4 v[6:9], v[18:19], off
	ds_read_b128 v[2:5], v71
	v_add_u32_e32 v93, v122, v118
	v_add_u32_e32 v126, 1, v93
	;; [unrolled: 1-line block ×4, first 2 shown]
	s_and_saveexec_b64 s[14:15], vcc
	s_cbranch_execnz .LBB35_81
; %bb.53:                               ;   in Loop: Header=BB35_51 Depth=1
	s_or_b64 exec, exec, s[14:15]
	global_load_dwordx4 v[10:13], v[18:19], off offset:1024
	s_and_saveexec_b64 s[14:15], vcc
	s_cbranch_execnz .LBB35_82
.LBB35_54:                              ;   in Loop: Header=BB35_51 Depth=1
	s_or_b64 exec, exec, s[14:15]
	global_load_dwordx4 v[14:17], v[18:19], off offset:2048
	s_and_saveexec_b64 s[14:15], vcc
	s_cbranch_execnz .LBB35_83
.LBB35_55:                              ;   in Loop: Header=BB35_51 Depth=1
	s_or_b64 exec, exec, s[14:15]
	global_load_dwordx4 v[18:21], v[18:19], off offset:3072
	s_and_saveexec_b64 s[14:15], vcc
	s_cbranch_execz .LBB35_57
.LBB35_56:                              ;   in Loop: Header=BB35_51 Depth=1
	v_cmp_gt_i32_e64 s[0:1], s37, v93
	s_waitcnt vmcnt(0)
	s_nop 0
	v_cndmask_b32_e64 v18, 0, v18, s[0:1]
	v_cmp_gt_i32_e64 s[0:1], s37, v126
	s_nop 1
	v_cndmask_b32_e64 v19, 0, v19, s[0:1]
	v_cmp_gt_i32_e64 s[0:1], s37, v125
	;; [unrolled: 3-line block ×3, first 2 shown]
	s_nop 1
	v_cndmask_b32_e64 v21, 0, v21, s[0:1]
.LBB35_57:                              ;   in Loop: Header=BB35_51 Depth=1
	s_or_b64 exec, exec, s[14:15]
	v_lshl_add_u64 v[22:23], v[58:59], 0, v[86:87]
	global_load_dwordx4 v[22:25], v[22:23], off
	s_and_saveexec_b64 s[14:15], vcc
	s_cbranch_execz .LBB35_59
; %bb.58:                               ;   in Loop: Header=BB35_51 Depth=1
	v_cmp_gt_i32_e64 s[0:1], s37, v93
	s_waitcnt vmcnt(0)
	s_nop 0
	v_cndmask_b32_e64 v22, 0, v22, s[0:1]
	v_cmp_gt_i32_e64 s[0:1], s37, v126
	s_nop 1
	v_cndmask_b32_e64 v23, 0, v23, s[0:1]
	v_cmp_gt_i32_e64 s[0:1], s37, v125
	s_nop 1
	v_cndmask_b32_e64 v24, 0, v24, s[0:1]
	v_cmp_gt_i32_e64 s[0:1], s37, v124
	s_nop 1
	v_cndmask_b32_e64 v25, 0, v25, s[0:1]
.LBB35_59:                              ;   in Loop: Header=BB35_51 Depth=1
	s_or_b64 exec, exec, s[14:15]
	v_mov_b32_e32 v95, v87
	v_lshl_add_u64 v[26:27], v[58:59], 0, v[94:95]
	global_load_dwordx4 v[26:29], v[26:27], off
	s_and_saveexec_b64 s[14:15], vcc
	s_cbranch_execz .LBB35_61
; %bb.60:                               ;   in Loop: Header=BB35_51 Depth=1
	v_cmp_gt_i32_e64 s[0:1], s37, v93
	s_waitcnt vmcnt(0)
	s_nop 0
	v_cndmask_b32_e64 v26, 0, v26, s[0:1]
	v_cmp_gt_i32_e64 s[0:1], s37, v126
	s_nop 1
	v_cndmask_b32_e64 v27, 0, v27, s[0:1]
	v_cmp_gt_i32_e64 s[0:1], s37, v125
	s_nop 1
	v_cndmask_b32_e64 v28, 0, v28, s[0:1]
	v_cmp_gt_i32_e64 s[0:1], s37, v124
	s_nop 1
	v_cndmask_b32_e64 v29, 0, v29, s[0:1]
.LBB35_61:                              ;   in Loop: Header=BB35_51 Depth=1
	s_or_b64 exec, exec, s[14:15]
	v_mov_b32_e32 v97, v87
	;; [unrolled: 21-line block ×11, first 2 shown]
	v_lshl_add_u64 v[58:59], v[58:59], 0, v[114:115]
	global_load_dwordx4 v[58:61], v[58:59], off
	s_and_saveexec_b64 s[0:1], vcc
	s_cbranch_execz .LBB35_49
; %bb.80:                               ;   in Loop: Header=BB35_51 Depth=1
	v_cmp_gt_i32_e32 vcc, s37, v93
	s_waitcnt vmcnt(0)
	s_nop 0
	v_cndmask_b32_e32 v58, 0, v58, vcc
	v_cmp_gt_i32_e32 vcc, s37, v126
	s_nop 1
	v_cndmask_b32_e32 v59, 0, v59, vcc
	v_cmp_gt_i32_e32 vcc, s37, v125
	;; [unrolled: 3-line block ×3, first 2 shown]
	s_nop 1
	v_cndmask_b32_e32 v61, 0, v61, vcc
	s_branch .LBB35_49
.LBB35_81:                              ;   in Loop: Header=BB35_51 Depth=1
	v_cmp_gt_i32_e64 s[0:1], s37, v93
	s_waitcnt vmcnt(0)
	s_nop 0
	v_cndmask_b32_e64 v6, 0, v6, s[0:1]
	v_cmp_gt_i32_e64 s[0:1], s37, v126
	s_nop 1
	v_cndmask_b32_e64 v7, 0, v7, s[0:1]
	v_cmp_gt_i32_e64 s[0:1], s37, v125
	;; [unrolled: 3-line block ×3, first 2 shown]
	s_nop 1
	v_cndmask_b32_e64 v9, 0, v9, s[0:1]
	s_or_b64 exec, exec, s[14:15]
	global_load_dwordx4 v[10:13], v[18:19], off offset:1024
	s_and_saveexec_b64 s[14:15], vcc
	s_cbranch_execz .LBB35_54
.LBB35_82:                              ;   in Loop: Header=BB35_51 Depth=1
	v_cmp_gt_i32_e64 s[0:1], s37, v93
	s_waitcnt vmcnt(0)
	s_nop 0
	v_cndmask_b32_e64 v10, 0, v10, s[0:1]
	v_cmp_gt_i32_e64 s[0:1], s37, v126
	s_nop 1
	v_cndmask_b32_e64 v11, 0, v11, s[0:1]
	v_cmp_gt_i32_e64 s[0:1], s37, v125
	;; [unrolled: 3-line block ×3, first 2 shown]
	s_nop 1
	v_cndmask_b32_e64 v13, 0, v13, s[0:1]
	s_or_b64 exec, exec, s[14:15]
	global_load_dwordx4 v[14:17], v[18:19], off offset:2048
	s_and_saveexec_b64 s[14:15], vcc
	s_cbranch_execz .LBB35_55
.LBB35_83:                              ;   in Loop: Header=BB35_51 Depth=1
	v_cmp_gt_i32_e64 s[0:1], s37, v93
	s_waitcnt vmcnt(0)
	s_nop 0
	v_cndmask_b32_e64 v14, 0, v14, s[0:1]
	v_cmp_gt_i32_e64 s[0:1], s37, v126
	s_nop 1
	v_cndmask_b32_e64 v15, 0, v15, s[0:1]
	v_cmp_gt_i32_e64 s[0:1], s37, v125
	;; [unrolled: 3-line block ×3, first 2 shown]
	s_nop 1
	v_cndmask_b32_e64 v17, 0, v17, s[0:1]
	s_or_b64 exec, exec, s[14:15]
	global_load_dwordx4 v[18:21], v[18:19], off offset:3072
	s_and_saveexec_b64 s[14:15], vcc
	s_cbranch_execnz .LBB35_56
	s_branch .LBB35_57
.LBB35_84:
	s_or_b64 exec, exec, s[10:11]
.LBB35_85:
	s_or_b64 exec, exec, s[2:3]
	ds_bpermute_b32 v2, v121, v88
	ds_bpermute_b32 v3, v121, v89
	;; [unrolled: 1-line block ×6, first 2 shown]
	s_waitcnt lgkmcnt(4)
	v_pk_add_f32 v[2:3], v[88:89], v[2:3]
	ds_bpermute_b32 v6, v120, v2
	ds_bpermute_b32 v7, v120, v3
	s_waitcnt lgkmcnt(4)
	v_pk_add_f32 v[4:5], v[84:85], v[4:5]
	ds_bpermute_b32 v10, v120, v4
	ds_bpermute_b32 v11, v120, v5
	;; [unrolled: 1-line block ×3, first 2 shown]
	s_waitcnt lgkmcnt(3)
	v_pk_add_f32 v[2:3], v[2:3], v[6:7]
	v_pk_add_f32 v[6:7], v[82:83], v[8:9]
	ds_bpermute_b32 v8, v120, v6
	ds_bpermute_b32 v9, v120, v7
	;; [unrolled: 1-line block ×3, first 2 shown]
	s_waitcnt lgkmcnt(4)
	v_pk_add_f32 v[4:5], v[4:5], v[10:11]
	ds_bpermute_b32 v10, v121, v78
	ds_bpermute_b32 v11, v121, v79
	;; [unrolled: 1-line block ×6, first 2 shown]
	s_waitcnt lgkmcnt(7)
	v_pk_add_f32 v[6:7], v[6:7], v[8:9]
	s_waitcnt lgkmcnt(6)
	v_pk_add_f32 v[8:9], v[80:81], v[12:13]
	;; [unrolled: 2-line block ×3, first 2 shown]
	ds_bpermute_b32 v12, v120, v8
	ds_bpermute_b32 v13, v120, v9
	;; [unrolled: 1-line block ×4, first 2 shown]
	s_waitcnt lgkmcnt(6)
	v_pk_add_f32 v[18:19], v[74:75], v[18:19]
	ds_bpermute_b32 v26, v121, v72
	ds_bpermute_b32 v27, v121, v73
	;; [unrolled: 1-line block ×4, first 2 shown]
	s_waitcnt lgkmcnt(8)
	v_pk_add_f32 v[20:21], v[76:77], v[14:15]
	ds_bpermute_b32 v22, v120, v20
	ds_bpermute_b32 v23, v120, v21
	s_waitcnt lgkmcnt(8)
	v_pk_add_f32 v[14:15], v[8:9], v[12:13]
	s_waitcnt lgkmcnt(6)
	v_pk_add_f32 v[12:13], v[10:11], v[16:17]
	s_waitcnt lgkmcnt(4)
	v_pk_add_f32 v[16:17], v[72:73], v[26:27]
	s_waitcnt lgkmcnt(2)
	v_pk_add_f32 v[8:9], v[18:19], v[24:25]
	ds_bpermute_b32 v18, v120, v16
	ds_bpermute_b32 v19, v120, v17
	s_waitcnt lgkmcnt(2)
	v_pk_add_f32 v[10:11], v[20:21], v[22:23]
	v_and_b32_e32 v20, 0x3c3, v0
	v_cmp_ne_u32_e32 vcc, 64, v20
	s_waitcnt lgkmcnt(0)
	s_barrier
	s_and_saveexec_b64 s[0:1], vcc
	s_xor_b64 s[0:1], exec, s[0:1]
; %bb.86:
                                        ; implicit-def: $vgpr119
; %bb.87:
	s_or_saveexec_b64 s[0:1], s[0:1]
	v_pk_add_f32 v[16:17], v[16:17], v[18:19]
	s_xor_b64 exec, exec, s[0:1]
	s_cbranch_execz .LBB35_89
; %bb.88:
	v_add_u32_e32 v18, 0x410, v119
	ds_write2_b32 v18, v2, v3 offset1:16
	ds_write2_b32 v18, v4, v5 offset0:32 offset1:48
	ds_write2_b32 v18, v6, v7 offset0:64 offset1:80
	;; [unrolled: 1-line block ×7, first 2 shown]
.LBB35_89:
	s_or_b64 exec, exec, s[0:1]
	v_cmp_gt_u32_e32 vcc, 64, v0
	s_waitcnt lgkmcnt(0)
	s_barrier
	s_and_saveexec_b64 s[0:1], vcc
	s_cbranch_execz .LBB35_108
; %bb.90:
	v_cmp_eq_u32_e32 vcc, 0, v117
	s_and_saveexec_b64 s[2:3], vcc
	s_cbranch_execnz .LBB35_111
; %bb.91:
	s_or_b64 exec, exec, s[2:3]
	s_and_saveexec_b64 s[2:3], vcc
	s_cbranch_execnz .LBB35_112
.LBB35_92:
	s_or_b64 exec, exec, s[2:3]
	s_and_saveexec_b64 s[2:3], vcc
	s_cbranch_execnz .LBB35_113
.LBB35_93:
	s_or_b64 exec, exec, s[2:3]
	s_and_saveexec_b64 s[2:3], vcc
	s_cbranch_execnz .LBB35_114
.LBB35_94:
	s_or_b64 exec, exec, s[2:3]
	s_and_saveexec_b64 s[2:3], vcc
	s_cbranch_execnz .LBB35_115
.LBB35_95:
	s_or_b64 exec, exec, s[2:3]
	s_and_saveexec_b64 s[2:3], vcc
	s_cbranch_execnz .LBB35_116
.LBB35_96:
	s_or_b64 exec, exec, s[2:3]
	s_and_saveexec_b64 s[2:3], vcc
	s_cbranch_execnz .LBB35_117
.LBB35_97:
	s_or_b64 exec, exec, s[2:3]
	s_and_saveexec_b64 s[2:3], vcc
	s_cbranch_execnz .LBB35_118
.LBB35_98:
	s_or_b64 exec, exec, s[2:3]
	s_and_saveexec_b64 s[2:3], vcc
	s_cbranch_execnz .LBB35_119
.LBB35_99:
	s_or_b64 exec, exec, s[2:3]
	s_and_saveexec_b64 s[2:3], vcc
	s_cbranch_execnz .LBB35_120
.LBB35_100:
	s_or_b64 exec, exec, s[2:3]
	s_and_saveexec_b64 s[2:3], vcc
	s_cbranch_execnz .LBB35_121
.LBB35_101:
	s_or_b64 exec, exec, s[2:3]
	s_and_saveexec_b64 s[2:3], vcc
	s_cbranch_execnz .LBB35_122
.LBB35_102:
	s_or_b64 exec, exec, s[2:3]
	s_and_saveexec_b64 s[2:3], vcc
	s_cbranch_execnz .LBB35_123
.LBB35_103:
	s_or_b64 exec, exec, s[2:3]
	s_and_saveexec_b64 s[2:3], vcc
	s_cbranch_execnz .LBB35_124
.LBB35_104:
	s_or_b64 exec, exec, s[2:3]
	s_and_saveexec_b64 s[2:3], vcc
	s_cbranch_execnz .LBB35_125
.LBB35_105:
	s_or_b64 exec, exec, s[2:3]
	s_and_saveexec_b64 s[2:3], vcc
	s_cbranch_execz .LBB35_107
.LBB35_106:
	v_mov_b32_e32 v0, 0x410
	v_lshl_add_u32 v0, v116, 2, v0
	ds_read_b32 v0, v0 offset:960
	s_waitcnt lgkmcnt(0)
	v_add_f32_e32 v17, v17, v0
.LBB35_107:
	s_or_b64 exec, exec, s[2:3]
.LBB35_108:
	s_or_b64 exec, exec, s[0:1]
	v_cmp_eq_u32_e32 vcc, 0, v20
	s_barrier
	s_and_saveexec_b64 s[0:1], vcc
	s_cbranch_execz .LBB35_110
; %bb.109:
	s_lshl_b32 s0, s6, 8
	s_ashr_i32 s1, s0, 31
	s_lshl_b64 s[0:1], s[0:1], 2
	s_add_u32 s2, s28, s0
	s_mul_i32 s0, s33, s30
	s_addc_u32 s3, s29, s1
	s_ashr_i32 s1, s0, 31
	s_lshl_b64 s[0:1], s[0:1], 2
	s_add_u32 s2, s2, s0
	s_addc_u32 s3, s3, s1
	s_lshl_b32 s0, s4, 8
	s_ashr_i32 s1, s0, 31
	s_lshl_b64 s[0:1], s[0:1], 2
	s_add_u32 s0, s2, s0
	s_addc_u32 s1, s3, s1
	global_store_dword v1, v2, s[0:1]
	global_store_dword v1, v3, s[0:1] offset:64
	global_store_dword v1, v4, s[0:1] offset:128
	;; [unrolled: 1-line block ×15, first 2 shown]
.LBB35_110:
	s_endpgm
.LBB35_111:
	v_mov_b32_e32 v0, 0x410
	v_lshl_add_u32 v0, v116, 2, v0
	ds_read_b32 v0, v0
	s_waitcnt lgkmcnt(0)
	v_add_f32_e32 v2, v2, v0
	s_or_b64 exec, exec, s[2:3]
	s_and_saveexec_b64 s[2:3], vcc
	s_cbranch_execz .LBB35_92
.LBB35_112:
	v_mov_b32_e32 v0, 0x410
	v_lshl_add_u32 v0, v116, 2, v0
	ds_read_b32 v0, v0 offset:64
	s_waitcnt lgkmcnt(0)
	v_add_f32_e32 v3, v3, v0
	s_or_b64 exec, exec, s[2:3]
	s_and_saveexec_b64 s[2:3], vcc
	s_cbranch_execz .LBB35_93
.LBB35_113:
	v_mov_b32_e32 v0, 0x410
	v_lshl_add_u32 v0, v116, 2, v0
	ds_read_b32 v0, v0 offset:128
	s_waitcnt lgkmcnt(0)
	v_add_f32_e32 v4, v4, v0
	s_or_b64 exec, exec, s[2:3]
	s_and_saveexec_b64 s[2:3], vcc
	s_cbranch_execz .LBB35_94
.LBB35_114:
	v_mov_b32_e32 v0, 0x410
	v_lshl_add_u32 v0, v116, 2, v0
	ds_read_b32 v0, v0 offset:192
	s_waitcnt lgkmcnt(0)
	v_add_f32_e32 v5, v5, v0
	s_or_b64 exec, exec, s[2:3]
	s_and_saveexec_b64 s[2:3], vcc
	s_cbranch_execz .LBB35_95
.LBB35_115:
	v_mov_b32_e32 v0, 0x410
	v_lshl_add_u32 v0, v116, 2, v0
	ds_read_b32 v0, v0 offset:256
	s_waitcnt lgkmcnt(0)
	v_add_f32_e32 v6, v6, v0
	s_or_b64 exec, exec, s[2:3]
	s_and_saveexec_b64 s[2:3], vcc
	s_cbranch_execz .LBB35_96
.LBB35_116:
	v_mov_b32_e32 v0, 0x410
	v_lshl_add_u32 v0, v116, 2, v0
	ds_read_b32 v0, v0 offset:320
	s_waitcnt lgkmcnt(0)
	v_add_f32_e32 v7, v7, v0
	s_or_b64 exec, exec, s[2:3]
	s_and_saveexec_b64 s[2:3], vcc
	s_cbranch_execz .LBB35_97
.LBB35_117:
	v_mov_b32_e32 v0, 0x410
	v_lshl_add_u32 v0, v116, 2, v0
	ds_read_b32 v0, v0 offset:384
	s_waitcnt lgkmcnt(0)
	v_add_f32_e32 v14, v14, v0
	s_or_b64 exec, exec, s[2:3]
	s_and_saveexec_b64 s[2:3], vcc
	s_cbranch_execz .LBB35_98
.LBB35_118:
	v_mov_b32_e32 v0, 0x410
	v_lshl_add_u32 v0, v116, 2, v0
	ds_read_b32 v0, v0 offset:448
	s_waitcnt lgkmcnt(0)
	v_add_f32_e32 v15, v15, v0
	s_or_b64 exec, exec, s[2:3]
	s_and_saveexec_b64 s[2:3], vcc
	s_cbranch_execz .LBB35_99
.LBB35_119:
	v_mov_b32_e32 v0, 0x410
	v_lshl_add_u32 v0, v116, 2, v0
	ds_read_b32 v0, v0 offset:512
	s_waitcnt lgkmcnt(0)
	v_add_f32_e32 v12, v12, v0
	s_or_b64 exec, exec, s[2:3]
	s_and_saveexec_b64 s[2:3], vcc
	s_cbranch_execz .LBB35_100
.LBB35_120:
	v_mov_b32_e32 v0, 0x410
	v_lshl_add_u32 v0, v116, 2, v0
	ds_read_b32 v0, v0 offset:576
	s_waitcnt lgkmcnt(0)
	v_add_f32_e32 v13, v13, v0
	s_or_b64 exec, exec, s[2:3]
	s_and_saveexec_b64 s[2:3], vcc
	s_cbranch_execz .LBB35_101
.LBB35_121:
	v_mov_b32_e32 v0, 0x410
	v_lshl_add_u32 v0, v116, 2, v0
	ds_read_b32 v0, v0 offset:640
	s_waitcnt lgkmcnt(0)
	v_add_f32_e32 v10, v10, v0
	s_or_b64 exec, exec, s[2:3]
	s_and_saveexec_b64 s[2:3], vcc
	s_cbranch_execz .LBB35_102
.LBB35_122:
	v_mov_b32_e32 v0, 0x410
	v_lshl_add_u32 v0, v116, 2, v0
	ds_read_b32 v0, v0 offset:704
	s_waitcnt lgkmcnt(0)
	v_add_f32_e32 v11, v11, v0
	s_or_b64 exec, exec, s[2:3]
	s_and_saveexec_b64 s[2:3], vcc
	s_cbranch_execz .LBB35_103
.LBB35_123:
	v_mov_b32_e32 v0, 0x410
	v_lshl_add_u32 v0, v116, 2, v0
	ds_read_b32 v0, v0 offset:768
	s_waitcnt lgkmcnt(0)
	v_add_f32_e32 v8, v8, v0
	s_or_b64 exec, exec, s[2:3]
	s_and_saveexec_b64 s[2:3], vcc
	s_cbranch_execz .LBB35_104
.LBB35_124:
	v_mov_b32_e32 v0, 0x410
	v_lshl_add_u32 v0, v116, 2, v0
	ds_read_b32 v0, v0 offset:832
	s_waitcnt lgkmcnt(0)
	v_add_f32_e32 v9, v9, v0
	s_or_b64 exec, exec, s[2:3]
	s_and_saveexec_b64 s[2:3], vcc
	s_cbranch_execz .LBB35_105
.LBB35_125:
	v_mov_b32_e32 v0, 0x410
	v_lshl_add_u32 v0, v116, 2, v0
	ds_read_b32 v0, v0 offset:896
	s_waitcnt lgkmcnt(0)
	v_add_f32_e32 v16, v16, v0
	s_or_b64 exec, exec, s[2:3]
	s_and_saveexec_b64 s[2:3], vcc
	s_cbranch_execnz .LBB35_106
	s_branch .LBB35_107
	.section	.rodata,"a",@progbits
	.p2align	6, 0x0
	.amdhsa_kernel _ZN4vllm25paged_attention_v2_kernelIffLi256ELi16ELi128ELNS_18Fp8KVCacheDataTypeE0ELb1ELi512EEEvPfS2_PT_PKS3_PKT0_S9_ifPKiSB_iPKfiiiSD_SD_iiiii
		.amdhsa_group_segment_fixed_size 1040
		.amdhsa_private_segment_fixed_size 0
		.amdhsa_kernarg_size 400
		.amdhsa_user_sgpr_count 2
		.amdhsa_user_sgpr_dispatch_ptr 0
		.amdhsa_user_sgpr_queue_ptr 0
		.amdhsa_user_sgpr_kernarg_segment_ptr 1
		.amdhsa_user_sgpr_dispatch_id 0
		.amdhsa_user_sgpr_kernarg_preload_length 0
		.amdhsa_user_sgpr_kernarg_preload_offset 0
		.amdhsa_user_sgpr_private_segment_size 0
		.amdhsa_uses_dynamic_stack 0
		.amdhsa_enable_private_segment 0
		.amdhsa_system_sgpr_workgroup_id_x 1
		.amdhsa_system_sgpr_workgroup_id_y 1
		.amdhsa_system_sgpr_workgroup_id_z 1
		.amdhsa_system_sgpr_workgroup_info 0
		.amdhsa_system_vgpr_workitem_id 0
		.amdhsa_next_free_vgpr 127
		.amdhsa_next_free_sgpr 55
		.amdhsa_accum_offset 128
		.amdhsa_reserve_vcc 1
		.amdhsa_float_round_mode_32 0
		.amdhsa_float_round_mode_16_64 0
		.amdhsa_float_denorm_mode_32 3
		.amdhsa_float_denorm_mode_16_64 3
		.amdhsa_dx10_clamp 1
		.amdhsa_ieee_mode 1
		.amdhsa_fp16_overflow 0
		.amdhsa_tg_split 0
		.amdhsa_exception_fp_ieee_invalid_op 0
		.amdhsa_exception_fp_denorm_src 0
		.amdhsa_exception_fp_ieee_div_zero 0
		.amdhsa_exception_fp_ieee_overflow 0
		.amdhsa_exception_fp_ieee_underflow 0
		.amdhsa_exception_fp_ieee_inexact 0
		.amdhsa_exception_int_div_zero 0
	.end_amdhsa_kernel
	.section	.text._ZN4vllm25paged_attention_v2_kernelIffLi256ELi16ELi128ELNS_18Fp8KVCacheDataTypeE0ELb1ELi512EEEvPfS2_PT_PKS3_PKT0_S9_ifPKiSB_iPKfiiiSD_SD_iiiii,"axG",@progbits,_ZN4vllm25paged_attention_v2_kernelIffLi256ELi16ELi128ELNS_18Fp8KVCacheDataTypeE0ELb1ELi512EEEvPfS2_PT_PKS3_PKT0_S9_ifPKiSB_iPKfiiiSD_SD_iiiii,comdat
.Lfunc_end35:
	.size	_ZN4vllm25paged_attention_v2_kernelIffLi256ELi16ELi128ELNS_18Fp8KVCacheDataTypeE0ELb1ELi512EEEvPfS2_PT_PKS3_PKT0_S9_ifPKiSB_iPKfiiiSD_SD_iiiii, .Lfunc_end35-_ZN4vllm25paged_attention_v2_kernelIffLi256ELi16ELi128ELNS_18Fp8KVCacheDataTypeE0ELb1ELi512EEEvPfS2_PT_PKS3_PKT0_S9_ifPKiSB_iPKfiiiSD_SD_iiiii
                                        ; -- End function
	.section	.AMDGPU.csdata,"",@progbits
; Kernel info:
; codeLenInByte = 8904
; NumSgprs: 61
; NumVgprs: 127
; NumAgprs: 0
; TotalNumVgprs: 127
; ScratchSize: 0
; MemoryBound: 0
; FloatMode: 240
; IeeeMode: 1
; LDSByteSize: 1040 bytes/workgroup (compile time only)
; SGPRBlocks: 7
; VGPRBlocks: 15
; NumSGPRsForWavesPerEU: 61
; NumVGPRsForWavesPerEU: 127
; AccumOffset: 128
; Occupancy: 4
; WaveLimiterHint : 1
; COMPUTE_PGM_RSRC2:SCRATCH_EN: 0
; COMPUTE_PGM_RSRC2:USER_SGPR: 2
; COMPUTE_PGM_RSRC2:TRAP_HANDLER: 0
; COMPUTE_PGM_RSRC2:TGID_X_EN: 1
; COMPUTE_PGM_RSRC2:TGID_Y_EN: 1
; COMPUTE_PGM_RSRC2:TGID_Z_EN: 1
; COMPUTE_PGM_RSRC2:TIDIG_COMP_CNT: 0
; COMPUTE_PGM_RSRC3_GFX90A:ACCUM_OFFSET: 31
; COMPUTE_PGM_RSRC3_GFX90A:TG_SPLIT: 0
	.section	.text._ZN4vllm25paged_attention_v2_kernelIffLi32ELi16ELi128ELNS_18Fp8KVCacheDataTypeE0ELb0ELi512EEEvPfS2_PT_PKS3_PKT0_S9_ifPKiSB_iPKfiiiSD_SD_iiiii,"axG",@progbits,_ZN4vllm25paged_attention_v2_kernelIffLi32ELi16ELi128ELNS_18Fp8KVCacheDataTypeE0ELb0ELi512EEEvPfS2_PT_PKS3_PKT0_S9_ifPKiSB_iPKfiiiSD_SD_iiiii,comdat
	.protected	_ZN4vllm25paged_attention_v2_kernelIffLi32ELi16ELi128ELNS_18Fp8KVCacheDataTypeE0ELb0ELi512EEEvPfS2_PT_PKS3_PKT0_S9_ifPKiSB_iPKfiiiSD_SD_iiiii ; -- Begin function _ZN4vllm25paged_attention_v2_kernelIffLi32ELi16ELi128ELNS_18Fp8KVCacheDataTypeE0ELb0ELi512EEEvPfS2_PT_PKS3_PKT0_S9_ifPKiSB_iPKfiiiSD_SD_iiiii
	.globl	_ZN4vllm25paged_attention_v2_kernelIffLi32ELi16ELi128ELNS_18Fp8KVCacheDataTypeE0ELb0ELi512EEEvPfS2_PT_PKS3_PKT0_S9_ifPKiSB_iPKfiiiSD_SD_iiiii
	.p2align	8
	.type	_ZN4vllm25paged_attention_v2_kernelIffLi32ELi16ELi128ELNS_18Fp8KVCacheDataTypeE0ELb0ELi512EEEvPfS2_PT_PKS3_PKT0_S9_ifPKiSB_iPKfiiiSD_SD_iiiii,@function
_ZN4vllm25paged_attention_v2_kernelIffLi32ELi16ELi128ELNS_18Fp8KVCacheDataTypeE0ELb0ELi512EEEvPfS2_PT_PKS3_PKT0_S9_ifPKiSB_iPKfiiiSD_SD_iiiii: ; @_ZN4vllm25paged_attention_v2_kernelIffLi32ELi16ELi128ELNS_18Fp8KVCacheDataTypeE0ELb0ELi512EEEvPfS2_PT_PKS3_PKT0_S9_ifPKiSB_iPKfiiiSD_SD_iiiii
; %bb.0:
	s_load_dwordx2 s[6:7], s[0:1], 0x40
	s_mov_b32 s24, s3
	s_ashr_i32 s25, s3, 31
	s_lshl_b64 s[8:9], s[24:25], 2
	s_waitcnt lgkmcnt(0)
	s_add_u32 s6, s6, s8
	s_addc_u32 s7, s7, s9
	s_load_dword s25, s[6:7], 0x0
	s_lshl_b32 s40, s4, 9
	s_waitcnt lgkmcnt(0)
	s_cmp_ge_i32 s40, s25
	s_cbranch_scc1 .LBB36_58
; %bb.1:
	s_load_dword s5, s[0:1], 0x90
	s_load_dwordx2 s[10:11], s[0:1], 0x30
	s_waitcnt lgkmcnt(0)
	s_abs_i32 s7, s5
	s_abs_i32 s3, s10
	v_cvt_f32_u32_e32 v1, s3
	s_sub_i32 s8, 0, s3
	s_xor_b32 s6, s5, s10
	s_ashr_i32 s6, s6, 31
	v_rcp_iflag_f32_e32 v1, v1
	s_nop 0
	v_mul_f32_e32 v1, 0x4f7ffffe, v1
	v_cvt_u32_f32_e32 v1, v1
	s_nop 0
	v_readfirstlane_b32 s9, v1
	s_mul_i32 s8, s8, s9
	s_mul_hi_u32 s8, s9, s8
	s_add_i32 s9, s9, s8
	s_mul_hi_u32 s8, s7, s9
	s_mul_i32 s9, s8, s3
	s_sub_i32 s7, s7, s9
	s_add_i32 s10, s8, 1
	s_sub_i32 s9, s7, s3
	s_cmp_ge_u32 s7, s3
	s_cselect_b32 s8, s10, s8
	s_cselect_b32 s7, s9, s7
	s_add_i32 s9, s8, 1
	s_cmp_ge_u32 s7, s3
	s_cselect_b32 s3, s9, s8
	s_xor_b32 s3, s3, s6
	s_sub_i32 s12, s3, s6
	s_abs_i32 s8, s12
	v_cvt_f32_u32_e32 v1, s8
	s_load_dwordx2 s[6:7], s[0:1], 0x50
	s_sub_i32 s10, 0, s8
	s_abs_i32 s9, s2
	v_rcp_iflag_f32_e32 v1, v1
	s_mov_b32 s3, 0
	v_mul_f32_e32 v1, 0x4f7ffffe, v1
	v_cvt_u32_f32_e32 v1, v1
	s_nop 0
	v_readfirstlane_b32 s13, v1
	s_mul_i32 s10, s10, s13
	s_mul_hi_u32 s10, s13, s10
	s_add_i32 s13, s13, s10
	s_waitcnt lgkmcnt(0)
	s_cmp_eq_u64 s[6:7], 0
	s_mul_hi_u32 s10, s9, s13
	s_cbranch_scc1 .LBB36_3
; %bb.2:
	s_ashr_i32 s3, s2, 31
	s_lshl_b64 s[14:15], s[2:3], 2
	s_add_u32 s6, s6, s14
	s_addc_u32 s7, s7, s15
	s_load_dword s3, s[6:7], 0x0
.LBB36_3:
	s_ashr_i32 s17, s12, 31
	s_load_dwordx4 s[12:15], s[0:1], 0x58
	v_lshrrev_b32_e32 v22, 2, v0
	s_ashr_i32 s16, s2, 31
	v_and_b32_e32 v23, 3, v0
	s_lshl_b32 s20, s2, 5
	v_cmp_gt_u32_e32 vcc, 32, v0
	v_lshlrev_b32_e32 v18, 2, v0
	v_lshlrev_b32_e32 v1, 2, v22
	s_and_saveexec_b64 s[6:7], vcc
	s_cbranch_execz .LBB36_5
; %bb.4:
	s_load_dwordx2 s[18:19], s[0:1], 0x18
	s_waitcnt lgkmcnt(0)
	s_mul_i32 s22, s24, s12
	s_ashr_i32 s23, s22, 31
	s_lshl_b64 s[22:23], s[22:23], 2
	v_lshl_add_u32 v3, v23, 5, v1
	s_add_u32 s12, s18, s22
	s_addc_u32 s15, s19, s23
	s_ashr_i32 s21, s20, 31
	s_lshl_b64 s[18:19], s[20:21], 2
	s_add_u32 s18, s12, s18
	s_addc_u32 s19, s15, s19
	global_load_dword v2, v18, s[18:19]
	s_waitcnt vmcnt(0)
	ds_write_b32 v3, v2
.LBB36_5:
	s_or_b64 exec, exec, s[6:7]
	s_add_i32 s6, s25, 15
	s_ashr_i32 s7, s6, 31
	s_lshr_b32 s7, s7, 28
	s_add_i32 s6, s6, s7
	s_waitcnt lgkmcnt(0)
	s_lshl_b32 s12, s4, 5
	s_mul_i32 s7, s10, s8
	s_ashr_i32 s41, s6, 4
	s_add_i32 s6, s12, 32
	s_sub_i32 s7, s9, s7
	s_min_i32 s33, s6, s41
	s_xor_b32 s6, s16, s17
	s_add_i32 s9, s10, 1
	s_sub_i32 s15, s7, s8
	s_cmp_ge_u32 s7, s8
	s_cselect_b32 s9, s9, s10
	s_cselect_b32 s7, s15, s7
	s_add_i32 s10, s9, 1
	s_cmp_ge_u32 s7, s8
	s_load_dwordx2 s[26:27], s[0:1], 0x38
	s_load_dword s8, s[0:1], 0x48
	v_lshrrev_b32_e32 v20, 6, v0
	s_cselect_b32 s7, s10, s9
	s_xor_b32 s7, s7, s6
	v_or_b32_e32 v14, s12, v20
	s_waitcnt lgkmcnt(0)
	s_mul_i32 s28, s24, s8
	s_sub_i32 s10, s7, s6
	s_ashr_i32 s29, s28, 31
	v_cmp_gt_i32_e64 s[6:7], s33, v14
	v_cmp_le_i32_e32 vcc, s33, v14
	v_mbcnt_lo_u32_b32 v12, -1, 0
	s_barrier
	s_waitcnt lgkmcnt(0)
                                        ; implicit-def: $sgpr15
                                        ; implicit-def: $vgpr16
                                        ; implicit-def: $vgpr17
	s_and_saveexec_b64 s[8:9], vcc
	s_xor_b64 s[8:9], exec, s[8:9]
; %bb.6:
	v_mbcnt_hi_u32_b32 v16, -1, v12
	v_and_b32_e32 v2, 64, v16
	v_add_u32_e32 v17, 64, v2
	s_mov_b32 s15, 0xff7fffff
                                        ; implicit-def: $vgpr12
; %bb.7:
	s_or_saveexec_b64 s[34:35], s[8:9]
	s_load_dwordx4 s[16:19], s[0:1], 0x0
	s_load_dwordx2 s[22:23], s[0:1], 0x10
	s_load_dwordx2 s[30:31], s[0:1], 0x28
	s_load_dword s21, s[0:1], 0x98
	v_mov_b32_e32 v19, s15
	s_mul_i32 s14, s10, s14
	v_ashrrev_i32_e32 v15, 31, v14
	s_xor_b64 exec, exec, s[34:35]
	s_cbranch_execz .LBB36_13
; %bb.8:
	s_load_dwordx2 s[0:1], s[0:1], 0x20
	v_mbcnt_hi_u32_b32 v16, -1, v12
	s_ashr_i32 s15, s14, 31
	v_and_b32_e32 v12, 64, v16
	s_lshl_b64 s[8:9], s[14:15], 2
	v_add_u32_e32 v17, 64, v12
	v_xor_b32_e32 v12, 2, v16
	v_bfe_u32 v13, v0, 2, 4
	s_waitcnt lgkmcnt(0)
	s_add_u32 s0, s0, s8
	v_cmp_lt_i32_e32 vcc, v12, v17
	s_addc_u32 s1, s1, s9
	v_lshlrev_b32_e32 v2, 4, v13
	v_mov_b32_e32 v3, 0
	v_cndmask_b32_e32 v12, v16, v12, vcc
	v_lshl_add_u64 v[4:5], s[0:1], 0, v[2:3]
	v_lshlrev_b32_e32 v2, 2, v23
	v_lshlrev_b32_e32 v6, 5, v23
	;; [unrolled: 1-line block ×3, first 2 shown]
	v_xor_b32_e32 v12, 1, v16
	v_lshl_add_u64 v[10:11], v[4:5], 0, v[2:3]
	ds_read_b128 v[2:5], v6
	ds_read_b128 v[6:9], v6 offset:16
	v_cmp_lt_i32_e32 vcc, v12, v17
	s_sub_i32 s15, 1, s25
	s_lshl_b64 s[8:9], s[28:29], 2
	v_cndmask_b32_e32 v12, v16, v12, vcc
	v_lshlrev_b32_e32 v19, 2, v13
	v_lshlrev_b32_e32 v24, 2, v12
	v_lshlrev_b32_e32 v12, 4, v20
	s_add_u32 s8, s26, s8
	v_add3_u32 v25, s40, v12, v13
	v_lshl_or_b32 v12, v20, 6, v19
	s_addc_u32 s9, s27, s9
	s_mov_b32 s10, s13
	v_cmp_eq_u32_e32 vcc, 0, v23
	v_cmp_neq_f32_e64 s[0:1], s3, 0
	v_add_u32_e32 v26, 0x90, v12
	v_lshl_add_u64 v[12:13], v[14:15], 2, s[8:9]
	s_mov_b64 s[36:37], 0
	v_mov_b32_e32 v19, 0xff7fffff
	v_mov_b32_e32 v27, v14
	s_branch .LBB36_10
.LBB36_9:                               ;   in Loop: Header=BB36_10 Depth=1
	s_or_b64 exec, exec, s[38:39]
	v_add_u32_e32 v27, 2, v27
	v_cmp_le_i32_e64 s[8:9], s33, v27
	v_add_u32_e32 v25, 32, v25
	v_add_u32_e32 v26, 0x80, v26
	s_or_b64 s[36:37], s[8:9], s[36:37]
	v_lshl_add_u64 v[12:13], v[12:13], 0, 8
	s_andn2_b64 exec, exec, s[36:37]
	s_cbranch_execz .LBB36_12
.LBB36_10:                              ; =>This Inner Loop Header: Depth=1
	global_load_dword v28, v[12:13], off
	s_waitcnt vmcnt(0) lgkmcnt(0)
	v_mad_i64_i32 v[28:29], s[8:9], v28, s10, 0
	v_lshl_add_u64 v[28:29], v[28:29], 2, v[10:11]
	global_load_dword v30, v[28:29], off offset:256
	global_load_dword v31, v[28:29], off
	global_load_dword v32, v[28:29], off offset:512
	global_load_dword v33, v[28:29], off offset:768
	;; [unrolled: 1-line block ×6, first 2 shown]
	s_waitcnt vmcnt(7) lgkmcnt(1)
	v_mul_f32_e32 v28, v3, v30
	s_waitcnt vmcnt(6)
	v_fmac_f32_e32 v28, v2, v31
	s_waitcnt vmcnt(5)
	v_fmac_f32_e32 v28, v4, v32
	;; [unrolled: 2-line block ×3, first 2 shown]
	s_waitcnt vmcnt(3) lgkmcnt(0)
	v_fmac_f32_e32 v28, v6, v34
	s_waitcnt vmcnt(2)
	v_fmac_f32_e32 v28, v7, v35
	s_waitcnt vmcnt(1)
	;; [unrolled: 2-line block ×3, first 2 shown]
	v_fmac_f32_e32 v28, v9, v37
	ds_bpermute_b32 v29, v21, v28
	s_waitcnt lgkmcnt(0)
	v_add_f32_e32 v28, v28, v29
	ds_bpermute_b32 v29, v24, v28
	s_and_saveexec_b64 s[38:39], vcc
	s_cbranch_execz .LBB36_9
; %bb.11:                               ;   in Loop: Header=BB36_10 Depth=1
	v_add_u32_e32 v30, s15, v25
	v_cvt_f32_i32_e32 v30, v30
	s_waitcnt lgkmcnt(0)
	v_add_f32_e32 v28, v28, v29
	v_cmp_gt_i32_e64 s[8:9], s25, v25
	v_max_f32_e32 v29, v19, v19
	v_mul_f32_e32 v30, s3, v30
	v_cndmask_b32_e64 v30, 0, v30, s[0:1]
	v_fmac_f32_e32 v30, s11, v28
	v_cndmask_b32_e64 v28, 0, v30, s[8:9]
	ds_write_b32 v26, v28
	v_max_f32_e32 v28, v29, v30
	v_cndmask_b32_e64 v19, v19, v28, s[8:9]
	s_branch .LBB36_9
.LBB36_12:
	s_or_b64 exec, exec, s[36:37]
.LBB36_13:
	s_or_b64 exec, exec, s[34:35]
	v_xor_b32_e32 v2, 32, v16
	v_cmp_lt_i32_e32 vcc, v2, v17
	v_xor_b32_e32 v5, 16, v16
	v_max_f32_e32 v4, v19, v19
	v_cndmask_b32_e32 v2, v16, v2, vcc
	v_lshlrev_b32_e32 v2, 2, v2
	ds_bpermute_b32 v3, v2, v19
	v_cmp_lt_i32_e32 vcc, v5, v17
	v_xor_b32_e32 v6, 8, v16
	v_and_b32_e32 v24, 63, v0
	s_waitcnt lgkmcnt(0)
	v_max_f32_e32 v3, v3, v3
	v_max_f32_e32 v4, v4, v3
	v_cndmask_b32_e32 v3, v16, v5, vcc
	v_lshlrev_b32_e32 v3, 2, v3
	ds_bpermute_b32 v5, v3, v4
	v_cmp_lt_i32_e32 vcc, v6, v17
	s_waitcnt lgkmcnt(0)
	v_max_f32_e32 v5, v5, v5
	v_max_f32_e32 v4, v4, v5
	v_cndmask_b32_e32 v5, v16, v6, vcc
	v_lshlrev_b32_e32 v7, 2, v5
	ds_bpermute_b32 v5, v7, v4
	v_xor_b32_e32 v6, 4, v16
	v_cmp_lt_i32_e32 vcc, v6, v17
	s_waitcnt lgkmcnt(0)
	v_max_f32_e32 v5, v5, v5
	v_max_f32_e32 v4, v4, v5
	v_cndmask_b32_e32 v5, v16, v6, vcc
	v_lshlrev_b32_e32 v8, 2, v5
	ds_bpermute_b32 v6, v8, v4
	v_cmp_eq_u32_e32 vcc, 0, v24
	v_lshlrev_b32_e32 v5, 2, v20
	s_and_saveexec_b64 s[0:1], vcc
	s_cbranch_execz .LBB36_15
; %bb.14:
	s_waitcnt lgkmcnt(0)
	v_max_f32_e32 v6, v6, v6
	v_max_f32_e32 v4, v4, v4
	;; [unrolled: 1-line block ×3, first 2 shown]
	ds_write_b32 v5, v4 offset:128
.LBB36_15:
	s_or_b64 exec, exec, s[0:1]
	v_cmp_gt_u32_e64 s[0:1], 2, v24
	v_mov_b32_e32 v4, 0xff7fffff
	s_waitcnt lgkmcnt(0)
	v_lshlrev_b32_e32 v6, 2, v24
	s_barrier
	s_and_saveexec_b64 s[8:9], s[0:1]
	s_cbranch_execz .LBB36_17
; %bb.16:
	ds_read_b32 v4, v6 offset:128
.LBB36_17:
	s_or_b64 exec, exec, s[8:9]
	v_xor_b32_e32 v9, 1, v16
	v_cmp_lt_i32_e64 s[8:9], v9, v17
	s_sub_i32 s3, s33, s12
	s_lshl_b32 s3, s3, 4
	v_cndmask_b32_e64 v9, v16, v9, s[8:9]
	v_lshlrev_b32_e32 v25, 2, v9
	s_waitcnt lgkmcnt(0)
	ds_bpermute_b32 v9, v25, v4
	v_max_f32_e32 v4, v4, v4
	s_add_i32 s3, s3, s40
	s_min_i32 s15, s3, s25
	s_sub_i32 s3, s15, s40
	s_waitcnt lgkmcnt(0)
	v_max_f32_e32 v9, v9, v9
	v_max_f32_e32 v4, v4, v9
	v_lshlrev_b32_e32 v9, 2, v16
	v_and_b32_e32 v9, 0xffffff00, v9
	ds_bpermute_b32 v4, v9, v4
	v_cmp_gt_i32_e64 s[8:9], s3, v0
	v_mov_b32_e32 v10, 0
	s_and_saveexec_b64 s[34:35], s[8:9]
	s_cbranch_execz .LBB36_21
; %bb.18:
	v_mov_b32_e32 v10, 0x90
	v_lshl_add_u32 v11, v0, 2, v10
	s_mov_b64 s[36:37], 0
	v_mov_b32_e32 v10, 0
	v_mov_b32_e32 v12, v0
.LBB36_19:                              ; =>This Inner Loop Header: Depth=1
	ds_read_b32 v13, v11
	v_add_u32_e32 v12, 0x80, v12
	v_cmp_le_i32_e64 s[10:11], s3, v12
	s_or_b64 s[36:37], s[10:11], s[36:37]
	s_waitcnt lgkmcnt(0)
	v_sub_f32_e32 v13, v13, v4
	v_mul_f32_e32 v13, 0x3fb8aa3b, v13
	v_exp_f32_e32 v13, v13
	ds_write_b32 v11, v13
	v_add_f32_e32 v10, v10, v13
	v_add_u32_e32 v11, 0x200, v11
	s_andn2_b64 exec, exec, s[36:37]
	s_cbranch_execnz .LBB36_19
; %bb.20:
	s_or_b64 exec, exec, s[36:37]
.LBB36_21:
	s_or_b64 exec, exec, s[34:35]
	ds_bpermute_b32 v2, v2, v10
	s_waitcnt lgkmcnt(0)
	v_add_f32_e32 v2, v10, v2
	ds_bpermute_b32 v3, v3, v2
	s_waitcnt lgkmcnt(0)
	v_add_f32_e32 v2, v2, v3
	ds_bpermute_b32 v3, v7, v2
	v_xor_b32_e32 v7, 2, v16
	v_cmp_lt_i32_e64 s[10:11], v7, v17
	s_waitcnt lgkmcnt(0)
	v_add_f32_e32 v2, v2, v3
	ds_bpermute_b32 v3, v8, v2
	v_cndmask_b32_e64 v7, v16, v7, s[10:11]
	v_lshlrev_b32_e32 v26, 2, v7
	s_waitcnt lgkmcnt(0)
	v_add_f32_e32 v2, v2, v3
	ds_bpermute_b32 v3, v26, v2
	s_waitcnt lgkmcnt(0)
	v_add_f32_e32 v2, v2, v3
	ds_bpermute_b32 v3, v25, v2
	s_waitcnt lgkmcnt(0)
	v_add_f32_e32 v2, v2, v3
	s_and_saveexec_b64 s[10:11], vcc
	s_cbranch_execz .LBB36_23
; %bb.22:
	ds_write_b32 v5, v2 offset:136
.LBB36_23:
	s_or_b64 exec, exec, s[10:11]
	s_waitcnt lgkmcnt(0)
	s_barrier
	s_and_saveexec_b64 s[10:11], s[0:1]
	s_cbranch_execz .LBB36_25
; %bb.24:
	ds_read_b32 v2, v6 offset:136
.LBB36_25:
	s_or_b64 exec, exec, s[10:11]
	s_waitcnt lgkmcnt(0)
	ds_bpermute_b32 v3, v25, v2
	s_waitcnt lgkmcnt(0)
	v_add_f32_e32 v2, v2, v3
	ds_bpermute_b32 v5, v9, v2
	s_and_saveexec_b64 s[0:1], s[8:9]
	s_cbranch_execz .LBB36_38
; %bb.26:
	s_waitcnt lgkmcnt(0)
	v_add_f32_e32 v2, 0x358637bd, v5
	v_div_scale_f32 v3, s[8:9], v2, v2, 1.0
	v_rcp_f32_e32 v6, v3
	v_div_scale_f32 v7, vcc, 1.0, v2, 1.0
	s_movk_i32 s8, 0x7f
	v_fma_f32 v8, -v3, v6, 1.0
	v_fmac_f32_e32 v6, v8, v6
	v_mul_f32_e32 v8, v7, v6
	v_fma_f32 v9, -v3, v8, v7
	v_fmac_f32_e32 v8, v9, v6
	v_fma_f32 v3, -v3, v8, v7
	v_div_fmas_f32 v3, v3, v6, v8
	v_div_fixup_f32 v2, v3, v2, 1.0
	v_xad_u32 v3, v0, -1, s15
	v_subrev_u32_e32 v6, s40, v3
	v_cmp_lt_u32_e32 vcc, s8, v6
	s_mov_b64 s[10:11], -1
	v_mov_b32_e32 v3, v0
	s_and_saveexec_b64 s[8:9], vcc
	s_cbranch_execz .LBB36_35
; %bb.27:
	v_lshrrev_b32_e32 v6, 7, v6
	v_add_u32_e32 v8, -1, v6
	v_lshrrev_b32_e32 v7, 1, v8
	v_mov_b32_e32 v3, v2
	v_add_u32_e32 v7, 1, v7
	v_cmp_lt_u32_e32 vcc, 13, v8
	v_mov_b32_e32 v10, 0
	s_and_saveexec_b64 s[10:11], vcc
	s_cbranch_execz .LBB36_31
; %bb.28:
	v_mov_b32_e32 v9, 0x90
	v_and_b32_e32 v8, -8, v7
	v_lshl_add_u32 v9, v0, 2, v9
	s_mov_b32 s15, 0
	s_mov_b64 s[34:35], 0
.LBB36_29:                              ; =>This Inner Loop Header: Depth=1
	ds_read2st64_b32 v[10:11], v9 offset1:2
	ds_read2st64_b32 v[12:13], v9 offset0:4 offset1:6
	ds_read2st64_b32 v[16:17], v9 offset0:8 offset1:10
	;; [unrolled: 1-line block ×3, first 2 shown]
	v_add_u32_e32 v8, -8, v8
	s_waitcnt lgkmcnt(3)
	v_pk_mul_f32 v[10:11], v[2:3], v[10:11]
	s_waitcnt lgkmcnt(2)
	v_pk_mul_f32 v[12:13], v[2:3], v[12:13]
	ds_write2st64_b32 v9, v10, v11 offset1:2
	ds_write2st64_b32 v9, v12, v13 offset0:4 offset1:6
	ds_read2st64_b32 v[12:13], v9 offset0:16 offset1:18
	s_waitcnt lgkmcnt(4)
	v_pk_mul_f32 v[10:11], v[2:3], v[16:17]
	ds_write2st64_b32 v9, v10, v11 offset0:8 offset1:10
	s_waitcnt lgkmcnt(4)
	v_pk_mul_f32 v[10:11], v[2:3], v[28:29]
	ds_write2st64_b32 v9, v10, v11 offset0:12 offset1:14
	ds_read2st64_b32 v[10:11], v9 offset0:20 offset1:22
	s_waitcnt lgkmcnt(3)
	v_pk_mul_f32 v[12:13], v[2:3], v[12:13]
	ds_read2st64_b32 v[16:17], v9 offset0:24 offset1:26
	ds_write2st64_b32 v9, v12, v13 offset0:16 offset1:18
	ds_read2st64_b32 v[12:13], v9 offset0:28 offset1:30
	s_waitcnt lgkmcnt(3)
	v_pk_mul_f32 v[10:11], v[2:3], v[10:11]
	ds_write2st64_b32 v9, v10, v11 offset0:20 offset1:22
	s_waitcnt lgkmcnt(3)
	v_pk_mul_f32 v[10:11], v[2:3], v[16:17]
	ds_write2st64_b32 v9, v10, v11 offset0:24 offset1:26
	s_waitcnt lgkmcnt(2)
	v_pk_mul_f32 v[10:11], v[2:3], v[12:13]
	s_add_i32 s15, s15, 16
	v_cmp_eq_u32_e32 vcc, 0, v8
	ds_write2st64_b32 v9, v10, v11 offset0:28 offset1:30
	v_add_u32_e32 v9, 0x2000, v9
	s_or_b64 s[34:35], vcc, s[34:35]
	v_mov_b32_e32 v10, s15
	s_andn2_b64 exec, exec, s[34:35]
	s_cbranch_execnz .LBB36_29
; %bb.30:
	s_or_b64 exec, exec, s[34:35]
.LBB36_31:
	s_or_b64 exec, exec, s[10:11]
	v_and_b32_e32 v7, 7, v7
	v_cmp_ne_u32_e32 vcc, 0, v7
	s_and_saveexec_b64 s[10:11], vcc
	s_cbranch_execz .LBB36_34
; %bb.32:
	v_lshlrev_b32_e32 v8, 9, v10
	s_movk_i32 s15, 0x90
	v_add3_u32 v8, v8, v18, s15
	s_mov_b64 s[34:35], 0
.LBB36_33:                              ; =>This Inner Loop Header: Depth=1
	ds_read2st64_b32 v[10:11], v8 offset1:2
	v_add_u32_e32 v7, -1, v7
	v_cmp_eq_u32_e32 vcc, 0, v7
	s_or_b64 s[34:35], vcc, s[34:35]
	s_waitcnt lgkmcnt(0)
	v_pk_mul_f32 v[10:11], v[2:3], v[10:11]
	ds_write2st64_b32 v8, v10, v11 offset1:2
	v_add_u32_e32 v8, 0x400, v8
	s_andn2_b64 exec, exec, s[34:35]
	s_cbranch_execnz .LBB36_33
.LBB36_34:
	s_or_b64 exec, exec, s[10:11]
	v_add_u32_e32 v6, 1, v6
	v_and_b32_e32 v7, 0x3fffffe, v6
	v_cmp_ne_u32_e32 vcc, v6, v7
	v_lshl_add_u32 v3, v7, 7, v0
	s_orn2_b64 s[10:11], vcc, exec
.LBB36_35:
	s_or_b64 exec, exec, s[8:9]
	s_and_b64 exec, exec, s[10:11]
	s_cbranch_execz .LBB36_38
; %bb.36:
	v_mov_b32_e32 v6, 0x90
	v_lshl_add_u32 v6, v3, 2, v6
	s_mov_b64 s[8:9], 0
.LBB36_37:                              ; =>This Inner Loop Header: Depth=1
	ds_read_b32 v7, v6
	v_add_u32_e32 v3, 0x80, v3
	v_cmp_le_i32_e32 vcc, s3, v3
	s_or_b64 s[8:9], vcc, s[8:9]
	s_waitcnt lgkmcnt(0)
	v_mul_f32_e32 v7, v2, v7
	ds_write_b32 v6, v7
	v_add_u32_e32 v6, 0x200, v6
	s_andn2_b64 exec, exec, s[8:9]
	s_cbranch_execnz .LBB36_37
.LBB36_38:
	s_or_b64 exec, exec, s[0:1]
	s_mul_i32 s0, s21, s24
	v_cmp_eq_u32_e32 vcc, 0, v0
	s_mul_i32 s8, s0, s5
	s_waitcnt lgkmcnt(0)
	s_barrier
	s_and_saveexec_b64 s[0:1], vcc
	s_cbranch_execz .LBB36_40
; %bb.39:
	s_ashr_i32 s9, s8, 31
	s_lshl_b64 s[10:11], s[8:9], 2
	s_add_u32 s5, s18, s10
	s_mul_i32 s2, s21, s2
	s_addc_u32 s9, s19, s11
	s_ashr_i32 s3, s2, 31
	s_lshl_b64 s[2:3], s[2:3], 2
	s_add_u32 s15, s5, s2
	s_addc_u32 s9, s9, s3
	s_ashr_i32 s5, s4, 31
	s_lshl_b64 s[4:5], s[4:5], 2
	s_add_u32 s18, s15, s4
	s_addc_u32 s19, s9, s5
	s_add_u32 s9, s16, s10
	s_addc_u32 s10, s17, s11
	;; [unrolled: 2-line block ×3, first 2 shown]
	s_add_u32 s2, s2, s4
	v_mov_b32_e32 v2, 0
	s_addc_u32 s3, s3, s5
	global_store_dword v2, v4, s[18:19]
	global_store_dword v2, v5, s[2:3]
.LBB36_40:
	s_or_b64 exec, exec, s[0:1]
	v_mov_b32_e32 v17, 0
	v_mov_b32_e32 v16, 0
	s_and_saveexec_b64 s[2:3], s[6:7]
	s_cbranch_execz .LBB36_48
; %bb.41:
	s_ashr_i32 s15, s14, 31
	s_lshl_b64 s[0:1], s[14:15], 2
	s_add_u32 s0, s30, s0
	v_lshlrev_b32_e32 v3, 4, v0
	s_addc_u32 s1, s31, s1
	v_and_b32_e32 v16, 0x3f0, v3
	v_mov_b32_e32 v17, 0
	v_and_b32_e32 v2, 12, v18
	s_add_i32 s41, s41, -1
	v_lshl_add_u64 v[18:19], s[0:1], 0, v[16:17]
	v_lshl_add_u32 v3, v20, 4, s40
	s_lshl_b64 s[0:1], s[28:29], 2
	v_add3_u32 v27, v3, v2, 3
	v_lshlrev_b32_e32 v2, 4, v23
	s_add_u32 s0, s26, s0
	v_lshl_or_b32 v2, v20, 6, v2
	s_addc_u32 s1, s27, s1
	s_mov_b32 s9, s13
	v_add_u32_e32 v28, 0x90, v2
	v_lshl_add_u64 v[20:21], v[14:15], 2, s[0:1]
	s_mov_b64 s[4:5], 0
	v_mov_b32_e32 v16, v17
	s_branch .LBB36_43
.LBB36_42:                              ;   in Loop: Header=BB36_43 Depth=1
	s_or_b64 exec, exec, s[0:1]
	s_waitcnt vmcnt(1) lgkmcnt(0)
	v_mul_f32_e32 v7, v3, v7
	s_waitcnt vmcnt(0)
	v_mul_f32_e32 v3, v3, v11
	v_fmac_f32_e32 v7, v2, v6
	v_fmac_f32_e32 v3, v2, v10
	;; [unrolled: 1-line block ×4, first 2 shown]
	v_add_u32_e32 v14, 2, v14
	v_fmac_f32_e32 v7, v5, v9
	v_fmac_f32_e32 v3, v5, v13
	v_cmp_le_i32_e32 vcc, s33, v14
	v_add_f32_e32 v16, v16, v7
	v_add_f32_e32 v17, v17, v3
	v_add_u32_e32 v27, 32, v27
	v_add_u32_e32 v28, 0x80, v28
	s_or_b64 s[4:5], vcc, s[4:5]
	v_lshl_add_u64 v[20:21], v[20:21], 0, 8
	s_andn2_b64 exec, exec, s[4:5]
	s_cbranch_execz .LBB36_47
.LBB36_43:                              ; =>This Inner Loop Header: Depth=1
	global_load_dword v2, v[20:21], off
	v_add_u32_e32 v15, -3, v27
	v_cmp_eq_u32_e32 vcc, s41, v14
	v_add_u32_e32 v30, -2, v27
	v_add_u32_e32 v29, -1, v27
	s_waitcnt vmcnt(0)
	v_mad_i64_i32 v[2:3], s[0:1], v2, s9, 0
	v_lshl_add_u64 v[10:11], v[2:3], 2, v[18:19]
	global_load_dwordx4 v[6:9], v[10:11], off
	ds_read_b128 v[2:5], v28
	s_and_saveexec_b64 s[6:7], vcc
	s_cbranch_execz .LBB36_45
; %bb.44:                               ;   in Loop: Header=BB36_43 Depth=1
	v_cmp_gt_i32_e64 s[0:1], s25, v15
	s_waitcnt vmcnt(0)
	s_nop 0
	v_cndmask_b32_e64 v6, 0, v6, s[0:1]
	v_cmp_gt_i32_e64 s[0:1], s25, v30
	s_nop 1
	v_cndmask_b32_e64 v7, 0, v7, s[0:1]
	v_cmp_gt_i32_e64 s[0:1], s25, v29
	;; [unrolled: 3-line block ×3, first 2 shown]
	s_nop 1
	v_cndmask_b32_e64 v9, 0, v9, s[0:1]
.LBB36_45:                              ;   in Loop: Header=BB36_43 Depth=1
	s_or_b64 exec, exec, s[6:7]
	global_load_dwordx4 v[10:13], v[10:11], off offset:1024
	s_and_saveexec_b64 s[0:1], vcc
	s_cbranch_execz .LBB36_42
; %bb.46:                               ;   in Loop: Header=BB36_43 Depth=1
	v_cmp_gt_i32_e32 vcc, s25, v15
	s_waitcnt vmcnt(0)
	s_nop 0
	v_cndmask_b32_e32 v10, 0, v10, vcc
	v_cmp_gt_i32_e32 vcc, s25, v30
	s_nop 1
	v_cndmask_b32_e32 v11, 0, v11, vcc
	v_cmp_gt_i32_e32 vcc, s25, v29
	;; [unrolled: 3-line block ×3, first 2 shown]
	s_nop 1
	v_cndmask_b32_e32 v13, 0, v13, vcc
	s_branch .LBB36_42
.LBB36_47:
	s_or_b64 exec, exec, s[4:5]
.LBB36_48:
	s_or_b64 exec, exec, s[2:3]
	ds_bpermute_b32 v2, v26, v16
	ds_bpermute_b32 v3, v26, v17
	v_and_b32_e32 v4, 0x3c3, v0
	v_cmp_eq_u32_e32 vcc, 64, v4
	s_waitcnt lgkmcnt(0)
	s_barrier
	v_pk_add_f32 v[2:3], v[16:17], v[2:3]
	ds_bpermute_b32 v6, v25, v2
	ds_bpermute_b32 v7, v25, v3
	s_waitcnt lgkmcnt(0)
	v_pk_add_f32 v[2:3], v[2:3], v[6:7]
	s_and_saveexec_b64 s[0:1], vcc
	s_cbranch_execz .LBB36_50
; %bb.49:
	v_add_u32_e32 v6, 0x90, v24
	v_add_u32_e32 v5, 0x90, v0
	ds_write_b32 v6, v2
	ds_write_b32 v5, v3
.LBB36_50:
	s_or_b64 exec, exec, s[0:1]
	v_cmp_gt_u32_e32 vcc, 64, v0
	s_waitcnt lgkmcnt(0)
	s_barrier
	s_and_saveexec_b64 s[0:1], vcc
	s_cbranch_execz .LBB36_56
; %bb.51:
	v_cmp_eq_u32_e32 vcc, 0, v23
	s_and_saveexec_b64 s[2:3], vcc
	s_cbranch_execz .LBB36_53
; %bb.52:
	v_mov_b32_e32 v0, 0x90
	v_lshl_add_u32 v0, v22, 2, v0
	ds_read_b32 v0, v0
	s_waitcnt lgkmcnt(0)
	v_add_f32_e32 v2, v2, v0
.LBB36_53:
	s_or_b64 exec, exec, s[2:3]
	s_and_saveexec_b64 s[2:3], vcc
	s_cbranch_execz .LBB36_55
; %bb.54:
	v_mov_b32_e32 v0, 0x90
	v_lshl_add_u32 v0, v22, 2, v0
	ds_read_b32 v0, v0 offset:64
	s_waitcnt lgkmcnt(0)
	v_add_f32_e32 v3, v3, v0
.LBB36_55:
	s_or_b64 exec, exec, s[2:3]
.LBB36_56:
	s_or_b64 exec, exec, s[0:1]
	v_cmp_eq_u32_e32 vcc, 0, v4
	s_barrier
	s_and_saveexec_b64 s[0:1], vcc
	s_cbranch_execz .LBB36_58
; %bb.57:
	s_lshl_b32 s0, s8, 5
	s_ashr_i32 s1, s0, 31
	s_lshl_b64 s[0:1], s[0:1], 2
	s_add_u32 s2, s22, s0
	s_mul_i32 s0, s21, s20
	s_addc_u32 s3, s23, s1
	s_ashr_i32 s1, s0, 31
	s_lshl_b64 s[0:1], s[0:1], 2
	s_add_u32 s2, s2, s0
	s_addc_u32 s3, s3, s1
	s_ashr_i32 s13, s12, 31
	s_lshl_b64 s[0:1], s[12:13], 2
	s_add_u32 s0, s2, s0
	s_addc_u32 s1, s3, s1
	global_store_dword v1, v2, s[0:1]
	global_store_dword v1, v3, s[0:1] offset:64
.LBB36_58:
	s_endpgm
	.section	.rodata,"a",@progbits
	.p2align	6, 0x0
	.amdhsa_kernel _ZN4vllm25paged_attention_v2_kernelIffLi32ELi16ELi128ELNS_18Fp8KVCacheDataTypeE0ELb0ELi512EEEvPfS2_PT_PKS3_PKT0_S9_ifPKiSB_iPKfiiiSD_SD_iiiii
		.amdhsa_group_segment_fixed_size 144
		.amdhsa_private_segment_fixed_size 0
		.amdhsa_kernarg_size 400
		.amdhsa_user_sgpr_count 2
		.amdhsa_user_sgpr_dispatch_ptr 0
		.amdhsa_user_sgpr_queue_ptr 0
		.amdhsa_user_sgpr_kernarg_segment_ptr 1
		.amdhsa_user_sgpr_dispatch_id 0
		.amdhsa_user_sgpr_kernarg_preload_length 0
		.amdhsa_user_sgpr_kernarg_preload_offset 0
		.amdhsa_user_sgpr_private_segment_size 0
		.amdhsa_uses_dynamic_stack 0
		.amdhsa_enable_private_segment 0
		.amdhsa_system_sgpr_workgroup_id_x 1
		.amdhsa_system_sgpr_workgroup_id_y 1
		.amdhsa_system_sgpr_workgroup_id_z 1
		.amdhsa_system_sgpr_workgroup_info 0
		.amdhsa_system_vgpr_workitem_id 0
		.amdhsa_next_free_vgpr 38
		.amdhsa_next_free_sgpr 42
		.amdhsa_accum_offset 40
		.amdhsa_reserve_vcc 1
		.amdhsa_float_round_mode_32 0
		.amdhsa_float_round_mode_16_64 0
		.amdhsa_float_denorm_mode_32 3
		.amdhsa_float_denorm_mode_16_64 3
		.amdhsa_dx10_clamp 1
		.amdhsa_ieee_mode 1
		.amdhsa_fp16_overflow 0
		.amdhsa_tg_split 0
		.amdhsa_exception_fp_ieee_invalid_op 0
		.amdhsa_exception_fp_denorm_src 0
		.amdhsa_exception_fp_ieee_div_zero 0
		.amdhsa_exception_fp_ieee_overflow 0
		.amdhsa_exception_fp_ieee_underflow 0
		.amdhsa_exception_fp_ieee_inexact 0
		.amdhsa_exception_int_div_zero 0
	.end_amdhsa_kernel
	.section	.text._ZN4vllm25paged_attention_v2_kernelIffLi32ELi16ELi128ELNS_18Fp8KVCacheDataTypeE0ELb0ELi512EEEvPfS2_PT_PKS3_PKT0_S9_ifPKiSB_iPKfiiiSD_SD_iiiii,"axG",@progbits,_ZN4vllm25paged_attention_v2_kernelIffLi32ELi16ELi128ELNS_18Fp8KVCacheDataTypeE0ELb0ELi512EEEvPfS2_PT_PKS3_PKT0_S9_ifPKiSB_iPKfiiiSD_SD_iiiii,comdat
.Lfunc_end36:
	.size	_ZN4vllm25paged_attention_v2_kernelIffLi32ELi16ELi128ELNS_18Fp8KVCacheDataTypeE0ELb0ELi512EEEvPfS2_PT_PKS3_PKT0_S9_ifPKiSB_iPKfiiiSD_SD_iiiii, .Lfunc_end36-_ZN4vllm25paged_attention_v2_kernelIffLi32ELi16ELi128ELNS_18Fp8KVCacheDataTypeE0ELb0ELi512EEEvPfS2_PT_PKS3_PKT0_S9_ifPKiSB_iPKfiiiSD_SD_iiiii
                                        ; -- End function
	.section	.AMDGPU.csdata,"",@progbits
; Kernel info:
; codeLenInByte = 3452
; NumSgprs: 48
; NumVgprs: 38
; NumAgprs: 0
; TotalNumVgprs: 38
; ScratchSize: 0
; MemoryBound: 0
; FloatMode: 240
; IeeeMode: 1
; LDSByteSize: 144 bytes/workgroup (compile time only)
; SGPRBlocks: 5
; VGPRBlocks: 4
; NumSGPRsForWavesPerEU: 48
; NumVGPRsForWavesPerEU: 38
; AccumOffset: 40
; Occupancy: 8
; WaveLimiterHint : 1
; COMPUTE_PGM_RSRC2:SCRATCH_EN: 0
; COMPUTE_PGM_RSRC2:USER_SGPR: 2
; COMPUTE_PGM_RSRC2:TRAP_HANDLER: 0
; COMPUTE_PGM_RSRC2:TGID_X_EN: 1
; COMPUTE_PGM_RSRC2:TGID_Y_EN: 1
; COMPUTE_PGM_RSRC2:TGID_Z_EN: 1
; COMPUTE_PGM_RSRC2:TIDIG_COMP_CNT: 0
; COMPUTE_PGM_RSRC3_GFX90A:ACCUM_OFFSET: 9
; COMPUTE_PGM_RSRC3_GFX90A:TG_SPLIT: 0
	.section	.text._ZN4vllm25paged_attention_v2_kernelIffLi64ELi16ELi128ELNS_18Fp8KVCacheDataTypeE0ELb0ELi512EEEvPfS2_PT_PKS3_PKT0_S9_ifPKiSB_iPKfiiiSD_SD_iiiii,"axG",@progbits,_ZN4vllm25paged_attention_v2_kernelIffLi64ELi16ELi128ELNS_18Fp8KVCacheDataTypeE0ELb0ELi512EEEvPfS2_PT_PKS3_PKT0_S9_ifPKiSB_iPKfiiiSD_SD_iiiii,comdat
	.protected	_ZN4vllm25paged_attention_v2_kernelIffLi64ELi16ELi128ELNS_18Fp8KVCacheDataTypeE0ELb0ELi512EEEvPfS2_PT_PKS3_PKT0_S9_ifPKiSB_iPKfiiiSD_SD_iiiii ; -- Begin function _ZN4vllm25paged_attention_v2_kernelIffLi64ELi16ELi128ELNS_18Fp8KVCacheDataTypeE0ELb0ELi512EEEvPfS2_PT_PKS3_PKT0_S9_ifPKiSB_iPKfiiiSD_SD_iiiii
	.globl	_ZN4vllm25paged_attention_v2_kernelIffLi64ELi16ELi128ELNS_18Fp8KVCacheDataTypeE0ELb0ELi512EEEvPfS2_PT_PKS3_PKT0_S9_ifPKiSB_iPKfiiiSD_SD_iiiii
	.p2align	8
	.type	_ZN4vllm25paged_attention_v2_kernelIffLi64ELi16ELi128ELNS_18Fp8KVCacheDataTypeE0ELb0ELi512EEEvPfS2_PT_PKS3_PKT0_S9_ifPKiSB_iPKfiiiSD_SD_iiiii,@function
_ZN4vllm25paged_attention_v2_kernelIffLi64ELi16ELi128ELNS_18Fp8KVCacheDataTypeE0ELb0ELi512EEEvPfS2_PT_PKS3_PKT0_S9_ifPKiSB_iPKfiiiSD_SD_iiiii: ; @_ZN4vllm25paged_attention_v2_kernelIffLi64ELi16ELi128ELNS_18Fp8KVCacheDataTypeE0ELb0ELi512EEEvPfS2_PT_PKS3_PKT0_S9_ifPKiSB_iPKfiiiSD_SD_iiiii
; %bb.0:
	s_load_dwordx2 s[6:7], s[0:1], 0x40
	s_mov_b32 s26, s3
	s_ashr_i32 s27, s3, 31
	s_lshl_b64 s[8:9], s[26:27], 2
	s_waitcnt lgkmcnt(0)
	s_add_u32 s6, s6, s8
	s_addc_u32 s7, s7, s9
	s_load_dword s27, s[6:7], 0x0
	s_lshl_b32 s33, s4, 9
	s_waitcnt lgkmcnt(0)
	s_cmp_ge_i32 s33, s27
	s_cbranch_scc1 .LBB37_63
; %bb.1:
	s_load_dword s5, s[0:1], 0x90
	s_load_dwordx2 s[12:13], s[0:1], 0x30
	s_waitcnt lgkmcnt(0)
	s_abs_i32 s7, s5
	s_abs_i32 s3, s12
	v_cvt_f32_u32_e32 v1, s3
	s_sub_i32 s8, 0, s3
	s_xor_b32 s6, s5, s12
	s_ashr_i32 s6, s6, 31
	v_rcp_iflag_f32_e32 v1, v1
	s_mov_b32 s12, 0
	v_mul_f32_e32 v1, 0x4f7ffffe, v1
	v_cvt_u32_f32_e32 v1, v1
	s_nop 0
	v_readfirstlane_b32 s9, v1
	s_mul_i32 s8, s8, s9
	s_mul_hi_u32 s8, s9, s8
	s_add_i32 s9, s9, s8
	s_mul_hi_u32 s8, s7, s9
	s_mul_i32 s9, s8, s3
	s_sub_i32 s7, s7, s9
	s_add_i32 s10, s8, 1
	s_sub_i32 s9, s7, s3
	s_cmp_ge_u32 s7, s3
	s_cselect_b32 s8, s10, s8
	s_cselect_b32 s7, s9, s7
	s_add_i32 s9, s8, 1
	s_cmp_ge_u32 s7, s3
	s_cselect_b32 s3, s9, s8
	s_xor_b32 s3, s3, s6
	s_sub_i32 s8, s3, s6
	s_abs_i32 s10, s8
	v_cvt_f32_u32_e32 v1, s10
	s_load_dwordx2 s[6:7], s[0:1], 0x50
	s_sub_i32 s3, 0, s10
	s_abs_i32 s11, s2
	v_rcp_iflag_f32_e32 v1, v1
	s_nop 0
	v_mul_f32_e32 v1, 0x4f7ffffe, v1
	v_cvt_u32_f32_e32 v1, v1
	s_nop 0
	v_readfirstlane_b32 s9, v1
	s_mul_i32 s3, s3, s9
	s_mul_hi_u32 s3, s9, s3
	s_add_i32 s9, s9, s3
	s_waitcnt lgkmcnt(0)
	s_cmp_eq_u64 s[6:7], 0
	s_mul_hi_u32 s20, s11, s9
	s_cbranch_scc1 .LBB37_3
; %bb.2:
	s_ashr_i32 s3, s2, 31
	s_lshl_b64 s[14:15], s[2:3], 2
	s_add_u32 s6, s6, s14
	s_addc_u32 s7, s7, s15
	s_load_dword s12, s[6:7], 0x0
.LBB37_3:
	s_load_dwordx4 s[16:19], s[0:1], 0x58
	v_lshrrev_b32_e32 v32, 2, v0
	s_ashr_i32 s21, s2, 31
	s_ashr_i32 s22, s8, 31
	v_and_b32_e32 v33, 3, v0
	s_lshl_b32 s14, s2, 6
	v_cmp_gt_u32_e64 s[8:9], 64, v0
	v_lshlrev_b32_e32 v28, 2, v0
	v_lshlrev_b32_e32 v1, 2, v32
	s_and_saveexec_b64 s[6:7], s[8:9]
	s_cbranch_execz .LBB37_5
; %bb.4:
	s_load_dwordx2 s[24:25], s[0:1], 0x18
	s_waitcnt lgkmcnt(0)
	s_mul_i32 s28, s26, s16
	s_ashr_i32 s29, s28, 31
	s_lshl_b64 s[28:29], s[28:29], 2
	v_lshl_add_u32 v3, v33, 6, v1
	s_add_u32 s3, s24, s28
	s_addc_u32 s16, s25, s29
	s_ashr_i32 s15, s14, 31
	s_lshl_b64 s[24:25], s[14:15], 2
	s_add_u32 s24, s3, s24
	s_addc_u32 s25, s16, s25
	global_load_dword v2, v28, s[24:25]
	s_waitcnt vmcnt(0)
	ds_write_b32 v3, v2
.LBB37_5:
	s_or_b64 exec, exec, s[6:7]
	s_add_i32 s3, s27, 15
	s_ashr_i32 s6, s3, 31
	s_lshr_b32 s6, s6, 28
	s_add_i32 s3, s3, s6
	s_ashr_i32 s42, s3, 4
	s_lshl_b32 s3, s4, 5
	s_mul_i32 s7, s20, s10
	s_add_i32 s6, s3, 32
	s_sub_i32 s7, s11, s7
	s_waitcnt lgkmcnt(0)
	s_min_i32 s16, s6, s42
	s_xor_b32 s6, s21, s22
	s_add_i32 s11, s20, 1
	s_sub_i32 s15, s7, s10
	s_cmp_ge_u32 s7, s10
	s_cselect_b32 s11, s11, s20
	s_cselect_b32 s7, s15, s7
	s_add_i32 s15, s11, 1
	s_cmp_ge_u32 s7, s10
	s_load_dwordx2 s[28:29], s[0:1], 0x38
	s_load_dword s10, s[0:1], 0x48
	v_lshrrev_b32_e32 v30, 6, v0
	s_cselect_b32 s7, s15, s11
	s_xor_b32 s7, s7, s6
	v_or_b32_e32 v22, s3, v30
	s_waitcnt lgkmcnt(0)
	s_mul_i32 s30, s26, s10
	s_sub_i32 s19, s7, s6
	s_ashr_i32 s31, s30, 31
	v_cmp_gt_i32_e64 s[6:7], s16, v22
	v_cmp_le_i32_e32 vcc, s16, v22
	v_mbcnt_lo_u32_b32 v20, -1, 0
	s_barrier
	s_waitcnt lgkmcnt(0)
                                        ; implicit-def: $sgpr38
                                        ; implicit-def: $vgpr24
                                        ; implicit-def: $vgpr25
	s_and_saveexec_b64 s[10:11], vcc
	s_xor_b64 s[10:11], exec, s[10:11]
; %bb.6:
	v_mbcnt_hi_u32_b32 v24, -1, v20
	v_and_b32_e32 v2, 64, v24
	v_add_u32_e32 v25, 64, v2
	s_mov_b32 s38, 0xff7fffff
                                        ; implicit-def: $vgpr20
; %bb.7:
	s_or_saveexec_b64 s[36:37], s[10:11]
	s_load_dwordx4 s[20:23], s[0:1], 0x0
	s_load_dwordx2 s[24:25], s[0:1], 0x10
	s_load_dwordx2 s[34:35], s[0:1], 0x28
	s_load_dword s15, s[0:1], 0x98
	v_mov_b32_e32 v26, s38
	s_mul_i32 s18, s19, s18
	v_ashrrev_i32_e32 v23, 31, v22
	s_xor_b64 exec, exec, s[36:37]
	s_cbranch_execz .LBB37_13
; %bb.8:
	s_load_dwordx2 s[0:1], s[0:1], 0x20
	s_ashr_i32 s19, s18, 31
	s_lshl_b64 s[10:11], s[18:19], 2
	v_mbcnt_hi_u32_b32 v24, -1, v20
	v_bfe_u32 v21, v0, 2, 4
	s_waitcnt lgkmcnt(0)
	s_add_u32 s0, s0, s10
	v_and_b32_e32 v20, 64, v24
	s_addc_u32 s1, s1, s11
	v_lshlrev_b32_e32 v2, 4, v21
	v_mov_b32_e32 v3, 0
	v_add_u32_e32 v25, 64, v20
	v_xor_b32_e32 v20, 2, v24
	v_lshl_add_u64 v[4:5], s[0:1], 0, v[2:3]
	v_lshlrev_b32_e32 v2, 2, v33
	v_lshlrev_b32_e32 v14, 6, v33
	v_cmp_lt_i32_e32 vcc, v20, v25
	v_lshl_add_u64 v[18:19], v[4:5], 0, v[2:3]
	ds_read_b128 v[2:5], v14
	ds_read_b128 v[6:9], v14 offset:16
	ds_read_b128 v[10:13], v14 offset:32
	;; [unrolled: 1-line block ×3, first 2 shown]
	v_cndmask_b32_e32 v20, v24, v20, vcc
	v_lshlrev_b32_e32 v27, 2, v20
	v_xor_b32_e32 v20, 1, v24
	v_cmp_lt_i32_e32 vcc, v20, v25
	s_sub_i32 s19, 1, s27
	s_lshl_b64 s[10:11], s[30:31], 2
	v_cndmask_b32_e32 v20, v24, v20, vcc
	v_lshlrev_b32_e32 v26, 2, v21
	v_lshlrev_b32_e32 v29, 2, v20
	;; [unrolled: 1-line block ×3, first 2 shown]
	s_add_u32 s10, s28, s10
	v_add3_u32 v31, s33, v20, v21
	v_lshl_or_b32 v20, v30, 6, v26
	s_addc_u32 s11, s29, s11
	s_mov_b32 s43, s17
	v_cmp_eq_u32_e32 vcc, 0, v33
	v_cmp_neq_f32_e64 s[0:1], s12, 0
	v_add_u32_e32 v34, 0x110, v20
	v_lshl_add_u64 v[20:21], v[22:23], 2, s[10:11]
	s_mov_b64 s[38:39], 0
	v_mov_b32_e32 v26, 0xff7fffff
	v_mov_b32_e32 v35, v22
	s_branch .LBB37_10
.LBB37_9:                               ;   in Loop: Header=BB37_10 Depth=1
	s_or_b64 exec, exec, s[40:41]
	v_add_u32_e32 v35, 2, v35
	v_cmp_le_i32_e64 s[10:11], s16, v35
	v_add_u32_e32 v31, 32, v31
	v_add_u32_e32 v34, 0x80, v34
	s_or_b64 s[38:39], s[10:11], s[38:39]
	v_lshl_add_u64 v[20:21], v[20:21], 0, 8
	s_andn2_b64 exec, exec, s[38:39]
	s_cbranch_execz .LBB37_12
.LBB37_10:                              ; =>This Inner Loop Header: Depth=1
	global_load_dword v36, v[20:21], off
	s_waitcnt vmcnt(0) lgkmcnt(0)
	v_mad_i64_i32 v[36:37], s[10:11], v36, s43, 0
	v_lshl_add_u64 v[36:37], v[36:37], 2, v[18:19]
	global_load_dword v38, v[36:37], off offset:256
	global_load_dword v39, v[36:37], off
	global_load_dword v40, v[36:37], off offset:512
	global_load_dword v41, v[36:37], off offset:768
	;; [unrolled: 1-line block ×13, first 2 shown]
	s_nop 0
	global_load_dword v36, v[36:37], off offset:3840
	s_waitcnt vmcnt(15) lgkmcnt(3)
	v_mul_f32_e32 v37, v3, v38
	s_waitcnt vmcnt(14)
	v_fmac_f32_e32 v37, v2, v39
	s_waitcnt vmcnt(13)
	v_fmac_f32_e32 v37, v4, v40
	s_waitcnt vmcnt(12)
	v_fmac_f32_e32 v37, v5, v41
	s_waitcnt vmcnt(11) lgkmcnt(2)
	v_fmac_f32_e32 v37, v6, v42
	s_waitcnt vmcnt(10)
	v_fmac_f32_e32 v37, v7, v43
	s_waitcnt vmcnt(9)
	v_fmac_f32_e32 v37, v8, v44
	s_waitcnt vmcnt(8)
	v_fmac_f32_e32 v37, v9, v45
	s_waitcnt vmcnt(7) lgkmcnt(1)
	v_fmac_f32_e32 v37, v10, v46
	;; [unrolled: 8-line block ×3, first 2 shown]
	s_waitcnt vmcnt(2)
	v_fmac_f32_e32 v37, v15, v51
	s_waitcnt vmcnt(1)
	v_fmac_f32_e32 v37, v16, v52
	;; [unrolled: 2-line block ×3, first 2 shown]
	ds_bpermute_b32 v36, v27, v37
	s_waitcnt lgkmcnt(0)
	v_add_f32_e32 v36, v37, v36
	ds_bpermute_b32 v37, v29, v36
	s_and_saveexec_b64 s[40:41], vcc
	s_cbranch_execz .LBB37_9
; %bb.11:                               ;   in Loop: Header=BB37_10 Depth=1
	v_add_u32_e32 v38, s19, v31
	v_cvt_f32_i32_e32 v38, v38
	s_waitcnt lgkmcnt(0)
	v_add_f32_e32 v36, v36, v37
	v_cmp_gt_i32_e64 s[10:11], s27, v31
	v_max_f32_e32 v37, v26, v26
	v_mul_f32_e32 v38, s12, v38
	v_cndmask_b32_e64 v38, 0, v38, s[0:1]
	v_fmac_f32_e32 v38, s13, v36
	v_cndmask_b32_e64 v36, 0, v38, s[10:11]
	ds_write_b32 v34, v36
	v_max_f32_e32 v36, v37, v38
	v_cndmask_b32_e64 v26, v26, v36, s[10:11]
	s_branch .LBB37_9
.LBB37_12:
	s_or_b64 exec, exec, s[38:39]
.LBB37_13:
	s_or_b64 exec, exec, s[36:37]
	v_xor_b32_e32 v2, 32, v24
	v_cmp_lt_i32_e32 vcc, v2, v25
	v_xor_b32_e32 v5, 16, v24
	v_max_f32_e32 v4, v26, v26
	v_cndmask_b32_e32 v2, v24, v2, vcc
	v_lshlrev_b32_e32 v2, 2, v2
	ds_bpermute_b32 v3, v2, v26
	v_cmp_lt_i32_e32 vcc, v5, v25
	v_xor_b32_e32 v6, 8, v24
	v_and_b32_e32 v34, 63, v0
	s_waitcnt lgkmcnt(0)
	v_max_f32_e32 v3, v3, v3
	v_max_f32_e32 v4, v4, v3
	v_cndmask_b32_e32 v3, v24, v5, vcc
	v_lshlrev_b32_e32 v3, 2, v3
	ds_bpermute_b32 v5, v3, v4
	v_cmp_lt_i32_e32 vcc, v6, v25
	s_waitcnt lgkmcnt(0)
	v_max_f32_e32 v5, v5, v5
	v_max_f32_e32 v4, v4, v5
	v_cndmask_b32_e32 v5, v24, v6, vcc
	v_lshlrev_b32_e32 v7, 2, v5
	ds_bpermute_b32 v5, v7, v4
	v_xor_b32_e32 v6, 4, v24
	v_cmp_lt_i32_e32 vcc, v6, v25
	s_waitcnt lgkmcnt(0)
	v_max_f32_e32 v5, v5, v5
	v_max_f32_e32 v4, v4, v5
	v_cndmask_b32_e32 v5, v24, v6, vcc
	v_lshlrev_b32_e32 v8, 2, v5
	ds_bpermute_b32 v6, v8, v4
	v_cmp_eq_u32_e32 vcc, 0, v34
	v_lshlrev_b32_e32 v5, 2, v30
	s_and_saveexec_b64 s[0:1], vcc
	s_cbranch_execz .LBB37_15
; %bb.14:
	s_waitcnt lgkmcnt(0)
	v_max_f32_e32 v6, v6, v6
	v_max_f32_e32 v4, v4, v4
	;; [unrolled: 1-line block ×3, first 2 shown]
	ds_write_b32 v5, v4 offset:256
.LBB37_15:
	s_or_b64 exec, exec, s[0:1]
	v_cmp_gt_u32_e64 s[0:1], 2, v34
	v_mov_b32_e32 v4, 0xff7fffff
	s_waitcnt lgkmcnt(0)
	v_lshlrev_b32_e32 v6, 2, v34
	s_barrier
	s_and_saveexec_b64 s[10:11], s[0:1]
	s_cbranch_execz .LBB37_17
; %bb.16:
	ds_read_b32 v4, v6 offset:256
.LBB37_17:
	s_or_b64 exec, exec, s[10:11]
	v_xor_b32_e32 v9, 1, v24
	v_cmp_lt_i32_e64 s[10:11], v9, v25
	s_sub_i32 s3, s16, s3
	s_lshl_b32 s3, s3, 4
	v_cndmask_b32_e64 v9, v24, v9, s[10:11]
	v_lshlrev_b32_e32 v35, 2, v9
	s_waitcnt lgkmcnt(0)
	ds_bpermute_b32 v9, v35, v4
	v_max_f32_e32 v4, v4, v4
	s_add_i32 s3, s3, s33
	s_min_i32 s19, s3, s27
	s_sub_i32 s3, s19, s33
	s_waitcnt lgkmcnt(0)
	v_max_f32_e32 v9, v9, v9
	v_max_f32_e32 v4, v4, v9
	v_lshlrev_b32_e32 v9, 2, v24
	v_and_b32_e32 v9, 0xffffff00, v9
	ds_bpermute_b32 v4, v9, v4
	v_cmp_gt_i32_e64 s[10:11], s3, v0
	v_mov_b32_e32 v10, 0
	s_and_saveexec_b64 s[36:37], s[10:11]
	s_cbranch_execz .LBB37_21
; %bb.18:
	v_mov_b32_e32 v10, 0x110
	v_lshl_add_u32 v11, v0, 2, v10
	s_mov_b64 s[38:39], 0
	v_mov_b32_e32 v10, 0
	v_mov_b32_e32 v12, v0
.LBB37_19:                              ; =>This Inner Loop Header: Depth=1
	ds_read_b32 v13, v11
	v_add_u32_e32 v12, 0x80, v12
	v_cmp_le_i32_e64 s[12:13], s3, v12
	s_or_b64 s[38:39], s[12:13], s[38:39]
	s_waitcnt lgkmcnt(0)
	v_sub_f32_e32 v13, v13, v4
	v_mul_f32_e32 v13, 0x3fb8aa3b, v13
	v_exp_f32_e32 v13, v13
	ds_write_b32 v11, v13
	v_add_f32_e32 v10, v10, v13
	v_add_u32_e32 v11, 0x200, v11
	s_andn2_b64 exec, exec, s[38:39]
	s_cbranch_execnz .LBB37_19
; %bb.20:
	s_or_b64 exec, exec, s[38:39]
.LBB37_21:
	s_or_b64 exec, exec, s[36:37]
	ds_bpermute_b32 v2, v2, v10
	s_waitcnt lgkmcnt(0)
	v_add_f32_e32 v2, v10, v2
	ds_bpermute_b32 v3, v3, v2
	s_waitcnt lgkmcnt(0)
	v_add_f32_e32 v2, v2, v3
	ds_bpermute_b32 v3, v7, v2
	v_xor_b32_e32 v7, 2, v24
	v_cmp_lt_i32_e64 s[12:13], v7, v25
	s_waitcnt lgkmcnt(0)
	v_add_f32_e32 v2, v2, v3
	ds_bpermute_b32 v3, v8, v2
	v_cndmask_b32_e64 v7, v24, v7, s[12:13]
	v_lshlrev_b32_e32 v36, 2, v7
	s_waitcnt lgkmcnt(0)
	v_add_f32_e32 v2, v2, v3
	ds_bpermute_b32 v3, v36, v2
	s_waitcnt lgkmcnt(0)
	v_add_f32_e32 v2, v2, v3
	ds_bpermute_b32 v3, v35, v2
	s_waitcnt lgkmcnt(0)
	v_add_f32_e32 v2, v2, v3
	s_and_saveexec_b64 s[12:13], vcc
	s_cbranch_execz .LBB37_23
; %bb.22:
	ds_write_b32 v5, v2 offset:264
.LBB37_23:
	s_or_b64 exec, exec, s[12:13]
	s_waitcnt lgkmcnt(0)
	s_barrier
	s_and_saveexec_b64 s[12:13], s[0:1]
	s_cbranch_execz .LBB37_25
; %bb.24:
	ds_read_b32 v2, v6 offset:264
.LBB37_25:
	s_or_b64 exec, exec, s[12:13]
	s_waitcnt lgkmcnt(0)
	ds_bpermute_b32 v3, v35, v2
	s_waitcnt lgkmcnt(0)
	v_add_f32_e32 v2, v2, v3
	ds_bpermute_b32 v5, v9, v2
	s_and_saveexec_b64 s[0:1], s[10:11]
	s_cbranch_execz .LBB37_38
; %bb.26:
	s_waitcnt lgkmcnt(0)
	v_add_f32_e32 v2, 0x358637bd, v5
	v_div_scale_f32 v3, s[10:11], v2, v2, 1.0
	v_rcp_f32_e32 v6, v3
	v_div_scale_f32 v7, vcc, 1.0, v2, 1.0
	s_movk_i32 s10, 0x7f
	v_fma_f32 v8, -v3, v6, 1.0
	v_fmac_f32_e32 v6, v8, v6
	v_mul_f32_e32 v8, v7, v6
	v_fma_f32 v9, -v3, v8, v7
	v_fmac_f32_e32 v8, v9, v6
	v_fma_f32 v3, -v3, v8, v7
	v_div_fmas_f32 v3, v3, v6, v8
	v_div_fixup_f32 v2, v3, v2, 1.0
	v_xad_u32 v3, v0, -1, s19
	v_subrev_u32_e32 v6, s33, v3
	v_cmp_lt_u32_e32 vcc, s10, v6
	s_mov_b64 s[12:13], -1
	v_mov_b32_e32 v3, v0
	s_and_saveexec_b64 s[10:11], vcc
	s_cbranch_execz .LBB37_35
; %bb.27:
	v_lshrrev_b32_e32 v6, 7, v6
	v_add_u32_e32 v8, -1, v6
	v_lshrrev_b32_e32 v7, 1, v8
	v_mov_b32_e32 v3, v2
	v_add_u32_e32 v7, 1, v7
	v_cmp_lt_u32_e32 vcc, 13, v8
	v_mov_b32_e32 v10, 0
	s_and_saveexec_b64 s[12:13], vcc
	s_cbranch_execz .LBB37_31
; %bb.28:
	v_mov_b32_e32 v9, 0x110
	v_and_b32_e32 v8, -8, v7
	v_lshl_add_u32 v9, v0, 2, v9
	s_mov_b32 s19, 0
	s_mov_b64 s[36:37], 0
.LBB37_29:                              ; =>This Inner Loop Header: Depth=1
	ds_read2st64_b32 v[10:11], v9 offset1:2
	ds_read2st64_b32 v[12:13], v9 offset0:4 offset1:6
	ds_read2st64_b32 v[14:15], v9 offset0:8 offset1:10
	;; [unrolled: 1-line block ×3, first 2 shown]
	v_add_u32_e32 v8, -8, v8
	s_waitcnt lgkmcnt(3)
	v_pk_mul_f32 v[10:11], v[2:3], v[10:11]
	s_waitcnt lgkmcnt(2)
	v_pk_mul_f32 v[12:13], v[2:3], v[12:13]
	ds_write2st64_b32 v9, v10, v11 offset1:2
	ds_write2st64_b32 v9, v12, v13 offset0:4 offset1:6
	ds_read2st64_b32 v[12:13], v9 offset0:16 offset1:18
	s_waitcnt lgkmcnt(4)
	v_pk_mul_f32 v[10:11], v[2:3], v[14:15]
	ds_write2st64_b32 v9, v10, v11 offset0:8 offset1:10
	s_waitcnt lgkmcnt(4)
	v_pk_mul_f32 v[10:11], v[2:3], v[16:17]
	ds_write2st64_b32 v9, v10, v11 offset0:12 offset1:14
	ds_read2st64_b32 v[10:11], v9 offset0:20 offset1:22
	s_waitcnt lgkmcnt(3)
	v_pk_mul_f32 v[12:13], v[2:3], v[12:13]
	ds_read2st64_b32 v[14:15], v9 offset0:24 offset1:26
	ds_write2st64_b32 v9, v12, v13 offset0:16 offset1:18
	ds_read2st64_b32 v[12:13], v9 offset0:28 offset1:30
	s_waitcnt lgkmcnt(3)
	v_pk_mul_f32 v[10:11], v[2:3], v[10:11]
	ds_write2st64_b32 v9, v10, v11 offset0:20 offset1:22
	s_waitcnt lgkmcnt(3)
	v_pk_mul_f32 v[10:11], v[2:3], v[14:15]
	ds_write2st64_b32 v9, v10, v11 offset0:24 offset1:26
	s_waitcnt lgkmcnt(2)
	v_pk_mul_f32 v[10:11], v[2:3], v[12:13]
	s_add_i32 s19, s19, 16
	v_cmp_eq_u32_e32 vcc, 0, v8
	ds_write2st64_b32 v9, v10, v11 offset0:28 offset1:30
	v_add_u32_e32 v9, 0x2000, v9
	s_or_b64 s[36:37], vcc, s[36:37]
	v_mov_b32_e32 v10, s19
	s_andn2_b64 exec, exec, s[36:37]
	s_cbranch_execnz .LBB37_29
; %bb.30:
	s_or_b64 exec, exec, s[36:37]
.LBB37_31:
	s_or_b64 exec, exec, s[12:13]
	v_and_b32_e32 v7, 7, v7
	v_cmp_ne_u32_e32 vcc, 0, v7
	s_and_saveexec_b64 s[12:13], vcc
	s_cbranch_execz .LBB37_34
; %bb.32:
	v_lshlrev_b32_e32 v8, 9, v10
	s_movk_i32 s19, 0x110
	v_add3_u32 v8, v8, v28, s19
	s_mov_b64 s[36:37], 0
.LBB37_33:                              ; =>This Inner Loop Header: Depth=1
	ds_read2st64_b32 v[10:11], v8 offset1:2
	v_add_u32_e32 v7, -1, v7
	v_cmp_eq_u32_e32 vcc, 0, v7
	s_or_b64 s[36:37], vcc, s[36:37]
	s_waitcnt lgkmcnt(0)
	v_pk_mul_f32 v[10:11], v[2:3], v[10:11]
	ds_write2st64_b32 v8, v10, v11 offset1:2
	v_add_u32_e32 v8, 0x400, v8
	s_andn2_b64 exec, exec, s[36:37]
	s_cbranch_execnz .LBB37_33
.LBB37_34:
	s_or_b64 exec, exec, s[12:13]
	v_add_u32_e32 v6, 1, v6
	v_and_b32_e32 v7, 0x3fffffe, v6
	v_cmp_ne_u32_e32 vcc, v6, v7
	v_lshl_add_u32 v3, v7, 7, v0
	s_orn2_b64 s[12:13], vcc, exec
.LBB37_35:
	s_or_b64 exec, exec, s[10:11]
	s_and_b64 exec, exec, s[12:13]
	s_cbranch_execz .LBB37_38
; %bb.36:
	v_mov_b32_e32 v6, 0x110
	v_lshl_add_u32 v6, v3, 2, v6
	s_mov_b64 s[10:11], 0
.LBB37_37:                              ; =>This Inner Loop Header: Depth=1
	ds_read_b32 v7, v6
	v_add_u32_e32 v3, 0x80, v3
	v_cmp_le_i32_e32 vcc, s3, v3
	s_or_b64 s[10:11], vcc, s[10:11]
	s_waitcnt lgkmcnt(0)
	v_mul_f32_e32 v7, v2, v7
	ds_write_b32 v6, v7
	v_add_u32_e32 v6, 0x200, v6
	s_andn2_b64 exec, exec, s[10:11]
	s_cbranch_execnz .LBB37_37
.LBB37_38:
	s_or_b64 exec, exec, s[0:1]
	s_mul_i32 s0, s15, s26
	v_cmp_eq_u32_e32 vcc, 0, v0
	s_mul_i32 s10, s0, s5
	s_waitcnt lgkmcnt(0)
	s_barrier
	s_and_saveexec_b64 s[0:1], vcc
	s_cbranch_execz .LBB37_40
; %bb.39:
	s_ashr_i32 s11, s10, 31
	s_lshl_b64 s[12:13], s[10:11], 2
	s_add_u32 s5, s22, s12
	s_mul_i32 s2, s15, s2
	s_addc_u32 s11, s23, s13
	s_ashr_i32 s3, s2, 31
	s_lshl_b64 s[2:3], s[2:3], 2
	s_add_u32 s19, s5, s2
	s_addc_u32 s11, s11, s3
	s_ashr_i32 s5, s4, 31
	s_lshl_b64 s[22:23], s[4:5], 2
	s_add_u32 s36, s19, s22
	s_addc_u32 s37, s11, s23
	s_add_u32 s5, s20, s12
	s_addc_u32 s11, s21, s13
	;; [unrolled: 2-line block ×3, first 2 shown]
	s_add_u32 s2, s2, s22
	v_mov_b32_e32 v2, 0
	s_addc_u32 s3, s3, s23
	global_store_dword v2, v4, s[36:37]
	global_store_dword v2, v5, s[2:3]
.LBB37_40:
	s_or_b64 exec, exec, s[0:1]
	v_mov_b32_e32 v27, 0
	v_mov_b32_e32 v26, 0
	;; [unrolled: 1-line block ×4, first 2 shown]
	s_and_saveexec_b64 s[2:3], s[6:7]
	s_cbranch_execz .LBB37_52
; %bb.41:
	s_ashr_i32 s19, s18, 31
	s_lshl_b64 s[0:1], s[18:19], 2
	s_add_u32 s0, s34, s0
	v_lshlrev_b32_e32 v3, 4, v0
	s_addc_u32 s1, s35, s1
	v_and_b32_e32 v24, 0x3f0, v3
	v_mov_b32_e32 v25, 0
	v_and_b32_e32 v2, 12, v28
	s_add_i32 s42, s42, -1
	v_lshl_add_u64 v[28:29], s[0:1], 0, v[24:25]
	v_lshl_add_u32 v3, v30, 4, s33
	s_lshl_b64 s[0:1], s[30:31], 2
	v_add3_u32 v37, v3, v2, 3
	v_lshlrev_b32_e32 v2, 4, v33
	s_add_u32 s0, s28, s0
	v_lshl_or_b32 v2, v30, 6, v2
	s_addc_u32 s1, s29, s1
	s_mov_b32 s5, s17
	v_add_u32_e32 v38, 0x110, v2
	v_lshl_add_u64 v[30:31], v[22:23], 2, s[0:1]
	s_mov_b64 s[6:7], 0
	v_mov_b32_e32 v24, v25
	v_mov_b32_e32 v26, v25
	;; [unrolled: 1-line block ×3, first 2 shown]
	s_branch .LBB37_43
.LBB37_42:                              ;   in Loop: Header=BB37_43 Depth=1
	s_or_b64 exec, exec, s[0:1]
	s_waitcnt vmcnt(3) lgkmcnt(0)
	v_mul_f32_e32 v7, v3, v7
	v_fmac_f32_e32 v7, v2, v6
	s_waitcnt vmcnt(2)
	v_mul_f32_e32 v6, v3, v11
	v_fmac_f32_e32 v6, v2, v10
	v_fmac_f32_e32 v6, v4, v12
	;; [unrolled: 1-line block ×3, first 2 shown]
	v_add_f32_e32 v25, v25, v6
	s_waitcnt vmcnt(1)
	v_mul_f32_e32 v6, v3, v15
	s_waitcnt vmcnt(0)
	v_mul_f32_e32 v3, v3, v19
	v_fmac_f32_e32 v6, v2, v14
	v_fmac_f32_e32 v3, v2, v18
	v_fmac_f32_e32 v7, v4, v8
	v_fmac_f32_e32 v6, v4, v16
	v_fmac_f32_e32 v3, v4, v20
	v_add_u32_e32 v22, 2, v22
	v_fmac_f32_e32 v7, v5, v9
	v_fmac_f32_e32 v6, v5, v17
	;; [unrolled: 1-line block ×3, first 2 shown]
	v_cmp_le_i32_e32 vcc, s16, v22
	v_add_f32_e32 v24, v24, v7
	v_add_f32_e32 v26, v26, v6
	;; [unrolled: 1-line block ×3, first 2 shown]
	v_add_u32_e32 v37, 32, v37
	v_add_u32_e32 v38, 0x80, v38
	s_or_b64 s[6:7], vcc, s[6:7]
	v_lshl_add_u64 v[30:31], v[30:31], 0, 8
	s_andn2_b64 exec, exec, s[6:7]
	s_cbranch_execz .LBB37_51
.LBB37_43:                              ; =>This Inner Loop Header: Depth=1
	global_load_dword v2, v[30:31], off
	v_add_u32_e32 v23, -3, v37
	v_cmp_eq_u32_e32 vcc, s42, v22
	v_add_u32_e32 v40, -2, v37
	v_add_u32_e32 v39, -1, v37
	s_waitcnt vmcnt(0)
	v_mad_i64_i32 v[2:3], s[0:1], v2, s5, 0
	v_lshl_add_u64 v[18:19], v[2:3], 2, v[28:29]
	global_load_dwordx4 v[6:9], v[18:19], off
	ds_read_b128 v[2:5], v38
	s_and_saveexec_b64 s[12:13], vcc
	s_cbranch_execnz .LBB37_47
; %bb.44:                               ;   in Loop: Header=BB37_43 Depth=1
	s_or_b64 exec, exec, s[12:13]
	global_load_dwordx4 v[10:13], v[18:19], off offset:1024
	s_and_saveexec_b64 s[12:13], vcc
	s_cbranch_execnz .LBB37_48
.LBB37_45:                              ;   in Loop: Header=BB37_43 Depth=1
	s_or_b64 exec, exec, s[12:13]
	global_load_dwordx4 v[14:17], v[18:19], off offset:2048
	s_and_saveexec_b64 s[12:13], vcc
	s_cbranch_execnz .LBB37_49
.LBB37_46:                              ;   in Loop: Header=BB37_43 Depth=1
	s_or_b64 exec, exec, s[12:13]
	global_load_dwordx4 v[18:21], v[18:19], off offset:3072
	s_and_saveexec_b64 s[0:1], vcc
	s_cbranch_execz .LBB37_42
	s_branch .LBB37_50
.LBB37_47:                              ;   in Loop: Header=BB37_43 Depth=1
	v_cmp_gt_i32_e64 s[0:1], s27, v23
	s_waitcnt vmcnt(0)
	s_nop 0
	v_cndmask_b32_e64 v6, 0, v6, s[0:1]
	v_cmp_gt_i32_e64 s[0:1], s27, v40
	s_nop 1
	v_cndmask_b32_e64 v7, 0, v7, s[0:1]
	v_cmp_gt_i32_e64 s[0:1], s27, v39
	;; [unrolled: 3-line block ×3, first 2 shown]
	s_nop 1
	v_cndmask_b32_e64 v9, 0, v9, s[0:1]
	s_or_b64 exec, exec, s[12:13]
	global_load_dwordx4 v[10:13], v[18:19], off offset:1024
	s_and_saveexec_b64 s[12:13], vcc
	s_cbranch_execz .LBB37_45
.LBB37_48:                              ;   in Loop: Header=BB37_43 Depth=1
	v_cmp_gt_i32_e64 s[0:1], s27, v23
	s_waitcnt vmcnt(0)
	s_nop 0
	v_cndmask_b32_e64 v10, 0, v10, s[0:1]
	v_cmp_gt_i32_e64 s[0:1], s27, v40
	s_nop 1
	v_cndmask_b32_e64 v11, 0, v11, s[0:1]
	v_cmp_gt_i32_e64 s[0:1], s27, v39
	;; [unrolled: 3-line block ×3, first 2 shown]
	s_nop 1
	v_cndmask_b32_e64 v13, 0, v13, s[0:1]
	s_or_b64 exec, exec, s[12:13]
	global_load_dwordx4 v[14:17], v[18:19], off offset:2048
	s_and_saveexec_b64 s[12:13], vcc
	s_cbranch_execz .LBB37_46
.LBB37_49:                              ;   in Loop: Header=BB37_43 Depth=1
	v_cmp_gt_i32_e64 s[0:1], s27, v23
	s_waitcnt vmcnt(0)
	s_nop 0
	v_cndmask_b32_e64 v14, 0, v14, s[0:1]
	v_cmp_gt_i32_e64 s[0:1], s27, v40
	s_nop 1
	v_cndmask_b32_e64 v15, 0, v15, s[0:1]
	v_cmp_gt_i32_e64 s[0:1], s27, v39
	;; [unrolled: 3-line block ×3, first 2 shown]
	s_nop 1
	v_cndmask_b32_e64 v17, 0, v17, s[0:1]
	s_or_b64 exec, exec, s[12:13]
	global_load_dwordx4 v[18:21], v[18:19], off offset:3072
	s_and_saveexec_b64 s[0:1], vcc
	s_cbranch_execz .LBB37_42
.LBB37_50:                              ;   in Loop: Header=BB37_43 Depth=1
	v_cmp_gt_i32_e32 vcc, s27, v23
	s_waitcnt vmcnt(0)
	s_nop 0
	v_cndmask_b32_e32 v18, 0, v18, vcc
	v_cmp_gt_i32_e32 vcc, s27, v40
	s_nop 1
	v_cndmask_b32_e32 v19, 0, v19, vcc
	v_cmp_gt_i32_e32 vcc, s27, v39
	;; [unrolled: 3-line block ×3, first 2 shown]
	s_nop 1
	v_cndmask_b32_e32 v21, 0, v21, vcc
	s_branch .LBB37_42
.LBB37_51:
	s_or_b64 exec, exec, s[6:7]
.LBB37_52:
	s_or_b64 exec, exec, s[2:3]
	ds_bpermute_b32 v2, v36, v24
	ds_bpermute_b32 v3, v36, v25
	;; [unrolled: 1-line block ×4, first 2 shown]
	v_and_b32_e32 v0, 0x3c3, v0
	v_cmp_eq_u32_e32 vcc, 64, v0
	s_waitcnt lgkmcnt(2)
	v_pk_add_f32 v[2:3], v[24:25], v[2:3]
	ds_bpermute_b32 v6, v35, v2
	s_waitcnt lgkmcnt(1)
	v_pk_add_f32 v[4:5], v[26:27], v[4:5]
	ds_bpermute_b32 v7, v35, v3
	ds_bpermute_b32 v8, v35, v4
	;; [unrolled: 1-line block ×3, first 2 shown]
	s_waitcnt lgkmcnt(0)
	s_barrier
	v_pk_add_f32 v[2:3], v[2:3], v[6:7]
	v_pk_add_f32 v[4:5], v[4:5], v[8:9]
	s_and_saveexec_b64 s[0:1], vcc
	s_cbranch_execz .LBB37_54
; %bb.53:
	v_add_u32_e32 v6, 0x110, v34
	ds_write2_b32 v6, v2, v3 offset1:16
	ds_write2_b32 v6, v4, v5 offset0:32 offset1:48
.LBB37_54:
	s_or_b64 exec, exec, s[0:1]
	s_waitcnt lgkmcnt(0)
	s_barrier
	s_and_saveexec_b64 s[0:1], s[8:9]
	s_cbranch_execz .LBB37_61
; %bb.55:
	v_cmp_eq_u32_e32 vcc, 0, v33
	s_and_saveexec_b64 s[2:3], vcc
	s_cbranch_execnz .LBB37_64
; %bb.56:
	s_or_b64 exec, exec, s[2:3]
	s_and_saveexec_b64 s[2:3], vcc
	s_cbranch_execnz .LBB37_65
.LBB37_57:
	s_or_b64 exec, exec, s[2:3]
	s_and_saveexec_b64 s[2:3], vcc
	s_cbranch_execnz .LBB37_66
.LBB37_58:
	s_or_b64 exec, exec, s[2:3]
	s_and_saveexec_b64 s[2:3], vcc
	s_cbranch_execz .LBB37_60
.LBB37_59:
	v_mov_b32_e32 v6, 0x110
	v_lshl_add_u32 v6, v32, 2, v6
	ds_read_b32 v6, v6 offset:192
	s_waitcnt lgkmcnt(0)
	v_add_f32_e32 v5, v5, v6
.LBB37_60:
	s_or_b64 exec, exec, s[2:3]
.LBB37_61:
	s_or_b64 exec, exec, s[0:1]
	v_cmp_eq_u32_e32 vcc, 0, v0
	s_barrier
	s_and_saveexec_b64 s[0:1], vcc
	s_cbranch_execz .LBB37_63
; %bb.62:
	s_lshl_b32 s0, s10, 6
	s_ashr_i32 s1, s0, 31
	s_lshl_b64 s[0:1], s[0:1], 2
	s_add_u32 s2, s24, s0
	s_mul_i32 s0, s15, s14
	s_addc_u32 s3, s25, s1
	s_ashr_i32 s1, s0, 31
	s_lshl_b64 s[0:1], s[0:1], 2
	s_add_u32 s2, s2, s0
	s_addc_u32 s3, s3, s1
	s_lshl_b32 s0, s4, 6
	s_ashr_i32 s1, s0, 31
	s_lshl_b64 s[0:1], s[0:1], 2
	s_add_u32 s0, s2, s0
	s_addc_u32 s1, s3, s1
	global_store_dword v1, v2, s[0:1]
	global_store_dword v1, v3, s[0:1] offset:64
	global_store_dword v1, v4, s[0:1] offset:128
	global_store_dword v1, v5, s[0:1] offset:192
.LBB37_63:
	s_endpgm
.LBB37_64:
	v_mov_b32_e32 v6, 0x110
	v_lshl_add_u32 v6, v32, 2, v6
	ds_read_b32 v6, v6
	s_waitcnt lgkmcnt(0)
	v_add_f32_e32 v2, v2, v6
	s_or_b64 exec, exec, s[2:3]
	s_and_saveexec_b64 s[2:3], vcc
	s_cbranch_execz .LBB37_57
.LBB37_65:
	v_mov_b32_e32 v6, 0x110
	v_lshl_add_u32 v6, v32, 2, v6
	ds_read_b32 v6, v6 offset:64
	s_waitcnt lgkmcnt(0)
	v_add_f32_e32 v3, v3, v6
	s_or_b64 exec, exec, s[2:3]
	s_and_saveexec_b64 s[2:3], vcc
	s_cbranch_execz .LBB37_58
.LBB37_66:
	v_mov_b32_e32 v6, 0x110
	v_lshl_add_u32 v6, v32, 2, v6
	ds_read_b32 v6, v6 offset:128
	s_waitcnt lgkmcnt(0)
	v_add_f32_e32 v4, v4, v6
	s_or_b64 exec, exec, s[2:3]
	s_and_saveexec_b64 s[2:3], vcc
	s_cbranch_execnz .LBB37_59
	s_branch .LBB37_60
	.section	.rodata,"a",@progbits
	.p2align	6, 0x0
	.amdhsa_kernel _ZN4vllm25paged_attention_v2_kernelIffLi64ELi16ELi128ELNS_18Fp8KVCacheDataTypeE0ELb0ELi512EEEvPfS2_PT_PKS3_PKT0_S9_ifPKiSB_iPKfiiiSD_SD_iiiii
		.amdhsa_group_segment_fixed_size 272
		.amdhsa_private_segment_fixed_size 0
		.amdhsa_kernarg_size 400
		.amdhsa_user_sgpr_count 2
		.amdhsa_user_sgpr_dispatch_ptr 0
		.amdhsa_user_sgpr_queue_ptr 0
		.amdhsa_user_sgpr_kernarg_segment_ptr 1
		.amdhsa_user_sgpr_dispatch_id 0
		.amdhsa_user_sgpr_kernarg_preload_length 0
		.amdhsa_user_sgpr_kernarg_preload_offset 0
		.amdhsa_user_sgpr_private_segment_size 0
		.amdhsa_uses_dynamic_stack 0
		.amdhsa_enable_private_segment 0
		.amdhsa_system_sgpr_workgroup_id_x 1
		.amdhsa_system_sgpr_workgroup_id_y 1
		.amdhsa_system_sgpr_workgroup_id_z 1
		.amdhsa_system_sgpr_workgroup_info 0
		.amdhsa_system_vgpr_workitem_id 0
		.amdhsa_next_free_vgpr 53
		.amdhsa_next_free_sgpr 44
		.amdhsa_accum_offset 56
		.amdhsa_reserve_vcc 1
		.amdhsa_float_round_mode_32 0
		.amdhsa_float_round_mode_16_64 0
		.amdhsa_float_denorm_mode_32 3
		.amdhsa_float_denorm_mode_16_64 3
		.amdhsa_dx10_clamp 1
		.amdhsa_ieee_mode 1
		.amdhsa_fp16_overflow 0
		.amdhsa_tg_split 0
		.amdhsa_exception_fp_ieee_invalid_op 0
		.amdhsa_exception_fp_denorm_src 0
		.amdhsa_exception_fp_ieee_div_zero 0
		.amdhsa_exception_fp_ieee_overflow 0
		.amdhsa_exception_fp_ieee_underflow 0
		.amdhsa_exception_fp_ieee_inexact 0
		.amdhsa_exception_int_div_zero 0
	.end_amdhsa_kernel
	.section	.text._ZN4vllm25paged_attention_v2_kernelIffLi64ELi16ELi128ELNS_18Fp8KVCacheDataTypeE0ELb0ELi512EEEvPfS2_PT_PKS3_PKT0_S9_ifPKiSB_iPKfiiiSD_SD_iiiii,"axG",@progbits,_ZN4vllm25paged_attention_v2_kernelIffLi64ELi16ELi128ELNS_18Fp8KVCacheDataTypeE0ELb0ELi512EEEvPfS2_PT_PKS3_PKT0_S9_ifPKiSB_iPKfiiiSD_SD_iiiii,comdat
.Lfunc_end37:
	.size	_ZN4vllm25paged_attention_v2_kernelIffLi64ELi16ELi128ELNS_18Fp8KVCacheDataTypeE0ELb0ELi512EEEvPfS2_PT_PKS3_PKT0_S9_ifPKiSB_iPKfiiiSD_SD_iiiii, .Lfunc_end37-_ZN4vllm25paged_attention_v2_kernelIffLi64ELi16ELi128ELNS_18Fp8KVCacheDataTypeE0ELb0ELi512EEEvPfS2_PT_PKS3_PKT0_S9_ifPKiSB_iPKfiiiSD_SD_iiiii
                                        ; -- End function
	.section	.AMDGPU.csdata,"",@progbits
; Kernel info:
; codeLenInByte = 4128
; NumSgprs: 50
; NumVgprs: 53
; NumAgprs: 0
; TotalNumVgprs: 53
; ScratchSize: 0
; MemoryBound: 0
; FloatMode: 240
; IeeeMode: 1
; LDSByteSize: 272 bytes/workgroup (compile time only)
; SGPRBlocks: 6
; VGPRBlocks: 6
; NumSGPRsForWavesPerEU: 50
; NumVGPRsForWavesPerEU: 53
; AccumOffset: 56
; Occupancy: 8
; WaveLimiterHint : 1
; COMPUTE_PGM_RSRC2:SCRATCH_EN: 0
; COMPUTE_PGM_RSRC2:USER_SGPR: 2
; COMPUTE_PGM_RSRC2:TRAP_HANDLER: 0
; COMPUTE_PGM_RSRC2:TGID_X_EN: 1
; COMPUTE_PGM_RSRC2:TGID_Y_EN: 1
; COMPUTE_PGM_RSRC2:TGID_Z_EN: 1
; COMPUTE_PGM_RSRC2:TIDIG_COMP_CNT: 0
; COMPUTE_PGM_RSRC3_GFX90A:ACCUM_OFFSET: 13
; COMPUTE_PGM_RSRC3_GFX90A:TG_SPLIT: 0
	.section	.text._ZN4vllm25paged_attention_v2_kernelIffLi80ELi16ELi128ELNS_18Fp8KVCacheDataTypeE0ELb0ELi512EEEvPfS2_PT_PKS3_PKT0_S9_ifPKiSB_iPKfiiiSD_SD_iiiii,"axG",@progbits,_ZN4vllm25paged_attention_v2_kernelIffLi80ELi16ELi128ELNS_18Fp8KVCacheDataTypeE0ELb0ELi512EEEvPfS2_PT_PKS3_PKT0_S9_ifPKiSB_iPKfiiiSD_SD_iiiii,comdat
	.protected	_ZN4vllm25paged_attention_v2_kernelIffLi80ELi16ELi128ELNS_18Fp8KVCacheDataTypeE0ELb0ELi512EEEvPfS2_PT_PKS3_PKT0_S9_ifPKiSB_iPKfiiiSD_SD_iiiii ; -- Begin function _ZN4vllm25paged_attention_v2_kernelIffLi80ELi16ELi128ELNS_18Fp8KVCacheDataTypeE0ELb0ELi512EEEvPfS2_PT_PKS3_PKT0_S9_ifPKiSB_iPKfiiiSD_SD_iiiii
	.globl	_ZN4vllm25paged_attention_v2_kernelIffLi80ELi16ELi128ELNS_18Fp8KVCacheDataTypeE0ELb0ELi512EEEvPfS2_PT_PKS3_PKT0_S9_ifPKiSB_iPKfiiiSD_SD_iiiii
	.p2align	8
	.type	_ZN4vllm25paged_attention_v2_kernelIffLi80ELi16ELi128ELNS_18Fp8KVCacheDataTypeE0ELb0ELi512EEEvPfS2_PT_PKS3_PKT0_S9_ifPKiSB_iPKfiiiSD_SD_iiiii,@function
_ZN4vllm25paged_attention_v2_kernelIffLi80ELi16ELi128ELNS_18Fp8KVCacheDataTypeE0ELb0ELi512EEEvPfS2_PT_PKS3_PKT0_S9_ifPKiSB_iPKfiiiSD_SD_iiiii: ; @_ZN4vllm25paged_attention_v2_kernelIffLi80ELi16ELi128ELNS_18Fp8KVCacheDataTypeE0ELb0ELi512EEEvPfS2_PT_PKS3_PKT0_S9_ifPKiSB_iPKfiiiSD_SD_iiiii
; %bb.0:
	s_load_dwordx2 s[6:7], s[0:1], 0x40
	s_mov_b32 s24, s3
	s_ashr_i32 s25, s3, 31
	s_lshl_b64 s[8:9], s[24:25], 2
	s_waitcnt lgkmcnt(0)
	s_add_u32 s6, s6, s8
	s_addc_u32 s7, s7, s9
	s_load_dword s25, s[6:7], 0x0
	s_lshl_b32 s40, s4, 9
	s_waitcnt lgkmcnt(0)
	s_cmp_ge_i32 s40, s25
	s_cbranch_scc1 .LBB38_66
; %bb.1:
	s_load_dword s5, s[0:1], 0x90
	s_load_dwordx2 s[10:11], s[0:1], 0x30
	s_waitcnt lgkmcnt(0)
	s_abs_i32 s7, s5
	s_abs_i32 s3, s10
	v_cvt_f32_u32_e32 v1, s3
	s_sub_i32 s8, 0, s3
	s_xor_b32 s6, s5, s10
	s_ashr_i32 s6, s6, 31
	v_rcp_iflag_f32_e32 v1, v1
	s_nop 0
	v_mul_f32_e32 v1, 0x4f7ffffe, v1
	v_cvt_u32_f32_e32 v1, v1
	s_nop 0
	v_readfirstlane_b32 s9, v1
	s_mul_i32 s8, s8, s9
	s_mul_hi_u32 s8, s9, s8
	s_add_i32 s9, s9, s8
	s_mul_hi_u32 s8, s7, s9
	s_mul_i32 s9, s8, s3
	s_sub_i32 s7, s7, s9
	s_add_i32 s10, s8, 1
	s_sub_i32 s9, s7, s3
	s_cmp_ge_u32 s7, s3
	s_cselect_b32 s8, s10, s8
	s_cselect_b32 s7, s9, s7
	s_add_i32 s9, s8, 1
	s_cmp_ge_u32 s7, s3
	s_cselect_b32 s3, s9, s8
	s_xor_b32 s3, s3, s6
	s_sub_i32 s12, s3, s6
	s_abs_i32 s8, s12
	v_cvt_f32_u32_e32 v1, s8
	s_load_dwordx2 s[6:7], s[0:1], 0x50
	s_sub_i32 s3, 0, s8
	s_abs_i32 s9, s2
	v_rcp_iflag_f32_e32 v1, v1
	s_mov_b32 s10, 0
	v_mul_f32_e32 v1, 0x4f7ffffe, v1
	v_cvt_u32_f32_e32 v1, v1
	s_nop 0
	v_readfirstlane_b32 s13, v1
	s_mul_i32 s3, s3, s13
	s_mul_hi_u32 s3, s13, s3
	s_add_i32 s13, s13, s3
	s_waitcnt lgkmcnt(0)
	s_cmp_eq_u64 s[6:7], 0
	s_mul_hi_u32 s16, s9, s13
	s_cbranch_scc1 .LBB38_3
; %bb.2:
	s_ashr_i32 s3, s2, 31
	s_lshl_b64 s[14:15], s[2:3], 2
	s_add_u32 s6, s6, s14
	s_addc_u32 s7, s7, s15
	s_load_dword s10, s[6:7], 0x0
.LBB38_3:
	s_ashr_i32 s18, s12, 31
	s_load_dwordx4 s[12:15], s[0:1], 0x58
	v_lshrrev_b32_e32 v38, 2, v0
	s_movk_i32 s3, 0x50
	s_ashr_i32 s17, s2, 31
	v_and_b32_e32 v39, 3, v0
	s_mul_i32 s20, s2, 0x50
	v_cmp_gt_u32_e32 vcc, s3, v0
	v_lshlrev_b32_e32 v32, 2, v0
	v_lshlrev_b32_e32 v1, 2, v38
	s_and_saveexec_b64 s[6:7], vcc
	s_cbranch_execz .LBB38_5
; %bb.4:
	s_load_dwordx2 s[22:23], s[0:1], 0x18
	s_waitcnt lgkmcnt(0)
	s_mul_i32 s26, s24, s12
	s_ashr_i32 s27, s26, 31
	s_lshl_b64 s[26:27], s[26:27], 2
	v_mad_u32_u24 v3, v39, s3, v1
	s_add_u32 s12, s22, s26
	s_addc_u32 s15, s23, s27
	s_ashr_i32 s21, s20, 31
	s_lshl_b64 s[22:23], s[20:21], 2
	s_add_u32 s22, s12, s22
	s_addc_u32 s23, s15, s23
	global_load_dword v2, v32, s[22:23]
	s_waitcnt vmcnt(0)
	ds_write_b32 v3, v2
.LBB38_5:
	s_or_b64 exec, exec, s[6:7]
	s_add_i32 s3, s25, 15
	s_ashr_i32 s6, s3, 31
	s_lshr_b32 s6, s6, 28
	s_add_i32 s3, s3, s6
	s_waitcnt lgkmcnt(0)
	s_ashr_i32 s12, s3, 4
	s_lshl_b32 s3, s4, 5
	s_mul_i32 s7, s16, s8
	s_add_i32 s6, s3, 32
	s_sub_i32 s7, s9, s7
	s_min_i32 s33, s6, s12
	s_xor_b32 s6, s17, s18
	s_add_i32 s9, s16, 1
	s_sub_i32 s15, s7, s8
	s_cmp_ge_u32 s7, s8
	s_cselect_b32 s9, s9, s16
	s_cselect_b32 s7, s15, s7
	s_add_i32 s15, s9, 1
	s_cmp_ge_u32 s7, s8
	s_load_dwordx2 s[26:27], s[0:1], 0x38
	s_load_dword s8, s[0:1], 0x48
	v_lshrrev_b32_e32 v34, 6, v0
	s_cselect_b32 s7, s15, s9
	s_xor_b32 s7, s7, s6
	v_or_b32_e32 v26, s3, v34
	s_waitcnt lgkmcnt(0)
	s_mul_i32 s28, s24, s8
	s_sub_i32 s15, s7, s6
	s_ashr_i32 s29, s28, 31
	v_cmp_gt_i32_e64 s[6:7], s33, v26
	v_cmp_le_i32_e32 vcc, s33, v26
	v_mbcnt_lo_u32_b32 v24, -1, 0
	s_barrier
	s_waitcnt lgkmcnt(0)
                                        ; implicit-def: $sgpr36
                                        ; implicit-def: $vgpr28
                                        ; implicit-def: $vgpr29
	s_and_saveexec_b64 s[8:9], vcc
	s_xor_b64 s[8:9], exec, s[8:9]
; %bb.6:
	v_mbcnt_hi_u32_b32 v28, -1, v24
	v_and_b32_e32 v2, 64, v28
	v_add_u32_e32 v29, 64, v2
	s_mov_b32 s36, 0xff7fffff
                                        ; implicit-def: $vgpr24
; %bb.7:
	s_or_saveexec_b64 s[34:35], s[8:9]
	s_load_dwordx4 s[16:19], s[0:1], 0x0
	s_load_dwordx2 s[22:23], s[0:1], 0x10
	s_load_dwordx2 s[30:31], s[0:1], 0x28
	s_load_dword s21, s[0:1], 0x98
	v_mov_b32_e32 v30, s36
	s_mul_i32 s14, s15, s14
	v_ashrrev_i32_e32 v27, 31, v26
	s_xor_b64 exec, exec, s[34:35]
	s_cbranch_execz .LBB38_13
; %bb.8:
	s_load_dwordx2 s[0:1], s[0:1], 0x20
	s_ashr_i32 s15, s14, 31
	s_lshl_b64 s[8:9], s[14:15], 2
	v_bfe_u32 v25, v0, 2, 4
	v_mbcnt_hi_u32_b32 v28, -1, v24
	s_waitcnt lgkmcnt(0)
	s_add_u32 s0, s0, s8
	s_addc_u32 s1, s1, s9
	v_lshlrev_b32_e32 v2, 4, v25
	v_mov_b32_e32 v3, 0
	v_and_b32_e32 v24, 64, v28
	v_lshl_add_u64 v[4:5], s[0:1], 0, v[2:3]
	v_lshlrev_b32_e32 v2, 2, v39
	v_mul_u32_u24_e32 v18, 0x50, v39
	v_add_u32_e32 v29, 64, v24
	v_xor_b32_e32 v24, 2, v28
	v_lshl_add_u64 v[22:23], v[4:5], 0, v[2:3]
	ds_read_b128 v[2:5], v18
	ds_read_b128 v[6:9], v18 offset:16
	ds_read_b128 v[10:13], v18 offset:32
	;; [unrolled: 1-line block ×4, first 2 shown]
	v_cmp_lt_i32_e32 vcc, v24, v29
	s_sub_i32 s15, 1, s25
	s_lshl_b64 s[8:9], s[28:29], 2
	v_cndmask_b32_e32 v24, v28, v24, vcc
	v_lshlrev_b32_e32 v31, 2, v24
	v_xor_b32_e32 v24, 1, v28
	v_cmp_lt_i32_e32 vcc, v24, v29
	v_lshlrev_b32_e32 v30, 2, v25
	s_add_u32 s8, s26, s8
	v_cndmask_b32_e32 v24, v28, v24, vcc
	v_lshlrev_b32_e32 v33, 2, v24
	v_lshlrev_b32_e32 v24, 4, v34
	v_add3_u32 v35, s40, v24, v25
	v_lshl_or_b32 v24, v34, 6, v30
	s_addc_u32 s9, s27, s9
	s_mov_b32 s41, s13
	v_cmp_eq_u32_e32 vcc, 0, v39
	v_cmp_neq_f32_e64 s[0:1], s10, 0
	v_add_u32_e32 v36, 0x150, v24
	v_lshl_add_u64 v[24:25], v[26:27], 2, s[8:9]
	s_mov_b64 s[36:37], 0
	v_mov_b32_e32 v30, 0xff7fffff
	s_movk_i32 s42, 0x1000
	v_mov_b32_e32 v37, v26
	s_branch .LBB38_10
.LBB38_9:                               ;   in Loop: Header=BB38_10 Depth=1
	s_or_b64 exec, exec, s[38:39]
	v_add_u32_e32 v37, 2, v37
	v_cmp_le_i32_e64 s[8:9], s33, v37
	v_add_u32_e32 v35, 32, v35
	v_add_u32_e32 v36, 0x80, v36
	s_or_b64 s[36:37], s[8:9], s[36:37]
	v_lshl_add_u64 v[24:25], v[24:25], 0, 8
	s_andn2_b64 exec, exec, s[36:37]
	s_cbranch_execz .LBB38_12
.LBB38_10:                              ; =>This Inner Loop Header: Depth=1
	global_load_dword v40, v[24:25], off
	s_waitcnt vmcnt(0) lgkmcnt(0)
	v_mad_i64_i32 v[40:41], s[8:9], v40, s41, 0
	v_lshl_add_u64 v[40:41], v[40:41], 2, v[22:23]
	global_load_dword v42, v[40:41], off
	global_load_dword v43, v[40:41], off offset:256
	global_load_dword v44, v[40:41], off offset:512
	;; [unrolled: 1-line block ×15, first 2 shown]
	v_add_co_u32_e64 v40, s[8:9], s42, v40
	s_nop 1
	v_addc_co_u32_e64 v41, s[8:9], 0, v41, s[8:9]
	global_load_dword v58, v[40:41], off
	global_load_dword v59, v[40:41], off offset:256
	global_load_dword v60, v[40:41], off offset:512
	;; [unrolled: 1-line block ×3, first 2 shown]
	s_waitcnt vmcnt(18) lgkmcnt(4)
	v_mul_f32_e32 v40, v3, v43
	v_fmac_f32_e32 v40, v2, v42
	s_waitcnt vmcnt(17)
	v_fmac_f32_e32 v40, v4, v44
	s_waitcnt vmcnt(16)
	v_fmac_f32_e32 v40, v5, v45
	s_waitcnt vmcnt(15) lgkmcnt(3)
	v_fmac_f32_e32 v40, v6, v46
	s_waitcnt vmcnt(14)
	v_fmac_f32_e32 v40, v7, v47
	s_waitcnt vmcnt(13)
	v_fmac_f32_e32 v40, v8, v48
	s_waitcnt vmcnt(12)
	v_fmac_f32_e32 v40, v9, v49
	s_waitcnt vmcnt(11) lgkmcnt(2)
	v_fmac_f32_e32 v40, v10, v50
	s_waitcnt vmcnt(10)
	;; [unrolled: 8-line block ×4, first 2 shown]
	v_fmac_f32_e32 v40, v19, v59
	s_waitcnt vmcnt(1)
	v_fmac_f32_e32 v40, v20, v60
	s_waitcnt vmcnt(0)
	v_fmac_f32_e32 v40, v21, v61
	ds_bpermute_b32 v41, v31, v40
	s_waitcnt lgkmcnt(0)
	v_add_f32_e32 v40, v40, v41
	ds_bpermute_b32 v41, v33, v40
	s_and_saveexec_b64 s[38:39], vcc
	s_cbranch_execz .LBB38_9
; %bb.11:                               ;   in Loop: Header=BB38_10 Depth=1
	v_add_u32_e32 v42, s15, v35
	v_cvt_f32_i32_e32 v42, v42
	s_waitcnt lgkmcnt(0)
	v_add_f32_e32 v40, v40, v41
	v_cmp_gt_i32_e64 s[8:9], s25, v35
	v_max_f32_e32 v41, v30, v30
	v_mul_f32_e32 v42, s10, v42
	v_cndmask_b32_e64 v42, 0, v42, s[0:1]
	v_fmac_f32_e32 v42, s11, v40
	v_cndmask_b32_e64 v40, 0, v42, s[8:9]
	ds_write_b32 v36, v40
	v_max_f32_e32 v40, v41, v42
	v_cndmask_b32_e64 v30, v30, v40, s[8:9]
	s_branch .LBB38_9
.LBB38_12:
	s_or_b64 exec, exec, s[36:37]
.LBB38_13:
	s_or_b64 exec, exec, s[34:35]
	v_xor_b32_e32 v2, 32, v28
	v_cmp_lt_i32_e32 vcc, v2, v29
	v_xor_b32_e32 v5, 16, v28
	v_max_f32_e32 v4, v30, v30
	v_cndmask_b32_e32 v2, v28, v2, vcc
	v_lshlrev_b32_e32 v2, 2, v2
	ds_bpermute_b32 v3, v2, v30
	v_cmp_lt_i32_e32 vcc, v5, v29
	v_xor_b32_e32 v6, 8, v28
	v_and_b32_e32 v40, 63, v0
	s_waitcnt lgkmcnt(0)
	v_max_f32_e32 v3, v3, v3
	v_max_f32_e32 v4, v4, v3
	v_cndmask_b32_e32 v3, v28, v5, vcc
	v_lshlrev_b32_e32 v3, 2, v3
	ds_bpermute_b32 v5, v3, v4
	v_cmp_lt_i32_e32 vcc, v6, v29
	s_waitcnt lgkmcnt(0)
	v_max_f32_e32 v5, v5, v5
	v_max_f32_e32 v4, v4, v5
	v_cndmask_b32_e32 v5, v28, v6, vcc
	v_lshlrev_b32_e32 v7, 2, v5
	ds_bpermute_b32 v5, v7, v4
	v_xor_b32_e32 v6, 4, v28
	v_cmp_lt_i32_e32 vcc, v6, v29
	s_waitcnt lgkmcnt(0)
	v_max_f32_e32 v5, v5, v5
	v_max_f32_e32 v4, v4, v5
	v_cndmask_b32_e32 v5, v28, v6, vcc
	v_lshlrev_b32_e32 v8, 2, v5
	ds_bpermute_b32 v6, v8, v4
	v_cmp_eq_u32_e32 vcc, 0, v40
	v_lshlrev_b32_e32 v5, 2, v34
	s_and_saveexec_b64 s[0:1], vcc
	s_cbranch_execz .LBB38_15
; %bb.14:
	s_waitcnt lgkmcnt(0)
	v_max_f32_e32 v6, v6, v6
	v_max_f32_e32 v4, v4, v4
	;; [unrolled: 1-line block ×3, first 2 shown]
	ds_write_b32 v5, v4 offset:320
.LBB38_15:
	s_or_b64 exec, exec, s[0:1]
	v_cmp_gt_u32_e64 s[0:1], 2, v40
	v_mov_b32_e32 v4, 0xff7fffff
	s_waitcnt lgkmcnt(0)
	v_lshlrev_b32_e32 v6, 2, v40
	s_barrier
	s_and_saveexec_b64 s[8:9], s[0:1]
	s_cbranch_execz .LBB38_17
; %bb.16:
	ds_read_b32 v4, v6 offset:320
.LBB38_17:
	s_or_b64 exec, exec, s[8:9]
	v_xor_b32_e32 v9, 1, v28
	v_cmp_lt_i32_e64 s[8:9], v9, v29
	s_sub_i32 s3, s33, s3
	s_lshl_b32 s3, s3, 4
	v_cndmask_b32_e64 v9, v28, v9, s[8:9]
	v_lshlrev_b32_e32 v41, 2, v9
	s_waitcnt lgkmcnt(0)
	ds_bpermute_b32 v9, v41, v4
	v_max_f32_e32 v4, v4, v4
	s_add_i32 s3, s3, s40
	s_min_i32 s15, s3, s25
	s_sub_i32 s3, s15, s40
	s_waitcnt lgkmcnt(0)
	v_max_f32_e32 v9, v9, v9
	v_max_f32_e32 v4, v4, v9
	v_lshlrev_b32_e32 v9, 2, v28
	v_and_b32_e32 v9, 0xffffff00, v9
	ds_bpermute_b32 v4, v9, v4
	v_cmp_gt_i32_e64 s[8:9], s3, v0
	v_mov_b32_e32 v10, 0
	s_and_saveexec_b64 s[34:35], s[8:9]
	s_cbranch_execz .LBB38_21
; %bb.18:
	v_mov_b32_e32 v10, 0x150
	v_lshl_add_u32 v11, v0, 2, v10
	s_mov_b64 s[36:37], 0
	v_mov_b32_e32 v10, 0
	v_mov_b32_e32 v12, v0
.LBB38_19:                              ; =>This Inner Loop Header: Depth=1
	ds_read_b32 v13, v11
	v_add_u32_e32 v12, 0x80, v12
	v_cmp_le_i32_e64 s[10:11], s3, v12
	s_or_b64 s[36:37], s[10:11], s[36:37]
	s_waitcnt lgkmcnt(0)
	v_sub_f32_e32 v13, v13, v4
	v_mul_f32_e32 v13, 0x3fb8aa3b, v13
	v_exp_f32_e32 v13, v13
	ds_write_b32 v11, v13
	v_add_f32_e32 v10, v10, v13
	v_add_u32_e32 v11, 0x200, v11
	s_andn2_b64 exec, exec, s[36:37]
	s_cbranch_execnz .LBB38_19
; %bb.20:
	s_or_b64 exec, exec, s[36:37]
.LBB38_21:
	s_or_b64 exec, exec, s[34:35]
	ds_bpermute_b32 v2, v2, v10
	s_waitcnt lgkmcnt(0)
	v_add_f32_e32 v2, v10, v2
	ds_bpermute_b32 v3, v3, v2
	s_waitcnt lgkmcnt(0)
	v_add_f32_e32 v2, v2, v3
	ds_bpermute_b32 v3, v7, v2
	v_xor_b32_e32 v7, 2, v28
	v_cmp_lt_i32_e64 s[10:11], v7, v29
	s_waitcnt lgkmcnt(0)
	v_add_f32_e32 v2, v2, v3
	ds_bpermute_b32 v3, v8, v2
	v_cndmask_b32_e64 v7, v28, v7, s[10:11]
	v_lshlrev_b32_e32 v42, 2, v7
	s_waitcnt lgkmcnt(0)
	v_add_f32_e32 v2, v2, v3
	ds_bpermute_b32 v3, v42, v2
	s_waitcnt lgkmcnt(0)
	v_add_f32_e32 v2, v2, v3
	ds_bpermute_b32 v3, v41, v2
	s_waitcnt lgkmcnt(0)
	v_add_f32_e32 v2, v2, v3
	s_and_saveexec_b64 s[10:11], vcc
	s_cbranch_execz .LBB38_23
; %bb.22:
	ds_write_b32 v5, v2 offset:328
.LBB38_23:
	s_or_b64 exec, exec, s[10:11]
	s_waitcnt lgkmcnt(0)
	s_barrier
	s_and_saveexec_b64 s[10:11], s[0:1]
	s_cbranch_execz .LBB38_25
; %bb.24:
	ds_read_b32 v2, v6 offset:328
.LBB38_25:
	s_or_b64 exec, exec, s[10:11]
	s_waitcnt lgkmcnt(0)
	ds_bpermute_b32 v3, v41, v2
	s_waitcnt lgkmcnt(0)
	v_add_f32_e32 v2, v2, v3
	ds_bpermute_b32 v5, v9, v2
	s_and_saveexec_b64 s[0:1], s[8:9]
	s_cbranch_execz .LBB38_38
; %bb.26:
	s_waitcnt lgkmcnt(0)
	v_add_f32_e32 v2, 0x358637bd, v5
	v_div_scale_f32 v3, s[8:9], v2, v2, 1.0
	v_rcp_f32_e32 v6, v3
	v_div_scale_f32 v7, vcc, 1.0, v2, 1.0
	s_movk_i32 s8, 0x7f
	v_fma_f32 v8, -v3, v6, 1.0
	v_fmac_f32_e32 v6, v8, v6
	v_mul_f32_e32 v8, v7, v6
	v_fma_f32 v9, -v3, v8, v7
	v_fmac_f32_e32 v8, v9, v6
	v_fma_f32 v3, -v3, v8, v7
	v_div_fmas_f32 v3, v3, v6, v8
	v_div_fixup_f32 v2, v3, v2, 1.0
	v_xad_u32 v3, v0, -1, s15
	v_subrev_u32_e32 v6, s40, v3
	v_cmp_lt_u32_e32 vcc, s8, v6
	s_mov_b64 s[10:11], -1
	v_mov_b32_e32 v3, v0
	s_and_saveexec_b64 s[8:9], vcc
	s_cbranch_execz .LBB38_35
; %bb.27:
	v_lshrrev_b32_e32 v6, 7, v6
	v_add_u32_e32 v8, -1, v6
	v_lshrrev_b32_e32 v7, 1, v8
	v_mov_b32_e32 v3, v2
	v_add_u32_e32 v7, 1, v7
	v_cmp_lt_u32_e32 vcc, 13, v8
	v_mov_b32_e32 v10, 0
	s_and_saveexec_b64 s[10:11], vcc
	s_cbranch_execz .LBB38_31
; %bb.28:
	v_mov_b32_e32 v9, 0x150
	v_and_b32_e32 v8, -8, v7
	v_lshl_add_u32 v9, v0, 2, v9
	s_mov_b32 s15, 0
	s_mov_b64 s[34:35], 0
.LBB38_29:                              ; =>This Inner Loop Header: Depth=1
	ds_read2st64_b32 v[10:11], v9 offset1:2
	ds_read2st64_b32 v[12:13], v9 offset0:4 offset1:6
	ds_read2st64_b32 v[14:15], v9 offset0:8 offset1:10
	;; [unrolled: 1-line block ×3, first 2 shown]
	v_add_u32_e32 v8, -8, v8
	s_waitcnt lgkmcnt(3)
	v_pk_mul_f32 v[10:11], v[2:3], v[10:11]
	s_waitcnt lgkmcnt(2)
	v_pk_mul_f32 v[12:13], v[2:3], v[12:13]
	ds_write2st64_b32 v9, v10, v11 offset1:2
	ds_write2st64_b32 v9, v12, v13 offset0:4 offset1:6
	ds_read2st64_b32 v[12:13], v9 offset0:16 offset1:18
	s_waitcnt lgkmcnt(4)
	v_pk_mul_f32 v[10:11], v[2:3], v[14:15]
	ds_write2st64_b32 v9, v10, v11 offset0:8 offset1:10
	s_waitcnt lgkmcnt(4)
	v_pk_mul_f32 v[10:11], v[2:3], v[16:17]
	ds_write2st64_b32 v9, v10, v11 offset0:12 offset1:14
	ds_read2st64_b32 v[10:11], v9 offset0:20 offset1:22
	s_waitcnt lgkmcnt(3)
	v_pk_mul_f32 v[12:13], v[2:3], v[12:13]
	ds_read2st64_b32 v[14:15], v9 offset0:24 offset1:26
	ds_write2st64_b32 v9, v12, v13 offset0:16 offset1:18
	ds_read2st64_b32 v[12:13], v9 offset0:28 offset1:30
	s_waitcnt lgkmcnt(3)
	v_pk_mul_f32 v[10:11], v[2:3], v[10:11]
	ds_write2st64_b32 v9, v10, v11 offset0:20 offset1:22
	s_waitcnt lgkmcnt(3)
	v_pk_mul_f32 v[10:11], v[2:3], v[14:15]
	ds_write2st64_b32 v9, v10, v11 offset0:24 offset1:26
	s_waitcnt lgkmcnt(2)
	v_pk_mul_f32 v[10:11], v[2:3], v[12:13]
	s_add_i32 s15, s15, 16
	v_cmp_eq_u32_e32 vcc, 0, v8
	ds_write2st64_b32 v9, v10, v11 offset0:28 offset1:30
	v_add_u32_e32 v9, 0x2000, v9
	s_or_b64 s[34:35], vcc, s[34:35]
	v_mov_b32_e32 v10, s15
	s_andn2_b64 exec, exec, s[34:35]
	s_cbranch_execnz .LBB38_29
; %bb.30:
	s_or_b64 exec, exec, s[34:35]
.LBB38_31:
	s_or_b64 exec, exec, s[10:11]
	v_and_b32_e32 v7, 7, v7
	v_cmp_ne_u32_e32 vcc, 0, v7
	s_and_saveexec_b64 s[10:11], vcc
	s_cbranch_execz .LBB38_34
; %bb.32:
	v_lshlrev_b32_e32 v8, 9, v10
	s_movk_i32 s15, 0x150
	v_add3_u32 v8, v8, v32, s15
	s_mov_b64 s[34:35], 0
.LBB38_33:                              ; =>This Inner Loop Header: Depth=1
	ds_read2st64_b32 v[10:11], v8 offset1:2
	v_add_u32_e32 v7, -1, v7
	v_cmp_eq_u32_e32 vcc, 0, v7
	s_or_b64 s[34:35], vcc, s[34:35]
	s_waitcnt lgkmcnt(0)
	v_pk_mul_f32 v[10:11], v[2:3], v[10:11]
	ds_write2st64_b32 v8, v10, v11 offset1:2
	v_add_u32_e32 v8, 0x400, v8
	s_andn2_b64 exec, exec, s[34:35]
	s_cbranch_execnz .LBB38_33
.LBB38_34:
	s_or_b64 exec, exec, s[10:11]
	v_add_u32_e32 v6, 1, v6
	v_and_b32_e32 v7, 0x3fffffe, v6
	v_cmp_ne_u32_e32 vcc, v6, v7
	v_lshl_add_u32 v3, v7, 7, v0
	s_orn2_b64 s[10:11], vcc, exec
.LBB38_35:
	s_or_b64 exec, exec, s[8:9]
	s_and_b64 exec, exec, s[10:11]
	s_cbranch_execz .LBB38_38
; %bb.36:
	v_mov_b32_e32 v6, 0x150
	v_lshl_add_u32 v6, v3, 2, v6
	s_mov_b64 s[8:9], 0
.LBB38_37:                              ; =>This Inner Loop Header: Depth=1
	ds_read_b32 v7, v6
	v_add_u32_e32 v3, 0x80, v3
	v_cmp_le_i32_e32 vcc, s3, v3
	s_or_b64 s[8:9], vcc, s[8:9]
	s_waitcnt lgkmcnt(0)
	v_mul_f32_e32 v7, v2, v7
	ds_write_b32 v6, v7
	v_add_u32_e32 v6, 0x200, v6
	s_andn2_b64 exec, exec, s[8:9]
	s_cbranch_execnz .LBB38_37
.LBB38_38:
	s_or_b64 exec, exec, s[0:1]
	s_mul_i32 s0, s21, s24
	v_cmp_eq_u32_e32 vcc, 0, v0
	s_mul_i32 s8, s0, s5
	s_waitcnt lgkmcnt(0)
	s_barrier
	s_and_saveexec_b64 s[0:1], vcc
	s_cbranch_execz .LBB38_40
; %bb.39:
	s_ashr_i32 s9, s8, 31
	s_lshl_b64 s[10:11], s[8:9], 2
	s_add_u32 s5, s18, s10
	s_mul_i32 s2, s21, s2
	s_addc_u32 s9, s19, s11
	s_ashr_i32 s3, s2, 31
	s_lshl_b64 s[2:3], s[2:3], 2
	s_add_u32 s15, s5, s2
	s_addc_u32 s9, s9, s3
	s_ashr_i32 s5, s4, 31
	s_lshl_b64 s[18:19], s[4:5], 2
	s_add_u32 s34, s15, s18
	s_addc_u32 s35, s9, s19
	s_add_u32 s5, s16, s10
	s_addc_u32 s9, s17, s11
	;; [unrolled: 2-line block ×3, first 2 shown]
	s_add_u32 s2, s2, s18
	v_mov_b32_e32 v2, 0
	s_addc_u32 s3, s3, s19
	global_store_dword v2, v4, s[34:35]
	global_store_dword v2, v5, s[2:3]
.LBB38_40:
	s_or_b64 exec, exec, s[0:1]
	v_mov_b32_e32 v43, 0
	v_mov_b32_e32 v29, 0
	;; [unrolled: 1-line block ×5, first 2 shown]
	s_and_saveexec_b64 s[2:3], s[6:7]
	s_cbranch_execz .LBB38_54
; %bb.41:
	s_ashr_i32 s15, s14, 31
	s_lshl_b64 s[0:1], s[14:15], 2
	s_add_u32 s6, s30, s0
	v_and_b32_e32 v3, 12, v32
	s_addc_u32 s7, s31, s1
	s_add_i32 s9, s12, -1
	v_lshl_add_u32 v5, v34, 4, s40
	s_lshl_b64 s[0:1], s[28:29], 2
	v_and_b32_e32 v2, 0xfc, v32
	v_add3_u32 v44, v5, v3, 3
	v_lshlrev_b32_e32 v3, 4, v39
	s_add_u32 s0, s26, s0
	v_mov_b32_e32 v33, 0
	v_or_b32_e32 v4, 0x400, v2
	v_lshl_or_b32 v3, v34, 6, v3
	s_addc_u32 s1, s27, s1
	s_mov_b32 s5, s13
	v_add_u32_e32 v45, 0x150, v3
	v_lshl_add_u64 v[34:35], v[26:27], 2, s[0:1]
	s_mov_b64 s[10:11], 0
	v_lshlrev_b32_e32 v36, 2, v2
	v_mov_b32_e32 v37, v33
	v_lshlrev_b32_e32 v32, 2, v4
	v_mov_b32_e32 v30, v33
	v_mov_b32_e32 v31, v33
	;; [unrolled: 1-line block ×5, first 2 shown]
	s_branch .LBB38_43
.LBB38_42:                              ;   in Loop: Header=BB38_43 Depth=1
	s_or_b64 exec, exec, s[0:1]
	s_waitcnt vmcnt(4) lgkmcnt(0)
	v_mul_f32_e32 v7, v3, v7
	v_fmac_f32_e32 v7, v2, v6
	s_waitcnt vmcnt(3)
	v_mul_f32_e32 v6, v3, v11
	v_fmac_f32_e32 v6, v2, v10
	v_fmac_f32_e32 v6, v4, v12
	;; [unrolled: 1-line block ×3, first 2 shown]
	v_add_f32_e32 v31, v31, v6
	s_waitcnt vmcnt(2)
	v_mul_f32_e32 v6, v3, v15
	v_fmac_f32_e32 v6, v2, v14
	v_fmac_f32_e32 v6, v4, v16
	;; [unrolled: 1-line block ×3, first 2 shown]
	v_add_f32_e32 v28, v28, v6
	s_waitcnt vmcnt(1)
	v_mul_f32_e32 v6, v3, v19
	s_waitcnt vmcnt(0)
	v_mul_f32_e32 v3, v3, v23
	v_fmac_f32_e32 v6, v2, v18
	v_fmac_f32_e32 v3, v2, v22
	;; [unrolled: 1-line block ×5, first 2 shown]
	v_add_u32_e32 v26, 2, v26
	v_fmac_f32_e32 v7, v5, v9
	v_fmac_f32_e32 v6, v5, v21
	;; [unrolled: 1-line block ×3, first 2 shown]
	v_cmp_le_i32_e32 vcc, s33, v26
	v_add_f32_e32 v30, v30, v7
	v_add_f32_e32 v29, v29, v6
	;; [unrolled: 1-line block ×3, first 2 shown]
	v_add_u32_e32 v44, 32, v44
	v_add_u32_e32 v45, 0x80, v45
	s_or_b64 s[10:11], vcc, s[10:11]
	v_lshl_add_u64 v[34:35], v[34:35], 0, 8
	s_andn2_b64 exec, exec, s[10:11]
	s_cbranch_execz .LBB38_53
.LBB38_43:                              ; =>This Inner Loop Header: Depth=1
	global_load_dword v2, v[34:35], off
	v_add_u32_e32 v27, -3, v44
	v_cmp_eq_u32_e32 vcc, s9, v26
	v_add_u32_e32 v47, -2, v44
	v_add_u32_e32 v46, -1, v44
	s_waitcnt vmcnt(0)
	v_mad_i64_i32 v[2:3], s[0:1], v2, s5, 0
	v_lshl_add_u64 v[22:23], v[2:3], 2, s[6:7]
	v_lshl_add_u64 v[18:19], v[22:23], 0, v[36:37]
	global_load_dwordx4 v[6:9], v[18:19], off
	ds_read_b128 v[2:5], v45
	s_and_saveexec_b64 s[12:13], vcc
	s_cbranch_execnz .LBB38_50
; %bb.44:                               ;   in Loop: Header=BB38_43 Depth=1
	s_or_b64 exec, exec, s[12:13]
	global_load_dwordx4 v[10:13], v[18:19], off offset:1024
	s_and_saveexec_b64 s[12:13], vcc
	s_cbranch_execnz .LBB38_51
.LBB38_45:                              ;   in Loop: Header=BB38_43 Depth=1
	s_or_b64 exec, exec, s[12:13]
	global_load_dwordx4 v[14:17], v[18:19], off offset:2048
	s_and_saveexec_b64 s[12:13], vcc
	s_cbranch_execnz .LBB38_52
.LBB38_46:                              ;   in Loop: Header=BB38_43 Depth=1
	s_or_b64 exec, exec, s[12:13]
	global_load_dwordx4 v[18:21], v[18:19], off offset:3072
	s_and_saveexec_b64 s[12:13], vcc
	s_cbranch_execz .LBB38_48
.LBB38_47:                              ;   in Loop: Header=BB38_43 Depth=1
	v_cmp_gt_i32_e64 s[0:1], s25, v27
	s_waitcnt vmcnt(0)
	s_nop 0
	v_cndmask_b32_e64 v18, 0, v18, s[0:1]
	v_cmp_gt_i32_e64 s[0:1], s25, v47
	s_nop 1
	v_cndmask_b32_e64 v19, 0, v19, s[0:1]
	v_cmp_gt_i32_e64 s[0:1], s25, v46
	;; [unrolled: 3-line block ×3, first 2 shown]
	s_nop 1
	v_cndmask_b32_e64 v21, 0, v21, s[0:1]
.LBB38_48:                              ;   in Loop: Header=BB38_43 Depth=1
	s_or_b64 exec, exec, s[12:13]
	v_lshl_add_u64 v[22:23], v[22:23], 0, v[32:33]
	global_load_dwordx4 v[22:25], v[22:23], off
	s_and_saveexec_b64 s[0:1], vcc
	s_cbranch_execz .LBB38_42
; %bb.49:                               ;   in Loop: Header=BB38_43 Depth=1
	v_cmp_gt_i32_e32 vcc, s25, v27
	s_waitcnt vmcnt(0)
	s_nop 0
	v_cndmask_b32_e32 v22, 0, v22, vcc
	v_cmp_gt_i32_e32 vcc, s25, v47
	s_nop 1
	v_cndmask_b32_e32 v23, 0, v23, vcc
	v_cmp_gt_i32_e32 vcc, s25, v46
	;; [unrolled: 3-line block ×3, first 2 shown]
	s_nop 1
	v_cndmask_b32_e32 v25, 0, v25, vcc
	s_branch .LBB38_42
.LBB38_50:                              ;   in Loop: Header=BB38_43 Depth=1
	v_cmp_gt_i32_e64 s[0:1], s25, v27
	s_waitcnt vmcnt(0)
	s_nop 0
	v_cndmask_b32_e64 v6, 0, v6, s[0:1]
	v_cmp_gt_i32_e64 s[0:1], s25, v47
	s_nop 1
	v_cndmask_b32_e64 v7, 0, v7, s[0:1]
	v_cmp_gt_i32_e64 s[0:1], s25, v46
	;; [unrolled: 3-line block ×3, first 2 shown]
	s_nop 1
	v_cndmask_b32_e64 v9, 0, v9, s[0:1]
	s_or_b64 exec, exec, s[12:13]
	global_load_dwordx4 v[10:13], v[18:19], off offset:1024
	s_and_saveexec_b64 s[12:13], vcc
	s_cbranch_execz .LBB38_45
.LBB38_51:                              ;   in Loop: Header=BB38_43 Depth=1
	v_cmp_gt_i32_e64 s[0:1], s25, v27
	s_waitcnt vmcnt(0)
	s_nop 0
	v_cndmask_b32_e64 v10, 0, v10, s[0:1]
	v_cmp_gt_i32_e64 s[0:1], s25, v47
	s_nop 1
	v_cndmask_b32_e64 v11, 0, v11, s[0:1]
	v_cmp_gt_i32_e64 s[0:1], s25, v46
	;; [unrolled: 3-line block ×3, first 2 shown]
	s_nop 1
	v_cndmask_b32_e64 v13, 0, v13, s[0:1]
	s_or_b64 exec, exec, s[12:13]
	global_load_dwordx4 v[14:17], v[18:19], off offset:2048
	s_and_saveexec_b64 s[12:13], vcc
	s_cbranch_execz .LBB38_46
.LBB38_52:                              ;   in Loop: Header=BB38_43 Depth=1
	v_cmp_gt_i32_e64 s[0:1], s25, v27
	s_waitcnt vmcnt(0)
	s_nop 0
	v_cndmask_b32_e64 v14, 0, v14, s[0:1]
	v_cmp_gt_i32_e64 s[0:1], s25, v47
	s_nop 1
	v_cndmask_b32_e64 v15, 0, v15, s[0:1]
	v_cmp_gt_i32_e64 s[0:1], s25, v46
	;; [unrolled: 3-line block ×3, first 2 shown]
	s_nop 1
	v_cndmask_b32_e64 v17, 0, v17, s[0:1]
	s_or_b64 exec, exec, s[12:13]
	global_load_dwordx4 v[18:21], v[18:19], off offset:3072
	s_and_saveexec_b64 s[12:13], vcc
	s_cbranch_execnz .LBB38_47
	s_branch .LBB38_48
.LBB38_53:
	s_or_b64 exec, exec, s[10:11]
.LBB38_54:
	s_or_b64 exec, exec, s[2:3]
	ds_bpermute_b32 v2, v42, v30
	ds_bpermute_b32 v3, v42, v31
	;; [unrolled: 1-line block ×5, first 2 shown]
	s_waitcnt lgkmcnt(0)
	v_pk_add_f32 v[2:3], v[30:31], v[2:3]
	ds_bpermute_b32 v6, v41, v2
	v_pk_add_f32 v[4:5], v[28:29], v[4:5]
	ds_bpermute_b32 v7, v41, v3
	ds_bpermute_b32 v8, v41, v4
	;; [unrolled: 1-line block ×3, first 2 shown]
	v_add_f32_e32 v10, v43, v10
	ds_bpermute_b32 v11, v41, v10
	s_waitcnt lgkmcnt(3)
	v_pk_add_f32 v[6:7], v[2:3], v[6:7]
	s_barrier
	s_waitcnt lgkmcnt(1)
	v_pk_add_f32 v[2:3], v[4:5], v[8:9]
	v_and_b32_e32 v5, 0x3c3, v0
	s_waitcnt lgkmcnt(0)
	v_add_f32_e32 v4, v10, v11
	v_cmp_eq_u32_e32 vcc, 64, v5
	s_and_saveexec_b64 s[0:1], vcc
	s_cbranch_execz .LBB38_56
; %bb.55:
	v_add_u32_e32 v8, 0x150, v40
	ds_write2_b32 v8, v6, v7 offset1:16
	ds_write2_b32 v8, v2, v3 offset0:32 offset1:48
	ds_write_b32 v8, v4 offset:256
.LBB38_56:
	s_or_b64 exec, exec, s[0:1]
	v_cmp_gt_u32_e32 vcc, 64, v0
	s_waitcnt lgkmcnt(0)
	s_barrier
	s_and_saveexec_b64 s[0:1], vcc
	s_cbranch_execz .LBB38_64
; %bb.57:
	v_cmp_eq_u32_e32 vcc, 0, v39
	s_and_saveexec_b64 s[2:3], vcc
	s_cbranch_execnz .LBB38_67
; %bb.58:
	s_or_b64 exec, exec, s[2:3]
	s_and_saveexec_b64 s[2:3], vcc
	s_cbranch_execnz .LBB38_68
.LBB38_59:
	s_or_b64 exec, exec, s[2:3]
	s_and_saveexec_b64 s[2:3], vcc
	s_cbranch_execnz .LBB38_69
.LBB38_60:
	s_or_b64 exec, exec, s[2:3]
	s_and_saveexec_b64 s[2:3], vcc
	s_cbranch_execnz .LBB38_70
.LBB38_61:
	s_or_b64 exec, exec, s[2:3]
	s_and_saveexec_b64 s[2:3], vcc
	s_cbranch_execz .LBB38_63
.LBB38_62:
	v_mov_b32_e32 v0, 0x150
	v_lshl_add_u32 v0, v38, 2, v0
	ds_read_b32 v0, v0 offset:256
	s_waitcnt lgkmcnt(0)
	v_add_f32_e32 v4, v4, v0
.LBB38_63:
	s_or_b64 exec, exec, s[2:3]
.LBB38_64:
	s_or_b64 exec, exec, s[0:1]
	v_cmp_eq_u32_e32 vcc, 0, v5
	s_barrier
	s_and_saveexec_b64 s[0:1], vcc
	s_cbranch_execz .LBB38_66
; %bb.65:
	s_mul_i32 s0, s8, 0x50
	s_ashr_i32 s1, s0, 31
	s_lshl_b64 s[0:1], s[0:1], 2
	s_add_u32 s2, s22, s0
	s_mul_i32 s0, s21, s20
	s_addc_u32 s3, s23, s1
	s_ashr_i32 s1, s0, 31
	s_lshl_b64 s[0:1], s[0:1], 2
	s_add_u32 s2, s2, s0
	s_mul_i32 s0, s4, 0x50
	s_addc_u32 s3, s3, s1
	s_ashr_i32 s1, s0, 31
	s_lshl_b64 s[0:1], s[0:1], 2
	s_add_u32 s0, s2, s0
	s_addc_u32 s1, s3, s1
	global_store_dword v1, v6, s[0:1]
	global_store_dword v1, v7, s[0:1] offset:64
	global_store_dword v1, v2, s[0:1] offset:128
	;; [unrolled: 1-line block ×4, first 2 shown]
.LBB38_66:
	s_endpgm
.LBB38_67:
	v_mov_b32_e32 v0, 0x150
	v_lshl_add_u32 v0, v38, 2, v0
	ds_read_b32 v0, v0
	s_waitcnt lgkmcnt(0)
	v_add_f32_e32 v6, v6, v0
	s_or_b64 exec, exec, s[2:3]
	s_and_saveexec_b64 s[2:3], vcc
	s_cbranch_execz .LBB38_59
.LBB38_68:
	v_mov_b32_e32 v0, 0x150
	v_lshl_add_u32 v0, v38, 2, v0
	ds_read_b32 v0, v0 offset:64
	s_waitcnt lgkmcnt(0)
	v_add_f32_e32 v7, v7, v0
	s_or_b64 exec, exec, s[2:3]
	s_and_saveexec_b64 s[2:3], vcc
	s_cbranch_execz .LBB38_60
.LBB38_69:
	v_mov_b32_e32 v0, 0x150
	v_lshl_add_u32 v0, v38, 2, v0
	ds_read_b32 v0, v0 offset:128
	s_waitcnt lgkmcnt(0)
	v_add_f32_e32 v2, v2, v0
	s_or_b64 exec, exec, s[2:3]
	s_and_saveexec_b64 s[2:3], vcc
	s_cbranch_execz .LBB38_61
.LBB38_70:
	v_mov_b32_e32 v0, 0x150
	v_lshl_add_u32 v0, v38, 2, v0
	ds_read_b32 v0, v0 offset:192
	s_waitcnt lgkmcnt(0)
	v_add_f32_e32 v3, v3, v0
	s_or_b64 exec, exec, s[2:3]
	s_and_saveexec_b64 s[2:3], vcc
	s_cbranch_execnz .LBB38_62
	s_branch .LBB38_63
	.section	.rodata,"a",@progbits
	.p2align	6, 0x0
	.amdhsa_kernel _ZN4vllm25paged_attention_v2_kernelIffLi80ELi16ELi128ELNS_18Fp8KVCacheDataTypeE0ELb0ELi512EEEvPfS2_PT_PKS3_PKT0_S9_ifPKiSB_iPKfiiiSD_SD_iiiii
		.amdhsa_group_segment_fixed_size 336
		.amdhsa_private_segment_fixed_size 0
		.amdhsa_kernarg_size 400
		.amdhsa_user_sgpr_count 2
		.amdhsa_user_sgpr_dispatch_ptr 0
		.amdhsa_user_sgpr_queue_ptr 0
		.amdhsa_user_sgpr_kernarg_segment_ptr 1
		.amdhsa_user_sgpr_dispatch_id 0
		.amdhsa_user_sgpr_kernarg_preload_length 0
		.amdhsa_user_sgpr_kernarg_preload_offset 0
		.amdhsa_user_sgpr_private_segment_size 0
		.amdhsa_uses_dynamic_stack 0
		.amdhsa_enable_private_segment 0
		.amdhsa_system_sgpr_workgroup_id_x 1
		.amdhsa_system_sgpr_workgroup_id_y 1
		.amdhsa_system_sgpr_workgroup_id_z 1
		.amdhsa_system_sgpr_workgroup_info 0
		.amdhsa_system_vgpr_workitem_id 0
		.amdhsa_next_free_vgpr 62
		.amdhsa_next_free_sgpr 43
		.amdhsa_accum_offset 64
		.amdhsa_reserve_vcc 1
		.amdhsa_float_round_mode_32 0
		.amdhsa_float_round_mode_16_64 0
		.amdhsa_float_denorm_mode_32 3
		.amdhsa_float_denorm_mode_16_64 3
		.amdhsa_dx10_clamp 1
		.amdhsa_ieee_mode 1
		.amdhsa_fp16_overflow 0
		.amdhsa_tg_split 0
		.amdhsa_exception_fp_ieee_invalid_op 0
		.amdhsa_exception_fp_denorm_src 0
		.amdhsa_exception_fp_ieee_div_zero 0
		.amdhsa_exception_fp_ieee_overflow 0
		.amdhsa_exception_fp_ieee_underflow 0
		.amdhsa_exception_fp_ieee_inexact 0
		.amdhsa_exception_int_div_zero 0
	.end_amdhsa_kernel
	.section	.text._ZN4vllm25paged_attention_v2_kernelIffLi80ELi16ELi128ELNS_18Fp8KVCacheDataTypeE0ELb0ELi512EEEvPfS2_PT_PKS3_PKT0_S9_ifPKiSB_iPKfiiiSD_SD_iiiii,"axG",@progbits,_ZN4vllm25paged_attention_v2_kernelIffLi80ELi16ELi128ELNS_18Fp8KVCacheDataTypeE0ELb0ELi512EEEvPfS2_PT_PKS3_PKT0_S9_ifPKiSB_iPKfiiiSD_SD_iiiii,comdat
.Lfunc_end38:
	.size	_ZN4vllm25paged_attention_v2_kernelIffLi80ELi16ELi128ELNS_18Fp8KVCacheDataTypeE0ELb0ELi512EEEvPfS2_PT_PKS3_PKT0_S9_ifPKiSB_iPKfiiiSD_SD_iiiii, .Lfunc_end38-_ZN4vllm25paged_attention_v2_kernelIffLi80ELi16ELi128ELNS_18Fp8KVCacheDataTypeE0ELb0ELi512EEEvPfS2_PT_PKS3_PKT0_S9_ifPKiSB_iPKfiiiSD_SD_iiiii
                                        ; -- End function
	.section	.AMDGPU.csdata,"",@progbits
; Kernel info:
; codeLenInByte = 4500
; NumSgprs: 49
; NumVgprs: 62
; NumAgprs: 0
; TotalNumVgprs: 62
; ScratchSize: 0
; MemoryBound: 0
; FloatMode: 240
; IeeeMode: 1
; LDSByteSize: 336 bytes/workgroup (compile time only)
; SGPRBlocks: 6
; VGPRBlocks: 7
; NumSGPRsForWavesPerEU: 49
; NumVGPRsForWavesPerEU: 62
; AccumOffset: 64
; Occupancy: 8
; WaveLimiterHint : 1
; COMPUTE_PGM_RSRC2:SCRATCH_EN: 0
; COMPUTE_PGM_RSRC2:USER_SGPR: 2
; COMPUTE_PGM_RSRC2:TRAP_HANDLER: 0
; COMPUTE_PGM_RSRC2:TGID_X_EN: 1
; COMPUTE_PGM_RSRC2:TGID_Y_EN: 1
; COMPUTE_PGM_RSRC2:TGID_Z_EN: 1
; COMPUTE_PGM_RSRC2:TIDIG_COMP_CNT: 0
; COMPUTE_PGM_RSRC3_GFX90A:ACCUM_OFFSET: 15
; COMPUTE_PGM_RSRC3_GFX90A:TG_SPLIT: 0
	.section	.text._ZN4vllm25paged_attention_v2_kernelIffLi96ELi16ELi128ELNS_18Fp8KVCacheDataTypeE0ELb0ELi512EEEvPfS2_PT_PKS3_PKT0_S9_ifPKiSB_iPKfiiiSD_SD_iiiii,"axG",@progbits,_ZN4vllm25paged_attention_v2_kernelIffLi96ELi16ELi128ELNS_18Fp8KVCacheDataTypeE0ELb0ELi512EEEvPfS2_PT_PKS3_PKT0_S9_ifPKiSB_iPKfiiiSD_SD_iiiii,comdat
	.protected	_ZN4vllm25paged_attention_v2_kernelIffLi96ELi16ELi128ELNS_18Fp8KVCacheDataTypeE0ELb0ELi512EEEvPfS2_PT_PKS3_PKT0_S9_ifPKiSB_iPKfiiiSD_SD_iiiii ; -- Begin function _ZN4vllm25paged_attention_v2_kernelIffLi96ELi16ELi128ELNS_18Fp8KVCacheDataTypeE0ELb0ELi512EEEvPfS2_PT_PKS3_PKT0_S9_ifPKiSB_iPKfiiiSD_SD_iiiii
	.globl	_ZN4vllm25paged_attention_v2_kernelIffLi96ELi16ELi128ELNS_18Fp8KVCacheDataTypeE0ELb0ELi512EEEvPfS2_PT_PKS3_PKT0_S9_ifPKiSB_iPKfiiiSD_SD_iiiii
	.p2align	8
	.type	_ZN4vllm25paged_attention_v2_kernelIffLi96ELi16ELi128ELNS_18Fp8KVCacheDataTypeE0ELb0ELi512EEEvPfS2_PT_PKS3_PKT0_S9_ifPKiSB_iPKfiiiSD_SD_iiiii,@function
_ZN4vllm25paged_attention_v2_kernelIffLi96ELi16ELi128ELNS_18Fp8KVCacheDataTypeE0ELb0ELi512EEEvPfS2_PT_PKS3_PKT0_S9_ifPKiSB_iPKfiiiSD_SD_iiiii: ; @_ZN4vllm25paged_attention_v2_kernelIffLi96ELi16ELi128ELNS_18Fp8KVCacheDataTypeE0ELb0ELi512EEEvPfS2_PT_PKS3_PKT0_S9_ifPKiSB_iPKfiiiSD_SD_iiiii
; %bb.0:
	s_load_dwordx2 s[6:7], s[0:1], 0x40
	s_mov_b32 s24, s3
	s_ashr_i32 s25, s3, 31
	s_lshl_b64 s[8:9], s[24:25], 2
	s_waitcnt lgkmcnt(0)
	s_add_u32 s6, s6, s8
	s_addc_u32 s7, s7, s9
	s_load_dword s25, s[6:7], 0x0
	s_lshl_b32 s40, s4, 9
	s_waitcnt lgkmcnt(0)
	s_cmp_ge_i32 s40, s25
	s_cbranch_scc1 .LBB39_69
; %bb.1:
	s_load_dword s5, s[0:1], 0x90
	s_load_dwordx2 s[10:11], s[0:1], 0x30
	s_waitcnt lgkmcnt(0)
	s_abs_i32 s7, s5
	s_abs_i32 s3, s10
	v_cvt_f32_u32_e32 v1, s3
	s_sub_i32 s8, 0, s3
	s_xor_b32 s6, s5, s10
	s_ashr_i32 s6, s6, 31
	v_rcp_iflag_f32_e32 v1, v1
	s_nop 0
	v_mul_f32_e32 v1, 0x4f7ffffe, v1
	v_cvt_u32_f32_e32 v1, v1
	s_nop 0
	v_readfirstlane_b32 s9, v1
	s_mul_i32 s8, s8, s9
	s_mul_hi_u32 s8, s9, s8
	s_add_i32 s9, s9, s8
	s_mul_hi_u32 s8, s7, s9
	s_mul_i32 s9, s8, s3
	s_sub_i32 s7, s7, s9
	s_add_i32 s10, s8, 1
	s_sub_i32 s9, s7, s3
	s_cmp_ge_u32 s7, s3
	s_cselect_b32 s8, s10, s8
	s_cselect_b32 s7, s9, s7
	s_add_i32 s9, s8, 1
	s_cmp_ge_u32 s7, s3
	s_cselect_b32 s3, s9, s8
	s_xor_b32 s3, s3, s6
	s_sub_i32 s12, s3, s6
	s_abs_i32 s8, s12
	v_cvt_f32_u32_e32 v1, s8
	s_load_dwordx2 s[6:7], s[0:1], 0x50
	s_sub_i32 s3, 0, s8
	s_abs_i32 s9, s2
	v_rcp_iflag_f32_e32 v1, v1
	s_mov_b32 s10, 0
	v_mul_f32_e32 v1, 0x4f7ffffe, v1
	v_cvt_u32_f32_e32 v1, v1
	s_nop 0
	v_readfirstlane_b32 s13, v1
	s_mul_i32 s3, s3, s13
	s_mul_hi_u32 s3, s13, s3
	s_add_i32 s13, s13, s3
	s_waitcnt lgkmcnt(0)
	s_cmp_eq_u64 s[6:7], 0
	s_mul_hi_u32 s16, s9, s13
	s_cbranch_scc1 .LBB39_3
; %bb.2:
	s_ashr_i32 s3, s2, 31
	s_lshl_b64 s[14:15], s[2:3], 2
	s_add_u32 s6, s6, s14
	s_addc_u32 s7, s7, s15
	s_load_dword s10, s[6:7], 0x0
.LBB39_3:
	s_ashr_i32 s18, s12, 31
	s_load_dwordx4 s[12:15], s[0:1], 0x58
	v_lshrrev_b32_e32 v46, 2, v0
	s_movk_i32 s3, 0x60
	s_ashr_i32 s17, s2, 31
	v_and_b32_e32 v47, 3, v0
	s_mul_i32 s20, s2, 0x60
	v_cmp_gt_u32_e32 vcc, s3, v0
	v_lshlrev_b32_e32 v38, 2, v0
	v_lshlrev_b32_e32 v1, 2, v46
	s_and_saveexec_b64 s[6:7], vcc
	s_cbranch_execz .LBB39_5
; %bb.4:
	s_load_dwordx2 s[22:23], s[0:1], 0x18
	s_waitcnt lgkmcnt(0)
	s_mul_i32 s26, s24, s12
	s_ashr_i32 s27, s26, 31
	s_lshl_b64 s[26:27], s[26:27], 2
	v_mad_u32_u24 v3, v47, s3, v1
	s_add_u32 s12, s22, s26
	s_addc_u32 s15, s23, s27
	s_ashr_i32 s21, s20, 31
	s_lshl_b64 s[22:23], s[20:21], 2
	s_add_u32 s22, s12, s22
	s_addc_u32 s23, s15, s23
	global_load_dword v2, v38, s[22:23]
	s_waitcnt vmcnt(0)
	ds_write_b32 v3, v2
.LBB39_5:
	s_or_b64 exec, exec, s[6:7]
	s_add_i32 s3, s25, 15
	s_ashr_i32 s6, s3, 31
	s_lshr_b32 s6, s6, 28
	s_add_i32 s3, s3, s6
	s_waitcnt lgkmcnt(0)
	s_ashr_i32 s12, s3, 4
	s_lshl_b32 s3, s4, 5
	s_mul_i32 s7, s16, s8
	s_add_i32 s6, s3, 32
	s_sub_i32 s7, s9, s7
	s_min_i32 s33, s6, s12
	s_xor_b32 s6, s17, s18
	s_add_i32 s9, s16, 1
	s_sub_i32 s15, s7, s8
	s_cmp_ge_u32 s7, s8
	s_cselect_b32 s9, s9, s16
	s_cselect_b32 s7, s15, s7
	s_add_i32 s15, s9, 1
	s_cmp_ge_u32 s7, s8
	s_load_dwordx2 s[26:27], s[0:1], 0x38
	s_load_dword s8, s[0:1], 0x48
	v_lshrrev_b32_e32 v40, 6, v0
	s_cselect_b32 s7, s15, s9
	s_xor_b32 s7, s7, s6
	v_or_b32_e32 v30, s3, v40
	s_waitcnt lgkmcnt(0)
	s_mul_i32 s28, s24, s8
	s_sub_i32 s15, s7, s6
	s_ashr_i32 s29, s28, 31
	v_cmp_gt_i32_e64 s[6:7], s33, v30
	v_cmp_le_i32_e32 vcc, s33, v30
	v_mbcnt_lo_u32_b32 v28, -1, 0
	s_barrier
	s_waitcnt lgkmcnt(0)
                                        ; implicit-def: $sgpr36
                                        ; implicit-def: $vgpr32
                                        ; implicit-def: $vgpr33
	s_and_saveexec_b64 s[8:9], vcc
	s_xor_b64 s[8:9], exec, s[8:9]
; %bb.6:
	v_mbcnt_hi_u32_b32 v32, -1, v28
	v_and_b32_e32 v2, 64, v32
	v_add_u32_e32 v33, 64, v2
	s_mov_b32 s36, 0xff7fffff
                                        ; implicit-def: $vgpr28
; %bb.7:
	s_or_saveexec_b64 s[34:35], s[8:9]
	s_load_dwordx4 s[16:19], s[0:1], 0x0
	s_load_dwordx2 s[22:23], s[0:1], 0x10
	s_load_dwordx2 s[30:31], s[0:1], 0x28
	s_load_dword s21, s[0:1], 0x98
	v_mov_b32_e32 v34, s36
	s_mul_i32 s14, s15, s14
	v_ashrrev_i32_e32 v31, 31, v30
	s_xor_b64 exec, exec, s[34:35]
	s_cbranch_execz .LBB39_13
; %bb.8:
	s_load_dwordx2 s[0:1], s[0:1], 0x20
	s_ashr_i32 s15, s14, 31
	s_lshl_b64 s[8:9], s[14:15], 2
	v_bfe_u32 v29, v0, 2, 4
	v_lshlrev_b32_e32 v2, 4, v29
	s_waitcnt lgkmcnt(0)
	s_add_u32 s0, s0, s8
	s_addc_u32 s1, s1, s9
	v_mov_b32_e32 v3, 0
	v_mbcnt_hi_u32_b32 v32, -1, v28
	v_lshl_add_u64 v[4:5], s[0:1], 0, v[2:3]
	v_lshlrev_b32_e32 v2, 2, v47
	v_mul_u32_u24_e32 v22, 0x60, v47
	v_and_b32_e32 v28, 64, v32
	v_lshl_add_u64 v[26:27], v[4:5], 0, v[2:3]
	ds_read_b128 v[2:5], v22
	ds_read_b128 v[6:9], v22 offset:16
	ds_read_b128 v[10:13], v22 offset:32
	;; [unrolled: 1-line block ×5, first 2 shown]
	v_add_u32_e32 v33, 64, v28
	v_xor_b32_e32 v28, 2, v32
	v_cmp_lt_i32_e32 vcc, v28, v33
	s_sub_i32 s15, 1, s25
	s_lshl_b64 s[8:9], s[28:29], 2
	v_cndmask_b32_e32 v28, v32, v28, vcc
	v_lshlrev_b32_e32 v35, 2, v28
	v_xor_b32_e32 v28, 1, v32
	v_cmp_lt_i32_e32 vcc, v28, v33
	v_lshlrev_b32_e32 v34, 2, v29
	s_add_u32 s8, s26, s8
	v_cndmask_b32_e32 v28, v32, v28, vcc
	v_lshlrev_b32_e32 v36, 2, v28
	v_lshlrev_b32_e32 v28, 4, v40
	v_add3_u32 v37, s40, v28, v29
	v_lshl_or_b32 v28, v40, 6, v34
	s_addc_u32 s9, s27, s9
	s_mov_b32 s41, s13
	v_cmp_eq_u32_e32 vcc, 0, v47
	v_cmp_neq_f32_e64 s[0:1], s10, 0
	v_add_u32_e32 v39, 0x190, v28
	v_lshl_add_u64 v[28:29], v[30:31], 2, s[8:9]
	s_mov_b64 s[36:37], 0
	v_mov_b32_e32 v34, 0xff7fffff
	s_movk_i32 s42, 0x1000
	v_mov_b32_e32 v41, v30
	s_branch .LBB39_10
.LBB39_9:                               ;   in Loop: Header=BB39_10 Depth=1
	s_or_b64 exec, exec, s[38:39]
	v_add_u32_e32 v41, 2, v41
	v_cmp_le_i32_e64 s[8:9], s33, v41
	v_add_u32_e32 v37, 32, v37
	v_add_u32_e32 v39, 0x80, v39
	s_or_b64 s[36:37], s[8:9], s[36:37]
	v_lshl_add_u64 v[28:29], v[28:29], 0, 8
	s_andn2_b64 exec, exec, s[36:37]
	s_cbranch_execz .LBB39_12
.LBB39_10:                              ; =>This Inner Loop Header: Depth=1
	global_load_dword v42, v[28:29], off
	s_waitcnt vmcnt(0) lgkmcnt(0)
	v_mad_i64_i32 v[42:43], s[8:9], v42, s41, 0
	v_lshl_add_u64 v[42:43], v[42:43], 2, v[26:27]
	global_load_dword v44, v[42:43], off
	global_load_dword v45, v[42:43], off offset:256
	global_load_dword v48, v[42:43], off offset:512
	;; [unrolled: 1-line block ×15, first 2 shown]
	v_add_co_u32_e64 v42, s[8:9], s42, v42
	s_nop 1
	v_addc_co_u32_e64 v43, s[8:9], 0, v43, s[8:9]
	global_load_dword v62, v[42:43], off
	global_load_dword v63, v[42:43], off offset:256
	global_load_dword v64, v[42:43], off offset:512
	;; [unrolled: 1-line block ×6, first 2 shown]
	s_nop 0
	global_load_dword v42, v[42:43], off offset:1792
	s_waitcnt vmcnt(22) lgkmcnt(5)
	v_mul_f32_e32 v43, v3, v45
	v_fmac_f32_e32 v43, v2, v44
	s_waitcnt vmcnt(21)
	v_fmac_f32_e32 v43, v4, v48
	s_waitcnt vmcnt(20)
	v_fmac_f32_e32 v43, v5, v49
	s_waitcnt vmcnt(19) lgkmcnt(4)
	v_fmac_f32_e32 v43, v6, v50
	s_waitcnt vmcnt(18)
	v_fmac_f32_e32 v43, v7, v51
	s_waitcnt vmcnt(17)
	v_fmac_f32_e32 v43, v8, v52
	s_waitcnt vmcnt(16)
	v_fmac_f32_e32 v43, v9, v53
	s_waitcnt vmcnt(15) lgkmcnt(3)
	v_fmac_f32_e32 v43, v10, v54
	s_waitcnt vmcnt(14)
	v_fmac_f32_e32 v43, v11, v55
	s_waitcnt vmcnt(13)
	v_fmac_f32_e32 v43, v12, v56
	s_waitcnt vmcnt(12)
	v_fmac_f32_e32 v43, v13, v57
	s_waitcnt vmcnt(11) lgkmcnt(2)
	v_fmac_f32_e32 v43, v14, v58
	s_waitcnt vmcnt(10)
	v_fmac_f32_e32 v43, v15, v59
	s_waitcnt vmcnt(9)
	v_fmac_f32_e32 v43, v16, v60
	s_waitcnt vmcnt(8)
	v_fmac_f32_e32 v43, v17, v61
	s_waitcnt vmcnt(7) lgkmcnt(1)
	v_fmac_f32_e32 v43, v18, v62
	s_waitcnt vmcnt(6)
	v_fmac_f32_e32 v43, v19, v63
	s_waitcnt vmcnt(5)
	v_fmac_f32_e32 v43, v20, v64
	s_waitcnt vmcnt(4)
	v_fmac_f32_e32 v43, v21, v65
	s_waitcnt vmcnt(3) lgkmcnt(0)
	v_fmac_f32_e32 v43, v22, v66
	s_waitcnt vmcnt(2)
	v_fmac_f32_e32 v43, v23, v67
	s_waitcnt vmcnt(1)
	v_fmac_f32_e32 v43, v24, v68
	s_waitcnt vmcnt(0)
	v_fmac_f32_e32 v43, v25, v42
	ds_bpermute_b32 v42, v35, v43
	s_waitcnt lgkmcnt(0)
	v_add_f32_e32 v42, v43, v42
	ds_bpermute_b32 v43, v36, v42
	s_and_saveexec_b64 s[38:39], vcc
	s_cbranch_execz .LBB39_9
; %bb.11:                               ;   in Loop: Header=BB39_10 Depth=1
	v_add_u32_e32 v44, s15, v37
	v_cvt_f32_i32_e32 v44, v44
	s_waitcnt lgkmcnt(0)
	v_add_f32_e32 v42, v42, v43
	v_cmp_gt_i32_e64 s[8:9], s25, v37
	v_max_f32_e32 v43, v34, v34
	v_mul_f32_e32 v44, s10, v44
	v_cndmask_b32_e64 v44, 0, v44, s[0:1]
	v_fmac_f32_e32 v44, s11, v42
	v_cndmask_b32_e64 v42, 0, v44, s[8:9]
	ds_write_b32 v39, v42
	v_max_f32_e32 v42, v43, v44
	v_cndmask_b32_e64 v34, v34, v42, s[8:9]
	s_branch .LBB39_9
.LBB39_12:
	s_or_b64 exec, exec, s[36:37]
.LBB39_13:
	s_or_b64 exec, exec, s[34:35]
	v_xor_b32_e32 v2, 32, v32
	v_cmp_lt_i32_e32 vcc, v2, v33
	v_xor_b32_e32 v5, 16, v32
	v_max_f32_e32 v4, v34, v34
	v_cndmask_b32_e32 v2, v32, v2, vcc
	v_lshlrev_b32_e32 v2, 2, v2
	ds_bpermute_b32 v3, v2, v34
	v_cmp_lt_i32_e32 vcc, v5, v33
	v_xor_b32_e32 v6, 8, v32
	v_and_b32_e32 v48, 63, v0
	s_waitcnt lgkmcnt(0)
	v_max_f32_e32 v3, v3, v3
	v_max_f32_e32 v4, v4, v3
	v_cndmask_b32_e32 v3, v32, v5, vcc
	v_lshlrev_b32_e32 v3, 2, v3
	ds_bpermute_b32 v5, v3, v4
	v_cmp_lt_i32_e32 vcc, v6, v33
	s_waitcnt lgkmcnt(0)
	v_max_f32_e32 v5, v5, v5
	v_max_f32_e32 v4, v4, v5
	v_cndmask_b32_e32 v5, v32, v6, vcc
	v_lshlrev_b32_e32 v7, 2, v5
	ds_bpermute_b32 v5, v7, v4
	v_xor_b32_e32 v6, 4, v32
	v_cmp_lt_i32_e32 vcc, v6, v33
	s_waitcnt lgkmcnt(0)
	v_max_f32_e32 v5, v5, v5
	v_max_f32_e32 v4, v4, v5
	v_cndmask_b32_e32 v5, v32, v6, vcc
	v_lshlrev_b32_e32 v8, 2, v5
	ds_bpermute_b32 v6, v8, v4
	v_cmp_eq_u32_e32 vcc, 0, v48
	v_lshlrev_b32_e32 v5, 2, v40
	s_and_saveexec_b64 s[0:1], vcc
	s_cbranch_execz .LBB39_15
; %bb.14:
	s_waitcnt lgkmcnt(0)
	v_max_f32_e32 v6, v6, v6
	v_max_f32_e32 v4, v4, v4
	;; [unrolled: 1-line block ×3, first 2 shown]
	ds_write_b32 v5, v4 offset:384
.LBB39_15:
	s_or_b64 exec, exec, s[0:1]
	v_cmp_gt_u32_e64 s[0:1], 2, v48
	v_mov_b32_e32 v4, 0xff7fffff
	s_waitcnt lgkmcnt(0)
	v_lshlrev_b32_e32 v6, 2, v48
	s_barrier
	s_and_saveexec_b64 s[8:9], s[0:1]
	s_cbranch_execz .LBB39_17
; %bb.16:
	ds_read_b32 v4, v6 offset:384
.LBB39_17:
	s_or_b64 exec, exec, s[8:9]
	v_xor_b32_e32 v9, 1, v32
	v_cmp_lt_i32_e64 s[8:9], v9, v33
	s_sub_i32 s3, s33, s3
	s_lshl_b32 s3, s3, 4
	v_cndmask_b32_e64 v9, v32, v9, s[8:9]
	v_lshlrev_b32_e32 v49, 2, v9
	s_waitcnt lgkmcnt(0)
	ds_bpermute_b32 v9, v49, v4
	v_max_f32_e32 v4, v4, v4
	s_add_i32 s3, s3, s40
	s_min_i32 s15, s3, s25
	s_sub_i32 s3, s15, s40
	s_waitcnt lgkmcnt(0)
	v_max_f32_e32 v9, v9, v9
	v_max_f32_e32 v4, v4, v9
	v_lshlrev_b32_e32 v9, 2, v32
	v_and_b32_e32 v9, 0xffffff00, v9
	ds_bpermute_b32 v4, v9, v4
	v_cmp_gt_i32_e64 s[8:9], s3, v0
	v_mov_b32_e32 v10, 0
	s_and_saveexec_b64 s[34:35], s[8:9]
	s_cbranch_execz .LBB39_21
; %bb.18:
	v_mov_b32_e32 v10, 0x190
	v_lshl_add_u32 v11, v0, 2, v10
	s_mov_b64 s[36:37], 0
	v_mov_b32_e32 v10, 0
	v_mov_b32_e32 v12, v0
.LBB39_19:                              ; =>This Inner Loop Header: Depth=1
	ds_read_b32 v13, v11
	v_add_u32_e32 v12, 0x80, v12
	v_cmp_le_i32_e64 s[10:11], s3, v12
	s_or_b64 s[36:37], s[10:11], s[36:37]
	s_waitcnt lgkmcnt(0)
	v_sub_f32_e32 v13, v13, v4
	v_mul_f32_e32 v13, 0x3fb8aa3b, v13
	v_exp_f32_e32 v13, v13
	ds_write_b32 v11, v13
	v_add_f32_e32 v10, v10, v13
	v_add_u32_e32 v11, 0x200, v11
	s_andn2_b64 exec, exec, s[36:37]
	s_cbranch_execnz .LBB39_19
; %bb.20:
	s_or_b64 exec, exec, s[36:37]
.LBB39_21:
	s_or_b64 exec, exec, s[34:35]
	ds_bpermute_b32 v2, v2, v10
	s_waitcnt lgkmcnt(0)
	v_add_f32_e32 v2, v10, v2
	ds_bpermute_b32 v3, v3, v2
	s_waitcnt lgkmcnt(0)
	v_add_f32_e32 v2, v2, v3
	ds_bpermute_b32 v3, v7, v2
	v_xor_b32_e32 v7, 2, v32
	v_cmp_lt_i32_e64 s[10:11], v7, v33
	s_waitcnt lgkmcnt(0)
	v_add_f32_e32 v2, v2, v3
	ds_bpermute_b32 v3, v8, v2
	v_cndmask_b32_e64 v7, v32, v7, s[10:11]
	v_lshlrev_b32_e32 v50, 2, v7
	s_waitcnt lgkmcnt(0)
	v_add_f32_e32 v2, v2, v3
	ds_bpermute_b32 v3, v50, v2
	s_waitcnt lgkmcnt(0)
	v_add_f32_e32 v2, v2, v3
	ds_bpermute_b32 v3, v49, v2
	s_waitcnt lgkmcnt(0)
	v_add_f32_e32 v2, v2, v3
	s_and_saveexec_b64 s[10:11], vcc
	s_cbranch_execz .LBB39_23
; %bb.22:
	ds_write_b32 v5, v2 offset:392
.LBB39_23:
	s_or_b64 exec, exec, s[10:11]
	s_waitcnt lgkmcnt(0)
	s_barrier
	s_and_saveexec_b64 s[10:11], s[0:1]
	s_cbranch_execz .LBB39_25
; %bb.24:
	ds_read_b32 v2, v6 offset:392
.LBB39_25:
	s_or_b64 exec, exec, s[10:11]
	s_waitcnt lgkmcnt(0)
	ds_bpermute_b32 v3, v49, v2
	s_waitcnt lgkmcnt(0)
	v_add_f32_e32 v2, v2, v3
	ds_bpermute_b32 v5, v9, v2
	s_and_saveexec_b64 s[0:1], s[8:9]
	s_cbranch_execz .LBB39_38
; %bb.26:
	s_waitcnt lgkmcnt(0)
	v_add_f32_e32 v2, 0x358637bd, v5
	v_div_scale_f32 v3, s[8:9], v2, v2, 1.0
	v_rcp_f32_e32 v6, v3
	v_div_scale_f32 v7, vcc, 1.0, v2, 1.0
	s_movk_i32 s8, 0x7f
	v_fma_f32 v8, -v3, v6, 1.0
	v_fmac_f32_e32 v6, v8, v6
	v_mul_f32_e32 v8, v7, v6
	v_fma_f32 v9, -v3, v8, v7
	v_fmac_f32_e32 v8, v9, v6
	v_fma_f32 v3, -v3, v8, v7
	v_div_fmas_f32 v3, v3, v6, v8
	v_div_fixup_f32 v2, v3, v2, 1.0
	v_xad_u32 v3, v0, -1, s15
	v_subrev_u32_e32 v6, s40, v3
	v_cmp_lt_u32_e32 vcc, s8, v6
	s_mov_b64 s[10:11], -1
	v_mov_b32_e32 v3, v0
	s_and_saveexec_b64 s[8:9], vcc
	s_cbranch_execz .LBB39_35
; %bb.27:
	v_lshrrev_b32_e32 v6, 7, v6
	v_add_u32_e32 v8, -1, v6
	v_lshrrev_b32_e32 v7, 1, v8
	v_mov_b32_e32 v3, v2
	v_add_u32_e32 v7, 1, v7
	v_cmp_lt_u32_e32 vcc, 13, v8
	v_mov_b32_e32 v10, 0
	s_and_saveexec_b64 s[10:11], vcc
	s_cbranch_execz .LBB39_31
; %bb.28:
	v_mov_b32_e32 v9, 0x190
	v_and_b32_e32 v8, -8, v7
	v_lshl_add_u32 v9, v0, 2, v9
	s_mov_b32 s15, 0
	s_mov_b64 s[34:35], 0
.LBB39_29:                              ; =>This Inner Loop Header: Depth=1
	ds_read2st64_b32 v[10:11], v9 offset1:2
	ds_read2st64_b32 v[12:13], v9 offset0:4 offset1:6
	ds_read2st64_b32 v[14:15], v9 offset0:8 offset1:10
	;; [unrolled: 1-line block ×3, first 2 shown]
	v_add_u32_e32 v8, -8, v8
	s_waitcnt lgkmcnt(3)
	v_pk_mul_f32 v[10:11], v[2:3], v[10:11]
	s_waitcnt lgkmcnt(2)
	v_pk_mul_f32 v[12:13], v[2:3], v[12:13]
	ds_write2st64_b32 v9, v10, v11 offset1:2
	ds_write2st64_b32 v9, v12, v13 offset0:4 offset1:6
	ds_read2st64_b32 v[12:13], v9 offset0:16 offset1:18
	s_waitcnt lgkmcnt(4)
	v_pk_mul_f32 v[10:11], v[2:3], v[14:15]
	ds_write2st64_b32 v9, v10, v11 offset0:8 offset1:10
	s_waitcnt lgkmcnt(4)
	v_pk_mul_f32 v[10:11], v[2:3], v[16:17]
	ds_write2st64_b32 v9, v10, v11 offset0:12 offset1:14
	ds_read2st64_b32 v[10:11], v9 offset0:20 offset1:22
	s_waitcnt lgkmcnt(3)
	v_pk_mul_f32 v[12:13], v[2:3], v[12:13]
	ds_read2st64_b32 v[14:15], v9 offset0:24 offset1:26
	ds_write2st64_b32 v9, v12, v13 offset0:16 offset1:18
	ds_read2st64_b32 v[12:13], v9 offset0:28 offset1:30
	s_waitcnt lgkmcnt(3)
	v_pk_mul_f32 v[10:11], v[2:3], v[10:11]
	ds_write2st64_b32 v9, v10, v11 offset0:20 offset1:22
	s_waitcnt lgkmcnt(3)
	v_pk_mul_f32 v[10:11], v[2:3], v[14:15]
	ds_write2st64_b32 v9, v10, v11 offset0:24 offset1:26
	s_waitcnt lgkmcnt(2)
	v_pk_mul_f32 v[10:11], v[2:3], v[12:13]
	s_add_i32 s15, s15, 16
	v_cmp_eq_u32_e32 vcc, 0, v8
	ds_write2st64_b32 v9, v10, v11 offset0:28 offset1:30
	v_add_u32_e32 v9, 0x2000, v9
	s_or_b64 s[34:35], vcc, s[34:35]
	v_mov_b32_e32 v10, s15
	s_andn2_b64 exec, exec, s[34:35]
	s_cbranch_execnz .LBB39_29
; %bb.30:
	s_or_b64 exec, exec, s[34:35]
.LBB39_31:
	s_or_b64 exec, exec, s[10:11]
	v_and_b32_e32 v7, 7, v7
	v_cmp_ne_u32_e32 vcc, 0, v7
	s_and_saveexec_b64 s[10:11], vcc
	s_cbranch_execz .LBB39_34
; %bb.32:
	v_lshlrev_b32_e32 v8, 9, v10
	s_movk_i32 s15, 0x190
	v_add3_u32 v8, v8, v38, s15
	s_mov_b64 s[34:35], 0
.LBB39_33:                              ; =>This Inner Loop Header: Depth=1
	ds_read2st64_b32 v[10:11], v8 offset1:2
	v_add_u32_e32 v7, -1, v7
	v_cmp_eq_u32_e32 vcc, 0, v7
	s_or_b64 s[34:35], vcc, s[34:35]
	s_waitcnt lgkmcnt(0)
	v_pk_mul_f32 v[10:11], v[2:3], v[10:11]
	ds_write2st64_b32 v8, v10, v11 offset1:2
	v_add_u32_e32 v8, 0x400, v8
	s_andn2_b64 exec, exec, s[34:35]
	s_cbranch_execnz .LBB39_33
.LBB39_34:
	s_or_b64 exec, exec, s[10:11]
	v_add_u32_e32 v6, 1, v6
	v_and_b32_e32 v7, 0x3fffffe, v6
	v_cmp_ne_u32_e32 vcc, v6, v7
	v_lshl_add_u32 v3, v7, 7, v0
	s_orn2_b64 s[10:11], vcc, exec
.LBB39_35:
	s_or_b64 exec, exec, s[8:9]
	s_and_b64 exec, exec, s[10:11]
	s_cbranch_execz .LBB39_38
; %bb.36:
	v_mov_b32_e32 v6, 0x190
	v_lshl_add_u32 v6, v3, 2, v6
	s_mov_b64 s[8:9], 0
.LBB39_37:                              ; =>This Inner Loop Header: Depth=1
	ds_read_b32 v7, v6
	v_add_u32_e32 v3, 0x80, v3
	v_cmp_le_i32_e32 vcc, s3, v3
	s_or_b64 s[8:9], vcc, s[8:9]
	s_waitcnt lgkmcnt(0)
	v_mul_f32_e32 v7, v2, v7
	ds_write_b32 v6, v7
	v_add_u32_e32 v6, 0x200, v6
	s_andn2_b64 exec, exec, s[8:9]
	s_cbranch_execnz .LBB39_37
.LBB39_38:
	s_or_b64 exec, exec, s[0:1]
	s_mul_i32 s0, s21, s24
	v_cmp_eq_u32_e32 vcc, 0, v0
	s_mul_i32 s8, s0, s5
	s_waitcnt lgkmcnt(0)
	s_barrier
	s_and_saveexec_b64 s[0:1], vcc
	s_cbranch_execz .LBB39_40
; %bb.39:
	s_ashr_i32 s9, s8, 31
	s_lshl_b64 s[10:11], s[8:9], 2
	s_add_u32 s5, s18, s10
	s_mul_i32 s2, s21, s2
	s_addc_u32 s9, s19, s11
	s_ashr_i32 s3, s2, 31
	s_lshl_b64 s[2:3], s[2:3], 2
	s_add_u32 s15, s5, s2
	s_addc_u32 s9, s9, s3
	s_ashr_i32 s5, s4, 31
	s_lshl_b64 s[18:19], s[4:5], 2
	s_add_u32 s34, s15, s18
	s_addc_u32 s35, s9, s19
	s_add_u32 s5, s16, s10
	s_addc_u32 s9, s17, s11
	;; [unrolled: 2-line block ×3, first 2 shown]
	s_add_u32 s2, s2, s18
	v_mov_b32_e32 v2, 0
	s_addc_u32 s3, s3, s19
	global_store_dword v2, v4, s[34:35]
	global_store_dword v2, v5, s[2:3]
.LBB39_40:
	s_or_b64 exec, exec, s[0:1]
	v_mov_b32_e32 v33, 0
	v_mov_b32_e32 v32, 0
	;; [unrolled: 1-line block ×6, first 2 shown]
	s_and_saveexec_b64 s[2:3], s[6:7]
	s_cbranch_execz .LBB39_56
; %bb.41:
	s_ashr_i32 s15, s14, 31
	s_lshl_b64 s[0:1], s[14:15], 2
	s_add_u32 s6, s30, s0
	v_and_b32_e32 v3, 12, v38
	s_addc_u32 s7, s31, s1
	s_add_i32 s9, s12, -1
	v_lshl_add_u32 v5, v40, 4, s40
	s_lshl_b64 s[0:1], s[28:29], 2
	v_and_b32_e32 v2, 0xfc, v38
	v_add3_u32 v51, v5, v3, 3
	v_lshlrev_b32_e32 v3, 4, v47
	s_add_u32 s0, s26, s0
	v_mov_b32_e32 v39, 0
	v_or_b32_e32 v4, 0x400, v2
	v_or_b32_e32 v6, 0x500, v2
	v_lshl_or_b32 v3, v40, 6, v3
	s_addc_u32 s1, s27, s1
	s_mov_b32 s5, s13
	v_add_u32_e32 v52, 0x190, v3
	v_lshl_add_u64 v[40:41], v[30:31], 2, s[0:1]
	s_mov_b64 s[10:11], 0
	v_lshlrev_b32_e32 v42, 2, v2
	v_mov_b32_e32 v43, v39
	v_lshlrev_b32_e32 v38, 2, v4
	v_lshlrev_b32_e32 v44, 2, v6
	v_mov_b32_e32 v36, v39
	v_mov_b32_e32 v37, v39
	;; [unrolled: 1-line block ×6, first 2 shown]
	s_branch .LBB39_43
.LBB39_42:                              ;   in Loop: Header=BB39_43 Depth=1
	s_or_b64 exec, exec, s[0:1]
	s_waitcnt vmcnt(5) lgkmcnt(0)
	v_mul_f32_e32 v7, v3, v7
	v_fmac_f32_e32 v7, v2, v6
	s_waitcnt vmcnt(4)
	v_mul_f32_e32 v6, v3, v11
	v_fmac_f32_e32 v6, v2, v10
	v_fmac_f32_e32 v6, v4, v12
	v_fmac_f32_e32 v6, v5, v13
	v_add_f32_e32 v37, v37, v6
	s_waitcnt vmcnt(3)
	v_mul_f32_e32 v6, v3, v15
	v_fmac_f32_e32 v6, v2, v14
	v_fmac_f32_e32 v6, v4, v16
	v_fmac_f32_e32 v6, v5, v17
	v_add_f32_e32 v34, v34, v6
	;; [unrolled: 6-line block ×3, first 2 shown]
	s_waitcnt vmcnt(1)
	v_mul_f32_e32 v6, v3, v23
	s_waitcnt vmcnt(0)
	v_mul_f32_e32 v3, v3, v27
	v_fmac_f32_e32 v6, v2, v22
	v_fmac_f32_e32 v3, v2, v26
	;; [unrolled: 1-line block ×5, first 2 shown]
	v_add_u32_e32 v30, 2, v30
	v_fmac_f32_e32 v7, v5, v9
	v_fmac_f32_e32 v6, v5, v25
	;; [unrolled: 1-line block ×3, first 2 shown]
	v_cmp_le_i32_e32 vcc, s33, v30
	v_add_f32_e32 v36, v36, v7
	v_add_f32_e32 v32, v32, v6
	v_add_f32_e32 v33, v33, v3
	v_add_u32_e32 v51, 32, v51
	v_add_u32_e32 v52, 0x80, v52
	s_or_b64 s[10:11], vcc, s[10:11]
	v_lshl_add_u64 v[40:41], v[40:41], 0, 8
	s_andn2_b64 exec, exec, s[10:11]
	s_cbranch_execz .LBB39_55
.LBB39_43:                              ; =>This Inner Loop Header: Depth=1
	global_load_dword v2, v[40:41], off
	v_add_u32_e32 v31, -3, v51
	v_cmp_eq_u32_e32 vcc, s9, v30
	v_add_u32_e32 v54, -2, v51
	v_add_u32_e32 v53, -1, v51
	s_waitcnt vmcnt(0)
	v_mad_i64_i32 v[2:3], s[0:1], v2, s5, 0
	v_lshl_add_u64 v[26:27], v[2:3], 2, s[6:7]
	v_lshl_add_u64 v[18:19], v[26:27], 0, v[42:43]
	global_load_dwordx4 v[6:9], v[18:19], off
	ds_read_b128 v[2:5], v52
	s_and_saveexec_b64 s[12:13], vcc
	s_cbranch_execnz .LBB39_52
; %bb.44:                               ;   in Loop: Header=BB39_43 Depth=1
	s_or_b64 exec, exec, s[12:13]
	global_load_dwordx4 v[10:13], v[18:19], off offset:1024
	s_and_saveexec_b64 s[12:13], vcc
	s_cbranch_execnz .LBB39_53
.LBB39_45:                              ;   in Loop: Header=BB39_43 Depth=1
	s_or_b64 exec, exec, s[12:13]
	global_load_dwordx4 v[14:17], v[18:19], off offset:2048
	s_and_saveexec_b64 s[12:13], vcc
	s_cbranch_execnz .LBB39_54
.LBB39_46:                              ;   in Loop: Header=BB39_43 Depth=1
	s_or_b64 exec, exec, s[12:13]
	global_load_dwordx4 v[18:21], v[18:19], off offset:3072
	s_and_saveexec_b64 s[12:13], vcc
	s_cbranch_execz .LBB39_48
.LBB39_47:                              ;   in Loop: Header=BB39_43 Depth=1
	v_cmp_gt_i32_e64 s[0:1], s25, v31
	s_waitcnt vmcnt(0)
	s_nop 0
	v_cndmask_b32_e64 v18, 0, v18, s[0:1]
	v_cmp_gt_i32_e64 s[0:1], s25, v54
	s_nop 1
	v_cndmask_b32_e64 v19, 0, v19, s[0:1]
	v_cmp_gt_i32_e64 s[0:1], s25, v53
	;; [unrolled: 3-line block ×3, first 2 shown]
	s_nop 1
	v_cndmask_b32_e64 v21, 0, v21, s[0:1]
.LBB39_48:                              ;   in Loop: Header=BB39_43 Depth=1
	s_or_b64 exec, exec, s[12:13]
	v_lshl_add_u64 v[22:23], v[26:27], 0, v[38:39]
	global_load_dwordx4 v[22:25], v[22:23], off
	s_and_saveexec_b64 s[12:13], vcc
	s_cbranch_execz .LBB39_50
; %bb.49:                               ;   in Loop: Header=BB39_43 Depth=1
	v_cmp_gt_i32_e64 s[0:1], s25, v31
	s_waitcnt vmcnt(0)
	s_nop 0
	v_cndmask_b32_e64 v22, 0, v22, s[0:1]
	v_cmp_gt_i32_e64 s[0:1], s25, v54
	s_nop 1
	v_cndmask_b32_e64 v23, 0, v23, s[0:1]
	v_cmp_gt_i32_e64 s[0:1], s25, v53
	;; [unrolled: 3-line block ×3, first 2 shown]
	s_nop 1
	v_cndmask_b32_e64 v25, 0, v25, s[0:1]
.LBB39_50:                              ;   in Loop: Header=BB39_43 Depth=1
	s_or_b64 exec, exec, s[12:13]
	v_mov_b32_e32 v45, v39
	v_lshl_add_u64 v[26:27], v[26:27], 0, v[44:45]
	global_load_dwordx4 v[26:29], v[26:27], off
	s_and_saveexec_b64 s[0:1], vcc
	s_cbranch_execz .LBB39_42
; %bb.51:                               ;   in Loop: Header=BB39_43 Depth=1
	v_cmp_gt_i32_e32 vcc, s25, v31
	s_waitcnt vmcnt(0)
	s_nop 0
	v_cndmask_b32_e32 v26, 0, v26, vcc
	v_cmp_gt_i32_e32 vcc, s25, v54
	s_nop 1
	v_cndmask_b32_e32 v27, 0, v27, vcc
	v_cmp_gt_i32_e32 vcc, s25, v53
	;; [unrolled: 3-line block ×3, first 2 shown]
	s_nop 1
	v_cndmask_b32_e32 v29, 0, v29, vcc
	s_branch .LBB39_42
.LBB39_52:                              ;   in Loop: Header=BB39_43 Depth=1
	v_cmp_gt_i32_e64 s[0:1], s25, v31
	s_waitcnt vmcnt(0)
	s_nop 0
	v_cndmask_b32_e64 v6, 0, v6, s[0:1]
	v_cmp_gt_i32_e64 s[0:1], s25, v54
	s_nop 1
	v_cndmask_b32_e64 v7, 0, v7, s[0:1]
	v_cmp_gt_i32_e64 s[0:1], s25, v53
	;; [unrolled: 3-line block ×3, first 2 shown]
	s_nop 1
	v_cndmask_b32_e64 v9, 0, v9, s[0:1]
	s_or_b64 exec, exec, s[12:13]
	global_load_dwordx4 v[10:13], v[18:19], off offset:1024
	s_and_saveexec_b64 s[12:13], vcc
	s_cbranch_execz .LBB39_45
.LBB39_53:                              ;   in Loop: Header=BB39_43 Depth=1
	v_cmp_gt_i32_e64 s[0:1], s25, v31
	s_waitcnt vmcnt(0)
	s_nop 0
	v_cndmask_b32_e64 v10, 0, v10, s[0:1]
	v_cmp_gt_i32_e64 s[0:1], s25, v54
	s_nop 1
	v_cndmask_b32_e64 v11, 0, v11, s[0:1]
	v_cmp_gt_i32_e64 s[0:1], s25, v53
	;; [unrolled: 3-line block ×3, first 2 shown]
	s_nop 1
	v_cndmask_b32_e64 v13, 0, v13, s[0:1]
	s_or_b64 exec, exec, s[12:13]
	global_load_dwordx4 v[14:17], v[18:19], off offset:2048
	s_and_saveexec_b64 s[12:13], vcc
	s_cbranch_execz .LBB39_46
.LBB39_54:                              ;   in Loop: Header=BB39_43 Depth=1
	v_cmp_gt_i32_e64 s[0:1], s25, v31
	s_waitcnt vmcnt(0)
	s_nop 0
	v_cndmask_b32_e64 v14, 0, v14, s[0:1]
	v_cmp_gt_i32_e64 s[0:1], s25, v54
	s_nop 1
	v_cndmask_b32_e64 v15, 0, v15, s[0:1]
	v_cmp_gt_i32_e64 s[0:1], s25, v53
	s_nop 1
	v_cndmask_b32_e64 v16, 0, v16, s[0:1]
	v_cmp_gt_i32_e64 s[0:1], s25, v51
	s_nop 1
	v_cndmask_b32_e64 v17, 0, v17, s[0:1]
	s_or_b64 exec, exec, s[12:13]
	global_load_dwordx4 v[18:21], v[18:19], off offset:3072
	s_and_saveexec_b64 s[12:13], vcc
	s_cbranch_execnz .LBB39_47
	s_branch .LBB39_48
.LBB39_55:
	s_or_b64 exec, exec, s[10:11]
.LBB39_56:
	s_or_b64 exec, exec, s[2:3]
	ds_bpermute_b32 v2, v50, v36
	ds_bpermute_b32 v3, v50, v37
	;; [unrolled: 1-line block ×6, first 2 shown]
	s_waitcnt lgkmcnt(4)
	v_pk_add_f32 v[2:3], v[36:37], v[2:3]
	ds_bpermute_b32 v8, v49, v2
	ds_bpermute_b32 v9, v49, v3
	s_waitcnt lgkmcnt(4)
	v_pk_add_f32 v[4:5], v[34:35], v[4:5]
	s_waitcnt lgkmcnt(2)
	v_pk_add_f32 v[12:13], v[32:33], v[6:7]
	ds_bpermute_b32 v10, v49, v4
	ds_bpermute_b32 v11, v49, v5
	;; [unrolled: 1-line block ×4, first 2 shown]
	s_waitcnt lgkmcnt(4)
	v_pk_add_f32 v[6:7], v[2:3], v[8:9]
	v_and_b32_e32 v8, 0x3c3, v0
	s_waitcnt lgkmcnt(2)
	v_pk_add_f32 v[2:3], v[4:5], v[10:11]
	v_cmp_eq_u32_e32 vcc, 64, v8
	s_waitcnt lgkmcnt(0)
	v_pk_add_f32 v[4:5], v[12:13], v[14:15]
	s_barrier
	s_and_saveexec_b64 s[0:1], vcc
	s_cbranch_execz .LBB39_58
; %bb.57:
	v_add_u32_e32 v9, 0x190, v48
	ds_write2_b32 v9, v6, v7 offset1:16
	ds_write2_b32 v9, v2, v3 offset0:32 offset1:48
	ds_write2_b32 v9, v4, v5 offset0:64 offset1:80
.LBB39_58:
	s_or_b64 exec, exec, s[0:1]
	v_cmp_gt_u32_e32 vcc, 64, v0
	s_waitcnt lgkmcnt(0)
	s_barrier
	s_and_saveexec_b64 s[0:1], vcc
	s_cbranch_execz .LBB39_67
; %bb.59:
	v_cmp_eq_u32_e32 vcc, 0, v47
	s_and_saveexec_b64 s[2:3], vcc
	s_cbranch_execnz .LBB39_70
; %bb.60:
	s_or_b64 exec, exec, s[2:3]
	s_and_saveexec_b64 s[2:3], vcc
	s_cbranch_execnz .LBB39_71
.LBB39_61:
	s_or_b64 exec, exec, s[2:3]
	s_and_saveexec_b64 s[2:3], vcc
	s_cbranch_execnz .LBB39_72
.LBB39_62:
	s_or_b64 exec, exec, s[2:3]
	s_and_saveexec_b64 s[2:3], vcc
	s_cbranch_execnz .LBB39_73
.LBB39_63:
	s_or_b64 exec, exec, s[2:3]
	s_and_saveexec_b64 s[2:3], vcc
	s_cbranch_execnz .LBB39_74
.LBB39_64:
	s_or_b64 exec, exec, s[2:3]
	s_and_saveexec_b64 s[2:3], vcc
	s_cbranch_execz .LBB39_66
.LBB39_65:
	v_mov_b32_e32 v0, 0x190
	v_lshl_add_u32 v0, v46, 2, v0
	ds_read_b32 v0, v0 offset:320
	s_waitcnt lgkmcnt(0)
	v_add_f32_e32 v5, v5, v0
.LBB39_66:
	s_or_b64 exec, exec, s[2:3]
.LBB39_67:
	s_or_b64 exec, exec, s[0:1]
	v_cmp_eq_u32_e32 vcc, 0, v8
	s_barrier
	s_and_saveexec_b64 s[0:1], vcc
	s_cbranch_execz .LBB39_69
; %bb.68:
	s_mul_i32 s0, s8, 0x60
	s_ashr_i32 s1, s0, 31
	s_lshl_b64 s[0:1], s[0:1], 2
	s_add_u32 s2, s22, s0
	s_mul_i32 s0, s21, s20
	s_addc_u32 s3, s23, s1
	s_ashr_i32 s1, s0, 31
	s_lshl_b64 s[0:1], s[0:1], 2
	s_add_u32 s2, s2, s0
	s_mul_i32 s0, s4, 0x60
	s_addc_u32 s3, s3, s1
	s_ashr_i32 s1, s0, 31
	s_lshl_b64 s[0:1], s[0:1], 2
	s_add_u32 s0, s2, s0
	s_addc_u32 s1, s3, s1
	global_store_dword v1, v6, s[0:1]
	global_store_dword v1, v7, s[0:1] offset:64
	global_store_dword v1, v2, s[0:1] offset:128
	;; [unrolled: 1-line block ×5, first 2 shown]
.LBB39_69:
	s_endpgm
.LBB39_70:
	v_mov_b32_e32 v0, 0x190
	v_lshl_add_u32 v0, v46, 2, v0
	ds_read_b32 v0, v0
	s_waitcnt lgkmcnt(0)
	v_add_f32_e32 v6, v6, v0
	s_or_b64 exec, exec, s[2:3]
	s_and_saveexec_b64 s[2:3], vcc
	s_cbranch_execz .LBB39_61
.LBB39_71:
	v_mov_b32_e32 v0, 0x190
	v_lshl_add_u32 v0, v46, 2, v0
	ds_read_b32 v0, v0 offset:64
	s_waitcnt lgkmcnt(0)
	v_add_f32_e32 v7, v7, v0
	s_or_b64 exec, exec, s[2:3]
	s_and_saveexec_b64 s[2:3], vcc
	s_cbranch_execz .LBB39_62
.LBB39_72:
	v_mov_b32_e32 v0, 0x190
	v_lshl_add_u32 v0, v46, 2, v0
	ds_read_b32 v0, v0 offset:128
	s_waitcnt lgkmcnt(0)
	v_add_f32_e32 v2, v2, v0
	s_or_b64 exec, exec, s[2:3]
	s_and_saveexec_b64 s[2:3], vcc
	s_cbranch_execz .LBB39_63
.LBB39_73:
	v_mov_b32_e32 v0, 0x190
	v_lshl_add_u32 v0, v46, 2, v0
	ds_read_b32 v0, v0 offset:192
	s_waitcnt lgkmcnt(0)
	v_add_f32_e32 v3, v3, v0
	s_or_b64 exec, exec, s[2:3]
	s_and_saveexec_b64 s[2:3], vcc
	s_cbranch_execz .LBB39_64
.LBB39_74:
	v_mov_b32_e32 v0, 0x190
	v_lshl_add_u32 v0, v46, 2, v0
	ds_read_b32 v0, v0 offset:256
	s_waitcnt lgkmcnt(0)
	v_add_f32_e32 v4, v4, v0
	s_or_b64 exec, exec, s[2:3]
	s_and_saveexec_b64 s[2:3], vcc
	s_cbranch_execnz .LBB39_65
	s_branch .LBB39_66
	.section	.rodata,"a",@progbits
	.p2align	6, 0x0
	.amdhsa_kernel _ZN4vllm25paged_attention_v2_kernelIffLi96ELi16ELi128ELNS_18Fp8KVCacheDataTypeE0ELb0ELi512EEEvPfS2_PT_PKS3_PKT0_S9_ifPKiSB_iPKfiiiSD_SD_iiiii
		.amdhsa_group_segment_fixed_size 400
		.amdhsa_private_segment_fixed_size 0
		.amdhsa_kernarg_size 400
		.amdhsa_user_sgpr_count 2
		.amdhsa_user_sgpr_dispatch_ptr 0
		.amdhsa_user_sgpr_queue_ptr 0
		.amdhsa_user_sgpr_kernarg_segment_ptr 1
		.amdhsa_user_sgpr_dispatch_id 0
		.amdhsa_user_sgpr_kernarg_preload_length 0
		.amdhsa_user_sgpr_kernarg_preload_offset 0
		.amdhsa_user_sgpr_private_segment_size 0
		.amdhsa_uses_dynamic_stack 0
		.amdhsa_enable_private_segment 0
		.amdhsa_system_sgpr_workgroup_id_x 1
		.amdhsa_system_sgpr_workgroup_id_y 1
		.amdhsa_system_sgpr_workgroup_id_z 1
		.amdhsa_system_sgpr_workgroup_info 0
		.amdhsa_system_vgpr_workitem_id 0
		.amdhsa_next_free_vgpr 69
		.amdhsa_next_free_sgpr 43
		.amdhsa_accum_offset 72
		.amdhsa_reserve_vcc 1
		.amdhsa_float_round_mode_32 0
		.amdhsa_float_round_mode_16_64 0
		.amdhsa_float_denorm_mode_32 3
		.amdhsa_float_denorm_mode_16_64 3
		.amdhsa_dx10_clamp 1
		.amdhsa_ieee_mode 1
		.amdhsa_fp16_overflow 0
		.amdhsa_tg_split 0
		.amdhsa_exception_fp_ieee_invalid_op 0
		.amdhsa_exception_fp_denorm_src 0
		.amdhsa_exception_fp_ieee_div_zero 0
		.amdhsa_exception_fp_ieee_overflow 0
		.amdhsa_exception_fp_ieee_underflow 0
		.amdhsa_exception_fp_ieee_inexact 0
		.amdhsa_exception_int_div_zero 0
	.end_amdhsa_kernel
	.section	.text._ZN4vllm25paged_attention_v2_kernelIffLi96ELi16ELi128ELNS_18Fp8KVCacheDataTypeE0ELb0ELi512EEEvPfS2_PT_PKS3_PKT0_S9_ifPKiSB_iPKfiiiSD_SD_iiiii,"axG",@progbits,_ZN4vllm25paged_attention_v2_kernelIffLi96ELi16ELi128ELNS_18Fp8KVCacheDataTypeE0ELb0ELi512EEEvPfS2_PT_PKS3_PKT0_S9_ifPKiSB_iPKfiiiSD_SD_iiiii,comdat
.Lfunc_end39:
	.size	_ZN4vllm25paged_attention_v2_kernelIffLi96ELi16ELi128ELNS_18Fp8KVCacheDataTypeE0ELb0ELi512EEEvPfS2_PT_PKS3_PKT0_S9_ifPKiSB_iPKfiiiSD_SD_iiiii, .Lfunc_end39-_ZN4vllm25paged_attention_v2_kernelIffLi96ELi16ELi128ELNS_18Fp8KVCacheDataTypeE0ELb0ELi512EEEvPfS2_PT_PKS3_PKT0_S9_ifPKiSB_iPKfiiiSD_SD_iiiii
                                        ; -- End function
	.section	.AMDGPU.csdata,"",@progbits
; Kernel info:
; codeLenInByte = 4832
; NumSgprs: 49
; NumVgprs: 69
; NumAgprs: 0
; TotalNumVgprs: 69
; ScratchSize: 0
; MemoryBound: 0
; FloatMode: 240
; IeeeMode: 1
; LDSByteSize: 400 bytes/workgroup (compile time only)
; SGPRBlocks: 6
; VGPRBlocks: 8
; NumSGPRsForWavesPerEU: 49
; NumVGPRsForWavesPerEU: 69
; AccumOffset: 72
; Occupancy: 7
; WaveLimiterHint : 1
; COMPUTE_PGM_RSRC2:SCRATCH_EN: 0
; COMPUTE_PGM_RSRC2:USER_SGPR: 2
; COMPUTE_PGM_RSRC2:TRAP_HANDLER: 0
; COMPUTE_PGM_RSRC2:TGID_X_EN: 1
; COMPUTE_PGM_RSRC2:TGID_Y_EN: 1
; COMPUTE_PGM_RSRC2:TGID_Z_EN: 1
; COMPUTE_PGM_RSRC2:TIDIG_COMP_CNT: 0
; COMPUTE_PGM_RSRC3_GFX90A:ACCUM_OFFSET: 17
; COMPUTE_PGM_RSRC3_GFX90A:TG_SPLIT: 0
	.section	.text._ZN4vllm25paged_attention_v2_kernelIffLi112ELi16ELi128ELNS_18Fp8KVCacheDataTypeE0ELb0ELi512EEEvPfS2_PT_PKS3_PKT0_S9_ifPKiSB_iPKfiiiSD_SD_iiiii,"axG",@progbits,_ZN4vllm25paged_attention_v2_kernelIffLi112ELi16ELi128ELNS_18Fp8KVCacheDataTypeE0ELb0ELi512EEEvPfS2_PT_PKS3_PKT0_S9_ifPKiSB_iPKfiiiSD_SD_iiiii,comdat
	.protected	_ZN4vllm25paged_attention_v2_kernelIffLi112ELi16ELi128ELNS_18Fp8KVCacheDataTypeE0ELb0ELi512EEEvPfS2_PT_PKS3_PKT0_S9_ifPKiSB_iPKfiiiSD_SD_iiiii ; -- Begin function _ZN4vllm25paged_attention_v2_kernelIffLi112ELi16ELi128ELNS_18Fp8KVCacheDataTypeE0ELb0ELi512EEEvPfS2_PT_PKS3_PKT0_S9_ifPKiSB_iPKfiiiSD_SD_iiiii
	.globl	_ZN4vllm25paged_attention_v2_kernelIffLi112ELi16ELi128ELNS_18Fp8KVCacheDataTypeE0ELb0ELi512EEEvPfS2_PT_PKS3_PKT0_S9_ifPKiSB_iPKfiiiSD_SD_iiiii
	.p2align	8
	.type	_ZN4vllm25paged_attention_v2_kernelIffLi112ELi16ELi128ELNS_18Fp8KVCacheDataTypeE0ELb0ELi512EEEvPfS2_PT_PKS3_PKT0_S9_ifPKiSB_iPKfiiiSD_SD_iiiii,@function
_ZN4vllm25paged_attention_v2_kernelIffLi112ELi16ELi128ELNS_18Fp8KVCacheDataTypeE0ELb0ELi512EEEvPfS2_PT_PKS3_PKT0_S9_ifPKiSB_iPKfiiiSD_SD_iiiii: ; @_ZN4vllm25paged_attention_v2_kernelIffLi112ELi16ELi128ELNS_18Fp8KVCacheDataTypeE0ELb0ELi512EEEvPfS2_PT_PKS3_PKT0_S9_ifPKiSB_iPKfiiiSD_SD_iiiii
; %bb.0:
	s_load_dwordx2 s[6:7], s[0:1], 0x40
	s_mov_b32 s24, s3
	s_ashr_i32 s25, s3, 31
	s_lshl_b64 s[8:9], s[24:25], 2
	s_waitcnt lgkmcnt(0)
	s_add_u32 s6, s6, s8
	s_addc_u32 s7, s7, s9
	s_load_dword s25, s[6:7], 0x0
	s_lshl_b32 s40, s4, 9
	s_waitcnt lgkmcnt(0)
	s_cmp_ge_i32 s40, s25
	s_cbranch_scc1 .LBB40_72
; %bb.1:
	s_load_dword s5, s[0:1], 0x90
	s_load_dwordx2 s[10:11], s[0:1], 0x30
	s_waitcnt lgkmcnt(0)
	s_abs_i32 s7, s5
	s_abs_i32 s3, s10
	v_cvt_f32_u32_e32 v1, s3
	s_sub_i32 s8, 0, s3
	s_xor_b32 s6, s5, s10
	s_ashr_i32 s6, s6, 31
	v_rcp_iflag_f32_e32 v1, v1
	s_nop 0
	v_mul_f32_e32 v1, 0x4f7ffffe, v1
	v_cvt_u32_f32_e32 v1, v1
	s_nop 0
	v_readfirstlane_b32 s9, v1
	s_mul_i32 s8, s8, s9
	s_mul_hi_u32 s8, s9, s8
	s_add_i32 s9, s9, s8
	s_mul_hi_u32 s8, s7, s9
	s_mul_i32 s9, s8, s3
	s_sub_i32 s7, s7, s9
	s_add_i32 s10, s8, 1
	s_sub_i32 s9, s7, s3
	s_cmp_ge_u32 s7, s3
	s_cselect_b32 s8, s10, s8
	s_cselect_b32 s7, s9, s7
	s_add_i32 s9, s8, 1
	s_cmp_ge_u32 s7, s3
	s_cselect_b32 s3, s9, s8
	s_xor_b32 s3, s3, s6
	s_sub_i32 s12, s3, s6
	s_abs_i32 s8, s12
	v_cvt_f32_u32_e32 v1, s8
	s_load_dwordx2 s[6:7], s[0:1], 0x50
	s_sub_i32 s3, 0, s8
	s_abs_i32 s9, s2
	v_rcp_iflag_f32_e32 v1, v1
	s_mov_b32 s10, 0
	v_mul_f32_e32 v1, 0x4f7ffffe, v1
	v_cvt_u32_f32_e32 v1, v1
	s_nop 0
	v_readfirstlane_b32 s13, v1
	s_mul_i32 s3, s3, s13
	s_mul_hi_u32 s3, s13, s3
	s_add_i32 s13, s13, s3
	s_waitcnt lgkmcnt(0)
	s_cmp_eq_u64 s[6:7], 0
	s_mul_hi_u32 s16, s9, s13
	s_cbranch_scc1 .LBB40_3
; %bb.2:
	s_ashr_i32 s3, s2, 31
	s_lshl_b64 s[14:15], s[2:3], 2
	s_add_u32 s6, s6, s14
	s_addc_u32 s7, s7, s15
	s_load_dword s10, s[6:7], 0x0
.LBB40_3:
	s_ashr_i32 s18, s12, 31
	s_load_dwordx4 s[12:15], s[0:1], 0x58
	v_lshrrev_b32_e32 v52, 2, v0
	s_movk_i32 s3, 0x70
	s_ashr_i32 s17, s2, 31
	v_and_b32_e32 v53, 3, v0
	s_mul_i32 s20, s2, 0x70
	v_cmp_gt_u32_e32 vcc, s3, v0
	v_lshlrev_b32_e32 v42, 2, v0
	v_lshlrev_b32_e32 v1, 2, v52
	s_and_saveexec_b64 s[6:7], vcc
	s_cbranch_execz .LBB40_5
; %bb.4:
	s_load_dwordx2 s[22:23], s[0:1], 0x18
	s_waitcnt lgkmcnt(0)
	s_mul_i32 s26, s24, s12
	s_ashr_i32 s27, s26, 31
	s_lshl_b64 s[26:27], s[26:27], 2
	v_mad_u32_u24 v3, v53, s3, v1
	s_add_u32 s12, s22, s26
	s_addc_u32 s15, s23, s27
	s_ashr_i32 s21, s20, 31
	s_lshl_b64 s[22:23], s[20:21], 2
	s_add_u32 s22, s12, s22
	s_addc_u32 s23, s15, s23
	global_load_dword v2, v42, s[22:23]
	s_waitcnt vmcnt(0)
	ds_write_b32 v3, v2
.LBB40_5:
	s_or_b64 exec, exec, s[6:7]
	s_add_i32 s3, s25, 15
	s_ashr_i32 s6, s3, 31
	s_lshr_b32 s6, s6, 28
	s_add_i32 s3, s3, s6
	s_waitcnt lgkmcnt(0)
	s_ashr_i32 s12, s3, 4
	s_lshl_b32 s3, s4, 5
	s_mul_i32 s7, s16, s8
	s_add_i32 s6, s3, 32
	s_sub_i32 s7, s9, s7
	s_min_i32 s33, s6, s12
	s_xor_b32 s6, s17, s18
	s_add_i32 s9, s16, 1
	s_sub_i32 s15, s7, s8
	s_cmp_ge_u32 s7, s8
	s_cselect_b32 s9, s9, s16
	s_cselect_b32 s7, s15, s7
	s_add_i32 s15, s9, 1
	s_cmp_ge_u32 s7, s8
	s_load_dwordx2 s[26:27], s[0:1], 0x38
	s_load_dword s8, s[0:1], 0x48
	v_lshrrev_b32_e32 v44, 6, v0
	s_cselect_b32 s7, s15, s9
	s_xor_b32 s7, s7, s6
	v_or_b32_e32 v34, s3, v44
	s_waitcnt lgkmcnt(0)
	s_mul_i32 s28, s24, s8
	s_sub_i32 s15, s7, s6
	s_ashr_i32 s29, s28, 31
	v_cmp_gt_i32_e64 s[6:7], s33, v34
	v_cmp_le_i32_e32 vcc, s33, v34
	v_mbcnt_lo_u32_b32 v32, -1, 0
	s_barrier
	s_waitcnt lgkmcnt(0)
                                        ; implicit-def: $sgpr36
                                        ; implicit-def: $vgpr36
                                        ; implicit-def: $vgpr37
	s_and_saveexec_b64 s[8:9], vcc
	s_xor_b64 s[8:9], exec, s[8:9]
; %bb.6:
	v_mbcnt_hi_u32_b32 v36, -1, v32
	v_and_b32_e32 v2, 64, v36
	v_add_u32_e32 v37, 64, v2
	s_mov_b32 s36, 0xff7fffff
                                        ; implicit-def: $vgpr32
; %bb.7:
	s_or_saveexec_b64 s[34:35], s[8:9]
	s_load_dwordx4 s[16:19], s[0:1], 0x0
	s_load_dwordx2 s[22:23], s[0:1], 0x10
	s_load_dwordx2 s[30:31], s[0:1], 0x28
	s_load_dword s21, s[0:1], 0x98
	v_mov_b32_e32 v38, s36
	s_mul_i32 s14, s15, s14
	v_ashrrev_i32_e32 v35, 31, v34
	s_xor_b64 exec, exec, s[34:35]
	s_cbranch_execz .LBB40_13
; %bb.8:
	s_load_dwordx2 s[0:1], s[0:1], 0x20
	s_ashr_i32 s15, s14, 31
	s_lshl_b64 s[8:9], s[14:15], 2
	v_bfe_u32 v33, v0, 2, 4
	v_lshlrev_b32_e32 v2, 4, v33
	s_waitcnt lgkmcnt(0)
	s_add_u32 s0, s0, s8
	s_addc_u32 s1, s1, s9
	v_mov_b32_e32 v3, 0
	v_lshl_add_u64 v[4:5], s[0:1], 0, v[2:3]
	v_lshlrev_b32_e32 v2, 2, v53
	v_mul_u32_u24_e32 v26, 0x70, v53
	v_mbcnt_hi_u32_b32 v36, -1, v32
	v_lshl_add_u64 v[30:31], v[4:5], 0, v[2:3]
	ds_read_b128 v[2:5], v26
	ds_read_b128 v[6:9], v26 offset:16
	ds_read_b128 v[10:13], v26 offset:32
	;; [unrolled: 1-line block ×6, first 2 shown]
	v_and_b32_e32 v32, 64, v36
	v_add_u32_e32 v37, 64, v32
	v_xor_b32_e32 v32, 2, v36
	v_cmp_lt_i32_e32 vcc, v32, v37
	s_sub_i32 s15, 1, s25
	s_lshl_b64 s[8:9], s[28:29], 2
	v_cndmask_b32_e32 v32, v36, v32, vcc
	v_lshlrev_b32_e32 v39, 2, v32
	v_xor_b32_e32 v32, 1, v36
	v_cmp_lt_i32_e32 vcc, v32, v37
	v_lshlrev_b32_e32 v38, 2, v33
	s_add_u32 s8, s26, s8
	v_cndmask_b32_e32 v32, v36, v32, vcc
	v_lshlrev_b32_e32 v40, 2, v32
	v_lshlrev_b32_e32 v32, 4, v44
	v_add3_u32 v41, s40, v32, v33
	v_lshl_or_b32 v32, v44, 6, v38
	s_addc_u32 s9, s27, s9
	s_mov_b32 s41, s13
	v_cmp_eq_u32_e32 vcc, 0, v53
	v_cmp_neq_f32_e64 s[0:1], s10, 0
	v_add_u32_e32 v43, 0x1d0, v32
	v_lshl_add_u64 v[32:33], v[34:35], 2, s[8:9]
	s_mov_b64 s[36:37], 0
	v_mov_b32_e32 v38, 0xff7fffff
	s_movk_i32 s42, 0x1000
	v_mov_b32_e32 v45, v34
	s_branch .LBB40_10
.LBB40_9:                               ;   in Loop: Header=BB40_10 Depth=1
	s_or_b64 exec, exec, s[38:39]
	v_add_u32_e32 v45, 2, v45
	v_cmp_le_i32_e64 s[8:9], s33, v45
	v_add_u32_e32 v41, 32, v41
	v_add_u32_e32 v43, 0x80, v43
	s_or_b64 s[36:37], s[8:9], s[36:37]
	v_lshl_add_u64 v[32:33], v[32:33], 0, 8
	s_andn2_b64 exec, exec, s[36:37]
	s_cbranch_execz .LBB40_12
.LBB40_10:                              ; =>This Inner Loop Header: Depth=1
	global_load_dword v46, v[32:33], off
	s_waitcnt vmcnt(0) lgkmcnt(0)
	v_mad_i64_i32 v[46:47], s[8:9], v46, s41, 0
	v_lshl_add_u64 v[46:47], v[46:47], 2, v[30:31]
	global_load_dword v48, v[46:47], off
	global_load_dword v49, v[46:47], off offset:256
	global_load_dword v50, v[46:47], off offset:512
	;; [unrolled: 1-line block ×15, first 2 shown]
	v_add_co_u32_e64 v46, s[8:9], s42, v46
	s_nop 1
	v_addc_co_u32_e64 v47, s[8:9], 0, v47, s[8:9]
	global_load_dword v66, v[46:47], off
	global_load_dword v67, v[46:47], off offset:256
	global_load_dword v68, v[46:47], off offset:512
	;; [unrolled: 1-line block ×10, first 2 shown]
	s_nop 0
	global_load_dword v46, v[46:47], off offset:2816
	s_waitcnt vmcnt(26) lgkmcnt(6)
	v_mul_f32_e32 v47, v3, v49
	v_fmac_f32_e32 v47, v2, v48
	s_waitcnt vmcnt(25)
	v_fmac_f32_e32 v47, v4, v50
	s_waitcnt vmcnt(24)
	v_fmac_f32_e32 v47, v5, v51
	s_waitcnt vmcnt(23) lgkmcnt(5)
	v_fmac_f32_e32 v47, v6, v54
	s_waitcnt vmcnt(22)
	v_fmac_f32_e32 v47, v7, v55
	s_waitcnt vmcnt(21)
	v_fmac_f32_e32 v47, v8, v56
	s_waitcnt vmcnt(20)
	v_fmac_f32_e32 v47, v9, v57
	s_waitcnt vmcnt(19) lgkmcnt(4)
	v_fmac_f32_e32 v47, v10, v58
	s_waitcnt vmcnt(18)
	;; [unrolled: 8-line block ×6, first 2 shown]
	v_fmac_f32_e32 v47, v27, v75
	s_waitcnt vmcnt(1)
	v_fmac_f32_e32 v47, v28, v76
	s_waitcnt vmcnt(0)
	v_fmac_f32_e32 v47, v29, v46
	ds_bpermute_b32 v46, v39, v47
	s_waitcnt lgkmcnt(0)
	v_add_f32_e32 v46, v47, v46
	ds_bpermute_b32 v47, v40, v46
	s_and_saveexec_b64 s[38:39], vcc
	s_cbranch_execz .LBB40_9
; %bb.11:                               ;   in Loop: Header=BB40_10 Depth=1
	v_add_u32_e32 v48, s15, v41
	v_cvt_f32_i32_e32 v48, v48
	s_waitcnt lgkmcnt(0)
	v_add_f32_e32 v46, v46, v47
	v_cmp_gt_i32_e64 s[8:9], s25, v41
	v_max_f32_e32 v47, v38, v38
	v_mul_f32_e32 v48, s10, v48
	v_cndmask_b32_e64 v48, 0, v48, s[0:1]
	v_fmac_f32_e32 v48, s11, v46
	v_cndmask_b32_e64 v46, 0, v48, s[8:9]
	ds_write_b32 v43, v46
	v_max_f32_e32 v46, v47, v48
	v_cndmask_b32_e64 v38, v38, v46, s[8:9]
	s_branch .LBB40_9
.LBB40_12:
	s_or_b64 exec, exec, s[36:37]
.LBB40_13:
	s_or_b64 exec, exec, s[34:35]
	v_xor_b32_e32 v2, 32, v36
	v_cmp_lt_i32_e32 vcc, v2, v37
	v_xor_b32_e32 v5, 16, v36
	v_max_f32_e32 v4, v38, v38
	v_cndmask_b32_e32 v2, v36, v2, vcc
	v_lshlrev_b32_e32 v2, 2, v2
	ds_bpermute_b32 v3, v2, v38
	v_cmp_lt_i32_e32 vcc, v5, v37
	v_xor_b32_e32 v6, 8, v36
	v_and_b32_e32 v54, 63, v0
	s_waitcnt lgkmcnt(0)
	v_max_f32_e32 v3, v3, v3
	v_max_f32_e32 v4, v4, v3
	v_cndmask_b32_e32 v3, v36, v5, vcc
	v_lshlrev_b32_e32 v3, 2, v3
	ds_bpermute_b32 v5, v3, v4
	v_cmp_lt_i32_e32 vcc, v6, v37
	s_waitcnt lgkmcnt(0)
	v_max_f32_e32 v5, v5, v5
	v_max_f32_e32 v4, v4, v5
	v_cndmask_b32_e32 v5, v36, v6, vcc
	v_lshlrev_b32_e32 v7, 2, v5
	ds_bpermute_b32 v5, v7, v4
	v_xor_b32_e32 v6, 4, v36
	v_cmp_lt_i32_e32 vcc, v6, v37
	s_waitcnt lgkmcnt(0)
	v_max_f32_e32 v5, v5, v5
	v_max_f32_e32 v4, v4, v5
	v_cndmask_b32_e32 v5, v36, v6, vcc
	v_lshlrev_b32_e32 v8, 2, v5
	ds_bpermute_b32 v6, v8, v4
	v_cmp_eq_u32_e32 vcc, 0, v54
	v_lshlrev_b32_e32 v5, 2, v44
	s_and_saveexec_b64 s[0:1], vcc
	s_cbranch_execz .LBB40_15
; %bb.14:
	s_waitcnt lgkmcnt(0)
	v_max_f32_e32 v6, v6, v6
	v_max_f32_e32 v4, v4, v4
	;; [unrolled: 1-line block ×3, first 2 shown]
	ds_write_b32 v5, v4 offset:448
.LBB40_15:
	s_or_b64 exec, exec, s[0:1]
	v_cmp_gt_u32_e64 s[0:1], 2, v54
	v_mov_b32_e32 v4, 0xff7fffff
	s_waitcnt lgkmcnt(0)
	v_lshlrev_b32_e32 v6, 2, v54
	s_barrier
	s_and_saveexec_b64 s[8:9], s[0:1]
	s_cbranch_execz .LBB40_17
; %bb.16:
	ds_read_b32 v4, v6 offset:448
.LBB40_17:
	s_or_b64 exec, exec, s[8:9]
	v_xor_b32_e32 v9, 1, v36
	v_cmp_lt_i32_e64 s[8:9], v9, v37
	s_sub_i32 s3, s33, s3
	s_lshl_b32 s3, s3, 4
	v_cndmask_b32_e64 v9, v36, v9, s[8:9]
	v_lshlrev_b32_e32 v55, 2, v9
	s_waitcnt lgkmcnt(0)
	ds_bpermute_b32 v9, v55, v4
	v_max_f32_e32 v4, v4, v4
	s_add_i32 s3, s3, s40
	s_min_i32 s15, s3, s25
	s_sub_i32 s3, s15, s40
	s_waitcnt lgkmcnt(0)
	v_max_f32_e32 v9, v9, v9
	v_max_f32_e32 v4, v4, v9
	v_lshlrev_b32_e32 v9, 2, v36
	v_and_b32_e32 v9, 0xffffff00, v9
	ds_bpermute_b32 v4, v9, v4
	v_cmp_gt_i32_e64 s[8:9], s3, v0
	v_mov_b32_e32 v10, 0
	s_and_saveexec_b64 s[34:35], s[8:9]
	s_cbranch_execz .LBB40_21
; %bb.18:
	v_mov_b32_e32 v10, 0x1d0
	v_lshl_add_u32 v11, v0, 2, v10
	s_mov_b64 s[36:37], 0
	v_mov_b32_e32 v10, 0
	v_mov_b32_e32 v12, v0
.LBB40_19:                              ; =>This Inner Loop Header: Depth=1
	ds_read_b32 v13, v11
	v_add_u32_e32 v12, 0x80, v12
	v_cmp_le_i32_e64 s[10:11], s3, v12
	s_or_b64 s[36:37], s[10:11], s[36:37]
	s_waitcnt lgkmcnt(0)
	v_sub_f32_e32 v13, v13, v4
	v_mul_f32_e32 v13, 0x3fb8aa3b, v13
	v_exp_f32_e32 v13, v13
	ds_write_b32 v11, v13
	v_add_f32_e32 v10, v10, v13
	v_add_u32_e32 v11, 0x200, v11
	s_andn2_b64 exec, exec, s[36:37]
	s_cbranch_execnz .LBB40_19
; %bb.20:
	s_or_b64 exec, exec, s[36:37]
.LBB40_21:
	s_or_b64 exec, exec, s[34:35]
	ds_bpermute_b32 v2, v2, v10
	s_waitcnt lgkmcnt(0)
	v_add_f32_e32 v2, v10, v2
	ds_bpermute_b32 v3, v3, v2
	s_waitcnt lgkmcnt(0)
	v_add_f32_e32 v2, v2, v3
	ds_bpermute_b32 v3, v7, v2
	v_xor_b32_e32 v7, 2, v36
	v_cmp_lt_i32_e64 s[10:11], v7, v37
	s_waitcnt lgkmcnt(0)
	v_add_f32_e32 v2, v2, v3
	ds_bpermute_b32 v3, v8, v2
	v_cndmask_b32_e64 v7, v36, v7, s[10:11]
	v_lshlrev_b32_e32 v56, 2, v7
	s_waitcnt lgkmcnt(0)
	v_add_f32_e32 v2, v2, v3
	ds_bpermute_b32 v3, v56, v2
	s_waitcnt lgkmcnt(0)
	v_add_f32_e32 v2, v2, v3
	ds_bpermute_b32 v3, v55, v2
	s_waitcnt lgkmcnt(0)
	v_add_f32_e32 v2, v2, v3
	s_and_saveexec_b64 s[10:11], vcc
	s_cbranch_execz .LBB40_23
; %bb.22:
	ds_write_b32 v5, v2 offset:456
.LBB40_23:
	s_or_b64 exec, exec, s[10:11]
	s_waitcnt lgkmcnt(0)
	s_barrier
	s_and_saveexec_b64 s[10:11], s[0:1]
	s_cbranch_execz .LBB40_25
; %bb.24:
	ds_read_b32 v2, v6 offset:456
.LBB40_25:
	s_or_b64 exec, exec, s[10:11]
	s_waitcnt lgkmcnt(0)
	ds_bpermute_b32 v3, v55, v2
	s_waitcnt lgkmcnt(0)
	v_add_f32_e32 v2, v2, v3
	ds_bpermute_b32 v5, v9, v2
	s_and_saveexec_b64 s[0:1], s[8:9]
	s_cbranch_execz .LBB40_38
; %bb.26:
	s_waitcnt lgkmcnt(0)
	v_add_f32_e32 v2, 0x358637bd, v5
	v_div_scale_f32 v3, s[8:9], v2, v2, 1.0
	v_rcp_f32_e32 v6, v3
	v_div_scale_f32 v7, vcc, 1.0, v2, 1.0
	s_movk_i32 s8, 0x7f
	v_fma_f32 v8, -v3, v6, 1.0
	v_fmac_f32_e32 v6, v8, v6
	v_mul_f32_e32 v8, v7, v6
	v_fma_f32 v9, -v3, v8, v7
	v_fmac_f32_e32 v8, v9, v6
	v_fma_f32 v3, -v3, v8, v7
	v_div_fmas_f32 v3, v3, v6, v8
	v_div_fixup_f32 v2, v3, v2, 1.0
	v_xad_u32 v3, v0, -1, s15
	v_subrev_u32_e32 v6, s40, v3
	v_cmp_lt_u32_e32 vcc, s8, v6
	s_mov_b64 s[10:11], -1
	v_mov_b32_e32 v3, v0
	s_and_saveexec_b64 s[8:9], vcc
	s_cbranch_execz .LBB40_35
; %bb.27:
	v_lshrrev_b32_e32 v6, 7, v6
	v_add_u32_e32 v8, -1, v6
	v_lshrrev_b32_e32 v7, 1, v8
	v_mov_b32_e32 v3, v2
	v_add_u32_e32 v7, 1, v7
	v_cmp_lt_u32_e32 vcc, 13, v8
	v_mov_b32_e32 v10, 0
	s_and_saveexec_b64 s[10:11], vcc
	s_cbranch_execz .LBB40_31
; %bb.28:
	v_mov_b32_e32 v9, 0x1d0
	v_and_b32_e32 v8, -8, v7
	v_lshl_add_u32 v9, v0, 2, v9
	s_mov_b32 s15, 0
	s_mov_b64 s[34:35], 0
.LBB40_29:                              ; =>This Inner Loop Header: Depth=1
	ds_read2st64_b32 v[10:11], v9 offset1:2
	ds_read2st64_b32 v[12:13], v9 offset0:4 offset1:6
	ds_read2st64_b32 v[14:15], v9 offset0:8 offset1:10
	;; [unrolled: 1-line block ×3, first 2 shown]
	v_add_u32_e32 v8, -8, v8
	s_waitcnt lgkmcnt(3)
	v_pk_mul_f32 v[10:11], v[2:3], v[10:11]
	s_waitcnt lgkmcnt(2)
	v_pk_mul_f32 v[12:13], v[2:3], v[12:13]
	ds_write2st64_b32 v9, v10, v11 offset1:2
	ds_write2st64_b32 v9, v12, v13 offset0:4 offset1:6
	ds_read2st64_b32 v[12:13], v9 offset0:16 offset1:18
	s_waitcnt lgkmcnt(4)
	v_pk_mul_f32 v[10:11], v[2:3], v[14:15]
	ds_write2st64_b32 v9, v10, v11 offset0:8 offset1:10
	s_waitcnt lgkmcnt(4)
	v_pk_mul_f32 v[10:11], v[2:3], v[16:17]
	ds_write2st64_b32 v9, v10, v11 offset0:12 offset1:14
	ds_read2st64_b32 v[10:11], v9 offset0:20 offset1:22
	s_waitcnt lgkmcnt(3)
	v_pk_mul_f32 v[12:13], v[2:3], v[12:13]
	ds_read2st64_b32 v[14:15], v9 offset0:24 offset1:26
	ds_write2st64_b32 v9, v12, v13 offset0:16 offset1:18
	ds_read2st64_b32 v[12:13], v9 offset0:28 offset1:30
	s_waitcnt lgkmcnt(3)
	v_pk_mul_f32 v[10:11], v[2:3], v[10:11]
	ds_write2st64_b32 v9, v10, v11 offset0:20 offset1:22
	s_waitcnt lgkmcnt(3)
	v_pk_mul_f32 v[10:11], v[2:3], v[14:15]
	ds_write2st64_b32 v9, v10, v11 offset0:24 offset1:26
	s_waitcnt lgkmcnt(2)
	v_pk_mul_f32 v[10:11], v[2:3], v[12:13]
	s_add_i32 s15, s15, 16
	v_cmp_eq_u32_e32 vcc, 0, v8
	ds_write2st64_b32 v9, v10, v11 offset0:28 offset1:30
	v_add_u32_e32 v9, 0x2000, v9
	s_or_b64 s[34:35], vcc, s[34:35]
	v_mov_b32_e32 v10, s15
	s_andn2_b64 exec, exec, s[34:35]
	s_cbranch_execnz .LBB40_29
; %bb.30:
	s_or_b64 exec, exec, s[34:35]
.LBB40_31:
	s_or_b64 exec, exec, s[10:11]
	v_and_b32_e32 v7, 7, v7
	v_cmp_ne_u32_e32 vcc, 0, v7
	s_and_saveexec_b64 s[10:11], vcc
	s_cbranch_execz .LBB40_34
; %bb.32:
	v_lshlrev_b32_e32 v8, 9, v10
	s_movk_i32 s15, 0x1d0
	v_add3_u32 v8, v8, v42, s15
	s_mov_b64 s[34:35], 0
.LBB40_33:                              ; =>This Inner Loop Header: Depth=1
	ds_read2st64_b32 v[10:11], v8 offset1:2
	v_add_u32_e32 v7, -1, v7
	v_cmp_eq_u32_e32 vcc, 0, v7
	s_or_b64 s[34:35], vcc, s[34:35]
	s_waitcnt lgkmcnt(0)
	v_pk_mul_f32 v[10:11], v[2:3], v[10:11]
	ds_write2st64_b32 v8, v10, v11 offset1:2
	v_add_u32_e32 v8, 0x400, v8
	s_andn2_b64 exec, exec, s[34:35]
	s_cbranch_execnz .LBB40_33
.LBB40_34:
	s_or_b64 exec, exec, s[10:11]
	v_add_u32_e32 v6, 1, v6
	v_and_b32_e32 v7, 0x3fffffe, v6
	v_cmp_ne_u32_e32 vcc, v6, v7
	v_lshl_add_u32 v3, v7, 7, v0
	s_orn2_b64 s[10:11], vcc, exec
.LBB40_35:
	s_or_b64 exec, exec, s[8:9]
	s_and_b64 exec, exec, s[10:11]
	s_cbranch_execz .LBB40_38
; %bb.36:
	v_mov_b32_e32 v6, 0x1d0
	v_lshl_add_u32 v6, v3, 2, v6
	s_mov_b64 s[8:9], 0
.LBB40_37:                              ; =>This Inner Loop Header: Depth=1
	ds_read_b32 v7, v6
	v_add_u32_e32 v3, 0x80, v3
	v_cmp_le_i32_e32 vcc, s3, v3
	s_or_b64 s[8:9], vcc, s[8:9]
	s_waitcnt lgkmcnt(0)
	v_mul_f32_e32 v7, v2, v7
	ds_write_b32 v6, v7
	v_add_u32_e32 v6, 0x200, v6
	s_andn2_b64 exec, exec, s[8:9]
	s_cbranch_execnz .LBB40_37
.LBB40_38:
	s_or_b64 exec, exec, s[0:1]
	s_mul_i32 s0, s21, s24
	v_cmp_eq_u32_e32 vcc, 0, v0
	s_mul_i32 s8, s0, s5
	s_waitcnt lgkmcnt(0)
	s_barrier
	s_and_saveexec_b64 s[0:1], vcc
	s_cbranch_execz .LBB40_40
; %bb.39:
	s_ashr_i32 s9, s8, 31
	s_lshl_b64 s[10:11], s[8:9], 2
	s_add_u32 s5, s18, s10
	s_mul_i32 s2, s21, s2
	s_addc_u32 s9, s19, s11
	s_ashr_i32 s3, s2, 31
	s_lshl_b64 s[2:3], s[2:3], 2
	s_add_u32 s15, s5, s2
	s_addc_u32 s9, s9, s3
	s_ashr_i32 s5, s4, 31
	s_lshl_b64 s[18:19], s[4:5], 2
	s_add_u32 s34, s15, s18
	s_addc_u32 s35, s9, s19
	s_add_u32 s5, s16, s10
	s_addc_u32 s9, s17, s11
	s_add_u32 s2, s5, s2
	s_addc_u32 s3, s9, s3
	s_add_u32 s2, s2, s18
	v_mov_b32_e32 v2, 0
	s_addc_u32 s3, s3, s19
	global_store_dword v2, v4, s[34:35]
	global_store_dword v2, v5, s[2:3]
.LBB40_40:
	s_or_b64 exec, exec, s[0:1]
	v_mov_b32_e32 v57, 0
	v_mov_b32_e32 v37, 0
	;; [unrolled: 1-line block ×7, first 2 shown]
	s_and_saveexec_b64 s[2:3], s[6:7]
	s_cbranch_execz .LBB40_58
; %bb.41:
	s_ashr_i32 s15, s14, 31
	s_lshl_b64 s[0:1], s[14:15], 2
	s_add_u32 s6, s30, s0
	v_and_b32_e32 v3, 12, v42
	s_addc_u32 s7, s31, s1
	s_add_i32 s9, s12, -1
	v_lshl_add_u32 v5, v44, 4, s40
	s_lshl_b64 s[0:1], s[28:29], 2
	v_and_b32_e32 v2, 0xfc, v42
	v_add3_u32 v58, v5, v3, 3
	v_lshlrev_b32_e32 v3, 4, v53
	s_add_u32 s0, s26, s0
	v_mov_b32_e32 v43, 0
	v_or_b32_e32 v4, 0x400, v2
	v_or_b32_e32 v6, 0x500, v2
	;; [unrolled: 1-line block ×3, first 2 shown]
	v_lshl_or_b32 v3, v44, 6, v3
	s_addc_u32 s1, s27, s1
	s_mov_b32 s5, s13
	v_add_u32_e32 v59, 0x1d0, v3
	v_lshl_add_u64 v[44:45], v[34:35], 2, s[0:1]
	s_mov_b64 s[10:11], 0
	v_lshlrev_b32_e32 v46, 2, v2
	v_mov_b32_e32 v47, v43
	v_lshlrev_b32_e32 v42, 2, v4
	v_lshlrev_b32_e32 v48, 2, v6
	;; [unrolled: 1-line block ×3, first 2 shown]
	v_mov_b32_e32 v40, v43
	v_mov_b32_e32 v41, v43
	;; [unrolled: 1-line block ×7, first 2 shown]
	s_branch .LBB40_43
.LBB40_42:                              ;   in Loop: Header=BB40_43 Depth=1
	s_or_b64 exec, exec, s[0:1]
	s_waitcnt vmcnt(6) lgkmcnt(0)
	v_mul_f32_e32 v7, v3, v7
	v_fmac_f32_e32 v7, v2, v6
	s_waitcnt vmcnt(5)
	v_mul_f32_e32 v6, v3, v11
	v_fmac_f32_e32 v6, v2, v10
	v_fmac_f32_e32 v6, v4, v12
	v_fmac_f32_e32 v6, v5, v13
	v_add_f32_e32 v41, v41, v6
	s_waitcnt vmcnt(4)
	v_mul_f32_e32 v6, v3, v15
	v_fmac_f32_e32 v6, v2, v14
	v_fmac_f32_e32 v6, v4, v16
	v_fmac_f32_e32 v6, v5, v17
	v_add_f32_e32 v38, v38, v6
	;; [unrolled: 6-line block ×4, first 2 shown]
	s_waitcnt vmcnt(1)
	v_mul_f32_e32 v6, v3, v27
	s_waitcnt vmcnt(0)
	v_mul_f32_e32 v3, v3, v31
	v_fmac_f32_e32 v6, v2, v26
	v_fmac_f32_e32 v3, v2, v30
	v_fmac_f32_e32 v7, v4, v8
	v_fmac_f32_e32 v6, v4, v28
	v_fmac_f32_e32 v3, v4, v32
	v_add_u32_e32 v34, 2, v34
	v_fmac_f32_e32 v7, v5, v9
	v_fmac_f32_e32 v6, v5, v29
	;; [unrolled: 1-line block ×3, first 2 shown]
	v_cmp_le_i32_e32 vcc, s33, v34
	v_add_f32_e32 v40, v40, v7
	v_add_f32_e32 v37, v37, v6
	;; [unrolled: 1-line block ×3, first 2 shown]
	v_add_u32_e32 v58, 32, v58
	v_add_u32_e32 v59, 0x80, v59
	s_or_b64 s[10:11], vcc, s[10:11]
	v_lshl_add_u64 v[44:45], v[44:45], 0, 8
	s_andn2_b64 exec, exec, s[10:11]
	s_cbranch_execz .LBB40_57
.LBB40_43:                              ; =>This Inner Loop Header: Depth=1
	global_load_dword v2, v[44:45], off
	v_add_u32_e32 v35, -3, v58
	v_cmp_eq_u32_e32 vcc, s9, v34
	v_add_u32_e32 v61, -2, v58
	v_add_u32_e32 v60, -1, v58
	s_waitcnt vmcnt(0)
	v_mad_i64_i32 v[2:3], s[0:1], v2, s5, 0
	v_lshl_add_u64 v[30:31], v[2:3], 2, s[6:7]
	v_lshl_add_u64 v[18:19], v[30:31], 0, v[46:47]
	global_load_dwordx4 v[6:9], v[18:19], off
	ds_read_b128 v[2:5], v59
	s_and_saveexec_b64 s[12:13], vcc
	s_cbranch_execnz .LBB40_54
; %bb.44:                               ;   in Loop: Header=BB40_43 Depth=1
	s_or_b64 exec, exec, s[12:13]
	global_load_dwordx4 v[10:13], v[18:19], off offset:1024
	s_and_saveexec_b64 s[12:13], vcc
	s_cbranch_execnz .LBB40_55
.LBB40_45:                              ;   in Loop: Header=BB40_43 Depth=1
	s_or_b64 exec, exec, s[12:13]
	global_load_dwordx4 v[14:17], v[18:19], off offset:2048
	s_and_saveexec_b64 s[12:13], vcc
	s_cbranch_execnz .LBB40_56
.LBB40_46:                              ;   in Loop: Header=BB40_43 Depth=1
	s_or_b64 exec, exec, s[12:13]
	global_load_dwordx4 v[18:21], v[18:19], off offset:3072
	s_and_saveexec_b64 s[12:13], vcc
	s_cbranch_execz .LBB40_48
.LBB40_47:                              ;   in Loop: Header=BB40_43 Depth=1
	v_cmp_gt_i32_e64 s[0:1], s25, v35
	s_waitcnt vmcnt(0)
	s_nop 0
	v_cndmask_b32_e64 v18, 0, v18, s[0:1]
	v_cmp_gt_i32_e64 s[0:1], s25, v61
	s_nop 1
	v_cndmask_b32_e64 v19, 0, v19, s[0:1]
	v_cmp_gt_i32_e64 s[0:1], s25, v60
	;; [unrolled: 3-line block ×3, first 2 shown]
	s_nop 1
	v_cndmask_b32_e64 v21, 0, v21, s[0:1]
.LBB40_48:                              ;   in Loop: Header=BB40_43 Depth=1
	s_or_b64 exec, exec, s[12:13]
	v_lshl_add_u64 v[22:23], v[30:31], 0, v[42:43]
	global_load_dwordx4 v[22:25], v[22:23], off
	s_and_saveexec_b64 s[12:13], vcc
	s_cbranch_execz .LBB40_50
; %bb.49:                               ;   in Loop: Header=BB40_43 Depth=1
	v_cmp_gt_i32_e64 s[0:1], s25, v35
	s_waitcnt vmcnt(0)
	s_nop 0
	v_cndmask_b32_e64 v22, 0, v22, s[0:1]
	v_cmp_gt_i32_e64 s[0:1], s25, v61
	s_nop 1
	v_cndmask_b32_e64 v23, 0, v23, s[0:1]
	v_cmp_gt_i32_e64 s[0:1], s25, v60
	;; [unrolled: 3-line block ×3, first 2 shown]
	s_nop 1
	v_cndmask_b32_e64 v25, 0, v25, s[0:1]
.LBB40_50:                              ;   in Loop: Header=BB40_43 Depth=1
	s_or_b64 exec, exec, s[12:13]
	v_mov_b32_e32 v49, v43
	v_lshl_add_u64 v[26:27], v[30:31], 0, v[48:49]
	global_load_dwordx4 v[26:29], v[26:27], off
	s_and_saveexec_b64 s[12:13], vcc
	s_cbranch_execz .LBB40_52
; %bb.51:                               ;   in Loop: Header=BB40_43 Depth=1
	v_cmp_gt_i32_e64 s[0:1], s25, v35
	s_waitcnt vmcnt(0)
	s_nop 0
	v_cndmask_b32_e64 v26, 0, v26, s[0:1]
	v_cmp_gt_i32_e64 s[0:1], s25, v61
	s_nop 1
	v_cndmask_b32_e64 v27, 0, v27, s[0:1]
	v_cmp_gt_i32_e64 s[0:1], s25, v60
	;; [unrolled: 3-line block ×3, first 2 shown]
	s_nop 1
	v_cndmask_b32_e64 v29, 0, v29, s[0:1]
.LBB40_52:                              ;   in Loop: Header=BB40_43 Depth=1
	s_or_b64 exec, exec, s[12:13]
	v_mov_b32_e32 v51, v43
	v_lshl_add_u64 v[30:31], v[30:31], 0, v[50:51]
	global_load_dwordx4 v[30:33], v[30:31], off
	s_and_saveexec_b64 s[0:1], vcc
	s_cbranch_execz .LBB40_42
; %bb.53:                               ;   in Loop: Header=BB40_43 Depth=1
	v_cmp_gt_i32_e32 vcc, s25, v35
	s_waitcnt vmcnt(0)
	s_nop 0
	v_cndmask_b32_e32 v30, 0, v30, vcc
	v_cmp_gt_i32_e32 vcc, s25, v61
	s_nop 1
	v_cndmask_b32_e32 v31, 0, v31, vcc
	v_cmp_gt_i32_e32 vcc, s25, v60
	;; [unrolled: 3-line block ×3, first 2 shown]
	s_nop 1
	v_cndmask_b32_e32 v33, 0, v33, vcc
	s_branch .LBB40_42
.LBB40_54:                              ;   in Loop: Header=BB40_43 Depth=1
	v_cmp_gt_i32_e64 s[0:1], s25, v35
	s_waitcnt vmcnt(0)
	s_nop 0
	v_cndmask_b32_e64 v6, 0, v6, s[0:1]
	v_cmp_gt_i32_e64 s[0:1], s25, v61
	s_nop 1
	v_cndmask_b32_e64 v7, 0, v7, s[0:1]
	v_cmp_gt_i32_e64 s[0:1], s25, v60
	;; [unrolled: 3-line block ×3, first 2 shown]
	s_nop 1
	v_cndmask_b32_e64 v9, 0, v9, s[0:1]
	s_or_b64 exec, exec, s[12:13]
	global_load_dwordx4 v[10:13], v[18:19], off offset:1024
	s_and_saveexec_b64 s[12:13], vcc
	s_cbranch_execz .LBB40_45
.LBB40_55:                              ;   in Loop: Header=BB40_43 Depth=1
	v_cmp_gt_i32_e64 s[0:1], s25, v35
	s_waitcnt vmcnt(0)
	s_nop 0
	v_cndmask_b32_e64 v10, 0, v10, s[0:1]
	v_cmp_gt_i32_e64 s[0:1], s25, v61
	s_nop 1
	v_cndmask_b32_e64 v11, 0, v11, s[0:1]
	v_cmp_gt_i32_e64 s[0:1], s25, v60
	;; [unrolled: 3-line block ×3, first 2 shown]
	s_nop 1
	v_cndmask_b32_e64 v13, 0, v13, s[0:1]
	s_or_b64 exec, exec, s[12:13]
	global_load_dwordx4 v[14:17], v[18:19], off offset:2048
	s_and_saveexec_b64 s[12:13], vcc
	s_cbranch_execz .LBB40_46
.LBB40_56:                              ;   in Loop: Header=BB40_43 Depth=1
	v_cmp_gt_i32_e64 s[0:1], s25, v35
	s_waitcnt vmcnt(0)
	s_nop 0
	v_cndmask_b32_e64 v14, 0, v14, s[0:1]
	v_cmp_gt_i32_e64 s[0:1], s25, v61
	s_nop 1
	v_cndmask_b32_e64 v15, 0, v15, s[0:1]
	v_cmp_gt_i32_e64 s[0:1], s25, v60
	;; [unrolled: 3-line block ×3, first 2 shown]
	s_nop 1
	v_cndmask_b32_e64 v17, 0, v17, s[0:1]
	s_or_b64 exec, exec, s[12:13]
	global_load_dwordx4 v[18:21], v[18:19], off offset:3072
	s_and_saveexec_b64 s[12:13], vcc
	s_cbranch_execnz .LBB40_47
	s_branch .LBB40_48
.LBB40_57:
	s_or_b64 exec, exec, s[10:11]
.LBB40_58:
	s_or_b64 exec, exec, s[2:3]
	ds_bpermute_b32 v2, v56, v40
	ds_bpermute_b32 v3, v56, v41
	;; [unrolled: 1-line block ×7, first 2 shown]
	s_waitcnt lgkmcnt(5)
	v_pk_add_f32 v[2:3], v[40:41], v[2:3]
	ds_bpermute_b32 v6, v55, v2
	ds_bpermute_b32 v7, v55, v3
	s_waitcnt lgkmcnt(5)
	v_pk_add_f32 v[4:5], v[38:39], v[4:5]
	s_waitcnt lgkmcnt(3)
	v_pk_add_f32 v[12:13], v[36:37], v[8:9]
	s_waitcnt lgkmcnt(2)
	v_add_f32_e32 v16, v57, v16
	ds_bpermute_b32 v10, v55, v4
	ds_bpermute_b32 v11, v55, v5
	;; [unrolled: 1-line block ×5, first 2 shown]
	s_waitcnt lgkmcnt(5)
	v_pk_add_f32 v[8:9], v[2:3], v[6:7]
	v_and_b32_e32 v7, 0x3c3, v0
	s_waitcnt lgkmcnt(3)
	v_pk_add_f32 v[4:5], v[4:5], v[10:11]
	s_waitcnt lgkmcnt(1)
	v_pk_add_f32 v[2:3], v[12:13], v[14:15]
	s_waitcnt lgkmcnt(0)
	v_add_f32_e32 v6, v16, v17
	v_cmp_eq_u32_e32 vcc, 64, v7
	s_barrier
	s_and_saveexec_b64 s[0:1], vcc
	s_cbranch_execz .LBB40_60
; %bb.59:
	v_add_u32_e32 v10, 0x1d0, v54
	ds_write2_b32 v10, v8, v9 offset1:16
	ds_write2_b32 v10, v4, v5 offset0:32 offset1:48
	ds_write2_b32 v10, v2, v3 offset0:64 offset1:80
	ds_write_b32 v10, v6 offset:384
.LBB40_60:
	s_or_b64 exec, exec, s[0:1]
	v_cmp_gt_u32_e32 vcc, 64, v0
	s_waitcnt lgkmcnt(0)
	s_barrier
	s_and_saveexec_b64 s[0:1], vcc
	s_cbranch_execz .LBB40_70
; %bb.61:
	v_cmp_eq_u32_e32 vcc, 0, v53
	s_and_saveexec_b64 s[2:3], vcc
	s_cbranch_execnz .LBB40_73
; %bb.62:
	s_or_b64 exec, exec, s[2:3]
	s_and_saveexec_b64 s[2:3], vcc
	s_cbranch_execnz .LBB40_74
.LBB40_63:
	s_or_b64 exec, exec, s[2:3]
	s_and_saveexec_b64 s[2:3], vcc
	s_cbranch_execnz .LBB40_75
.LBB40_64:
	s_or_b64 exec, exec, s[2:3]
	s_and_saveexec_b64 s[2:3], vcc
	s_cbranch_execnz .LBB40_76
.LBB40_65:
	s_or_b64 exec, exec, s[2:3]
	s_and_saveexec_b64 s[2:3], vcc
	s_cbranch_execnz .LBB40_77
.LBB40_66:
	s_or_b64 exec, exec, s[2:3]
	s_and_saveexec_b64 s[2:3], vcc
	s_cbranch_execnz .LBB40_78
.LBB40_67:
	s_or_b64 exec, exec, s[2:3]
	s_and_saveexec_b64 s[2:3], vcc
	s_cbranch_execz .LBB40_69
.LBB40_68:
	v_mov_b32_e32 v0, 0x1d0
	v_lshl_add_u32 v0, v52, 2, v0
	ds_read_b32 v0, v0 offset:384
	s_waitcnt lgkmcnt(0)
	v_add_f32_e32 v6, v6, v0
.LBB40_69:
	s_or_b64 exec, exec, s[2:3]
.LBB40_70:
	s_or_b64 exec, exec, s[0:1]
	v_cmp_eq_u32_e32 vcc, 0, v7
	s_barrier
	s_and_saveexec_b64 s[0:1], vcc
	s_cbranch_execz .LBB40_72
; %bb.71:
	s_mul_i32 s0, s8, 0x70
	s_ashr_i32 s1, s0, 31
	s_lshl_b64 s[0:1], s[0:1], 2
	s_add_u32 s2, s22, s0
	s_mul_i32 s0, s21, s20
	s_addc_u32 s3, s23, s1
	s_ashr_i32 s1, s0, 31
	s_lshl_b64 s[0:1], s[0:1], 2
	s_add_u32 s2, s2, s0
	s_mul_i32 s0, s4, 0x70
	s_addc_u32 s3, s3, s1
	s_ashr_i32 s1, s0, 31
	s_lshl_b64 s[0:1], s[0:1], 2
	s_add_u32 s0, s2, s0
	s_addc_u32 s1, s3, s1
	global_store_dword v1, v8, s[0:1]
	global_store_dword v1, v9, s[0:1] offset:64
	global_store_dword v1, v4, s[0:1] offset:128
	global_store_dword v1, v5, s[0:1] offset:192
	global_store_dword v1, v2, s[0:1] offset:256
	global_store_dword v1, v3, s[0:1] offset:320
	global_store_dword v1, v6, s[0:1] offset:384
.LBB40_72:
	s_endpgm
.LBB40_73:
	v_mov_b32_e32 v0, 0x1d0
	v_lshl_add_u32 v0, v52, 2, v0
	ds_read_b32 v0, v0
	s_waitcnt lgkmcnt(0)
	v_add_f32_e32 v8, v8, v0
	s_or_b64 exec, exec, s[2:3]
	s_and_saveexec_b64 s[2:3], vcc
	s_cbranch_execz .LBB40_63
.LBB40_74:
	v_mov_b32_e32 v0, 0x1d0
	v_lshl_add_u32 v0, v52, 2, v0
	ds_read_b32 v0, v0 offset:64
	s_waitcnt lgkmcnt(0)
	v_add_f32_e32 v9, v9, v0
	s_or_b64 exec, exec, s[2:3]
	s_and_saveexec_b64 s[2:3], vcc
	s_cbranch_execz .LBB40_64
.LBB40_75:
	v_mov_b32_e32 v0, 0x1d0
	v_lshl_add_u32 v0, v52, 2, v0
	ds_read_b32 v0, v0 offset:128
	s_waitcnt lgkmcnt(0)
	v_add_f32_e32 v4, v4, v0
	s_or_b64 exec, exec, s[2:3]
	s_and_saveexec_b64 s[2:3], vcc
	s_cbranch_execz .LBB40_65
.LBB40_76:
	v_mov_b32_e32 v0, 0x1d0
	v_lshl_add_u32 v0, v52, 2, v0
	ds_read_b32 v0, v0 offset:192
	s_waitcnt lgkmcnt(0)
	v_add_f32_e32 v5, v5, v0
	s_or_b64 exec, exec, s[2:3]
	s_and_saveexec_b64 s[2:3], vcc
	s_cbranch_execz .LBB40_66
.LBB40_77:
	v_mov_b32_e32 v0, 0x1d0
	v_lshl_add_u32 v0, v52, 2, v0
	ds_read_b32 v0, v0 offset:256
	s_waitcnt lgkmcnt(0)
	v_add_f32_e32 v2, v2, v0
	s_or_b64 exec, exec, s[2:3]
	s_and_saveexec_b64 s[2:3], vcc
	s_cbranch_execz .LBB40_67
.LBB40_78:
	v_mov_b32_e32 v0, 0x1d0
	v_lshl_add_u32 v0, v52, 2, v0
	ds_read_b32 v0, v0 offset:320
	s_waitcnt lgkmcnt(0)
	v_add_f32_e32 v3, v3, v0
	s_or_b64 exec, exec, s[2:3]
	s_and_saveexec_b64 s[2:3], vcc
	s_cbranch_execnz .LBB40_68
	s_branch .LBB40_69
	.section	.rodata,"a",@progbits
	.p2align	6, 0x0
	.amdhsa_kernel _ZN4vllm25paged_attention_v2_kernelIffLi112ELi16ELi128ELNS_18Fp8KVCacheDataTypeE0ELb0ELi512EEEvPfS2_PT_PKS3_PKT0_S9_ifPKiSB_iPKfiiiSD_SD_iiiii
		.amdhsa_group_segment_fixed_size 464
		.amdhsa_private_segment_fixed_size 0
		.amdhsa_kernarg_size 400
		.amdhsa_user_sgpr_count 2
		.amdhsa_user_sgpr_dispatch_ptr 0
		.amdhsa_user_sgpr_queue_ptr 0
		.amdhsa_user_sgpr_kernarg_segment_ptr 1
		.amdhsa_user_sgpr_dispatch_id 0
		.amdhsa_user_sgpr_kernarg_preload_length 0
		.amdhsa_user_sgpr_kernarg_preload_offset 0
		.amdhsa_user_sgpr_private_segment_size 0
		.amdhsa_uses_dynamic_stack 0
		.amdhsa_enable_private_segment 0
		.amdhsa_system_sgpr_workgroup_id_x 1
		.amdhsa_system_sgpr_workgroup_id_y 1
		.amdhsa_system_sgpr_workgroup_id_z 1
		.amdhsa_system_sgpr_workgroup_info 0
		.amdhsa_system_vgpr_workitem_id 0
		.amdhsa_next_free_vgpr 77
		.amdhsa_next_free_sgpr 43
		.amdhsa_accum_offset 80
		.amdhsa_reserve_vcc 1
		.amdhsa_float_round_mode_32 0
		.amdhsa_float_round_mode_16_64 0
		.amdhsa_float_denorm_mode_32 3
		.amdhsa_float_denorm_mode_16_64 3
		.amdhsa_dx10_clamp 1
		.amdhsa_ieee_mode 1
		.amdhsa_fp16_overflow 0
		.amdhsa_tg_split 0
		.amdhsa_exception_fp_ieee_invalid_op 0
		.amdhsa_exception_fp_denorm_src 0
		.amdhsa_exception_fp_ieee_div_zero 0
		.amdhsa_exception_fp_ieee_overflow 0
		.amdhsa_exception_fp_ieee_underflow 0
		.amdhsa_exception_fp_ieee_inexact 0
		.amdhsa_exception_int_div_zero 0
	.end_amdhsa_kernel
	.section	.text._ZN4vllm25paged_attention_v2_kernelIffLi112ELi16ELi128ELNS_18Fp8KVCacheDataTypeE0ELb0ELi512EEEvPfS2_PT_PKS3_PKT0_S9_ifPKiSB_iPKfiiiSD_SD_iiiii,"axG",@progbits,_ZN4vllm25paged_attention_v2_kernelIffLi112ELi16ELi128ELNS_18Fp8KVCacheDataTypeE0ELb0ELi512EEEvPfS2_PT_PKS3_PKT0_S9_ifPKiSB_iPKfiiiSD_SD_iiiii,comdat
.Lfunc_end40:
	.size	_ZN4vllm25paged_attention_v2_kernelIffLi112ELi16ELi128ELNS_18Fp8KVCacheDataTypeE0ELb0ELi512EEEvPfS2_PT_PKS3_PKT0_S9_ifPKiSB_iPKfiiiSD_SD_iiiii, .Lfunc_end40-_ZN4vllm25paged_attention_v2_kernelIffLi112ELi16ELi128ELNS_18Fp8KVCacheDataTypeE0ELb0ELi512EEEvPfS2_PT_PKS3_PKT0_S9_ifPKiSB_iPKfiiiSD_SD_iiiii
                                        ; -- End function
	.section	.AMDGPU.csdata,"",@progbits
; Kernel info:
; codeLenInByte = 5168
; NumSgprs: 49
; NumVgprs: 77
; NumAgprs: 0
; TotalNumVgprs: 77
; ScratchSize: 0
; MemoryBound: 0
; FloatMode: 240
; IeeeMode: 1
; LDSByteSize: 464 bytes/workgroup (compile time only)
; SGPRBlocks: 6
; VGPRBlocks: 9
; NumSGPRsForWavesPerEU: 49
; NumVGPRsForWavesPerEU: 77
; AccumOffset: 80
; Occupancy: 6
; WaveLimiterHint : 1
; COMPUTE_PGM_RSRC2:SCRATCH_EN: 0
; COMPUTE_PGM_RSRC2:USER_SGPR: 2
; COMPUTE_PGM_RSRC2:TRAP_HANDLER: 0
; COMPUTE_PGM_RSRC2:TGID_X_EN: 1
; COMPUTE_PGM_RSRC2:TGID_Y_EN: 1
; COMPUTE_PGM_RSRC2:TGID_Z_EN: 1
; COMPUTE_PGM_RSRC2:TIDIG_COMP_CNT: 0
; COMPUTE_PGM_RSRC3_GFX90A:ACCUM_OFFSET: 19
; COMPUTE_PGM_RSRC3_GFX90A:TG_SPLIT: 0
	.section	.text._ZN4vllm25paged_attention_v2_kernelIffLi120ELi16ELi128ELNS_18Fp8KVCacheDataTypeE0ELb0ELi512EEEvPfS2_PT_PKS3_PKT0_S9_ifPKiSB_iPKfiiiSD_SD_iiiii,"axG",@progbits,_ZN4vllm25paged_attention_v2_kernelIffLi120ELi16ELi128ELNS_18Fp8KVCacheDataTypeE0ELb0ELi512EEEvPfS2_PT_PKS3_PKT0_S9_ifPKiSB_iPKfiiiSD_SD_iiiii,comdat
	.protected	_ZN4vllm25paged_attention_v2_kernelIffLi120ELi16ELi128ELNS_18Fp8KVCacheDataTypeE0ELb0ELi512EEEvPfS2_PT_PKS3_PKT0_S9_ifPKiSB_iPKfiiiSD_SD_iiiii ; -- Begin function _ZN4vllm25paged_attention_v2_kernelIffLi120ELi16ELi128ELNS_18Fp8KVCacheDataTypeE0ELb0ELi512EEEvPfS2_PT_PKS3_PKT0_S9_ifPKiSB_iPKfiiiSD_SD_iiiii
	.globl	_ZN4vllm25paged_attention_v2_kernelIffLi120ELi16ELi128ELNS_18Fp8KVCacheDataTypeE0ELb0ELi512EEEvPfS2_PT_PKS3_PKT0_S9_ifPKiSB_iPKfiiiSD_SD_iiiii
	.p2align	8
	.type	_ZN4vllm25paged_attention_v2_kernelIffLi120ELi16ELi128ELNS_18Fp8KVCacheDataTypeE0ELb0ELi512EEEvPfS2_PT_PKS3_PKT0_S9_ifPKiSB_iPKfiiiSD_SD_iiiii,@function
_ZN4vllm25paged_attention_v2_kernelIffLi120ELi16ELi128ELNS_18Fp8KVCacheDataTypeE0ELb0ELi512EEEvPfS2_PT_PKS3_PKT0_S9_ifPKiSB_iPKfiiiSD_SD_iiiii: ; @_ZN4vllm25paged_attention_v2_kernelIffLi120ELi16ELi128ELNS_18Fp8KVCacheDataTypeE0ELb0ELi512EEEvPfS2_PT_PKS3_PKT0_S9_ifPKiSB_iPKfiiiSD_SD_iiiii
; %bb.0:
	s_load_dwordx2 s[6:7], s[0:1], 0x40
	s_mov_b32 s24, s3
	s_ashr_i32 s25, s3, 31
	s_lshl_b64 s[8:9], s[24:25], 2
	s_waitcnt lgkmcnt(0)
	s_add_u32 s6, s6, s8
	s_addc_u32 s7, s7, s9
	s_load_dword s25, s[6:7], 0x0
	s_lshl_b32 s40, s4, 9
	s_waitcnt lgkmcnt(0)
	s_cmp_ge_i32 s40, s25
	s_cbranch_scc1 .LBB41_102
; %bb.1:
	s_load_dword s5, s[0:1], 0x90
	s_load_dwordx2 s[10:11], s[0:1], 0x30
	s_mov_b32 s41, 0
	s_waitcnt lgkmcnt(0)
	s_abs_i32 s7, s5
	s_abs_i32 s3, s10
	v_cvt_f32_u32_e32 v1, s3
	s_sub_i32 s8, 0, s3
	s_xor_b32 s6, s5, s10
	s_ashr_i32 s6, s6, 31
	v_rcp_iflag_f32_e32 v1, v1
	s_nop 0
	v_mul_f32_e32 v1, 0x4f7ffffe, v1
	v_cvt_u32_f32_e32 v1, v1
	s_nop 0
	v_readfirstlane_b32 s9, v1
	s_mul_i32 s8, s8, s9
	s_mul_hi_u32 s8, s9, s8
	s_add_i32 s9, s9, s8
	s_mul_hi_u32 s8, s7, s9
	s_mul_i32 s9, s8, s3
	s_sub_i32 s7, s7, s9
	s_add_i32 s10, s8, 1
	s_sub_i32 s9, s7, s3
	s_cmp_ge_u32 s7, s3
	s_cselect_b32 s8, s10, s8
	s_cselect_b32 s7, s9, s7
	s_add_i32 s9, s8, 1
	s_cmp_ge_u32 s7, s3
	s_cselect_b32 s3, s9, s8
	s_xor_b32 s3, s3, s6
	s_sub_i32 s10, s3, s6
	s_abs_i32 s8, s10
	v_cvt_f32_u32_e32 v1, s8
	s_load_dwordx2 s[6:7], s[0:1], 0x50
	s_sub_i32 s3, 0, s8
	s_abs_i32 s9, s2
	v_rcp_iflag_f32_e32 v1, v1
	s_nop 0
	v_mul_f32_e32 v1, 0x4f7ffffe, v1
	v_cvt_u32_f32_e32 v1, v1
	s_nop 0
	v_readfirstlane_b32 s12, v1
	s_mul_i32 s3, s3, s12
	s_mul_hi_u32 s3, s12, s3
	s_add_i32 s12, s12, s3
	s_waitcnt lgkmcnt(0)
	s_cmp_eq_u64 s[6:7], 0
	s_mul_hi_u32 s16, s9, s12
	s_cbranch_scc1 .LBB41_3
; %bb.2:
	s_ashr_i32 s3, s2, 31
	s_lshl_b64 s[12:13], s[2:3], 2
	s_add_u32 s6, s6, s12
	s_addc_u32 s7, s7, s13
	s_load_dword s41, s[6:7], 0x0
.LBB41_3:
	s_load_dwordx4 s[12:15], s[0:1], 0x58
	v_lshrrev_b32_e32 v60, 2, v0
	s_movk_i32 s3, 0x78
	s_ashr_i32 s17, s2, 31
	s_ashr_i32 s18, s10, 31
	v_and_b32_e32 v61, 3, v0
	s_mul_i32 s20, s2, 0x78
	v_cmp_gt_u32_e32 vcc, s3, v0
	v_lshlrev_b32_e32 v36, 2, v0
	v_lshlrev_b32_e32 v1, 2, v60
	s_and_saveexec_b64 s[6:7], vcc
	s_cbranch_execz .LBB41_5
; %bb.4:
	s_load_dwordx2 s[22:23], s[0:1], 0x18
	s_waitcnt lgkmcnt(0)
	s_mul_i32 s26, s24, s12
	s_ashr_i32 s27, s26, 31
	s_lshl_b64 s[26:27], s[26:27], 2
	v_mad_u32_u24 v3, v61, s3, v1
	s_add_u32 s10, s22, s26
	s_addc_u32 s12, s23, s27
	s_ashr_i32 s21, s20, 31
	s_lshl_b64 s[22:23], s[20:21], 2
	s_add_u32 s22, s10, s22
	s_addc_u32 s23, s12, s23
	global_load_dword v2, v36, s[22:23]
	s_waitcnt vmcnt(0)
	ds_write_b32 v3, v2
.LBB41_5:
	s_or_b64 exec, exec, s[6:7]
	s_add_i32 s3, s25, 15
	s_ashr_i32 s6, s3, 31
	s_lshr_b32 s6, s6, 28
	s_add_i32 s3, s3, s6
	s_lshl_b32 s10, s4, 5
	s_mul_i32 s7, s16, s8
	s_ashr_i32 s3, s3, 4
	s_add_i32 s6, s10, 32
	s_sub_i32 s7, s9, s7
	s_min_i32 s33, s6, s3
	s_xor_b32 s6, s17, s18
	s_add_i32 s9, s16, 1
	s_waitcnt lgkmcnt(0)
	s_sub_i32 s12, s7, s8
	s_cmp_ge_u32 s7, s8
	s_cselect_b32 s9, s9, s16
	s_cselect_b32 s7, s12, s7
	s_add_i32 s12, s9, 1
	s_cmp_ge_u32 s7, s8
	s_load_dwordx2 s[26:27], s[0:1], 0x38
	s_load_dword s8, s[0:1], 0x48
	v_lshrrev_b32_e32 v37, 6, v0
	s_cselect_b32 s7, s12, s9
	s_xor_b32 s7, s7, s6
	v_or_b32_e32 v38, s10, v37
	s_waitcnt lgkmcnt(0)
	s_mul_i32 s28, s24, s8
	s_sub_i32 s12, s7, s6
	s_ashr_i32 s29, s28, 31
	v_cmp_gt_i32_e64 s[6:7], s33, v38
	v_cmp_le_i32_e32 vcc, s33, v38
	v_mbcnt_lo_u32_b32 v34, -1, 0
	s_barrier
	s_waitcnt lgkmcnt(0)
                                        ; implicit-def: $sgpr15
                                        ; implicit-def: $vgpr40
                                        ; implicit-def: $vgpr41
	s_and_saveexec_b64 s[8:9], vcc
	s_xor_b64 s[8:9], exec, s[8:9]
; %bb.6:
	v_mbcnt_hi_u32_b32 v40, -1, v34
	v_and_b32_e32 v2, 64, v40
	v_add_u32_e32 v41, 64, v2
	s_mov_b32 s15, 0xff7fffff
                                        ; implicit-def: $vgpr34
; %bb.7:
	s_or_saveexec_b64 s[34:35], s[8:9]
	s_load_dwordx4 s[16:19], s[0:1], 0x0
	s_load_dwordx2 s[22:23], s[0:1], 0x10
	s_load_dwordx2 s[30:31], s[0:1], 0x28
	s_load_dword s21, s[0:1], 0x98
	v_mov_b32_e32 v42, s15
	s_mul_i32 s14, s12, s14
	v_ashrrev_i32_e32 v39, 31, v38
	s_xor_b64 exec, exec, s[34:35]
	s_cbranch_execz .LBB41_13
; %bb.8:
	s_load_dwordx2 s[0:1], s[0:1], 0x20
	s_ashr_i32 s15, s14, 31
	s_lshl_b64 s[8:9], s[14:15], 2
	v_bfe_u32 v35, v0, 2, 4
	v_lshlrev_b32_e32 v2, 4, v35
	s_waitcnt lgkmcnt(0)
	s_add_u32 s0, s0, s8
	s_addc_u32 s1, s1, s9
	v_mov_b32_e32 v3, 0
	v_lshl_add_u64 v[4:5], s[0:1], 0, v[2:3]
	v_lshlrev_b32_e32 v2, 2, v61
	v_mul_u32_u24_e32 v32, 0x78, v61
	v_lshl_add_u64 v[30:31], v[4:5], 0, v[2:3]
	ds_read2_b64 v[2:5], v32 offset1:1
	ds_read2_b64 v[6:9], v32 offset0:2 offset1:3
	ds_read2_b64 v[10:13], v32 offset0:4 offset1:5
	;; [unrolled: 1-line block ×6, first 2 shown]
	ds_read_b64 v[32:33], v32 offset:112
	v_mbcnt_hi_u32_b32 v40, -1, v34
	v_and_b32_e32 v34, 64, v40
	v_add_u32_e32 v41, 64, v34
	v_xor_b32_e32 v34, 2, v40
	v_cmp_lt_i32_e32 vcc, v34, v41
	s_sub_i32 s15, 1, s25
	s_lshl_b64 s[8:9], s[28:29], 2
	v_cndmask_b32_e32 v34, v40, v34, vcc
	v_lshlrev_b32_e32 v43, 2, v34
	v_xor_b32_e32 v34, 1, v40
	v_cmp_lt_i32_e32 vcc, v34, v41
	v_lshlrev_b32_e32 v42, 2, v35
	s_add_u32 s8, s26, s8
	v_cndmask_b32_e32 v34, v40, v34, vcc
	v_lshlrev_b32_e32 v44, 2, v34
	v_lshlrev_b32_e32 v34, 4, v37
	v_add3_u32 v45, s40, v34, v35
	v_lshl_or_b32 v34, v37, 6, v42
	s_addc_u32 s9, s27, s9
	s_mov_b32 s12, s13
	v_cmp_eq_u32_e32 vcc, 0, v61
	v_cmp_neq_f32_e64 s[0:1], s41, 0
	v_add_u32_e32 v46, 0x1f0, v34
	v_lshl_add_u64 v[34:35], v[38:39], 2, s[8:9]
	s_mov_b64 s[36:37], 0
	v_mov_b32_e32 v42, 0xff7fffff
	s_movk_i32 s42, 0x1000
	v_mov_b32_e32 v47, v38
	s_branch .LBB41_10
.LBB41_9:                               ;   in Loop: Header=BB41_10 Depth=1
	s_or_b64 exec, exec, s[38:39]
	v_add_u32_e32 v47, 2, v47
	v_cmp_le_i32_e64 s[8:9], s33, v47
	v_add_u32_e32 v45, 32, v45
	v_add_u32_e32 v46, 0x80, v46
	s_or_b64 s[36:37], s[8:9], s[36:37]
	v_lshl_add_u64 v[34:35], v[34:35], 0, 8
	s_andn2_b64 exec, exec, s[36:37]
	s_cbranch_execz .LBB41_12
.LBB41_10:                              ; =>This Inner Loop Header: Depth=1
	global_load_dword v48, v[34:35], off
	s_waitcnt vmcnt(0) lgkmcnt(0)
	v_mad_i64_i32 v[48:49], s[8:9], v48, s12, 0
	v_lshl_add_u64 v[48:49], v[48:49], 2, v[30:31]
	global_load_dword v50, v[48:49], off
	global_load_dword v51, v[48:49], off offset:256
	global_load_dword v52, v[48:49], off offset:512
	;; [unrolled: 1-line block ×15, first 2 shown]
	v_add_co_u32_e64 v48, s[8:9], s42, v48
	s_nop 1
	v_addc_co_u32_e64 v49, s[8:9], 0, v49, s[8:9]
	global_load_dword v68, v[48:49], off
	global_load_dword v69, v[48:49], off offset:256
	global_load_dword v70, v[48:49], off offset:512
	global_load_dword v71, v[48:49], off offset:768
	global_load_dword v72, v[48:49], off offset:1024
	global_load_dword v73, v[48:49], off offset:1280
	global_load_dword v74, v[48:49], off offset:1536
	global_load_dword v75, v[48:49], off offset:1792
	global_load_dword v76, v[48:49], off offset:2048
	global_load_dword v77, v[48:49], off offset:2304
	global_load_dword v78, v[48:49], off offset:2560
	global_load_dword v79, v[48:49], off offset:2816
	global_load_dword v80, v[48:49], off offset:3072
	s_nop 0
	global_load_dword v48, v[48:49], off offset:3328
	s_waitcnt vmcnt(28) lgkmcnt(7)
	v_mul_f32_e32 v49, v3, v51
	v_fmac_f32_e32 v49, v2, v50
	s_waitcnt vmcnt(27)
	v_fmac_f32_e32 v49, v4, v52
	s_waitcnt vmcnt(26)
	v_fmac_f32_e32 v49, v5, v53
	s_waitcnt vmcnt(25) lgkmcnt(6)
	v_fmac_f32_e32 v49, v6, v54
	s_waitcnt vmcnt(24)
	v_fmac_f32_e32 v49, v7, v55
	s_waitcnt vmcnt(23)
	v_fmac_f32_e32 v49, v8, v56
	s_waitcnt vmcnt(22)
	v_fmac_f32_e32 v49, v9, v57
	s_waitcnt vmcnt(21) lgkmcnt(5)
	v_fmac_f32_e32 v49, v10, v58
	s_waitcnt vmcnt(20)
	;; [unrolled: 8-line block ×7, first 2 shown]
	v_fmac_f32_e32 v49, v33, v48
	ds_bpermute_b32 v48, v43, v49
	s_waitcnt lgkmcnt(0)
	v_add_f32_e32 v48, v49, v48
	ds_bpermute_b32 v49, v44, v48
	s_and_saveexec_b64 s[38:39], vcc
	s_cbranch_execz .LBB41_9
; %bb.11:                               ;   in Loop: Header=BB41_10 Depth=1
	v_add_u32_e32 v50, s15, v45
	v_cvt_f32_i32_e32 v50, v50
	s_waitcnt lgkmcnt(0)
	v_add_f32_e32 v48, v48, v49
	v_cmp_gt_i32_e64 s[8:9], s25, v45
	v_max_f32_e32 v49, v42, v42
	v_mul_f32_e32 v50, s41, v50
	v_cndmask_b32_e64 v50, 0, v50, s[0:1]
	v_fmac_f32_e32 v50, s11, v48
	v_cndmask_b32_e64 v48, 0, v50, s[8:9]
	ds_write_b32 v46, v48
	v_max_f32_e32 v48, v49, v50
	v_cndmask_b32_e64 v42, v42, v48, s[8:9]
	s_branch .LBB41_9
.LBB41_12:
	s_or_b64 exec, exec, s[36:37]
.LBB41_13:
	s_or_b64 exec, exec, s[34:35]
	v_xor_b32_e32 v2, 32, v40
	v_cmp_lt_i32_e32 vcc, v2, v41
	v_xor_b32_e32 v5, 16, v40
	v_max_f32_e32 v4, v42, v42
	v_cndmask_b32_e32 v2, v40, v2, vcc
	v_lshlrev_b32_e32 v2, 2, v2
	ds_bpermute_b32 v3, v2, v42
	v_cmp_lt_i32_e32 vcc, v5, v41
	v_xor_b32_e32 v6, 8, v40
	s_waitcnt lgkmcnt(0)
	v_max_f32_e32 v3, v3, v3
	v_max_f32_e32 v4, v4, v3
	v_cndmask_b32_e32 v3, v40, v5, vcc
	v_lshlrev_b32_e32 v3, 2, v3
	ds_bpermute_b32 v5, v3, v4
	v_cmp_lt_i32_e32 vcc, v6, v41
	s_waitcnt lgkmcnt(0)
	v_max_f32_e32 v5, v5, v5
	v_max_f32_e32 v4, v4, v5
	v_cndmask_b32_e32 v5, v40, v6, vcc
	v_lshlrev_b32_e32 v8, 2, v5
	ds_bpermute_b32 v5, v8, v4
	v_xor_b32_e32 v6, 4, v40
	v_cmp_lt_i32_e32 vcc, v6, v41
	s_waitcnt lgkmcnt(0)
	v_max_f32_e32 v5, v5, v5
	v_max_f32_e32 v5, v4, v5
	v_cndmask_b32_e32 v4, v40, v6, vcc
	v_lshlrev_b32_e32 v9, 2, v4
	ds_bpermute_b32 v7, v9, v5
	v_and_b32_e32 v4, 63, v0
	v_cmp_eq_u32_e32 vcc, 0, v4
	v_lshlrev_b32_e32 v6, 2, v37
	s_and_saveexec_b64 s[0:1], vcc
	s_cbranch_execz .LBB41_15
; %bb.14:
	s_waitcnt lgkmcnt(0)
	v_max_f32_e32 v7, v7, v7
	v_max_f32_e32 v5, v5, v5
	v_max_f32_e32 v5, v5, v7
	ds_write_b32 v6, v5 offset:480
.LBB41_15:
	s_or_b64 exec, exec, s[0:1]
	v_cmp_gt_u32_e64 s[0:1], 2, v4
	v_mov_b32_e32 v5, 0xff7fffff
	s_waitcnt lgkmcnt(0)
	v_lshlrev_b32_e32 v7, 2, v4
	s_barrier
	s_and_saveexec_b64 s[8:9], s[0:1]
	s_cbranch_execz .LBB41_17
; %bb.16:
	ds_read_b32 v5, v7 offset:480
.LBB41_17:
	s_or_b64 exec, exec, s[8:9]
	v_xor_b32_e32 v10, 1, v40
	v_cmp_lt_i32_e64 s[8:9], v10, v41
	v_mov_b32_e32 v11, 0
	s_nop 0
	v_cndmask_b32_e64 v10, v40, v10, s[8:9]
	v_lshlrev_b32_e32 v62, 2, v10
	s_waitcnt lgkmcnt(0)
	ds_bpermute_b32 v10, v62, v5
	v_max_f32_e32 v5, v5, v5
	s_sub_i32 s8, s33, s10
	s_lshl_b32 s8, s8, 4
	s_add_i32 s8, s8, s40
	s_waitcnt lgkmcnt(0)
	v_max_f32_e32 v10, v10, v10
	v_max_f32_e32 v5, v5, v10
	v_lshlrev_b32_e32 v10, 2, v40
	v_and_b32_e32 v10, 0xffffff00, v10
	ds_bpermute_b32 v5, v10, v5
	s_min_i32 s15, s8, s25
	s_sub_i32 s12, s15, s40
	v_cmp_gt_i32_e64 s[8:9], s12, v0
	s_and_saveexec_b64 s[34:35], s[8:9]
	s_cbranch_execz .LBB41_21
; %bb.18:
	v_mov_b32_e32 v11, 0x1f0
	v_lshl_add_u32 v12, v0, 2, v11
	s_mov_b64 s[36:37], 0
	v_mov_b32_e32 v11, 0
	v_mov_b32_e32 v13, v0
.LBB41_19:                              ; =>This Inner Loop Header: Depth=1
	ds_read_b32 v14, v12
	v_add_u32_e32 v13, 0x80, v13
	v_cmp_le_i32_e64 s[10:11], s12, v13
	s_or_b64 s[36:37], s[10:11], s[36:37]
	s_waitcnt lgkmcnt(0)
	v_sub_f32_e32 v14, v14, v5
	v_mul_f32_e32 v14, 0x3fb8aa3b, v14
	v_exp_f32_e32 v14, v14
	ds_write_b32 v12, v14
	v_add_f32_e32 v11, v11, v14
	v_add_u32_e32 v12, 0x200, v12
	s_andn2_b64 exec, exec, s[36:37]
	s_cbranch_execnz .LBB41_19
; %bb.20:
	s_or_b64 exec, exec, s[36:37]
.LBB41_21:
	s_or_b64 exec, exec, s[34:35]
	ds_bpermute_b32 v2, v2, v11
	s_waitcnt lgkmcnt(0)
	v_add_f32_e32 v2, v11, v2
	ds_bpermute_b32 v3, v3, v2
	s_waitcnt lgkmcnt(0)
	v_add_f32_e32 v2, v2, v3
	ds_bpermute_b32 v3, v8, v2
	v_xor_b32_e32 v8, 2, v40
	v_cmp_lt_i32_e64 s[10:11], v8, v41
	s_waitcnt lgkmcnt(0)
	v_add_f32_e32 v2, v2, v3
	ds_bpermute_b32 v3, v9, v2
	v_cndmask_b32_e64 v8, v40, v8, s[10:11]
	v_lshlrev_b32_e32 v63, 2, v8
	s_waitcnt lgkmcnt(0)
	v_add_f32_e32 v2, v2, v3
	ds_bpermute_b32 v3, v63, v2
	s_waitcnt lgkmcnt(0)
	v_add_f32_e32 v2, v2, v3
	ds_bpermute_b32 v3, v62, v2
	s_waitcnt lgkmcnt(0)
	v_add_f32_e32 v2, v2, v3
	s_and_saveexec_b64 s[10:11], vcc
	s_cbranch_execz .LBB41_23
; %bb.22:
	ds_write_b32 v6, v2 offset:488
.LBB41_23:
	s_or_b64 exec, exec, s[10:11]
	s_waitcnt lgkmcnt(0)
	s_barrier
	s_and_saveexec_b64 s[10:11], s[0:1]
	s_cbranch_execz .LBB41_25
; %bb.24:
	ds_read_b32 v2, v7 offset:488
.LBB41_25:
	s_or_b64 exec, exec, s[10:11]
	s_waitcnt lgkmcnt(0)
	ds_bpermute_b32 v3, v62, v2
	s_waitcnt lgkmcnt(0)
	v_add_f32_e32 v2, v2, v3
	ds_bpermute_b32 v6, v10, v2
	s_and_saveexec_b64 s[0:1], s[8:9]
	s_cbranch_execz .LBB41_38
; %bb.26:
	s_waitcnt lgkmcnt(0)
	v_add_f32_e32 v2, 0x358637bd, v6
	v_div_scale_f32 v3, s[8:9], v2, v2, 1.0
	v_rcp_f32_e32 v7, v3
	v_div_scale_f32 v8, vcc, 1.0, v2, 1.0
	s_movk_i32 s8, 0x7f
	v_fma_f32 v9, -v3, v7, 1.0
	v_fmac_f32_e32 v7, v9, v7
	v_mul_f32_e32 v9, v8, v7
	v_fma_f32 v10, -v3, v9, v8
	v_fmac_f32_e32 v9, v10, v7
	v_fma_f32 v3, -v3, v9, v8
	v_div_fmas_f32 v3, v3, v7, v9
	v_div_fixup_f32 v2, v3, v2, 1.0
	v_xad_u32 v3, v0, -1, s15
	v_subrev_u32_e32 v7, s40, v3
	v_cmp_lt_u32_e32 vcc, s8, v7
	s_mov_b64 s[10:11], -1
	v_mov_b32_e32 v3, v0
	s_and_saveexec_b64 s[8:9], vcc
	s_cbranch_execz .LBB41_35
; %bb.27:
	v_lshrrev_b32_e32 v7, 7, v7
	v_add_u32_e32 v9, -1, v7
	v_lshrrev_b32_e32 v8, 1, v9
	v_mov_b32_e32 v3, v2
	v_add_u32_e32 v8, 1, v8
	v_cmp_lt_u32_e32 vcc, 13, v9
	v_mov_b32_e32 v11, 0
	s_and_saveexec_b64 s[10:11], vcc
	s_cbranch_execz .LBB41_31
; %bb.28:
	v_mov_b32_e32 v10, 0x1f0
	v_and_b32_e32 v9, -8, v8
	v_lshl_add_u32 v10, v0, 2, v10
	s_mov_b32 s15, 0
	s_mov_b64 s[34:35], 0
.LBB41_29:                              ; =>This Inner Loop Header: Depth=1
	ds_read2st64_b32 v[12:13], v10 offset1:2
	ds_read2st64_b32 v[14:15], v10 offset0:4 offset1:6
	ds_read2st64_b32 v[16:17], v10 offset0:8 offset1:10
	;; [unrolled: 1-line block ×3, first 2 shown]
	v_add_u32_e32 v9, -8, v9
	s_waitcnt lgkmcnt(3)
	v_pk_mul_f32 v[12:13], v[2:3], v[12:13]
	s_waitcnt lgkmcnt(2)
	v_pk_mul_f32 v[14:15], v[2:3], v[14:15]
	ds_write2st64_b32 v10, v12, v13 offset1:2
	ds_write2st64_b32 v10, v14, v15 offset0:4 offset1:6
	ds_read2st64_b32 v[14:15], v10 offset0:16 offset1:18
	s_waitcnt lgkmcnt(4)
	v_pk_mul_f32 v[12:13], v[2:3], v[16:17]
	ds_write2st64_b32 v10, v12, v13 offset0:8 offset1:10
	s_waitcnt lgkmcnt(4)
	v_pk_mul_f32 v[12:13], v[2:3], v[18:19]
	ds_write2st64_b32 v10, v12, v13 offset0:12 offset1:14
	ds_read2st64_b32 v[12:13], v10 offset0:20 offset1:22
	s_waitcnt lgkmcnt(3)
	v_pk_mul_f32 v[14:15], v[2:3], v[14:15]
	ds_read2st64_b32 v[16:17], v10 offset0:24 offset1:26
	ds_write2st64_b32 v10, v14, v15 offset0:16 offset1:18
	ds_read2st64_b32 v[14:15], v10 offset0:28 offset1:30
	s_waitcnt lgkmcnt(3)
	v_pk_mul_f32 v[12:13], v[2:3], v[12:13]
	ds_write2st64_b32 v10, v12, v13 offset0:20 offset1:22
	s_waitcnt lgkmcnt(3)
	v_pk_mul_f32 v[12:13], v[2:3], v[16:17]
	ds_write2st64_b32 v10, v12, v13 offset0:24 offset1:26
	s_waitcnt lgkmcnt(2)
	v_pk_mul_f32 v[12:13], v[2:3], v[14:15]
	s_add_i32 s15, s15, 16
	v_cmp_eq_u32_e32 vcc, 0, v9
	ds_write2st64_b32 v10, v12, v13 offset0:28 offset1:30
	v_add_u32_e32 v10, 0x2000, v10
	s_or_b64 s[34:35], vcc, s[34:35]
	v_mov_b32_e32 v11, s15
	s_andn2_b64 exec, exec, s[34:35]
	s_cbranch_execnz .LBB41_29
; %bb.30:
	s_or_b64 exec, exec, s[34:35]
.LBB41_31:
	s_or_b64 exec, exec, s[10:11]
	v_and_b32_e32 v8, 7, v8
	v_cmp_ne_u32_e32 vcc, 0, v8
	s_and_saveexec_b64 s[10:11], vcc
	s_cbranch_execz .LBB41_34
; %bb.32:
	v_lshlrev_b32_e32 v9, 9, v11
	s_movk_i32 s15, 0x1f0
	v_add3_u32 v9, v9, v36, s15
	s_mov_b64 s[34:35], 0
.LBB41_33:                              ; =>This Inner Loop Header: Depth=1
	ds_read2st64_b32 v[10:11], v9 offset1:2
	v_add_u32_e32 v8, -1, v8
	v_cmp_eq_u32_e32 vcc, 0, v8
	s_or_b64 s[34:35], vcc, s[34:35]
	s_waitcnt lgkmcnt(0)
	v_pk_mul_f32 v[10:11], v[2:3], v[10:11]
	ds_write2st64_b32 v9, v10, v11 offset1:2
	v_add_u32_e32 v9, 0x400, v9
	s_andn2_b64 exec, exec, s[34:35]
	s_cbranch_execnz .LBB41_33
.LBB41_34:
	s_or_b64 exec, exec, s[10:11]
	v_add_u32_e32 v7, 1, v7
	v_and_b32_e32 v8, 0x3fffffe, v7
	v_cmp_ne_u32_e32 vcc, v7, v8
	v_lshl_add_u32 v3, v8, 7, v0
	s_orn2_b64 s[10:11], vcc, exec
.LBB41_35:
	s_or_b64 exec, exec, s[8:9]
	s_and_b64 exec, exec, s[10:11]
	s_cbranch_execz .LBB41_38
; %bb.36:
	v_mov_b32_e32 v7, 0x1f0
	v_lshl_add_u32 v7, v3, 2, v7
	s_mov_b64 s[8:9], 0
.LBB41_37:                              ; =>This Inner Loop Header: Depth=1
	ds_read_b32 v8, v7
	v_add_u32_e32 v3, 0x80, v3
	v_cmp_le_i32_e32 vcc, s12, v3
	s_or_b64 s[8:9], vcc, s[8:9]
	s_waitcnt lgkmcnt(0)
	v_mul_f32_e32 v8, v2, v8
	ds_write_b32 v7, v8
	v_add_u32_e32 v7, 0x200, v7
	s_andn2_b64 exec, exec, s[8:9]
	s_cbranch_execnz .LBB41_37
.LBB41_38:
	s_or_b64 exec, exec, s[0:1]
	s_mul_i32 s0, s21, s24
	v_cmp_eq_u32_e32 vcc, 0, v0
	s_mul_i32 s8, s0, s5
	s_waitcnt lgkmcnt(0)
	s_barrier
	s_and_saveexec_b64 s[0:1], vcc
	s_cbranch_execz .LBB41_40
; %bb.39:
	s_ashr_i32 s9, s8, 31
	s_lshl_b64 s[10:11], s[8:9], 2
	s_add_u32 s5, s18, s10
	s_mul_i32 s18, s21, s2
	s_addc_u32 s9, s19, s11
	s_ashr_i32 s19, s18, 31
	s_lshl_b64 s[18:19], s[18:19], 2
	s_add_u32 s2, s5, s18
	s_addc_u32 s9, s9, s19
	s_ashr_i32 s5, s4, 31
	s_lshl_b64 s[34:35], s[4:5], 2
	s_add_u32 s36, s2, s34
	s_addc_u32 s37, s9, s35
	s_add_u32 s2, s16, s10
	s_addc_u32 s5, s17, s11
	;; [unrolled: 2-line block ×3, first 2 shown]
	s_add_u32 s10, s2, s34
	v_mov_b32_e32 v2, 0
	s_addc_u32 s11, s5, s35
	global_store_dword v2, v5, s[36:37]
	global_store_dword v2, v6, s[10:11]
.LBB41_40:
	s_or_b64 exec, exec, s[0:1]
	v_mov_b32_e32 v41, 0
	v_lshrrev_b32_e32 v64, 2, v4
	v_mov_b32_e32 v40, 0
	v_mov_b32_e32 v43, 0
	;; [unrolled: 1-line block ×7, first 2 shown]
	s_and_saveexec_b64 s[10:11], s[6:7]
	s_cbranch_execz .LBB41_62
; %bb.41:
	s_ashr_i32 s15, s14, 31
	s_lshl_b64 s[0:1], s[14:15], 2
	v_and_b32_e32 v3, 12, v36
	s_add_u32 s6, s30, s0
	v_or_b32_e32 v5, 0x70, v64
	s_movk_i32 s0, 0x78
	s_addc_u32 s7, s31, s1
	s_add_i32 s9, s3, -1
	v_cmp_gt_u32_e32 vcc, s0, v5
	v_lshl_or_b32 v10, v5, 4, v3
	v_lshl_add_u32 v5, v37, 4, s40
	s_lshl_b64 s[0:1], s[28:29], 2
	v_lshl_or_b32 v2, v64, 4, v3
	v_add3_u32 v65, v5, v3, 3
	v_lshlrev_b32_e32 v3, 4, v61
	s_add_u32 s0, s26, s0
	v_mov_b32_e32 v49, 0
	v_or_b32_e32 v4, 0x400, v2
	v_or_b32_e32 v6, 0x500, v2
	;; [unrolled: 1-line block ×3, first 2 shown]
	v_lshl_or_b32 v3, v37, 6, v3
	s_addc_u32 s1, s27, s1
	s_mov_b32 s5, s13
	v_add_u32_e32 v66, 0x1f0, v3
	v_lshl_add_u64 v[50:51], v[38:39], 2, s[0:1]
	s_mov_b64 s[12:13], 0
	v_lshlrev_b32_e32 v52, 2, v2
	v_mov_b32_e32 v53, v49
	v_lshlrev_b32_e32 v48, 2, v4
	v_lshlrev_b32_e32 v54, 2, v6
	;; [unrolled: 1-line block ×4, first 2 shown]
	v_mov_b32_e32 v46, v49
	v_mov_b32_e32 v47, v49
	v_mov_b32_e32 v44, v49
	v_mov_b32_e32 v45, v49
	v_mov_b32_e32 v42, v49
	v_mov_b32_e32 v43, v49
	v_mov_b32_e32 v40, v49
	v_mov_b32_e32 v41, v49
	s_branch .LBB41_44
.LBB41_42:                              ;   in Loop: Header=BB41_44 Depth=1
	s_or_b64 exec, exec, s[14:15]
	s_waitcnt vmcnt(0) lgkmcnt(0)
	v_mul_f32_e32 v35, v3, v35
	v_fmac_f32_e32 v35, v2, v34
	v_fmac_f32_e32 v35, v4, v36
	;; [unrolled: 1-line block ×3, first 2 shown]
	v_add_f32_e32 v41, v41, v35
.LBB41_43:                              ;   in Loop: Header=BB41_44 Depth=1
	s_or_b64 exec, exec, s[2:3]
	s_waitcnt vmcnt(6) lgkmcnt(0)
	v_mul_f32_e32 v7, v3, v7
	v_fmac_f32_e32 v7, v2, v6
	s_waitcnt vmcnt(5)
	v_mul_f32_e32 v6, v3, v11
	v_fmac_f32_e32 v6, v2, v10
	v_fmac_f32_e32 v6, v4, v12
	v_fmac_f32_e32 v6, v5, v13
	v_add_f32_e32 v47, v47, v6
	s_waitcnt vmcnt(4)
	v_mul_f32_e32 v6, v3, v15
	v_fmac_f32_e32 v6, v2, v14
	v_fmac_f32_e32 v6, v4, v16
	v_fmac_f32_e32 v6, v5, v17
	v_add_f32_e32 v44, v44, v6
	;; [unrolled: 6-line block ×4, first 2 shown]
	s_waitcnt vmcnt(1)
	v_mul_f32_e32 v6, v3, v27
	s_waitcnt vmcnt(0)
	v_mul_f32_e32 v3, v3, v31
	v_fmac_f32_e32 v6, v2, v26
	v_fmac_f32_e32 v3, v2, v30
	;; [unrolled: 1-line block ×5, first 2 shown]
	v_add_u32_e32 v38, 2, v38
	v_fmac_f32_e32 v7, v5, v9
	v_fmac_f32_e32 v6, v5, v29
	;; [unrolled: 1-line block ×3, first 2 shown]
	v_cmp_le_i32_e64 s[0:1], s33, v38
	v_add_f32_e32 v46, v46, v7
	v_add_f32_e32 v43, v43, v6
	;; [unrolled: 1-line block ×3, first 2 shown]
	v_add_u32_e32 v65, 32, v65
	v_add_u32_e32 v66, 0x80, v66
	s_or_b64 s[12:13], s[0:1], s[12:13]
	v_lshl_add_u64 v[50:51], v[50:51], 0, 8
	s_andn2_b64 exec, exec, s[12:13]
	s_cbranch_execz .LBB41_61
.LBB41_44:                              ; =>This Inner Loop Header: Depth=1
	global_load_dword v2, v[50:51], off
	v_add_u32_e32 v39, -3, v65
	s_waitcnt vmcnt(0)
	v_mad_i64_i32 v[2:3], s[0:1], v2, s5, 0
	v_lshl_add_u64 v[34:35], v[2:3], 2, s[6:7]
	v_lshl_add_u64 v[18:19], v[34:35], 0, v[52:53]
	global_load_dwordx4 v[6:9], v[18:19], off
	ds_read_b128 v[2:5], v66
	v_cmp_eq_u32_e64 s[0:1], s9, v38
	s_and_saveexec_b64 s[14:15], s[0:1]
	s_cbranch_execnz .LBB41_58
; %bb.45:                               ;   in Loop: Header=BB41_44 Depth=1
	s_or_b64 exec, exec, s[14:15]
	global_load_dwordx4 v[10:13], v[18:19], off offset:1024
	s_and_saveexec_b64 s[14:15], s[0:1]
	s_cbranch_execnz .LBB41_59
.LBB41_46:                              ;   in Loop: Header=BB41_44 Depth=1
	s_or_b64 exec, exec, s[14:15]
	global_load_dwordx4 v[14:17], v[18:19], off offset:2048
	s_and_saveexec_b64 s[14:15], s[0:1]
	s_cbranch_execnz .LBB41_60
.LBB41_47:                              ;   in Loop: Header=BB41_44 Depth=1
	s_or_b64 exec, exec, s[14:15]
	global_load_dwordx4 v[18:21], v[18:19], off offset:3072
	s_and_saveexec_b64 s[14:15], s[0:1]
	s_cbranch_execz .LBB41_49
.LBB41_48:                              ;   in Loop: Header=BB41_44 Depth=1
	v_cmp_gt_i32_e64 s[2:3], s25, v39
	v_add_u32_e32 v22, -2, v65
	s_waitcnt vmcnt(0)
	v_cndmask_b32_e64 v18, 0, v18, s[2:3]
	v_cmp_gt_i32_e64 s[2:3], s25, v22
	v_add_u32_e32 v22, -1, v65
	s_nop 0
	v_cndmask_b32_e64 v19, 0, v19, s[2:3]
	v_cmp_gt_i32_e64 s[2:3], s25, v22
	s_nop 1
	v_cndmask_b32_e64 v20, 0, v20, s[2:3]
	v_cmp_gt_i32_e64 s[2:3], s25, v65
	s_nop 1
	v_cndmask_b32_e64 v21, 0, v21, s[2:3]
.LBB41_49:                              ;   in Loop: Header=BB41_44 Depth=1
	s_or_b64 exec, exec, s[14:15]
	v_lshl_add_u64 v[22:23], v[34:35], 0, v[48:49]
	global_load_dwordx4 v[22:25], v[22:23], off
	s_and_saveexec_b64 s[14:15], s[0:1]
	s_cbranch_execz .LBB41_51
; %bb.50:                               ;   in Loop: Header=BB41_44 Depth=1
	v_cmp_gt_i32_e64 s[2:3], s25, v39
	v_add_u32_e32 v26, -2, v65
	s_waitcnt vmcnt(0)
	v_cndmask_b32_e64 v22, 0, v22, s[2:3]
	v_cmp_gt_i32_e64 s[2:3], s25, v26
	v_add_u32_e32 v26, -1, v65
	s_nop 0
	v_cndmask_b32_e64 v23, 0, v23, s[2:3]
	v_cmp_gt_i32_e64 s[2:3], s25, v26
	s_nop 1
	v_cndmask_b32_e64 v24, 0, v24, s[2:3]
	v_cmp_gt_i32_e64 s[2:3], s25, v65
	s_nop 1
	v_cndmask_b32_e64 v25, 0, v25, s[2:3]
.LBB41_51:                              ;   in Loop: Header=BB41_44 Depth=1
	s_or_b64 exec, exec, s[14:15]
	v_mov_b32_e32 v55, v49
	v_lshl_add_u64 v[26:27], v[34:35], 0, v[54:55]
	global_load_dwordx4 v[26:29], v[26:27], off
	s_and_saveexec_b64 s[14:15], s[0:1]
	s_cbranch_execz .LBB41_53
; %bb.52:                               ;   in Loop: Header=BB41_44 Depth=1
	v_cmp_gt_i32_e64 s[2:3], s25, v39
	v_add_u32_e32 v30, -2, v65
	s_waitcnt vmcnt(0)
	v_cndmask_b32_e64 v26, 0, v26, s[2:3]
	v_cmp_gt_i32_e64 s[2:3], s25, v30
	v_add_u32_e32 v30, -1, v65
	s_nop 0
	v_cndmask_b32_e64 v27, 0, v27, s[2:3]
	v_cmp_gt_i32_e64 s[2:3], s25, v30
	s_nop 1
	v_cndmask_b32_e64 v28, 0, v28, s[2:3]
	v_cmp_gt_i32_e64 s[2:3], s25, v65
	s_nop 1
	v_cndmask_b32_e64 v29, 0, v29, s[2:3]
.LBB41_53:                              ;   in Loop: Header=BB41_44 Depth=1
	s_or_b64 exec, exec, s[14:15]
	v_mov_b32_e32 v57, v49
	v_lshl_add_u64 v[30:31], v[34:35], 0, v[56:57]
	global_load_dwordx4 v[30:33], v[30:31], off
	s_and_saveexec_b64 s[14:15], s[0:1]
	s_cbranch_execz .LBB41_55
; %bb.54:                               ;   in Loop: Header=BB41_44 Depth=1
	v_cmp_gt_i32_e64 s[2:3], s25, v39
	v_add_u32_e32 v36, -2, v65
	s_waitcnt vmcnt(0)
	v_cndmask_b32_e64 v30, 0, v30, s[2:3]
	v_cmp_gt_i32_e64 s[2:3], s25, v36
	v_add_u32_e32 v36, -1, v65
	s_nop 0
	v_cndmask_b32_e64 v31, 0, v31, s[2:3]
	v_cmp_gt_i32_e64 s[2:3], s25, v36
	s_nop 1
	v_cndmask_b32_e64 v32, 0, v32, s[2:3]
	v_cmp_gt_i32_e64 s[2:3], s25, v65
	s_nop 1
	v_cndmask_b32_e64 v33, 0, v33, s[2:3]
.LBB41_55:                              ;   in Loop: Header=BB41_44 Depth=1
	s_or_b64 exec, exec, s[14:15]
	s_and_saveexec_b64 s[2:3], vcc
	s_cbranch_execz .LBB41_43
; %bb.56:                               ;   in Loop: Header=BB41_44 Depth=1
	v_mov_b32_e32 v59, v49
	v_lshl_add_u64 v[34:35], v[34:35], 0, v[58:59]
	global_load_dwordx4 v[34:37], v[34:35], off
	s_and_saveexec_b64 s[14:15], s[0:1]
	s_cbranch_execz .LBB41_42
; %bb.57:                               ;   in Loop: Header=BB41_44 Depth=1
	v_cmp_gt_i32_e64 s[0:1], s25, v39
	v_add_u32_e32 v39, -2, v65
	s_waitcnt vmcnt(0)
	v_cndmask_b32_e64 v34, 0, v34, s[0:1]
	v_cmp_gt_i32_e64 s[0:1], s25, v39
	v_add_u32_e32 v39, -1, v65
	s_nop 0
	v_cndmask_b32_e64 v35, 0, v35, s[0:1]
	v_cmp_gt_i32_e64 s[0:1], s25, v39
	s_nop 1
	v_cndmask_b32_e64 v36, 0, v36, s[0:1]
	v_cmp_gt_i32_e64 s[0:1], s25, v65
	s_nop 1
	v_cndmask_b32_e64 v37, 0, v37, s[0:1]
	s_branch .LBB41_42
.LBB41_58:                              ;   in Loop: Header=BB41_44 Depth=1
	v_cmp_gt_i32_e64 s[2:3], s25, v39
	v_add_u32_e32 v10, -2, v65
	s_waitcnt vmcnt(0)
	v_cndmask_b32_e64 v6, 0, v6, s[2:3]
	v_cmp_gt_i32_e64 s[2:3], s25, v10
	v_add_u32_e32 v10, -1, v65
	s_nop 0
	v_cndmask_b32_e64 v7, 0, v7, s[2:3]
	v_cmp_gt_i32_e64 s[2:3], s25, v10
	s_nop 1
	v_cndmask_b32_e64 v8, 0, v8, s[2:3]
	v_cmp_gt_i32_e64 s[2:3], s25, v65
	s_nop 1
	v_cndmask_b32_e64 v9, 0, v9, s[2:3]
	s_or_b64 exec, exec, s[14:15]
	global_load_dwordx4 v[10:13], v[18:19], off offset:1024
	s_and_saveexec_b64 s[14:15], s[0:1]
	s_cbranch_execz .LBB41_46
.LBB41_59:                              ;   in Loop: Header=BB41_44 Depth=1
	v_cmp_gt_i32_e64 s[2:3], s25, v39
	v_add_u32_e32 v14, -2, v65
	s_waitcnt vmcnt(0)
	v_cndmask_b32_e64 v10, 0, v10, s[2:3]
	v_cmp_gt_i32_e64 s[2:3], s25, v14
	v_add_u32_e32 v14, -1, v65
	s_nop 0
	v_cndmask_b32_e64 v11, 0, v11, s[2:3]
	v_cmp_gt_i32_e64 s[2:3], s25, v14
	s_nop 1
	v_cndmask_b32_e64 v12, 0, v12, s[2:3]
	v_cmp_gt_i32_e64 s[2:3], s25, v65
	s_nop 1
	v_cndmask_b32_e64 v13, 0, v13, s[2:3]
	s_or_b64 exec, exec, s[14:15]
	global_load_dwordx4 v[14:17], v[18:19], off offset:2048
	s_and_saveexec_b64 s[14:15], s[0:1]
	s_cbranch_execz .LBB41_47
.LBB41_60:                              ;   in Loop: Header=BB41_44 Depth=1
	v_cmp_gt_i32_e64 s[2:3], s25, v39
	v_add_u32_e32 v20, -2, v65
	s_waitcnt vmcnt(0)
	v_cndmask_b32_e64 v14, 0, v14, s[2:3]
	v_cmp_gt_i32_e64 s[2:3], s25, v20
	v_add_u32_e32 v20, -1, v65
	s_nop 0
	v_cndmask_b32_e64 v15, 0, v15, s[2:3]
	v_cmp_gt_i32_e64 s[2:3], s25, v20
	s_nop 1
	v_cndmask_b32_e64 v16, 0, v16, s[2:3]
	v_cmp_gt_i32_e64 s[2:3], s25, v65
	s_nop 1
	v_cndmask_b32_e64 v17, 0, v17, s[2:3]
	s_or_b64 exec, exec, s[14:15]
	global_load_dwordx4 v[18:21], v[18:19], off offset:3072
	s_and_saveexec_b64 s[14:15], s[0:1]
	s_cbranch_execnz .LBB41_48
	s_branch .LBB41_49
.LBB41_61:
	s_or_b64 exec, exec, s[12:13]
.LBB41_62:
	s_or_b64 exec, exec, s[10:11]
	ds_bpermute_b32 v2, v63, v46
	ds_bpermute_b32 v3, v63, v47
	;; [unrolled: 1-line block ×8, first 2 shown]
	s_waitcnt lgkmcnt(6)
	v_pk_add_f32 v[2:3], v[46:47], v[2:3]
	s_waitcnt lgkmcnt(4)
	v_pk_add_f32 v[4:5], v[44:45], v[4:5]
	ds_bpermute_b32 v6, v62, v2
	ds_bpermute_b32 v7, v62, v3
	;; [unrolled: 1-line block ×4, first 2 shown]
	s_waitcnt lgkmcnt(6)
	v_pk_add_f32 v[14:15], v[42:43], v[8:9]
	s_waitcnt lgkmcnt(4)
	v_pk_add_f32 v[12:13], v[40:41], v[12:13]
	ds_bpermute_b32 v16, v62, v14
	ds_bpermute_b32 v17, v62, v15
	;; [unrolled: 1-line block ×4, first 2 shown]
	s_waitcnt lgkmcnt(6)
	v_pk_add_f32 v[8:9], v[2:3], v[6:7]
	s_waitcnt lgkmcnt(4)
	v_pk_add_f32 v[6:7], v[4:5], v[10:11]
	v_and_b32_e32 v10, 0x3c0, v0
	s_waitcnt lgkmcnt(2)
	v_pk_add_f32 v[4:5], v[14:15], v[16:17]
	s_waitcnt lgkmcnt(0)
	v_pk_add_f32 v[2:3], v[12:13], v[18:19]
	v_cmp_eq_u32_e32 vcc, 64, v10
	s_barrier
	s_and_saveexec_b64 s[2:3], vcc
	s_cbranch_execz .LBB41_67
; %bb.63:
	v_cmp_eq_u32_e32 vcc, 0, v61
	s_and_saveexec_b64 s[0:1], vcc
	s_cbranch_execz .LBB41_65
; %bb.64:
	v_mov_b32_e32 v10, 0x1f0
	v_lshl_add_u32 v10, v64, 2, v10
	ds_write2_b32 v10, v8, v9 offset1:16
	ds_write2_b32 v10, v6, v7 offset0:32 offset1:48
	ds_write2_b32 v10, v4, v5 offset0:64 offset1:80
	ds_write_b32 v10, v2 offset:384
.LBB41_65:
	s_or_b64 exec, exec, s[0:1]
	v_or_b32_e32 v10, 0x70, v64
	s_movk_i32 s0, 0x78
	v_cmp_gt_u32_e64 s[0:1], s0, v10
	s_and_b64 s[0:1], vcc, s[0:1]
	s_and_b64 exec, exec, s[0:1]
	s_cbranch_execz .LBB41_67
; %bb.66:
	v_mov_b32_e32 v10, 0x1f0
	v_lshl_add_u32 v10, v64, 2, v10
	ds_write_b32 v10, v3 offset:448
.LBB41_67:
	s_or_b64 exec, exec, s[2:3]
	v_cmp_gt_u32_e32 vcc, 64, v0
	s_waitcnt lgkmcnt(0)
	s_barrier
	s_and_saveexec_b64 s[6:7], vcc
	s_cbranch_execz .LBB41_85
; %bb.68:
	v_cmp_eq_u32_e64 s[0:1], 0, v61
	s_and_saveexec_b64 s[2:3], s[0:1]
	s_cbranch_execz .LBB41_70
; %bb.69:
	v_mov_b32_e32 v0, 0x1f0
	v_lshl_add_u32 v0, v60, 2, v0
	ds_read_b32 v0, v0
	s_waitcnt lgkmcnt(0)
	v_add_f32_e32 v8, v8, v0
.LBB41_70:
	s_or_b64 exec, exec, s[2:3]
	v_or_b32_e32 v0, 16, v60
	s_movk_i32 s5, 0x78
	v_cmp_gt_u32_e64 s[2:3], s5, v0
	s_and_b64 s[10:11], s[0:1], s[2:3]
	s_and_saveexec_b64 s[2:3], s[10:11]
	s_cbranch_execz .LBB41_72
; %bb.71:
	v_mov_b32_e32 v0, 0x1f0
	v_lshl_add_u32 v0, v60, 2, v0
	ds_read_b32 v0, v0 offset:64
	s_waitcnt lgkmcnt(0)
	v_add_f32_e32 v9, v9, v0
.LBB41_72:
	s_or_b64 exec, exec, s[2:3]
	v_or_b32_e32 v0, 32, v60
	v_cmp_gt_u32_e64 s[2:3], s5, v0
	s_and_b64 s[10:11], s[0:1], s[2:3]
	s_and_saveexec_b64 s[2:3], s[10:11]
	s_cbranch_execz .LBB41_74
; %bb.73:
	v_mov_b32_e32 v0, 0x1f0
	v_lshl_add_u32 v0, v60, 2, v0
	ds_read_b32 v0, v0 offset:128
	s_waitcnt lgkmcnt(0)
	v_add_f32_e32 v6, v6, v0
.LBB41_74:
	s_or_b64 exec, exec, s[2:3]
	v_or_b32_e32 v0, 48, v60
	;; [unrolled: 13-line block ×6, first 2 shown]
	s_movk_i32 s2, 0x78
	v_cmp_gt_u32_e64 s[2:3], s2, v0
	s_and_b64 s[2:3], s[0:1], s[2:3]
	s_and_saveexec_b64 s[0:1], s[2:3]
	s_cbranch_execz .LBB41_84
; %bb.83:
	v_mov_b32_e32 v0, 0x1f0
	v_lshl_add_u32 v0, v60, 2, v0
	ds_read_b32 v0, v0 offset:448
	s_waitcnt lgkmcnt(0)
	v_add_f32_e32 v3, v3, v0
.LBB41_84:
	s_or_b64 exec, exec, s[0:1]
.LBB41_85:
	s_or_b64 exec, exec, s[6:7]
	s_barrier
	s_and_saveexec_b64 s[0:1], vcc
	s_cbranch_execz .LBB41_102
; %bb.86:
	s_mul_i32 s0, s8, 0x78
	s_ashr_i32 s1, s0, 31
	s_lshl_b64 s[0:1], s[0:1], 2
	s_add_u32 s2, s22, s0
	s_mul_i32 s0, s21, s20
	s_addc_u32 s3, s23, s1
	s_ashr_i32 s1, s0, 31
	s_lshl_b64 s[0:1], s[0:1], 2
	s_add_u32 s2, s2, s0
	s_mul_i32 s0, s4, 0x78
	s_addc_u32 s3, s3, s1
	s_ashr_i32 s1, s0, 31
	s_lshl_b64 s[0:1], s[0:1], 2
	s_add_u32 s2, s2, s0
	s_movk_i32 s5, 0x78
	s_addc_u32 s3, s3, s1
	v_cmp_eq_u32_e32 vcc, 0, v61
	s_and_saveexec_b64 s[0:1], vcc
	s_cbranch_execz .LBB41_88
; %bb.87:
	global_store_dword v1, v8, s[2:3]
.LBB41_88:
	s_or_b64 exec, exec, s[0:1]
	v_or_b32_e32 v0, 16, v60
	v_cmp_gt_u32_e64 s[0:1], s5, v0
	s_and_b64 s[4:5], vcc, s[0:1]
	s_and_saveexec_b64 s[0:1], s[4:5]
	s_cbranch_execz .LBB41_90
; %bb.89:
	global_store_dword v1, v9, s[2:3] offset:64
.LBB41_90:
	s_or_b64 exec, exec, s[0:1]
	v_or_b32_e32 v0, 32, v60
	s_movk_i32 s4, 0x78
	v_cmp_gt_u32_e64 s[0:1], s4, v0
	s_and_b64 s[6:7], vcc, s[0:1]
	s_and_saveexec_b64 s[0:1], s[6:7]
	s_cbranch_execz .LBB41_92
; %bb.91:
	global_store_dword v1, v6, s[2:3] offset:128
.LBB41_92:
	s_or_b64 exec, exec, s[0:1]
	v_or_b32_e32 v0, 48, v60
	v_cmp_gt_u32_e64 s[0:1], s4, v0
	s_and_b64 s[4:5], vcc, s[0:1]
	s_and_saveexec_b64 s[0:1], s[4:5]
	s_cbranch_execz .LBB41_94
; %bb.93:
	global_store_dword v1, v7, s[2:3] offset:192
.LBB41_94:
	s_or_b64 exec, exec, s[0:1]
	v_or_b32_e32 v0, 64, v60
	s_movk_i32 s4, 0x78
	v_cmp_gt_u32_e64 s[0:1], s4, v0
	s_and_b64 s[6:7], vcc, s[0:1]
	s_and_saveexec_b64 s[0:1], s[6:7]
	s_cbranch_execz .LBB41_96
; %bb.95:
	global_store_dword v1, v4, s[2:3] offset:256
.LBB41_96:
	;; [unrolled: 19-line block ×3, first 2 shown]
	s_or_b64 exec, exec, s[0:1]
	v_or_b32_e32 v0, 0x70, v60
	v_cmp_gt_u32_e64 s[0:1], s4, v0
	s_and_b64 s[0:1], vcc, s[0:1]
	s_and_b64 exec, exec, s[0:1]
	s_cbranch_execz .LBB41_102
; %bb.101:
	global_store_dword v1, v3, s[2:3] offset:448
.LBB41_102:
	s_endpgm
	.section	.rodata,"a",@progbits
	.p2align	6, 0x0
	.amdhsa_kernel _ZN4vllm25paged_attention_v2_kernelIffLi120ELi16ELi128ELNS_18Fp8KVCacheDataTypeE0ELb0ELi512EEEvPfS2_PT_PKS3_PKT0_S9_ifPKiSB_iPKfiiiSD_SD_iiiii
		.amdhsa_group_segment_fixed_size 496
		.amdhsa_private_segment_fixed_size 0
		.amdhsa_kernarg_size 400
		.amdhsa_user_sgpr_count 2
		.amdhsa_user_sgpr_dispatch_ptr 0
		.amdhsa_user_sgpr_queue_ptr 0
		.amdhsa_user_sgpr_kernarg_segment_ptr 1
		.amdhsa_user_sgpr_dispatch_id 0
		.amdhsa_user_sgpr_kernarg_preload_length 0
		.amdhsa_user_sgpr_kernarg_preload_offset 0
		.amdhsa_user_sgpr_private_segment_size 0
		.amdhsa_uses_dynamic_stack 0
		.amdhsa_enable_private_segment 0
		.amdhsa_system_sgpr_workgroup_id_x 1
		.amdhsa_system_sgpr_workgroup_id_y 1
		.amdhsa_system_sgpr_workgroup_id_z 1
		.amdhsa_system_sgpr_workgroup_info 0
		.amdhsa_system_vgpr_workitem_id 0
		.amdhsa_next_free_vgpr 81
		.amdhsa_next_free_sgpr 43
		.amdhsa_accum_offset 84
		.amdhsa_reserve_vcc 1
		.amdhsa_float_round_mode_32 0
		.amdhsa_float_round_mode_16_64 0
		.amdhsa_float_denorm_mode_32 3
		.amdhsa_float_denorm_mode_16_64 3
		.amdhsa_dx10_clamp 1
		.amdhsa_ieee_mode 1
		.amdhsa_fp16_overflow 0
		.amdhsa_tg_split 0
		.amdhsa_exception_fp_ieee_invalid_op 0
		.amdhsa_exception_fp_denorm_src 0
		.amdhsa_exception_fp_ieee_div_zero 0
		.amdhsa_exception_fp_ieee_overflow 0
		.amdhsa_exception_fp_ieee_underflow 0
		.amdhsa_exception_fp_ieee_inexact 0
		.amdhsa_exception_int_div_zero 0
	.end_amdhsa_kernel
	.section	.text._ZN4vllm25paged_attention_v2_kernelIffLi120ELi16ELi128ELNS_18Fp8KVCacheDataTypeE0ELb0ELi512EEEvPfS2_PT_PKS3_PKT0_S9_ifPKiSB_iPKfiiiSD_SD_iiiii,"axG",@progbits,_ZN4vllm25paged_attention_v2_kernelIffLi120ELi16ELi128ELNS_18Fp8KVCacheDataTypeE0ELb0ELi512EEEvPfS2_PT_PKS3_PKT0_S9_ifPKiSB_iPKfiiiSD_SD_iiiii,comdat
.Lfunc_end41:
	.size	_ZN4vllm25paged_attention_v2_kernelIffLi120ELi16ELi128ELNS_18Fp8KVCacheDataTypeE0ELb0ELi512EEEvPfS2_PT_PKS3_PKT0_S9_ifPKiSB_iPKfiiiSD_SD_iiiii, .Lfunc_end41-_ZN4vllm25paged_attention_v2_kernelIffLi120ELi16ELi128ELNS_18Fp8KVCacheDataTypeE0ELb0ELi512EEEvPfS2_PT_PKS3_PKT0_S9_ifPKiSB_iPKfiiiSD_SD_iiiii
                                        ; -- End function
	.section	.AMDGPU.csdata,"",@progbits
; Kernel info:
; codeLenInByte = 5920
; NumSgprs: 49
; NumVgprs: 81
; NumAgprs: 0
; TotalNumVgprs: 81
; ScratchSize: 0
; MemoryBound: 0
; FloatMode: 240
; IeeeMode: 1
; LDSByteSize: 496 bytes/workgroup (compile time only)
; SGPRBlocks: 6
; VGPRBlocks: 10
; NumSGPRsForWavesPerEU: 49
; NumVGPRsForWavesPerEU: 81
; AccumOffset: 84
; Occupancy: 5
; WaveLimiterHint : 1
; COMPUTE_PGM_RSRC2:SCRATCH_EN: 0
; COMPUTE_PGM_RSRC2:USER_SGPR: 2
; COMPUTE_PGM_RSRC2:TRAP_HANDLER: 0
; COMPUTE_PGM_RSRC2:TGID_X_EN: 1
; COMPUTE_PGM_RSRC2:TGID_Y_EN: 1
; COMPUTE_PGM_RSRC2:TGID_Z_EN: 1
; COMPUTE_PGM_RSRC2:TIDIG_COMP_CNT: 0
; COMPUTE_PGM_RSRC3_GFX90A:ACCUM_OFFSET: 20
; COMPUTE_PGM_RSRC3_GFX90A:TG_SPLIT: 0
	.section	.text._ZN4vllm25paged_attention_v2_kernelIffLi128ELi16ELi128ELNS_18Fp8KVCacheDataTypeE0ELb0ELi512EEEvPfS2_PT_PKS3_PKT0_S9_ifPKiSB_iPKfiiiSD_SD_iiiii,"axG",@progbits,_ZN4vllm25paged_attention_v2_kernelIffLi128ELi16ELi128ELNS_18Fp8KVCacheDataTypeE0ELb0ELi512EEEvPfS2_PT_PKS3_PKT0_S9_ifPKiSB_iPKfiiiSD_SD_iiiii,comdat
	.protected	_ZN4vllm25paged_attention_v2_kernelIffLi128ELi16ELi128ELNS_18Fp8KVCacheDataTypeE0ELb0ELi512EEEvPfS2_PT_PKS3_PKT0_S9_ifPKiSB_iPKfiiiSD_SD_iiiii ; -- Begin function _ZN4vllm25paged_attention_v2_kernelIffLi128ELi16ELi128ELNS_18Fp8KVCacheDataTypeE0ELb0ELi512EEEvPfS2_PT_PKS3_PKT0_S9_ifPKiSB_iPKfiiiSD_SD_iiiii
	.globl	_ZN4vllm25paged_attention_v2_kernelIffLi128ELi16ELi128ELNS_18Fp8KVCacheDataTypeE0ELb0ELi512EEEvPfS2_PT_PKS3_PKT0_S9_ifPKiSB_iPKfiiiSD_SD_iiiii
	.p2align	8
	.type	_ZN4vllm25paged_attention_v2_kernelIffLi128ELi16ELi128ELNS_18Fp8KVCacheDataTypeE0ELb0ELi512EEEvPfS2_PT_PKS3_PKT0_S9_ifPKiSB_iPKfiiiSD_SD_iiiii,@function
_ZN4vllm25paged_attention_v2_kernelIffLi128ELi16ELi128ELNS_18Fp8KVCacheDataTypeE0ELb0ELi512EEEvPfS2_PT_PKS3_PKT0_S9_ifPKiSB_iPKfiiiSD_SD_iiiii: ; @_ZN4vllm25paged_attention_v2_kernelIffLi128ELi16ELi128ELNS_18Fp8KVCacheDataTypeE0ELb0ELi512EEEvPfS2_PT_PKS3_PKT0_S9_ifPKiSB_iPKfiiiSD_SD_iiiii
; %bb.0:
	s_load_dwordx2 s[6:7], s[0:1], 0x40
	s_mov_b32 s24, s3
	s_ashr_i32 s25, s3, 31
	s_lshl_b64 s[8:9], s[24:25], 2
	s_waitcnt lgkmcnt(0)
	s_add_u32 s6, s6, s8
	s_addc_u32 s7, s7, s9
	s_load_dword s25, s[6:7], 0x0
	s_lshl_b32 s40, s4, 9
	s_waitcnt lgkmcnt(0)
	s_cmp_ge_i32 s40, s25
	s_cbranch_scc1 .LBB42_75
; %bb.1:
	s_load_dword s5, s[0:1], 0x90
	s_load_dwordx2 s[10:11], s[0:1], 0x30
	s_waitcnt lgkmcnt(0)
	s_abs_i32 s7, s5
	s_abs_i32 s3, s10
	v_cvt_f32_u32_e32 v1, s3
	s_sub_i32 s8, 0, s3
	s_xor_b32 s6, s5, s10
	s_ashr_i32 s6, s6, 31
	v_rcp_iflag_f32_e32 v1, v1
	s_nop 0
	v_mul_f32_e32 v1, 0x4f7ffffe, v1
	v_cvt_u32_f32_e32 v1, v1
	s_nop 0
	v_readfirstlane_b32 s9, v1
	s_mul_i32 s8, s8, s9
	s_mul_hi_u32 s8, s9, s8
	s_add_i32 s9, s9, s8
	s_mul_hi_u32 s8, s7, s9
	s_mul_i32 s9, s8, s3
	s_sub_i32 s7, s7, s9
	s_add_i32 s10, s8, 1
	s_sub_i32 s9, s7, s3
	s_cmp_ge_u32 s7, s3
	s_cselect_b32 s8, s10, s8
	s_cselect_b32 s7, s9, s7
	s_add_i32 s9, s8, 1
	s_cmp_ge_u32 s7, s3
	s_cselect_b32 s3, s9, s8
	s_xor_b32 s3, s3, s6
	s_sub_i32 s12, s3, s6
	s_abs_i32 s8, s12
	v_cvt_f32_u32_e32 v1, s8
	s_load_dwordx2 s[6:7], s[0:1], 0x50
	s_sub_i32 s3, 0, s8
	s_abs_i32 s9, s2
	v_rcp_iflag_f32_e32 v1, v1
	s_mov_b32 s10, 0
	v_mul_f32_e32 v1, 0x4f7ffffe, v1
	v_cvt_u32_f32_e32 v1, v1
	s_nop 0
	v_readfirstlane_b32 s13, v1
	s_mul_i32 s3, s3, s13
	s_mul_hi_u32 s3, s13, s3
	s_add_i32 s13, s13, s3
	s_waitcnt lgkmcnt(0)
	s_cmp_eq_u64 s[6:7], 0
	s_mul_hi_u32 s16, s9, s13
	s_cbranch_scc1 .LBB42_3
; %bb.2:
	s_ashr_i32 s3, s2, 31
	s_lshl_b64 s[14:15], s[2:3], 2
	s_add_u32 s6, s6, s14
	s_addc_u32 s7, s7, s15
	s_load_dword s10, s[6:7], 0x0
.LBB42_3:
	s_ashr_i32 s18, s12, 31
	s_load_dwordx4 s[12:15], s[0:1], 0x58
	v_lshrrev_b32_e32 v60, 2, v0
	s_movk_i32 s3, 0x80
	s_ashr_i32 s17, s2, 31
	v_and_b32_e32 v61, 3, v0
	s_lshl_b32 s20, s2, 7
	v_cmp_gt_u32_e32 vcc, s3, v0
	v_lshlrev_b32_e32 v48, 2, v0
	v_lshlrev_b32_e32 v1, 2, v60
	s_and_saveexec_b64 s[6:7], vcc
	s_cbranch_execz .LBB42_5
; %bb.4:
	s_load_dwordx2 s[22:23], s[0:1], 0x18
	s_waitcnt lgkmcnt(0)
	s_mul_i32 s26, s24, s12
	s_ashr_i32 s27, s26, 31
	s_lshl_b64 s[26:27], s[26:27], 2
	v_lshl_add_u32 v3, v61, 7, v1
	s_add_u32 s3, s22, s26
	s_addc_u32 s12, s23, s27
	s_ashr_i32 s21, s20, 31
	s_lshl_b64 s[22:23], s[20:21], 2
	s_add_u32 s22, s3, s22
	s_addc_u32 s23, s12, s23
	global_load_dword v2, v48, s[22:23]
	s_waitcnt vmcnt(0)
	ds_write_b32 v3, v2
.LBB42_5:
	s_or_b64 exec, exec, s[6:7]
	s_add_i32 s3, s25, 15
	s_ashr_i32 s6, s3, 31
	s_lshr_b32 s6, s6, 28
	s_add_i32 s3, s3, s6
	s_waitcnt lgkmcnt(0)
	s_ashr_i32 s12, s3, 4
	s_lshl_b32 s3, s4, 5
	s_mul_i32 s7, s16, s8
	s_add_i32 s6, s3, 32
	s_sub_i32 s7, s9, s7
	s_min_i32 s33, s6, s12
	s_xor_b32 s6, s17, s18
	s_add_i32 s9, s16, 1
	s_sub_i32 s15, s7, s8
	s_cmp_ge_u32 s7, s8
	s_cselect_b32 s9, s9, s16
	s_cselect_b32 s7, s15, s7
	s_add_i32 s15, s9, 1
	s_cmp_ge_u32 s7, s8
	s_load_dwordx2 s[26:27], s[0:1], 0x38
	s_load_dword s8, s[0:1], 0x48
	v_lshrrev_b32_e32 v50, 6, v0
	s_cselect_b32 s7, s15, s9
	s_xor_b32 s7, s7, s6
	v_or_b32_e32 v38, s3, v50
	s_waitcnt lgkmcnt(0)
	s_mul_i32 s28, s24, s8
	s_sub_i32 s15, s7, s6
	s_ashr_i32 s29, s28, 31
	v_cmp_gt_i32_e64 s[6:7], s33, v38
	v_cmp_le_i32_e32 vcc, s33, v38
	v_mbcnt_lo_u32_b32 v36, -1, 0
	s_barrier
	s_waitcnt lgkmcnt(0)
                                        ; implicit-def: $sgpr36
                                        ; implicit-def: $vgpr40
                                        ; implicit-def: $vgpr41
	s_and_saveexec_b64 s[8:9], vcc
	s_xor_b64 s[8:9], exec, s[8:9]
; %bb.6:
	v_mbcnt_hi_u32_b32 v40, -1, v36
	v_and_b32_e32 v2, 64, v40
	v_add_u32_e32 v41, 64, v2
	s_mov_b32 s36, 0xff7fffff
                                        ; implicit-def: $vgpr36
; %bb.7:
	s_or_saveexec_b64 s[34:35], s[8:9]
	s_load_dwordx4 s[16:19], s[0:1], 0x0
	s_load_dwordx2 s[22:23], s[0:1], 0x10
	s_load_dwordx2 s[30:31], s[0:1], 0x28
	s_load_dword s21, s[0:1], 0x98
	v_mov_b32_e32 v42, s36
	s_mul_i32 s14, s15, s14
	v_ashrrev_i32_e32 v39, 31, v38
	s_xor_b64 exec, exec, s[34:35]
	s_cbranch_execz .LBB42_13
; %bb.8:
	s_load_dwordx2 s[0:1], s[0:1], 0x20
	s_ashr_i32 s15, s14, 31
	s_lshl_b64 s[8:9], s[14:15], 2
	v_bfe_u32 v37, v0, 2, 4
	v_lshlrev_b32_e32 v2, 4, v37
	s_waitcnt lgkmcnt(0)
	s_add_u32 s0, s0, s8
	s_addc_u32 s1, s1, s9
	v_mov_b32_e32 v3, 0
	v_lshl_add_u64 v[4:5], s[0:1], 0, v[2:3]
	v_lshlrev_b32_e32 v2, 2, v61
	v_lshlrev_b32_e32 v30, 7, v61
	v_lshl_add_u64 v[34:35], v[4:5], 0, v[2:3]
	ds_read_b128 v[2:5], v30
	ds_read_b128 v[6:9], v30 offset:16
	ds_read_b128 v[10:13], v30 offset:32
	;; [unrolled: 1-line block ×7, first 2 shown]
	v_mbcnt_hi_u32_b32 v40, -1, v36
	v_and_b32_e32 v36, 64, v40
	v_add_u32_e32 v41, 64, v36
	v_xor_b32_e32 v36, 2, v40
	v_cmp_lt_i32_e32 vcc, v36, v41
	s_sub_i32 s15, 1, s25
	s_lshl_b64 s[8:9], s[28:29], 2
	v_cndmask_b32_e32 v36, v40, v36, vcc
	v_lshlrev_b32_e32 v43, 2, v36
	v_xor_b32_e32 v36, 1, v40
	v_cmp_lt_i32_e32 vcc, v36, v41
	v_lshlrev_b32_e32 v42, 2, v37
	s_add_u32 s8, s26, s8
	v_cndmask_b32_e32 v36, v40, v36, vcc
	v_lshlrev_b32_e32 v44, 2, v36
	v_lshlrev_b32_e32 v36, 4, v50
	v_add3_u32 v45, s40, v36, v37
	v_lshl_or_b32 v36, v50, 6, v42
	s_addc_u32 s9, s27, s9
	s_mov_b32 s41, s13
	v_cmp_eq_u32_e32 vcc, 0, v61
	v_cmp_neq_f32_e64 s[0:1], s10, 0
	v_add_u32_e32 v46, 0x210, v36
	v_lshl_add_u64 v[36:37], v[38:39], 2, s[8:9]
	s_mov_b64 s[36:37], 0
	v_mov_b32_e32 v42, 0xff7fffff
	s_movk_i32 s42, 0x1000
	v_mov_b32_e32 v47, v38
	s_branch .LBB42_10
.LBB42_9:                               ;   in Loop: Header=BB42_10 Depth=1
	s_or_b64 exec, exec, s[38:39]
	v_add_u32_e32 v47, 2, v47
	v_cmp_le_i32_e64 s[8:9], s33, v47
	v_add_u32_e32 v45, 32, v45
	v_add_u32_e32 v46, 0x80, v46
	s_or_b64 s[36:37], s[8:9], s[36:37]
	v_lshl_add_u64 v[36:37], v[36:37], 0, 8
	s_andn2_b64 exec, exec, s[36:37]
	s_cbranch_execz .LBB42_12
.LBB42_10:                              ; =>This Inner Loop Header: Depth=1
	global_load_dword v49, v[36:37], off
	s_waitcnt vmcnt(0)
	v_mad_i64_i32 v[52:53], s[8:9], v49, s41, 0
	v_lshl_add_u64 v[52:53], v[52:53], 2, v[34:35]
	global_load_dword v49, v[52:53], off
	s_waitcnt lgkmcnt(0)
	global_load_dword v51, v[52:53], off offset:256
	global_load_dword v54, v[52:53], off offset:512
	;; [unrolled: 1-line block ×15, first 2 shown]
	v_add_co_u32_e64 v52, s[8:9], s42, v52
	s_waitcnt vmcnt(14) lgkmcnt(7)
	v_mul_f32_e32 v51, v3, v51
	v_addc_co_u32_e64 v53, s[8:9], 0, v53, s[8:9]
	global_load_dword v70, v[52:53], off
	global_load_dword v71, v[52:53], off offset:256
	global_load_dword v72, v[52:53], off offset:512
	;; [unrolled: 1-line block ×14, first 2 shown]
	s_nop 0
	global_load_dword v52, v[52:53], off offset:3840
	v_fmac_f32_e32 v51, v2, v49
	s_waitcnt vmcnt(29)
	v_fmac_f32_e32 v51, v4, v54
	s_waitcnt vmcnt(28)
	v_fmac_f32_e32 v51, v5, v55
	s_waitcnt vmcnt(27) lgkmcnt(6)
	v_fmac_f32_e32 v51, v6, v56
	s_waitcnt vmcnt(26)
	v_fmac_f32_e32 v51, v7, v57
	s_waitcnt vmcnt(25)
	v_fmac_f32_e32 v51, v8, v58
	s_waitcnt vmcnt(24)
	v_fmac_f32_e32 v51, v9, v59
	s_waitcnt vmcnt(23) lgkmcnt(5)
	v_fmac_f32_e32 v51, v10, v62
	s_waitcnt vmcnt(22)
	;; [unrolled: 8-line block ×7, first 2 shown]
	v_fmac_f32_e32 v51, v31, v83
	s_waitcnt vmcnt(1)
	v_fmac_f32_e32 v51, v32, v84
	s_waitcnt vmcnt(0)
	v_fmac_f32_e32 v51, v33, v52
	ds_bpermute_b32 v49, v43, v51
	s_waitcnt lgkmcnt(0)
	v_add_f32_e32 v49, v51, v49
	ds_bpermute_b32 v51, v44, v49
	s_and_saveexec_b64 s[38:39], vcc
	s_cbranch_execz .LBB42_9
; %bb.11:                               ;   in Loop: Header=BB42_10 Depth=1
	v_add_u32_e32 v52, s15, v45
	v_cvt_f32_i32_e32 v52, v52
	s_waitcnt lgkmcnt(0)
	v_add_f32_e32 v49, v49, v51
	v_cmp_gt_i32_e64 s[8:9], s25, v45
	v_max_f32_e32 v51, v42, v42
	v_mul_f32_e32 v52, s10, v52
	v_cndmask_b32_e64 v52, 0, v52, s[0:1]
	v_fmac_f32_e32 v52, s11, v49
	v_cndmask_b32_e64 v49, 0, v52, s[8:9]
	ds_write_b32 v46, v49
	v_max_f32_e32 v49, v51, v52
	v_cndmask_b32_e64 v42, v42, v49, s[8:9]
	s_branch .LBB42_9
.LBB42_12:
	s_or_b64 exec, exec, s[36:37]
.LBB42_13:
	s_or_b64 exec, exec, s[34:35]
	v_xor_b32_e32 v2, 32, v40
	v_cmp_lt_i32_e32 vcc, v2, v41
	v_xor_b32_e32 v5, 16, v40
	v_max_f32_e32 v4, v42, v42
	v_cndmask_b32_e32 v2, v40, v2, vcc
	v_lshlrev_b32_e32 v2, 2, v2
	ds_bpermute_b32 v3, v2, v42
	v_cmp_lt_i32_e32 vcc, v5, v41
	v_xor_b32_e32 v6, 8, v40
	v_and_b32_e32 v62, 63, v0
	s_waitcnt lgkmcnt(0)
	v_max_f32_e32 v3, v3, v3
	v_max_f32_e32 v4, v4, v3
	v_cndmask_b32_e32 v3, v40, v5, vcc
	v_lshlrev_b32_e32 v3, 2, v3
	ds_bpermute_b32 v5, v3, v4
	v_cmp_lt_i32_e32 vcc, v6, v41
	s_waitcnt lgkmcnt(0)
	v_max_f32_e32 v5, v5, v5
	v_max_f32_e32 v4, v4, v5
	v_cndmask_b32_e32 v5, v40, v6, vcc
	v_lshlrev_b32_e32 v7, 2, v5
	ds_bpermute_b32 v5, v7, v4
	v_xor_b32_e32 v6, 4, v40
	v_cmp_lt_i32_e32 vcc, v6, v41
	s_waitcnt lgkmcnt(0)
	v_max_f32_e32 v5, v5, v5
	v_max_f32_e32 v4, v4, v5
	v_cndmask_b32_e32 v5, v40, v6, vcc
	v_lshlrev_b32_e32 v8, 2, v5
	ds_bpermute_b32 v6, v8, v4
	v_cmp_eq_u32_e32 vcc, 0, v62
	v_lshlrev_b32_e32 v5, 2, v50
	s_and_saveexec_b64 s[0:1], vcc
	s_cbranch_execz .LBB42_15
; %bb.14:
	s_waitcnt lgkmcnt(0)
	v_max_f32_e32 v6, v6, v6
	v_max_f32_e32 v4, v4, v4
	;; [unrolled: 1-line block ×3, first 2 shown]
	ds_write_b32 v5, v4 offset:512
.LBB42_15:
	s_or_b64 exec, exec, s[0:1]
	v_cmp_gt_u32_e64 s[0:1], 2, v62
	v_mov_b32_e32 v4, 0xff7fffff
	s_waitcnt lgkmcnt(0)
	v_lshlrev_b32_e32 v6, 2, v62
	s_barrier
	s_and_saveexec_b64 s[8:9], s[0:1]
	s_cbranch_execz .LBB42_17
; %bb.16:
	ds_read_b32 v4, v6 offset:512
.LBB42_17:
	s_or_b64 exec, exec, s[8:9]
	v_xor_b32_e32 v9, 1, v40
	v_cmp_lt_i32_e64 s[8:9], v9, v41
	s_sub_i32 s3, s33, s3
	s_lshl_b32 s3, s3, 4
	v_cndmask_b32_e64 v9, v40, v9, s[8:9]
	v_lshlrev_b32_e32 v63, 2, v9
	s_waitcnt lgkmcnt(0)
	ds_bpermute_b32 v9, v63, v4
	v_max_f32_e32 v4, v4, v4
	s_add_i32 s3, s3, s40
	s_min_i32 s15, s3, s25
	s_sub_i32 s3, s15, s40
	s_waitcnt lgkmcnt(0)
	v_max_f32_e32 v9, v9, v9
	v_max_f32_e32 v4, v4, v9
	v_lshlrev_b32_e32 v9, 2, v40
	v_and_b32_e32 v9, 0xffffff00, v9
	ds_bpermute_b32 v4, v9, v4
	v_cmp_gt_i32_e64 s[8:9], s3, v0
	v_mov_b32_e32 v10, 0
	s_and_saveexec_b64 s[34:35], s[8:9]
	s_cbranch_execz .LBB42_21
; %bb.18:
	v_mov_b32_e32 v10, 0x210
	v_lshl_add_u32 v11, v0, 2, v10
	s_mov_b64 s[36:37], 0
	v_mov_b32_e32 v10, 0
	v_mov_b32_e32 v12, v0
.LBB42_19:                              ; =>This Inner Loop Header: Depth=1
	ds_read_b32 v13, v11
	v_add_u32_e32 v12, 0x80, v12
	v_cmp_le_i32_e64 s[10:11], s3, v12
	s_or_b64 s[36:37], s[10:11], s[36:37]
	s_waitcnt lgkmcnt(0)
	v_sub_f32_e32 v13, v13, v4
	v_mul_f32_e32 v13, 0x3fb8aa3b, v13
	v_exp_f32_e32 v13, v13
	ds_write_b32 v11, v13
	v_add_f32_e32 v10, v10, v13
	v_add_u32_e32 v11, 0x200, v11
	s_andn2_b64 exec, exec, s[36:37]
	s_cbranch_execnz .LBB42_19
; %bb.20:
	s_or_b64 exec, exec, s[36:37]
.LBB42_21:
	s_or_b64 exec, exec, s[34:35]
	ds_bpermute_b32 v2, v2, v10
	s_waitcnt lgkmcnt(0)
	v_add_f32_e32 v2, v10, v2
	ds_bpermute_b32 v3, v3, v2
	s_waitcnt lgkmcnt(0)
	v_add_f32_e32 v2, v2, v3
	ds_bpermute_b32 v3, v7, v2
	v_xor_b32_e32 v7, 2, v40
	v_cmp_lt_i32_e64 s[10:11], v7, v41
	s_waitcnt lgkmcnt(0)
	v_add_f32_e32 v2, v2, v3
	ds_bpermute_b32 v3, v8, v2
	v_cndmask_b32_e64 v7, v40, v7, s[10:11]
	v_lshlrev_b32_e32 v64, 2, v7
	s_waitcnt lgkmcnt(0)
	v_add_f32_e32 v2, v2, v3
	ds_bpermute_b32 v3, v64, v2
	s_waitcnt lgkmcnt(0)
	v_add_f32_e32 v2, v2, v3
	ds_bpermute_b32 v3, v63, v2
	s_waitcnt lgkmcnt(0)
	v_add_f32_e32 v2, v2, v3
	s_and_saveexec_b64 s[10:11], vcc
	s_cbranch_execz .LBB42_23
; %bb.22:
	ds_write_b32 v5, v2 offset:520
.LBB42_23:
	s_or_b64 exec, exec, s[10:11]
	s_waitcnt lgkmcnt(0)
	s_barrier
	s_and_saveexec_b64 s[10:11], s[0:1]
	s_cbranch_execz .LBB42_25
; %bb.24:
	ds_read_b32 v2, v6 offset:520
.LBB42_25:
	s_or_b64 exec, exec, s[10:11]
	s_waitcnt lgkmcnt(0)
	ds_bpermute_b32 v3, v63, v2
	s_waitcnt lgkmcnt(0)
	v_add_f32_e32 v2, v2, v3
	ds_bpermute_b32 v5, v9, v2
	s_and_saveexec_b64 s[0:1], s[8:9]
	s_cbranch_execz .LBB42_38
; %bb.26:
	s_waitcnt lgkmcnt(0)
	v_add_f32_e32 v2, 0x358637bd, v5
	v_div_scale_f32 v3, s[8:9], v2, v2, 1.0
	v_rcp_f32_e32 v6, v3
	v_div_scale_f32 v7, vcc, 1.0, v2, 1.0
	s_movk_i32 s8, 0x7f
	v_fma_f32 v8, -v3, v6, 1.0
	v_fmac_f32_e32 v6, v8, v6
	v_mul_f32_e32 v8, v7, v6
	v_fma_f32 v9, -v3, v8, v7
	v_fmac_f32_e32 v8, v9, v6
	v_fma_f32 v3, -v3, v8, v7
	v_div_fmas_f32 v3, v3, v6, v8
	v_div_fixup_f32 v2, v3, v2, 1.0
	v_xad_u32 v3, v0, -1, s15
	v_subrev_u32_e32 v6, s40, v3
	v_cmp_lt_u32_e32 vcc, s8, v6
	s_mov_b64 s[10:11], -1
	v_mov_b32_e32 v3, v0
	s_and_saveexec_b64 s[8:9], vcc
	s_cbranch_execz .LBB42_35
; %bb.27:
	v_lshrrev_b32_e32 v6, 7, v6
	v_add_u32_e32 v8, -1, v6
	v_lshrrev_b32_e32 v7, 1, v8
	v_mov_b32_e32 v3, v2
	v_add_u32_e32 v7, 1, v7
	v_cmp_lt_u32_e32 vcc, 13, v8
	v_mov_b32_e32 v10, 0
	s_and_saveexec_b64 s[10:11], vcc
	s_cbranch_execz .LBB42_31
; %bb.28:
	v_mov_b32_e32 v9, 0x210
	v_and_b32_e32 v8, -8, v7
	v_lshl_add_u32 v9, v0, 2, v9
	s_mov_b32 s15, 0
	s_mov_b64 s[34:35], 0
.LBB42_29:                              ; =>This Inner Loop Header: Depth=1
	ds_read2st64_b32 v[10:11], v9 offset1:2
	ds_read2st64_b32 v[12:13], v9 offset0:4 offset1:6
	ds_read2st64_b32 v[14:15], v9 offset0:8 offset1:10
	;; [unrolled: 1-line block ×3, first 2 shown]
	v_add_u32_e32 v8, -8, v8
	s_waitcnt lgkmcnt(3)
	v_pk_mul_f32 v[10:11], v[2:3], v[10:11]
	s_waitcnt lgkmcnt(2)
	v_pk_mul_f32 v[12:13], v[2:3], v[12:13]
	ds_write2st64_b32 v9, v10, v11 offset1:2
	ds_write2st64_b32 v9, v12, v13 offset0:4 offset1:6
	ds_read2st64_b32 v[12:13], v9 offset0:16 offset1:18
	s_waitcnt lgkmcnt(4)
	v_pk_mul_f32 v[10:11], v[2:3], v[14:15]
	ds_write2st64_b32 v9, v10, v11 offset0:8 offset1:10
	s_waitcnt lgkmcnt(4)
	v_pk_mul_f32 v[10:11], v[2:3], v[16:17]
	ds_write2st64_b32 v9, v10, v11 offset0:12 offset1:14
	ds_read2st64_b32 v[10:11], v9 offset0:20 offset1:22
	s_waitcnt lgkmcnt(3)
	v_pk_mul_f32 v[12:13], v[2:3], v[12:13]
	ds_read2st64_b32 v[14:15], v9 offset0:24 offset1:26
	ds_write2st64_b32 v9, v12, v13 offset0:16 offset1:18
	ds_read2st64_b32 v[12:13], v9 offset0:28 offset1:30
	s_waitcnt lgkmcnt(3)
	v_pk_mul_f32 v[10:11], v[2:3], v[10:11]
	ds_write2st64_b32 v9, v10, v11 offset0:20 offset1:22
	s_waitcnt lgkmcnt(3)
	v_pk_mul_f32 v[10:11], v[2:3], v[14:15]
	ds_write2st64_b32 v9, v10, v11 offset0:24 offset1:26
	s_waitcnt lgkmcnt(2)
	v_pk_mul_f32 v[10:11], v[2:3], v[12:13]
	s_add_i32 s15, s15, 16
	v_cmp_eq_u32_e32 vcc, 0, v8
	ds_write2st64_b32 v9, v10, v11 offset0:28 offset1:30
	v_add_u32_e32 v9, 0x2000, v9
	s_or_b64 s[34:35], vcc, s[34:35]
	v_mov_b32_e32 v10, s15
	s_andn2_b64 exec, exec, s[34:35]
	s_cbranch_execnz .LBB42_29
; %bb.30:
	s_or_b64 exec, exec, s[34:35]
.LBB42_31:
	s_or_b64 exec, exec, s[10:11]
	v_and_b32_e32 v7, 7, v7
	v_cmp_ne_u32_e32 vcc, 0, v7
	s_and_saveexec_b64 s[10:11], vcc
	s_cbranch_execz .LBB42_34
; %bb.32:
	v_lshlrev_b32_e32 v8, 9, v10
	s_movk_i32 s15, 0x210
	v_add3_u32 v8, v8, v48, s15
	s_mov_b64 s[34:35], 0
.LBB42_33:                              ; =>This Inner Loop Header: Depth=1
	ds_read2st64_b32 v[10:11], v8 offset1:2
	v_add_u32_e32 v7, -1, v7
	v_cmp_eq_u32_e32 vcc, 0, v7
	s_or_b64 s[34:35], vcc, s[34:35]
	s_waitcnt lgkmcnt(0)
	v_pk_mul_f32 v[10:11], v[2:3], v[10:11]
	ds_write2st64_b32 v8, v10, v11 offset1:2
	v_add_u32_e32 v8, 0x400, v8
	s_andn2_b64 exec, exec, s[34:35]
	s_cbranch_execnz .LBB42_33
.LBB42_34:
	s_or_b64 exec, exec, s[10:11]
	v_add_u32_e32 v6, 1, v6
	v_and_b32_e32 v7, 0x3fffffe, v6
	v_cmp_ne_u32_e32 vcc, v6, v7
	v_lshl_add_u32 v3, v7, 7, v0
	s_orn2_b64 s[10:11], vcc, exec
.LBB42_35:
	s_or_b64 exec, exec, s[8:9]
	s_and_b64 exec, exec, s[10:11]
	s_cbranch_execz .LBB42_38
; %bb.36:
	v_mov_b32_e32 v6, 0x210
	v_lshl_add_u32 v6, v3, 2, v6
	s_mov_b64 s[8:9], 0
.LBB42_37:                              ; =>This Inner Loop Header: Depth=1
	ds_read_b32 v7, v6
	v_add_u32_e32 v3, 0x80, v3
	v_cmp_le_i32_e32 vcc, s3, v3
	s_or_b64 s[8:9], vcc, s[8:9]
	s_waitcnt lgkmcnt(0)
	v_mul_f32_e32 v7, v2, v7
	ds_write_b32 v6, v7
	v_add_u32_e32 v6, 0x200, v6
	s_andn2_b64 exec, exec, s[8:9]
	s_cbranch_execnz .LBB42_37
.LBB42_38:
	s_or_b64 exec, exec, s[0:1]
	s_mul_i32 s0, s21, s24
	v_cmp_eq_u32_e32 vcc, 0, v0
	s_mul_i32 s8, s0, s5
	s_waitcnt lgkmcnt(0)
	s_barrier
	s_and_saveexec_b64 s[0:1], vcc
	s_cbranch_execz .LBB42_40
; %bb.39:
	s_ashr_i32 s9, s8, 31
	s_lshl_b64 s[10:11], s[8:9], 2
	s_add_u32 s5, s18, s10
	s_mul_i32 s2, s21, s2
	s_addc_u32 s9, s19, s11
	s_ashr_i32 s3, s2, 31
	s_lshl_b64 s[2:3], s[2:3], 2
	s_add_u32 s15, s5, s2
	s_addc_u32 s9, s9, s3
	s_ashr_i32 s5, s4, 31
	s_lshl_b64 s[18:19], s[4:5], 2
	s_add_u32 s34, s15, s18
	s_addc_u32 s35, s9, s19
	s_add_u32 s5, s16, s10
	s_addc_u32 s9, s17, s11
	;; [unrolled: 2-line block ×3, first 2 shown]
	s_add_u32 s2, s2, s18
	v_mov_b32_e32 v2, 0
	s_addc_u32 s3, s3, s19
	global_store_dword v2, v4, s[34:35]
	global_store_dword v2, v5, s[2:3]
.LBB42_40:
	s_or_b64 exec, exec, s[0:1]
	v_mov_b32_e32 v41, 0
	v_mov_b32_e32 v40, 0
	;; [unrolled: 1-line block ×8, first 2 shown]
	s_and_saveexec_b64 s[2:3], s[6:7]
	s_cbranch_execz .LBB42_60
; %bb.41:
	s_ashr_i32 s15, s14, 31
	s_lshl_b64 s[0:1], s[14:15], 2
	s_add_u32 s6, s30, s0
	v_and_b32_e32 v3, 12, v48
	s_addc_u32 s7, s31, s1
	s_add_i32 s9, s12, -1
	v_lshl_add_u32 v5, v50, 4, s40
	s_lshl_b64 s[0:1], s[28:29], 2
	v_and_b32_e32 v2, 0xfc, v48
	v_add3_u32 v65, v5, v3, 3
	v_lshlrev_b32_e32 v3, 4, v61
	s_add_u32 s0, s26, s0
	v_mov_b32_e32 v49, 0
	v_or_b32_e32 v4, 0x400, v2
	v_or_b32_e32 v6, 0x500, v2
	;; [unrolled: 1-line block ×4, first 2 shown]
	v_lshl_or_b32 v3, v50, 6, v3
	s_addc_u32 s1, s27, s1
	s_mov_b32 s5, s13
	v_add_u32_e32 v66, 0x210, v3
	v_lshl_add_u64 v[50:51], v[38:39], 2, s[0:1]
	s_mov_b64 s[10:11], 0
	v_lshlrev_b32_e32 v52, 2, v2
	v_mov_b32_e32 v53, v49
	v_lshlrev_b32_e32 v48, 2, v4
	v_lshlrev_b32_e32 v54, 2, v6
	;; [unrolled: 1-line block ×4, first 2 shown]
	v_mov_b32_e32 v46, v49
	v_mov_b32_e32 v47, v49
	;; [unrolled: 1-line block ×8, first 2 shown]
	s_branch .LBB42_43
.LBB42_42:                              ;   in Loop: Header=BB42_43 Depth=1
	s_or_b64 exec, exec, s[0:1]
	s_waitcnt vmcnt(7) lgkmcnt(0)
	v_mul_f32_e32 v7, v3, v7
	v_fmac_f32_e32 v7, v2, v6
	s_waitcnt vmcnt(6)
	v_mul_f32_e32 v6, v3, v11
	v_fmac_f32_e32 v6, v2, v10
	v_fmac_f32_e32 v6, v4, v12
	v_fmac_f32_e32 v6, v5, v13
	v_add_f32_e32 v47, v47, v6
	s_waitcnt vmcnt(5)
	v_mul_f32_e32 v6, v3, v15
	v_fmac_f32_e32 v6, v2, v14
	v_fmac_f32_e32 v6, v4, v16
	v_fmac_f32_e32 v6, v5, v17
	v_add_f32_e32 v44, v44, v6
	s_waitcnt vmcnt(4)
	v_mul_f32_e32 v6, v3, v19
	v_fmac_f32_e32 v6, v2, v18
	v_fmac_f32_e32 v6, v4, v20
	v_fmac_f32_e32 v6, v5, v21
	v_add_f32_e32 v45, v45, v6
	s_waitcnt vmcnt(3)
	v_mul_f32_e32 v6, v3, v23
	v_fmac_f32_e32 v6, v2, v22
	v_fmac_f32_e32 v6, v4, v24
	v_fmac_f32_e32 v6, v5, v25
	v_add_f32_e32 v42, v42, v6
	s_waitcnt vmcnt(2)
	v_mul_f32_e32 v6, v3, v27
	v_fmac_f32_e32 v6, v2, v26
	v_fmac_f32_e32 v6, v4, v28
	v_fmac_f32_e32 v6, v5, v29
	v_add_f32_e32 v43, v43, v6
	s_waitcnt vmcnt(1)
	v_mul_f32_e32 v6, v3, v31
	s_waitcnt vmcnt(0)
	v_mul_f32_e32 v3, v3, v35
	v_fmac_f32_e32 v6, v2, v30
	v_fmac_f32_e32 v3, v2, v34
	;; [unrolled: 1-line block ×5, first 2 shown]
	v_add_u32_e32 v38, 2, v38
	v_fmac_f32_e32 v7, v5, v9
	v_fmac_f32_e32 v6, v5, v33
	;; [unrolled: 1-line block ×3, first 2 shown]
	v_cmp_le_i32_e32 vcc, s33, v38
	v_add_f32_e32 v46, v46, v7
	v_add_f32_e32 v40, v40, v6
	;; [unrolled: 1-line block ×3, first 2 shown]
	v_add_u32_e32 v65, 32, v65
	v_add_u32_e32 v66, 0x80, v66
	s_or_b64 s[10:11], vcc, s[10:11]
	v_lshl_add_u64 v[50:51], v[50:51], 0, 8
	s_andn2_b64 exec, exec, s[10:11]
	s_cbranch_execz .LBB42_59
.LBB42_43:                              ; =>This Inner Loop Header: Depth=1
	global_load_dword v2, v[50:51], off
	v_add_u32_e32 v39, -3, v65
	v_cmp_eq_u32_e32 vcc, s9, v38
	v_add_u32_e32 v68, -2, v65
	v_add_u32_e32 v67, -1, v65
	s_waitcnt vmcnt(0)
	v_mad_i64_i32 v[2:3], s[0:1], v2, s5, 0
	v_lshl_add_u64 v[34:35], v[2:3], 2, s[6:7]
	v_lshl_add_u64 v[18:19], v[34:35], 0, v[52:53]
	global_load_dwordx4 v[6:9], v[18:19], off
	ds_read_b128 v[2:5], v66
	s_and_saveexec_b64 s[12:13], vcc
	s_cbranch_execnz .LBB42_56
; %bb.44:                               ;   in Loop: Header=BB42_43 Depth=1
	s_or_b64 exec, exec, s[12:13]
	global_load_dwordx4 v[10:13], v[18:19], off offset:1024
	s_and_saveexec_b64 s[12:13], vcc
	s_cbranch_execnz .LBB42_57
.LBB42_45:                              ;   in Loop: Header=BB42_43 Depth=1
	s_or_b64 exec, exec, s[12:13]
	global_load_dwordx4 v[14:17], v[18:19], off offset:2048
	s_and_saveexec_b64 s[12:13], vcc
	s_cbranch_execnz .LBB42_58
.LBB42_46:                              ;   in Loop: Header=BB42_43 Depth=1
	s_or_b64 exec, exec, s[12:13]
	global_load_dwordx4 v[18:21], v[18:19], off offset:3072
	s_and_saveexec_b64 s[12:13], vcc
	s_cbranch_execz .LBB42_48
.LBB42_47:                              ;   in Loop: Header=BB42_43 Depth=1
	v_cmp_gt_i32_e64 s[0:1], s25, v39
	s_waitcnt vmcnt(0)
	s_nop 0
	v_cndmask_b32_e64 v18, 0, v18, s[0:1]
	v_cmp_gt_i32_e64 s[0:1], s25, v68
	s_nop 1
	v_cndmask_b32_e64 v19, 0, v19, s[0:1]
	v_cmp_gt_i32_e64 s[0:1], s25, v67
	;; [unrolled: 3-line block ×3, first 2 shown]
	s_nop 1
	v_cndmask_b32_e64 v21, 0, v21, s[0:1]
.LBB42_48:                              ;   in Loop: Header=BB42_43 Depth=1
	s_or_b64 exec, exec, s[12:13]
	v_lshl_add_u64 v[22:23], v[34:35], 0, v[48:49]
	global_load_dwordx4 v[22:25], v[22:23], off
	s_and_saveexec_b64 s[12:13], vcc
	s_cbranch_execz .LBB42_50
; %bb.49:                               ;   in Loop: Header=BB42_43 Depth=1
	v_cmp_gt_i32_e64 s[0:1], s25, v39
	s_waitcnt vmcnt(0)
	s_nop 0
	v_cndmask_b32_e64 v22, 0, v22, s[0:1]
	v_cmp_gt_i32_e64 s[0:1], s25, v68
	s_nop 1
	v_cndmask_b32_e64 v23, 0, v23, s[0:1]
	v_cmp_gt_i32_e64 s[0:1], s25, v67
	s_nop 1
	v_cndmask_b32_e64 v24, 0, v24, s[0:1]
	v_cmp_gt_i32_e64 s[0:1], s25, v65
	s_nop 1
	v_cndmask_b32_e64 v25, 0, v25, s[0:1]
.LBB42_50:                              ;   in Loop: Header=BB42_43 Depth=1
	s_or_b64 exec, exec, s[12:13]
	v_mov_b32_e32 v55, v49
	v_lshl_add_u64 v[26:27], v[34:35], 0, v[54:55]
	global_load_dwordx4 v[26:29], v[26:27], off
	s_and_saveexec_b64 s[12:13], vcc
	s_cbranch_execz .LBB42_52
; %bb.51:                               ;   in Loop: Header=BB42_43 Depth=1
	v_cmp_gt_i32_e64 s[0:1], s25, v39
	s_waitcnt vmcnt(0)
	s_nop 0
	v_cndmask_b32_e64 v26, 0, v26, s[0:1]
	v_cmp_gt_i32_e64 s[0:1], s25, v68
	s_nop 1
	v_cndmask_b32_e64 v27, 0, v27, s[0:1]
	v_cmp_gt_i32_e64 s[0:1], s25, v67
	s_nop 1
	v_cndmask_b32_e64 v28, 0, v28, s[0:1]
	v_cmp_gt_i32_e64 s[0:1], s25, v65
	s_nop 1
	v_cndmask_b32_e64 v29, 0, v29, s[0:1]
.LBB42_52:                              ;   in Loop: Header=BB42_43 Depth=1
	s_or_b64 exec, exec, s[12:13]
	v_mov_b32_e32 v57, v49
	;; [unrolled: 21-line block ×3, first 2 shown]
	v_lshl_add_u64 v[34:35], v[34:35], 0, v[58:59]
	global_load_dwordx4 v[34:37], v[34:35], off
	s_and_saveexec_b64 s[0:1], vcc
	s_cbranch_execz .LBB42_42
; %bb.55:                               ;   in Loop: Header=BB42_43 Depth=1
	v_cmp_gt_i32_e32 vcc, s25, v39
	s_waitcnt vmcnt(0)
	s_nop 0
	v_cndmask_b32_e32 v34, 0, v34, vcc
	v_cmp_gt_i32_e32 vcc, s25, v68
	s_nop 1
	v_cndmask_b32_e32 v35, 0, v35, vcc
	v_cmp_gt_i32_e32 vcc, s25, v67
	;; [unrolled: 3-line block ×3, first 2 shown]
	s_nop 1
	v_cndmask_b32_e32 v37, 0, v37, vcc
	s_branch .LBB42_42
.LBB42_56:                              ;   in Loop: Header=BB42_43 Depth=1
	v_cmp_gt_i32_e64 s[0:1], s25, v39
	s_waitcnt vmcnt(0)
	s_nop 0
	v_cndmask_b32_e64 v6, 0, v6, s[0:1]
	v_cmp_gt_i32_e64 s[0:1], s25, v68
	s_nop 1
	v_cndmask_b32_e64 v7, 0, v7, s[0:1]
	v_cmp_gt_i32_e64 s[0:1], s25, v67
	s_nop 1
	v_cndmask_b32_e64 v8, 0, v8, s[0:1]
	v_cmp_gt_i32_e64 s[0:1], s25, v65
	s_nop 1
	v_cndmask_b32_e64 v9, 0, v9, s[0:1]
	s_or_b64 exec, exec, s[12:13]
	global_load_dwordx4 v[10:13], v[18:19], off offset:1024
	s_and_saveexec_b64 s[12:13], vcc
	s_cbranch_execz .LBB42_45
.LBB42_57:                              ;   in Loop: Header=BB42_43 Depth=1
	v_cmp_gt_i32_e64 s[0:1], s25, v39
	s_waitcnt vmcnt(0)
	s_nop 0
	v_cndmask_b32_e64 v10, 0, v10, s[0:1]
	v_cmp_gt_i32_e64 s[0:1], s25, v68
	s_nop 1
	v_cndmask_b32_e64 v11, 0, v11, s[0:1]
	v_cmp_gt_i32_e64 s[0:1], s25, v67
	;; [unrolled: 3-line block ×3, first 2 shown]
	s_nop 1
	v_cndmask_b32_e64 v13, 0, v13, s[0:1]
	s_or_b64 exec, exec, s[12:13]
	global_load_dwordx4 v[14:17], v[18:19], off offset:2048
	s_and_saveexec_b64 s[12:13], vcc
	s_cbranch_execz .LBB42_46
.LBB42_58:                              ;   in Loop: Header=BB42_43 Depth=1
	v_cmp_gt_i32_e64 s[0:1], s25, v39
	s_waitcnt vmcnt(0)
	s_nop 0
	v_cndmask_b32_e64 v14, 0, v14, s[0:1]
	v_cmp_gt_i32_e64 s[0:1], s25, v68
	s_nop 1
	v_cndmask_b32_e64 v15, 0, v15, s[0:1]
	v_cmp_gt_i32_e64 s[0:1], s25, v67
	;; [unrolled: 3-line block ×3, first 2 shown]
	s_nop 1
	v_cndmask_b32_e64 v17, 0, v17, s[0:1]
	s_or_b64 exec, exec, s[12:13]
	global_load_dwordx4 v[18:21], v[18:19], off offset:3072
	s_and_saveexec_b64 s[12:13], vcc
	s_cbranch_execnz .LBB42_47
	s_branch .LBB42_48
.LBB42_59:
	s_or_b64 exec, exec, s[10:11]
.LBB42_60:
	s_or_b64 exec, exec, s[2:3]
	ds_bpermute_b32 v2, v64, v46
	ds_bpermute_b32 v3, v64, v47
	;; [unrolled: 1-line block ×8, first 2 shown]
	s_waitcnt lgkmcnt(6)
	v_pk_add_f32 v[2:3], v[46:47], v[2:3]
	s_waitcnt lgkmcnt(4)
	v_pk_add_f32 v[4:5], v[44:45], v[4:5]
	ds_bpermute_b32 v6, v63, v2
	ds_bpermute_b32 v7, v63, v3
	;; [unrolled: 1-line block ×4, first 2 shown]
	s_waitcnt lgkmcnt(6)
	v_pk_add_f32 v[14:15], v[42:43], v[8:9]
	s_waitcnt lgkmcnt(4)
	v_pk_add_f32 v[12:13], v[40:41], v[12:13]
	ds_bpermute_b32 v16, v63, v14
	ds_bpermute_b32 v17, v63, v15
	;; [unrolled: 1-line block ×4, first 2 shown]
	s_waitcnt lgkmcnt(6)
	v_pk_add_f32 v[8:9], v[2:3], v[6:7]
	s_waitcnt lgkmcnt(4)
	v_pk_add_f32 v[6:7], v[4:5], v[10:11]
	v_and_b32_e32 v10, 0x3c3, v0
	s_waitcnt lgkmcnt(2)
	v_pk_add_f32 v[2:3], v[14:15], v[16:17]
	s_waitcnt lgkmcnt(0)
	v_pk_add_f32 v[4:5], v[12:13], v[18:19]
	v_cmp_eq_u32_e32 vcc, 64, v10
	s_barrier
	s_and_saveexec_b64 s[0:1], vcc
	s_cbranch_execz .LBB42_62
; %bb.61:
	v_add_u32_e32 v11, 0x210, v62
	ds_write2_b32 v11, v8, v9 offset1:16
	ds_write2_b32 v11, v6, v7 offset0:32 offset1:48
	ds_write2_b32 v11, v2, v3 offset0:64 offset1:80
	;; [unrolled: 1-line block ×3, first 2 shown]
.LBB42_62:
	s_or_b64 exec, exec, s[0:1]
	v_cmp_gt_u32_e32 vcc, 64, v0
	s_waitcnt lgkmcnt(0)
	s_barrier
	s_and_saveexec_b64 s[0:1], vcc
	s_cbranch_execz .LBB42_73
; %bb.63:
	v_cmp_eq_u32_e32 vcc, 0, v61
	s_and_saveexec_b64 s[2:3], vcc
	s_cbranch_execnz .LBB42_76
; %bb.64:
	s_or_b64 exec, exec, s[2:3]
	s_and_saveexec_b64 s[2:3], vcc
	s_cbranch_execnz .LBB42_77
.LBB42_65:
	s_or_b64 exec, exec, s[2:3]
	s_and_saveexec_b64 s[2:3], vcc
	s_cbranch_execnz .LBB42_78
.LBB42_66:
	s_or_b64 exec, exec, s[2:3]
	s_and_saveexec_b64 s[2:3], vcc
	s_cbranch_execnz .LBB42_79
.LBB42_67:
	s_or_b64 exec, exec, s[2:3]
	s_and_saveexec_b64 s[2:3], vcc
	s_cbranch_execnz .LBB42_80
.LBB42_68:
	s_or_b64 exec, exec, s[2:3]
	s_and_saveexec_b64 s[2:3], vcc
	s_cbranch_execnz .LBB42_81
.LBB42_69:
	s_or_b64 exec, exec, s[2:3]
	s_and_saveexec_b64 s[2:3], vcc
	s_cbranch_execnz .LBB42_82
.LBB42_70:
	s_or_b64 exec, exec, s[2:3]
	s_and_saveexec_b64 s[2:3], vcc
	s_cbranch_execz .LBB42_72
.LBB42_71:
	v_mov_b32_e32 v0, 0x210
	v_lshl_add_u32 v0, v60, 2, v0
	ds_read_b32 v0, v0 offset:448
	s_waitcnt lgkmcnt(0)
	v_add_f32_e32 v5, v5, v0
.LBB42_72:
	s_or_b64 exec, exec, s[2:3]
.LBB42_73:
	s_or_b64 exec, exec, s[0:1]
	v_cmp_eq_u32_e32 vcc, 0, v10
	s_barrier
	s_and_saveexec_b64 s[0:1], vcc
	s_cbranch_execz .LBB42_75
; %bb.74:
	s_lshl_b32 s0, s8, 7
	s_ashr_i32 s1, s0, 31
	s_lshl_b64 s[0:1], s[0:1], 2
	s_add_u32 s2, s22, s0
	s_mul_i32 s0, s21, s20
	s_addc_u32 s3, s23, s1
	s_ashr_i32 s1, s0, 31
	s_lshl_b64 s[0:1], s[0:1], 2
	s_add_u32 s2, s2, s0
	s_addc_u32 s3, s3, s1
	s_lshl_b32 s0, s4, 7
	s_ashr_i32 s1, s0, 31
	s_lshl_b64 s[0:1], s[0:1], 2
	s_add_u32 s0, s2, s0
	s_addc_u32 s1, s3, s1
	global_store_dword v1, v8, s[0:1]
	global_store_dword v1, v9, s[0:1] offset:64
	global_store_dword v1, v6, s[0:1] offset:128
	;; [unrolled: 1-line block ×7, first 2 shown]
.LBB42_75:
	s_endpgm
.LBB42_76:
	v_mov_b32_e32 v0, 0x210
	v_lshl_add_u32 v0, v60, 2, v0
	ds_read_b32 v0, v0
	s_waitcnt lgkmcnt(0)
	v_add_f32_e32 v8, v8, v0
	s_or_b64 exec, exec, s[2:3]
	s_and_saveexec_b64 s[2:3], vcc
	s_cbranch_execz .LBB42_65
.LBB42_77:
	v_mov_b32_e32 v0, 0x210
	v_lshl_add_u32 v0, v60, 2, v0
	ds_read_b32 v0, v0 offset:64
	s_waitcnt lgkmcnt(0)
	v_add_f32_e32 v9, v9, v0
	s_or_b64 exec, exec, s[2:3]
	s_and_saveexec_b64 s[2:3], vcc
	s_cbranch_execz .LBB42_66
.LBB42_78:
	v_mov_b32_e32 v0, 0x210
	v_lshl_add_u32 v0, v60, 2, v0
	ds_read_b32 v0, v0 offset:128
	s_waitcnt lgkmcnt(0)
	v_add_f32_e32 v6, v6, v0
	s_or_b64 exec, exec, s[2:3]
	s_and_saveexec_b64 s[2:3], vcc
	s_cbranch_execz .LBB42_67
.LBB42_79:
	v_mov_b32_e32 v0, 0x210
	v_lshl_add_u32 v0, v60, 2, v0
	ds_read_b32 v0, v0 offset:192
	s_waitcnt lgkmcnt(0)
	v_add_f32_e32 v7, v7, v0
	s_or_b64 exec, exec, s[2:3]
	s_and_saveexec_b64 s[2:3], vcc
	s_cbranch_execz .LBB42_68
.LBB42_80:
	v_mov_b32_e32 v0, 0x210
	v_lshl_add_u32 v0, v60, 2, v0
	ds_read_b32 v0, v0 offset:256
	s_waitcnt lgkmcnt(0)
	v_add_f32_e32 v2, v2, v0
	s_or_b64 exec, exec, s[2:3]
	s_and_saveexec_b64 s[2:3], vcc
	s_cbranch_execz .LBB42_69
.LBB42_81:
	v_mov_b32_e32 v0, 0x210
	v_lshl_add_u32 v0, v60, 2, v0
	ds_read_b32 v0, v0 offset:320
	s_waitcnt lgkmcnt(0)
	v_add_f32_e32 v3, v3, v0
	s_or_b64 exec, exec, s[2:3]
	s_and_saveexec_b64 s[2:3], vcc
	s_cbranch_execz .LBB42_70
.LBB42_82:
	v_mov_b32_e32 v0, 0x210
	v_lshl_add_u32 v0, v60, 2, v0
	ds_read_b32 v0, v0 offset:384
	s_waitcnt lgkmcnt(0)
	v_add_f32_e32 v4, v4, v0
	s_or_b64 exec, exec, s[2:3]
	s_and_saveexec_b64 s[2:3], vcc
	s_cbranch_execnz .LBB42_71
	s_branch .LBB42_72
	.section	.rodata,"a",@progbits
	.p2align	6, 0x0
	.amdhsa_kernel _ZN4vllm25paged_attention_v2_kernelIffLi128ELi16ELi128ELNS_18Fp8KVCacheDataTypeE0ELb0ELi512EEEvPfS2_PT_PKS3_PKT0_S9_ifPKiSB_iPKfiiiSD_SD_iiiii
		.amdhsa_group_segment_fixed_size 528
		.amdhsa_private_segment_fixed_size 0
		.amdhsa_kernarg_size 400
		.amdhsa_user_sgpr_count 2
		.amdhsa_user_sgpr_dispatch_ptr 0
		.amdhsa_user_sgpr_queue_ptr 0
		.amdhsa_user_sgpr_kernarg_segment_ptr 1
		.amdhsa_user_sgpr_dispatch_id 0
		.amdhsa_user_sgpr_kernarg_preload_length 0
		.amdhsa_user_sgpr_kernarg_preload_offset 0
		.amdhsa_user_sgpr_private_segment_size 0
		.amdhsa_uses_dynamic_stack 0
		.amdhsa_enable_private_segment 0
		.amdhsa_system_sgpr_workgroup_id_x 1
		.amdhsa_system_sgpr_workgroup_id_y 1
		.amdhsa_system_sgpr_workgroup_id_z 1
		.amdhsa_system_sgpr_workgroup_info 0
		.amdhsa_system_vgpr_workitem_id 0
		.amdhsa_next_free_vgpr 85
		.amdhsa_next_free_sgpr 43
		.amdhsa_accum_offset 88
		.amdhsa_reserve_vcc 1
		.amdhsa_float_round_mode_32 0
		.amdhsa_float_round_mode_16_64 0
		.amdhsa_float_denorm_mode_32 3
		.amdhsa_float_denorm_mode_16_64 3
		.amdhsa_dx10_clamp 1
		.amdhsa_ieee_mode 1
		.amdhsa_fp16_overflow 0
		.amdhsa_tg_split 0
		.amdhsa_exception_fp_ieee_invalid_op 0
		.amdhsa_exception_fp_denorm_src 0
		.amdhsa_exception_fp_ieee_div_zero 0
		.amdhsa_exception_fp_ieee_overflow 0
		.amdhsa_exception_fp_ieee_underflow 0
		.amdhsa_exception_fp_ieee_inexact 0
		.amdhsa_exception_int_div_zero 0
	.end_amdhsa_kernel
	.section	.text._ZN4vllm25paged_attention_v2_kernelIffLi128ELi16ELi128ELNS_18Fp8KVCacheDataTypeE0ELb0ELi512EEEvPfS2_PT_PKS3_PKT0_S9_ifPKiSB_iPKfiiiSD_SD_iiiii,"axG",@progbits,_ZN4vllm25paged_attention_v2_kernelIffLi128ELi16ELi128ELNS_18Fp8KVCacheDataTypeE0ELb0ELi512EEEvPfS2_PT_PKS3_PKT0_S9_ifPKiSB_iPKfiiiSD_SD_iiiii,comdat
.Lfunc_end42:
	.size	_ZN4vllm25paged_attention_v2_kernelIffLi128ELi16ELi128ELNS_18Fp8KVCacheDataTypeE0ELb0ELi512EEEvPfS2_PT_PKS3_PKT0_S9_ifPKiSB_iPKfiiiSD_SD_iiiii, .Lfunc_end42-_ZN4vllm25paged_attention_v2_kernelIffLi128ELi16ELi128ELNS_18Fp8KVCacheDataTypeE0ELb0ELi512EEEvPfS2_PT_PKS3_PKT0_S9_ifPKiSB_iPKfiiiSD_SD_iiiii
                                        ; -- End function
	.section	.AMDGPU.csdata,"",@progbits
; Kernel info:
; codeLenInByte = 5472
; NumSgprs: 49
; NumVgprs: 85
; NumAgprs: 0
; TotalNumVgprs: 85
; ScratchSize: 0
; MemoryBound: 0
; FloatMode: 240
; IeeeMode: 1
; LDSByteSize: 528 bytes/workgroup (compile time only)
; SGPRBlocks: 6
; VGPRBlocks: 10
; NumSGPRsForWavesPerEU: 49
; NumVGPRsForWavesPerEU: 85
; AccumOffset: 88
; Occupancy: 5
; WaveLimiterHint : 1
; COMPUTE_PGM_RSRC2:SCRATCH_EN: 0
; COMPUTE_PGM_RSRC2:USER_SGPR: 2
; COMPUTE_PGM_RSRC2:TRAP_HANDLER: 0
; COMPUTE_PGM_RSRC2:TGID_X_EN: 1
; COMPUTE_PGM_RSRC2:TGID_Y_EN: 1
; COMPUTE_PGM_RSRC2:TGID_Z_EN: 1
; COMPUTE_PGM_RSRC2:TIDIG_COMP_CNT: 0
; COMPUTE_PGM_RSRC3_GFX90A:ACCUM_OFFSET: 21
; COMPUTE_PGM_RSRC3_GFX90A:TG_SPLIT: 0
	.section	.text._ZN4vllm25paged_attention_v2_kernelIffLi192ELi16ELi128ELNS_18Fp8KVCacheDataTypeE0ELb0ELi512EEEvPfS2_PT_PKS3_PKT0_S9_ifPKiSB_iPKfiiiSD_SD_iiiii,"axG",@progbits,_ZN4vllm25paged_attention_v2_kernelIffLi192ELi16ELi128ELNS_18Fp8KVCacheDataTypeE0ELb0ELi512EEEvPfS2_PT_PKS3_PKT0_S9_ifPKiSB_iPKfiiiSD_SD_iiiii,comdat
	.protected	_ZN4vllm25paged_attention_v2_kernelIffLi192ELi16ELi128ELNS_18Fp8KVCacheDataTypeE0ELb0ELi512EEEvPfS2_PT_PKS3_PKT0_S9_ifPKiSB_iPKfiiiSD_SD_iiiii ; -- Begin function _ZN4vllm25paged_attention_v2_kernelIffLi192ELi16ELi128ELNS_18Fp8KVCacheDataTypeE0ELb0ELi512EEEvPfS2_PT_PKS3_PKT0_S9_ifPKiSB_iPKfiiiSD_SD_iiiii
	.globl	_ZN4vllm25paged_attention_v2_kernelIffLi192ELi16ELi128ELNS_18Fp8KVCacheDataTypeE0ELb0ELi512EEEvPfS2_PT_PKS3_PKT0_S9_ifPKiSB_iPKfiiiSD_SD_iiiii
	.p2align	8
	.type	_ZN4vllm25paged_attention_v2_kernelIffLi192ELi16ELi128ELNS_18Fp8KVCacheDataTypeE0ELb0ELi512EEEvPfS2_PT_PKS3_PKT0_S9_ifPKiSB_iPKfiiiSD_SD_iiiii,@function
_ZN4vllm25paged_attention_v2_kernelIffLi192ELi16ELi128ELNS_18Fp8KVCacheDataTypeE0ELb0ELi512EEEvPfS2_PT_PKS3_PKT0_S9_ifPKiSB_iPKfiiiSD_SD_iiiii: ; @_ZN4vllm25paged_attention_v2_kernelIffLi192ELi16ELi128ELNS_18Fp8KVCacheDataTypeE0ELb0ELi512EEEvPfS2_PT_PKS3_PKT0_S9_ifPKiSB_iPKfiiiSD_SD_iiiii
; %bb.0:
	s_load_dwordx2 s[6:7], s[0:1], 0x40
	s_mov_b32 s30, s3
	s_ashr_i32 s31, s3, 31
	s_lshl_b64 s[8:9], s[30:31], 2
	s_waitcnt lgkmcnt(0)
	s_add_u32 s6, s6, s8
	s_addc_u32 s7, s7, s9
	s_load_dword s33, s[6:7], 0x0
	s_lshl_b32 s40, s4, 9
	s_waitcnt lgkmcnt(0)
	s_cmp_ge_i32 s40, s33
	s_cbranch_scc1 .LBB43_90
; %bb.1:
	s_load_dword s5, s[0:1], 0x90
	s_load_dwordx2 s[10:11], s[0:1], 0x30
	s_waitcnt lgkmcnt(0)
	s_abs_i32 s7, s5
	s_abs_i32 s3, s10
	v_cvt_f32_u32_e32 v1, s3
	s_sub_i32 s8, 0, s3
	s_xor_b32 s6, s5, s10
	s_ashr_i32 s6, s6, 31
	v_rcp_iflag_f32_e32 v1, v1
	s_nop 0
	v_mul_f32_e32 v1, 0x4f7ffffe, v1
	v_cvt_u32_f32_e32 v1, v1
	s_nop 0
	v_readfirstlane_b32 s9, v1
	s_mul_i32 s8, s8, s9
	s_mul_hi_u32 s8, s9, s8
	s_add_i32 s9, s9, s8
	s_mul_hi_u32 s8, s7, s9
	s_mul_i32 s9, s8, s3
	s_sub_i32 s7, s7, s9
	s_add_i32 s10, s8, 1
	s_sub_i32 s9, s7, s3
	s_cmp_ge_u32 s7, s3
	s_cselect_b32 s8, s10, s8
	s_cselect_b32 s7, s9, s7
	s_add_i32 s9, s8, 1
	s_cmp_ge_u32 s7, s3
	s_cselect_b32 s3, s9, s8
	s_xor_b32 s3, s3, s6
	s_sub_i32 s10, s3, s6
	s_abs_i32 s36, s10
	v_cvt_f32_u32_e32 v1, s36
	s_load_dwordx2 s[6:7], s[0:1], 0x50
	s_sub_i32 s3, 0, s36
	s_abs_i32 s37, s2
	v_rcp_iflag_f32_e32 v1, v1
	s_nop 0
	v_mul_f32_e32 v1, 0x4f7ffffe, v1
	v_cvt_u32_f32_e32 v1, v1
	s_nop 0
	v_readfirstlane_b32 s8, v1
	s_mul_i32 s3, s3, s8
	s_mul_hi_u32 s3, s8, s3
	s_add_i32 s8, s8, s3
	s_waitcnt lgkmcnt(0)
	s_cmp_eq_u64 s[6:7], 0
	s_mov_b32 s3, 0
	s_cbranch_scc1 .LBB43_3
; %bb.2:
	s_ashr_i32 s3, s2, 31
	s_lshl_b64 s[12:13], s[2:3], 2
	s_add_u32 s6, s6, s12
	s_addc_u32 s7, s7, s13
	s_load_dword s3, s[6:7], 0x0
.LBB43_3:
	s_load_dwordx4 s[20:23], s[0:1], 0x0
	s_load_dwordx2 s[24:25], s[0:1], 0x10
	s_load_dwordx4 s[12:15], s[0:1], 0x20
	s_load_dwordx2 s[28:29], s[0:1], 0x38
	s_load_dword s31, s[0:1], 0x98
	s_load_dwordx4 s[16:19], s[0:1], 0x58
	s_mul_hi_u32 s38, s37, s8
	v_lshrrev_b32_e32 v88, 2, v0
	s_movk_i32 s8, 0xc0
	s_mul_i32 s26, s2, 0xc0
	v_and_b32_e32 v89, 3, v0
	s_ashr_i32 s27, s26, 31
	v_cmp_gt_u32_e32 vcc, s8, v0
	v_lshlrev_b32_e32 v1, 2, v88
	s_and_saveexec_b64 s[6:7], vcc
	s_cbranch_execz .LBB43_6
; %bb.4:
	s_load_dwordx2 s[34:35], s[0:1], 0x18
	s_waitcnt lgkmcnt(0)
	s_mul_i32 s42, s30, s16
	s_ashr_i32 s43, s42, 31
	v_mad_u32_u24 v5, v89, s8, v1
	s_lshl_b64 s[8:9], s[42:43], 2
	s_lshl_b64 s[42:43], s[26:27], 2
	s_add_u32 s8, s8, s42
	s_addc_u32 s9, s9, s43
	v_or_b32_e32 v2, v1, v89
	s_add_u32 s8, s34, s8
	v_lshlrev_b32_e32 v2, 2, v2
	v_mov_b32_e32 v3, 0
	s_addc_u32 s9, s35, s9
	v_subrev_u32_e32 v4, 32, v88
	v_lshl_add_u64 v[2:3], s[8:9], 0, v[2:3]
	s_mov_b64 s[8:9], 0
	s_mov_b64 s[34:35], 0x200
.LBB43_5:                               ; =>This Inner Loop Header: Depth=1
	global_load_dword v6, v[2:3], off
	v_add_u32_e32 v4, 32, v4
	v_cmp_lt_u32_e32 vcc, 15, v4
	v_lshl_add_u64 v[2:3], v[2:3], 0, s[34:35]
	s_or_b64 s[8:9], vcc, s[8:9]
	s_waitcnt vmcnt(0)
	ds_write_b32 v5, v6
	v_add_u32_e32 v5, 0x80, v5
	s_andn2_b64 exec, exec, s[8:9]
	s_cbranch_execnz .LBB43_5
.LBB43_6:
	s_or_b64 exec, exec, s[6:7]
	s_add_i32 s8, s33, 15
	s_ashr_i32 s9, s8, 31
	s_ashr_i32 s6, s2, 31
	;; [unrolled: 1-line block ×3, first 2 shown]
	s_lshr_b32 s9, s9, 28
	s_add_i32 s8, s8, s9
	s_lshl_b32 s10, s4, 5
	s_xor_b32 s6, s6, s7
	s_mul_i32 s7, s38, s36
	s_ashr_i32 s27, s8, 4
	s_add_i32 s8, s10, 32
	s_sub_i32 s7, s37, s7
	s_waitcnt lgkmcnt(0)
	s_min_i32 s16, s8, s27
	s_add_i32 s8, s38, 1
	s_sub_i32 s9, s7, s36
	s_cmp_ge_u32 s7, s36
	s_load_dword s0, s[0:1], 0x48
	s_cselect_b32 s8, s8, s38
	s_cselect_b32 s7, s9, s7
	s_add_i32 s9, s8, 1
	s_cmp_ge_u32 s7, s36
	v_lshrrev_b32_e32 v68, 6, v0
	s_cselect_b32 s7, s9, s8
	s_xor_b32 s7, s7, s6
	s_waitcnt lgkmcnt(0)
	s_mul_i32 s34, s30, s0
	v_or_b32_e32 v54, s10, v68
	s_sub_i32 s8, s7, s6
	s_ashr_i32 s35, s34, 31
	v_cmp_gt_i32_e64 s[0:1], s16, v54
	v_cmp_le_i32_e32 vcc, s16, v54
	v_mbcnt_lo_u32_b32 v42, -1, 0
	s_barrier
	s_waitcnt lgkmcnt(0)
                                        ; implicit-def: $sgpr9
                                        ; implicit-def: $vgpr56
                                        ; implicit-def: $vgpr57
	s_and_saveexec_b64 s[6:7], vcc
	s_xor_b64 s[6:7], exec, s[6:7]
; %bb.7:
	v_mbcnt_hi_u32_b32 v56, -1, v42
	v_and_b32_e32 v2, 64, v56
	v_add_u32_e32 v57, 64, v2
	s_mov_b32 s9, 0xff7fffff
                                        ; implicit-def: $vgpr42
; %bb.8:
	s_or_saveexec_b64 s[36:37], s[6:7]
	v_mov_b32_e32 v59, s9
	s_mul_i32 s18, s8, s18
	v_ashrrev_i32_e32 v55, 31, v54
	s_xor_b64 exec, exec, s[36:37]
	s_cbranch_execz .LBB43_14
; %bb.9:
	s_ashr_i32 s19, s18, 31
	s_lshl_b64 s[6:7], s[18:19], 2
	v_bfe_u32 v43, v0, 2, 4
	s_add_u32 s6, s12, s6
	s_addc_u32 s7, s13, s7
	v_lshlrev_b32_e32 v2, 4, v43
	v_mov_b32_e32 v3, 0
	v_mbcnt_hi_u32_b32 v56, -1, v42
	v_lshl_add_u64 v[4:5], s[6:7], 0, v[2:3]
	v_lshlrev_b32_e32 v2, 2, v89
	v_mul_u32_u24_e32 v46, 0xc0, v89
	v_and_b32_e32 v42, 64, v56
	v_lshl_add_u64 v[50:51], v[4:5], 0, v[2:3]
	ds_read_b128 v[2:5], v46
	ds_read_b128 v[6:9], v46 offset:16
	ds_read_b128 v[10:13], v46 offset:32
	ds_read_b128 v[14:17], v46 offset:48
	ds_read_b128 v[18:21], v46 offset:64
	ds_read_b128 v[22:25], v46 offset:80
	ds_read_b128 v[26:29], v46 offset:96
	ds_read_b128 v[30:33], v46 offset:112
	ds_read_b128 v[34:37], v46 offset:128
	ds_read_b128 v[38:41], v46 offset:144
	v_add_u32_e32 v57, 64, v42
	v_xor_b32_e32 v42, 2, v56
	v_cmp_lt_i32_e32 vcc, v42, v57
	v_lshlrev_b32_e32 v44, 2, v43
	s_sub_i32 s19, 1, s33
	v_cndmask_b32_e32 v42, v56, v42, vcc
	v_lshlrev_b32_e32 v58, 2, v42
	v_xor_b32_e32 v42, 1, v56
	v_cmp_lt_i32_e32 vcc, v42, v57
	s_lshl_b64 s[8:9], s[34:35], 2
	s_add_u32 s8, s28, s8
	v_cndmask_b32_e32 v42, v56, v42, vcc
	v_lshlrev_b32_e32 v60, 2, v42
	v_lshlrev_b32_e32 v42, 4, v68
	v_add3_u32 v61, s40, v42, v43
	v_lshl_or_b32 v42, v68, 6, v44
	v_add_u32_e32 v62, 0x310, v42
	ds_read_b128 v[42:45], v46 offset:160
	ds_read_b128 v[46:49], v46 offset:176
	s_addc_u32 s9, s29, s9
	s_mov_b32 s41, s17
	v_cmp_eq_u32_e32 vcc, 0, v89
	v_cmp_neq_f32_e64 s[6:7], s3, 0
	v_lshl_add_u64 v[52:53], v[54:55], 2, s[8:9]
	s_mov_b64 s[12:13], 0
	v_mov_b32_e32 v59, 0xff7fffff
	s_movk_i32 s42, 0x1000
	s_movk_i32 s43, 0x2000
	v_mov_b32_e32 v63, v54
	s_branch .LBB43_11
.LBB43_10:                              ;   in Loop: Header=BB43_11 Depth=1
	s_or_b64 exec, exec, s[38:39]
	v_add_u32_e32 v63, 2, v63
	v_cmp_le_i32_e64 s[8:9], s16, v63
	v_add_u32_e32 v61, 32, v61
	v_add_u32_e32 v62, 0x80, v62
	s_or_b64 s[12:13], s[8:9], s[12:13]
	v_lshl_add_u64 v[52:53], v[52:53], 0, 8
	s_andn2_b64 exec, exec, s[12:13]
	s_cbranch_execz .LBB43_13
.LBB43_11:                              ; =>This Inner Loop Header: Depth=1
	global_load_dword v64, v[52:53], off
	s_waitcnt vmcnt(0) lgkmcnt(0)
	v_mad_i64_i32 v[64:65], s[8:9], v64, s41, 0
	v_lshl_add_u64 v[64:65], v[64:65], 2, v[50:51]
	global_load_dword v69, v[64:65], off
	global_load_dword v70, v[64:65], off offset:256
	global_load_dword v71, v[64:65], off offset:512
	;; [unrolled: 1-line block ×15, first 2 shown]
	v_add_co_u32_e64 v66, s[8:9], s42, v64
	s_nop 1
	v_addc_co_u32_e64 v67, s[8:9], 0, v65, s[8:9]
	v_add_co_u32_e64 v64, s[8:9], s43, v64
	s_nop 1
	v_addc_co_u32_e64 v65, s[8:9], 0, v65, s[8:9]
	global_load_dword v85, v[64:65], off offset:-4096
	global_load_dword v86, v[66:67], off offset:256
	global_load_dword v87, v[66:67], off offset:512
	global_load_dword v90, v[66:67], off offset:768
	global_load_dword v91, v[66:67], off offset:1024
	global_load_dword v92, v[66:67], off offset:1280
	global_load_dword v93, v[66:67], off offset:1536
	global_load_dword v94, v[66:67], off offset:1792
	global_load_dword v95, v[66:67], off offset:2048
	global_load_dword v96, v[66:67], off offset:2304
	global_load_dword v97, v[66:67], off offset:2560
	global_load_dword v98, v[66:67], off offset:2816
	global_load_dword v99, v[66:67], off offset:3072
	global_load_dword v100, v[66:67], off offset:3328
	global_load_dword v101, v[66:67], off offset:3584
	s_nop 0
	global_load_dword v66, v[66:67], off offset:3840
	s_nop 0
	global_load_dword v67, v[64:65], off
	global_load_dword v102, v[64:65], off offset:256
	global_load_dword v103, v[64:65], off offset:512
	;; [unrolled: 1-line block ×14, first 2 shown]
	s_nop 0
	global_load_dword v64, v[64:65], off offset:3840
	s_waitcnt vmcnt(46) lgkmcnt(11)
	v_mul_f32_e32 v65, v3, v70
	v_fmac_f32_e32 v65, v2, v69
	s_waitcnt vmcnt(45)
	v_fmac_f32_e32 v65, v4, v71
	s_waitcnt vmcnt(44)
	v_fmac_f32_e32 v65, v5, v72
	s_waitcnt vmcnt(43) lgkmcnt(10)
	v_fmac_f32_e32 v65, v6, v73
	s_waitcnt vmcnt(42)
	v_fmac_f32_e32 v65, v7, v74
	s_waitcnt vmcnt(41)
	v_fmac_f32_e32 v65, v8, v75
	s_waitcnt vmcnt(40)
	v_fmac_f32_e32 v65, v9, v76
	s_waitcnt vmcnt(39) lgkmcnt(9)
	v_fmac_f32_e32 v65, v10, v77
	s_waitcnt vmcnt(38)
	;; [unrolled: 8-line block ×11, first 2 shown]
	v_fmac_f32_e32 v65, v47, v114
	s_waitcnt vmcnt(1)
	v_fmac_f32_e32 v65, v48, v115
	s_waitcnt vmcnt(0)
	v_fmac_f32_e32 v65, v49, v64
	ds_bpermute_b32 v64, v58, v65
	s_waitcnt lgkmcnt(0)
	v_add_f32_e32 v64, v65, v64
	ds_bpermute_b32 v65, v60, v64
	s_and_saveexec_b64 s[38:39], vcc
	s_cbranch_execz .LBB43_10
; %bb.12:                               ;   in Loop: Header=BB43_11 Depth=1
	v_add_u32_e32 v66, s19, v61
	v_cvt_f32_i32_e32 v66, v66
	s_waitcnt lgkmcnt(0)
	v_add_f32_e32 v64, v64, v65
	v_cmp_gt_i32_e64 s[8:9], s33, v61
	v_max_f32_e32 v65, v59, v59
	v_mul_f32_e32 v66, s3, v66
	v_cndmask_b32_e64 v66, 0, v66, s[6:7]
	v_fmac_f32_e32 v66, s11, v64
	v_cndmask_b32_e64 v64, 0, v66, s[8:9]
	ds_write_b32 v62, v64
	v_max_f32_e32 v64, v65, v66
	v_cndmask_b32_e64 v59, v59, v64, s[8:9]
	s_branch .LBB43_10
.LBB43_13:
	s_or_b64 exec, exec, s[12:13]
.LBB43_14:
	s_or_b64 exec, exec, s[36:37]
	v_xor_b32_e32 v2, 32, v56
	v_cmp_lt_i32_e32 vcc, v2, v57
	v_xor_b32_e32 v5, 16, v56
	v_max_f32_e32 v4, v59, v59
	v_cndmask_b32_e32 v2, v56, v2, vcc
	v_lshlrev_b32_e32 v2, 2, v2
	ds_bpermute_b32 v3, v2, v59
	v_cmp_lt_i32_e32 vcc, v5, v57
	v_xor_b32_e32 v6, 8, v56
	v_and_b32_e32 v90, 63, v0
	s_waitcnt lgkmcnt(0)
	v_max_f32_e32 v3, v3, v3
	v_max_f32_e32 v4, v4, v3
	v_cndmask_b32_e32 v3, v56, v5, vcc
	v_lshlrev_b32_e32 v3, 2, v3
	ds_bpermute_b32 v5, v3, v4
	v_cmp_lt_i32_e32 vcc, v6, v57
	s_waitcnt lgkmcnt(0)
	v_max_f32_e32 v5, v5, v5
	v_max_f32_e32 v4, v4, v5
	v_cndmask_b32_e32 v5, v56, v6, vcc
	v_lshlrev_b32_e32 v7, 2, v5
	ds_bpermute_b32 v5, v7, v4
	v_xor_b32_e32 v6, 4, v56
	v_cmp_lt_i32_e32 vcc, v6, v57
	s_waitcnt lgkmcnt(0)
	v_max_f32_e32 v5, v5, v5
	v_max_f32_e32 v4, v4, v5
	v_cndmask_b32_e32 v5, v56, v6, vcc
	v_lshlrev_b32_e32 v8, 2, v5
	ds_bpermute_b32 v6, v8, v4
	v_cmp_eq_u32_e32 vcc, 0, v90
	v_lshlrev_b32_e32 v5, 2, v68
	s_and_saveexec_b64 s[6:7], vcc
	s_cbranch_execz .LBB43_16
; %bb.15:
	s_waitcnt lgkmcnt(0)
	v_max_f32_e32 v6, v6, v6
	v_max_f32_e32 v4, v4, v4
	;; [unrolled: 1-line block ×3, first 2 shown]
	ds_write_b32 v5, v4 offset:768
.LBB43_16:
	s_or_b64 exec, exec, s[6:7]
	v_cmp_gt_u32_e64 s[6:7], 2, v90
	v_mov_b32_e32 v4, 0xff7fffff
	s_waitcnt lgkmcnt(0)
	v_lshlrev_b32_e32 v6, 2, v90
	s_barrier
	s_and_saveexec_b64 s[8:9], s[6:7]
	s_cbranch_execz .LBB43_18
; %bb.17:
	ds_read_b32 v4, v6 offset:768
.LBB43_18:
	s_or_b64 exec, exec, s[8:9]
	v_xor_b32_e32 v9, 1, v56
	v_cmp_lt_i32_e64 s[8:9], v9, v57
	s_sub_i32 s3, s16, s10
	s_lshl_b32 s3, s3, 4
	v_cndmask_b32_e64 v9, v56, v9, s[8:9]
	v_lshlrev_b32_e32 v91, 2, v9
	s_waitcnt lgkmcnt(0)
	ds_bpermute_b32 v9, v91, v4
	v_max_f32_e32 v4, v4, v4
	s_add_i32 s3, s3, s40
	s_min_i32 s19, s3, s33
	s_sub_i32 s3, s19, s40
	s_waitcnt lgkmcnt(0)
	v_max_f32_e32 v9, v9, v9
	v_max_f32_e32 v4, v4, v9
	v_lshlrev_b32_e32 v9, 2, v56
	v_and_b32_e32 v9, 0xffffff00, v9
	ds_bpermute_b32 v4, v9, v4
	v_cmp_gt_i32_e64 s[8:9], s3, v0
	v_mov_b32_e32 v10, 0
	s_and_saveexec_b64 s[12:13], s[8:9]
	s_cbranch_execz .LBB43_22
; %bb.19:
	v_mov_b32_e32 v10, 0x310
	v_lshl_add_u32 v11, v0, 2, v10
	s_mov_b64 s[36:37], 0
	v_mov_b32_e32 v10, 0
	v_mov_b32_e32 v12, v0
.LBB43_20:                              ; =>This Inner Loop Header: Depth=1
	ds_read_b32 v13, v11
	v_add_u32_e32 v12, 0x80, v12
	v_cmp_le_i32_e64 s[10:11], s3, v12
	s_or_b64 s[36:37], s[10:11], s[36:37]
	s_waitcnt lgkmcnt(0)
	v_sub_f32_e32 v13, v13, v4
	v_mul_f32_e32 v13, 0x3fb8aa3b, v13
	v_exp_f32_e32 v13, v13
	ds_write_b32 v11, v13
	v_add_f32_e32 v10, v10, v13
	v_add_u32_e32 v11, 0x200, v11
	s_andn2_b64 exec, exec, s[36:37]
	s_cbranch_execnz .LBB43_20
; %bb.21:
	s_or_b64 exec, exec, s[36:37]
.LBB43_22:
	s_or_b64 exec, exec, s[12:13]
	ds_bpermute_b32 v2, v2, v10
	s_waitcnt lgkmcnt(0)
	v_add_f32_e32 v2, v10, v2
	ds_bpermute_b32 v3, v3, v2
	s_waitcnt lgkmcnt(0)
	v_add_f32_e32 v2, v2, v3
	ds_bpermute_b32 v3, v7, v2
	v_xor_b32_e32 v7, 2, v56
	v_cmp_lt_i32_e64 s[10:11], v7, v57
	s_waitcnt lgkmcnt(0)
	v_add_f32_e32 v2, v2, v3
	ds_bpermute_b32 v3, v8, v2
	v_cndmask_b32_e64 v7, v56, v7, s[10:11]
	v_lshlrev_b32_e32 v92, 2, v7
	s_waitcnt lgkmcnt(0)
	v_add_f32_e32 v2, v2, v3
	ds_bpermute_b32 v3, v92, v2
	s_waitcnt lgkmcnt(0)
	v_add_f32_e32 v2, v2, v3
	ds_bpermute_b32 v3, v91, v2
	s_waitcnt lgkmcnt(0)
	v_add_f32_e32 v2, v2, v3
	s_and_saveexec_b64 s[10:11], vcc
	s_cbranch_execz .LBB43_24
; %bb.23:
	ds_write_b32 v5, v2 offset:776
.LBB43_24:
	s_or_b64 exec, exec, s[10:11]
	s_waitcnt lgkmcnt(0)
	s_barrier
	s_and_saveexec_b64 s[10:11], s[6:7]
	s_cbranch_execz .LBB43_26
; %bb.25:
	ds_read_b32 v2, v6 offset:776
.LBB43_26:
	s_or_b64 exec, exec, s[10:11]
	s_waitcnt lgkmcnt(0)
	ds_bpermute_b32 v3, v91, v2
	s_waitcnt lgkmcnt(0)
	v_add_f32_e32 v2, v2, v3
	ds_bpermute_b32 v5, v9, v2
	s_and_saveexec_b64 s[6:7], s[8:9]
	s_cbranch_execz .LBB43_39
; %bb.27:
	s_waitcnt lgkmcnt(0)
	v_add_f32_e32 v2, 0x358637bd, v5
	v_div_scale_f32 v3, s[8:9], v2, v2, 1.0
	v_rcp_f32_e32 v6, v3
	v_div_scale_f32 v7, vcc, 1.0, v2, 1.0
	s_movk_i32 s8, 0x7f
	v_fma_f32 v8, -v3, v6, 1.0
	v_fmac_f32_e32 v6, v8, v6
	v_mul_f32_e32 v8, v7, v6
	v_fma_f32 v9, -v3, v8, v7
	v_fmac_f32_e32 v8, v9, v6
	v_fma_f32 v3, -v3, v8, v7
	v_div_fmas_f32 v3, v3, v6, v8
	v_div_fixup_f32 v2, v3, v2, 1.0
	v_xad_u32 v3, v0, -1, s19
	v_subrev_u32_e32 v6, s40, v3
	v_cmp_lt_u32_e32 vcc, s8, v6
	s_mov_b64 s[10:11], -1
	v_mov_b32_e32 v3, v0
	s_and_saveexec_b64 s[8:9], vcc
	s_cbranch_execz .LBB43_36
; %bb.28:
	v_lshrrev_b32_e32 v6, 7, v6
	v_add_u32_e32 v8, -1, v6
	v_lshrrev_b32_e32 v7, 1, v8
	v_mov_b32_e32 v3, v2
	v_add_u32_e32 v7, 1, v7
	v_cmp_lt_u32_e32 vcc, 13, v8
	v_mov_b32_e32 v10, 0
	s_and_saveexec_b64 s[10:11], vcc
	s_cbranch_execz .LBB43_32
; %bb.29:
	v_mov_b32_e32 v9, 0x310
	v_and_b32_e32 v8, -8, v7
	v_lshl_add_u32 v9, v0, 2, v9
	s_mov_b32 s19, 0
	s_mov_b64 s[12:13], 0
.LBB43_30:                              ; =>This Inner Loop Header: Depth=1
	ds_read2st64_b32 v[10:11], v9 offset1:2
	ds_read2st64_b32 v[12:13], v9 offset0:4 offset1:6
	ds_read2st64_b32 v[14:15], v9 offset0:8 offset1:10
	;; [unrolled: 1-line block ×3, first 2 shown]
	v_add_u32_e32 v8, -8, v8
	s_waitcnt lgkmcnt(3)
	v_pk_mul_f32 v[10:11], v[2:3], v[10:11]
	s_waitcnt lgkmcnt(2)
	v_pk_mul_f32 v[12:13], v[2:3], v[12:13]
	ds_write2st64_b32 v9, v10, v11 offset1:2
	ds_write2st64_b32 v9, v12, v13 offset0:4 offset1:6
	ds_read2st64_b32 v[12:13], v9 offset0:16 offset1:18
	s_waitcnt lgkmcnt(4)
	v_pk_mul_f32 v[10:11], v[2:3], v[14:15]
	ds_write2st64_b32 v9, v10, v11 offset0:8 offset1:10
	s_waitcnt lgkmcnt(4)
	v_pk_mul_f32 v[10:11], v[2:3], v[16:17]
	ds_write2st64_b32 v9, v10, v11 offset0:12 offset1:14
	ds_read2st64_b32 v[10:11], v9 offset0:20 offset1:22
	s_waitcnt lgkmcnt(3)
	v_pk_mul_f32 v[12:13], v[2:3], v[12:13]
	ds_read2st64_b32 v[14:15], v9 offset0:24 offset1:26
	ds_write2st64_b32 v9, v12, v13 offset0:16 offset1:18
	ds_read2st64_b32 v[12:13], v9 offset0:28 offset1:30
	s_waitcnt lgkmcnt(3)
	v_pk_mul_f32 v[10:11], v[2:3], v[10:11]
	ds_write2st64_b32 v9, v10, v11 offset0:20 offset1:22
	s_waitcnt lgkmcnt(3)
	v_pk_mul_f32 v[10:11], v[2:3], v[14:15]
	ds_write2st64_b32 v9, v10, v11 offset0:24 offset1:26
	s_waitcnt lgkmcnt(2)
	v_pk_mul_f32 v[10:11], v[2:3], v[12:13]
	s_add_i32 s19, s19, 16
	v_cmp_eq_u32_e32 vcc, 0, v8
	ds_write2st64_b32 v9, v10, v11 offset0:28 offset1:30
	v_add_u32_e32 v9, 0x2000, v9
	s_or_b64 s[12:13], vcc, s[12:13]
	v_mov_b32_e32 v10, s19
	s_andn2_b64 exec, exec, s[12:13]
	s_cbranch_execnz .LBB43_30
; %bb.31:
	s_or_b64 exec, exec, s[12:13]
.LBB43_32:
	s_or_b64 exec, exec, s[10:11]
	v_and_b32_e32 v7, 7, v7
	v_cmp_ne_u32_e32 vcc, 0, v7
	s_and_saveexec_b64 s[10:11], vcc
	s_cbranch_execz .LBB43_35
; %bb.33:
	v_lshlrev_b32_e32 v8, 9, v10
	v_lshlrev_b32_e32 v9, 2, v0
	s_movk_i32 s12, 0x310
	v_add3_u32 v8, v8, v9, s12
	s_mov_b64 s[12:13], 0
.LBB43_34:                              ; =>This Inner Loop Header: Depth=1
	ds_read2st64_b32 v[10:11], v8 offset1:2
	v_add_u32_e32 v7, -1, v7
	v_cmp_eq_u32_e32 vcc, 0, v7
	s_or_b64 s[12:13], vcc, s[12:13]
	s_waitcnt lgkmcnt(0)
	v_pk_mul_f32 v[10:11], v[2:3], v[10:11]
	ds_write2st64_b32 v8, v10, v11 offset1:2
	v_add_u32_e32 v8, 0x400, v8
	s_andn2_b64 exec, exec, s[12:13]
	s_cbranch_execnz .LBB43_34
.LBB43_35:
	s_or_b64 exec, exec, s[10:11]
	v_add_u32_e32 v6, 1, v6
	v_and_b32_e32 v7, 0x3fffffe, v6
	v_cmp_ne_u32_e32 vcc, v6, v7
	v_lshl_add_u32 v3, v7, 7, v0
	s_orn2_b64 s[10:11], vcc, exec
.LBB43_36:
	s_or_b64 exec, exec, s[8:9]
	s_and_b64 exec, exec, s[10:11]
	s_cbranch_execz .LBB43_39
; %bb.37:
	v_mov_b32_e32 v6, 0x310
	v_lshl_add_u32 v6, v3, 2, v6
	s_mov_b64 s[8:9], 0
.LBB43_38:                              ; =>This Inner Loop Header: Depth=1
	ds_read_b32 v7, v6
	v_add_u32_e32 v3, 0x80, v3
	v_cmp_le_i32_e32 vcc, s3, v3
	s_or_b64 s[8:9], vcc, s[8:9]
	s_waitcnt lgkmcnt(0)
	v_mul_f32_e32 v7, v2, v7
	ds_write_b32 v6, v7
	v_add_u32_e32 v6, 0x200, v6
	s_andn2_b64 exec, exec, s[8:9]
	s_cbranch_execnz .LBB43_38
.LBB43_39:
	s_or_b64 exec, exec, s[6:7]
	s_mul_i32 s3, s31, s30
	v_cmp_eq_u32_e32 vcc, 0, v0
	s_mul_i32 s6, s3, s5
	s_waitcnt lgkmcnt(0)
	s_barrier
	s_and_saveexec_b64 s[8:9], vcc
	s_cbranch_execz .LBB43_41
; %bb.40:
	s_ashr_i32 s7, s6, 31
	s_lshl_b64 s[10:11], s[6:7], 2
	s_add_u32 s5, s22, s10
	s_mul_i32 s2, s31, s2
	s_addc_u32 s7, s23, s11
	s_ashr_i32 s3, s2, 31
	s_lshl_b64 s[2:3], s[2:3], 2
	s_add_u32 s19, s5, s2
	s_addc_u32 s7, s7, s3
	s_ashr_i32 s5, s4, 31
	s_lshl_b64 s[12:13], s[4:5], 2
	s_add_u32 s22, s19, s12
	s_addc_u32 s23, s7, s13
	s_add_u32 s5, s20, s10
	s_addc_u32 s7, s21, s11
	;; [unrolled: 2-line block ×3, first 2 shown]
	s_add_u32 s2, s2, s12
	v_mov_b32_e32 v2, 0
	s_addc_u32 s3, s3, s13
	global_store_dword v2, v4, s[22:23]
	global_store_dword v2, v5, s[2:3]
.LBB43_41:
	s_or_b64 exec, exec, s[8:9]
	v_mov_b32_e32 v57, 0
	v_mov_b32_e32 v56, 0
	;; [unrolled: 1-line block ×12, first 2 shown]
	s_and_saveexec_b64 s[2:3], s[0:1]
	s_cbranch_execz .LBB43_69
; %bb.42:
	s_ashr_i32 s19, s18, 31
	s_lshl_b64 s[0:1], s[18:19], 2
	v_lshlrev_b32_e32 v2, 2, v0
	s_add_u32 s8, s14, s0
	v_and_b32_e32 v3, 12, v2
	s_addc_u32 s9, s15, s1
	s_add_i32 s27, s27, -1
	v_lshl_add_u32 v5, v68, 4, s40
	s_lshl_b64 s[0:1], s[34:35], 2
	v_and_b32_e32 v2, 0xfc, v2
	v_add3_u32 v93, v5, v3, 3
	v_lshlrev_b32_e32 v3, 4, v89
	s_add_u32 s0, s28, s0
	v_mov_b32_e32 v69, 0
	v_or_b32_e32 v4, 0x400, v2
	v_or_b32_e32 v6, 0x500, v2
	;; [unrolled: 1-line block ×8, first 2 shown]
	v_lshl_or_b32 v3, v68, 6, v3
	s_addc_u32 s1, s29, s1
	s_mov_b32 s5, s17
	v_add_u32_e32 v94, 0x310, v3
	v_lshl_add_u64 v[70:71], v[54:55], 2, s[0:1]
	s_mov_b64 s[10:11], 0
	v_lshlrev_b32_e32 v72, 2, v2
	v_lshlrev_b32_e32 v68, 2, v4
	;; [unrolled: 1-line block ×9, first 2 shown]
	v_mov_b32_e32 v73, v69
	v_mov_b32_e32 v57, v69
	v_mov_b32_e32 v56, v69
	v_mov_b32_e32 v59, v69
	v_mov_b32_e32 v58, v69
	v_mov_b32_e32 v61, v69
	v_mov_b32_e32 v60, v69
	v_mov_b32_e32 v63, v69
	v_mov_b32_e32 v62, v69
	v_mov_b32_e32 v65, v69
	v_mov_b32_e32 v64, v69
	v_mov_b32_e32 v67, v69
	v_mov_b32_e32 v66, v69
	s_branch .LBB43_44
.LBB43_43:                              ;   in Loop: Header=BB43_44 Depth=1
	s_or_b64 exec, exec, s[0:1]
	s_waitcnt vmcnt(1) lgkmcnt(0)
	v_mul_f32_e32 v51, v3, v51
	v_mul_f32_e32 v47, v3, v47
	;; [unrolled: 1-line block ×11, first 2 shown]
	s_waitcnt vmcnt(0)
	v_mul_f32_e32 v3, v3, v43
	v_fmac_f32_e32 v51, v2, v50
	v_fmac_f32_e32 v47, v2, v46
	;; [unrolled: 1-line block ×24, first 2 shown]
	v_add_u32_e32 v54, 2, v54
	v_fmac_f32_e32 v51, v5, v53
	v_fmac_f32_e32 v47, v5, v49
	;; [unrolled: 1-line block ×12, first 2 shown]
	v_cmp_le_i32_e32 vcc, s16, v54
	v_add_f32_e32 v56, v56, v51
	v_add_f32_e32 v59, v59, v47
	;; [unrolled: 1-line block ×12, first 2 shown]
	v_add_u32_e32 v93, 32, v93
	v_add_u32_e32 v94, 0x80, v94
	s_or_b64 s[10:11], vcc, s[10:11]
	v_lshl_add_u64 v[70:71], v[70:71], 0, 8
	s_andn2_b64 exec, exec, s[10:11]
	s_cbranch_execz .LBB43_68
.LBB43_44:                              ; =>This Inner Loop Header: Depth=1
	global_load_dword v2, v[70:71], off
	v_add_u32_e32 v55, -3, v93
	v_cmp_eq_u32_e32 vcc, s27, v54
	v_add_u32_e32 v96, -2, v93
	v_add_u32_e32 v95, -1, v93
	s_waitcnt vmcnt(0)
	v_mad_i64_i32 v[2:3], s[0:1], v2, s5, 0
	v_lshl_add_u64 v[42:43], v[2:3], 2, s[8:9]
	v_lshl_add_u64 v[18:19], v[42:43], 0, v[72:73]
	global_load_dwordx4 v[6:9], v[18:19], off
	ds_read_b128 v[2:5], v94
	s_and_saveexec_b64 s[12:13], vcc
	s_cbranch_execnz .LBB43_65
; %bb.45:                               ;   in Loop: Header=BB43_44 Depth=1
	s_or_b64 exec, exec, s[12:13]
	global_load_dwordx4 v[10:13], v[18:19], off offset:1024
	s_and_saveexec_b64 s[12:13], vcc
	s_cbranch_execnz .LBB43_66
.LBB43_46:                              ;   in Loop: Header=BB43_44 Depth=1
	s_or_b64 exec, exec, s[12:13]
	global_load_dwordx4 v[14:17], v[18:19], off offset:2048
	s_and_saveexec_b64 s[12:13], vcc
	s_cbranch_execnz .LBB43_67
.LBB43_47:                              ;   in Loop: Header=BB43_44 Depth=1
	s_or_b64 exec, exec, s[12:13]
	global_load_dwordx4 v[18:21], v[18:19], off offset:3072
	s_and_saveexec_b64 s[12:13], vcc
	s_cbranch_execz .LBB43_49
.LBB43_48:                              ;   in Loop: Header=BB43_44 Depth=1
	v_cmp_gt_i32_e64 s[0:1], s33, v55
	s_waitcnt vmcnt(0)
	s_nop 0
	v_cndmask_b32_e64 v18, 0, v18, s[0:1]
	v_cmp_gt_i32_e64 s[0:1], s33, v96
	s_nop 1
	v_cndmask_b32_e64 v19, 0, v19, s[0:1]
	v_cmp_gt_i32_e64 s[0:1], s33, v95
	;; [unrolled: 3-line block ×3, first 2 shown]
	s_nop 1
	v_cndmask_b32_e64 v21, 0, v21, s[0:1]
.LBB43_49:                              ;   in Loop: Header=BB43_44 Depth=1
	s_or_b64 exec, exec, s[12:13]
	v_lshl_add_u64 v[22:23], v[42:43], 0, v[68:69]
	global_load_dwordx4 v[22:25], v[22:23], off
	s_and_saveexec_b64 s[12:13], vcc
	s_cbranch_execz .LBB43_51
; %bb.50:                               ;   in Loop: Header=BB43_44 Depth=1
	v_cmp_gt_i32_e64 s[0:1], s33, v55
	s_waitcnt vmcnt(0)
	s_nop 0
	v_cndmask_b32_e64 v22, 0, v22, s[0:1]
	v_cmp_gt_i32_e64 s[0:1], s33, v96
	s_nop 1
	v_cndmask_b32_e64 v23, 0, v23, s[0:1]
	v_cmp_gt_i32_e64 s[0:1], s33, v95
	s_nop 1
	v_cndmask_b32_e64 v24, 0, v24, s[0:1]
	v_cmp_gt_i32_e64 s[0:1], s33, v93
	s_nop 1
	v_cndmask_b32_e64 v25, 0, v25, s[0:1]
.LBB43_51:                              ;   in Loop: Header=BB43_44 Depth=1
	s_or_b64 exec, exec, s[12:13]
	v_mov_b32_e32 v75, v69
	v_lshl_add_u64 v[26:27], v[42:43], 0, v[74:75]
	global_load_dwordx4 v[26:29], v[26:27], off
	s_and_saveexec_b64 s[12:13], vcc
	s_cbranch_execz .LBB43_53
; %bb.52:                               ;   in Loop: Header=BB43_44 Depth=1
	v_cmp_gt_i32_e64 s[0:1], s33, v55
	s_waitcnt vmcnt(0)
	s_nop 0
	v_cndmask_b32_e64 v26, 0, v26, s[0:1]
	v_cmp_gt_i32_e64 s[0:1], s33, v96
	s_nop 1
	v_cndmask_b32_e64 v27, 0, v27, s[0:1]
	v_cmp_gt_i32_e64 s[0:1], s33, v95
	s_nop 1
	v_cndmask_b32_e64 v28, 0, v28, s[0:1]
	v_cmp_gt_i32_e64 s[0:1], s33, v93
	s_nop 1
	v_cndmask_b32_e64 v29, 0, v29, s[0:1]
.LBB43_53:                              ;   in Loop: Header=BB43_44 Depth=1
	s_or_b64 exec, exec, s[12:13]
	v_mov_b32_e32 v77, v69
	;; [unrolled: 21-line block ×7, first 2 shown]
	v_lshl_add_u64 v[42:43], v[42:43], 0, v[86:87]
	global_load_dwordx4 v[42:45], v[42:43], off
	s_and_saveexec_b64 s[0:1], vcc
	s_cbranch_execz .LBB43_43
; %bb.64:                               ;   in Loop: Header=BB43_44 Depth=1
	v_cmp_gt_i32_e32 vcc, s33, v55
	s_waitcnt vmcnt(0)
	s_nop 0
	v_cndmask_b32_e32 v42, 0, v42, vcc
	v_cmp_gt_i32_e32 vcc, s33, v96
	s_nop 1
	v_cndmask_b32_e32 v43, 0, v43, vcc
	v_cmp_gt_i32_e32 vcc, s33, v95
	;; [unrolled: 3-line block ×3, first 2 shown]
	s_nop 1
	v_cndmask_b32_e32 v45, 0, v45, vcc
	s_branch .LBB43_43
.LBB43_65:                              ;   in Loop: Header=BB43_44 Depth=1
	v_cmp_gt_i32_e64 s[0:1], s33, v55
	s_waitcnt vmcnt(0)
	s_nop 0
	v_cndmask_b32_e64 v6, 0, v6, s[0:1]
	v_cmp_gt_i32_e64 s[0:1], s33, v96
	s_nop 1
	v_cndmask_b32_e64 v7, 0, v7, s[0:1]
	v_cmp_gt_i32_e64 s[0:1], s33, v95
	;; [unrolled: 3-line block ×3, first 2 shown]
	s_nop 1
	v_cndmask_b32_e64 v9, 0, v9, s[0:1]
	s_or_b64 exec, exec, s[12:13]
	global_load_dwordx4 v[10:13], v[18:19], off offset:1024
	s_and_saveexec_b64 s[12:13], vcc
	s_cbranch_execz .LBB43_46
.LBB43_66:                              ;   in Loop: Header=BB43_44 Depth=1
	v_cmp_gt_i32_e64 s[0:1], s33, v55
	s_waitcnt vmcnt(0)
	s_nop 0
	v_cndmask_b32_e64 v10, 0, v10, s[0:1]
	v_cmp_gt_i32_e64 s[0:1], s33, v96
	s_nop 1
	v_cndmask_b32_e64 v11, 0, v11, s[0:1]
	v_cmp_gt_i32_e64 s[0:1], s33, v95
	;; [unrolled: 3-line block ×3, first 2 shown]
	s_nop 1
	v_cndmask_b32_e64 v13, 0, v13, s[0:1]
	s_or_b64 exec, exec, s[12:13]
	global_load_dwordx4 v[14:17], v[18:19], off offset:2048
	s_and_saveexec_b64 s[12:13], vcc
	s_cbranch_execz .LBB43_47
.LBB43_67:                              ;   in Loop: Header=BB43_44 Depth=1
	v_cmp_gt_i32_e64 s[0:1], s33, v55
	s_waitcnt vmcnt(0)
	s_nop 0
	v_cndmask_b32_e64 v14, 0, v14, s[0:1]
	v_cmp_gt_i32_e64 s[0:1], s33, v96
	s_nop 1
	v_cndmask_b32_e64 v15, 0, v15, s[0:1]
	v_cmp_gt_i32_e64 s[0:1], s33, v95
	;; [unrolled: 3-line block ×3, first 2 shown]
	s_nop 1
	v_cndmask_b32_e64 v17, 0, v17, s[0:1]
	s_or_b64 exec, exec, s[12:13]
	global_load_dwordx4 v[18:21], v[18:19], off offset:3072
	s_and_saveexec_b64 s[12:13], vcc
	s_cbranch_execnz .LBB43_48
	s_branch .LBB43_49
.LBB43_68:
	s_or_b64 exec, exec, s[10:11]
.LBB43_69:
	s_or_b64 exec, exec, s[2:3]
	ds_bpermute_b32 v2, v92, v66
	ds_bpermute_b32 v3, v92, v67
	ds_bpermute_b32 v8, v92, v62
	ds_bpermute_b32 v9, v92, v63
	ds_bpermute_b32 v4, v92, v64
	ds_bpermute_b32 v5, v92, v65
	s_waitcnt lgkmcnt(4)
	v_pk_add_f32 v[2:3], v[66:67], v[2:3]
	ds_bpermute_b32 v6, v91, v2
	ds_bpermute_b32 v7, v91, v3
	;; [unrolled: 1-line block ×4, first 2 shown]
	s_waitcnt lgkmcnt(4)
	v_pk_add_f32 v[4:5], v[64:65], v[4:5]
	ds_bpermute_b32 v22, v92, v56
	s_waitcnt lgkmcnt(3)
	v_pk_add_f32 v[2:3], v[2:3], v[6:7]
	v_pk_add_f32 v[6:7], v[62:63], v[8:9]
	ds_bpermute_b32 v8, v92, v60
	ds_bpermute_b32 v9, v92, v61
	;; [unrolled: 1-line block ×4, first 2 shown]
	s_waitcnt lgkmcnt(5)
	v_pk_add_f32 v[14:15], v[58:59], v[14:15]
	ds_bpermute_b32 v23, v92, v57
	ds_bpermute_b32 v10, v91, v4
	;; [unrolled: 1-line block ×5, first 2 shown]
	s_waitcnt lgkmcnt(7)
	v_pk_add_f32 v[16:17], v[60:61], v[8:9]
	ds_bpermute_b32 v18, v91, v16
	ds_bpermute_b32 v19, v91, v17
	s_waitcnt lgkmcnt(7)
	v_pk_add_f32 v[8:9], v[6:7], v[12:13]
	s_waitcnt lgkmcnt(6)
	v_pk_add_f32 v[12:13], v[56:57], v[22:23]
	;; [unrolled: 2-line block ×4, first 2 shown]
	ds_bpermute_b32 v14, v91, v12
	ds_bpermute_b32 v15, v91, v13
	s_waitcnt lgkmcnt(2)
	v_pk_add_f32 v[6:7], v[16:17], v[18:19]
	v_and_b32_e32 v16, 0x3c3, v0
	v_cmp_ne_u32_e32 vcc, 64, v16
	s_waitcnt lgkmcnt(0)
	s_barrier
	s_and_saveexec_b64 s[0:1], vcc
	s_xor_b64 s[0:1], exec, s[0:1]
; %bb.70:
                                        ; implicit-def: $vgpr90
; %bb.71:
	s_or_saveexec_b64 s[0:1], s[0:1]
	v_pk_add_f32 v[12:13], v[12:13], v[14:15]
	s_xor_b64 exec, exec, s[0:1]
	s_cbranch_execz .LBB43_73
; %bb.72:
	v_add_u32_e32 v14, 0x310, v90
	ds_write2_b32 v14, v2, v3 offset1:16
	ds_write2_b32 v14, v10, v11 offset0:32 offset1:48
	ds_write2_b32 v14, v8, v9 offset0:64 offset1:80
	;; [unrolled: 1-line block ×5, first 2 shown]
.LBB43_73:
	s_or_b64 exec, exec, s[0:1]
	v_cmp_gt_u32_e32 vcc, 64, v0
	s_waitcnt lgkmcnt(0)
	s_barrier
	s_and_saveexec_b64 s[0:1], vcc
	s_cbranch_execz .LBB43_88
; %bb.74:
	v_cmp_eq_u32_e32 vcc, 0, v89
	s_and_saveexec_b64 s[2:3], vcc
	s_cbranch_execnz .LBB43_91
; %bb.75:
	s_or_b64 exec, exec, s[2:3]
	s_and_saveexec_b64 s[2:3], vcc
	s_cbranch_execnz .LBB43_92
.LBB43_76:
	s_or_b64 exec, exec, s[2:3]
	s_and_saveexec_b64 s[2:3], vcc
	s_cbranch_execnz .LBB43_93
.LBB43_77:
	s_or_b64 exec, exec, s[2:3]
	s_and_saveexec_b64 s[2:3], vcc
	s_cbranch_execnz .LBB43_94
.LBB43_78:
	s_or_b64 exec, exec, s[2:3]
	s_and_saveexec_b64 s[2:3], vcc
	s_cbranch_execnz .LBB43_95
.LBB43_79:
	s_or_b64 exec, exec, s[2:3]
	s_and_saveexec_b64 s[2:3], vcc
	s_cbranch_execnz .LBB43_96
.LBB43_80:
	s_or_b64 exec, exec, s[2:3]
	s_and_saveexec_b64 s[2:3], vcc
	s_cbranch_execnz .LBB43_97
.LBB43_81:
	s_or_b64 exec, exec, s[2:3]
	s_and_saveexec_b64 s[2:3], vcc
	s_cbranch_execnz .LBB43_98
.LBB43_82:
	s_or_b64 exec, exec, s[2:3]
	s_and_saveexec_b64 s[2:3], vcc
	s_cbranch_execnz .LBB43_99
.LBB43_83:
	s_or_b64 exec, exec, s[2:3]
	s_and_saveexec_b64 s[2:3], vcc
	s_cbranch_execnz .LBB43_100
.LBB43_84:
	s_or_b64 exec, exec, s[2:3]
	s_and_saveexec_b64 s[2:3], vcc
	s_cbranch_execnz .LBB43_101
.LBB43_85:
	s_or_b64 exec, exec, s[2:3]
	s_and_saveexec_b64 s[2:3], vcc
	s_cbranch_execz .LBB43_87
.LBB43_86:
	v_mov_b32_e32 v0, 0x310
	v_lshl_add_u32 v0, v88, 2, v0
	ds_read_b32 v0, v0 offset:704
	s_waitcnt lgkmcnt(0)
	v_add_f32_e32 v13, v13, v0
.LBB43_87:
	s_or_b64 exec, exec, s[2:3]
.LBB43_88:
	s_or_b64 exec, exec, s[0:1]
	v_cmp_eq_u32_e32 vcc, 0, v16
	s_barrier
	s_and_saveexec_b64 s[0:1], vcc
	s_cbranch_execz .LBB43_90
; %bb.89:
	s_mul_i32 s0, s6, 0xc0
	s_ashr_i32 s1, s0, 31
	s_lshl_b64 s[0:1], s[0:1], 2
	s_add_u32 s2, s24, s0
	s_mul_i32 s0, s31, s26
	s_addc_u32 s3, s25, s1
	s_ashr_i32 s1, s0, 31
	s_lshl_b64 s[0:1], s[0:1], 2
	s_add_u32 s2, s2, s0
	s_mul_i32 s0, s4, 0xc0
	s_addc_u32 s3, s3, s1
	s_ashr_i32 s1, s0, 31
	s_lshl_b64 s[0:1], s[0:1], 2
	s_add_u32 s0, s2, s0
	s_addc_u32 s1, s3, s1
	global_store_dword v1, v2, s[0:1]
	global_store_dword v1, v3, s[0:1] offset:64
	global_store_dword v1, v10, s[0:1] offset:128
	;; [unrolled: 1-line block ×11, first 2 shown]
.LBB43_90:
	s_endpgm
.LBB43_91:
	v_mov_b32_e32 v0, 0x310
	v_lshl_add_u32 v0, v88, 2, v0
	ds_read_b32 v0, v0
	s_waitcnt lgkmcnt(0)
	v_add_f32_e32 v2, v2, v0
	s_or_b64 exec, exec, s[2:3]
	s_and_saveexec_b64 s[2:3], vcc
	s_cbranch_execz .LBB43_76
.LBB43_92:
	v_mov_b32_e32 v0, 0x310
	v_lshl_add_u32 v0, v88, 2, v0
	ds_read_b32 v0, v0 offset:64
	s_waitcnt lgkmcnt(0)
	v_add_f32_e32 v3, v3, v0
	s_or_b64 exec, exec, s[2:3]
	s_and_saveexec_b64 s[2:3], vcc
	s_cbranch_execz .LBB43_77
.LBB43_93:
	v_mov_b32_e32 v0, 0x310
	v_lshl_add_u32 v0, v88, 2, v0
	ds_read_b32 v0, v0 offset:128
	s_waitcnt lgkmcnt(0)
	v_add_f32_e32 v10, v10, v0
	s_or_b64 exec, exec, s[2:3]
	s_and_saveexec_b64 s[2:3], vcc
	s_cbranch_execz .LBB43_78
.LBB43_94:
	v_mov_b32_e32 v0, 0x310
	v_lshl_add_u32 v0, v88, 2, v0
	ds_read_b32 v0, v0 offset:192
	s_waitcnt lgkmcnt(0)
	v_add_f32_e32 v11, v11, v0
	s_or_b64 exec, exec, s[2:3]
	s_and_saveexec_b64 s[2:3], vcc
	s_cbranch_execz .LBB43_79
.LBB43_95:
	v_mov_b32_e32 v0, 0x310
	v_lshl_add_u32 v0, v88, 2, v0
	ds_read_b32 v0, v0 offset:256
	s_waitcnt lgkmcnt(0)
	v_add_f32_e32 v8, v8, v0
	s_or_b64 exec, exec, s[2:3]
	s_and_saveexec_b64 s[2:3], vcc
	s_cbranch_execz .LBB43_80
.LBB43_96:
	v_mov_b32_e32 v0, 0x310
	v_lshl_add_u32 v0, v88, 2, v0
	ds_read_b32 v0, v0 offset:320
	s_waitcnt lgkmcnt(0)
	v_add_f32_e32 v9, v9, v0
	s_or_b64 exec, exec, s[2:3]
	s_and_saveexec_b64 s[2:3], vcc
	s_cbranch_execz .LBB43_81
.LBB43_97:
	v_mov_b32_e32 v0, 0x310
	v_lshl_add_u32 v0, v88, 2, v0
	ds_read_b32 v0, v0 offset:384
	s_waitcnt lgkmcnt(0)
	v_add_f32_e32 v6, v6, v0
	s_or_b64 exec, exec, s[2:3]
	s_and_saveexec_b64 s[2:3], vcc
	s_cbranch_execz .LBB43_82
.LBB43_98:
	v_mov_b32_e32 v0, 0x310
	v_lshl_add_u32 v0, v88, 2, v0
	ds_read_b32 v0, v0 offset:448
	s_waitcnt lgkmcnt(0)
	v_add_f32_e32 v7, v7, v0
	s_or_b64 exec, exec, s[2:3]
	s_and_saveexec_b64 s[2:3], vcc
	s_cbranch_execz .LBB43_83
.LBB43_99:
	v_mov_b32_e32 v0, 0x310
	v_lshl_add_u32 v0, v88, 2, v0
	ds_read_b32 v0, v0 offset:512
	s_waitcnt lgkmcnt(0)
	v_add_f32_e32 v4, v4, v0
	s_or_b64 exec, exec, s[2:3]
	s_and_saveexec_b64 s[2:3], vcc
	s_cbranch_execz .LBB43_84
.LBB43_100:
	v_mov_b32_e32 v0, 0x310
	v_lshl_add_u32 v0, v88, 2, v0
	ds_read_b32 v0, v0 offset:576
	s_waitcnt lgkmcnt(0)
	v_add_f32_e32 v5, v5, v0
	s_or_b64 exec, exec, s[2:3]
	s_and_saveexec_b64 s[2:3], vcc
	s_cbranch_execz .LBB43_85
.LBB43_101:
	v_mov_b32_e32 v0, 0x310
	v_lshl_add_u32 v0, v88, 2, v0
	ds_read_b32 v0, v0 offset:640
	s_waitcnt lgkmcnt(0)
	v_add_f32_e32 v12, v12, v0
	s_or_b64 exec, exec, s[2:3]
	s_and_saveexec_b64 s[2:3], vcc
	s_cbranch_execnz .LBB43_86
	s_branch .LBB43_87
	.section	.rodata,"a",@progbits
	.p2align	6, 0x0
	.amdhsa_kernel _ZN4vllm25paged_attention_v2_kernelIffLi192ELi16ELi128ELNS_18Fp8KVCacheDataTypeE0ELb0ELi512EEEvPfS2_PT_PKS3_PKT0_S9_ifPKiSB_iPKfiiiSD_SD_iiiii
		.amdhsa_group_segment_fixed_size 784
		.amdhsa_private_segment_fixed_size 0
		.amdhsa_kernarg_size 400
		.amdhsa_user_sgpr_count 2
		.amdhsa_user_sgpr_dispatch_ptr 0
		.amdhsa_user_sgpr_queue_ptr 0
		.amdhsa_user_sgpr_kernarg_segment_ptr 1
		.amdhsa_user_sgpr_dispatch_id 0
		.amdhsa_user_sgpr_kernarg_preload_length 0
		.amdhsa_user_sgpr_kernarg_preload_offset 0
		.amdhsa_user_sgpr_private_segment_size 0
		.amdhsa_uses_dynamic_stack 0
		.amdhsa_enable_private_segment 0
		.amdhsa_system_sgpr_workgroup_id_x 1
		.amdhsa_system_sgpr_workgroup_id_y 1
		.amdhsa_system_sgpr_workgroup_id_z 1
		.amdhsa_system_sgpr_workgroup_info 0
		.amdhsa_system_vgpr_workitem_id 0
		.amdhsa_next_free_vgpr 116
		.amdhsa_next_free_sgpr 44
		.amdhsa_accum_offset 116
		.amdhsa_reserve_vcc 1
		.amdhsa_float_round_mode_32 0
		.amdhsa_float_round_mode_16_64 0
		.amdhsa_float_denorm_mode_32 3
		.amdhsa_float_denorm_mode_16_64 3
		.amdhsa_dx10_clamp 1
		.amdhsa_ieee_mode 1
		.amdhsa_fp16_overflow 0
		.amdhsa_tg_split 0
		.amdhsa_exception_fp_ieee_invalid_op 0
		.amdhsa_exception_fp_denorm_src 0
		.amdhsa_exception_fp_ieee_div_zero 0
		.amdhsa_exception_fp_ieee_overflow 0
		.amdhsa_exception_fp_ieee_underflow 0
		.amdhsa_exception_fp_ieee_inexact 0
		.amdhsa_exception_int_div_zero 0
	.end_amdhsa_kernel
	.section	.text._ZN4vllm25paged_attention_v2_kernelIffLi192ELi16ELi128ELNS_18Fp8KVCacheDataTypeE0ELb0ELi512EEEvPfS2_PT_PKS3_PKT0_S9_ifPKiSB_iPKfiiiSD_SD_iiiii,"axG",@progbits,_ZN4vllm25paged_attention_v2_kernelIffLi192ELi16ELi128ELNS_18Fp8KVCacheDataTypeE0ELb0ELi512EEEvPfS2_PT_PKS3_PKT0_S9_ifPKiSB_iPKfiiiSD_SD_iiiii,comdat
.Lfunc_end43:
	.size	_ZN4vllm25paged_attention_v2_kernelIffLi192ELi16ELi128ELNS_18Fp8KVCacheDataTypeE0ELb0ELi512EEEvPfS2_PT_PKS3_PKT0_S9_ifPKiSB_iPKfiiiSD_SD_iiiii, .Lfunc_end43-_ZN4vllm25paged_attention_v2_kernelIffLi192ELi16ELi128ELNS_18Fp8KVCacheDataTypeE0ELb0ELi512EEEvPfS2_PT_PKS3_PKT0_S9_ifPKiSB_iPKfiiiSD_SD_iiiii
                                        ; -- End function
	.section	.AMDGPU.csdata,"",@progbits
; Kernel info:
; codeLenInByte = 6868
; NumSgprs: 50
; NumVgprs: 116
; NumAgprs: 0
; TotalNumVgprs: 116
; ScratchSize: 0
; MemoryBound: 0
; FloatMode: 240
; IeeeMode: 1
; LDSByteSize: 784 bytes/workgroup (compile time only)
; SGPRBlocks: 6
; VGPRBlocks: 14
; NumSGPRsForWavesPerEU: 50
; NumVGPRsForWavesPerEU: 116
; AccumOffset: 116
; Occupancy: 4
; WaveLimiterHint : 1
; COMPUTE_PGM_RSRC2:SCRATCH_EN: 0
; COMPUTE_PGM_RSRC2:USER_SGPR: 2
; COMPUTE_PGM_RSRC2:TRAP_HANDLER: 0
; COMPUTE_PGM_RSRC2:TGID_X_EN: 1
; COMPUTE_PGM_RSRC2:TGID_Y_EN: 1
; COMPUTE_PGM_RSRC2:TGID_Z_EN: 1
; COMPUTE_PGM_RSRC2:TIDIG_COMP_CNT: 0
; COMPUTE_PGM_RSRC3_GFX90A:ACCUM_OFFSET: 28
; COMPUTE_PGM_RSRC3_GFX90A:TG_SPLIT: 0
	.section	.text._ZN4vllm25paged_attention_v2_kernelIffLi256ELi16ELi128ELNS_18Fp8KVCacheDataTypeE0ELb0ELi512EEEvPfS2_PT_PKS3_PKT0_S9_ifPKiSB_iPKfiiiSD_SD_iiiii,"axG",@progbits,_ZN4vllm25paged_attention_v2_kernelIffLi256ELi16ELi128ELNS_18Fp8KVCacheDataTypeE0ELb0ELi512EEEvPfS2_PT_PKS3_PKT0_S9_ifPKiSB_iPKfiiiSD_SD_iiiii,comdat
	.protected	_ZN4vllm25paged_attention_v2_kernelIffLi256ELi16ELi128ELNS_18Fp8KVCacheDataTypeE0ELb0ELi512EEEvPfS2_PT_PKS3_PKT0_S9_ifPKiSB_iPKfiiiSD_SD_iiiii ; -- Begin function _ZN4vllm25paged_attention_v2_kernelIffLi256ELi16ELi128ELNS_18Fp8KVCacheDataTypeE0ELb0ELi512EEEvPfS2_PT_PKS3_PKT0_S9_ifPKiSB_iPKfiiiSD_SD_iiiii
	.globl	_ZN4vllm25paged_attention_v2_kernelIffLi256ELi16ELi128ELNS_18Fp8KVCacheDataTypeE0ELb0ELi512EEEvPfS2_PT_PKS3_PKT0_S9_ifPKiSB_iPKfiiiSD_SD_iiiii
	.p2align	8
	.type	_ZN4vllm25paged_attention_v2_kernelIffLi256ELi16ELi128ELNS_18Fp8KVCacheDataTypeE0ELb0ELi512EEEvPfS2_PT_PKS3_PKT0_S9_ifPKiSB_iPKfiiiSD_SD_iiiii,@function
_ZN4vllm25paged_attention_v2_kernelIffLi256ELi16ELi128ELNS_18Fp8KVCacheDataTypeE0ELb0ELi512EEEvPfS2_PT_PKS3_PKT0_S9_ifPKiSB_iPKfiiiSD_SD_iiiii: ; @_ZN4vllm25paged_attention_v2_kernelIffLi256ELi16ELi128ELNS_18Fp8KVCacheDataTypeE0ELb0ELi512EEEvPfS2_PT_PKS3_PKT0_S9_ifPKiSB_iPKfiiiSD_SD_iiiii
; %bb.0:
	s_load_dwordx2 s[6:7], s[0:1], 0x40
	s_mov_b32 s30, s3
	s_ashr_i32 s31, s3, 31
	s_lshl_b64 s[8:9], s[30:31], 2
	s_waitcnt lgkmcnt(0)
	s_add_u32 s6, s6, s8
	s_addc_u32 s7, s7, s9
	s_load_dword s33, s[6:7], 0x0
	s_lshl_b32 s40, s4, 9
	s_waitcnt lgkmcnt(0)
	s_cmp_ge_i32 s40, s33
	s_cbranch_scc1 .LBB44_102
; %bb.1:
	s_load_dword s5, s[0:1], 0x90
	s_load_dwordx2 s[10:11], s[0:1], 0x30
	v_mov_b32_e32 v117, v0
	s_waitcnt lgkmcnt(0)
	s_abs_i32 s7, s5
	s_abs_i32 s3, s10
	v_cvt_f32_u32_e32 v1, s3
	s_sub_i32 s8, 0, s3
	s_xor_b32 s6, s5, s10
	s_ashr_i32 s6, s6, 31
	v_rcp_iflag_f32_e32 v1, v1
	s_nop 0
	v_mul_f32_e32 v1, 0x4f7ffffe, v1
	v_cvt_u32_f32_e32 v1, v1
	s_nop 0
	v_readfirstlane_b32 s9, v1
	s_mul_i32 s8, s8, s9
	s_mul_hi_u32 s8, s9, s8
	s_add_i32 s9, s9, s8
	s_mul_hi_u32 s8, s7, s9
	s_mul_i32 s9, s8, s3
	s_sub_i32 s7, s7, s9
	s_add_i32 s10, s8, 1
	s_sub_i32 s9, s7, s3
	s_cmp_ge_u32 s7, s3
	s_cselect_b32 s8, s10, s8
	s_cselect_b32 s7, s9, s7
	s_add_i32 s9, s8, 1
	s_cmp_ge_u32 s7, s3
	s_cselect_b32 s3, s9, s8
	s_xor_b32 s3, s3, s6
	s_sub_i32 s10, s3, s6
	s_abs_i32 s36, s10
	v_cvt_f32_u32_e32 v1, s36
	s_load_dwordx2 s[6:7], s[0:1], 0x50
	s_sub_i32 s3, 0, s36
	s_abs_i32 s37, s2
	v_rcp_iflag_f32_e32 v1, v1
	s_nop 0
	v_mul_f32_e32 v1, 0x4f7ffffe, v1
	v_cvt_u32_f32_e32 v1, v1
	s_nop 0
	v_readfirstlane_b32 s8, v1
	s_mul_i32 s3, s3, s8
	s_mul_hi_u32 s3, s8, s3
	s_add_i32 s8, s8, s3
	s_waitcnt lgkmcnt(0)
	s_cmp_eq_u64 s[6:7], 0
	s_mov_b32 s3, 0
	s_cbranch_scc1 .LBB44_3
; %bb.2:
	s_ashr_i32 s3, s2, 31
	s_lshl_b64 s[12:13], s[2:3], 2
	s_add_u32 s6, s6, s12
	s_addc_u32 s7, s7, s13
	s_load_dword s3, s[6:7], 0x0
.LBB44_3:
	s_load_dwordx4 s[20:23], s[0:1], 0x0
	s_load_dwordx2 s[24:25], s[0:1], 0x10
	s_load_dwordx4 s[12:15], s[0:1], 0x20
	s_load_dwordx2 s[28:29], s[0:1], 0x38
	s_load_dword s31, s[0:1], 0x98
	s_load_dwordx4 s[16:19], s[0:1], 0x58
	v_lshrrev_b32_e32 v116, 2, v117
	s_lshl_b32 s26, s2, 8
	s_movk_i32 s6, 0x100
	s_mul_hi_u32 s38, s37, s8
	v_and_b32_e32 v125, 3, v117
	s_ashr_i32 s27, s26, 31
	v_cmp_gt_u32_e32 vcc, s6, v117
	v_lshlrev_b32_e32 v70, 2, v116
	s_and_saveexec_b64 s[6:7], vcc
	s_cbranch_execz .LBB44_6
; %bb.4:
	s_load_dwordx2 s[8:9], s[0:1], 0x18
	s_waitcnt lgkmcnt(0)
	s_mul_i32 s34, s30, s16
	s_ashr_i32 s35, s34, 31
	s_lshl_b64 s[34:35], s[34:35], 2
	s_lshl_b64 s[42:43], s[26:27], 2
	s_add_u32 s16, s34, s42
	s_addc_u32 s19, s35, s43
	v_or_b32_e32 v2, v70, v125
	s_add_u32 s8, s8, s16
	v_lshlrev_b32_e32 v2, 2, v2
	v_mov_b32_e32 v3, 0
	s_addc_u32 s9, s9, s19
	v_subrev_u32_e32 v4, 32, v116
	v_lshl_add_u32 v5, v125, 8, v70
	v_lshl_add_u64 v[2:3], s[8:9], 0, v[2:3]
	s_mov_b64 s[8:9], 0
	s_mov_b64 s[34:35], 0x200
.LBB44_5:                               ; =>This Inner Loop Header: Depth=1
	global_load_dword v6, v[2:3], off
	v_add_co_u32_e32 v4, vcc, 32, v4
	s_xor_b64 s[42:43], vcc, -1
	s_and_b64 s[42:43], exec, s[42:43]
	v_lshl_add_u64 v[2:3], v[2:3], 0, s[34:35]
	s_or_b64 s[8:9], s[42:43], s[8:9]
	s_waitcnt vmcnt(0)
	ds_write_b32 v5, v6
	v_add_u32_e32 v5, 0x80, v5
	s_andn2_b64 exec, exec, s[8:9]
	s_cbranch_execnz .LBB44_5
.LBB44_6:
	s_or_b64 exec, exec, s[6:7]
	s_add_i32 s8, s33, 15
	s_ashr_i32 s9, s8, 31
	s_ashr_i32 s6, s2, 31
	;; [unrolled: 1-line block ×3, first 2 shown]
	s_lshr_b32 s9, s9, 28
	s_add_i32 s8, s8, s9
	s_lshl_b32 s10, s4, 5
	s_xor_b32 s6, s6, s7
	s_mul_i32 s7, s38, s36
	s_ashr_i32 s27, s8, 4
	s_add_i32 s8, s10, 32
	s_sub_i32 s7, s37, s7
	s_waitcnt lgkmcnt(0)
	s_min_i32 s16, s8, s27
	s_add_i32 s8, s38, 1
	s_sub_i32 s9, s7, s36
	s_cmp_ge_u32 s7, s36
	s_load_dword s0, s[0:1], 0x48
	s_cselect_b32 s8, s8, s38
	s_cselect_b32 s7, s9, s7
	s_add_i32 s9, s8, 1
	s_cmp_ge_u32 s7, s36
	v_lshrrev_b32_e32 v45, 6, v117
	s_cselect_b32 s7, s9, s8
	s_xor_b32 s7, s7, s6
	s_waitcnt lgkmcnt(0)
	s_mul_i32 s34, s30, s0
	v_or_b32_e32 v126, s10, v45
	s_sub_i32 s8, s7, s6
	s_ashr_i32 s35, s34, 31
	v_cmp_gt_i32_e64 s[0:1], s16, v126
	v_cmp_le_i32_e32 vcc, s16, v126
	v_mbcnt_lo_u32_b32 v42, -1, 0
	s_barrier
	s_waitcnt lgkmcnt(0)
                                        ; implicit-def: $sgpr9
                                        ; implicit-def: $vgpr13
                                        ; implicit-def: $vgpr14
	s_and_saveexec_b64 s[6:7], vcc
	s_xor_b64 s[6:7], exec, s[6:7]
; %bb.7:
	v_mbcnt_hi_u32_b32 v13, -1, v42
	v_and_b32_e32 v2, 64, v13
	v_add_u32_e32 v14, 64, v2
	s_mov_b32 s9, 0xff7fffff
                                        ; implicit-def: $vgpr42
; %bb.8:
	s_or_saveexec_b64 s[36:37], s[6:7]
	v_mov_b32_e32 v0, s9
	s_mul_i32 s18, s8, s18
	v_ashrrev_i32_e32 v127, 31, v126
	s_xor_b64 exec, exec, s[36:37]
	s_cbranch_execz .LBB44_14
; %bb.9:
	s_ashr_i32 s19, s18, 31
	s_lshl_b64 s[6:7], s[18:19], 2
	v_bfe_u32 v43, v117, 2, 4
	s_add_u32 s6, s12, s6
	s_addc_u32 s7, s13, s7
	v_lshlrev_b32_e32 v2, 4, v43
	v_mov_b32_e32 v3, 0
	v_lshl_add_u64 v[4:5], s[6:7], 0, v[2:3]
	v_lshlrev_b32_e32 v2, 2, v125
	v_lshl_add_u64 v[0:1], v[4:5], 0, v[2:3]
	v_lshlrev_b32_e32 v62, 8, v125
	scratch_store_dwordx2 off, v[0:1], off offset:12 ; 8-byte Folded Spill
	ds_read_b128 v[0:3], v62
	scratch_store_dword off, v117, off offset:60 ; 4-byte Folded Spill
	v_lshlrev_b32_e32 v44, 2, v43
	s_sub_i32 s19, 1, s33
	s_lshl_b64 s[8:9], s[34:35], 2
	s_waitcnt lgkmcnt(0)
	scratch_store_dwordx4 off, v[0:3], off offset:20 ; 16-byte Folded Spill
	ds_read_b128 v[0:3], v62 offset:16
	s_add_u32 s8, s28, s8
	s_addc_u32 s9, s29, s9
	s_mov_b32 s41, s17
	v_cmp_neq_f32_e64 s[6:7], s3, 0
	s_waitcnt lgkmcnt(0)
	scratch_store_dwordx4 off, v[0:3], off offset:36 ; 16-byte Folded Spill
	ds_read_b128 v[10:13], v62 offset:32
	ds_read_b128 v[14:17], v62 offset:48
	;; [unrolled: 1-line block ×8, first 2 shown]
	v_mbcnt_hi_u32_b32 v0, -1, v42
	v_and_b32_e32 v42, 64, v0
	v_add_u32_e32 v1, 64, v42
	v_xor_b32_e32 v42, 2, v0
	v_cmp_lt_i32_e32 vcc, v42, v1
	scratch_store_dword off, v0, off offset:80 ; 4-byte Folded Spill
	scratch_store_dword off, v1, off offset:84 ; 4-byte Folded Spill
	v_cndmask_b32_e32 v42, v0, v42, vcc
	v_lshlrev_b32_e32 v2, 2, v42
	v_xor_b32_e32 v42, 1, v0
	v_cmp_lt_i32_e32 vcc, v42, v1
	scratch_store_dword off, v2, off offset:52 ; 4-byte Folded Spill
	v_lshl_add_u64 v[68:69], v[126:127], 2, s[8:9]
	v_cndmask_b32_e32 v42, v0, v42, vcc
	v_lshlrev_b32_e32 v0, 2, v42
	scratch_store_dword off, v0, off offset:56 ; 4-byte Folded Spill
	scratch_store_dword off, v125, off offset:64 ; 4-byte Folded Spill
	v_lshlrev_b32_e32 v42, 4, v45
	v_mov_b32_e32 v0, 0xff7fffff
	v_add3_u32 v77, s40, v42, v43
	scratch_store_dword off, v45, off offset:76 ; 4-byte Folded Spill
	v_lshl_or_b32 v42, v45, 6, v44
	scratch_store_dword off, v0, off offset:8 ; 4-byte Folded Spill
	v_add_u32_e32 v78, 0x410, v42
	ds_read_b128 v[42:45], v62 offset:160
	ds_read_b128 v[46:49], v62 offset:176
	;; [unrolled: 1-line block ×6, first 2 shown]
	v_cmp_eq_u32_e32 vcc, 0, v125
	s_mov_b64 s[12:13], 0
	s_movk_i32 s42, 0x1000
	s_movk_i32 s43, 0x2000
	;; [unrolled: 1-line block ×3, first 2 shown]
	v_mov_b32_e32 v79, v126
	scratch_store_dwordx2 off, v[126:127], off offset:68 ; 8-byte Folded Spill
	s_branch .LBB44_11
.LBB44_10:                              ;   in Loop: Header=BB44_11 Depth=1
	s_or_b64 exec, exec, s[38:39]
	v_add_u32_e32 v79, 2, v79
	v_cmp_le_i32_e64 s[8:9], s16, v79
	v_add_u32_e32 v77, 32, v77
	v_add_u32_e32 v78, 0x80, v78
	s_or_b64 s[12:13], s[8:9], s[12:13]
	v_lshl_add_u64 v[68:69], v[68:69], 0, 8
	s_andn2_b64 exec, exec, s[12:13]
	s_cbranch_execz .LBB44_13
.LBB44_11:                              ; =>This Inner Loop Header: Depth=1
	global_load_dword v80, v[68:69], off
	scratch_load_dwordx2 v[0:1], off, off offset:12 ; 8-byte Folded Reload
	s_waitcnt vmcnt(1) lgkmcnt(0)
	v_mad_i64_i32 v[80:81], s[8:9], v80, s41, 0
	s_waitcnt vmcnt(0)
	v_lshl_add_u64 v[80:81], v[80:81], 2, v[0:1]
	v_add_co_u32_e64 v82, s[8:9], s42, v80
	global_load_dword v86, v[80:81], off
	global_load_dword v87, v[80:81], off offset:256
	global_load_dword v89, v[80:81], off offset:512
	global_load_dword v90, v[80:81], off offset:768
	global_load_dword v91, v[80:81], off offset:1024
	global_load_dword v92, v[80:81], off offset:1280
	global_load_dword v93, v[80:81], off offset:1536
	global_load_dword v94, v[80:81], off offset:1792
	global_load_dword v95, v[80:81], off offset:2048
	global_load_dword v96, v[80:81], off offset:2304
	global_load_dword v97, v[80:81], off offset:2560
	global_load_dword v98, v[80:81], off offset:2816
	global_load_dword v99, v[80:81], off offset:3072
	global_load_dword v100, v[80:81], off offset:3328
	global_load_dword v101, v[80:81], off offset:3584
	global_load_dword v102, v[80:81], off offset:3840
	v_addc_co_u32_e64 v83, s[8:9], 0, v81, s[8:9]
	v_add_co_u32_e64 v84, s[8:9], s43, v80
	s_nop 1
	v_addc_co_u32_e64 v85, s[8:9], 0, v81, s[8:9]
	global_load_dword v103, v[84:85], off offset:-4096
	global_load_dword v104, v[82:83], off offset:256
	global_load_dword v105, v[82:83], off offset:512
	global_load_dword v106, v[82:83], off offset:768
	global_load_dword v107, v[82:83], off offset:1024
	global_load_dword v108, v[82:83], off offset:1280
	global_load_dword v109, v[82:83], off offset:1536
	global_load_dword v110, v[82:83], off offset:1792
	global_load_dword v111, v[82:83], off offset:2048
	global_load_dword v112, v[82:83], off offset:2304
	global_load_dword v113, v[82:83], off offset:2560
	global_load_dword v114, v[82:83], off offset:2816
	global_load_dword v115, v[82:83], off offset:3072
	global_load_dword v118, v[82:83], off offset:3328
	global_load_dword v119, v[82:83], off offset:3584
	s_nop 0
	global_load_dword v82, v[82:83], off offset:3840
	s_nop 0
	global_load_dword v83, v[84:85], off
	global_load_dword v120, v[84:85], off offset:256
	global_load_dword v121, v[84:85], off offset:512
	;; [unrolled: 1-line block ×13, first 2 shown]
	v_add_co_u32_e64 v80, s[8:9], s44, v80
	s_waitcnt vmcnt(0)
	scratch_store_dword off, v0, off offset:4 ; 4-byte Folded Spill
	global_load_dword v0, v[84:85], off offset:3584
	v_addc_co_u32_e64 v81, s[8:9], 0, v81, s[8:9]
	global_load_dword v84, v[84:85], off offset:3840
	s_waitcnt vmcnt(1)
	scratch_store_dword off, v0, off        ; 4-byte Folded Spill
	global_load_dword v85, v[80:81], off
	global_load_dword v75, v[80:81], off offset:256
	global_load_dword v76, v[80:81], off offset:512
	;; [unrolled: 1-line block ×14, first 2 shown]
	s_nop 0
	global_load_dword v80, v[80:81], off offset:3840
	s_nop 0
	scratch_load_dwordx4 v[6:9], off, off offset:20 ; 16-byte Folded Reload
	s_waitcnt vmcnt(0)
	v_mul_f32_e32 v81, v7, v87
	v_fmac_f32_e32 v81, v6, v86
	v_fmac_f32_e32 v81, v8, v89
	;; [unrolled: 1-line block ×3, first 2 shown]
	scratch_load_dwordx4 v[6:9], off, off offset:36 ; 16-byte Folded Reload
	s_waitcnt vmcnt(0)
	v_fmac_f32_e32 v81, v6, v91
	scratch_load_dword v6, off, off offset:4 ; 4-byte Folded Reload
	v_fmac_f32_e32 v81, v7, v92
	v_fmac_f32_e32 v81, v8, v93
	v_fmac_f32_e32 v81, v9, v94
	s_waitcnt lgkmcnt(13)
	v_fmac_f32_e32 v81, v10, v95
	v_fmac_f32_e32 v81, v11, v96
	v_fmac_f32_e32 v81, v12, v97
	v_fmac_f32_e32 v81, v13, v98
	s_waitcnt lgkmcnt(12)
	v_fmac_f32_e32 v81, v14, v99
	;; [unrolled: 5-line block ×10, first 2 shown]
	s_waitcnt vmcnt(0)
	v_fmac_f32_e32 v81, v47, v6
	scratch_load_dword v6, off, off         ; 4-byte Folded Reload
	s_waitcnt vmcnt(0)
	v_fmac_f32_e32 v81, v48, v6
	v_fmac_f32_e32 v81, v49, v84
	s_waitcnt lgkmcnt(3)
	v_fmac_f32_e32 v81, v50, v85
	v_fmac_f32_e32 v81, v51, v75
	v_fmac_f32_e32 v81, v52, v76
	v_fmac_f32_e32 v81, v53, v72
	s_waitcnt lgkmcnt(2)
	v_fmac_f32_e32 v81, v54, v66
	v_fmac_f32_e32 v81, v55, v67
	;; [unrolled: 5-line block ×3, first 2 shown]
	scratch_load_dword v0, off, off offset:52 ; 4-byte Folded Reload
	v_fmac_f32_e32 v81, v60, v1
	v_fmac_f32_e32 v81, v61, v2
	s_waitcnt lgkmcnt(0)
	v_fmac_f32_e32 v81, v62, v3
	v_fmac_f32_e32 v81, v63, v4
	;; [unrolled: 1-line block ×4, first 2 shown]
	s_waitcnt vmcnt(0)
	ds_bpermute_b32 v0, v0, v81
	s_waitcnt lgkmcnt(0)
	v_add_f32_e32 v80, v81, v0
	scratch_load_dword v0, off, off offset:56 ; 4-byte Folded Reload
	s_waitcnt vmcnt(0)
	ds_bpermute_b32 v81, v0, v80
	s_and_saveexec_b64 s[38:39], vcc
	s_cbranch_execz .LBB44_10
; %bb.12:                               ;   in Loop: Header=BB44_11 Depth=1
	scratch_load_dword v3, off, off offset:8 ; 4-byte Folded Reload
	v_add_u32_e32 v0, s19, v77
	v_cvt_f32_i32_e32 v0, v0
	s_waitcnt lgkmcnt(0)
	v_add_f32_e32 v1, v80, v81
	v_cmp_gt_i32_e64 s[8:9], s33, v77
	v_mul_f32_e32 v0, s3, v0
	v_cndmask_b32_e64 v0, 0, v0, s[6:7]
	v_fmac_f32_e32 v0, s11, v1
	v_cndmask_b32_e64 v1, 0, v0, s[8:9]
	ds_write_b32 v78, v1
	s_waitcnt vmcnt(0)
	v_max_f32_e32 v2, v3, v3
	v_max_f32_e32 v0, v2, v0
	v_cndmask_b32_e64 v3, v3, v0, s[8:9]
	scratch_store_dword off, v3, off offset:8 ; 4-byte Folded Spill
	s_branch .LBB44_10
.LBB44_13:
	s_or_b64 exec, exec, s[12:13]
	scratch_load_dword v117, off, off offset:60 ; 4-byte Folded Reload
	scratch_load_dword v125, off, off offset:64 ; 4-byte Folded Reload
	scratch_load_dwordx2 v[126:127], off, off offset:68 ; 8-byte Folded Reload
	scratch_load_dword v45, off, off offset:76 ; 4-byte Folded Reload
	scratch_load_dword v13, off, off offset:80 ; 4-byte Folded Reload
	;; [unrolled: 1-line block ×4, first 2 shown]
	s_waitcnt vmcnt(6)
	v_lshrrev_b32_e32 v116, 2, v117
	v_lshlrev_b32_e32 v70, 2, v116
.LBB44_14:
	s_or_b64 exec, exec, s[36:37]
	s_waitcnt vmcnt(2)
	v_xor_b32_e32 v2, 32, v13
	s_waitcnt vmcnt(1)
	v_cmp_lt_i32_e32 vcc, v2, v14
	v_xor_b32_e32 v5, 16, v13
	s_waitcnt vmcnt(0)
	v_max_f32_e32 v4, v0, v0
	v_cndmask_b32_e32 v2, v13, v2, vcc
	v_lshlrev_b32_e32 v2, 2, v2
	ds_bpermute_b32 v3, v2, v0
	v_cmp_lt_i32_e32 vcc, v5, v14
	v_xor_b32_e32 v6, 8, v13
	v_and_b32_e32 v118, 63, v117
	s_waitcnt lgkmcnt(0)
	v_max_f32_e32 v3, v3, v3
	v_max_f32_e32 v4, v4, v3
	v_cndmask_b32_e32 v3, v13, v5, vcc
	v_lshlrev_b32_e32 v3, 2, v3
	ds_bpermute_b32 v5, v3, v4
	v_cmp_lt_i32_e32 vcc, v6, v14
	s_waitcnt lgkmcnt(0)
	v_max_f32_e32 v5, v5, v5
	v_max_f32_e32 v4, v4, v5
	v_cndmask_b32_e32 v5, v13, v6, vcc
	v_lshlrev_b32_e32 v7, 2, v5
	ds_bpermute_b32 v5, v7, v4
	v_xor_b32_e32 v6, 4, v13
	v_cmp_lt_i32_e32 vcc, v6, v14
	s_waitcnt lgkmcnt(0)
	v_max_f32_e32 v5, v5, v5
	v_max_f32_e32 v4, v4, v5
	v_cndmask_b32_e32 v5, v13, v6, vcc
	v_lshlrev_b32_e32 v8, 2, v5
	ds_bpermute_b32 v6, v8, v4
	v_cmp_eq_u32_e32 vcc, 0, v118
	v_lshlrev_b32_e32 v5, 2, v45
	s_and_saveexec_b64 s[6:7], vcc
	s_cbranch_execz .LBB44_16
; %bb.15:
	s_waitcnt lgkmcnt(0)
	v_max_f32_e32 v0, v6, v6
	v_max_f32_e32 v1, v4, v4
	;; [unrolled: 1-line block ×3, first 2 shown]
	ds_write_b32 v5, v0 offset:1024
.LBB44_16:
	s_or_b64 exec, exec, s[6:7]
	v_cmp_gt_u32_e64 s[6:7], 2, v118
	v_mov_b32_e32 v4, 0xff7fffff
	s_waitcnt lgkmcnt(0)
	v_lshlrev_b32_e32 v6, 2, v118
	s_barrier
	s_and_saveexec_b64 s[8:9], s[6:7]
	s_cbranch_execz .LBB44_18
; %bb.17:
	ds_read_b32 v4, v6 offset:1024
.LBB44_18:
	s_or_b64 exec, exec, s[8:9]
	v_xor_b32_e32 v0, 1, v13
	v_cmp_lt_i32_e64 s[8:9], v0, v14
	s_waitcnt lgkmcnt(0)
	v_max_f32_e32 v1, v4, v4
	s_sub_i32 s3, s16, s10
	v_cndmask_b32_e64 v0, v13, v0, s[8:9]
	v_lshlrev_b32_e32 v119, 2, v0
	ds_bpermute_b32 v0, v119, v4
	s_lshl_b32 s3, s3, 4
	s_add_i32 s3, s3, s40
	s_min_i32 s19, s3, s33
	s_sub_i32 s3, s19, s40
	s_waitcnt lgkmcnt(0)
	v_max_f32_e32 v0, v0, v0
	v_max_f32_e32 v0, v1, v0
	v_lshlrev_b32_e32 v1, 2, v13
	v_and_b32_e32 v9, 0xffffff00, v1
	ds_bpermute_b32 v4, v9, v0
	v_cmp_gt_i32_e64 s[8:9], s3, v117
	v_mov_b32_e32 v10, 0
	s_and_saveexec_b64 s[12:13], s[8:9]
	s_cbranch_execz .LBB44_22
; %bb.19:
	v_mov_b32_e32 v0, 0x410
	v_lshl_add_u32 v11, v117, 2, v0
	s_mov_b64 s[36:37], 0
	v_mov_b32_e32 v10, 0
	v_mov_b32_e32 v12, v117
.LBB44_20:                              ; =>This Inner Loop Header: Depth=1
	ds_read_b32 v0, v11
	v_add_u32_e32 v12, 0x80, v12
	v_cmp_le_i32_e64 s[10:11], s3, v12
	s_or_b64 s[36:37], s[10:11], s[36:37]
	s_waitcnt lgkmcnt(0)
	v_sub_f32_e32 v0, v0, v4
	v_mul_f32_e32 v0, 0x3fb8aa3b, v0
	v_exp_f32_e32 v0, v0
	ds_write_b32 v11, v0
	v_add_f32_e32 v10, v10, v0
	v_add_u32_e32 v11, 0x200, v11
	s_andn2_b64 exec, exec, s[36:37]
	s_cbranch_execnz .LBB44_20
; %bb.21:
	s_or_b64 exec, exec, s[36:37]
.LBB44_22:
	s_or_b64 exec, exec, s[12:13]
	ds_bpermute_b32 v0, v2, v10
	v_xor_b32_e32 v2, 2, v13
	v_cmp_lt_i32_e64 s[10:11], v2, v14
	s_waitcnt lgkmcnt(0)
	v_add_f32_e32 v0, v10, v0
	ds_bpermute_b32 v1, v3, v0
	v_cndmask_b32_e64 v2, v13, v2, s[10:11]
	v_lshlrev_b32_e32 v120, 2, v2
	s_waitcnt lgkmcnt(0)
	v_add_f32_e32 v0, v0, v1
	ds_bpermute_b32 v1, v7, v0
	s_waitcnt lgkmcnt(0)
	v_add_f32_e32 v0, v0, v1
	ds_bpermute_b32 v1, v8, v0
	;; [unrolled: 3-line block ×4, first 2 shown]
	s_waitcnt lgkmcnt(0)
	v_add_f32_e32 v2, v0, v1
	s_and_saveexec_b64 s[10:11], vcc
	s_cbranch_execz .LBB44_24
; %bb.23:
	ds_write_b32 v5, v2 offset:1032
.LBB44_24:
	s_or_b64 exec, exec, s[10:11]
	s_waitcnt lgkmcnt(0)
	s_barrier
	s_and_saveexec_b64 s[10:11], s[6:7]
	s_cbranch_execz .LBB44_26
; %bb.25:
	ds_read_b32 v2, v6 offset:1032
.LBB44_26:
	s_or_b64 exec, exec, s[10:11]
	s_waitcnt lgkmcnt(0)
	ds_bpermute_b32 v0, v119, v2
	s_waitcnt lgkmcnt(0)
	v_add_f32_e32 v0, v2, v0
	ds_bpermute_b32 v5, v9, v0
	s_and_saveexec_b64 s[6:7], s[8:9]
	s_cbranch_execz .LBB44_39
; %bb.27:
	s_waitcnt lgkmcnt(0)
	v_add_f32_e32 v0, 0x358637bd, v5
	v_div_scale_f32 v1, s[8:9], v0, v0, 1.0
	v_rcp_f32_e32 v2, v1
	v_div_scale_f32 v3, vcc, 1.0, v0, 1.0
	s_movk_i32 s8, 0x7f
	v_fma_f32 v6, -v1, v2, 1.0
	v_fmac_f32_e32 v2, v6, v2
	v_mul_f32_e32 v6, v3, v2
	v_fma_f32 v7, -v1, v6, v3
	v_fmac_f32_e32 v6, v7, v2
	v_fma_f32 v1, -v1, v6, v3
	v_div_fmas_f32 v1, v1, v2, v6
	v_div_fixup_f32 v2, v1, v0, 1.0
	v_xad_u32 v0, v117, -1, s19
	v_subrev_u32_e32 v6, s40, v0
	v_cmp_lt_u32_e32 vcc, s8, v6
	s_mov_b64 s[10:11], -1
	v_mov_b32_e32 v3, v117
	s_and_saveexec_b64 s[8:9], vcc
	s_cbranch_execz .LBB44_36
; %bb.28:
	v_lshrrev_b32_e32 v6, 7, v6
	v_add_u32_e32 v0, -1, v6
	v_lshrrev_b32_e32 v1, 1, v0
	v_mov_b32_e32 v3, v2
	v_add_u32_e32 v7, 1, v1
	v_cmp_lt_u32_e32 vcc, 13, v0
	v_mov_b32_e32 v10, 0
	s_and_saveexec_b64 s[10:11], vcc
	s_cbranch_execz .LBB44_32
; %bb.29:
	v_mov_b32_e32 v0, 0x410
	v_and_b32_e32 v8, -8, v7
	v_lshl_add_u32 v9, v117, 2, v0
	s_mov_b32 s19, 0
	s_mov_b64 s[12:13], 0
.LBB44_30:                              ; =>This Inner Loop Header: Depth=1
	ds_read2st64_b32 v[10:11], v9 offset1:2
	ds_read2st64_b32 v[12:13], v9 offset0:4 offset1:6
	ds_read2st64_b32 v[14:15], v9 offset0:8 offset1:10
	ds_read2st64_b32 v[16:17], v9 offset0:12 offset1:14
	v_add_u32_e32 v8, -8, v8
	s_waitcnt lgkmcnt(3)
	v_pk_mul_f32 v[10:11], v[2:3], v[10:11]
	s_waitcnt lgkmcnt(2)
	v_pk_mul_f32 v[12:13], v[2:3], v[12:13]
	ds_write2st64_b32 v9, v10, v11 offset1:2
	ds_write2st64_b32 v9, v12, v13 offset0:4 offset1:6
	ds_read2st64_b32 v[12:13], v9 offset0:16 offset1:18
	s_waitcnt lgkmcnt(4)
	v_pk_mul_f32 v[10:11], v[2:3], v[14:15]
	ds_write2st64_b32 v9, v10, v11 offset0:8 offset1:10
	s_waitcnt lgkmcnt(4)
	v_pk_mul_f32 v[10:11], v[2:3], v[16:17]
	ds_write2st64_b32 v9, v10, v11 offset0:12 offset1:14
	ds_read2st64_b32 v[10:11], v9 offset0:20 offset1:22
	s_waitcnt lgkmcnt(3)
	v_pk_mul_f32 v[12:13], v[2:3], v[12:13]
	ds_read2st64_b32 v[14:15], v9 offset0:24 offset1:26
	ds_write2st64_b32 v9, v12, v13 offset0:16 offset1:18
	ds_read2st64_b32 v[12:13], v9 offset0:28 offset1:30
	s_waitcnt lgkmcnt(3)
	v_pk_mul_f32 v[10:11], v[2:3], v[10:11]
	ds_write2st64_b32 v9, v10, v11 offset0:20 offset1:22
	s_waitcnt lgkmcnt(3)
	v_pk_mul_f32 v[10:11], v[2:3], v[14:15]
	ds_write2st64_b32 v9, v10, v11 offset0:24 offset1:26
	s_waitcnt lgkmcnt(2)
	v_pk_mul_f32 v[10:11], v[2:3], v[12:13]
	s_add_i32 s19, s19, 16
	v_cmp_eq_u32_e32 vcc, 0, v8
	ds_write2st64_b32 v9, v10, v11 offset0:28 offset1:30
	v_add_u32_e32 v9, 0x2000, v9
	s_or_b64 s[12:13], vcc, s[12:13]
	v_mov_b32_e32 v10, s19
	s_andn2_b64 exec, exec, s[12:13]
	s_cbranch_execnz .LBB44_30
; %bb.31:
	s_or_b64 exec, exec, s[12:13]
.LBB44_32:
	s_or_b64 exec, exec, s[10:11]
	v_and_b32_e32 v7, 7, v7
	v_cmp_ne_u32_e32 vcc, 0, v7
	s_and_saveexec_b64 s[10:11], vcc
	s_cbranch_execz .LBB44_35
; %bb.33:
	v_lshlrev_b32_e32 v0, 9, v10
	v_lshlrev_b32_e32 v1, 2, v117
	s_movk_i32 s12, 0x410
	v_add3_u32 v8, v0, v1, s12
	s_mov_b64 s[12:13], 0
.LBB44_34:                              ; =>This Inner Loop Header: Depth=1
	ds_read2st64_b32 v[10:11], v8 offset1:2
	v_add_u32_e32 v7, -1, v7
	v_cmp_eq_u32_e32 vcc, 0, v7
	s_or_b64 s[12:13], vcc, s[12:13]
	s_waitcnt lgkmcnt(0)
	v_pk_mul_f32 v[10:11], v[2:3], v[10:11]
	ds_write2st64_b32 v8, v10, v11 offset1:2
	v_add_u32_e32 v8, 0x400, v8
	s_andn2_b64 exec, exec, s[12:13]
	s_cbranch_execnz .LBB44_34
.LBB44_35:
	s_or_b64 exec, exec, s[10:11]
	v_add_u32_e32 v0, 1, v6
	v_and_b32_e32 v1, 0x3fffffe, v0
	v_cmp_ne_u32_e32 vcc, v0, v1
	v_lshl_add_u32 v3, v1, 7, v117
	s_orn2_b64 s[10:11], vcc, exec
.LBB44_36:
	s_or_b64 exec, exec, s[8:9]
	s_and_b64 exec, exec, s[10:11]
	s_cbranch_execz .LBB44_39
; %bb.37:
	v_mov_b32_e32 v0, 0x410
	v_lshl_add_u32 v6, v3, 2, v0
	s_mov_b64 s[8:9], 0
.LBB44_38:                              ; =>This Inner Loop Header: Depth=1
	ds_read_b32 v0, v6
	v_add_u32_e32 v3, 0x80, v3
	v_cmp_le_i32_e32 vcc, s3, v3
	s_or_b64 s[8:9], vcc, s[8:9]
	s_waitcnt lgkmcnt(0)
	v_mul_f32_e32 v0, v2, v0
	ds_write_b32 v6, v0
	v_add_u32_e32 v6, 0x200, v6
	s_andn2_b64 exec, exec, s[8:9]
	s_cbranch_execnz .LBB44_38
.LBB44_39:
	s_or_b64 exec, exec, s[6:7]
	s_mul_i32 s3, s31, s30
	v_cmp_eq_u32_e32 vcc, 0, v117
	s_mul_i32 s6, s3, s5
	s_waitcnt lgkmcnt(0)
	s_barrier
	s_and_saveexec_b64 s[8:9], vcc
	s_cbranch_execz .LBB44_41
; %bb.40:
	s_ashr_i32 s7, s6, 31
	s_lshl_b64 s[10:11], s[6:7], 2
	s_add_u32 s5, s22, s10
	s_mul_i32 s2, s31, s2
	s_addc_u32 s7, s23, s11
	s_ashr_i32 s3, s2, 31
	s_lshl_b64 s[2:3], s[2:3], 2
	s_add_u32 s19, s5, s2
	s_addc_u32 s7, s7, s3
	s_ashr_i32 s5, s4, 31
	s_lshl_b64 s[12:13], s[4:5], 2
	s_add_u32 s22, s19, s12
	s_addc_u32 s23, s7, s13
	s_add_u32 s5, s20, s10
	s_addc_u32 s7, s21, s11
	;; [unrolled: 2-line block ×3, first 2 shown]
	s_add_u32 s2, s2, s12
	v_mov_b32_e32 v0, 0
	s_addc_u32 s3, s3, s13
	global_store_dword v0, v4, s[22:23]
	global_store_dword v0, v5, s[2:3]
.LBB44_41:
	s_or_b64 exec, exec, s[8:9]
	v_mov_b32_e32 v86, 0
	v_mov_b32_e32 v87, 0
	;; [unrolled: 1-line block ×16, first 2 shown]
	s_and_saveexec_b64 s[2:3], s[0:1]
	s_cbranch_execz .LBB44_77
; %bb.42:
	s_ashr_i32 s19, s18, 31
	s_lshl_b64 s[0:1], s[18:19], 2
	v_lshlrev_b32_e32 v0, 2, v117
	s_add_u32 s8, s14, s0
	v_and_b32_e32 v1, 12, v0
	s_addc_u32 s9, s15, s1
	s_add_i32 s27, s27, -1
	v_and_b32_e32 v2, 0xfc, v0
	v_or_b32_e32 v26, 0xf00, v0
	v_lshl_add_u32 v0, v45, 4, s40
	s_lshl_b64 s[0:1], s[34:35], 2
	v_add3_u32 v121, v0, v1, 3
	v_lshlrev_b32_e32 v0, 4, v125
	s_add_u32 s0, s28, s0
	v_mov_b32_e32 v89, 0
	v_or_b32_e32 v4, 0x400, v2
	v_or_b32_e32 v6, 0x500, v2
	;; [unrolled: 1-line block ×11, first 2 shown]
	v_lshl_or_b32 v0, v45, 6, v0
	s_addc_u32 s1, s29, s1
	s_mov_b32 s5, s17
	v_add_u32_e32 v122, 0x410, v0
	v_lshl_add_u64 v[90:91], v[126:127], 2, s[0:1]
	s_mov_b64 s[10:11], 0
	v_lshlrev_b32_e32 v92, 2, v2
	v_lshlrev_b32_e32 v88, 2, v4
	;; [unrolled: 1-line block ×13, first 2 shown]
	v_mov_b32_e32 v93, v89
	v_mov_b32_e32 v73, v89
	;; [unrolled: 1-line block ×17, first 2 shown]
	s_branch .LBB44_44
.LBB44_43:                              ;   in Loop: Header=BB44_44 Depth=1
	s_or_b64 exec, exec, s[0:1]
	s_waitcnt vmcnt(1) lgkmcnt(0)
	v_mul_f32_e32 v0, v3, v67
	v_fmac_f32_e32 v0, v2, v66
	v_fmac_f32_e32 v0, v4, v68
	v_fmac_f32_e32 v0, v5, v69
	v_add_f32_e32 v72, v72, v0
	v_mul_f32_e32 v0, v3, v63
	v_fmac_f32_e32 v0, v2, v62
	v_fmac_f32_e32 v0, v4, v64
	v_fmac_f32_e32 v0, v5, v65
	v_add_f32_e32 v75, v75, v0
	;; [unrolled: 5-line block ×15, first 2 shown]
	s_waitcnt vmcnt(0)
	v_mul_f32_e32 v0, v3, v59
	v_fmac_f32_e32 v0, v2, v58
	v_fmac_f32_e32 v0, v4, v60
	v_add_u32_e32 v126, 2, v126
	v_fmac_f32_e32 v0, v5, v61
	v_cmp_le_i32_e32 vcc, s16, v126
	v_add_f32_e32 v73, v73, v0
	v_add_u32_e32 v121, 32, v121
	v_add_u32_e32 v122, 0x80, v122
	s_or_b64 s[10:11], vcc, s[10:11]
	v_lshl_add_u64 v[90:91], v[90:91], 0, 8
	s_andn2_b64 exec, exec, s[10:11]
	s_cbranch_execz .LBB44_76
.LBB44_44:                              ; =>This Inner Loop Header: Depth=1
	global_load_dword v0, v[90:91], off
	v_add_u32_e32 v71, -3, v121
	v_cmp_eq_u32_e32 vcc, s27, v126
	v_add_u32_e32 v124, -2, v121
	v_add_u32_e32 v123, -1, v121
	s_waitcnt vmcnt(0)
	v_mad_i64_i32 v[2:3], s[0:1], v0, s5, 0
	v_lshl_add_u64 v[58:59], v[2:3], 2, s[8:9]
	v_lshl_add_u64 v[18:19], v[58:59], 0, v[92:93]
	global_load_dwordx4 v[6:9], v[18:19], off
	ds_read_b128 v[2:5], v122
	s_and_saveexec_b64 s[12:13], vcc
	s_cbranch_execnz .LBB44_73
; %bb.45:                               ;   in Loop: Header=BB44_44 Depth=1
	s_or_b64 exec, exec, s[12:13]
	global_load_dwordx4 v[10:13], v[18:19], off offset:1024
	s_and_saveexec_b64 s[12:13], vcc
	s_cbranch_execnz .LBB44_74
.LBB44_46:                              ;   in Loop: Header=BB44_44 Depth=1
	s_or_b64 exec, exec, s[12:13]
	global_load_dwordx4 v[14:17], v[18:19], off offset:2048
	s_and_saveexec_b64 s[12:13], vcc
	s_cbranch_execnz .LBB44_75
.LBB44_47:                              ;   in Loop: Header=BB44_44 Depth=1
	s_or_b64 exec, exec, s[12:13]
	global_load_dwordx4 v[18:21], v[18:19], off offset:3072
	s_and_saveexec_b64 s[12:13], vcc
	s_cbranch_execz .LBB44_49
.LBB44_48:                              ;   in Loop: Header=BB44_44 Depth=1
	v_cmp_gt_i32_e64 s[0:1], s33, v71
	s_waitcnt vmcnt(0)
	s_nop 0
	v_cndmask_b32_e64 v18, 0, v18, s[0:1]
	v_cmp_gt_i32_e64 s[0:1], s33, v124
	s_nop 1
	v_cndmask_b32_e64 v19, 0, v19, s[0:1]
	v_cmp_gt_i32_e64 s[0:1], s33, v123
	;; [unrolled: 3-line block ×3, first 2 shown]
	s_nop 1
	v_cndmask_b32_e64 v21, 0, v21, s[0:1]
.LBB44_49:                              ;   in Loop: Header=BB44_44 Depth=1
	s_or_b64 exec, exec, s[12:13]
	v_lshl_add_u64 v[22:23], v[58:59], 0, v[88:89]
	global_load_dwordx4 v[22:25], v[22:23], off
	s_and_saveexec_b64 s[12:13], vcc
	s_cbranch_execz .LBB44_51
; %bb.50:                               ;   in Loop: Header=BB44_44 Depth=1
	v_cmp_gt_i32_e64 s[0:1], s33, v71
	s_waitcnt vmcnt(0)
	s_nop 0
	v_cndmask_b32_e64 v22, 0, v22, s[0:1]
	v_cmp_gt_i32_e64 s[0:1], s33, v124
	s_nop 1
	v_cndmask_b32_e64 v23, 0, v23, s[0:1]
	v_cmp_gt_i32_e64 s[0:1], s33, v123
	s_nop 1
	v_cndmask_b32_e64 v24, 0, v24, s[0:1]
	v_cmp_gt_i32_e64 s[0:1], s33, v121
	s_nop 1
	v_cndmask_b32_e64 v25, 0, v25, s[0:1]
.LBB44_51:                              ;   in Loop: Header=BB44_44 Depth=1
	s_or_b64 exec, exec, s[12:13]
	v_mov_b32_e32 v95, v89
	v_lshl_add_u64 v[26:27], v[58:59], 0, v[94:95]
	global_load_dwordx4 v[26:29], v[26:27], off
	s_and_saveexec_b64 s[12:13], vcc
	s_cbranch_execz .LBB44_53
; %bb.52:                               ;   in Loop: Header=BB44_44 Depth=1
	v_cmp_gt_i32_e64 s[0:1], s33, v71
	s_waitcnt vmcnt(0)
	s_nop 0
	v_cndmask_b32_e64 v26, 0, v26, s[0:1]
	v_cmp_gt_i32_e64 s[0:1], s33, v124
	s_nop 1
	v_cndmask_b32_e64 v27, 0, v27, s[0:1]
	v_cmp_gt_i32_e64 s[0:1], s33, v123
	s_nop 1
	v_cndmask_b32_e64 v28, 0, v28, s[0:1]
	v_cmp_gt_i32_e64 s[0:1], s33, v121
	s_nop 1
	v_cndmask_b32_e64 v29, 0, v29, s[0:1]
.LBB44_53:                              ;   in Loop: Header=BB44_44 Depth=1
	s_or_b64 exec, exec, s[12:13]
	v_mov_b32_e32 v97, v89
	;; [unrolled: 21-line block ×11, first 2 shown]
	v_lshl_add_u64 v[58:59], v[58:59], 0, v[114:115]
	global_load_dwordx4 v[58:61], v[58:59], off
	s_and_saveexec_b64 s[0:1], vcc
	s_cbranch_execz .LBB44_43
; %bb.72:                               ;   in Loop: Header=BB44_44 Depth=1
	v_cmp_gt_i32_e32 vcc, s33, v71
	s_waitcnt vmcnt(0)
	s_nop 0
	v_cndmask_b32_e32 v58, 0, v58, vcc
	v_cmp_gt_i32_e32 vcc, s33, v124
	s_nop 1
	v_cndmask_b32_e32 v59, 0, v59, vcc
	v_cmp_gt_i32_e32 vcc, s33, v123
	;; [unrolled: 3-line block ×3, first 2 shown]
	s_nop 1
	v_cndmask_b32_e32 v61, 0, v61, vcc
	s_branch .LBB44_43
.LBB44_73:                              ;   in Loop: Header=BB44_44 Depth=1
	v_cmp_gt_i32_e64 s[0:1], s33, v71
	s_waitcnt vmcnt(0)
	s_nop 0
	v_cndmask_b32_e64 v6, 0, v6, s[0:1]
	v_cmp_gt_i32_e64 s[0:1], s33, v124
	s_nop 1
	v_cndmask_b32_e64 v7, 0, v7, s[0:1]
	v_cmp_gt_i32_e64 s[0:1], s33, v123
	;; [unrolled: 3-line block ×3, first 2 shown]
	s_nop 1
	v_cndmask_b32_e64 v9, 0, v9, s[0:1]
	s_or_b64 exec, exec, s[12:13]
	global_load_dwordx4 v[10:13], v[18:19], off offset:1024
	s_and_saveexec_b64 s[12:13], vcc
	s_cbranch_execz .LBB44_46
.LBB44_74:                              ;   in Loop: Header=BB44_44 Depth=1
	v_cmp_gt_i32_e64 s[0:1], s33, v71
	s_waitcnt vmcnt(0)
	s_nop 0
	v_cndmask_b32_e64 v10, 0, v10, s[0:1]
	v_cmp_gt_i32_e64 s[0:1], s33, v124
	s_nop 1
	v_cndmask_b32_e64 v11, 0, v11, s[0:1]
	v_cmp_gt_i32_e64 s[0:1], s33, v123
	;; [unrolled: 3-line block ×3, first 2 shown]
	s_nop 1
	v_cndmask_b32_e64 v13, 0, v13, s[0:1]
	s_or_b64 exec, exec, s[12:13]
	global_load_dwordx4 v[14:17], v[18:19], off offset:2048
	s_and_saveexec_b64 s[12:13], vcc
	s_cbranch_execz .LBB44_47
.LBB44_75:                              ;   in Loop: Header=BB44_44 Depth=1
	v_cmp_gt_i32_e64 s[0:1], s33, v71
	s_waitcnt vmcnt(0)
	s_nop 0
	v_cndmask_b32_e64 v14, 0, v14, s[0:1]
	v_cmp_gt_i32_e64 s[0:1], s33, v124
	s_nop 1
	v_cndmask_b32_e64 v15, 0, v15, s[0:1]
	v_cmp_gt_i32_e64 s[0:1], s33, v123
	;; [unrolled: 3-line block ×3, first 2 shown]
	s_nop 1
	v_cndmask_b32_e64 v17, 0, v17, s[0:1]
	s_or_b64 exec, exec, s[12:13]
	global_load_dwordx4 v[18:21], v[18:19], off offset:3072
	s_and_saveexec_b64 s[12:13], vcc
	s_cbranch_execnz .LBB44_48
	s_branch .LBB44_49
.LBB44_76:
	s_or_b64 exec, exec, s[10:11]
.LBB44_77:
	s_or_b64 exec, exec, s[2:3]
	ds_bpermute_b32 v2, v120, v86
	ds_bpermute_b32 v3, v120, v87
	;; [unrolled: 1-line block ×6, first 2 shown]
	s_waitcnt lgkmcnt(4)
	v_pk_add_f32 v[2:3], v[86:87], v[2:3]
	ds_bpermute_b32 v6, v119, v2
	ds_bpermute_b32 v7, v119, v3
	s_waitcnt lgkmcnt(4)
	v_pk_add_f32 v[4:5], v[84:85], v[4:5]
	ds_bpermute_b32 v10, v119, v4
	ds_bpermute_b32 v11, v119, v5
	;; [unrolled: 1-line block ×3, first 2 shown]
	s_waitcnt lgkmcnt(3)
	v_pk_add_f32 v[2:3], v[2:3], v[6:7]
	v_pk_add_f32 v[6:7], v[82:83], v[8:9]
	ds_bpermute_b32 v8, v119, v6
	ds_bpermute_b32 v9, v119, v7
	ds_bpermute_b32 v13, v120, v81
	s_waitcnt lgkmcnt(4)
	v_pk_add_f32 v[4:5], v[4:5], v[10:11]
	ds_bpermute_b32 v10, v120, v78
	ds_bpermute_b32 v11, v120, v79
	;; [unrolled: 1-line block ×6, first 2 shown]
	s_waitcnt lgkmcnt(7)
	v_pk_add_f32 v[6:7], v[6:7], v[8:9]
	s_waitcnt lgkmcnt(6)
	v_pk_add_f32 v[8:9], v[80:81], v[12:13]
	;; [unrolled: 2-line block ×3, first 2 shown]
	ds_bpermute_b32 v12, v119, v8
	ds_bpermute_b32 v13, v119, v9
	;; [unrolled: 1-line block ×4, first 2 shown]
	s_waitcnt lgkmcnt(6)
	v_pk_add_f32 v[18:19], v[74:75], v[18:19]
	ds_bpermute_b32 v26, v120, v72
	ds_bpermute_b32 v27, v120, v73
	;; [unrolled: 1-line block ×4, first 2 shown]
	s_waitcnt lgkmcnt(8)
	v_pk_add_f32 v[20:21], v[76:77], v[14:15]
	ds_bpermute_b32 v22, v119, v20
	ds_bpermute_b32 v23, v119, v21
	s_waitcnt lgkmcnt(8)
	v_pk_add_f32 v[14:15], v[8:9], v[12:13]
	s_waitcnt lgkmcnt(6)
	v_pk_add_f32 v[12:13], v[10:11], v[16:17]
	;; [unrolled: 2-line block ×4, first 2 shown]
	ds_bpermute_b32 v18, v119, v16
	ds_bpermute_b32 v19, v119, v17
	s_waitcnt lgkmcnt(2)
	v_pk_add_f32 v[10:11], v[20:21], v[22:23]
	v_and_b32_e32 v20, 0x3c3, v117
	v_cmp_ne_u32_e32 vcc, 64, v20
	s_waitcnt lgkmcnt(0)
	s_barrier
	s_and_saveexec_b64 s[0:1], vcc
	s_xor_b64 s[0:1], exec, s[0:1]
; %bb.78:
                                        ; implicit-def: $vgpr118
; %bb.79:
	s_or_saveexec_b64 s[0:1], s[0:1]
	v_pk_add_f32 v[16:17], v[16:17], v[18:19]
	s_xor_b64 exec, exec, s[0:1]
	s_cbranch_execz .LBB44_81
; %bb.80:
	v_add_u32_e32 v0, 0x410, v118
	ds_write2_b32 v0, v2, v3 offset1:16
	ds_write2_b32 v0, v4, v5 offset0:32 offset1:48
	ds_write2_b32 v0, v6, v7 offset0:64 offset1:80
	;; [unrolled: 1-line block ×7, first 2 shown]
.LBB44_81:
	s_or_b64 exec, exec, s[0:1]
	v_cmp_gt_u32_e32 vcc, 64, v117
	s_waitcnt lgkmcnt(0)
	s_barrier
	s_and_saveexec_b64 s[0:1], vcc
	s_cbranch_execz .LBB44_100
; %bb.82:
	v_cmp_eq_u32_e32 vcc, 0, v125
	s_and_saveexec_b64 s[2:3], vcc
	s_cbranch_execnz .LBB44_103
; %bb.83:
	s_or_b64 exec, exec, s[2:3]
	s_and_saveexec_b64 s[2:3], vcc
	s_cbranch_execnz .LBB44_104
.LBB44_84:
	s_or_b64 exec, exec, s[2:3]
	s_and_saveexec_b64 s[2:3], vcc
	s_cbranch_execnz .LBB44_105
.LBB44_85:
	s_or_b64 exec, exec, s[2:3]
	s_and_saveexec_b64 s[2:3], vcc
	s_cbranch_execnz .LBB44_106
.LBB44_86:
	s_or_b64 exec, exec, s[2:3]
	s_and_saveexec_b64 s[2:3], vcc
	s_cbranch_execnz .LBB44_107
.LBB44_87:
	s_or_b64 exec, exec, s[2:3]
	s_and_saveexec_b64 s[2:3], vcc
	s_cbranch_execnz .LBB44_108
.LBB44_88:
	s_or_b64 exec, exec, s[2:3]
	s_and_saveexec_b64 s[2:3], vcc
	s_cbranch_execnz .LBB44_109
.LBB44_89:
	s_or_b64 exec, exec, s[2:3]
	s_and_saveexec_b64 s[2:3], vcc
	s_cbranch_execnz .LBB44_110
.LBB44_90:
	s_or_b64 exec, exec, s[2:3]
	s_and_saveexec_b64 s[2:3], vcc
	s_cbranch_execnz .LBB44_111
.LBB44_91:
	s_or_b64 exec, exec, s[2:3]
	s_and_saveexec_b64 s[2:3], vcc
	s_cbranch_execnz .LBB44_112
.LBB44_92:
	s_or_b64 exec, exec, s[2:3]
	s_and_saveexec_b64 s[2:3], vcc
	s_cbranch_execnz .LBB44_113
.LBB44_93:
	s_or_b64 exec, exec, s[2:3]
	s_and_saveexec_b64 s[2:3], vcc
	s_cbranch_execnz .LBB44_114
.LBB44_94:
	s_or_b64 exec, exec, s[2:3]
	s_and_saveexec_b64 s[2:3], vcc
	s_cbranch_execnz .LBB44_115
.LBB44_95:
	s_or_b64 exec, exec, s[2:3]
	s_and_saveexec_b64 s[2:3], vcc
	s_cbranch_execnz .LBB44_116
.LBB44_96:
	s_or_b64 exec, exec, s[2:3]
	s_and_saveexec_b64 s[2:3], vcc
	s_cbranch_execnz .LBB44_117
.LBB44_97:
	s_or_b64 exec, exec, s[2:3]
	s_and_saveexec_b64 s[2:3], vcc
	s_cbranch_execz .LBB44_99
.LBB44_98:
	v_mov_b32_e32 v0, 0x410
	v_lshl_add_u32 v0, v116, 2, v0
	ds_read_b32 v0, v0 offset:960
	s_waitcnt lgkmcnt(0)
	v_add_f32_e32 v17, v17, v0
.LBB44_99:
	s_or_b64 exec, exec, s[2:3]
.LBB44_100:
	s_or_b64 exec, exec, s[0:1]
	v_cmp_eq_u32_e32 vcc, 0, v20
	s_barrier
	s_and_saveexec_b64 s[0:1], vcc
	s_cbranch_execz .LBB44_102
; %bb.101:
	s_lshl_b32 s0, s6, 8
	s_ashr_i32 s1, s0, 31
	s_lshl_b64 s[0:1], s[0:1], 2
	s_add_u32 s2, s24, s0
	s_mul_i32 s0, s31, s26
	s_addc_u32 s3, s25, s1
	s_ashr_i32 s1, s0, 31
	s_lshl_b64 s[0:1], s[0:1], 2
	s_add_u32 s2, s2, s0
	s_addc_u32 s3, s3, s1
	s_lshl_b32 s0, s4, 8
	s_ashr_i32 s1, s0, 31
	s_lshl_b64 s[0:1], s[0:1], 2
	s_add_u32 s0, s2, s0
	s_addc_u32 s1, s3, s1
	global_store_dword v70, v2, s[0:1]
	global_store_dword v70, v3, s[0:1] offset:64
	global_store_dword v70, v4, s[0:1] offset:128
	;; [unrolled: 1-line block ×15, first 2 shown]
.LBB44_102:
	s_endpgm
.LBB44_103:
	v_mov_b32_e32 v0, 0x410
	v_lshl_add_u32 v0, v116, 2, v0
	ds_read_b32 v0, v0
	s_waitcnt lgkmcnt(0)
	v_add_f32_e32 v2, v2, v0
	s_or_b64 exec, exec, s[2:3]
	s_and_saveexec_b64 s[2:3], vcc
	s_cbranch_execz .LBB44_84
.LBB44_104:
	v_mov_b32_e32 v0, 0x410
	v_lshl_add_u32 v0, v116, 2, v0
	ds_read_b32 v0, v0 offset:64
	s_waitcnt lgkmcnt(0)
	v_add_f32_e32 v3, v3, v0
	s_or_b64 exec, exec, s[2:3]
	s_and_saveexec_b64 s[2:3], vcc
	s_cbranch_execz .LBB44_85
.LBB44_105:
	v_mov_b32_e32 v0, 0x410
	v_lshl_add_u32 v0, v116, 2, v0
	ds_read_b32 v0, v0 offset:128
	s_waitcnt lgkmcnt(0)
	v_add_f32_e32 v4, v4, v0
	s_or_b64 exec, exec, s[2:3]
	s_and_saveexec_b64 s[2:3], vcc
	s_cbranch_execz .LBB44_86
.LBB44_106:
	v_mov_b32_e32 v0, 0x410
	v_lshl_add_u32 v0, v116, 2, v0
	ds_read_b32 v0, v0 offset:192
	s_waitcnt lgkmcnt(0)
	v_add_f32_e32 v5, v5, v0
	s_or_b64 exec, exec, s[2:3]
	s_and_saveexec_b64 s[2:3], vcc
	s_cbranch_execz .LBB44_87
.LBB44_107:
	v_mov_b32_e32 v0, 0x410
	v_lshl_add_u32 v0, v116, 2, v0
	ds_read_b32 v0, v0 offset:256
	s_waitcnt lgkmcnt(0)
	v_add_f32_e32 v6, v6, v0
	s_or_b64 exec, exec, s[2:3]
	s_and_saveexec_b64 s[2:3], vcc
	s_cbranch_execz .LBB44_88
.LBB44_108:
	v_mov_b32_e32 v0, 0x410
	v_lshl_add_u32 v0, v116, 2, v0
	ds_read_b32 v0, v0 offset:320
	s_waitcnt lgkmcnt(0)
	v_add_f32_e32 v7, v7, v0
	s_or_b64 exec, exec, s[2:3]
	s_and_saveexec_b64 s[2:3], vcc
	s_cbranch_execz .LBB44_89
.LBB44_109:
	v_mov_b32_e32 v0, 0x410
	v_lshl_add_u32 v0, v116, 2, v0
	ds_read_b32 v0, v0 offset:384
	s_waitcnt lgkmcnt(0)
	v_add_f32_e32 v14, v14, v0
	s_or_b64 exec, exec, s[2:3]
	s_and_saveexec_b64 s[2:3], vcc
	s_cbranch_execz .LBB44_90
.LBB44_110:
	v_mov_b32_e32 v0, 0x410
	v_lshl_add_u32 v0, v116, 2, v0
	ds_read_b32 v0, v0 offset:448
	s_waitcnt lgkmcnt(0)
	v_add_f32_e32 v15, v15, v0
	s_or_b64 exec, exec, s[2:3]
	s_and_saveexec_b64 s[2:3], vcc
	s_cbranch_execz .LBB44_91
.LBB44_111:
	v_mov_b32_e32 v0, 0x410
	v_lshl_add_u32 v0, v116, 2, v0
	ds_read_b32 v0, v0 offset:512
	s_waitcnt lgkmcnt(0)
	v_add_f32_e32 v12, v12, v0
	s_or_b64 exec, exec, s[2:3]
	s_and_saveexec_b64 s[2:3], vcc
	s_cbranch_execz .LBB44_92
.LBB44_112:
	v_mov_b32_e32 v0, 0x410
	v_lshl_add_u32 v0, v116, 2, v0
	ds_read_b32 v0, v0 offset:576
	s_waitcnt lgkmcnt(0)
	v_add_f32_e32 v13, v13, v0
	s_or_b64 exec, exec, s[2:3]
	s_and_saveexec_b64 s[2:3], vcc
	s_cbranch_execz .LBB44_93
.LBB44_113:
	v_mov_b32_e32 v0, 0x410
	v_lshl_add_u32 v0, v116, 2, v0
	ds_read_b32 v0, v0 offset:640
	s_waitcnt lgkmcnt(0)
	v_add_f32_e32 v10, v10, v0
	s_or_b64 exec, exec, s[2:3]
	s_and_saveexec_b64 s[2:3], vcc
	s_cbranch_execz .LBB44_94
.LBB44_114:
	v_mov_b32_e32 v0, 0x410
	v_lshl_add_u32 v0, v116, 2, v0
	ds_read_b32 v0, v0 offset:704
	s_waitcnt lgkmcnt(0)
	v_add_f32_e32 v11, v11, v0
	s_or_b64 exec, exec, s[2:3]
	s_and_saveexec_b64 s[2:3], vcc
	s_cbranch_execz .LBB44_95
.LBB44_115:
	v_mov_b32_e32 v0, 0x410
	v_lshl_add_u32 v0, v116, 2, v0
	ds_read_b32 v0, v0 offset:768
	s_waitcnt lgkmcnt(0)
	v_add_f32_e32 v8, v8, v0
	s_or_b64 exec, exec, s[2:3]
	s_and_saveexec_b64 s[2:3], vcc
	s_cbranch_execz .LBB44_96
.LBB44_116:
	v_mov_b32_e32 v0, 0x410
	v_lshl_add_u32 v0, v116, 2, v0
	ds_read_b32 v0, v0 offset:832
	s_waitcnt lgkmcnt(0)
	v_add_f32_e32 v9, v9, v0
	s_or_b64 exec, exec, s[2:3]
	s_and_saveexec_b64 s[2:3], vcc
	s_cbranch_execz .LBB44_97
.LBB44_117:
	v_mov_b32_e32 v0, 0x410
	v_lshl_add_u32 v0, v116, 2, v0
	ds_read_b32 v0, v0 offset:896
	s_waitcnt lgkmcnt(0)
	v_add_f32_e32 v16, v16, v0
	s_or_b64 exec, exec, s[2:3]
	s_and_saveexec_b64 s[2:3], vcc
	s_cbranch_execnz .LBB44_98
	s_branch .LBB44_99
	.section	.rodata,"a",@progbits
	.p2align	6, 0x0
	.amdhsa_kernel _ZN4vllm25paged_attention_v2_kernelIffLi256ELi16ELi128ELNS_18Fp8KVCacheDataTypeE0ELb0ELi512EEEvPfS2_PT_PKS3_PKT0_S9_ifPKiSB_iPKfiiiSD_SD_iiiii
		.amdhsa_group_segment_fixed_size 1040
		.amdhsa_private_segment_fixed_size 92
		.amdhsa_kernarg_size 400
		.amdhsa_user_sgpr_count 2
		.amdhsa_user_sgpr_dispatch_ptr 0
		.amdhsa_user_sgpr_queue_ptr 0
		.amdhsa_user_sgpr_kernarg_segment_ptr 1
		.amdhsa_user_sgpr_dispatch_id 0
		.amdhsa_user_sgpr_kernarg_preload_length 0
		.amdhsa_user_sgpr_kernarg_preload_offset 0
		.amdhsa_user_sgpr_private_segment_size 0
		.amdhsa_uses_dynamic_stack 0
		.amdhsa_enable_private_segment 1
		.amdhsa_system_sgpr_workgroup_id_x 1
		.amdhsa_system_sgpr_workgroup_id_y 1
		.amdhsa_system_sgpr_workgroup_id_z 1
		.amdhsa_system_sgpr_workgroup_info 0
		.amdhsa_system_vgpr_workitem_id 0
		.amdhsa_next_free_vgpr 128
		.amdhsa_next_free_sgpr 45
		.amdhsa_accum_offset 128
		.amdhsa_reserve_vcc 1
		.amdhsa_float_round_mode_32 0
		.amdhsa_float_round_mode_16_64 0
		.amdhsa_float_denorm_mode_32 3
		.amdhsa_float_denorm_mode_16_64 3
		.amdhsa_dx10_clamp 1
		.amdhsa_ieee_mode 1
		.amdhsa_fp16_overflow 0
		.amdhsa_tg_split 0
		.amdhsa_exception_fp_ieee_invalid_op 0
		.amdhsa_exception_fp_denorm_src 0
		.amdhsa_exception_fp_ieee_div_zero 0
		.amdhsa_exception_fp_ieee_overflow 0
		.amdhsa_exception_fp_ieee_underflow 0
		.amdhsa_exception_fp_ieee_inexact 0
		.amdhsa_exception_int_div_zero 0
	.end_amdhsa_kernel
	.section	.text._ZN4vllm25paged_attention_v2_kernelIffLi256ELi16ELi128ELNS_18Fp8KVCacheDataTypeE0ELb0ELi512EEEvPfS2_PT_PKS3_PKT0_S9_ifPKiSB_iPKfiiiSD_SD_iiiii,"axG",@progbits,_ZN4vllm25paged_attention_v2_kernelIffLi256ELi16ELi128ELNS_18Fp8KVCacheDataTypeE0ELb0ELi512EEEvPfS2_PT_PKS3_PKT0_S9_ifPKiSB_iPKfiiiSD_SD_iiiii,comdat
.Lfunc_end44:
	.size	_ZN4vllm25paged_attention_v2_kernelIffLi256ELi16ELi128ELNS_18Fp8KVCacheDataTypeE0ELb0ELi512EEEvPfS2_PT_PKS3_PKT0_S9_ifPKiSB_iPKfiiiSD_SD_iiiii, .Lfunc_end44-_ZN4vllm25paged_attention_v2_kernelIffLi256ELi16ELi128ELNS_18Fp8KVCacheDataTypeE0ELb0ELi512EEEvPfS2_PT_PKS3_PKT0_S9_ifPKiSB_iPKfiiiSD_SD_iiiii
                                        ; -- End function
	.section	.AMDGPU.csdata,"",@progbits
; Kernel info:
; codeLenInByte = 8292
; NumSgprs: 51
; NumVgprs: 128
; NumAgprs: 0
; TotalNumVgprs: 128
; ScratchSize: 92
; MemoryBound: 0
; FloatMode: 240
; IeeeMode: 1
; LDSByteSize: 1040 bytes/workgroup (compile time only)
; SGPRBlocks: 6
; VGPRBlocks: 15
; NumSGPRsForWavesPerEU: 51
; NumVGPRsForWavesPerEU: 128
; AccumOffset: 128
; Occupancy: 4
; WaveLimiterHint : 1
; COMPUTE_PGM_RSRC2:SCRATCH_EN: 1
; COMPUTE_PGM_RSRC2:USER_SGPR: 2
; COMPUTE_PGM_RSRC2:TRAP_HANDLER: 0
; COMPUTE_PGM_RSRC2:TGID_X_EN: 1
; COMPUTE_PGM_RSRC2:TGID_Y_EN: 1
; COMPUTE_PGM_RSRC2:TGID_Z_EN: 1
; COMPUTE_PGM_RSRC2:TIDIG_COMP_CNT: 0
; COMPUTE_PGM_RSRC3_GFX90A:ACCUM_OFFSET: 31
; COMPUTE_PGM_RSRC3_GFX90A:TG_SPLIT: 0
	.section	.text._ZN4vllm25paged_attention_v2_kernelIffLi32ELi32ELi128ELNS_18Fp8KVCacheDataTypeE0ELb1ELi512EEEvPfS2_PT_PKS3_PKT0_S9_ifPKiSB_iPKfiiiSD_SD_iiiii,"axG",@progbits,_ZN4vllm25paged_attention_v2_kernelIffLi32ELi32ELi128ELNS_18Fp8KVCacheDataTypeE0ELb1ELi512EEEvPfS2_PT_PKS3_PKT0_S9_ifPKiSB_iPKfiiiSD_SD_iiiii,comdat
	.protected	_ZN4vllm25paged_attention_v2_kernelIffLi32ELi32ELi128ELNS_18Fp8KVCacheDataTypeE0ELb1ELi512EEEvPfS2_PT_PKS3_PKT0_S9_ifPKiSB_iPKfiiiSD_SD_iiiii ; -- Begin function _ZN4vllm25paged_attention_v2_kernelIffLi32ELi32ELi128ELNS_18Fp8KVCacheDataTypeE0ELb1ELi512EEEvPfS2_PT_PKS3_PKT0_S9_ifPKiSB_iPKfiiiSD_SD_iiiii
	.globl	_ZN4vllm25paged_attention_v2_kernelIffLi32ELi32ELi128ELNS_18Fp8KVCacheDataTypeE0ELb1ELi512EEEvPfS2_PT_PKS3_PKT0_S9_ifPKiSB_iPKfiiiSD_SD_iiiii
	.p2align	8
	.type	_ZN4vllm25paged_attention_v2_kernelIffLi32ELi32ELi128ELNS_18Fp8KVCacheDataTypeE0ELb1ELi512EEEvPfS2_PT_PKS3_PKT0_S9_ifPKiSB_iPKfiiiSD_SD_iiiii,@function
_ZN4vllm25paged_attention_v2_kernelIffLi32ELi32ELi128ELNS_18Fp8KVCacheDataTypeE0ELb1ELi512EEEvPfS2_PT_PKS3_PKT0_S9_ifPKiSB_iPKfiiiSD_SD_iiiii: ; @_ZN4vllm25paged_attention_v2_kernelIffLi32ELi32ELi128ELNS_18Fp8KVCacheDataTypeE0ELb1ELi512EEEvPfS2_PT_PKS3_PKT0_S9_ifPKiSB_iPKfiiiSD_SD_iiiii
; %bb.0:
	s_load_dwordx2 s[6:7], s[0:1], 0x40
	s_mov_b32 s28, s3
	s_ashr_i32 s29, s3, 31
	s_lshl_b64 s[8:9], s[28:29], 2
	s_waitcnt lgkmcnt(0)
	s_add_u32 s6, s6, s8
	s_addc_u32 s7, s7, s9
	s_load_dword s29, s[6:7], 0x0
	s_lshl_b32 s49, s4, 9
	s_waitcnt lgkmcnt(0)
	s_cmp_ge_i32 s49, s29
	s_cbranch_scc1 .LBB45_72
; %bb.1:
	s_load_dword s5, s[0:1], 0x90
	s_load_dwordx2 s[38:39], s[0:1], 0x30
	s_waitcnt lgkmcnt(0)
	s_abs_i32 s7, s5
	s_abs_i32 s3, s38
	v_cvt_f32_u32_e32 v1, s3
	s_sub_i32 s8, 0, s3
	s_xor_b32 s6, s5, s38
	s_ashr_i32 s6, s6, 31
	v_rcp_iflag_f32_e32 v1, v1
	s_nop 0
	v_mul_f32_e32 v1, 0x4f7ffffe, v1
	v_cvt_u32_f32_e32 v1, v1
	s_nop 0
	v_readfirstlane_b32 s9, v1
	s_mul_i32 s8, s8, s9
	s_mul_hi_u32 s8, s9, s8
	s_add_i32 s9, s9, s8
	s_mul_hi_u32 s8, s7, s9
	s_mul_i32 s9, s8, s3
	s_sub_i32 s7, s7, s9
	s_add_i32 s10, s8, 1
	s_sub_i32 s9, s7, s3
	s_cmp_ge_u32 s7, s3
	s_cselect_b32 s8, s10, s8
	s_cselect_b32 s7, s9, s7
	s_add_i32 s9, s8, 1
	s_cmp_ge_u32 s7, s3
	s_cselect_b32 s3, s9, s8
	s_xor_b32 s3, s3, s6
	s_sub_i32 s12, s3, s6
	s_abs_i32 s8, s12
	v_cvt_f32_u32_e32 v1, s8
	s_load_dwordx2 s[6:7], s[0:1], 0x50
	s_sub_i32 s10, 0, s8
	s_abs_i32 s9, s2
	v_rcp_iflag_f32_e32 v1, v1
	s_mov_b32 s3, 0
	v_mul_f32_e32 v1, 0x4f7ffffe, v1
	v_cvt_u32_f32_e32 v1, v1
	s_nop 0
	v_readfirstlane_b32 s11, v1
	s_mul_i32 s10, s10, s11
	s_mul_hi_u32 s10, s11, s10
	s_add_i32 s11, s11, s10
	s_waitcnt lgkmcnt(0)
	s_cmp_eq_u64 s[6:7], 0
	s_mul_hi_u32 s10, s9, s11
	s_cbranch_scc1 .LBB45_3
; %bb.2:
	s_ashr_i32 s3, s2, 31
	s_lshl_b64 s[14:15], s[2:3], 2
	s_add_u32 s6, s6, s14
	s_addc_u32 s7, s7, s15
	s_load_dword s3, s[6:7], 0x0
.LBB45_3:
	s_ashr_i32 s16, s12, 31
	s_load_dwordx4 s[12:15], s[0:1], 0x58
	s_ashr_i32 s11, s2, 31
	v_and_b32_e32 v4, 1, v0
	s_lshl_b32 s24, s2, 5
	v_cmp_gt_u32_e32 vcc, 16, v0
	v_lshlrev_b32_e32 v2, 3, v0
	v_lshlrev_b32_e32 v6, 2, v0
	s_and_saveexec_b64 s[6:7], vcc
	s_cbranch_execz .LBB45_5
; %bb.4:
	s_load_dwordx2 s[18:19], s[0:1], 0x18
	s_waitcnt lgkmcnt(0)
	s_mul_i32 s20, s28, s12
	s_ashr_i32 s21, s20, 31
	s_lshl_b64 s[20:21], s[20:21], 2
	v_and_b32_e32 v1, 0xff8, v6
	s_add_u32 s12, s18, s20
	s_addc_u32 s15, s19, s21
	s_ashr_i32 s25, s24, 31
	s_lshl_b64 s[18:19], s[24:25], 2
	s_add_u32 s18, s12, s18
	s_addc_u32 s19, s15, s19
	global_load_dwordx2 v[8:9], v2, s[18:19]
	v_lshl_add_u32 v1, v4, 6, v1
	s_waitcnt vmcnt(0)
	ds_write_b64 v1, v[8:9]
.LBB45_5:
	s_or_b64 exec, exec, s[6:7]
	s_mul_i32 s7, s10, s8
	s_sub_i32 s7, s9, s7
	s_xor_b32 s6, s11, s16
	s_add_i32 s9, s10, 1
	s_sub_i32 s11, s7, s8
	s_load_dwordx4 s[16:19], s[0:1], 0x78
	s_cmp_ge_u32 s7, s8
	s_cselect_b32 s9, s9, s10
	s_cselect_b32 s7, s11, s7
	s_load_dword s11, s[0:1], 0x88
	s_add_i32 s10, s9, 1
	s_cmp_ge_u32 s7, s8
	s_cselect_b32 s7, s10, s9
	s_waitcnt lgkmcnt(0)
	s_abs_i32 s25, s19
	v_cvt_f32_u32_e32 v1, s25
	s_xor_b32 s7, s7, s6
	s_sub_i32 s8, s7, s6
	s_sub_i32 s6, 0, s25
	v_rcp_iflag_f32_e32 v1, v1
	s_add_i32 s12, s29, -1
	s_abs_i32 s9, s12
	v_mul_f32_e32 v1, 0x4f7ffffe, v1
	v_cvt_u32_f32_e32 v1, v1
	s_barrier
	v_readfirstlane_b32 s33, v1
	s_mul_i32 s6, s6, s33
	s_mul_hi_u32 s6, s33, s6
	s_add_i32 s33, s33, s6
	s_cmp_lt_i32 s11, 0
	s_mul_hi_u32 s10, s9, s33
	s_cbranch_scc0 .LBB45_7
; %bb.6:
	s_mul_i32 s6, s16, s38
	s_add_i32 s6, s8, s6
	s_mul_i32 s6, s6, s11
	s_sub_i32 s46, 1, s6
	s_mov_b64 s[6:7], 0
	s_branch .LBB45_8
.LBB45_7:
	s_mov_b64 s[6:7], -1
                                        ; implicit-def: $sgpr46
.LBB45_8:
	s_load_dwordx2 s[30:31], s[0:1], 0x38
	s_ashr_i32 s12, s12, 31
	s_andn2_b64 vcc, exec, s[6:7]
	s_ashr_i32 s19, s19, 31
	s_cbranch_vccnz .LBB45_10
; %bb.9:
	s_mul_i32 s6, s5, s16
	s_add_i32 s6, s6, s2
	s_mul_i32 s6, s6, s11
	s_add_i32 s46, s6, 1
.LBB45_10:
	s_load_dword s6, s[0:1], 0x48
	s_load_dwordx2 s[36:37], s[0:1], 0x28
	s_load_dword s16, s[0:1], 0x98
	s_load_dwordx4 s[20:23], s[0:1], 0x0
	s_load_dwordx2 s[26:27], s[0:1], 0x10
	s_mul_i32 s7, s10, s25
	s_waitcnt lgkmcnt(0)
	s_mul_i32 s34, s28, s6
	s_sub_i32 s7, s9, s7
	s_ashr_i32 s35, s34, 31
	s_xor_b32 s6, s12, s19
	s_add_i32 s9, s10, 1
	s_sub_i32 s11, s7, s25
	s_cmp_ge_u32 s7, s25
	s_cselect_b32 s9, s9, s10
	s_cselect_b32 s7, s11, s7
	s_add_i32 s10, s9, 1
	s_cmp_ge_u32 s7, s25
	s_cselect_b32 s7, s10, s9
	s_xor_b32 s7, s7, s6
	s_sub_i32 s48, s7, s6
	s_add_i32 s6, s29, 31
	s_ashr_i32 s7, s6, 31
	s_lshr_b32 s7, s7, 27
	s_add_i32 s6, s6, s7
	s_lshl_b32 s38, s4, 4
	s_ashr_i32 s12, s6, 5
	s_add_i32 s6, s38, 16
	v_lshrrev_b32_e32 v7, 6, v0
	s_min_i32 s47, s6, s12
	v_or_b32_e32 v26, s38, v7
	v_cmp_gt_i32_e64 s[6:7], s47, v26
	v_mov_b32_e32 v10, 0xff7fffff
	s_mul_i32 s14, s8, s14
	v_ashrrev_i32_e32 v27, 31, v26
	v_lshl_add_u32 v1, v7, 5, s49
	v_mbcnt_lo_u32_b32 v8, -1, 0
	s_and_saveexec_b64 s[40:41], s[6:7]
	s_cbranch_execz .LBB45_20
; %bb.11:
	s_load_dwordx2 s[0:1], s[0:1], 0x20
	s_ashr_i32 s15, s14, 31
	s_sub_i32 s50, s48, s17
	s_lshl_b64 s[8:9], s[14:15], 2
	v_bfe_u32 v9, v0, 1, 5
	s_waitcnt lgkmcnt(0)
	s_add_u32 s0, s0, s8
	s_addc_u32 s1, s1, s9
	s_abs_i32 s15, s18
	v_cvt_f32_u32_e32 v3, s15
	v_lshlrev_b32_e32 v10, 4, v9
	v_mov_b32_e32 v11, 0
	v_lshlrev_b32_e32 v14, 2, v9
	v_rcp_iflag_f32_e32 v5, v3
	v_lshl_add_u64 v[12:13], s[0:1], 0, v[10:11]
	v_and_b32_e32 v10, 8, v2
	s_sub_i32 s8, 0, s15
	v_mul_f32_e32 v5, 0x4f7ffffe, v5
	v_cvt_u32_f32_e32 v5, v5
	v_cmp_eq_u32_e32 vcc, 0, v4
	v_lshl_add_u64 v[2:3], v[12:13], 0, v[10:11]
	v_lshlrev_b32_e32 v11, 6, v4
	v_mul_lo_u32 v4, s8, v5
	s_lshl_b64 s[8:9], s[34:35], 2
	v_lshl_or_b32 v10, v7, 7, v14
	s_add_u32 s8, s30, s8
	v_add_u32_e32 v14, 0x90, v10
	v_subrev_u32_e32 v10, s29, v9
	v_mbcnt_hi_u32_b32 v17, -1, v8
	v_mul_hi_u32 v4, v5, v4
	s_addc_u32 s9, s31, s9
	v_add_u32_e32 v15, 1, v10
	v_and_b32_e32 v10, 64, v17
	s_mov_b32 s51, s13
	v_cmp_neq_f32_e64 s[0:1], s3, 0
	v_add_u32_e32 v12, v5, v4
	v_lshl_add_u64 v[4:5], v[26:27], 2, s[8:9]
	v_lshl_add_u32 v13, v7, 5, s49
	s_mov_b64 s[42:43], 0
	v_mov_b32_e32 v16, 0xff7fffff
	v_xor_b32_e32 v18, 1, v17
	v_add_u32_e32 v19, 64, v10
	v_mov_b32_e32 v10, 0xff7fffff
	v_mov_b32_e32 v20, v26
	s_branch .LBB45_14
.LBB45_12:                              ;   in Loop: Header=BB45_14 Depth=1
	s_or_b64 exec, exec, s[44:45]
.LBB45_13:                              ;   in Loop: Header=BB45_14 Depth=1
	s_or_b64 exec, exec, s[10:11]
	v_add_u32_e32 v20, 2, v20
	v_cmp_le_i32_e64 s[8:9], s47, v20
	v_lshl_add_u64 v[4:5], v[4:5], 0, 8
	v_add_u32_e32 v13, 64, v13
	s_or_b64 s[42:43], s[8:9], s[42:43]
	v_add_u32_e32 v14, 0x100, v14
	s_andn2_b64 exec, exec, s[42:43]
	s_cbranch_execz .LBB45_19
.LBB45_14:                              ; =>This Inner Loop Header: Depth=1
	s_waitcnt lgkmcnt(0)
	v_sub_u32_e32 v22, 0, v13
	v_max_i32_e32 v22, v13, v22
	v_mul_hi_u32 v23, v22, s33
	v_mul_lo_u32 v24, v23, s25
	v_sub_u32_e32 v22, v22, v24
	v_add_u32_e32 v24, 1, v23
	v_cmp_le_u32_e64 s[8:9], s25, v22
	v_ashrrev_i32_e32 v21, 31, v13
	v_xor_b32_e32 v21, s19, v21
	v_cndmask_b32_e64 v23, v23, v24, s[8:9]
	v_subrev_u32_e32 v24, s25, v22
	v_cndmask_b32_e64 v22, v22, v24, s[8:9]
	v_add_u32_e32 v24, 1, v23
	v_cmp_le_u32_e64 s[8:9], s25, v22
	s_nop 1
	v_cndmask_b32_e64 v22, v23, v24, s[8:9]
	v_xor_b32_e32 v22, v22, v21
	v_sub_u32_e32 v21, v22, v21
	v_add_u32_e32 v22, s46, v21
	v_sub_u32_e32 v24, 0, v22
	v_ashrrev_i32_e32 v23, 31, v22
	v_max_i32_e32 v22, v22, v24
	v_mul_hi_u32 v24, v22, v12
	v_mul_lo_u32 v24, v24, s15
	v_sub_u32_e32 v22, v22, v24
	v_subrev_u32_e32 v24, s15, v22
	v_cmp_le_u32_e64 s[8:9], s15, v22
	v_cmp_ge_i32_e64 s[10:11], s50, v21
	s_nop 0
	v_cndmask_b32_e64 v22, v22, v24, s[8:9]
	v_subrev_u32_e32 v24, s15, v22
	v_cmp_le_u32_e64 s[8:9], s15, v22
	s_nop 1
	v_cndmask_b32_e64 v22, v22, v24, s[8:9]
	v_xor_b32_e32 v22, v22, v23
	v_sub_u32_e32 v22, v22, v23
	v_cmp_ne_u32_e64 s[8:9], 0, v22
	s_and_b64 s[8:9], s[8:9], s[10:11]
	s_and_b64 s[44:45], vcc, s[8:9]
	s_and_saveexec_b64 s[10:11], s[44:45]
	s_cbranch_execz .LBB45_16
; %bb.15:                               ;   in Loop: Header=BB45_14 Depth=1
	ds_write_b32 v14, v16
.LBB45_16:                              ;   in Loop: Header=BB45_14 Depth=1
	s_or_b64 exec, exec, s[10:11]
	s_xor_b64 s[8:9], s[8:9], -1
	s_and_saveexec_b64 s[10:11], s[8:9]
	s_cbranch_execz .LBB45_13
; %bb.17:                               ;   in Loop: Header=BB45_14 Depth=1
	global_load_dword v21, v[4:5], off
	s_waitcnt vmcnt(0)
	v_mad_i64_i32 v[22:23], s[8:9], v21, s51, 0
	v_lshl_add_u64 v[22:23], v[22:23], 2, v[2:3]
	global_load_dwordx2 v[40:41], v[22:23], off offset:512
	global_load_dwordx2 v[42:43], v[22:23], off
	global_load_dwordx2 v[44:45], v[22:23], off offset:1024
	global_load_dwordx2 v[46:47], v[22:23], off offset:1536
	;; [unrolled: 1-line block ×6, first 2 shown]
	ds_read_b128 v[22:25], v11
	ds_read_b128 v[28:31], v11 offset:16
	ds_read_b128 v[32:35], v11 offset:32
	ds_read_b128 v[36:39], v11 offset:48
	v_cmp_lt_i32_e64 s[8:9], v18, v19
	s_nop 1
	v_cndmask_b32_e64 v21, v17, v18, s[8:9]
	v_lshlrev_b32_e32 v56, 2, v21
	s_waitcnt vmcnt(7) lgkmcnt(3)
	v_mul_f32_e32 v21, v24, v40
	v_mul_f32_e32 v24, v25, v41
	s_waitcnt vmcnt(6)
	v_fmac_f32_e32 v21, v22, v42
	v_fmac_f32_e32 v24, v23, v43
	s_waitcnt vmcnt(5) lgkmcnt(2)
	v_fmac_f32_e32 v21, v28, v44
	v_fmac_f32_e32 v24, v29, v45
	s_waitcnt vmcnt(4)
	v_fmac_f32_e32 v21, v30, v46
	v_fmac_f32_e32 v24, v31, v47
	s_waitcnt vmcnt(3) lgkmcnt(1)
	v_fmac_f32_e32 v21, v32, v48
	v_fmac_f32_e32 v24, v33, v49
	;; [unrolled: 6-line block ×3, first 2 shown]
	s_waitcnt vmcnt(0)
	v_fmac_f32_e32 v21, v38, v54
	v_fmac_f32_e32 v24, v39, v55
	v_add_f32_e32 v21, v21, v24
	ds_bpermute_b32 v22, v56, v21
	s_and_saveexec_b64 s[44:45], vcc
	s_cbranch_execz .LBB45_12
; %bb.18:                               ;   in Loop: Header=BB45_14 Depth=1
	v_add_u32_e32 v23, v15, v13
	v_cvt_f32_i32_e32 v23, v23
	s_waitcnt lgkmcnt(0)
	v_add_f32_e32 v21, v21, v22
	v_add_u32_e32 v24, v9, v13
	v_cmp_gt_i32_e64 s[8:9], s29, v24
	v_mul_f32_e32 v22, s3, v23
	v_cndmask_b32_e64 v22, 0, v22, s[0:1]
	v_fmac_f32_e32 v22, s39, v21
	v_cndmask_b32_e64 v21, 0, v22, s[8:9]
	ds_write_b32 v14, v21
	v_max_f32_e32 v21, v10, v10
	v_max_f32_e32 v21, v21, v22
	v_cndmask_b32_e64 v10, v10, v21, s[8:9]
	s_branch .LBB45_12
.LBB45_19:
	s_or_b64 exec, exec, s[42:43]
.LBB45_20:
	s_or_b64 exec, exec, s[40:41]
	v_mbcnt_hi_u32_b32 v4, -1, v8
	v_and_b32_e32 v2, 64, v4
	v_add_u32_e32 v11, 64, v2
	v_xor_b32_e32 v2, 32, v4
	v_cmp_lt_i32_e32 vcc, v2, v11
	v_xor_b32_e32 v8, 16, v4
	v_max_f32_e32 v5, v10, v10
	v_cndmask_b32_e32 v2, v4, v2, vcc
	v_lshlrev_b32_e32 v2, 2, v2
	ds_bpermute_b32 v3, v2, v10
	v_cmp_lt_i32_e32 vcc, v8, v11
	v_xor_b32_e32 v9, 8, v4
	v_xor_b32_e32 v10, 4, v4
	v_and_b32_e32 v32, 63, v0
	s_waitcnt lgkmcnt(0)
	v_max_f32_e32 v3, v3, v3
	v_max_f32_e32 v5, v5, v3
	v_cndmask_b32_e32 v3, v4, v8, vcc
	v_lshlrev_b32_e32 v3, 2, v3
	ds_bpermute_b32 v8, v3, v5
	v_cmp_lt_i32_e32 vcc, v9, v11
	s_waitcnt lgkmcnt(0)
	v_max_f32_e32 v8, v8, v8
	v_max_f32_e32 v8, v5, v8
	v_cndmask_b32_e32 v5, v4, v9, vcc
	v_lshlrev_b32_e32 v5, 2, v5
	ds_bpermute_b32 v9, v5, v8
	v_cmp_lt_i32_e32 vcc, v10, v11
	s_waitcnt lgkmcnt(0)
	v_max_f32_e32 v9, v9, v9
	v_max_f32_e32 v8, v8, v9
	v_cndmask_b32_e32 v9, v4, v10, vcc
	v_lshlrev_b32_e32 v34, 2, v9
	ds_bpermute_b32 v9, v34, v8
	v_xor_b32_e32 v10, 2, v4
	v_cmp_lt_i32_e32 vcc, v10, v11
	s_waitcnt lgkmcnt(0)
	v_max_f32_e32 v9, v9, v9
	v_max_f32_e32 v9, v8, v9
	v_cndmask_b32_e32 v8, v4, v10, vcc
	v_lshlrev_b32_e32 v33, 2, v8
	ds_bpermute_b32 v10, v33, v9
	v_cmp_eq_u32_e32 vcc, 0, v32
	v_lshlrev_b32_e32 v8, 2, v7
	s_and_saveexec_b64 s[0:1], vcc
	s_cbranch_execz .LBB45_22
; %bb.21:
	s_waitcnt lgkmcnt(0)
	v_max_f32_e32 v10, v10, v10
	v_max_f32_e32 v9, v9, v9
	;; [unrolled: 1-line block ×3, first 2 shown]
	ds_write_b32 v8, v9 offset:128
.LBB45_22:
	s_or_b64 exec, exec, s[0:1]
	v_cmp_gt_u32_e64 s[0:1], 2, v32
	s_waitcnt lgkmcnt(0)
	v_mov_b32_e32 v10, 0xff7fffff
	v_lshlrev_b32_e32 v9, 2, v32
	s_barrier
	s_and_saveexec_b64 s[8:9], s[0:1]
	s_cbranch_execz .LBB45_24
; %bb.23:
	ds_read_b32 v10, v9 offset:128
.LBB45_24:
	s_or_b64 exec, exec, s[8:9]
	v_xor_b32_e32 v12, 1, v4
	v_cmp_lt_i32_e64 s[8:9], v12, v11
	s_sub_i32 s3, s47, s38
	s_lshl_b32 s3, s3, 5
	v_cndmask_b32_e64 v11, v4, v12, s[8:9]
	v_lshlrev_b32_e32 v35, 2, v11
	s_waitcnt lgkmcnt(0)
	ds_bpermute_b32 v11, v35, v10
	v_max_f32_e32 v10, v10, v10
	v_lshlrev_b32_e32 v4, 2, v4
	s_add_i32 s3, s3, s49
	s_min_i32 s15, s3, s29
	s_waitcnt lgkmcnt(0)
	v_max_f32_e32 v11, v11, v11
	v_max_f32_e32 v11, v10, v11
	v_and_b32_e32 v10, 0x100, v4
	ds_bpermute_b32 v4, v10, v11
	s_sub_i32 s3, s15, s49
	v_cmp_gt_i32_e64 s[8:9], s3, v0
	v_mov_b32_e32 v11, 0
	s_and_saveexec_b64 s[38:39], s[8:9]
	s_cbranch_execz .LBB45_28
; %bb.25:
	v_mov_b32_e32 v11, 0x90
	v_lshl_add_u32 v12, v0, 2, v11
	s_mov_b64 s[40:41], 0
	v_mov_b32_e32 v11, 0
	v_mov_b32_e32 v13, v0
.LBB45_26:                              ; =>This Inner Loop Header: Depth=1
	ds_read_b32 v14, v12
	v_add_u32_e32 v13, 0x80, v13
	v_cmp_le_i32_e64 s[10:11], s3, v13
	s_or_b64 s[40:41], s[10:11], s[40:41]
	s_waitcnt lgkmcnt(0)
	v_sub_f32_e32 v14, v14, v4
	v_mul_f32_e32 v14, 0x3fb8aa3b, v14
	v_exp_f32_e32 v14, v14
	ds_write_b32 v12, v14
	v_add_f32_e32 v11, v11, v14
	v_add_u32_e32 v12, 0x200, v12
	s_andn2_b64 exec, exec, s[40:41]
	s_cbranch_execnz .LBB45_26
; %bb.27:
	s_or_b64 exec, exec, s[40:41]
.LBB45_28:
	s_or_b64 exec, exec, s[38:39]
	ds_bpermute_b32 v2, v2, v11
	s_waitcnt lgkmcnt(0)
	v_add_f32_e32 v2, v11, v2
	ds_bpermute_b32 v3, v3, v2
	s_waitcnt lgkmcnt(0)
	v_add_f32_e32 v2, v2, v3
	;; [unrolled: 3-line block ×6, first 2 shown]
	s_and_saveexec_b64 s[10:11], vcc
	s_cbranch_execz .LBB45_30
; %bb.29:
	ds_write_b32 v8, v2 offset:136
.LBB45_30:
	s_or_b64 exec, exec, s[10:11]
	s_waitcnt lgkmcnt(0)
	s_barrier
	s_and_saveexec_b64 s[10:11], s[0:1]
	s_cbranch_execz .LBB45_32
; %bb.31:
	ds_read_b32 v2, v9 offset:136
.LBB45_32:
	s_or_b64 exec, exec, s[10:11]
	s_waitcnt lgkmcnt(0)
	ds_bpermute_b32 v3, v35, v2
	s_waitcnt lgkmcnt(0)
	v_add_f32_e32 v2, v2, v3
	ds_bpermute_b32 v5, v10, v2
	s_and_saveexec_b64 s[0:1], s[8:9]
	s_cbranch_execz .LBB45_45
; %bb.33:
	s_waitcnt lgkmcnt(0)
	v_add_f32_e32 v2, 0x358637bd, v5
	v_div_scale_f32 v3, s[8:9], v2, v2, 1.0
	v_rcp_f32_e32 v8, v3
	v_div_scale_f32 v9, vcc, 1.0, v2, 1.0
	s_movk_i32 s8, 0x7f
	v_fma_f32 v10, -v3, v8, 1.0
	v_fmac_f32_e32 v8, v10, v8
	v_mul_f32_e32 v10, v9, v8
	v_fma_f32 v11, -v3, v10, v9
	v_fmac_f32_e32 v10, v11, v8
	v_fma_f32 v3, -v3, v10, v9
	v_div_fmas_f32 v3, v3, v8, v10
	v_div_fixup_f32 v2, v3, v2, 1.0
	v_xad_u32 v3, v0, -1, s15
	v_subrev_u32_e32 v8, s49, v3
	v_cmp_lt_u32_e32 vcc, s8, v8
	s_mov_b64 s[10:11], -1
	v_mov_b32_e32 v3, v0
	s_and_saveexec_b64 s[8:9], vcc
	s_cbranch_execz .LBB45_42
; %bb.34:
	v_lshrrev_b32_e32 v8, 7, v8
	v_add_u32_e32 v10, -1, v8
	v_lshrrev_b32_e32 v9, 1, v10
	v_mov_b32_e32 v3, v2
	v_add_u32_e32 v9, 1, v9
	v_cmp_lt_u32_e32 vcc, 13, v10
	v_mov_b32_e32 v12, 0
	s_and_saveexec_b64 s[10:11], vcc
	s_cbranch_execz .LBB45_38
; %bb.35:
	v_mov_b32_e32 v11, 0x90
	v_and_b32_e32 v10, -8, v9
	v_lshl_add_u32 v11, v0, 2, v11
	s_mov_b32 s15, 0
	s_mov_b64 s[38:39], 0
.LBB45_36:                              ; =>This Inner Loop Header: Depth=1
	ds_read2st64_b32 v[12:13], v11 offset1:2
	ds_read2st64_b32 v[14:15], v11 offset0:4 offset1:6
	ds_read2st64_b32 v[16:17], v11 offset0:8 offset1:10
	;; [unrolled: 1-line block ×3, first 2 shown]
	v_add_u32_e32 v10, -8, v10
	s_waitcnt lgkmcnt(3)
	v_pk_mul_f32 v[12:13], v[2:3], v[12:13]
	s_waitcnt lgkmcnt(2)
	v_pk_mul_f32 v[14:15], v[2:3], v[14:15]
	ds_write2st64_b32 v11, v12, v13 offset1:2
	ds_write2st64_b32 v11, v14, v15 offset0:4 offset1:6
	ds_read2st64_b32 v[14:15], v11 offset0:16 offset1:18
	s_waitcnt lgkmcnt(4)
	v_pk_mul_f32 v[12:13], v[2:3], v[16:17]
	ds_write2st64_b32 v11, v12, v13 offset0:8 offset1:10
	s_waitcnt lgkmcnt(4)
	v_pk_mul_f32 v[12:13], v[2:3], v[18:19]
	ds_write2st64_b32 v11, v12, v13 offset0:12 offset1:14
	ds_read2st64_b32 v[12:13], v11 offset0:20 offset1:22
	s_waitcnt lgkmcnt(3)
	v_pk_mul_f32 v[14:15], v[2:3], v[14:15]
	ds_read2st64_b32 v[16:17], v11 offset0:24 offset1:26
	ds_write2st64_b32 v11, v14, v15 offset0:16 offset1:18
	ds_read2st64_b32 v[14:15], v11 offset0:28 offset1:30
	s_waitcnt lgkmcnt(3)
	v_pk_mul_f32 v[12:13], v[2:3], v[12:13]
	ds_write2st64_b32 v11, v12, v13 offset0:20 offset1:22
	s_waitcnt lgkmcnt(3)
	v_pk_mul_f32 v[12:13], v[2:3], v[16:17]
	ds_write2st64_b32 v11, v12, v13 offset0:24 offset1:26
	s_waitcnt lgkmcnt(2)
	v_pk_mul_f32 v[12:13], v[2:3], v[14:15]
	s_add_i32 s15, s15, 16
	v_cmp_eq_u32_e32 vcc, 0, v10
	ds_write2st64_b32 v11, v12, v13 offset0:28 offset1:30
	v_add_u32_e32 v11, 0x2000, v11
	s_or_b64 s[38:39], vcc, s[38:39]
	v_mov_b32_e32 v12, s15
	s_andn2_b64 exec, exec, s[38:39]
	s_cbranch_execnz .LBB45_36
; %bb.37:
	s_or_b64 exec, exec, s[38:39]
.LBB45_38:
	s_or_b64 exec, exec, s[10:11]
	v_and_b32_e32 v9, 7, v9
	v_cmp_ne_u32_e32 vcc, 0, v9
	s_and_saveexec_b64 s[10:11], vcc
	s_cbranch_execz .LBB45_41
; %bb.39:
	v_lshlrev_b32_e32 v10, 9, v12
	s_movk_i32 s15, 0x90
	v_add3_u32 v10, v10, v6, s15
	s_mov_b64 s[38:39], 0
.LBB45_40:                              ; =>This Inner Loop Header: Depth=1
	ds_read2st64_b32 v[12:13], v10 offset1:2
	v_add_u32_e32 v9, -1, v9
	v_cmp_eq_u32_e32 vcc, 0, v9
	s_or_b64 s[38:39], vcc, s[38:39]
	s_waitcnt lgkmcnt(0)
	v_pk_mul_f32 v[12:13], v[2:3], v[12:13]
	ds_write2st64_b32 v10, v12, v13 offset1:2
	v_add_u32_e32 v10, 0x400, v10
	s_andn2_b64 exec, exec, s[38:39]
	s_cbranch_execnz .LBB45_40
.LBB45_41:
	s_or_b64 exec, exec, s[10:11]
	v_add_u32_e32 v8, 1, v8
	v_and_b32_e32 v9, 0x3fffffe, v8
	v_cmp_ne_u32_e32 vcc, v8, v9
	v_lshl_add_u32 v3, v9, 7, v0
	s_orn2_b64 s[10:11], vcc, exec
.LBB45_42:
	s_or_b64 exec, exec, s[8:9]
	s_and_b64 exec, exec, s[10:11]
	s_cbranch_execz .LBB45_45
; %bb.43:
	v_mov_b32_e32 v8, 0x90
	v_lshl_add_u32 v8, v3, 2, v8
	s_mov_b64 s[8:9], 0
.LBB45_44:                              ; =>This Inner Loop Header: Depth=1
	ds_read_b32 v9, v8
	v_add_u32_e32 v3, 0x80, v3
	v_cmp_le_i32_e32 vcc, s3, v3
	s_or_b64 s[8:9], vcc, s[8:9]
	s_waitcnt lgkmcnt(0)
	v_mul_f32_e32 v9, v2, v9
	ds_write_b32 v8, v9
	v_add_u32_e32 v8, 0x200, v8
	s_andn2_b64 exec, exec, s[8:9]
	s_cbranch_execnz .LBB45_44
.LBB45_45:
	s_or_b64 exec, exec, s[0:1]
	s_mul_i32 s0, s16, s28
	v_cmp_eq_u32_e32 vcc, 0, v0
	s_mul_i32 s8, s0, s5
	s_waitcnt lgkmcnt(0)
	s_barrier
	s_and_saveexec_b64 s[0:1], vcc
	s_cbranch_execz .LBB45_47
; %bb.46:
	s_ashr_i32 s9, s8, 31
	s_lshl_b64 s[10:11], s[8:9], 2
	s_add_u32 s5, s22, s10
	s_mul_i32 s2, s16, s2
	s_addc_u32 s9, s23, s11
	s_ashr_i32 s3, s2, 31
	s_lshl_b64 s[2:3], s[2:3], 2
	s_add_u32 s15, s5, s2
	s_addc_u32 s9, s9, s3
	s_ashr_i32 s5, s4, 31
	s_lshl_b64 s[22:23], s[4:5], 2
	s_add_u32 s38, s15, s22
	s_addc_u32 s39, s9, s23
	s_add_u32 s5, s20, s10
	s_addc_u32 s9, s21, s11
	;; [unrolled: 2-line block ×3, first 2 shown]
	s_add_u32 s2, s2, s22
	v_mov_b32_e32 v2, 0
	s_addc_u32 s3, s3, s23
	global_store_dword v2, v4, s[38:39]
	global_store_dword v2, v5, s[2:3]
.LBB45_47:
	s_or_b64 exec, exec, s[0:1]
	v_mov_b32_e32 v5, 0
	v_and_b32_e32 v36, 7, v0
	v_mov_b32_e32 v4, 0
	v_mov_b32_e32 v3, 0
	;; [unrolled: 1-line block ×3, first 2 shown]
	s_and_saveexec_b64 s[2:3], s[6:7]
	s_cbranch_execz .LBB45_61
; %bb.48:
	s_ashr_i32 s15, s14, 31
	s_sub_i32 s5, s48, s17
	s_lshl_b64 s[0:1], s[14:15], 2
	s_add_u32 s0, s36, s0
	s_addc_u32 s1, s37, s1
	s_abs_i32 s9, s18
	v_cvt_f32_u32_e32 v2, s9
	s_sub_i32 s6, 0, s9
	v_lshlrev_b32_e32 v4, 4, v0
	v_mov_b32_e32 v3, 0
	v_rcp_iflag_f32_e32 v2, v2
	s_add_i32 s15, s12, -1
	s_mov_b32 s20, 0
	s_mov_b32 s21, s20
	v_mul_f32_e32 v2, 0x4f7ffffe, v2
	v_cvt_u32_f32_e32 v2, v2
	s_mov_b32 s22, s20
	s_mov_b32 s23, s20
	v_and_b32_e32 v37, 28, v6
	v_mul_lo_u32 v5, s6, v2
	v_mul_hi_u32 v5, v2, v5
	v_add_u32_e32 v38, v2, v5
	v_and_b32_e32 v2, 0x3f0, v4
	v_lshl_add_u64 v[28:29], s[0:1], 0, v[2:3]
	s_lshl_b64 s[0:1], s[34:35], 2
	s_add_u32 s0, s30, s0
	v_lshlrev_b32_e32 v2, 4, v36
	s_addc_u32 s1, s31, s1
	v_lshl_or_b32 v2, v7, 7, v2
	v_lshl_add_u64 v[30:31], v[26:27], 2, s[0:1]
	v_add_u32_e32 v27, 0x90, v2
	v_mov_b64_e32 v[2:3], s[20:21]
	s_mov_b32 s14, s13
	s_mov_b64 s[6:7], 0
	v_mov_b64_e32 v[4:5], s[22:23]
	s_branch .LBB45_51
.LBB45_49:                              ;   in Loop: Header=BB45_51 Depth=1
	s_or_b64 exec, exec, s[0:1]
	s_waitcnt vmcnt(3) lgkmcnt(0)
	v_mul_f32_e32 v11, v7, v11
	v_fmac_f32_e32 v11, v6, v10
	s_waitcnt vmcnt(2)
	v_mul_f32_e32 v10, v7, v15
	v_fmac_f32_e32 v10, v6, v14
	v_fmac_f32_e32 v10, v8, v16
	;; [unrolled: 1-line block ×3, first 2 shown]
	v_add_f32_e32 v3, v3, v10
	s_waitcnt vmcnt(1)
	v_mul_f32_e32 v10, v7, v19
	s_waitcnt vmcnt(0)
	v_mul_f32_e32 v7, v7, v23
	v_fmac_f32_e32 v10, v6, v18
	v_fmac_f32_e32 v7, v6, v22
	;; [unrolled: 1-line block ×8, first 2 shown]
	v_add_f32_e32 v2, v2, v11
	v_add_f32_e32 v4, v4, v10
	;; [unrolled: 1-line block ×3, first 2 shown]
.LBB45_50:                              ;   in Loop: Header=BB45_51 Depth=1
	s_or_b64 exec, exec, s[10:11]
	v_add_u32_e32 v26, 2, v26
	v_cmp_le_i32_e32 vcc, s47, v26
	v_lshl_add_u64 v[30:31], v[30:31], 0, 8
	v_add_u32_e32 v1, 64, v1
	s_or_b64 s[6:7], vcc, s[6:7]
	v_add_u32_e32 v27, 0x100, v27
	s_andn2_b64 exec, exec, s[6:7]
	s_cbranch_execz .LBB45_60
.LBB45_51:                              ; =>This Inner Loop Header: Depth=1
	v_sub_u32_e32 v7, 0, v1
	v_max_i32_e32 v7, v1, v7
	v_mul_hi_u32 v8, v7, s33
	v_mul_lo_u32 v9, v8, s25
	v_sub_u32_e32 v7, v7, v9
	v_add_u32_e32 v9, 1, v8
	v_cmp_le_u32_e32 vcc, s25, v7
	v_ashrrev_i32_e32 v6, 31, v1
	v_xor_b32_e32 v6, s19, v6
	v_cndmask_b32_e32 v8, v8, v9, vcc
	v_subrev_u32_e32 v9, s25, v7
	v_cndmask_b32_e32 v7, v7, v9, vcc
	v_add_u32_e32 v9, 1, v8
	v_cmp_le_u32_e32 vcc, s25, v7
	s_nop 1
	v_cndmask_b32_e32 v7, v8, v9, vcc
	v_xor_b32_e32 v7, v7, v6
	v_sub_u32_e32 v6, v7, v6
	v_add_u32_e32 v7, s46, v6
	v_sub_u32_e32 v9, 0, v7
	v_ashrrev_i32_e32 v8, 31, v7
	v_max_i32_e32 v7, v7, v9
	v_mul_hi_u32 v9, v7, v38
	v_mul_lo_u32 v9, v9, s9
	v_sub_u32_e32 v7, v7, v9
	v_subrev_u32_e32 v9, s9, v7
	v_cmp_le_u32_e32 vcc, s9, v7
	v_cmp_lt_i32_e64 s[0:1], s5, v6
	s_nop 0
	v_cndmask_b32_e32 v7, v7, v9, vcc
	v_subrev_u32_e32 v9, s9, v7
	v_cmp_le_u32_e32 vcc, s9, v7
	s_nop 1
	v_cndmask_b32_e32 v7, v7, v9, vcc
	v_xor_b32_e32 v7, v7, v8
	v_sub_u32_e32 v7, v7, v8
	v_cmp_eq_u32_e32 vcc, 0, v7
	s_or_b64 s[0:1], vcc, s[0:1]
	s_and_saveexec_b64 s[10:11], s[0:1]
	s_cbranch_execz .LBB45_50
; %bb.52:                               ;   in Loop: Header=BB45_51 Depth=1
	global_load_dword v6, v[30:31], off
	v_add_u32_e32 v39, v37, v1
	v_cmp_eq_u32_e32 vcc, s15, v26
	v_add_u32_e32 v42, 1, v39
	v_add_u32_e32 v41, 2, v39
	;; [unrolled: 1-line block ×3, first 2 shown]
	s_waitcnt vmcnt(0)
	v_mad_i64_i32 v[6:7], s[0:1], v6, s14, 0
	v_lshl_add_u64 v[22:23], v[6:7], 2, v[28:29]
	global_load_dwordx4 v[10:13], v[22:23], off
	ds_read_b128 v[6:9], v27
	s_and_saveexec_b64 s[12:13], vcc
	s_cbranch_execnz .LBB45_56
; %bb.53:                               ;   in Loop: Header=BB45_51 Depth=1
	s_or_b64 exec, exec, s[12:13]
	global_load_dwordx4 v[14:17], v[22:23], off offset:1024
	s_and_saveexec_b64 s[12:13], vcc
	s_cbranch_execnz .LBB45_57
.LBB45_54:                              ;   in Loop: Header=BB45_51 Depth=1
	s_or_b64 exec, exec, s[12:13]
	global_load_dwordx4 v[18:21], v[22:23], off offset:2048
	s_and_saveexec_b64 s[12:13], vcc
	s_cbranch_execnz .LBB45_58
.LBB45_55:                              ;   in Loop: Header=BB45_51 Depth=1
	s_or_b64 exec, exec, s[12:13]
	global_load_dwordx4 v[22:25], v[22:23], off offset:3072
	s_and_saveexec_b64 s[0:1], vcc
	s_cbranch_execz .LBB45_49
	s_branch .LBB45_59
.LBB45_56:                              ;   in Loop: Header=BB45_51 Depth=1
	v_cmp_gt_i32_e64 s[0:1], s29, v39
	s_waitcnt vmcnt(0)
	s_nop 0
	v_cndmask_b32_e64 v10, 0, v10, s[0:1]
	v_cmp_gt_i32_e64 s[0:1], s29, v42
	s_nop 1
	v_cndmask_b32_e64 v11, 0, v11, s[0:1]
	v_cmp_gt_i32_e64 s[0:1], s29, v41
	;; [unrolled: 3-line block ×3, first 2 shown]
	s_nop 1
	v_cndmask_b32_e64 v13, 0, v13, s[0:1]
	s_or_b64 exec, exec, s[12:13]
	global_load_dwordx4 v[14:17], v[22:23], off offset:1024
	s_and_saveexec_b64 s[12:13], vcc
	s_cbranch_execz .LBB45_54
.LBB45_57:                              ;   in Loop: Header=BB45_51 Depth=1
	v_cmp_gt_i32_e64 s[0:1], s29, v39
	s_waitcnt vmcnt(0)
	s_nop 0
	v_cndmask_b32_e64 v14, 0, v14, s[0:1]
	v_cmp_gt_i32_e64 s[0:1], s29, v42
	s_nop 1
	v_cndmask_b32_e64 v15, 0, v15, s[0:1]
	v_cmp_gt_i32_e64 s[0:1], s29, v41
	;; [unrolled: 3-line block ×3, first 2 shown]
	s_nop 1
	v_cndmask_b32_e64 v17, 0, v17, s[0:1]
	s_or_b64 exec, exec, s[12:13]
	global_load_dwordx4 v[18:21], v[22:23], off offset:2048
	s_and_saveexec_b64 s[12:13], vcc
	s_cbranch_execz .LBB45_55
.LBB45_58:                              ;   in Loop: Header=BB45_51 Depth=1
	v_cmp_gt_i32_e64 s[0:1], s29, v39
	s_waitcnt vmcnt(0)
	s_nop 0
	v_cndmask_b32_e64 v18, 0, v18, s[0:1]
	v_cmp_gt_i32_e64 s[0:1], s29, v42
	s_nop 1
	v_cndmask_b32_e64 v19, 0, v19, s[0:1]
	v_cmp_gt_i32_e64 s[0:1], s29, v41
	;; [unrolled: 3-line block ×3, first 2 shown]
	s_nop 1
	v_cndmask_b32_e64 v21, 0, v21, s[0:1]
	s_or_b64 exec, exec, s[12:13]
	global_load_dwordx4 v[22:25], v[22:23], off offset:3072
	s_and_saveexec_b64 s[0:1], vcc
	s_cbranch_execz .LBB45_49
.LBB45_59:                              ;   in Loop: Header=BB45_51 Depth=1
	v_cmp_gt_i32_e32 vcc, s29, v39
	s_waitcnt vmcnt(0)
	s_nop 0
	v_cndmask_b32_e32 v22, 0, v22, vcc
	v_cmp_gt_i32_e32 vcc, s29, v42
	s_nop 1
	v_cndmask_b32_e32 v23, 0, v23, vcc
	v_cmp_gt_i32_e32 vcc, s29, v41
	;; [unrolled: 3-line block ×3, first 2 shown]
	s_nop 1
	v_cndmask_b32_e32 v25, 0, v25, vcc
	s_branch .LBB45_49
.LBB45_60:
	s_or_b64 exec, exec, s[6:7]
.LBB45_61:
	s_or_b64 exec, exec, s[2:3]
	ds_bpermute_b32 v6, v34, v2
	ds_bpermute_b32 v7, v34, v3
	;; [unrolled: 1-line block ×4, first 2 shown]
	v_and_b32_e32 v1, 0x3c7, v0
	v_cmp_eq_u32_e32 vcc, 64, v1
	s_waitcnt lgkmcnt(2)
	v_pk_add_f32 v[2:3], v[2:3], v[6:7]
	ds_bpermute_b32 v6, v33, v2
	s_waitcnt lgkmcnt(1)
	v_pk_add_f32 v[4:5], v[4:5], v[8:9]
	ds_bpermute_b32 v7, v33, v3
	ds_bpermute_b32 v8, v33, v4
	;; [unrolled: 1-line block ×3, first 2 shown]
	s_waitcnt lgkmcnt(0)
	s_barrier
	v_pk_add_f32 v[2:3], v[2:3], v[6:7]
	ds_bpermute_b32 v6, v35, v2
	v_pk_add_f32 v[4:5], v[4:5], v[8:9]
	ds_bpermute_b32 v7, v35, v3
	ds_bpermute_b32 v8, v35, v4
	;; [unrolled: 1-line block ×3, first 2 shown]
	s_waitcnt lgkmcnt(0)
	v_pk_add_f32 v[2:3], v[2:3], v[6:7]
	v_pk_add_f32 v[4:5], v[4:5], v[8:9]
	s_and_saveexec_b64 s[0:1], vcc
	s_cbranch_execz .LBB45_63
; %bb.62:
	v_lshrrev_b32_e32 v6, 1, v32
	v_add_u32_e32 v6, 0x90, v6
	ds_write2_b32 v6, v2, v3 offset1:8
	ds_write2_b32 v6, v4, v5 offset0:16 offset1:24
.LBB45_63:
	s_or_b64 exec, exec, s[0:1]
	v_cmp_gt_u32_e32 vcc, 64, v0
	s_waitcnt lgkmcnt(0)
	s_barrier
	s_and_saveexec_b64 s[0:1], vcc
	s_cbranch_execz .LBB45_70
; %bb.64:
	v_cmp_eq_u32_e32 vcc, 0, v36
	v_lshrrev_b32_e32 v6, 3, v0
	s_and_saveexec_b64 s[2:3], vcc
	s_cbranch_execnz .LBB45_73
; %bb.65:
	s_or_b64 exec, exec, s[2:3]
	s_and_saveexec_b64 s[2:3], vcc
	s_cbranch_execnz .LBB45_74
.LBB45_66:
	s_or_b64 exec, exec, s[2:3]
	s_and_saveexec_b64 s[2:3], vcc
	s_cbranch_execnz .LBB45_75
.LBB45_67:
	s_or_b64 exec, exec, s[2:3]
	s_and_saveexec_b64 s[2:3], vcc
	s_cbranch_execz .LBB45_69
.LBB45_68:
	v_mov_b32_e32 v7, 0x90
	v_lshl_add_u32 v6, v6, 2, v7
	ds_read_b32 v6, v6 offset:96
	s_waitcnt lgkmcnt(0)
	v_add_f32_e32 v5, v5, v6
.LBB45_69:
	s_or_b64 exec, exec, s[2:3]
.LBB45_70:
	s_or_b64 exec, exec, s[0:1]
	v_cmp_eq_u32_e32 vcc, 0, v1
	s_barrier
	s_and_saveexec_b64 s[0:1], vcc
	s_cbranch_execz .LBB45_72
; %bb.71:
	s_lshl_b32 s0, s8, 5
	s_ashr_i32 s1, s0, 31
	s_lshl_b64 s[0:1], s[0:1], 2
	s_add_u32 s2, s26, s0
	s_mul_i32 s0, s16, s24
	s_addc_u32 s3, s27, s1
	s_ashr_i32 s1, s0, 31
	s_lshl_b64 s[0:1], s[0:1], 2
	s_add_u32 s2, s2, s0
	s_addc_u32 s3, s3, s1
	s_lshl_b32 s0, s4, 5
	s_ashr_i32 s1, s0, 31
	s_lshl_b64 s[0:1], s[0:1], 2
	s_add_u32 s0, s2, s0
	s_addc_u32 s1, s3, s1
	v_lshrrev_b32_e32 v0, 1, v0
	global_store_dword v0, v2, s[0:1]
	global_store_dword v0, v3, s[0:1] offset:32
	global_store_dword v0, v4, s[0:1] offset:64
	;; [unrolled: 1-line block ×3, first 2 shown]
.LBB45_72:
	s_endpgm
.LBB45_73:
	v_mov_b32_e32 v7, 0x90
	v_lshl_add_u32 v7, v6, 2, v7
	ds_read_b32 v7, v7
	s_waitcnt lgkmcnt(0)
	v_add_f32_e32 v2, v2, v7
	s_or_b64 exec, exec, s[2:3]
	s_and_saveexec_b64 s[2:3], vcc
	s_cbranch_execz .LBB45_66
.LBB45_74:
	v_mov_b32_e32 v7, 0x90
	v_lshl_add_u32 v7, v6, 2, v7
	ds_read_b32 v7, v7 offset:32
	s_waitcnt lgkmcnt(0)
	v_add_f32_e32 v3, v3, v7
	s_or_b64 exec, exec, s[2:3]
	s_and_saveexec_b64 s[2:3], vcc
	s_cbranch_execz .LBB45_67
.LBB45_75:
	v_mov_b32_e32 v7, 0x90
	v_lshl_add_u32 v7, v6, 2, v7
	ds_read_b32 v7, v7 offset:64
	s_waitcnt lgkmcnt(0)
	v_add_f32_e32 v4, v4, v7
	s_or_b64 exec, exec, s[2:3]
	s_and_saveexec_b64 s[2:3], vcc
	s_cbranch_execnz .LBB45_68
	s_branch .LBB45_69
	.section	.rodata,"a",@progbits
	.p2align	6, 0x0
	.amdhsa_kernel _ZN4vllm25paged_attention_v2_kernelIffLi32ELi32ELi128ELNS_18Fp8KVCacheDataTypeE0ELb1ELi512EEEvPfS2_PT_PKS3_PKT0_S9_ifPKiSB_iPKfiiiSD_SD_iiiii
		.amdhsa_group_segment_fixed_size 144
		.amdhsa_private_segment_fixed_size 0
		.amdhsa_kernarg_size 400
		.amdhsa_user_sgpr_count 2
		.amdhsa_user_sgpr_dispatch_ptr 0
		.amdhsa_user_sgpr_queue_ptr 0
		.amdhsa_user_sgpr_kernarg_segment_ptr 1
		.amdhsa_user_sgpr_dispatch_id 0
		.amdhsa_user_sgpr_kernarg_preload_length 0
		.amdhsa_user_sgpr_kernarg_preload_offset 0
		.amdhsa_user_sgpr_private_segment_size 0
		.amdhsa_uses_dynamic_stack 0
		.amdhsa_enable_private_segment 0
		.amdhsa_system_sgpr_workgroup_id_x 1
		.amdhsa_system_sgpr_workgroup_id_y 1
		.amdhsa_system_sgpr_workgroup_id_z 1
		.amdhsa_system_sgpr_workgroup_info 0
		.amdhsa_system_vgpr_workitem_id 0
		.amdhsa_next_free_vgpr 57
		.amdhsa_next_free_sgpr 52
		.amdhsa_accum_offset 60
		.amdhsa_reserve_vcc 1
		.amdhsa_float_round_mode_32 0
		.amdhsa_float_round_mode_16_64 0
		.amdhsa_float_denorm_mode_32 3
		.amdhsa_float_denorm_mode_16_64 3
		.amdhsa_dx10_clamp 1
		.amdhsa_ieee_mode 1
		.amdhsa_fp16_overflow 0
		.amdhsa_tg_split 0
		.amdhsa_exception_fp_ieee_invalid_op 0
		.amdhsa_exception_fp_denorm_src 0
		.amdhsa_exception_fp_ieee_div_zero 0
		.amdhsa_exception_fp_ieee_overflow 0
		.amdhsa_exception_fp_ieee_underflow 0
		.amdhsa_exception_fp_ieee_inexact 0
		.amdhsa_exception_int_div_zero 0
	.end_amdhsa_kernel
	.section	.text._ZN4vllm25paged_attention_v2_kernelIffLi32ELi32ELi128ELNS_18Fp8KVCacheDataTypeE0ELb1ELi512EEEvPfS2_PT_PKS3_PKT0_S9_ifPKiSB_iPKfiiiSD_SD_iiiii,"axG",@progbits,_ZN4vllm25paged_attention_v2_kernelIffLi32ELi32ELi128ELNS_18Fp8KVCacheDataTypeE0ELb1ELi512EEEvPfS2_PT_PKS3_PKT0_S9_ifPKiSB_iPKfiiiSD_SD_iiiii,comdat
.Lfunc_end45:
	.size	_ZN4vllm25paged_attention_v2_kernelIffLi32ELi32ELi128ELNS_18Fp8KVCacheDataTypeE0ELb1ELi512EEEvPfS2_PT_PKS3_PKT0_S9_ifPKiSB_iPKfiiiSD_SD_iiiii, .Lfunc_end45-_ZN4vllm25paged_attention_v2_kernelIffLi32ELi32ELi128ELNS_18Fp8KVCacheDataTypeE0ELb1ELi512EEEvPfS2_PT_PKS3_PKT0_S9_ifPKiSB_iPKfiiiSD_SD_iiiii
                                        ; -- End function
	.section	.AMDGPU.csdata,"",@progbits
; Kernel info:
; codeLenInByte = 4828
; NumSgprs: 58
; NumVgprs: 57
; NumAgprs: 0
; TotalNumVgprs: 57
; ScratchSize: 0
; MemoryBound: 0
; FloatMode: 240
; IeeeMode: 1
; LDSByteSize: 144 bytes/workgroup (compile time only)
; SGPRBlocks: 7
; VGPRBlocks: 7
; NumSGPRsForWavesPerEU: 58
; NumVGPRsForWavesPerEU: 57
; AccumOffset: 60
; Occupancy: 8
; WaveLimiterHint : 1
; COMPUTE_PGM_RSRC2:SCRATCH_EN: 0
; COMPUTE_PGM_RSRC2:USER_SGPR: 2
; COMPUTE_PGM_RSRC2:TRAP_HANDLER: 0
; COMPUTE_PGM_RSRC2:TGID_X_EN: 1
; COMPUTE_PGM_RSRC2:TGID_Y_EN: 1
; COMPUTE_PGM_RSRC2:TGID_Z_EN: 1
; COMPUTE_PGM_RSRC2:TIDIG_COMP_CNT: 0
; COMPUTE_PGM_RSRC3_GFX90A:ACCUM_OFFSET: 14
; COMPUTE_PGM_RSRC3_GFX90A:TG_SPLIT: 0
	.section	.text._ZN4vllm25paged_attention_v2_kernelIffLi64ELi32ELi128ELNS_18Fp8KVCacheDataTypeE0ELb1ELi512EEEvPfS2_PT_PKS3_PKT0_S9_ifPKiSB_iPKfiiiSD_SD_iiiii,"axG",@progbits,_ZN4vllm25paged_attention_v2_kernelIffLi64ELi32ELi128ELNS_18Fp8KVCacheDataTypeE0ELb1ELi512EEEvPfS2_PT_PKS3_PKT0_S9_ifPKiSB_iPKfiiiSD_SD_iiiii,comdat
	.protected	_ZN4vllm25paged_attention_v2_kernelIffLi64ELi32ELi128ELNS_18Fp8KVCacheDataTypeE0ELb1ELi512EEEvPfS2_PT_PKS3_PKT0_S9_ifPKiSB_iPKfiiiSD_SD_iiiii ; -- Begin function _ZN4vllm25paged_attention_v2_kernelIffLi64ELi32ELi128ELNS_18Fp8KVCacheDataTypeE0ELb1ELi512EEEvPfS2_PT_PKS3_PKT0_S9_ifPKiSB_iPKfiiiSD_SD_iiiii
	.globl	_ZN4vllm25paged_attention_v2_kernelIffLi64ELi32ELi128ELNS_18Fp8KVCacheDataTypeE0ELb1ELi512EEEvPfS2_PT_PKS3_PKT0_S9_ifPKiSB_iPKfiiiSD_SD_iiiii
	.p2align	8
	.type	_ZN4vllm25paged_attention_v2_kernelIffLi64ELi32ELi128ELNS_18Fp8KVCacheDataTypeE0ELb1ELi512EEEvPfS2_PT_PKS3_PKT0_S9_ifPKiSB_iPKfiiiSD_SD_iiiii,@function
_ZN4vllm25paged_attention_v2_kernelIffLi64ELi32ELi128ELNS_18Fp8KVCacheDataTypeE0ELb1ELi512EEEvPfS2_PT_PKS3_PKT0_S9_ifPKiSB_iPKfiiiSD_SD_iiiii: ; @_ZN4vllm25paged_attention_v2_kernelIffLi64ELi32ELi128ELNS_18Fp8KVCacheDataTypeE0ELb1ELi512EEEvPfS2_PT_PKS3_PKT0_S9_ifPKiSB_iPKfiiiSD_SD_iiiii
; %bb.0:
	s_load_dwordx2 s[6:7], s[0:1], 0x40
	s_mov_b32 s28, s3
	s_ashr_i32 s29, s3, 31
	s_lshl_b64 s[8:9], s[28:29], 2
	s_waitcnt lgkmcnt(0)
	s_add_u32 s6, s6, s8
	s_addc_u32 s7, s7, s9
	s_load_dword s29, s[6:7], 0x0
	s_lshl_b32 s50, s4, 9
	s_waitcnt lgkmcnt(0)
	s_cmp_ge_i32 s50, s29
	s_cbranch_scc1 .LBB46_84
; %bb.1:
	s_load_dword s5, s[0:1], 0x90
	s_load_dwordx2 s[38:39], s[0:1], 0x30
	s_waitcnt lgkmcnt(0)
	s_abs_i32 s7, s5
	s_abs_i32 s3, s38
	v_cvt_f32_u32_e32 v1, s3
	s_sub_i32 s8, 0, s3
	s_xor_b32 s6, s5, s38
	s_ashr_i32 s6, s6, 31
	v_rcp_iflag_f32_e32 v1, v1
	s_nop 0
	v_mul_f32_e32 v1, 0x4f7ffffe, v1
	v_cvt_u32_f32_e32 v1, v1
	s_nop 0
	v_readfirstlane_b32 s9, v1
	s_mul_i32 s8, s8, s9
	s_mul_hi_u32 s8, s9, s8
	s_add_i32 s9, s9, s8
	s_mul_hi_u32 s8, s7, s9
	s_mul_i32 s9, s8, s3
	s_sub_i32 s7, s7, s9
	s_add_i32 s10, s8, 1
	s_sub_i32 s9, s7, s3
	s_cmp_ge_u32 s7, s3
	s_cselect_b32 s8, s10, s8
	s_cselect_b32 s7, s9, s7
	s_add_i32 s9, s8, 1
	s_cmp_ge_u32 s7, s3
	s_cselect_b32 s3, s9, s8
	s_xor_b32 s3, s3, s6
	s_sub_i32 s12, s3, s6
	s_abs_i32 s8, s12
	v_cvt_f32_u32_e32 v1, s8
	s_load_dwordx2 s[6:7], s[0:1], 0x50
	s_sub_i32 s10, 0, s8
	s_abs_i32 s9, s2
	v_rcp_iflag_f32_e32 v1, v1
	s_mov_b32 s3, 0
	v_mul_f32_e32 v1, 0x4f7ffffe, v1
	v_cvt_u32_f32_e32 v1, v1
	s_nop 0
	v_readfirstlane_b32 s11, v1
	s_mul_i32 s10, s10, s11
	s_mul_hi_u32 s10, s11, s10
	s_add_i32 s11, s11, s10
	s_waitcnt lgkmcnt(0)
	s_cmp_eq_u64 s[6:7], 0
	s_mul_hi_u32 s10, s9, s11
	s_cbranch_scc1 .LBB46_3
; %bb.2:
	s_ashr_i32 s3, s2, 31
	s_lshl_b64 s[14:15], s[2:3], 2
	s_add_u32 s6, s6, s14
	s_addc_u32 s7, s7, s15
	s_load_dword s3, s[6:7], 0x0
.LBB46_3:
	s_ashr_i32 s16, s12, 31
	s_load_dwordx4 s[12:15], s[0:1], 0x58
	s_ashr_i32 s11, s2, 31
	v_and_b32_e32 v4, 1, v0
	s_lshl_b32 s24, s2, 6
	v_cmp_gt_u32_e32 vcc, 32, v0
	v_lshlrev_b32_e32 v2, 3, v0
	v_lshlrev_b32_e32 v10, 2, v0
	s_and_saveexec_b64 s[6:7], vcc
	s_cbranch_execz .LBB46_5
; %bb.4:
	s_load_dwordx2 s[18:19], s[0:1], 0x18
	s_waitcnt lgkmcnt(0)
	s_mul_i32 s20, s28, s12
	s_ashr_i32 s21, s20, 31
	s_lshl_b64 s[20:21], s[20:21], 2
	v_and_b32_e32 v1, 0xff8, v10
	s_add_u32 s12, s18, s20
	s_addc_u32 s15, s19, s21
	s_ashr_i32 s25, s24, 31
	s_lshl_b64 s[18:19], s[24:25], 2
	s_add_u32 s18, s12, s18
	s_addc_u32 s19, s15, s19
	global_load_dwordx2 v[6:7], v2, s[18:19]
	v_lshl_add_u32 v1, v4, 7, v1
	s_waitcnt vmcnt(0)
	ds_write_b64 v1, v[6:7]
.LBB46_5:
	s_or_b64 exec, exec, s[6:7]
	s_mul_i32 s7, s10, s8
	s_sub_i32 s7, s9, s7
	s_xor_b32 s6, s11, s16
	s_add_i32 s9, s10, 1
	s_sub_i32 s11, s7, s8
	s_load_dwordx4 s[16:19], s[0:1], 0x78
	s_cmp_ge_u32 s7, s8
	s_cselect_b32 s9, s9, s10
	s_cselect_b32 s7, s11, s7
	s_load_dword s11, s[0:1], 0x88
	s_add_i32 s10, s9, 1
	s_cmp_ge_u32 s7, s8
	s_cselect_b32 s7, s10, s9
	s_waitcnt lgkmcnt(0)
	s_abs_i32 s33, s19
	v_cvt_f32_u32_e32 v1, s33
	s_xor_b32 s7, s7, s6
	s_sub_i32 s10, s7, s6
	s_sub_i32 s6, 0, s33
	v_rcp_iflag_f32_e32 v1, v1
	s_add_i32 s12, s29, -1
	s_abs_i32 s8, s12
	v_mul_f32_e32 v1, 0x4f7ffffe, v1
	v_cvt_u32_f32_e32 v1, v1
	s_barrier
	v_readfirstlane_b32 s46, v1
	s_mul_i32 s6, s6, s46
	s_mul_hi_u32 s6, s46, s6
	s_add_i32 s46, s46, s6
	s_cmp_lt_i32 s11, 0
	s_mul_hi_u32 s9, s8, s46
	s_cbranch_scc0 .LBB46_7
; %bb.6:
	s_mul_i32 s6, s16, s38
	s_add_i32 s6, s10, s6
	s_mul_i32 s6, s6, s11
	s_sub_i32 s47, 1, s6
	s_mov_b64 s[6:7], 0
	s_branch .LBB46_8
.LBB46_7:
	s_mov_b64 s[6:7], -1
                                        ; implicit-def: $sgpr47
.LBB46_8:
	s_load_dwordx2 s[30:31], s[0:1], 0x38
	s_ashr_i32 s12, s12, 31
	s_andn2_b64 vcc, exec, s[6:7]
	s_ashr_i32 s48, s19, 31
	s_cbranch_vccnz .LBB46_10
; %bb.9:
	s_mul_i32 s6, s5, s16
	s_add_i32 s6, s6, s2
	s_mul_i32 s6, s6, s11
	s_add_i32 s47, s6, 1
.LBB46_10:
	s_load_dword s6, s[0:1], 0x48
	s_load_dwordx2 s[36:37], s[0:1], 0x28
	s_load_dword s25, s[0:1], 0x98
	s_load_dwordx4 s[20:23], s[0:1], 0x0
	s_load_dwordx2 s[26:27], s[0:1], 0x10
	s_mul_i32 s7, s9, s33
	s_waitcnt lgkmcnt(0)
	s_mul_i32 s34, s28, s6
	s_sub_i32 s7, s8, s7
	s_ashr_i32 s35, s34, 31
	s_xor_b32 s6, s12, s48
	s_add_i32 s8, s9, 1
	s_sub_i32 s11, s7, s33
	s_cmp_ge_u32 s7, s33
	s_cselect_b32 s8, s8, s9
	s_cselect_b32 s7, s11, s7
	s_add_i32 s9, s8, 1
	s_cmp_ge_u32 s7, s33
	s_cselect_b32 s7, s9, s8
	s_xor_b32 s7, s7, s6
	s_sub_i32 s19, s7, s6
	s_add_i32 s6, s29, 31
	s_ashr_i32 s7, s6, 31
	s_lshr_b32 s7, s7, 27
	s_add_i32 s6, s6, s7
	s_lshl_b32 s12, s4, 4
	s_ashr_i32 s16, s6, 5
	s_add_i32 s6, s12, 16
	v_lshrrev_b32_e32 v11, 6, v0
	s_min_i32 s49, s6, s16
	v_or_b32_e32 v46, s12, v11
	v_cmp_gt_i32_e64 s[8:9], s49, v46
	v_mov_b32_e32 v8, 0xff7fffff
	s_mul_i32 s14, s10, s14
	v_ashrrev_i32_e32 v47, 31, v46
	v_lshl_add_u32 v1, v11, 5, s50
	v_mbcnt_lo_u32_b32 v6, -1, 0
	s_and_saveexec_b64 s[40:41], s[8:9]
	s_cbranch_execz .LBB46_20
; %bb.11:
	s_load_dwordx2 s[0:1], s[0:1], 0x20
	s_ashr_i32 s15, s14, 31
	s_sub_i32 s38, s19, s17
	s_lshl_b64 s[6:7], s[14:15], 2
	v_bfe_u32 v7, v0, 1, 5
	s_waitcnt lgkmcnt(0)
	s_add_u32 s0, s0, s6
	s_addc_u32 s1, s1, s7
	s_abs_i32 s15, s18
	v_cvt_f32_u32_e32 v3, s15
	v_lshlrev_b32_e32 v8, 4, v7
	v_mov_b32_e32 v9, 0
	v_lshlrev_b32_e32 v14, 2, v7
	v_rcp_iflag_f32_e32 v5, v3
	v_lshl_add_u64 v[12:13], s[0:1], 0, v[8:9]
	v_and_b32_e32 v8, 8, v2
	s_sub_i32 s0, 0, s15
	v_mul_f32_e32 v5, 0x4f7ffffe, v5
	v_cvt_u32_f32_e32 v5, v5
	v_cmp_eq_u32_e32 vcc, 0, v4
	v_lshl_add_u64 v[2:3], v[12:13], 0, v[8:9]
	v_lshlrev_b32_e32 v9, 7, v4
	v_mul_lo_u32 v4, s0, v5
	s_lshl_b64 s[0:1], s[34:35], 2
	v_lshl_or_b32 v8, v11, 7, v14
	s_add_u32 s0, s30, s0
	v_add_u32_e32 v14, 0x110, v8
	v_subrev_u32_e32 v8, s29, v7
	v_mbcnt_hi_u32_b32 v17, -1, v6
	v_mul_hi_u32 v4, v5, v4
	s_addc_u32 s1, s31, s1
	v_add_u32_e32 v15, 1, v8
	v_and_b32_e32 v8, 64, v17
	s_mov_b32 s51, s13
	v_cmp_neq_f32_e64 s[6:7], s3, 0
	v_add_u32_e32 v12, v5, v4
	v_lshl_add_u64 v[4:5], v[46:47], 2, s[0:1]
	v_lshl_add_u32 v13, v11, 5, s50
	s_mov_b64 s[42:43], 0
	v_mov_b32_e32 v16, 0xff7fffff
	s_movk_i32 s52, 0x1000
	v_xor_b32_e32 v18, 1, v17
	v_add_u32_e32 v19, 64, v8
	v_mov_b32_e32 v8, 0xff7fffff
	v_mov_b32_e32 v20, v46
	s_branch .LBB46_14
.LBB46_12:                              ;   in Loop: Header=BB46_14 Depth=1
	s_or_b64 exec, exec, s[44:45]
.LBB46_13:                              ;   in Loop: Header=BB46_14 Depth=1
	s_or_b64 exec, exec, s[10:11]
	v_add_u32_e32 v20, 2, v20
	v_cmp_le_i32_e64 s[0:1], s49, v20
	v_lshl_add_u64 v[4:5], v[4:5], 0, 8
	v_add_u32_e32 v13, 64, v13
	s_or_b64 s[42:43], s[0:1], s[42:43]
	v_add_u32_e32 v14, 0x100, v14
	s_andn2_b64 exec, exec, s[42:43]
	s_cbranch_execz .LBB46_19
.LBB46_14:                              ; =>This Inner Loop Header: Depth=1
	s_waitcnt lgkmcnt(0)
	v_sub_u32_e32 v22, 0, v13
	v_max_i32_e32 v22, v13, v22
	v_mul_hi_u32 v23, v22, s46
	v_mul_lo_u32 v24, v23, s33
	v_sub_u32_e32 v22, v22, v24
	v_add_u32_e32 v24, 1, v23
	v_cmp_le_u32_e64 s[0:1], s33, v22
	v_ashrrev_i32_e32 v21, 31, v13
	v_xor_b32_e32 v21, s48, v21
	v_cndmask_b32_e64 v23, v23, v24, s[0:1]
	v_subrev_u32_e32 v24, s33, v22
	v_cndmask_b32_e64 v22, v22, v24, s[0:1]
	v_add_u32_e32 v24, 1, v23
	v_cmp_le_u32_e64 s[0:1], s33, v22
	s_nop 1
	v_cndmask_b32_e64 v22, v23, v24, s[0:1]
	v_xor_b32_e32 v22, v22, v21
	v_sub_u32_e32 v21, v22, v21
	v_add_u32_e32 v22, s47, v21
	v_sub_u32_e32 v24, 0, v22
	v_ashrrev_i32_e32 v23, 31, v22
	v_max_i32_e32 v22, v22, v24
	v_mul_hi_u32 v24, v22, v12
	v_mul_lo_u32 v24, v24, s15
	v_sub_u32_e32 v22, v22, v24
	v_subrev_u32_e32 v24, s15, v22
	v_cmp_le_u32_e64 s[0:1], s15, v22
	v_cmp_ge_i32_e64 s[10:11], s38, v21
	s_nop 0
	v_cndmask_b32_e64 v22, v22, v24, s[0:1]
	v_subrev_u32_e32 v24, s15, v22
	v_cmp_le_u32_e64 s[0:1], s15, v22
	s_nop 1
	v_cndmask_b32_e64 v22, v22, v24, s[0:1]
	v_xor_b32_e32 v22, v22, v23
	v_sub_u32_e32 v22, v22, v23
	v_cmp_ne_u32_e64 s[0:1], 0, v22
	s_and_b64 s[0:1], s[0:1], s[10:11]
	s_and_b64 s[44:45], vcc, s[0:1]
	s_and_saveexec_b64 s[10:11], s[44:45]
	s_cbranch_execz .LBB46_16
; %bb.15:                               ;   in Loop: Header=BB46_14 Depth=1
	ds_write_b32 v14, v16
.LBB46_16:                              ;   in Loop: Header=BB46_14 Depth=1
	s_or_b64 exec, exec, s[10:11]
	s_xor_b64 s[0:1], s[0:1], -1
	s_and_saveexec_b64 s[10:11], s[0:1]
	s_cbranch_execz .LBB46_13
; %bb.17:                               ;   in Loop: Header=BB46_14 Depth=1
	global_load_dword v21, v[4:5], off
	s_waitcnt vmcnt(0)
	v_mad_i64_i32 v[22:23], s[0:1], v21, s51, 0
	v_lshl_add_u64 v[22:23], v[22:23], 2, v[2:3]
	global_load_dwordx2 v[56:57], v[22:23], off offset:512
	global_load_dwordx2 v[58:59], v[22:23], off offset:1024
	;; [unrolled: 1-line block ×3, first 2 shown]
	global_load_dwordx2 v[62:63], v[22:23], off
	global_load_dwordx2 v[64:65], v[22:23], off offset:2048
	global_load_dwordx2 v[66:67], v[22:23], off offset:2560
	;; [unrolled: 1-line block ×4, first 2 shown]
	v_add_co_u32_e64 v22, s[0:1], s52, v22
	s_nop 1
	v_addc_co_u32_e64 v23, s[0:1], 0, v23, s[0:1]
	global_load_dwordx2 v[72:73], v[22:23], off
	global_load_dwordx2 v[74:75], v[22:23], off offset:512
	global_load_dwordx2 v[76:77], v[22:23], off offset:1024
	global_load_dwordx2 v[78:79], v[22:23], off offset:1536
	global_load_dwordx2 v[80:81], v[22:23], off offset:2048
	global_load_dwordx2 v[82:83], v[22:23], off offset:2560
	global_load_dwordx2 v[84:85], v[22:23], off offset:3072
	global_load_dwordx2 v[86:87], v[22:23], off offset:3584
	v_cmp_lt_i32_e64 s[0:1], v18, v19
	ds_read_b128 v[22:25], v9
	ds_read_b128 v[26:29], v9 offset:16
	ds_read_b128 v[30:33], v9 offset:32
	;; [unrolled: 1-line block ×7, first 2 shown]
	v_cndmask_b32_e64 v21, v17, v18, s[0:1]
	v_lshlrev_b32_e32 v88, 2, v21
	s_waitcnt vmcnt(15) lgkmcnt(7)
	v_mul_f32_e32 v21, v24, v56
	v_mul_f32_e32 v24, v25, v57
	s_waitcnt vmcnt(12)
	v_fmac_f32_e32 v21, v22, v62
	v_fmac_f32_e32 v24, v23, v63
	s_waitcnt lgkmcnt(6)
	v_fmac_f32_e32 v21, v26, v58
	v_fmac_f32_e32 v24, v27, v59
	;; [unrolled: 1-line block ×4, first 2 shown]
	s_waitcnt vmcnt(11) lgkmcnt(5)
	v_fmac_f32_e32 v21, v30, v64
	v_fmac_f32_e32 v24, v31, v65
	s_waitcnt vmcnt(10)
	v_fmac_f32_e32 v21, v32, v66
	v_fmac_f32_e32 v24, v33, v67
	s_waitcnt vmcnt(9) lgkmcnt(4)
	v_fmac_f32_e32 v21, v34, v68
	v_fmac_f32_e32 v24, v35, v69
	s_waitcnt vmcnt(8)
	v_fmac_f32_e32 v21, v36, v70
	v_fmac_f32_e32 v24, v37, v71
	;; [unrolled: 6-line block ×6, first 2 shown]
	v_add_f32_e32 v21, v21, v24
	ds_bpermute_b32 v22, v88, v21
	s_and_saveexec_b64 s[44:45], vcc
	s_cbranch_execz .LBB46_12
; %bb.18:                               ;   in Loop: Header=BB46_14 Depth=1
	v_add_u32_e32 v23, v15, v13
	v_cvt_f32_i32_e32 v23, v23
	s_waitcnt lgkmcnt(0)
	v_add_f32_e32 v21, v21, v22
	v_add_u32_e32 v24, v7, v13
	v_cmp_gt_i32_e64 s[0:1], s29, v24
	v_mul_f32_e32 v22, s3, v23
	v_cndmask_b32_e64 v22, 0, v22, s[6:7]
	v_fmac_f32_e32 v22, s39, v21
	v_cndmask_b32_e64 v21, 0, v22, s[0:1]
	ds_write_b32 v14, v21
	v_max_f32_e32 v21, v8, v8
	v_max_f32_e32 v21, v21, v22
	v_cndmask_b32_e64 v8, v8, v21, s[0:1]
	s_branch .LBB46_12
.LBB46_19:
	s_or_b64 exec, exec, s[42:43]
.LBB46_20:
	s_or_b64 exec, exec, s[40:41]
	v_mbcnt_hi_u32_b32 v4, -1, v6
	v_and_b32_e32 v2, 64, v4
	v_add_u32_e32 v9, 64, v2
	v_xor_b32_e32 v2, 32, v4
	v_cmp_lt_i32_e32 vcc, v2, v9
	v_xor_b32_e32 v6, 16, v4
	v_max_f32_e32 v5, v8, v8
	v_cndmask_b32_e32 v2, v4, v2, vcc
	v_lshlrev_b32_e32 v2, 2, v2
	ds_bpermute_b32 v3, v2, v8
	v_cmp_lt_i32_e32 vcc, v6, v9
	v_xor_b32_e32 v7, 8, v4
	v_xor_b32_e32 v8, 4, v4
	v_and_b32_e32 v60, 63, v0
	s_waitcnt lgkmcnt(0)
	v_max_f32_e32 v3, v3, v3
	v_max_f32_e32 v5, v5, v3
	v_cndmask_b32_e32 v3, v4, v6, vcc
	v_lshlrev_b32_e32 v3, 2, v3
	ds_bpermute_b32 v6, v3, v5
	v_cmp_lt_i32_e32 vcc, v7, v9
	s_waitcnt lgkmcnt(0)
	v_max_f32_e32 v6, v6, v6
	v_max_f32_e32 v6, v5, v6
	v_cndmask_b32_e32 v5, v4, v7, vcc
	v_lshlrev_b32_e32 v5, 2, v5
	ds_bpermute_b32 v7, v5, v6
	v_cmp_lt_i32_e32 vcc, v8, v9
	s_waitcnt lgkmcnt(0)
	v_max_f32_e32 v7, v7, v7
	v_max_f32_e32 v6, v6, v7
	v_cndmask_b32_e32 v7, v4, v8, vcc
	v_lshlrev_b32_e32 v62, 2, v7
	ds_bpermute_b32 v7, v62, v6
	v_xor_b32_e32 v8, 2, v4
	v_cmp_lt_i32_e32 vcc, v8, v9
	s_waitcnt lgkmcnt(0)
	v_max_f32_e32 v7, v7, v7
	v_max_f32_e32 v7, v6, v7
	v_cndmask_b32_e32 v6, v4, v8, vcc
	v_lshlrev_b32_e32 v61, 2, v6
	ds_bpermute_b32 v8, v61, v7
	v_cmp_eq_u32_e32 vcc, 0, v60
	v_lshlrev_b32_e32 v6, 2, v11
	s_and_saveexec_b64 s[0:1], vcc
	s_cbranch_execz .LBB46_22
; %bb.21:
	s_waitcnt lgkmcnt(0)
	v_max_f32_e32 v8, v8, v8
	v_max_f32_e32 v7, v7, v7
	;; [unrolled: 1-line block ×3, first 2 shown]
	ds_write_b32 v6, v7 offset:256
.LBB46_22:
	s_or_b64 exec, exec, s[0:1]
	v_cmp_gt_u32_e64 s[0:1], 2, v60
	s_waitcnt lgkmcnt(0)
	v_mov_b32_e32 v8, 0xff7fffff
	v_lshlrev_b32_e32 v7, 2, v60
	s_barrier
	s_and_saveexec_b64 s[6:7], s[0:1]
	s_cbranch_execz .LBB46_24
; %bb.23:
	ds_read_b32 v8, v7 offset:256
.LBB46_24:
	s_or_b64 exec, exec, s[6:7]
	v_xor_b32_e32 v12, 1, v4
	v_cmp_lt_i32_e64 s[6:7], v12, v9
	s_sub_i32 s3, s49, s12
	s_lshl_b32 s3, s3, 5
	v_cndmask_b32_e64 v9, v4, v12, s[6:7]
	v_lshlrev_b32_e32 v63, 2, v9
	s_waitcnt lgkmcnt(0)
	ds_bpermute_b32 v9, v63, v8
	v_max_f32_e32 v8, v8, v8
	v_lshlrev_b32_e32 v4, 2, v4
	s_add_i32 s3, s3, s50
	s_min_i32 s12, s3, s29
	s_waitcnt lgkmcnt(0)
	v_max_f32_e32 v9, v9, v9
	v_max_f32_e32 v9, v8, v9
	v_and_b32_e32 v8, 0x100, v4
	ds_bpermute_b32 v4, v8, v9
	s_sub_i32 s3, s12, s50
	v_cmp_gt_i32_e64 s[6:7], s3, v0
	v_mov_b32_e32 v9, 0
	s_and_saveexec_b64 s[38:39], s[6:7]
	s_cbranch_execz .LBB46_28
; %bb.25:
	v_mov_b32_e32 v9, 0x110
	v_lshl_add_u32 v12, v0, 2, v9
	s_mov_b64 s[40:41], 0
	v_mov_b32_e32 v9, 0
	v_mov_b32_e32 v13, v0
.LBB46_26:                              ; =>This Inner Loop Header: Depth=1
	ds_read_b32 v14, v12
	v_add_u32_e32 v13, 0x80, v13
	v_cmp_le_i32_e64 s[10:11], s3, v13
	s_or_b64 s[40:41], s[10:11], s[40:41]
	s_waitcnt lgkmcnt(0)
	v_sub_f32_e32 v14, v14, v4
	v_mul_f32_e32 v14, 0x3fb8aa3b, v14
	v_exp_f32_e32 v14, v14
	ds_write_b32 v12, v14
	v_add_f32_e32 v9, v9, v14
	v_add_u32_e32 v12, 0x200, v12
	s_andn2_b64 exec, exec, s[40:41]
	s_cbranch_execnz .LBB46_26
; %bb.27:
	s_or_b64 exec, exec, s[40:41]
.LBB46_28:
	s_or_b64 exec, exec, s[38:39]
	ds_bpermute_b32 v2, v2, v9
	s_waitcnt lgkmcnt(0)
	v_add_f32_e32 v2, v9, v2
	ds_bpermute_b32 v3, v3, v2
	s_waitcnt lgkmcnt(0)
	v_add_f32_e32 v2, v2, v3
	;; [unrolled: 3-line block ×6, first 2 shown]
	s_and_saveexec_b64 s[10:11], vcc
	s_cbranch_execz .LBB46_30
; %bb.29:
	ds_write_b32 v6, v2 offset:264
.LBB46_30:
	s_or_b64 exec, exec, s[10:11]
	s_waitcnt lgkmcnt(0)
	s_barrier
	s_and_saveexec_b64 s[10:11], s[0:1]
	s_cbranch_execz .LBB46_32
; %bb.31:
	ds_read_b32 v2, v7 offset:264
.LBB46_32:
	s_or_b64 exec, exec, s[10:11]
	s_waitcnt lgkmcnt(0)
	ds_bpermute_b32 v3, v63, v2
	s_waitcnt lgkmcnt(0)
	v_add_f32_e32 v2, v2, v3
	ds_bpermute_b32 v5, v8, v2
	s_and_saveexec_b64 s[0:1], s[6:7]
	s_cbranch_execz .LBB46_45
; %bb.33:
	s_waitcnt lgkmcnt(0)
	v_add_f32_e32 v2, 0x358637bd, v5
	v_div_scale_f32 v3, s[6:7], v2, v2, 1.0
	v_rcp_f32_e32 v6, v3
	v_div_scale_f32 v7, vcc, 1.0, v2, 1.0
	s_movk_i32 s6, 0x7f
	v_fma_f32 v8, -v3, v6, 1.0
	v_fmac_f32_e32 v6, v8, v6
	v_mul_f32_e32 v8, v7, v6
	v_fma_f32 v9, -v3, v8, v7
	v_fmac_f32_e32 v8, v9, v6
	v_fma_f32 v3, -v3, v8, v7
	v_div_fmas_f32 v3, v3, v6, v8
	v_div_fixup_f32 v2, v3, v2, 1.0
	v_xad_u32 v3, v0, -1, s12
	v_subrev_u32_e32 v6, s50, v3
	v_cmp_lt_u32_e32 vcc, s6, v6
	s_mov_b64 s[10:11], -1
	v_mov_b32_e32 v3, v0
	s_and_saveexec_b64 s[6:7], vcc
	s_cbranch_execz .LBB46_42
; %bb.34:
	v_lshrrev_b32_e32 v6, 7, v6
	v_add_u32_e32 v8, -1, v6
	v_lshrrev_b32_e32 v7, 1, v8
	v_mov_b32_e32 v3, v2
	v_add_u32_e32 v7, 1, v7
	v_cmp_lt_u32_e32 vcc, 13, v8
	v_mov_b32_e32 v12, 0
	s_and_saveexec_b64 s[10:11], vcc
	s_cbranch_execz .LBB46_38
; %bb.35:
	v_mov_b32_e32 v9, 0x110
	v_and_b32_e32 v8, -8, v7
	v_lshl_add_u32 v9, v0, 2, v9
	s_mov_b32 s12, 0
	s_mov_b64 s[38:39], 0
.LBB46_36:                              ; =>This Inner Loop Header: Depth=1
	ds_read2st64_b32 v[12:13], v9 offset1:2
	ds_read2st64_b32 v[14:15], v9 offset0:4 offset1:6
	ds_read2st64_b32 v[16:17], v9 offset0:8 offset1:10
	;; [unrolled: 1-line block ×3, first 2 shown]
	v_add_u32_e32 v8, -8, v8
	s_waitcnt lgkmcnt(3)
	v_pk_mul_f32 v[12:13], v[2:3], v[12:13]
	s_waitcnt lgkmcnt(2)
	v_pk_mul_f32 v[14:15], v[2:3], v[14:15]
	ds_write2st64_b32 v9, v12, v13 offset1:2
	ds_write2st64_b32 v9, v14, v15 offset0:4 offset1:6
	ds_read2st64_b32 v[14:15], v9 offset0:16 offset1:18
	s_waitcnt lgkmcnt(4)
	v_pk_mul_f32 v[12:13], v[2:3], v[16:17]
	ds_write2st64_b32 v9, v12, v13 offset0:8 offset1:10
	s_waitcnt lgkmcnt(4)
	v_pk_mul_f32 v[12:13], v[2:3], v[18:19]
	ds_write2st64_b32 v9, v12, v13 offset0:12 offset1:14
	ds_read2st64_b32 v[12:13], v9 offset0:20 offset1:22
	s_waitcnt lgkmcnt(3)
	v_pk_mul_f32 v[14:15], v[2:3], v[14:15]
	ds_read2st64_b32 v[16:17], v9 offset0:24 offset1:26
	ds_write2st64_b32 v9, v14, v15 offset0:16 offset1:18
	ds_read2st64_b32 v[14:15], v9 offset0:28 offset1:30
	s_waitcnt lgkmcnt(3)
	v_pk_mul_f32 v[12:13], v[2:3], v[12:13]
	ds_write2st64_b32 v9, v12, v13 offset0:20 offset1:22
	s_waitcnt lgkmcnt(3)
	v_pk_mul_f32 v[12:13], v[2:3], v[16:17]
	ds_write2st64_b32 v9, v12, v13 offset0:24 offset1:26
	s_waitcnt lgkmcnt(2)
	v_pk_mul_f32 v[12:13], v[2:3], v[14:15]
	s_add_i32 s12, s12, 16
	v_cmp_eq_u32_e32 vcc, 0, v8
	ds_write2st64_b32 v9, v12, v13 offset0:28 offset1:30
	v_add_u32_e32 v9, 0x2000, v9
	s_or_b64 s[38:39], vcc, s[38:39]
	v_mov_b32_e32 v12, s12
	s_andn2_b64 exec, exec, s[38:39]
	s_cbranch_execnz .LBB46_36
; %bb.37:
	s_or_b64 exec, exec, s[38:39]
.LBB46_38:
	s_or_b64 exec, exec, s[10:11]
	v_and_b32_e32 v7, 7, v7
	v_cmp_ne_u32_e32 vcc, 0, v7
	s_and_saveexec_b64 s[10:11], vcc
	s_cbranch_execz .LBB46_41
; %bb.39:
	v_lshlrev_b32_e32 v8, 9, v12
	s_movk_i32 s12, 0x110
	v_add3_u32 v8, v8, v10, s12
	s_mov_b64 s[38:39], 0
.LBB46_40:                              ; =>This Inner Loop Header: Depth=1
	ds_read2st64_b32 v[12:13], v8 offset1:2
	v_add_u32_e32 v7, -1, v7
	v_cmp_eq_u32_e32 vcc, 0, v7
	s_or_b64 s[38:39], vcc, s[38:39]
	s_waitcnt lgkmcnt(0)
	v_pk_mul_f32 v[12:13], v[2:3], v[12:13]
	ds_write2st64_b32 v8, v12, v13 offset1:2
	v_add_u32_e32 v8, 0x400, v8
	s_andn2_b64 exec, exec, s[38:39]
	s_cbranch_execnz .LBB46_40
.LBB46_41:
	s_or_b64 exec, exec, s[10:11]
	v_add_u32_e32 v6, 1, v6
	v_and_b32_e32 v7, 0x3fffffe, v6
	v_cmp_ne_u32_e32 vcc, v6, v7
	v_lshl_add_u32 v3, v7, 7, v0
	s_orn2_b64 s[10:11], vcc, exec
.LBB46_42:
	s_or_b64 exec, exec, s[6:7]
	s_and_b64 exec, exec, s[10:11]
	s_cbranch_execz .LBB46_45
; %bb.43:
	v_mov_b32_e32 v6, 0x110
	v_lshl_add_u32 v6, v3, 2, v6
	s_mov_b64 s[6:7], 0
.LBB46_44:                              ; =>This Inner Loop Header: Depth=1
	ds_read_b32 v7, v6
	v_add_u32_e32 v3, 0x80, v3
	v_cmp_le_i32_e32 vcc, s3, v3
	s_or_b64 s[6:7], vcc, s[6:7]
	s_waitcnt lgkmcnt(0)
	v_mul_f32_e32 v7, v2, v7
	ds_write_b32 v6, v7
	v_add_u32_e32 v6, 0x200, v6
	s_andn2_b64 exec, exec, s[6:7]
	s_cbranch_execnz .LBB46_44
.LBB46_45:
	s_or_b64 exec, exec, s[0:1]
	s_mul_i32 s0, s25, s28
	v_cmp_eq_u32_e32 vcc, 0, v0
	s_mul_i32 s6, s0, s5
	s_waitcnt lgkmcnt(0)
	s_barrier
	s_and_saveexec_b64 s[0:1], vcc
	s_cbranch_execz .LBB46_47
; %bb.46:
	s_ashr_i32 s7, s6, 31
	s_lshl_b64 s[10:11], s[6:7], 2
	s_add_u32 s5, s22, s10
	s_mul_i32 s2, s25, s2
	s_addc_u32 s7, s23, s11
	s_ashr_i32 s3, s2, 31
	s_lshl_b64 s[2:3], s[2:3], 2
	s_add_u32 s12, s5, s2
	s_addc_u32 s7, s7, s3
	s_ashr_i32 s5, s4, 31
	s_lshl_b64 s[22:23], s[4:5], 2
	s_add_u32 s38, s12, s22
	s_addc_u32 s39, s7, s23
	s_add_u32 s5, s20, s10
	s_addc_u32 s7, s21, s11
	;; [unrolled: 2-line block ×3, first 2 shown]
	s_add_u32 s2, s2, s22
	v_mov_b32_e32 v2, 0
	s_addc_u32 s3, s3, s23
	global_store_dword v2, v4, s[38:39]
	global_store_dword v2, v5, s[2:3]
.LBB46_47:
	s_or_b64 exec, exec, s[0:1]
	s_mov_b32 s12, 0
	v_mov_b32_e32 v9, 0
	v_and_b32_e32 v64, 7, v0
	v_mov_b32_e32 v8, 0
	v_mov_b32_e32 v7, 0
	;; [unrolled: 1-line block ×7, first 2 shown]
	s_and_saveexec_b64 s[2:3], s[8:9]
	s_cbranch_execz .LBB46_69
; %bb.48:
	s_ashr_i32 s15, s14, 31
	s_sub_i32 s5, s19, s17
	s_lshl_b64 s[0:1], s[14:15], 2
	s_add_u32 s8, s36, s0
	s_addc_u32 s9, s37, s1
	s_abs_i32 s7, s18
	v_cvt_f32_u32_e32 v2, s7
	s_sub_i32 s0, 0, s7
	s_add_i32 s21, s16, -1
	v_and_b32_e32 v65, 28, v10
	v_rcp_iflag_f32_e32 v2, v2
	s_mov_b32 s20, s13
	v_and_b32_e32 v10, 0xfc, v10
	s_mov_b32 s13, s12
	v_mul_f32_e32 v2, 0x4f7ffffe, v2
	v_cvt_u32_f32_e32 v2, v2
	v_or_b32_e32 v12, 0x400, v10
	v_or_b32_e32 v14, 0x500, v10
	v_or_b32_e32 v16, 0x600, v10
	v_mul_lo_u32 v3, s0, v2
	v_mul_hi_u32 v3, v2, v3
	s_lshl_b64 s[0:1], s[34:35], 2
	v_add_u32_e32 v66, v2, v3
	s_add_u32 s0, s30, s0
	v_lshlrev_b32_e32 v2, 4, v64
	s_addc_u32 s1, s31, s1
	v_lshl_or_b32 v2, v11, 7, v2
	v_or_b32_e32 v18, 0x700, v10
	v_lshl_add_u64 v[50:51], v[46:47], 2, s[0:1]
	v_add_u32_e32 v47, 0x110, v2
	s_mov_b32 s14, s12
	s_mov_b32 s15, s12
	;; [unrolled: 1-line block ×6, first 2 shown]
	v_mov_b64_e32 v[2:3], s[12:13]
	v_mov_b32_e32 v49, 0
	s_mov_b64 s[10:11], 0
	v_mov_b64_e32 v[4:5], s[14:15]
	v_mov_b64_e32 v[6:7], s[16:17]
	;; [unrolled: 1-line block ×3, first 2 shown]
	v_lshlrev_b32_e32 v52, 2, v10
	v_lshlrev_b32_e32 v48, 2, v12
	;; [unrolled: 1-line block ×5, first 2 shown]
	s_branch .LBB46_51
.LBB46_49:                              ;   in Loop: Header=BB46_51 Depth=1
	s_or_b64 exec, exec, s[0:1]
	s_waitcnt vmcnt(7) lgkmcnt(0)
	v_mul_f32_e32 v15, v11, v15
	v_fmac_f32_e32 v15, v10, v14
	s_waitcnt vmcnt(6)
	v_mul_f32_e32 v14, v11, v19
	v_fmac_f32_e32 v14, v10, v18
	v_fmac_f32_e32 v14, v12, v20
	v_fmac_f32_e32 v14, v13, v21
	v_add_f32_e32 v3, v3, v14
	s_waitcnt vmcnt(5)
	v_mul_f32_e32 v14, v11, v23
	v_fmac_f32_e32 v14, v10, v22
	v_fmac_f32_e32 v14, v12, v24
	v_fmac_f32_e32 v14, v13, v25
	v_add_f32_e32 v4, v4, v14
	;; [unrolled: 6-line block ×5, first 2 shown]
	s_waitcnt vmcnt(1)
	v_mul_f32_e32 v14, v11, v39
	s_waitcnt vmcnt(0)
	v_mul_f32_e32 v11, v11, v43
	v_fmac_f32_e32 v14, v10, v38
	v_fmac_f32_e32 v11, v10, v42
	;; [unrolled: 1-line block ×8, first 2 shown]
	v_add_f32_e32 v2, v2, v15
	v_add_f32_e32 v8, v8, v14
	;; [unrolled: 1-line block ×3, first 2 shown]
.LBB46_50:                              ;   in Loop: Header=BB46_51 Depth=1
	s_or_b64 exec, exec, s[12:13]
	v_add_u32_e32 v46, 2, v46
	v_cmp_le_i32_e32 vcc, s49, v46
	v_lshl_add_u64 v[50:51], v[50:51], 0, 8
	v_add_u32_e32 v1, 64, v1
	s_or_b64 s[10:11], vcc, s[10:11]
	v_add_u32_e32 v47, 0x100, v47
	s_andn2_b64 exec, exec, s[10:11]
	s_cbranch_execz .LBB46_68
.LBB46_51:                              ; =>This Inner Loop Header: Depth=1
	v_sub_u32_e32 v11, 0, v1
	v_max_i32_e32 v11, v1, v11
	v_mul_hi_u32 v12, v11, s46
	v_mul_lo_u32 v13, v12, s33
	v_sub_u32_e32 v11, v11, v13
	v_add_u32_e32 v13, 1, v12
	v_cmp_le_u32_e32 vcc, s33, v11
	v_ashrrev_i32_e32 v10, 31, v1
	v_xor_b32_e32 v10, s48, v10
	v_cndmask_b32_e32 v12, v12, v13, vcc
	v_subrev_u32_e32 v13, s33, v11
	v_cndmask_b32_e32 v11, v11, v13, vcc
	v_add_u32_e32 v13, 1, v12
	v_cmp_le_u32_e32 vcc, s33, v11
	s_nop 1
	v_cndmask_b32_e32 v11, v12, v13, vcc
	v_xor_b32_e32 v11, v11, v10
	v_sub_u32_e32 v10, v11, v10
	v_add_u32_e32 v11, s47, v10
	v_sub_u32_e32 v13, 0, v11
	v_ashrrev_i32_e32 v12, 31, v11
	v_max_i32_e32 v11, v11, v13
	v_mul_hi_u32 v13, v11, v66
	v_mul_lo_u32 v13, v13, s7
	v_sub_u32_e32 v11, v11, v13
	v_subrev_u32_e32 v13, s7, v11
	v_cmp_le_u32_e32 vcc, s7, v11
	v_cmp_lt_i32_e64 s[0:1], s5, v10
	s_nop 0
	v_cndmask_b32_e32 v11, v11, v13, vcc
	v_subrev_u32_e32 v13, s7, v11
	v_cmp_le_u32_e32 vcc, s7, v11
	s_nop 1
	v_cndmask_b32_e32 v11, v11, v13, vcc
	v_xor_b32_e32 v11, v11, v12
	v_sub_u32_e32 v11, v11, v12
	v_cmp_eq_u32_e32 vcc, 0, v11
	s_or_b64 s[0:1], vcc, s[0:1]
	s_and_saveexec_b64 s[12:13], s[0:1]
	s_cbranch_execz .LBB46_50
; %bb.52:                               ;   in Loop: Header=BB46_51 Depth=1
	global_load_dword v10, v[50:51], off
	v_mov_b32_e32 v53, v49
	v_cmp_eq_u32_e32 vcc, s21, v46
	s_waitcnt vmcnt(0)
	v_mad_i64_i32 v[10:11], s[0:1], v10, s20, 0
	v_lshl_add_u64 v[42:43], v[10:11], 2, s[8:9]
	v_lshl_add_u64 v[26:27], v[42:43], 0, v[52:53]
	global_load_dwordx4 v[14:17], v[26:27], off
	ds_read_b128 v[10:13], v47
	v_add_u32_e32 v53, v65, v1
	v_add_u32_e32 v69, 1, v53
	;; [unrolled: 1-line block ×4, first 2 shown]
	s_and_saveexec_b64 s[14:15], vcc
	s_cbranch_execnz .LBB46_65
; %bb.53:                               ;   in Loop: Header=BB46_51 Depth=1
	s_or_b64 exec, exec, s[14:15]
	global_load_dwordx4 v[18:21], v[26:27], off offset:1024
	s_and_saveexec_b64 s[14:15], vcc
	s_cbranch_execnz .LBB46_66
.LBB46_54:                              ;   in Loop: Header=BB46_51 Depth=1
	s_or_b64 exec, exec, s[14:15]
	global_load_dwordx4 v[22:25], v[26:27], off offset:2048
	s_and_saveexec_b64 s[14:15], vcc
	s_cbranch_execnz .LBB46_67
.LBB46_55:                              ;   in Loop: Header=BB46_51 Depth=1
	s_or_b64 exec, exec, s[14:15]
	global_load_dwordx4 v[26:29], v[26:27], off offset:3072
	s_and_saveexec_b64 s[14:15], vcc
	s_cbranch_execz .LBB46_57
.LBB46_56:                              ;   in Loop: Header=BB46_51 Depth=1
	v_cmp_gt_i32_e64 s[0:1], s29, v53
	s_waitcnt vmcnt(0)
	s_nop 0
	v_cndmask_b32_e64 v26, 0, v26, s[0:1]
	v_cmp_gt_i32_e64 s[0:1], s29, v69
	s_nop 1
	v_cndmask_b32_e64 v27, 0, v27, s[0:1]
	v_cmp_gt_i32_e64 s[0:1], s29, v68
	;; [unrolled: 3-line block ×3, first 2 shown]
	s_nop 1
	v_cndmask_b32_e64 v29, 0, v29, s[0:1]
.LBB46_57:                              ;   in Loop: Header=BB46_51 Depth=1
	s_or_b64 exec, exec, s[14:15]
	v_lshl_add_u64 v[30:31], v[42:43], 0, v[48:49]
	global_load_dwordx4 v[30:33], v[30:31], off
	s_and_saveexec_b64 s[14:15], vcc
	s_cbranch_execz .LBB46_59
; %bb.58:                               ;   in Loop: Header=BB46_51 Depth=1
	v_cmp_gt_i32_e64 s[0:1], s29, v53
	s_waitcnt vmcnt(0)
	s_nop 0
	v_cndmask_b32_e64 v30, 0, v30, s[0:1]
	v_cmp_gt_i32_e64 s[0:1], s29, v69
	s_nop 1
	v_cndmask_b32_e64 v31, 0, v31, s[0:1]
	v_cmp_gt_i32_e64 s[0:1], s29, v68
	s_nop 1
	v_cndmask_b32_e64 v32, 0, v32, s[0:1]
	v_cmp_gt_i32_e64 s[0:1], s29, v67
	s_nop 1
	v_cndmask_b32_e64 v33, 0, v33, s[0:1]
.LBB46_59:                              ;   in Loop: Header=BB46_51 Depth=1
	s_or_b64 exec, exec, s[14:15]
	v_mov_b32_e32 v55, v49
	v_lshl_add_u64 v[34:35], v[42:43], 0, v[54:55]
	global_load_dwordx4 v[34:37], v[34:35], off
	s_and_saveexec_b64 s[14:15], vcc
	s_cbranch_execz .LBB46_61
; %bb.60:                               ;   in Loop: Header=BB46_51 Depth=1
	v_cmp_gt_i32_e64 s[0:1], s29, v53
	s_waitcnt vmcnt(0)
	s_nop 0
	v_cndmask_b32_e64 v34, 0, v34, s[0:1]
	v_cmp_gt_i32_e64 s[0:1], s29, v69
	s_nop 1
	v_cndmask_b32_e64 v35, 0, v35, s[0:1]
	v_cmp_gt_i32_e64 s[0:1], s29, v68
	s_nop 1
	v_cndmask_b32_e64 v36, 0, v36, s[0:1]
	v_cmp_gt_i32_e64 s[0:1], s29, v67
	s_nop 1
	v_cndmask_b32_e64 v37, 0, v37, s[0:1]
.LBB46_61:                              ;   in Loop: Header=BB46_51 Depth=1
	s_or_b64 exec, exec, s[14:15]
	v_mov_b32_e32 v57, v49
	;; [unrolled: 21-line block ×3, first 2 shown]
	v_lshl_add_u64 v[42:43], v[42:43], 0, v[58:59]
	global_load_dwordx4 v[42:45], v[42:43], off
	s_and_saveexec_b64 s[0:1], vcc
	s_cbranch_execz .LBB46_49
; %bb.64:                               ;   in Loop: Header=BB46_51 Depth=1
	v_cmp_gt_i32_e32 vcc, s29, v53
	s_waitcnt vmcnt(0)
	s_nop 0
	v_cndmask_b32_e32 v42, 0, v42, vcc
	v_cmp_gt_i32_e32 vcc, s29, v69
	s_nop 1
	v_cndmask_b32_e32 v43, 0, v43, vcc
	v_cmp_gt_i32_e32 vcc, s29, v68
	;; [unrolled: 3-line block ×3, first 2 shown]
	s_nop 1
	v_cndmask_b32_e32 v45, 0, v45, vcc
	s_branch .LBB46_49
.LBB46_65:                              ;   in Loop: Header=BB46_51 Depth=1
	v_cmp_gt_i32_e64 s[0:1], s29, v53
	s_waitcnt vmcnt(0)
	s_nop 0
	v_cndmask_b32_e64 v14, 0, v14, s[0:1]
	v_cmp_gt_i32_e64 s[0:1], s29, v69
	s_nop 1
	v_cndmask_b32_e64 v15, 0, v15, s[0:1]
	v_cmp_gt_i32_e64 s[0:1], s29, v68
	;; [unrolled: 3-line block ×3, first 2 shown]
	s_nop 1
	v_cndmask_b32_e64 v17, 0, v17, s[0:1]
	s_or_b64 exec, exec, s[14:15]
	global_load_dwordx4 v[18:21], v[26:27], off offset:1024
	s_and_saveexec_b64 s[14:15], vcc
	s_cbranch_execz .LBB46_54
.LBB46_66:                              ;   in Loop: Header=BB46_51 Depth=1
	v_cmp_gt_i32_e64 s[0:1], s29, v53
	s_waitcnt vmcnt(0)
	s_nop 0
	v_cndmask_b32_e64 v18, 0, v18, s[0:1]
	v_cmp_gt_i32_e64 s[0:1], s29, v69
	s_nop 1
	v_cndmask_b32_e64 v19, 0, v19, s[0:1]
	v_cmp_gt_i32_e64 s[0:1], s29, v68
	;; [unrolled: 3-line block ×3, first 2 shown]
	s_nop 1
	v_cndmask_b32_e64 v21, 0, v21, s[0:1]
	s_or_b64 exec, exec, s[14:15]
	global_load_dwordx4 v[22:25], v[26:27], off offset:2048
	s_and_saveexec_b64 s[14:15], vcc
	s_cbranch_execz .LBB46_55
.LBB46_67:                              ;   in Loop: Header=BB46_51 Depth=1
	v_cmp_gt_i32_e64 s[0:1], s29, v53
	s_waitcnt vmcnt(0)
	s_nop 0
	v_cndmask_b32_e64 v22, 0, v22, s[0:1]
	v_cmp_gt_i32_e64 s[0:1], s29, v69
	s_nop 1
	v_cndmask_b32_e64 v23, 0, v23, s[0:1]
	v_cmp_gt_i32_e64 s[0:1], s29, v68
	;; [unrolled: 3-line block ×3, first 2 shown]
	s_nop 1
	v_cndmask_b32_e64 v25, 0, v25, s[0:1]
	s_or_b64 exec, exec, s[14:15]
	global_load_dwordx4 v[26:29], v[26:27], off offset:3072
	s_and_saveexec_b64 s[14:15], vcc
	s_cbranch_execnz .LBB46_56
	s_branch .LBB46_57
.LBB46_68:
	s_or_b64 exec, exec, s[10:11]
.LBB46_69:
	s_or_b64 exec, exec, s[2:3]
	ds_bpermute_b32 v12, v62, v4
	ds_bpermute_b32 v13, v62, v5
	;; [unrolled: 1-line block ×6, first 2 shown]
	s_waitcnt lgkmcnt(4)
	v_pk_add_f32 v[4:5], v[4:5], v[12:13]
	ds_bpermute_b32 v12, v61, v4
	ds_bpermute_b32 v13, v61, v5
	s_waitcnt lgkmcnt(4)
	v_pk_add_f32 v[2:3], v[2:3], v[10:11]
	s_waitcnt lgkmcnt(2)
	v_pk_add_f32 v[6:7], v[6:7], v[14:15]
	ds_bpermute_b32 v10, v61, v2
	ds_bpermute_b32 v11, v61, v3
	s_waitcnt lgkmcnt(2)
	v_pk_add_f32 v[4:5], v[4:5], v[12:13]
	ds_bpermute_b32 v12, v62, v8
	ds_bpermute_b32 v13, v62, v9
	;; [unrolled: 1-line block ×4, first 2 shown]
	s_waitcnt lgkmcnt(4)
	v_pk_add_f32 v[2:3], v[2:3], v[10:11]
	ds_bpermute_b32 v10, v63, v2
	s_waitcnt lgkmcnt(3)
	v_pk_add_f32 v[8:9], v[8:9], v[12:13]
	ds_bpermute_b32 v12, v61, v8
	ds_bpermute_b32 v13, v61, v9
	s_waitcnt lgkmcnt(3)
	v_pk_add_f32 v[14:15], v[6:7], v[14:15]
	ds_bpermute_b32 v11, v63, v3
	ds_bpermute_b32 v16, v63, v4
	;; [unrolled: 1-line block ×3, first 2 shown]
	s_waitcnt lgkmcnt(3)
	v_pk_add_f32 v[12:13], v[8:9], v[12:13]
	ds_bpermute_b32 v18, v63, v14
	ds_bpermute_b32 v19, v63, v15
	;; [unrolled: 1-line block ×4, first 2 shown]
	v_and_b32_e32 v1, 0x3c7, v0
	s_waitcnt lgkmcnt(6)
	v_pk_add_f32 v[8:9], v[2:3], v[10:11]
	s_waitcnt lgkmcnt(4)
	v_pk_add_f32 v[6:7], v[4:5], v[16:17]
	;; [unrolled: 2-line block ×4, first 2 shown]
	v_cmp_eq_u32_e32 vcc, 64, v1
	s_barrier
	s_and_saveexec_b64 s[0:1], vcc
	s_cbranch_execz .LBB46_71
; %bb.70:
	v_lshrrev_b32_e32 v10, 1, v60
	v_add_u32_e32 v10, 0x110, v10
	ds_write2_b32 v10, v8, v9 offset1:8
	ds_write2_b32 v10, v6, v7 offset0:16 offset1:24
	ds_write2_b32 v10, v2, v3 offset0:32 offset1:40
	;; [unrolled: 1-line block ×3, first 2 shown]
.LBB46_71:
	s_or_b64 exec, exec, s[0:1]
	v_cmp_gt_u32_e32 vcc, 64, v0
	s_waitcnt lgkmcnt(0)
	s_barrier
	s_and_saveexec_b64 s[0:1], vcc
	s_cbranch_execz .LBB46_82
; %bb.72:
	v_cmp_eq_u32_e32 vcc, 0, v64
	v_lshrrev_b32_e32 v10, 3, v0
	s_and_saveexec_b64 s[2:3], vcc
	s_cbranch_execnz .LBB46_85
; %bb.73:
	s_or_b64 exec, exec, s[2:3]
	s_and_saveexec_b64 s[2:3], vcc
	s_cbranch_execnz .LBB46_86
.LBB46_74:
	s_or_b64 exec, exec, s[2:3]
	s_and_saveexec_b64 s[2:3], vcc
	s_cbranch_execnz .LBB46_87
.LBB46_75:
	s_or_b64 exec, exec, s[2:3]
	s_and_saveexec_b64 s[2:3], vcc
	s_cbranch_execnz .LBB46_88
.LBB46_76:
	s_or_b64 exec, exec, s[2:3]
	s_and_saveexec_b64 s[2:3], vcc
	s_cbranch_execnz .LBB46_89
.LBB46_77:
	s_or_b64 exec, exec, s[2:3]
	s_and_saveexec_b64 s[2:3], vcc
	s_cbranch_execnz .LBB46_90
.LBB46_78:
	s_or_b64 exec, exec, s[2:3]
	s_and_saveexec_b64 s[2:3], vcc
	s_cbranch_execnz .LBB46_91
.LBB46_79:
	s_or_b64 exec, exec, s[2:3]
	s_and_saveexec_b64 s[2:3], vcc
	s_cbranch_execz .LBB46_81
.LBB46_80:
	v_mov_b32_e32 v11, 0x110
	v_lshl_add_u32 v10, v10, 2, v11
	ds_read_b32 v10, v10 offset:224
	s_waitcnt lgkmcnt(0)
	v_add_f32_e32 v5, v5, v10
.LBB46_81:
	s_or_b64 exec, exec, s[2:3]
.LBB46_82:
	s_or_b64 exec, exec, s[0:1]
	v_cmp_eq_u32_e32 vcc, 0, v1
	s_barrier
	s_and_saveexec_b64 s[0:1], vcc
	s_cbranch_execz .LBB46_84
; %bb.83:
	s_lshl_b32 s0, s6, 6
	s_ashr_i32 s1, s0, 31
	s_lshl_b64 s[0:1], s[0:1], 2
	s_add_u32 s2, s26, s0
	s_mul_i32 s0, s25, s24
	s_addc_u32 s3, s27, s1
	s_ashr_i32 s1, s0, 31
	s_lshl_b64 s[0:1], s[0:1], 2
	s_add_u32 s2, s2, s0
	s_addc_u32 s3, s3, s1
	s_lshl_b32 s0, s4, 6
	s_ashr_i32 s1, s0, 31
	s_lshl_b64 s[0:1], s[0:1], 2
	s_add_u32 s0, s2, s0
	s_addc_u32 s1, s3, s1
	v_lshrrev_b32_e32 v0, 1, v0
	global_store_dword v0, v8, s[0:1]
	global_store_dword v0, v9, s[0:1] offset:32
	global_store_dword v0, v6, s[0:1] offset:64
	;; [unrolled: 1-line block ×7, first 2 shown]
.LBB46_84:
	s_endpgm
.LBB46_85:
	v_mov_b32_e32 v11, 0x110
	v_lshl_add_u32 v11, v10, 2, v11
	ds_read_b32 v11, v11
	s_waitcnt lgkmcnt(0)
	v_add_f32_e32 v8, v8, v11
	s_or_b64 exec, exec, s[2:3]
	s_and_saveexec_b64 s[2:3], vcc
	s_cbranch_execz .LBB46_74
.LBB46_86:
	v_mov_b32_e32 v11, 0x110
	v_lshl_add_u32 v11, v10, 2, v11
	ds_read_b32 v11, v11 offset:32
	s_waitcnt lgkmcnt(0)
	v_add_f32_e32 v9, v9, v11
	s_or_b64 exec, exec, s[2:3]
	s_and_saveexec_b64 s[2:3], vcc
	s_cbranch_execz .LBB46_75
.LBB46_87:
	v_mov_b32_e32 v11, 0x110
	v_lshl_add_u32 v11, v10, 2, v11
	ds_read_b32 v11, v11 offset:64
	s_waitcnt lgkmcnt(0)
	v_add_f32_e32 v6, v6, v11
	s_or_b64 exec, exec, s[2:3]
	s_and_saveexec_b64 s[2:3], vcc
	s_cbranch_execz .LBB46_76
.LBB46_88:
	v_mov_b32_e32 v11, 0x110
	v_lshl_add_u32 v11, v10, 2, v11
	ds_read_b32 v11, v11 offset:96
	s_waitcnt lgkmcnt(0)
	v_add_f32_e32 v7, v7, v11
	s_or_b64 exec, exec, s[2:3]
	s_and_saveexec_b64 s[2:3], vcc
	s_cbranch_execz .LBB46_77
.LBB46_89:
	v_mov_b32_e32 v11, 0x110
	v_lshl_add_u32 v11, v10, 2, v11
	ds_read_b32 v11, v11 offset:128
	s_waitcnt lgkmcnt(0)
	v_add_f32_e32 v2, v2, v11
	s_or_b64 exec, exec, s[2:3]
	s_and_saveexec_b64 s[2:3], vcc
	s_cbranch_execz .LBB46_78
.LBB46_90:
	v_mov_b32_e32 v11, 0x110
	v_lshl_add_u32 v11, v10, 2, v11
	ds_read_b32 v11, v11 offset:160
	s_waitcnt lgkmcnt(0)
	v_add_f32_e32 v3, v3, v11
	s_or_b64 exec, exec, s[2:3]
	s_and_saveexec_b64 s[2:3], vcc
	s_cbranch_execz .LBB46_79
.LBB46_91:
	v_mov_b32_e32 v11, 0x110
	v_lshl_add_u32 v11, v10, 2, v11
	ds_read_b32 v11, v11 offset:192
	s_waitcnt lgkmcnt(0)
	v_add_f32_e32 v4, v4, v11
	s_or_b64 exec, exec, s[2:3]
	s_and_saveexec_b64 s[2:3], vcc
	s_cbranch_execnz .LBB46_80
	s_branch .LBB46_81
	.section	.rodata,"a",@progbits
	.p2align	6, 0x0
	.amdhsa_kernel _ZN4vllm25paged_attention_v2_kernelIffLi64ELi32ELi128ELNS_18Fp8KVCacheDataTypeE0ELb1ELi512EEEvPfS2_PT_PKS3_PKT0_S9_ifPKiSB_iPKfiiiSD_SD_iiiii
		.amdhsa_group_segment_fixed_size 272
		.amdhsa_private_segment_fixed_size 0
		.amdhsa_kernarg_size 400
		.amdhsa_user_sgpr_count 2
		.amdhsa_user_sgpr_dispatch_ptr 0
		.amdhsa_user_sgpr_queue_ptr 0
		.amdhsa_user_sgpr_kernarg_segment_ptr 1
		.amdhsa_user_sgpr_dispatch_id 0
		.amdhsa_user_sgpr_kernarg_preload_length 0
		.amdhsa_user_sgpr_kernarg_preload_offset 0
		.amdhsa_user_sgpr_private_segment_size 0
		.amdhsa_uses_dynamic_stack 0
		.amdhsa_enable_private_segment 0
		.amdhsa_system_sgpr_workgroup_id_x 1
		.amdhsa_system_sgpr_workgroup_id_y 1
		.amdhsa_system_sgpr_workgroup_id_z 1
		.amdhsa_system_sgpr_workgroup_info 0
		.amdhsa_system_vgpr_workitem_id 0
		.amdhsa_next_free_vgpr 89
		.amdhsa_next_free_sgpr 53
		.amdhsa_accum_offset 92
		.amdhsa_reserve_vcc 1
		.amdhsa_float_round_mode_32 0
		.amdhsa_float_round_mode_16_64 0
		.amdhsa_float_denorm_mode_32 3
		.amdhsa_float_denorm_mode_16_64 3
		.amdhsa_dx10_clamp 1
		.amdhsa_ieee_mode 1
		.amdhsa_fp16_overflow 0
		.amdhsa_tg_split 0
		.amdhsa_exception_fp_ieee_invalid_op 0
		.amdhsa_exception_fp_denorm_src 0
		.amdhsa_exception_fp_ieee_div_zero 0
		.amdhsa_exception_fp_ieee_overflow 0
		.amdhsa_exception_fp_ieee_underflow 0
		.amdhsa_exception_fp_ieee_inexact 0
		.amdhsa_exception_int_div_zero 0
	.end_amdhsa_kernel
	.section	.text._ZN4vllm25paged_attention_v2_kernelIffLi64ELi32ELi128ELNS_18Fp8KVCacheDataTypeE0ELb1ELi512EEEvPfS2_PT_PKS3_PKT0_S9_ifPKiSB_iPKfiiiSD_SD_iiiii,"axG",@progbits,_ZN4vllm25paged_attention_v2_kernelIffLi64ELi32ELi128ELNS_18Fp8KVCacheDataTypeE0ELb1ELi512EEEvPfS2_PT_PKS3_PKT0_S9_ifPKiSB_iPKfiiiSD_SD_iiiii,comdat
.Lfunc_end46:
	.size	_ZN4vllm25paged_attention_v2_kernelIffLi64ELi32ELi128ELNS_18Fp8KVCacheDataTypeE0ELb1ELi512EEEvPfS2_PT_PKS3_PKT0_S9_ifPKiSB_iPKfiiiSD_SD_iiiii, .Lfunc_end46-_ZN4vllm25paged_attention_v2_kernelIffLi64ELi32ELi128ELNS_18Fp8KVCacheDataTypeE0ELb1ELi512EEEvPfS2_PT_PKS3_PKT0_S9_ifPKiSB_iPKfiiiSD_SD_iiiii
                                        ; -- End function
	.section	.AMDGPU.csdata,"",@progbits
; Kernel info:
; codeLenInByte = 6132
; NumSgprs: 59
; NumVgprs: 89
; NumAgprs: 0
; TotalNumVgprs: 89
; ScratchSize: 0
; MemoryBound: 0
; FloatMode: 240
; IeeeMode: 1
; LDSByteSize: 272 bytes/workgroup (compile time only)
; SGPRBlocks: 7
; VGPRBlocks: 11
; NumSGPRsForWavesPerEU: 59
; NumVGPRsForWavesPerEU: 89
; AccumOffset: 92
; Occupancy: 5
; WaveLimiterHint : 1
; COMPUTE_PGM_RSRC2:SCRATCH_EN: 0
; COMPUTE_PGM_RSRC2:USER_SGPR: 2
; COMPUTE_PGM_RSRC2:TRAP_HANDLER: 0
; COMPUTE_PGM_RSRC2:TGID_X_EN: 1
; COMPUTE_PGM_RSRC2:TGID_Y_EN: 1
; COMPUTE_PGM_RSRC2:TGID_Z_EN: 1
; COMPUTE_PGM_RSRC2:TIDIG_COMP_CNT: 0
; COMPUTE_PGM_RSRC3_GFX90A:ACCUM_OFFSET: 22
; COMPUTE_PGM_RSRC3_GFX90A:TG_SPLIT: 0
	.section	.text._ZN4vllm25paged_attention_v2_kernelIffLi80ELi32ELi128ELNS_18Fp8KVCacheDataTypeE0ELb1ELi512EEEvPfS2_PT_PKS3_PKT0_S9_ifPKiSB_iPKfiiiSD_SD_iiiii,"axG",@progbits,_ZN4vllm25paged_attention_v2_kernelIffLi80ELi32ELi128ELNS_18Fp8KVCacheDataTypeE0ELb1ELi512EEEvPfS2_PT_PKS3_PKT0_S9_ifPKiSB_iPKfiiiSD_SD_iiiii,comdat
	.protected	_ZN4vllm25paged_attention_v2_kernelIffLi80ELi32ELi128ELNS_18Fp8KVCacheDataTypeE0ELb1ELi512EEEvPfS2_PT_PKS3_PKT0_S9_ifPKiSB_iPKfiiiSD_SD_iiiii ; -- Begin function _ZN4vllm25paged_attention_v2_kernelIffLi80ELi32ELi128ELNS_18Fp8KVCacheDataTypeE0ELb1ELi512EEEvPfS2_PT_PKS3_PKT0_S9_ifPKiSB_iPKfiiiSD_SD_iiiii
	.globl	_ZN4vllm25paged_attention_v2_kernelIffLi80ELi32ELi128ELNS_18Fp8KVCacheDataTypeE0ELb1ELi512EEEvPfS2_PT_PKS3_PKT0_S9_ifPKiSB_iPKfiiiSD_SD_iiiii
	.p2align	8
	.type	_ZN4vllm25paged_attention_v2_kernelIffLi80ELi32ELi128ELNS_18Fp8KVCacheDataTypeE0ELb1ELi512EEEvPfS2_PT_PKS3_PKT0_S9_ifPKiSB_iPKfiiiSD_SD_iiiii,@function
_ZN4vllm25paged_attention_v2_kernelIffLi80ELi32ELi128ELNS_18Fp8KVCacheDataTypeE0ELb1ELi512EEEvPfS2_PT_PKS3_PKT0_S9_ifPKiSB_iPKfiiiSD_SD_iiiii: ; @_ZN4vllm25paged_attention_v2_kernelIffLi80ELi32ELi128ELNS_18Fp8KVCacheDataTypeE0ELb1ELi512EEEvPfS2_PT_PKS3_PKT0_S9_ifPKiSB_iPKfiiiSD_SD_iiiii
; %bb.0:
	s_load_dwordx2 s[6:7], s[0:1], 0x40
	s_mov_b32 s28, s3
	s_ashr_i32 s29, s3, 31
	s_lshl_b64 s[8:9], s[28:29], 2
	s_waitcnt lgkmcnt(0)
	s_add_u32 s6, s6, s8
	s_addc_u32 s7, s7, s9
	s_load_dword s29, s[6:7], 0x0
	s_lshl_b32 s49, s4, 9
	s_waitcnt lgkmcnt(0)
	s_cmp_ge_i32 s49, s29
	s_cbranch_scc1 .LBB47_92
; %bb.1:
	s_load_dword s5, s[0:1], 0x90
	s_load_dwordx2 s[38:39], s[0:1], 0x30
	s_waitcnt lgkmcnt(0)
	s_abs_i32 s7, s5
	s_abs_i32 s3, s38
	v_cvt_f32_u32_e32 v1, s3
	s_sub_i32 s8, 0, s3
	s_xor_b32 s6, s5, s38
	s_ashr_i32 s6, s6, 31
	v_rcp_iflag_f32_e32 v1, v1
	s_nop 0
	v_mul_f32_e32 v1, 0x4f7ffffe, v1
	v_cvt_u32_f32_e32 v1, v1
	s_nop 0
	v_readfirstlane_b32 s9, v1
	s_mul_i32 s8, s8, s9
	s_mul_hi_u32 s8, s9, s8
	s_add_i32 s9, s9, s8
	s_mul_hi_u32 s8, s7, s9
	s_mul_i32 s9, s8, s3
	s_sub_i32 s7, s7, s9
	s_add_i32 s10, s8, 1
	s_sub_i32 s9, s7, s3
	s_cmp_ge_u32 s7, s3
	s_cselect_b32 s8, s10, s8
	s_cselect_b32 s7, s9, s7
	s_add_i32 s9, s8, 1
	s_cmp_ge_u32 s7, s3
	s_cselect_b32 s3, s9, s8
	s_xor_b32 s3, s3, s6
	s_sub_i32 s12, s3, s6
	s_abs_i32 s8, s12
	v_cvt_f32_u32_e32 v1, s8
	s_load_dwordx2 s[6:7], s[0:1], 0x50
	s_sub_i32 s10, 0, s8
	s_abs_i32 s9, s2
	v_rcp_iflag_f32_e32 v1, v1
	s_mov_b32 s3, 0
	v_mul_f32_e32 v1, 0x4f7ffffe, v1
	v_cvt_u32_f32_e32 v1, v1
	s_nop 0
	v_readfirstlane_b32 s11, v1
	s_mul_i32 s10, s10, s11
	s_mul_hi_u32 s10, s11, s10
	s_add_i32 s11, s11, s10
	s_waitcnt lgkmcnt(0)
	s_cmp_eq_u64 s[6:7], 0
	s_mul_hi_u32 s10, s9, s11
	s_cbranch_scc1 .LBB47_3
; %bb.2:
	s_ashr_i32 s3, s2, 31
	s_lshl_b64 s[14:15], s[2:3], 2
	s_add_u32 s6, s6, s14
	s_addc_u32 s7, s7, s15
	s_load_dword s3, s[6:7], 0x0
.LBB47_3:
	s_ashr_i32 s16, s12, 31
	s_load_dwordx4 s[12:15], s[0:1], 0x58
	s_ashr_i32 s11, s2, 31
	v_and_b32_e32 v4, 1, v0
	s_mul_i32 s24, s2, 0x50
	v_cmp_gt_u32_e32 vcc, 40, v0
	v_lshlrev_b32_e32 v2, 3, v0
	v_lshlrev_b32_e32 v6, 2, v0
	s_and_saveexec_b64 s[6:7], vcc
	s_cbranch_execz .LBB47_5
; %bb.4:
	s_load_dwordx2 s[18:19], s[0:1], 0x18
	s_waitcnt lgkmcnt(0)
	s_mul_i32 s20, s28, s12
	s_ashr_i32 s21, s20, 31
	s_lshl_b64 s[20:21], s[20:21], 2
	v_and_b32_e32 v1, 0xff8, v6
	s_add_u32 s12, s18, s20
	s_addc_u32 s15, s19, s21
	s_ashr_i32 s25, s24, 31
	s_lshl_b64 s[18:19], s[24:25], 2
	s_add_u32 s18, s12, s18
	s_addc_u32 s19, s15, s19
	global_load_dwordx2 v[8:9], v2, s[18:19]
	s_movk_i32 s12, 0xa0
	v_mad_u32_u24 v1, v4, s12, v1
	s_waitcnt vmcnt(0)
	ds_write_b64 v1, v[8:9]
.LBB47_5:
	s_or_b64 exec, exec, s[6:7]
	s_mul_i32 s7, s10, s8
	s_sub_i32 s7, s9, s7
	s_xor_b32 s6, s11, s16
	s_add_i32 s9, s10, 1
	s_sub_i32 s11, s7, s8
	s_load_dwordx4 s[16:19], s[0:1], 0x78
	s_cmp_ge_u32 s7, s8
	s_cselect_b32 s9, s9, s10
	s_cselect_b32 s7, s11, s7
	s_load_dword s11, s[0:1], 0x88
	s_add_i32 s10, s9, 1
	s_cmp_ge_u32 s7, s8
	s_cselect_b32 s7, s10, s9
	s_waitcnt lgkmcnt(0)
	s_abs_i32 s25, s19
	v_cvt_f32_u32_e32 v1, s25
	s_xor_b32 s7, s7, s6
	s_sub_i32 s10, s7, s6
	s_sub_i32 s6, 0, s25
	v_rcp_iflag_f32_e32 v1, v1
	s_add_i32 s12, s29, -1
	s_abs_i32 s8, s12
	v_mul_f32_e32 v1, 0x4f7ffffe, v1
	v_cvt_u32_f32_e32 v1, v1
	s_barrier
	v_readfirstlane_b32 s33, v1
	s_mul_i32 s6, s6, s33
	s_mul_hi_u32 s6, s33, s6
	s_add_i32 s33, s33, s6
	s_cmp_lt_i32 s11, 0
	s_mul_hi_u32 s9, s8, s33
	s_cbranch_scc0 .LBB47_7
; %bb.6:
	s_mul_i32 s6, s16, s38
	s_add_i32 s6, s10, s6
	s_mul_i32 s6, s6, s11
	s_sub_i32 s46, 1, s6
	s_mov_b64 s[6:7], 0
	s_branch .LBB47_8
.LBB47_7:
	s_mov_b64 s[6:7], -1
                                        ; implicit-def: $sgpr46
.LBB47_8:
	s_load_dwordx2 s[30:31], s[0:1], 0x38
	s_ashr_i32 s12, s12, 31
	s_andn2_b64 vcc, exec, s[6:7]
	s_ashr_i32 s19, s19, 31
	s_cbranch_vccnz .LBB47_10
; %bb.9:
	s_mul_i32 s6, s5, s16
	s_add_i32 s6, s6, s2
	s_mul_i32 s6, s6, s11
	s_add_i32 s46, s6, 1
.LBB47_10:
	s_load_dword s6, s[0:1], 0x48
	s_load_dwordx2 s[36:37], s[0:1], 0x28
	s_load_dword s16, s[0:1], 0x98
	s_load_dwordx4 s[20:23], s[0:1], 0x0
	s_load_dwordx2 s[26:27], s[0:1], 0x10
	s_mul_i32 s7, s9, s25
	s_waitcnt lgkmcnt(0)
	s_mul_i32 s34, s28, s6
	s_sub_i32 s7, s8, s7
	s_ashr_i32 s35, s34, 31
	s_xor_b32 s6, s12, s19
	s_add_i32 s8, s9, 1
	s_sub_i32 s11, s7, s25
	s_cmp_ge_u32 s7, s25
	s_cselect_b32 s8, s8, s9
	s_cselect_b32 s7, s11, s7
	s_add_i32 s9, s8, 1
	s_cmp_ge_u32 s7, s25
	s_cselect_b32 s7, s9, s8
	s_xor_b32 s7, s7, s6
	s_sub_i32 s48, s7, s6
	s_add_i32 s6, s29, 31
	s_ashr_i32 s7, s6, 31
	s_lshr_b32 s7, s7, 27
	s_add_i32 s6, s6, s7
	s_lshl_b32 s38, s4, 4
	s_ashr_i32 s12, s6, 5
	s_add_i32 s6, s38, 16
	v_lshrrev_b32_e32 v7, 6, v0
	s_min_i32 s47, s6, s12
	v_or_b32_e32 v46, s38, v7
	v_cmp_gt_i32_e64 s[8:9], s47, v46
	v_mov_b32_e32 v11, 0xff7fffff
	s_mul_i32 s14, s10, s14
	v_ashrrev_i32_e32 v47, 31, v46
	v_lshl_add_u32 v1, v7, 5, s49
	v_mbcnt_lo_u32_b32 v8, -1, 0
	s_and_saveexec_b64 s[40:41], s[8:9]
	s_cbranch_execz .LBB47_20
; %bb.11:
	s_load_dwordx2 s[0:1], s[0:1], 0x20
	s_ashr_i32 s15, s14, 31
	s_sub_i32 s50, s48, s17
	s_lshl_b64 s[6:7], s[14:15], 2
	v_bfe_u32 v9, v0, 1, 5
	s_waitcnt lgkmcnt(0)
	s_add_u32 s0, s0, s6
	s_addc_u32 s1, s1, s7
	s_abs_i32 s15, s18
	v_cvt_f32_u32_e32 v3, s15
	v_lshlrev_b32_e32 v10, 4, v9
	v_mov_b32_e32 v11, 0
	v_lshlrev_b32_e32 v14, 2, v9
	v_rcp_iflag_f32_e32 v5, v3
	v_lshl_add_u64 v[12:13], s[0:1], 0, v[10:11]
	v_and_b32_e32 v10, 8, v2
	s_sub_i32 s0, 0, s15
	v_mul_f32_e32 v5, 0x4f7ffffe, v5
	v_cvt_u32_f32_e32 v5, v5
	v_cmp_eq_u32_e32 vcc, 0, v4
	v_lshl_add_u64 v[2:3], v[12:13], 0, v[10:11]
	v_mul_u32_u24_e32 v10, 0xa0, v4
	v_mul_lo_u32 v4, s0, v5
	s_lshl_b64 s[0:1], s[34:35], 2
	v_lshl_or_b32 v11, v7, 7, v14
	s_add_u32 s0, s30, s0
	v_add_u32_e32 v14, 0x150, v11
	v_subrev_u32_e32 v11, s29, v9
	v_mbcnt_hi_u32_b32 v17, -1, v8
	v_mul_hi_u32 v4, v5, v4
	s_addc_u32 s1, s31, s1
	v_add_u32_e32 v15, 1, v11
	v_and_b32_e32 v11, 64, v17
	s_mov_b32 s51, s13
	v_cmp_neq_f32_e64 s[6:7], s3, 0
	v_add_u32_e32 v12, v5, v4
	v_lshl_add_u64 v[4:5], v[46:47], 2, s[0:1]
	v_lshl_add_u32 v13, v7, 5, s49
	s_mov_b64 s[42:43], 0
	v_mov_b32_e32 v16, 0xff7fffff
	s_movk_i32 s52, 0x1000
	s_movk_i32 s53, 0x2000
	v_xor_b32_e32 v18, 1, v17
	v_add_u32_e32 v19, 64, v11
	v_mov_b32_e32 v11, 0xff7fffff
	v_mov_b32_e32 v20, v46
	s_branch .LBB47_14
.LBB47_12:                              ;   in Loop: Header=BB47_14 Depth=1
	s_or_b64 exec, exec, s[44:45]
.LBB47_13:                              ;   in Loop: Header=BB47_14 Depth=1
	s_or_b64 exec, exec, s[10:11]
	v_add_u32_e32 v20, 2, v20
	v_cmp_le_i32_e64 s[0:1], s47, v20
	v_lshl_add_u64 v[4:5], v[4:5], 0, 8
	v_add_u32_e32 v13, 64, v13
	s_or_b64 s[42:43], s[0:1], s[42:43]
	v_add_u32_e32 v14, 0x100, v14
	s_andn2_b64 exec, exec, s[42:43]
	s_cbranch_execz .LBB47_19
.LBB47_14:                              ; =>This Inner Loop Header: Depth=1
	s_waitcnt lgkmcnt(0)
	v_sub_u32_e32 v22, 0, v13
	v_max_i32_e32 v22, v13, v22
	v_mul_hi_u32 v23, v22, s33
	v_mul_lo_u32 v24, v23, s25
	v_sub_u32_e32 v22, v22, v24
	v_add_u32_e32 v24, 1, v23
	v_cmp_le_u32_e64 s[0:1], s25, v22
	v_ashrrev_i32_e32 v21, 31, v13
	v_xor_b32_e32 v21, s19, v21
	v_cndmask_b32_e64 v23, v23, v24, s[0:1]
	v_subrev_u32_e32 v24, s25, v22
	v_cndmask_b32_e64 v22, v22, v24, s[0:1]
	v_add_u32_e32 v24, 1, v23
	v_cmp_le_u32_e64 s[0:1], s25, v22
	s_nop 1
	v_cndmask_b32_e64 v22, v23, v24, s[0:1]
	v_xor_b32_e32 v22, v22, v21
	v_sub_u32_e32 v21, v22, v21
	v_add_u32_e32 v22, s46, v21
	v_sub_u32_e32 v24, 0, v22
	v_ashrrev_i32_e32 v23, 31, v22
	v_max_i32_e32 v22, v22, v24
	v_mul_hi_u32 v24, v22, v12
	v_mul_lo_u32 v24, v24, s15
	v_sub_u32_e32 v22, v22, v24
	v_subrev_u32_e32 v24, s15, v22
	v_cmp_le_u32_e64 s[0:1], s15, v22
	v_cmp_ge_i32_e64 s[10:11], s50, v21
	s_nop 0
	v_cndmask_b32_e64 v22, v22, v24, s[0:1]
	v_subrev_u32_e32 v24, s15, v22
	v_cmp_le_u32_e64 s[0:1], s15, v22
	s_nop 1
	v_cndmask_b32_e64 v22, v22, v24, s[0:1]
	v_xor_b32_e32 v22, v22, v23
	v_sub_u32_e32 v22, v22, v23
	v_cmp_ne_u32_e64 s[0:1], 0, v22
	s_and_b64 s[0:1], s[0:1], s[10:11]
	s_and_b64 s[44:45], vcc, s[0:1]
	s_and_saveexec_b64 s[10:11], s[44:45]
	s_cbranch_execz .LBB47_16
; %bb.15:                               ;   in Loop: Header=BB47_14 Depth=1
	ds_write_b32 v14, v16
.LBB47_16:                              ;   in Loop: Header=BB47_14 Depth=1
	s_or_b64 exec, exec, s[10:11]
	s_xor_b64 s[0:1], s[0:1], -1
	s_and_saveexec_b64 s[10:11], s[0:1]
	s_cbranch_execz .LBB47_13
; %bb.17:                               ;   in Loop: Header=BB47_14 Depth=1
	global_load_dword v21, v[4:5], off
	s_waitcnt vmcnt(0)
	v_mad_i64_i32 v[22:23], s[0:1], v21, s51, 0
	v_lshl_add_u64 v[22:23], v[22:23], 2, v[2:3]
	global_load_dwordx2 v[64:65], v[22:23], off offset:512
	global_load_dwordx2 v[66:67], v[22:23], off offset:1024
	;; [unrolled: 1-line block ×3, first 2 shown]
	global_load_dwordx2 v[70:71], v[22:23], off
	global_load_dwordx2 v[72:73], v[22:23], off offset:2048
	global_load_dwordx2 v[74:75], v[22:23], off offset:2560
	;; [unrolled: 1-line block ×4, first 2 shown]
	v_add_co_u32_e64 v24, s[0:1], s53, v22
	s_nop 1
	v_addc_co_u32_e64 v25, s[0:1], 0, v23, s[0:1]
	global_load_dwordx2 v[80:81], v[24:25], off offset:-4096
	v_add_co_u32_e64 v22, s[0:1], s52, v22
	s_nop 1
	v_addc_co_u32_e64 v23, s[0:1], 0, v23, s[0:1]
	global_load_dwordx2 v[82:83], v[22:23], off offset:512
	global_load_dwordx2 v[84:85], v[22:23], off offset:1024
	;; [unrolled: 1-line block ×7, first 2 shown]
	global_load_dwordx2 v[96:97], v[24:25], off
	global_load_dwordx2 v[98:99], v[24:25], off offset:512
	global_load_dwordx2 v[100:101], v[24:25], off offset:1024
	;; [unrolled: 1-line block ×3, first 2 shown]
	v_cmp_lt_i32_e64 s[0:1], v18, v19
	ds_read_b128 v[22:25], v10
	ds_read_b128 v[26:29], v10 offset:16
	ds_read_b128 v[30:33], v10 offset:32
	;; [unrolled: 1-line block ×9, first 2 shown]
	v_cndmask_b32_e64 v21, v17, v18, s[0:1]
	v_lshlrev_b32_e32 v104, 2, v21
	s_waitcnt vmcnt(19) lgkmcnt(9)
	v_mul_f32_e32 v21, v24, v64
	v_mul_f32_e32 v24, v25, v65
	s_waitcnt vmcnt(16)
	v_fmac_f32_e32 v21, v22, v70
	v_fmac_f32_e32 v24, v23, v71
	s_waitcnt lgkmcnt(8)
	v_fmac_f32_e32 v21, v26, v66
	v_fmac_f32_e32 v24, v27, v67
	;; [unrolled: 1-line block ×4, first 2 shown]
	s_waitcnt vmcnt(15) lgkmcnt(7)
	v_fmac_f32_e32 v21, v30, v72
	v_fmac_f32_e32 v24, v31, v73
	s_waitcnt vmcnt(14)
	v_fmac_f32_e32 v21, v32, v74
	v_fmac_f32_e32 v24, v33, v75
	s_waitcnt vmcnt(13) lgkmcnt(6)
	v_fmac_f32_e32 v21, v34, v76
	v_fmac_f32_e32 v24, v35, v77
	s_waitcnt vmcnt(12)
	v_fmac_f32_e32 v21, v36, v78
	v_fmac_f32_e32 v24, v37, v79
	;; [unrolled: 6-line block ×8, first 2 shown]
	v_add_f32_e32 v21, v21, v24
	ds_bpermute_b32 v22, v104, v21
	s_and_saveexec_b64 s[44:45], vcc
	s_cbranch_execz .LBB47_12
; %bb.18:                               ;   in Loop: Header=BB47_14 Depth=1
	v_add_u32_e32 v23, v15, v13
	v_cvt_f32_i32_e32 v23, v23
	s_waitcnt lgkmcnt(0)
	v_add_f32_e32 v21, v21, v22
	v_add_u32_e32 v24, v9, v13
	v_cmp_gt_i32_e64 s[0:1], s29, v24
	v_mul_f32_e32 v22, s3, v23
	v_cndmask_b32_e64 v22, 0, v22, s[6:7]
	v_fmac_f32_e32 v22, s39, v21
	v_cndmask_b32_e64 v21, 0, v22, s[0:1]
	ds_write_b32 v14, v21
	v_max_f32_e32 v21, v11, v11
	v_max_f32_e32 v21, v21, v22
	v_cndmask_b32_e64 v11, v11, v21, s[0:1]
	s_branch .LBB47_12
.LBB47_19:
	s_or_b64 exec, exec, s[42:43]
.LBB47_20:
	s_or_b64 exec, exec, s[40:41]
	v_mbcnt_hi_u32_b32 v4, -1, v8
	v_and_b32_e32 v2, 64, v4
	v_add_u32_e32 v10, 64, v2
	v_xor_b32_e32 v2, 32, v4
	v_cmp_lt_i32_e32 vcc, v2, v10
	v_xor_b32_e32 v8, 16, v4
	v_max_f32_e32 v5, v11, v11
	v_cndmask_b32_e32 v2, v4, v2, vcc
	v_lshlrev_b32_e32 v2, 2, v2
	ds_bpermute_b32 v3, v2, v11
	v_cmp_lt_i32_e32 vcc, v8, v10
	v_xor_b32_e32 v9, 8, v4
	v_xor_b32_e32 v11, 4, v4
	v_and_b32_e32 v74, 63, v0
	s_waitcnt lgkmcnt(0)
	v_max_f32_e32 v3, v3, v3
	v_max_f32_e32 v5, v5, v3
	v_cndmask_b32_e32 v3, v4, v8, vcc
	v_lshlrev_b32_e32 v3, 2, v3
	ds_bpermute_b32 v8, v3, v5
	v_cmp_lt_i32_e32 vcc, v9, v10
	s_waitcnt lgkmcnt(0)
	v_max_f32_e32 v8, v8, v8
	v_max_f32_e32 v8, v5, v8
	v_cndmask_b32_e32 v5, v4, v9, vcc
	v_lshlrev_b32_e32 v5, 2, v5
	ds_bpermute_b32 v9, v5, v8
	v_cmp_lt_i32_e32 vcc, v11, v10
	s_waitcnt lgkmcnt(0)
	v_max_f32_e32 v9, v9, v9
	v_max_f32_e32 v8, v8, v9
	v_cndmask_b32_e32 v9, v4, v11, vcc
	v_lshlrev_b32_e32 v75, 2, v9
	ds_bpermute_b32 v9, v75, v8
	v_xor_b32_e32 v11, 2, v4
	v_cmp_lt_i32_e32 vcc, v11, v10
	s_waitcnt lgkmcnt(0)
	v_max_f32_e32 v9, v9, v9
	v_max_f32_e32 v9, v8, v9
	v_cndmask_b32_e32 v8, v4, v11, vcc
	v_lshlrev_b32_e32 v76, 2, v8
	ds_bpermute_b32 v11, v76, v9
	v_cmp_eq_u32_e32 vcc, 0, v74
	v_lshlrev_b32_e32 v8, 2, v7
	s_and_saveexec_b64 s[0:1], vcc
	s_cbranch_execz .LBB47_22
; %bb.21:
	s_waitcnt lgkmcnt(0)
	v_max_f32_e32 v11, v11, v11
	v_max_f32_e32 v9, v9, v9
	;; [unrolled: 1-line block ×3, first 2 shown]
	ds_write_b32 v8, v9 offset:320
.LBB47_22:
	s_or_b64 exec, exec, s[0:1]
	v_cmp_gt_u32_e64 s[0:1], 2, v74
	s_waitcnt lgkmcnt(0)
	v_mov_b32_e32 v11, 0xff7fffff
	v_lshlrev_b32_e32 v9, 2, v74
	s_barrier
	s_and_saveexec_b64 s[6:7], s[0:1]
	s_cbranch_execz .LBB47_24
; %bb.23:
	ds_read_b32 v11, v9 offset:320
.LBB47_24:
	s_or_b64 exec, exec, s[6:7]
	v_xor_b32_e32 v12, 1, v4
	v_cmp_lt_i32_e64 s[6:7], v12, v10
	s_sub_i32 s3, s47, s38
	s_lshl_b32 s3, s3, 5
	v_cndmask_b32_e64 v10, v4, v12, s[6:7]
	v_lshlrev_b32_e32 v77, 2, v10
	s_waitcnt lgkmcnt(0)
	ds_bpermute_b32 v10, v77, v11
	v_max_f32_e32 v11, v11, v11
	v_lshlrev_b32_e32 v4, 2, v4
	s_add_i32 s3, s3, s49
	s_min_i32 s15, s3, s29
	s_waitcnt lgkmcnt(0)
	v_max_f32_e32 v10, v10, v10
	v_max_f32_e32 v11, v11, v10
	v_and_b32_e32 v10, 0x100, v4
	ds_bpermute_b32 v4, v10, v11
	s_sub_i32 s3, s15, s49
	v_cmp_gt_i32_e64 s[6:7], s3, v0
	v_mov_b32_e32 v11, 0
	s_and_saveexec_b64 s[38:39], s[6:7]
	s_cbranch_execz .LBB47_28
; %bb.25:
	v_mov_b32_e32 v11, 0x150
	v_lshl_add_u32 v12, v0, 2, v11
	s_mov_b64 s[40:41], 0
	v_mov_b32_e32 v11, 0
	v_mov_b32_e32 v13, v0
.LBB47_26:                              ; =>This Inner Loop Header: Depth=1
	ds_read_b32 v14, v12
	v_add_u32_e32 v13, 0x80, v13
	v_cmp_le_i32_e64 s[10:11], s3, v13
	s_or_b64 s[40:41], s[10:11], s[40:41]
	s_waitcnt lgkmcnt(0)
	v_sub_f32_e32 v14, v14, v4
	v_mul_f32_e32 v14, 0x3fb8aa3b, v14
	v_exp_f32_e32 v14, v14
	ds_write_b32 v12, v14
	v_add_f32_e32 v11, v11, v14
	v_add_u32_e32 v12, 0x200, v12
	s_andn2_b64 exec, exec, s[40:41]
	s_cbranch_execnz .LBB47_26
; %bb.27:
	s_or_b64 exec, exec, s[40:41]
.LBB47_28:
	s_or_b64 exec, exec, s[38:39]
	ds_bpermute_b32 v2, v2, v11
	s_waitcnt lgkmcnt(0)
	v_add_f32_e32 v2, v11, v2
	ds_bpermute_b32 v3, v3, v2
	s_waitcnt lgkmcnt(0)
	v_add_f32_e32 v2, v2, v3
	;; [unrolled: 3-line block ×6, first 2 shown]
	s_and_saveexec_b64 s[10:11], vcc
	s_cbranch_execz .LBB47_30
; %bb.29:
	ds_write_b32 v8, v2 offset:328
.LBB47_30:
	s_or_b64 exec, exec, s[10:11]
	s_waitcnt lgkmcnt(0)
	s_barrier
	s_and_saveexec_b64 s[10:11], s[0:1]
	s_cbranch_execz .LBB47_32
; %bb.31:
	ds_read_b32 v2, v9 offset:328
.LBB47_32:
	s_or_b64 exec, exec, s[10:11]
	s_waitcnt lgkmcnt(0)
	ds_bpermute_b32 v3, v77, v2
	s_waitcnt lgkmcnt(0)
	v_add_f32_e32 v2, v2, v3
	ds_bpermute_b32 v5, v10, v2
	s_and_saveexec_b64 s[0:1], s[6:7]
	s_cbranch_execz .LBB47_45
; %bb.33:
	s_waitcnt lgkmcnt(0)
	v_add_f32_e32 v2, 0x358637bd, v5
	v_div_scale_f32 v3, s[6:7], v2, v2, 1.0
	v_rcp_f32_e32 v8, v3
	v_div_scale_f32 v9, vcc, 1.0, v2, 1.0
	s_movk_i32 s6, 0x7f
	v_fma_f32 v10, -v3, v8, 1.0
	v_fmac_f32_e32 v8, v10, v8
	v_mul_f32_e32 v10, v9, v8
	v_fma_f32 v11, -v3, v10, v9
	v_fmac_f32_e32 v10, v11, v8
	v_fma_f32 v3, -v3, v10, v9
	v_div_fmas_f32 v3, v3, v8, v10
	v_div_fixup_f32 v2, v3, v2, 1.0
	v_xad_u32 v3, v0, -1, s15
	v_subrev_u32_e32 v8, s49, v3
	v_cmp_lt_u32_e32 vcc, s6, v8
	s_mov_b64 s[10:11], -1
	v_mov_b32_e32 v3, v0
	s_and_saveexec_b64 s[6:7], vcc
	s_cbranch_execz .LBB47_42
; %bb.34:
	v_lshrrev_b32_e32 v8, 7, v8
	v_add_u32_e32 v10, -1, v8
	v_lshrrev_b32_e32 v9, 1, v10
	v_mov_b32_e32 v3, v2
	v_add_u32_e32 v9, 1, v9
	v_cmp_lt_u32_e32 vcc, 13, v10
	v_mov_b32_e32 v12, 0
	s_and_saveexec_b64 s[10:11], vcc
	s_cbranch_execz .LBB47_38
; %bb.35:
	v_mov_b32_e32 v11, 0x150
	v_and_b32_e32 v10, -8, v9
	v_lshl_add_u32 v11, v0, 2, v11
	s_mov_b32 s15, 0
	s_mov_b64 s[38:39], 0
.LBB47_36:                              ; =>This Inner Loop Header: Depth=1
	ds_read2st64_b32 v[12:13], v11 offset1:2
	ds_read2st64_b32 v[14:15], v11 offset0:4 offset1:6
	ds_read2st64_b32 v[16:17], v11 offset0:8 offset1:10
	;; [unrolled: 1-line block ×3, first 2 shown]
	v_add_u32_e32 v10, -8, v10
	s_waitcnt lgkmcnt(3)
	v_pk_mul_f32 v[12:13], v[2:3], v[12:13]
	s_waitcnt lgkmcnt(2)
	v_pk_mul_f32 v[14:15], v[2:3], v[14:15]
	ds_write2st64_b32 v11, v12, v13 offset1:2
	ds_write2st64_b32 v11, v14, v15 offset0:4 offset1:6
	ds_read2st64_b32 v[14:15], v11 offset0:16 offset1:18
	s_waitcnt lgkmcnt(4)
	v_pk_mul_f32 v[12:13], v[2:3], v[16:17]
	ds_write2st64_b32 v11, v12, v13 offset0:8 offset1:10
	s_waitcnt lgkmcnt(4)
	v_pk_mul_f32 v[12:13], v[2:3], v[18:19]
	ds_write2st64_b32 v11, v12, v13 offset0:12 offset1:14
	ds_read2st64_b32 v[12:13], v11 offset0:20 offset1:22
	s_waitcnt lgkmcnt(3)
	v_pk_mul_f32 v[14:15], v[2:3], v[14:15]
	ds_read2st64_b32 v[16:17], v11 offset0:24 offset1:26
	ds_write2st64_b32 v11, v14, v15 offset0:16 offset1:18
	ds_read2st64_b32 v[14:15], v11 offset0:28 offset1:30
	s_waitcnt lgkmcnt(3)
	v_pk_mul_f32 v[12:13], v[2:3], v[12:13]
	ds_write2st64_b32 v11, v12, v13 offset0:20 offset1:22
	s_waitcnt lgkmcnt(3)
	v_pk_mul_f32 v[12:13], v[2:3], v[16:17]
	ds_write2st64_b32 v11, v12, v13 offset0:24 offset1:26
	s_waitcnt lgkmcnt(2)
	v_pk_mul_f32 v[12:13], v[2:3], v[14:15]
	s_add_i32 s15, s15, 16
	v_cmp_eq_u32_e32 vcc, 0, v10
	ds_write2st64_b32 v11, v12, v13 offset0:28 offset1:30
	v_add_u32_e32 v11, 0x2000, v11
	s_or_b64 s[38:39], vcc, s[38:39]
	v_mov_b32_e32 v12, s15
	s_andn2_b64 exec, exec, s[38:39]
	s_cbranch_execnz .LBB47_36
; %bb.37:
	s_or_b64 exec, exec, s[38:39]
.LBB47_38:
	s_or_b64 exec, exec, s[10:11]
	v_and_b32_e32 v9, 7, v9
	v_cmp_ne_u32_e32 vcc, 0, v9
	s_and_saveexec_b64 s[10:11], vcc
	s_cbranch_execz .LBB47_41
; %bb.39:
	v_lshlrev_b32_e32 v10, 9, v12
	s_movk_i32 s15, 0x150
	v_add3_u32 v10, v10, v6, s15
	s_mov_b64 s[38:39], 0
.LBB47_40:                              ; =>This Inner Loop Header: Depth=1
	ds_read2st64_b32 v[12:13], v10 offset1:2
	v_add_u32_e32 v9, -1, v9
	v_cmp_eq_u32_e32 vcc, 0, v9
	s_or_b64 s[38:39], vcc, s[38:39]
	s_waitcnt lgkmcnt(0)
	v_pk_mul_f32 v[12:13], v[2:3], v[12:13]
	ds_write2st64_b32 v10, v12, v13 offset1:2
	v_add_u32_e32 v10, 0x400, v10
	s_andn2_b64 exec, exec, s[38:39]
	s_cbranch_execnz .LBB47_40
.LBB47_41:
	s_or_b64 exec, exec, s[10:11]
	v_add_u32_e32 v8, 1, v8
	v_and_b32_e32 v9, 0x3fffffe, v8
	v_cmp_ne_u32_e32 vcc, v8, v9
	v_lshl_add_u32 v3, v9, 7, v0
	s_orn2_b64 s[10:11], vcc, exec
.LBB47_42:
	s_or_b64 exec, exec, s[6:7]
	s_and_b64 exec, exec, s[10:11]
	s_cbranch_execz .LBB47_45
; %bb.43:
	v_mov_b32_e32 v8, 0x150
	v_lshl_add_u32 v8, v3, 2, v8
	s_mov_b64 s[6:7], 0
.LBB47_44:                              ; =>This Inner Loop Header: Depth=1
	ds_read_b32 v9, v8
	v_add_u32_e32 v3, 0x80, v3
	v_cmp_le_i32_e32 vcc, s3, v3
	s_or_b64 s[6:7], vcc, s[6:7]
	s_waitcnt lgkmcnt(0)
	v_mul_f32_e32 v9, v2, v9
	ds_write_b32 v8, v9
	v_add_u32_e32 v8, 0x200, v8
	s_andn2_b64 exec, exec, s[6:7]
	s_cbranch_execnz .LBB47_44
.LBB47_45:
	s_or_b64 exec, exec, s[0:1]
	s_mul_i32 s0, s16, s28
	v_cmp_eq_u32_e32 vcc, 0, v0
	s_mul_i32 s6, s0, s5
	s_waitcnt lgkmcnt(0)
	s_barrier
	s_and_saveexec_b64 s[0:1], vcc
	s_cbranch_execz .LBB47_47
; %bb.46:
	s_ashr_i32 s7, s6, 31
	s_lshl_b64 s[10:11], s[6:7], 2
	s_add_u32 s5, s22, s10
	s_mul_i32 s2, s16, s2
	s_addc_u32 s7, s23, s11
	s_ashr_i32 s3, s2, 31
	s_lshl_b64 s[2:3], s[2:3], 2
	s_add_u32 s15, s5, s2
	s_addc_u32 s7, s7, s3
	s_ashr_i32 s5, s4, 31
	s_lshl_b64 s[22:23], s[4:5], 2
	s_add_u32 s38, s15, s22
	s_addc_u32 s39, s7, s23
	s_add_u32 s5, s20, s10
	s_addc_u32 s7, s21, s11
	;; [unrolled: 2-line block ×3, first 2 shown]
	s_add_u32 s2, s2, s22
	v_mov_b32_e32 v2, 0
	s_addc_u32 s3, s3, s23
	global_store_dword v2, v4, s[38:39]
	global_store_dword v2, v5, s[2:3]
.LBB47_47:
	s_or_b64 exec, exec, s[0:1]
	v_mov_b32_e32 v49, 0
	v_and_b32_e32 v78, 7, v0
	v_mov_b32_e32 v48, 0
	v_mov_b32_e32 v51, 0
	;; [unrolled: 1-line block ×9, first 2 shown]
	s_and_saveexec_b64 s[2:3], s[8:9]
	s_cbranch_execz .LBB47_73
; %bb.48:
	s_ashr_i32 s15, s14, 31
	s_sub_i32 s5, s48, s17
	s_lshl_b64 s[0:1], s[14:15], 2
	s_add_u32 s8, s36, s0
	s_addc_u32 s9, s37, s1
	s_abs_i32 s18, s18
	v_cvt_f32_u32_e32 v3, s18
	s_sub_i32 s0, 0, s18
	s_add_i32 s17, s12, -1
	v_and_b32_e32 v2, 0xfc, v6
	v_rcp_iflag_f32_e32 v3, v3
	v_and_b32_e32 v79, 28, v6
	v_mov_b32_e32 v59, 0
	v_or_b32_e32 v4, 0x400, v2
	v_mul_f32_e32 v3, 0x4f7ffffe, v3
	v_cvt_u32_f32_e32 v3, v3
	v_or_b32_e32 v6, 0x500, v2
	v_or_b32_e32 v8, 0x600, v2
	;; [unrolled: 1-line block ×3, first 2 shown]
	v_mul_lo_u32 v5, s0, v3
	v_mul_hi_u32 v5, v3, v5
	s_lshl_b64 s[0:1], s[34:35], 2
	v_add_u32_e32 v80, v3, v5
	s_add_u32 s0, s30, s0
	v_lshlrev_b32_e32 v3, 4, v78
	v_or_b32_e32 v12, 0x800, v2
	v_or_b32_e32 v14, 0x900, v2
	s_addc_u32 s1, s31, s1
	v_lshl_or_b32 v3, v7, 7, v3
	s_mov_b32 s7, s13
	v_lshl_add_u64 v[60:61], v[46:47], 2, s[0:1]
	v_add_u32_e32 v47, 0x150, v3
	s_mov_b64 s[10:11], 0
	v_lshlrev_b32_e32 v62, 2, v2
	v_lshlrev_b32_e32 v58, 2, v4
	;; [unrolled: 1-line block ×7, first 2 shown]
	v_mov_b32_e32 v49, v59
	v_mov_b32_e32 v48, v59
	;; [unrolled: 1-line block ×10, first 2 shown]
	s_branch .LBB47_51
.LBB47_49:                              ;   in Loop: Header=BB47_51 Depth=1
	s_or_b64 exec, exec, s[0:1]
	s_waitcnt vmcnt(1) lgkmcnt(0)
	v_mul_f32_e32 v43, v3, v43
	v_mul_f32_e32 v35, v3, v35
	;; [unrolled: 1-line block ×9, first 2 shown]
	s_waitcnt vmcnt(0)
	v_mul_f32_e32 v3, v3, v39
	v_fmac_f32_e32 v43, v2, v42
	v_fmac_f32_e32 v35, v2, v34
	;; [unrolled: 1-line block ×30, first 2 shown]
	v_add_f32_e32 v48, v48, v43
	v_add_f32_e32 v51, v51, v35
	;; [unrolled: 1-line block ×10, first 2 shown]
.LBB47_50:                              ;   in Loop: Header=BB47_51 Depth=1
	s_or_b64 exec, exec, s[12:13]
	v_add_u32_e32 v46, 2, v46
	v_cmp_le_i32_e32 vcc, s47, v46
	v_lshl_add_u64 v[60:61], v[60:61], 0, 8
	v_add_u32_e32 v1, 64, v1
	s_or_b64 s[10:11], vcc, s[10:11]
	v_add_u32_e32 v47, 0x100, v47
	s_andn2_b64 exec, exec, s[10:11]
	s_cbranch_execz .LBB47_72
.LBB47_51:                              ; =>This Inner Loop Header: Depth=1
	v_sub_u32_e32 v3, 0, v1
	v_max_i32_e32 v3, v1, v3
	v_mul_hi_u32 v4, v3, s33
	v_mul_lo_u32 v5, v4, s25
	v_sub_u32_e32 v3, v3, v5
	v_add_u32_e32 v5, 1, v4
	v_cmp_le_u32_e32 vcc, s25, v3
	v_ashrrev_i32_e32 v2, 31, v1
	v_xor_b32_e32 v2, s19, v2
	v_cndmask_b32_e32 v4, v4, v5, vcc
	v_subrev_u32_e32 v5, s25, v3
	v_cndmask_b32_e32 v3, v3, v5, vcc
	v_add_u32_e32 v5, 1, v4
	v_cmp_le_u32_e32 vcc, s25, v3
	s_nop 1
	v_cndmask_b32_e32 v3, v4, v5, vcc
	v_xor_b32_e32 v3, v3, v2
	v_sub_u32_e32 v2, v3, v2
	v_add_u32_e32 v3, s46, v2
	v_sub_u32_e32 v5, 0, v3
	v_ashrrev_i32_e32 v4, 31, v3
	v_max_i32_e32 v3, v3, v5
	v_mul_hi_u32 v5, v3, v80
	v_mul_lo_u32 v5, v5, s18
	v_sub_u32_e32 v3, v3, v5
	v_subrev_u32_e32 v5, s18, v3
	v_cmp_le_u32_e32 vcc, s18, v3
	v_cmp_lt_i32_e64 s[0:1], s5, v2
	s_nop 0
	v_cndmask_b32_e32 v3, v3, v5, vcc
	v_subrev_u32_e32 v5, s18, v3
	v_cmp_le_u32_e32 vcc, s18, v3
	s_nop 1
	v_cndmask_b32_e32 v3, v3, v5, vcc
	v_xor_b32_e32 v3, v3, v4
	v_sub_u32_e32 v3, v3, v4
	v_cmp_eq_u32_e32 vcc, 0, v3
	s_or_b64 s[0:1], vcc, s[0:1]
	s_and_saveexec_b64 s[12:13], s[0:1]
	s_cbranch_execz .LBB47_50
; %bb.52:                               ;   in Loop: Header=BB47_51 Depth=1
	global_load_dword v2, v[60:61], off
	v_mov_b32_e32 v63, v59
	v_cmp_eq_u32_e32 vcc, s17, v46
	s_waitcnt vmcnt(0)
	v_mad_i64_i32 v[2:3], s[0:1], v2, s7, 0
	v_lshl_add_u64 v[38:39], v[2:3], 2, s[8:9]
	v_lshl_add_u64 v[18:19], v[38:39], 0, v[62:63]
	global_load_dwordx4 v[6:9], v[18:19], off
	ds_read_b128 v[2:5], v47
	v_add_u32_e32 v63, v79, v1
	v_add_u32_e32 v83, 1, v63
	;; [unrolled: 1-line block ×4, first 2 shown]
	s_and_saveexec_b64 s[14:15], vcc
	s_cbranch_execnz .LBB47_69
; %bb.53:                               ;   in Loop: Header=BB47_51 Depth=1
	s_or_b64 exec, exec, s[14:15]
	global_load_dwordx4 v[10:13], v[18:19], off offset:1024
	s_and_saveexec_b64 s[14:15], vcc
	s_cbranch_execnz .LBB47_70
.LBB47_54:                              ;   in Loop: Header=BB47_51 Depth=1
	s_or_b64 exec, exec, s[14:15]
	global_load_dwordx4 v[14:17], v[18:19], off offset:2048
	s_and_saveexec_b64 s[14:15], vcc
	s_cbranch_execnz .LBB47_71
.LBB47_55:                              ;   in Loop: Header=BB47_51 Depth=1
	s_or_b64 exec, exec, s[14:15]
	global_load_dwordx4 v[18:21], v[18:19], off offset:3072
	s_and_saveexec_b64 s[14:15], vcc
	s_cbranch_execz .LBB47_57
.LBB47_56:                              ;   in Loop: Header=BB47_51 Depth=1
	v_cmp_gt_i32_e64 s[0:1], s29, v63
	s_waitcnt vmcnt(0)
	s_nop 0
	v_cndmask_b32_e64 v18, 0, v18, s[0:1]
	v_cmp_gt_i32_e64 s[0:1], s29, v83
	s_nop 1
	v_cndmask_b32_e64 v19, 0, v19, s[0:1]
	v_cmp_gt_i32_e64 s[0:1], s29, v82
	;; [unrolled: 3-line block ×3, first 2 shown]
	s_nop 1
	v_cndmask_b32_e64 v21, 0, v21, s[0:1]
.LBB47_57:                              ;   in Loop: Header=BB47_51 Depth=1
	s_or_b64 exec, exec, s[14:15]
	v_lshl_add_u64 v[22:23], v[38:39], 0, v[58:59]
	global_load_dwordx4 v[22:25], v[22:23], off
	s_and_saveexec_b64 s[14:15], vcc
	s_cbranch_execz .LBB47_59
; %bb.58:                               ;   in Loop: Header=BB47_51 Depth=1
	v_cmp_gt_i32_e64 s[0:1], s29, v63
	s_waitcnt vmcnt(0)
	s_nop 0
	v_cndmask_b32_e64 v22, 0, v22, s[0:1]
	v_cmp_gt_i32_e64 s[0:1], s29, v83
	s_nop 1
	v_cndmask_b32_e64 v23, 0, v23, s[0:1]
	v_cmp_gt_i32_e64 s[0:1], s29, v82
	s_nop 1
	v_cndmask_b32_e64 v24, 0, v24, s[0:1]
	v_cmp_gt_i32_e64 s[0:1], s29, v81
	s_nop 1
	v_cndmask_b32_e64 v25, 0, v25, s[0:1]
.LBB47_59:                              ;   in Loop: Header=BB47_51 Depth=1
	s_or_b64 exec, exec, s[14:15]
	v_mov_b32_e32 v65, v59
	v_lshl_add_u64 v[26:27], v[38:39], 0, v[64:65]
	global_load_dwordx4 v[26:29], v[26:27], off
	s_and_saveexec_b64 s[14:15], vcc
	s_cbranch_execz .LBB47_61
; %bb.60:                               ;   in Loop: Header=BB47_51 Depth=1
	v_cmp_gt_i32_e64 s[0:1], s29, v63
	s_waitcnt vmcnt(0)
	s_nop 0
	v_cndmask_b32_e64 v26, 0, v26, s[0:1]
	v_cmp_gt_i32_e64 s[0:1], s29, v83
	s_nop 1
	v_cndmask_b32_e64 v27, 0, v27, s[0:1]
	v_cmp_gt_i32_e64 s[0:1], s29, v82
	s_nop 1
	v_cndmask_b32_e64 v28, 0, v28, s[0:1]
	v_cmp_gt_i32_e64 s[0:1], s29, v81
	s_nop 1
	v_cndmask_b32_e64 v29, 0, v29, s[0:1]
.LBB47_61:                              ;   in Loop: Header=BB47_51 Depth=1
	s_or_b64 exec, exec, s[14:15]
	v_mov_b32_e32 v67, v59
	;; [unrolled: 21-line block ×5, first 2 shown]
	v_lshl_add_u64 v[38:39], v[38:39], 0, v[72:73]
	global_load_dwordx4 v[38:41], v[38:39], off
	s_and_saveexec_b64 s[0:1], vcc
	s_cbranch_execz .LBB47_49
; %bb.68:                               ;   in Loop: Header=BB47_51 Depth=1
	v_cmp_gt_i32_e32 vcc, s29, v63
	s_waitcnt vmcnt(0)
	s_nop 0
	v_cndmask_b32_e32 v38, 0, v38, vcc
	v_cmp_gt_i32_e32 vcc, s29, v83
	s_nop 1
	v_cndmask_b32_e32 v39, 0, v39, vcc
	v_cmp_gt_i32_e32 vcc, s29, v82
	;; [unrolled: 3-line block ×3, first 2 shown]
	s_nop 1
	v_cndmask_b32_e32 v41, 0, v41, vcc
	s_branch .LBB47_49
.LBB47_69:                              ;   in Loop: Header=BB47_51 Depth=1
	v_cmp_gt_i32_e64 s[0:1], s29, v63
	s_waitcnt vmcnt(0)
	s_nop 0
	v_cndmask_b32_e64 v6, 0, v6, s[0:1]
	v_cmp_gt_i32_e64 s[0:1], s29, v83
	s_nop 1
	v_cndmask_b32_e64 v7, 0, v7, s[0:1]
	v_cmp_gt_i32_e64 s[0:1], s29, v82
	;; [unrolled: 3-line block ×3, first 2 shown]
	s_nop 1
	v_cndmask_b32_e64 v9, 0, v9, s[0:1]
	s_or_b64 exec, exec, s[14:15]
	global_load_dwordx4 v[10:13], v[18:19], off offset:1024
	s_and_saveexec_b64 s[14:15], vcc
	s_cbranch_execz .LBB47_54
.LBB47_70:                              ;   in Loop: Header=BB47_51 Depth=1
	v_cmp_gt_i32_e64 s[0:1], s29, v63
	s_waitcnt vmcnt(0)
	s_nop 0
	v_cndmask_b32_e64 v10, 0, v10, s[0:1]
	v_cmp_gt_i32_e64 s[0:1], s29, v83
	s_nop 1
	v_cndmask_b32_e64 v11, 0, v11, s[0:1]
	v_cmp_gt_i32_e64 s[0:1], s29, v82
	;; [unrolled: 3-line block ×3, first 2 shown]
	s_nop 1
	v_cndmask_b32_e64 v13, 0, v13, s[0:1]
	s_or_b64 exec, exec, s[14:15]
	global_load_dwordx4 v[14:17], v[18:19], off offset:2048
	s_and_saveexec_b64 s[14:15], vcc
	s_cbranch_execz .LBB47_55
.LBB47_71:                              ;   in Loop: Header=BB47_51 Depth=1
	v_cmp_gt_i32_e64 s[0:1], s29, v63
	s_waitcnt vmcnt(0)
	s_nop 0
	v_cndmask_b32_e64 v14, 0, v14, s[0:1]
	v_cmp_gt_i32_e64 s[0:1], s29, v83
	s_nop 1
	v_cndmask_b32_e64 v15, 0, v15, s[0:1]
	v_cmp_gt_i32_e64 s[0:1], s29, v82
	;; [unrolled: 3-line block ×3, first 2 shown]
	s_nop 1
	v_cndmask_b32_e64 v17, 0, v17, s[0:1]
	s_or_b64 exec, exec, s[14:15]
	global_load_dwordx4 v[18:21], v[18:19], off offset:3072
	s_and_saveexec_b64 s[14:15], vcc
	s_cbranch_execnz .LBB47_56
	s_branch .LBB47_57
.LBB47_72:
	s_or_b64 exec, exec, s[10:11]
.LBB47_73:
	s_or_b64 exec, exec, s[2:3]
	ds_bpermute_b32 v8, v75, v52
	ds_bpermute_b32 v9, v75, v53
	;; [unrolled: 1-line block ×6, first 2 shown]
	s_waitcnt lgkmcnt(4)
	v_pk_add_f32 v[8:9], v[52:53], v[8:9]
	ds_bpermute_b32 v12, v76, v8
	s_waitcnt lgkmcnt(3)
	v_pk_add_f32 v[2:3], v[56:57], v[2:3]
	ds_bpermute_b32 v13, v76, v9
	;; [unrolled: 3-line block ×3, first 2 shown]
	ds_bpermute_b32 v15, v75, v51
	ds_bpermute_b32 v6, v76, v2
	ds_bpermute_b32 v7, v76, v3
	ds_bpermute_b32 v10, v76, v4
	ds_bpermute_b32 v11, v76, v5
	ds_bpermute_b32 v18, v75, v48
	ds_bpermute_b32 v19, v75, v49
	s_waitcnt lgkmcnt(8)
	v_pk_add_f32 v[12:13], v[8:9], v[12:13]
	s_waitcnt lgkmcnt(6)
	v_pk_add_f32 v[8:9], v[50:51], v[14:15]
	;; [unrolled: 2-line block ×4, first 2 shown]
	ds_bpermute_b32 v14, v76, v8
	ds_bpermute_b32 v15, v76, v9
	s_waitcnt lgkmcnt(2)
	v_pk_add_f32 v[18:19], v[48:49], v[18:19]
	ds_bpermute_b32 v6, v77, v2
	ds_bpermute_b32 v7, v77, v3
	;; [unrolled: 1-line block ×8, first 2 shown]
	s_waitcnt lgkmcnt(8)
	v_pk_add_f32 v[14:15], v[8:9], v[14:15]
	ds_bpermute_b32 v20, v77, v14
	ds_bpermute_b32 v21, v77, v15
	s_waitcnt lgkmcnt(8)
	v_pk_add_f32 v[8:9], v[2:3], v[6:7]
	s_waitcnt lgkmcnt(6)
	v_pk_add_f32 v[6:7], v[4:5], v[10:11]
	;; [unrolled: 2-line block ×4, first 2 shown]
	ds_bpermute_b32 v12, v77, v10
	ds_bpermute_b32 v13, v77, v11
	v_and_b32_e32 v1, 0x3c7, v0
	s_waitcnt lgkmcnt(2)
	v_pk_add_f32 v[2:3], v[14:15], v[20:21]
	v_cmp_ne_u32_e32 vcc, 64, v1
	s_waitcnt lgkmcnt(0)
	s_barrier
	s_and_saveexec_b64 s[0:1], vcc
	s_xor_b64 s[0:1], exec, s[0:1]
; %bb.74:
                                        ; implicit-def: $vgpr74
; %bb.75:
	s_or_saveexec_b64 s[0:1], s[0:1]
	v_pk_add_f32 v[10:11], v[10:11], v[12:13]
	s_xor_b64 exec, exec, s[0:1]
	s_cbranch_execz .LBB47_77
; %bb.76:
	v_lshrrev_b32_e32 v12, 1, v74
	v_add_u32_e32 v12, 0x150, v12
	ds_write2_b32 v12, v8, v9 offset1:8
	ds_write2_b32 v12, v6, v7 offset0:16 offset1:24
	ds_write2_b32 v12, v4, v5 offset0:32 offset1:40
	;; [unrolled: 1-line block ×4, first 2 shown]
.LBB47_77:
	s_or_b64 exec, exec, s[0:1]
	v_cmp_gt_u32_e32 vcc, 64, v0
	s_waitcnt lgkmcnt(0)
	s_barrier
	s_and_saveexec_b64 s[0:1], vcc
	s_cbranch_execz .LBB47_90
; %bb.78:
	v_cmp_eq_u32_e32 vcc, 0, v78
	v_lshrrev_b32_e32 v12, 3, v0
	s_and_saveexec_b64 s[2:3], vcc
	s_cbranch_execnz .LBB47_93
; %bb.79:
	s_or_b64 exec, exec, s[2:3]
	s_and_saveexec_b64 s[2:3], vcc
	s_cbranch_execnz .LBB47_94
.LBB47_80:
	s_or_b64 exec, exec, s[2:3]
	s_and_saveexec_b64 s[2:3], vcc
	s_cbranch_execnz .LBB47_95
.LBB47_81:
	s_or_b64 exec, exec, s[2:3]
	s_and_saveexec_b64 s[2:3], vcc
	s_cbranch_execnz .LBB47_96
.LBB47_82:
	s_or_b64 exec, exec, s[2:3]
	s_and_saveexec_b64 s[2:3], vcc
	s_cbranch_execnz .LBB47_97
.LBB47_83:
	s_or_b64 exec, exec, s[2:3]
	s_and_saveexec_b64 s[2:3], vcc
	s_cbranch_execnz .LBB47_98
.LBB47_84:
	s_or_b64 exec, exec, s[2:3]
	s_and_saveexec_b64 s[2:3], vcc
	s_cbranch_execnz .LBB47_99
.LBB47_85:
	s_or_b64 exec, exec, s[2:3]
	s_and_saveexec_b64 s[2:3], vcc
	s_cbranch_execnz .LBB47_100
.LBB47_86:
	s_or_b64 exec, exec, s[2:3]
	s_and_saveexec_b64 s[2:3], vcc
	s_cbranch_execnz .LBB47_101
.LBB47_87:
	s_or_b64 exec, exec, s[2:3]
	s_and_saveexec_b64 s[2:3], vcc
	s_cbranch_execz .LBB47_89
.LBB47_88:
	v_mov_b32_e32 v13, 0x150
	v_lshl_add_u32 v12, v12, 2, v13
	ds_read_b32 v12, v12 offset:288
	s_waitcnt lgkmcnt(0)
	v_add_f32_e32 v11, v11, v12
.LBB47_89:
	s_or_b64 exec, exec, s[2:3]
.LBB47_90:
	s_or_b64 exec, exec, s[0:1]
	v_cmp_eq_u32_e32 vcc, 0, v1
	s_barrier
	s_and_saveexec_b64 s[0:1], vcc
	s_cbranch_execz .LBB47_92
; %bb.91:
	s_mul_i32 s0, s6, 0x50
	s_ashr_i32 s1, s0, 31
	s_lshl_b64 s[0:1], s[0:1], 2
	s_add_u32 s2, s26, s0
	s_mul_i32 s0, s16, s24
	s_addc_u32 s3, s27, s1
	s_ashr_i32 s1, s0, 31
	s_lshl_b64 s[0:1], s[0:1], 2
	s_add_u32 s2, s2, s0
	s_mul_i32 s0, s4, 0x50
	s_addc_u32 s3, s3, s1
	s_ashr_i32 s1, s0, 31
	s_lshl_b64 s[0:1], s[0:1], 2
	s_add_u32 s0, s2, s0
	s_addc_u32 s1, s3, s1
	v_lshrrev_b32_e32 v0, 1, v0
	global_store_dword v0, v8, s[0:1]
	global_store_dword v0, v9, s[0:1] offset:32
	global_store_dword v0, v6, s[0:1] offset:64
	;; [unrolled: 1-line block ×9, first 2 shown]
.LBB47_92:
	s_endpgm
.LBB47_93:
	v_mov_b32_e32 v13, 0x150
	v_lshl_add_u32 v13, v12, 2, v13
	ds_read_b32 v13, v13
	s_waitcnt lgkmcnt(0)
	v_add_f32_e32 v8, v8, v13
	s_or_b64 exec, exec, s[2:3]
	s_and_saveexec_b64 s[2:3], vcc
	s_cbranch_execz .LBB47_80
.LBB47_94:
	v_mov_b32_e32 v13, 0x150
	v_lshl_add_u32 v13, v12, 2, v13
	ds_read_b32 v13, v13 offset:32
	s_waitcnt lgkmcnt(0)
	v_add_f32_e32 v9, v9, v13
	s_or_b64 exec, exec, s[2:3]
	s_and_saveexec_b64 s[2:3], vcc
	s_cbranch_execz .LBB47_81
.LBB47_95:
	v_mov_b32_e32 v13, 0x150
	v_lshl_add_u32 v13, v12, 2, v13
	ds_read_b32 v13, v13 offset:64
	s_waitcnt lgkmcnt(0)
	v_add_f32_e32 v6, v6, v13
	s_or_b64 exec, exec, s[2:3]
	s_and_saveexec_b64 s[2:3], vcc
	s_cbranch_execz .LBB47_82
.LBB47_96:
	v_mov_b32_e32 v13, 0x150
	v_lshl_add_u32 v13, v12, 2, v13
	ds_read_b32 v13, v13 offset:96
	s_waitcnt lgkmcnt(0)
	v_add_f32_e32 v7, v7, v13
	s_or_b64 exec, exec, s[2:3]
	s_and_saveexec_b64 s[2:3], vcc
	s_cbranch_execz .LBB47_83
.LBB47_97:
	v_mov_b32_e32 v13, 0x150
	v_lshl_add_u32 v13, v12, 2, v13
	ds_read_b32 v13, v13 offset:128
	s_waitcnt lgkmcnt(0)
	v_add_f32_e32 v4, v4, v13
	s_or_b64 exec, exec, s[2:3]
	s_and_saveexec_b64 s[2:3], vcc
	s_cbranch_execz .LBB47_84
.LBB47_98:
	v_mov_b32_e32 v13, 0x150
	v_lshl_add_u32 v13, v12, 2, v13
	ds_read_b32 v13, v13 offset:160
	s_waitcnt lgkmcnt(0)
	v_add_f32_e32 v5, v5, v13
	s_or_b64 exec, exec, s[2:3]
	s_and_saveexec_b64 s[2:3], vcc
	s_cbranch_execz .LBB47_85
.LBB47_99:
	v_mov_b32_e32 v13, 0x150
	v_lshl_add_u32 v13, v12, 2, v13
	ds_read_b32 v13, v13 offset:192
	s_waitcnt lgkmcnt(0)
	v_add_f32_e32 v2, v2, v13
	s_or_b64 exec, exec, s[2:3]
	s_and_saveexec_b64 s[2:3], vcc
	s_cbranch_execz .LBB47_86
.LBB47_100:
	v_mov_b32_e32 v13, 0x150
	v_lshl_add_u32 v13, v12, 2, v13
	ds_read_b32 v13, v13 offset:224
	s_waitcnt lgkmcnt(0)
	v_add_f32_e32 v3, v3, v13
	s_or_b64 exec, exec, s[2:3]
	s_and_saveexec_b64 s[2:3], vcc
	s_cbranch_execz .LBB47_87
.LBB47_101:
	v_mov_b32_e32 v13, 0x150
	v_lshl_add_u32 v13, v12, 2, v13
	ds_read_b32 v13, v13 offset:256
	s_waitcnt lgkmcnt(0)
	v_add_f32_e32 v10, v10, v13
	s_or_b64 exec, exec, s[2:3]
	s_and_saveexec_b64 s[2:3], vcc
	s_cbranch_execnz .LBB47_88
	s_branch .LBB47_89
	.section	.rodata,"a",@progbits
	.p2align	6, 0x0
	.amdhsa_kernel _ZN4vllm25paged_attention_v2_kernelIffLi80ELi32ELi128ELNS_18Fp8KVCacheDataTypeE0ELb1ELi512EEEvPfS2_PT_PKS3_PKT0_S9_ifPKiSB_iPKfiiiSD_SD_iiiii
		.amdhsa_group_segment_fixed_size 336
		.amdhsa_private_segment_fixed_size 0
		.amdhsa_kernarg_size 400
		.amdhsa_user_sgpr_count 2
		.amdhsa_user_sgpr_dispatch_ptr 0
		.amdhsa_user_sgpr_queue_ptr 0
		.amdhsa_user_sgpr_kernarg_segment_ptr 1
		.amdhsa_user_sgpr_dispatch_id 0
		.amdhsa_user_sgpr_kernarg_preload_length 0
		.amdhsa_user_sgpr_kernarg_preload_offset 0
		.amdhsa_user_sgpr_private_segment_size 0
		.amdhsa_uses_dynamic_stack 0
		.amdhsa_enable_private_segment 0
		.amdhsa_system_sgpr_workgroup_id_x 1
		.amdhsa_system_sgpr_workgroup_id_y 1
		.amdhsa_system_sgpr_workgroup_id_z 1
		.amdhsa_system_sgpr_workgroup_info 0
		.amdhsa_system_vgpr_workitem_id 0
		.amdhsa_next_free_vgpr 105
		.amdhsa_next_free_sgpr 54
		.amdhsa_accum_offset 108
		.amdhsa_reserve_vcc 1
		.amdhsa_float_round_mode_32 0
		.amdhsa_float_round_mode_16_64 0
		.amdhsa_float_denorm_mode_32 3
		.amdhsa_float_denorm_mode_16_64 3
		.amdhsa_dx10_clamp 1
		.amdhsa_ieee_mode 1
		.amdhsa_fp16_overflow 0
		.amdhsa_tg_split 0
		.amdhsa_exception_fp_ieee_invalid_op 0
		.amdhsa_exception_fp_denorm_src 0
		.amdhsa_exception_fp_ieee_div_zero 0
		.amdhsa_exception_fp_ieee_overflow 0
		.amdhsa_exception_fp_ieee_underflow 0
		.amdhsa_exception_fp_ieee_inexact 0
		.amdhsa_exception_int_div_zero 0
	.end_amdhsa_kernel
	.section	.text._ZN4vllm25paged_attention_v2_kernelIffLi80ELi32ELi128ELNS_18Fp8KVCacheDataTypeE0ELb1ELi512EEEvPfS2_PT_PKS3_PKT0_S9_ifPKiSB_iPKfiiiSD_SD_iiiii,"axG",@progbits,_ZN4vllm25paged_attention_v2_kernelIffLi80ELi32ELi128ELNS_18Fp8KVCacheDataTypeE0ELb1ELi512EEEvPfS2_PT_PKS3_PKT0_S9_ifPKiSB_iPKfiiiSD_SD_iiiii,comdat
.Lfunc_end47:
	.size	_ZN4vllm25paged_attention_v2_kernelIffLi80ELi32ELi128ELNS_18Fp8KVCacheDataTypeE0ELb1ELi512EEEvPfS2_PT_PKS3_PKT0_S9_ifPKiSB_iPKfiiiSD_SD_iiiii, .Lfunc_end47-_ZN4vllm25paged_attention_v2_kernelIffLi80ELi32ELi128ELNS_18Fp8KVCacheDataTypeE0ELb1ELi512EEEvPfS2_PT_PKS3_PKT0_S9_ifPKiSB_iPKfiiiSD_SD_iiiii
                                        ; -- End function
	.section	.AMDGPU.csdata,"",@progbits
; Kernel info:
; codeLenInByte = 6776
; NumSgprs: 60
; NumVgprs: 105
; NumAgprs: 0
; TotalNumVgprs: 105
; ScratchSize: 0
; MemoryBound: 0
; FloatMode: 240
; IeeeMode: 1
; LDSByteSize: 336 bytes/workgroup (compile time only)
; SGPRBlocks: 7
; VGPRBlocks: 13
; NumSGPRsForWavesPerEU: 60
; NumVGPRsForWavesPerEU: 105
; AccumOffset: 108
; Occupancy: 4
; WaveLimiterHint : 1
; COMPUTE_PGM_RSRC2:SCRATCH_EN: 0
; COMPUTE_PGM_RSRC2:USER_SGPR: 2
; COMPUTE_PGM_RSRC2:TRAP_HANDLER: 0
; COMPUTE_PGM_RSRC2:TGID_X_EN: 1
; COMPUTE_PGM_RSRC2:TGID_Y_EN: 1
; COMPUTE_PGM_RSRC2:TGID_Z_EN: 1
; COMPUTE_PGM_RSRC2:TIDIG_COMP_CNT: 0
; COMPUTE_PGM_RSRC3_GFX90A:ACCUM_OFFSET: 26
; COMPUTE_PGM_RSRC3_GFX90A:TG_SPLIT: 0
	.section	.text._ZN4vllm25paged_attention_v2_kernelIffLi96ELi32ELi128ELNS_18Fp8KVCacheDataTypeE0ELb1ELi512EEEvPfS2_PT_PKS3_PKT0_S9_ifPKiSB_iPKfiiiSD_SD_iiiii,"axG",@progbits,_ZN4vllm25paged_attention_v2_kernelIffLi96ELi32ELi128ELNS_18Fp8KVCacheDataTypeE0ELb1ELi512EEEvPfS2_PT_PKS3_PKT0_S9_ifPKiSB_iPKfiiiSD_SD_iiiii,comdat
	.protected	_ZN4vllm25paged_attention_v2_kernelIffLi96ELi32ELi128ELNS_18Fp8KVCacheDataTypeE0ELb1ELi512EEEvPfS2_PT_PKS3_PKT0_S9_ifPKiSB_iPKfiiiSD_SD_iiiii ; -- Begin function _ZN4vllm25paged_attention_v2_kernelIffLi96ELi32ELi128ELNS_18Fp8KVCacheDataTypeE0ELb1ELi512EEEvPfS2_PT_PKS3_PKT0_S9_ifPKiSB_iPKfiiiSD_SD_iiiii
	.globl	_ZN4vllm25paged_attention_v2_kernelIffLi96ELi32ELi128ELNS_18Fp8KVCacheDataTypeE0ELb1ELi512EEEvPfS2_PT_PKS3_PKT0_S9_ifPKiSB_iPKfiiiSD_SD_iiiii
	.p2align	8
	.type	_ZN4vllm25paged_attention_v2_kernelIffLi96ELi32ELi128ELNS_18Fp8KVCacheDataTypeE0ELb1ELi512EEEvPfS2_PT_PKS3_PKT0_S9_ifPKiSB_iPKfiiiSD_SD_iiiii,@function
_ZN4vllm25paged_attention_v2_kernelIffLi96ELi32ELi128ELNS_18Fp8KVCacheDataTypeE0ELb1ELi512EEEvPfS2_PT_PKS3_PKT0_S9_ifPKiSB_iPKfiiiSD_SD_iiiii: ; @_ZN4vllm25paged_attention_v2_kernelIffLi96ELi32ELi128ELNS_18Fp8KVCacheDataTypeE0ELb1ELi512EEEvPfS2_PT_PKS3_PKT0_S9_ifPKiSB_iPKfiiiSD_SD_iiiii
; %bb.0:
	s_load_dwordx2 s[6:7], s[0:1], 0x40
	s_mov_b32 s28, s3
	s_ashr_i32 s29, s3, 31
	s_lshl_b64 s[8:9], s[28:29], 2
	s_waitcnt lgkmcnt(0)
	s_add_u32 s6, s6, s8
	s_addc_u32 s7, s7, s9
	s_load_dword s29, s[6:7], 0x0
	s_lshl_b32 s49, s4, 9
	s_waitcnt lgkmcnt(0)
	s_cmp_ge_i32 s49, s29
	s_cbranch_scc1 .LBB48_98
; %bb.1:
	s_load_dword s5, s[0:1], 0x90
	s_load_dwordx2 s[38:39], s[0:1], 0x30
	s_waitcnt lgkmcnt(0)
	s_abs_i32 s7, s5
	s_abs_i32 s3, s38
	v_cvt_f32_u32_e32 v1, s3
	s_sub_i32 s8, 0, s3
	s_xor_b32 s6, s5, s38
	s_ashr_i32 s6, s6, 31
	v_rcp_iflag_f32_e32 v1, v1
	s_nop 0
	v_mul_f32_e32 v1, 0x4f7ffffe, v1
	v_cvt_u32_f32_e32 v1, v1
	s_nop 0
	v_readfirstlane_b32 s9, v1
	s_mul_i32 s8, s8, s9
	s_mul_hi_u32 s8, s9, s8
	s_add_i32 s9, s9, s8
	s_mul_hi_u32 s8, s7, s9
	s_mul_i32 s9, s8, s3
	s_sub_i32 s7, s7, s9
	s_add_i32 s10, s8, 1
	s_sub_i32 s9, s7, s3
	s_cmp_ge_u32 s7, s3
	s_cselect_b32 s8, s10, s8
	s_cselect_b32 s7, s9, s7
	s_add_i32 s9, s8, 1
	s_cmp_ge_u32 s7, s3
	s_cselect_b32 s3, s9, s8
	s_xor_b32 s3, s3, s6
	s_sub_i32 s12, s3, s6
	s_abs_i32 s8, s12
	v_cvt_f32_u32_e32 v1, s8
	s_load_dwordx2 s[6:7], s[0:1], 0x50
	s_sub_i32 s10, 0, s8
	s_abs_i32 s9, s2
	v_rcp_iflag_f32_e32 v1, v1
	s_mov_b32 s3, 0
	v_mul_f32_e32 v1, 0x4f7ffffe, v1
	v_cvt_u32_f32_e32 v1, v1
	s_nop 0
	v_readfirstlane_b32 s11, v1
	s_mul_i32 s10, s10, s11
	s_mul_hi_u32 s10, s11, s10
	s_add_i32 s11, s11, s10
	s_waitcnt lgkmcnt(0)
	s_cmp_eq_u64 s[6:7], 0
	s_mul_hi_u32 s10, s9, s11
	s_cbranch_scc1 .LBB48_3
; %bb.2:
	s_ashr_i32 s3, s2, 31
	s_lshl_b64 s[14:15], s[2:3], 2
	s_add_u32 s6, s6, s14
	s_addc_u32 s7, s7, s15
	s_load_dword s3, s[6:7], 0x0
.LBB48_3:
	s_ashr_i32 s16, s12, 31
	s_load_dwordx4 s[12:15], s[0:1], 0x58
	s_ashr_i32 s11, s2, 31
	v_and_b32_e32 v4, 1, v0
	s_mul_i32 s24, s2, 0x60
	v_cmp_gt_u32_e32 vcc, 48, v0
	v_lshlrev_b32_e32 v2, 3, v0
	v_lshlrev_b32_e32 v6, 2, v0
	s_and_saveexec_b64 s[6:7], vcc
	s_cbranch_execz .LBB48_5
; %bb.4:
	s_load_dwordx2 s[18:19], s[0:1], 0x18
	s_waitcnt lgkmcnt(0)
	s_mul_i32 s20, s28, s12
	s_ashr_i32 s21, s20, 31
	s_lshl_b64 s[20:21], s[20:21], 2
	v_and_b32_e32 v1, 0xff8, v6
	s_add_u32 s12, s18, s20
	s_addc_u32 s15, s19, s21
	s_ashr_i32 s25, s24, 31
	s_lshl_b64 s[18:19], s[24:25], 2
	s_add_u32 s18, s12, s18
	s_addc_u32 s19, s15, s19
	global_load_dwordx2 v[8:9], v2, s[18:19]
	s_movk_i32 s12, 0xc0
	v_mad_u32_u24 v1, v4, s12, v1
	s_waitcnt vmcnt(0)
	ds_write_b64 v1, v[8:9]
.LBB48_5:
	s_or_b64 exec, exec, s[6:7]
	s_mul_i32 s7, s10, s8
	s_sub_i32 s7, s9, s7
	s_xor_b32 s6, s11, s16
	s_add_i32 s9, s10, 1
	s_sub_i32 s11, s7, s8
	s_load_dwordx4 s[16:19], s[0:1], 0x78
	s_cmp_ge_u32 s7, s8
	s_cselect_b32 s9, s9, s10
	s_cselect_b32 s7, s11, s7
	s_load_dword s11, s[0:1], 0x88
	s_add_i32 s10, s9, 1
	s_cmp_ge_u32 s7, s8
	s_cselect_b32 s7, s10, s9
	s_waitcnt lgkmcnt(0)
	s_abs_i32 s25, s19
	v_cvt_f32_u32_e32 v1, s25
	s_xor_b32 s7, s7, s6
	s_sub_i32 s10, s7, s6
	s_sub_i32 s6, 0, s25
	v_rcp_iflag_f32_e32 v1, v1
	s_add_i32 s12, s29, -1
	s_abs_i32 s8, s12
	v_mul_f32_e32 v1, 0x4f7ffffe, v1
	v_cvt_u32_f32_e32 v1, v1
	s_barrier
	v_readfirstlane_b32 s33, v1
	s_mul_i32 s6, s6, s33
	s_mul_hi_u32 s6, s33, s6
	s_add_i32 s33, s33, s6
	s_cmp_lt_i32 s11, 0
	s_mul_hi_u32 s9, s8, s33
	s_cbranch_scc0 .LBB48_7
; %bb.6:
	s_mul_i32 s6, s16, s38
	s_add_i32 s6, s10, s6
	s_mul_i32 s6, s6, s11
	s_sub_i32 s46, 1, s6
	s_mov_b64 s[6:7], 0
	s_branch .LBB48_8
.LBB48_7:
	s_mov_b64 s[6:7], -1
                                        ; implicit-def: $sgpr46
.LBB48_8:
	s_load_dwordx2 s[30:31], s[0:1], 0x38
	s_ashr_i32 s12, s12, 31
	s_andn2_b64 vcc, exec, s[6:7]
	s_ashr_i32 s19, s19, 31
	s_cbranch_vccnz .LBB48_10
; %bb.9:
	s_mul_i32 s6, s5, s16
	s_add_i32 s6, s6, s2
	s_mul_i32 s6, s6, s11
	s_add_i32 s46, s6, 1
.LBB48_10:
	s_load_dword s6, s[0:1], 0x48
	s_load_dwordx2 s[36:37], s[0:1], 0x28
	s_load_dword s16, s[0:1], 0x98
	s_load_dwordx4 s[20:23], s[0:1], 0x0
	s_load_dwordx2 s[26:27], s[0:1], 0x10
	s_mul_i32 s7, s9, s25
	s_waitcnt lgkmcnt(0)
	s_mul_i32 s34, s28, s6
	s_sub_i32 s7, s8, s7
	s_ashr_i32 s35, s34, 31
	s_xor_b32 s6, s12, s19
	s_add_i32 s8, s9, 1
	s_sub_i32 s11, s7, s25
	s_cmp_ge_u32 s7, s25
	s_cselect_b32 s8, s8, s9
	s_cselect_b32 s7, s11, s7
	s_add_i32 s9, s8, 1
	s_cmp_ge_u32 s7, s25
	s_cselect_b32 s7, s9, s8
	s_xor_b32 s7, s7, s6
	s_sub_i32 s48, s7, s6
	s_add_i32 s6, s29, 31
	s_ashr_i32 s7, s6, 31
	s_lshr_b32 s7, s7, 27
	s_add_i32 s6, s6, s7
	s_lshl_b32 s38, s4, 4
	s_ashr_i32 s12, s6, 5
	s_add_i32 s6, s38, 16
	v_lshrrev_b32_e32 v7, 6, v0
	s_min_i32 s47, s6, s12
	v_or_b32_e32 v54, s38, v7
	v_cmp_gt_i32_e64 s[8:9], s47, v54
	v_mov_b32_e32 v11, 0xff7fffff
	s_mul_i32 s14, s10, s14
	v_ashrrev_i32_e32 v55, 31, v54
	v_lshl_add_u32 v1, v7, 5, s49
	v_mbcnt_lo_u32_b32 v8, -1, 0
	s_and_saveexec_b64 s[40:41], s[8:9]
	s_cbranch_execz .LBB48_20
; %bb.11:
	s_load_dwordx2 s[0:1], s[0:1], 0x20
	s_ashr_i32 s15, s14, 31
	s_sub_i32 s50, s48, s17
	s_lshl_b64 s[6:7], s[14:15], 2
	v_bfe_u32 v9, v0, 1, 5
	s_waitcnt lgkmcnt(0)
	s_add_u32 s0, s0, s6
	s_addc_u32 s1, s1, s7
	s_abs_i32 s15, s18
	v_cvt_f32_u32_e32 v3, s15
	v_lshlrev_b32_e32 v10, 4, v9
	v_mov_b32_e32 v11, 0
	v_lshlrev_b32_e32 v14, 2, v9
	v_rcp_iflag_f32_e32 v5, v3
	v_lshl_add_u64 v[12:13], s[0:1], 0, v[10:11]
	v_and_b32_e32 v10, 8, v2
	s_sub_i32 s0, 0, s15
	v_mul_f32_e32 v5, 0x4f7ffffe, v5
	v_cvt_u32_f32_e32 v5, v5
	v_cmp_eq_u32_e32 vcc, 0, v4
	v_lshl_add_u64 v[2:3], v[12:13], 0, v[10:11]
	v_mul_u32_u24_e32 v10, 0xc0, v4
	v_mul_lo_u32 v4, s0, v5
	s_lshl_b64 s[0:1], s[34:35], 2
	v_lshl_or_b32 v11, v7, 7, v14
	s_add_u32 s0, s30, s0
	v_add_u32_e32 v14, 0x190, v11
	v_subrev_u32_e32 v11, s29, v9
	v_mbcnt_hi_u32_b32 v17, -1, v8
	v_mul_hi_u32 v4, v5, v4
	s_addc_u32 s1, s31, s1
	v_add_u32_e32 v15, 1, v11
	v_and_b32_e32 v11, 64, v17
	s_mov_b32 s51, s13
	v_cmp_neq_f32_e64 s[6:7], s3, 0
	v_add_u32_e32 v12, v5, v4
	v_lshl_add_u64 v[4:5], v[54:55], 2, s[0:1]
	v_lshl_add_u32 v13, v7, 5, s49
	s_mov_b64 s[42:43], 0
	v_mov_b32_e32 v16, 0xff7fffff
	s_movk_i32 s52, 0x1000
	s_movk_i32 s53, 0x2000
	v_xor_b32_e32 v18, 1, v17
	v_add_u32_e32 v19, 64, v11
	v_mov_b32_e32 v11, 0xff7fffff
	v_mov_b32_e32 v20, v54
	s_branch .LBB48_14
.LBB48_12:                              ;   in Loop: Header=BB48_14 Depth=1
	s_or_b64 exec, exec, s[44:45]
.LBB48_13:                              ;   in Loop: Header=BB48_14 Depth=1
	s_or_b64 exec, exec, s[10:11]
	v_add_u32_e32 v20, 2, v20
	v_cmp_le_i32_e64 s[0:1], s47, v20
	v_lshl_add_u64 v[4:5], v[4:5], 0, 8
	v_add_u32_e32 v13, 64, v13
	s_or_b64 s[42:43], s[0:1], s[42:43]
	v_add_u32_e32 v14, 0x100, v14
	s_andn2_b64 exec, exec, s[42:43]
	s_cbranch_execz .LBB48_19
.LBB48_14:                              ; =>This Inner Loop Header: Depth=1
	s_waitcnt lgkmcnt(0)
	v_sub_u32_e32 v22, 0, v13
	v_max_i32_e32 v22, v13, v22
	v_mul_hi_u32 v23, v22, s33
	v_mul_lo_u32 v24, v23, s25
	v_sub_u32_e32 v22, v22, v24
	v_add_u32_e32 v24, 1, v23
	v_cmp_le_u32_e64 s[0:1], s25, v22
	v_ashrrev_i32_e32 v21, 31, v13
	v_xor_b32_e32 v21, s19, v21
	v_cndmask_b32_e64 v23, v23, v24, s[0:1]
	v_subrev_u32_e32 v24, s25, v22
	v_cndmask_b32_e64 v22, v22, v24, s[0:1]
	v_add_u32_e32 v24, 1, v23
	v_cmp_le_u32_e64 s[0:1], s25, v22
	s_nop 1
	v_cndmask_b32_e64 v22, v23, v24, s[0:1]
	v_xor_b32_e32 v22, v22, v21
	v_sub_u32_e32 v21, v22, v21
	v_add_u32_e32 v22, s46, v21
	v_sub_u32_e32 v24, 0, v22
	v_ashrrev_i32_e32 v23, 31, v22
	v_max_i32_e32 v22, v22, v24
	v_mul_hi_u32 v24, v22, v12
	v_mul_lo_u32 v24, v24, s15
	v_sub_u32_e32 v22, v22, v24
	v_subrev_u32_e32 v24, s15, v22
	v_cmp_le_u32_e64 s[0:1], s15, v22
	v_cmp_ge_i32_e64 s[10:11], s50, v21
	s_nop 0
	v_cndmask_b32_e64 v22, v22, v24, s[0:1]
	v_subrev_u32_e32 v24, s15, v22
	v_cmp_le_u32_e64 s[0:1], s15, v22
	s_nop 1
	v_cndmask_b32_e64 v22, v22, v24, s[0:1]
	v_xor_b32_e32 v22, v22, v23
	v_sub_u32_e32 v22, v22, v23
	v_cmp_ne_u32_e64 s[0:1], 0, v22
	s_and_b64 s[0:1], s[0:1], s[10:11]
	s_and_b64 s[44:45], vcc, s[0:1]
	s_and_saveexec_b64 s[10:11], s[44:45]
	s_cbranch_execz .LBB48_16
; %bb.15:                               ;   in Loop: Header=BB48_14 Depth=1
	ds_write_b32 v14, v16
.LBB48_16:                              ;   in Loop: Header=BB48_14 Depth=1
	s_or_b64 exec, exec, s[10:11]
	s_xor_b64 s[0:1], s[0:1], -1
	s_and_saveexec_b64 s[10:11], s[0:1]
	s_cbranch_execz .LBB48_13
; %bb.17:                               ;   in Loop: Header=BB48_14 Depth=1
	global_load_dword v21, v[4:5], off
	s_waitcnt vmcnt(0)
	v_mad_i64_i32 v[22:23], s[0:1], v21, s51, 0
	v_lshl_add_u64 v[22:23], v[22:23], 2, v[2:3]
	global_load_dwordx2 v[56:57], v[22:23], off offset:512
	global_load_dwordx2 v[60:61], v[22:23], off offset:1024
	;; [unrolled: 1-line block ×3, first 2 shown]
	global_load_dwordx2 v[58:59], v[22:23], off
	global_load_dwordx2 v[64:65], v[22:23], off offset:2048
	global_load_dwordx2 v[66:67], v[22:23], off offset:2560
	;; [unrolled: 1-line block ×4, first 2 shown]
	v_add_co_u32_e64 v24, s[0:1], s53, v22
	s_nop 1
	v_addc_co_u32_e64 v25, s[0:1], 0, v23, s[0:1]
	global_load_dwordx2 v[72:73], v[24:25], off offset:-4096
	v_add_co_u32_e64 v22, s[0:1], s52, v22
	s_nop 1
	v_addc_co_u32_e64 v23, s[0:1], 0, v23, s[0:1]
	global_load_dwordx2 v[74:75], v[22:23], off offset:512
	global_load_dwordx2 v[76:77], v[22:23], off offset:1024
	;; [unrolled: 1-line block ×7, first 2 shown]
	global_load_dwordx2 v[88:89], v[24:25], off
	global_load_dwordx2 v[90:91], v[24:25], off offset:512
	global_load_dwordx2 v[92:93], v[24:25], off offset:1024
	;; [unrolled: 1-line block ×7, first 2 shown]
	ds_read_b128 v[22:25], v10
	ds_read_b128 v[26:29], v10 offset:16
	ds_read_b128 v[30:33], v10 offset:32
	ds_read_b128 v[34:37], v10 offset:48
	ds_read_b128 v[38:41], v10 offset:64
	ds_read_b128 v[42:45], v10 offset:80
	ds_read_b128 v[46:49], v10 offset:96
	ds_read_b128 v[50:53], v10 offset:112
	v_cmp_lt_i32_e64 s[0:1], v18, v19
	s_waitcnt vmcnt(23) lgkmcnt(7)
	v_mul_f32_e32 v21, v24, v56
	v_mul_f32_e32 v104, v25, v57
	v_cndmask_b32_e64 v105, v17, v18, s[0:1]
	s_waitcnt vmcnt(20)
	v_fmac_f32_e32 v21, v22, v58
	v_fmac_f32_e32 v104, v23, v59
	s_waitcnt lgkmcnt(6)
	v_fmac_f32_e32 v21, v26, v60
	v_fmac_f32_e32 v104, v27, v61
	v_fmac_f32_e32 v21, v28, v62
	v_fmac_f32_e32 v104, v29, v63
	s_waitcnt vmcnt(19) lgkmcnt(5)
	v_fmac_f32_e32 v21, v30, v64
	v_fmac_f32_e32 v104, v31, v65
	s_waitcnt vmcnt(18)
	v_fmac_f32_e32 v21, v32, v66
	v_fmac_f32_e32 v104, v33, v67
	s_waitcnt vmcnt(17) lgkmcnt(4)
	v_fmac_f32_e32 v21, v34, v68
	v_fmac_f32_e32 v104, v35, v69
	s_waitcnt vmcnt(16)
	v_fmac_f32_e32 v21, v36, v70
	v_fmac_f32_e32 v104, v37, v71
	;; [unrolled: 6-line block ×4, first 2 shown]
	ds_read_b128 v[22:25], v10 offset:128
	ds_read_b128 v[56:59], v10 offset:144
	s_waitcnt vmcnt(11) lgkmcnt(3)
	v_fmac_f32_e32 v21, v46, v80
	v_fmac_f32_e32 v104, v47, v81
	s_waitcnt vmcnt(10)
	v_fmac_f32_e32 v21, v48, v82
	v_fmac_f32_e32 v104, v49, v83
	s_waitcnt vmcnt(9) lgkmcnt(2)
	v_fmac_f32_e32 v21, v50, v84
	v_fmac_f32_e32 v104, v51, v85
	s_waitcnt vmcnt(8)
	v_fmac_f32_e32 v21, v52, v86
	v_fmac_f32_e32 v104, v53, v87
	ds_read_b128 v[26:29], v10 offset:160
	ds_read_b128 v[60:63], v10 offset:176
	s_waitcnt vmcnt(7) lgkmcnt(3)
	v_fmac_f32_e32 v21, v22, v88
	v_fmac_f32_e32 v104, v23, v89
	s_waitcnt vmcnt(6)
	v_fmac_f32_e32 v21, v24, v90
	v_fmac_f32_e32 v104, v25, v91
	s_waitcnt vmcnt(5) lgkmcnt(2)
	v_fmac_f32_e32 v21, v56, v92
	v_fmac_f32_e32 v104, v57, v93
	s_waitcnt vmcnt(4)
	v_fmac_f32_e32 v21, v58, v94
	v_fmac_f32_e32 v104, v59, v95
	;; [unrolled: 6-line block ×4, first 2 shown]
	v_lshlrev_b32_e32 v105, 2, v105
	v_add_f32_e32 v21, v21, v104
	ds_bpermute_b32 v22, v105, v21
	s_and_saveexec_b64 s[44:45], vcc
	s_cbranch_execz .LBB48_12
; %bb.18:                               ;   in Loop: Header=BB48_14 Depth=1
	v_add_u32_e32 v23, v15, v13
	v_cvt_f32_i32_e32 v23, v23
	s_waitcnt lgkmcnt(0)
	v_add_f32_e32 v21, v21, v22
	v_add_u32_e32 v24, v9, v13
	v_cmp_gt_i32_e64 s[0:1], s29, v24
	v_mul_f32_e32 v22, s3, v23
	v_cndmask_b32_e64 v22, 0, v22, s[6:7]
	v_fmac_f32_e32 v22, s39, v21
	v_cndmask_b32_e64 v21, 0, v22, s[0:1]
	ds_write_b32 v14, v21
	v_max_f32_e32 v21, v11, v11
	v_max_f32_e32 v21, v21, v22
	v_cndmask_b32_e64 v11, v11, v21, s[0:1]
	s_branch .LBB48_12
.LBB48_19:
	s_or_b64 exec, exec, s[42:43]
.LBB48_20:
	s_or_b64 exec, exec, s[40:41]
	v_mbcnt_hi_u32_b32 v4, -1, v8
	v_and_b32_e32 v2, 64, v4
	v_add_u32_e32 v10, 64, v2
	v_xor_b32_e32 v2, 32, v4
	v_cmp_lt_i32_e32 vcc, v2, v10
	v_xor_b32_e32 v8, 16, v4
	v_max_f32_e32 v5, v11, v11
	v_cndmask_b32_e32 v2, v4, v2, vcc
	v_lshlrev_b32_e32 v2, 2, v2
	ds_bpermute_b32 v3, v2, v11
	v_cmp_lt_i32_e32 vcc, v8, v10
	v_xor_b32_e32 v9, 8, v4
	v_xor_b32_e32 v11, 4, v4
	v_and_b32_e32 v88, 63, v0
	s_waitcnt lgkmcnt(0)
	v_max_f32_e32 v3, v3, v3
	v_max_f32_e32 v5, v5, v3
	v_cndmask_b32_e32 v3, v4, v8, vcc
	v_lshlrev_b32_e32 v3, 2, v3
	ds_bpermute_b32 v8, v3, v5
	v_cmp_lt_i32_e32 vcc, v9, v10
	s_waitcnt lgkmcnt(0)
	v_max_f32_e32 v8, v8, v8
	v_max_f32_e32 v8, v5, v8
	v_cndmask_b32_e32 v5, v4, v9, vcc
	v_lshlrev_b32_e32 v5, 2, v5
	ds_bpermute_b32 v9, v5, v8
	v_cmp_lt_i32_e32 vcc, v11, v10
	s_waitcnt lgkmcnt(0)
	v_max_f32_e32 v9, v9, v9
	v_max_f32_e32 v8, v8, v9
	v_cndmask_b32_e32 v9, v4, v11, vcc
	v_lshlrev_b32_e32 v89, 2, v9
	ds_bpermute_b32 v9, v89, v8
	v_xor_b32_e32 v11, 2, v4
	v_cmp_lt_i32_e32 vcc, v11, v10
	s_waitcnt lgkmcnt(0)
	v_max_f32_e32 v9, v9, v9
	v_max_f32_e32 v9, v8, v9
	v_cndmask_b32_e32 v8, v4, v11, vcc
	v_lshlrev_b32_e32 v90, 2, v8
	ds_bpermute_b32 v11, v90, v9
	v_cmp_eq_u32_e32 vcc, 0, v88
	v_lshlrev_b32_e32 v8, 2, v7
	s_and_saveexec_b64 s[0:1], vcc
	s_cbranch_execz .LBB48_22
; %bb.21:
	s_waitcnt lgkmcnt(0)
	v_max_f32_e32 v11, v11, v11
	v_max_f32_e32 v9, v9, v9
	;; [unrolled: 1-line block ×3, first 2 shown]
	ds_write_b32 v8, v9 offset:384
.LBB48_22:
	s_or_b64 exec, exec, s[0:1]
	v_cmp_gt_u32_e64 s[0:1], 2, v88
	s_waitcnt lgkmcnt(0)
	v_mov_b32_e32 v11, 0xff7fffff
	v_lshlrev_b32_e32 v9, 2, v88
	s_barrier
	s_and_saveexec_b64 s[6:7], s[0:1]
	s_cbranch_execz .LBB48_24
; %bb.23:
	ds_read_b32 v11, v9 offset:384
.LBB48_24:
	s_or_b64 exec, exec, s[6:7]
	v_xor_b32_e32 v12, 1, v4
	v_cmp_lt_i32_e64 s[6:7], v12, v10
	s_sub_i32 s3, s47, s38
	s_lshl_b32 s3, s3, 5
	v_cndmask_b32_e64 v10, v4, v12, s[6:7]
	v_lshlrev_b32_e32 v91, 2, v10
	s_waitcnt lgkmcnt(0)
	ds_bpermute_b32 v10, v91, v11
	v_max_f32_e32 v11, v11, v11
	v_lshlrev_b32_e32 v4, 2, v4
	s_add_i32 s3, s3, s49
	s_min_i32 s15, s3, s29
	s_waitcnt lgkmcnt(0)
	v_max_f32_e32 v10, v10, v10
	v_max_f32_e32 v11, v11, v10
	v_and_b32_e32 v10, 0x100, v4
	ds_bpermute_b32 v4, v10, v11
	s_sub_i32 s3, s15, s49
	v_cmp_gt_i32_e64 s[6:7], s3, v0
	v_mov_b32_e32 v11, 0
	s_and_saveexec_b64 s[38:39], s[6:7]
	s_cbranch_execz .LBB48_28
; %bb.25:
	v_mov_b32_e32 v11, 0x190
	v_lshl_add_u32 v12, v0, 2, v11
	s_mov_b64 s[40:41], 0
	v_mov_b32_e32 v11, 0
	v_mov_b32_e32 v13, v0
.LBB48_26:                              ; =>This Inner Loop Header: Depth=1
	ds_read_b32 v14, v12
	v_add_u32_e32 v13, 0x80, v13
	v_cmp_le_i32_e64 s[10:11], s3, v13
	s_or_b64 s[40:41], s[10:11], s[40:41]
	s_waitcnt lgkmcnt(0)
	v_sub_f32_e32 v14, v14, v4
	v_mul_f32_e32 v14, 0x3fb8aa3b, v14
	v_exp_f32_e32 v14, v14
	ds_write_b32 v12, v14
	v_add_f32_e32 v11, v11, v14
	v_add_u32_e32 v12, 0x200, v12
	s_andn2_b64 exec, exec, s[40:41]
	s_cbranch_execnz .LBB48_26
; %bb.27:
	s_or_b64 exec, exec, s[40:41]
.LBB48_28:
	s_or_b64 exec, exec, s[38:39]
	ds_bpermute_b32 v2, v2, v11
	s_waitcnt lgkmcnt(0)
	v_add_f32_e32 v2, v11, v2
	ds_bpermute_b32 v3, v3, v2
	s_waitcnt lgkmcnt(0)
	v_add_f32_e32 v2, v2, v3
	;; [unrolled: 3-line block ×6, first 2 shown]
	s_and_saveexec_b64 s[10:11], vcc
	s_cbranch_execz .LBB48_30
; %bb.29:
	ds_write_b32 v8, v2 offset:392
.LBB48_30:
	s_or_b64 exec, exec, s[10:11]
	s_waitcnt lgkmcnt(0)
	s_barrier
	s_and_saveexec_b64 s[10:11], s[0:1]
	s_cbranch_execz .LBB48_32
; %bb.31:
	ds_read_b32 v2, v9 offset:392
.LBB48_32:
	s_or_b64 exec, exec, s[10:11]
	s_waitcnt lgkmcnt(0)
	ds_bpermute_b32 v3, v91, v2
	s_waitcnt lgkmcnt(0)
	v_add_f32_e32 v2, v2, v3
	ds_bpermute_b32 v5, v10, v2
	s_and_saveexec_b64 s[0:1], s[6:7]
	s_cbranch_execz .LBB48_45
; %bb.33:
	s_waitcnt lgkmcnt(0)
	v_add_f32_e32 v2, 0x358637bd, v5
	v_div_scale_f32 v3, s[6:7], v2, v2, 1.0
	v_rcp_f32_e32 v8, v3
	v_div_scale_f32 v9, vcc, 1.0, v2, 1.0
	s_movk_i32 s6, 0x7f
	v_fma_f32 v10, -v3, v8, 1.0
	v_fmac_f32_e32 v8, v10, v8
	v_mul_f32_e32 v10, v9, v8
	v_fma_f32 v11, -v3, v10, v9
	v_fmac_f32_e32 v10, v11, v8
	v_fma_f32 v3, -v3, v10, v9
	v_div_fmas_f32 v3, v3, v8, v10
	v_div_fixup_f32 v2, v3, v2, 1.0
	v_xad_u32 v3, v0, -1, s15
	v_subrev_u32_e32 v8, s49, v3
	v_cmp_lt_u32_e32 vcc, s6, v8
	s_mov_b64 s[10:11], -1
	v_mov_b32_e32 v3, v0
	s_and_saveexec_b64 s[6:7], vcc
	s_cbranch_execz .LBB48_42
; %bb.34:
	v_lshrrev_b32_e32 v8, 7, v8
	v_add_u32_e32 v10, -1, v8
	v_lshrrev_b32_e32 v9, 1, v10
	v_mov_b32_e32 v3, v2
	v_add_u32_e32 v9, 1, v9
	v_cmp_lt_u32_e32 vcc, 13, v10
	v_mov_b32_e32 v12, 0
	s_and_saveexec_b64 s[10:11], vcc
	s_cbranch_execz .LBB48_38
; %bb.35:
	v_mov_b32_e32 v11, 0x190
	v_and_b32_e32 v10, -8, v9
	v_lshl_add_u32 v11, v0, 2, v11
	s_mov_b32 s15, 0
	s_mov_b64 s[38:39], 0
.LBB48_36:                              ; =>This Inner Loop Header: Depth=1
	ds_read2st64_b32 v[12:13], v11 offset1:2
	ds_read2st64_b32 v[14:15], v11 offset0:4 offset1:6
	ds_read2st64_b32 v[16:17], v11 offset0:8 offset1:10
	;; [unrolled: 1-line block ×3, first 2 shown]
	v_add_u32_e32 v10, -8, v10
	s_waitcnt lgkmcnt(3)
	v_pk_mul_f32 v[12:13], v[2:3], v[12:13]
	s_waitcnt lgkmcnt(2)
	v_pk_mul_f32 v[14:15], v[2:3], v[14:15]
	ds_write2st64_b32 v11, v12, v13 offset1:2
	ds_write2st64_b32 v11, v14, v15 offset0:4 offset1:6
	ds_read2st64_b32 v[14:15], v11 offset0:16 offset1:18
	s_waitcnt lgkmcnt(4)
	v_pk_mul_f32 v[12:13], v[2:3], v[16:17]
	ds_write2st64_b32 v11, v12, v13 offset0:8 offset1:10
	s_waitcnt lgkmcnt(4)
	v_pk_mul_f32 v[12:13], v[2:3], v[18:19]
	ds_write2st64_b32 v11, v12, v13 offset0:12 offset1:14
	ds_read2st64_b32 v[12:13], v11 offset0:20 offset1:22
	s_waitcnt lgkmcnt(3)
	v_pk_mul_f32 v[14:15], v[2:3], v[14:15]
	ds_read2st64_b32 v[16:17], v11 offset0:24 offset1:26
	ds_write2st64_b32 v11, v14, v15 offset0:16 offset1:18
	ds_read2st64_b32 v[14:15], v11 offset0:28 offset1:30
	s_waitcnt lgkmcnt(3)
	v_pk_mul_f32 v[12:13], v[2:3], v[12:13]
	ds_write2st64_b32 v11, v12, v13 offset0:20 offset1:22
	s_waitcnt lgkmcnt(3)
	v_pk_mul_f32 v[12:13], v[2:3], v[16:17]
	ds_write2st64_b32 v11, v12, v13 offset0:24 offset1:26
	s_waitcnt lgkmcnt(2)
	v_pk_mul_f32 v[12:13], v[2:3], v[14:15]
	s_add_i32 s15, s15, 16
	v_cmp_eq_u32_e32 vcc, 0, v10
	ds_write2st64_b32 v11, v12, v13 offset0:28 offset1:30
	v_add_u32_e32 v11, 0x2000, v11
	s_or_b64 s[38:39], vcc, s[38:39]
	v_mov_b32_e32 v12, s15
	s_andn2_b64 exec, exec, s[38:39]
	s_cbranch_execnz .LBB48_36
; %bb.37:
	s_or_b64 exec, exec, s[38:39]
.LBB48_38:
	s_or_b64 exec, exec, s[10:11]
	v_and_b32_e32 v9, 7, v9
	v_cmp_ne_u32_e32 vcc, 0, v9
	s_and_saveexec_b64 s[10:11], vcc
	s_cbranch_execz .LBB48_41
; %bb.39:
	v_lshlrev_b32_e32 v10, 9, v12
	s_movk_i32 s15, 0x190
	v_add3_u32 v10, v10, v6, s15
	s_mov_b64 s[38:39], 0
.LBB48_40:                              ; =>This Inner Loop Header: Depth=1
	ds_read2st64_b32 v[12:13], v10 offset1:2
	v_add_u32_e32 v9, -1, v9
	v_cmp_eq_u32_e32 vcc, 0, v9
	s_or_b64 s[38:39], vcc, s[38:39]
	s_waitcnt lgkmcnt(0)
	v_pk_mul_f32 v[12:13], v[2:3], v[12:13]
	ds_write2st64_b32 v10, v12, v13 offset1:2
	v_add_u32_e32 v10, 0x400, v10
	s_andn2_b64 exec, exec, s[38:39]
	s_cbranch_execnz .LBB48_40
.LBB48_41:
	s_or_b64 exec, exec, s[10:11]
	v_add_u32_e32 v8, 1, v8
	v_and_b32_e32 v9, 0x3fffffe, v8
	v_cmp_ne_u32_e32 vcc, v8, v9
	v_lshl_add_u32 v3, v9, 7, v0
	s_orn2_b64 s[10:11], vcc, exec
.LBB48_42:
	s_or_b64 exec, exec, s[6:7]
	s_and_b64 exec, exec, s[10:11]
	s_cbranch_execz .LBB48_45
; %bb.43:
	v_mov_b32_e32 v8, 0x190
	v_lshl_add_u32 v8, v3, 2, v8
	s_mov_b64 s[6:7], 0
.LBB48_44:                              ; =>This Inner Loop Header: Depth=1
	ds_read_b32 v9, v8
	v_add_u32_e32 v3, 0x80, v3
	v_cmp_le_i32_e32 vcc, s3, v3
	s_or_b64 s[6:7], vcc, s[6:7]
	s_waitcnt lgkmcnt(0)
	v_mul_f32_e32 v9, v2, v9
	ds_write_b32 v8, v9
	v_add_u32_e32 v8, 0x200, v8
	s_andn2_b64 exec, exec, s[6:7]
	s_cbranch_execnz .LBB48_44
.LBB48_45:
	s_or_b64 exec, exec, s[0:1]
	s_mul_i32 s0, s16, s28
	v_cmp_eq_u32_e32 vcc, 0, v0
	s_mul_i32 s6, s0, s5
	s_waitcnt lgkmcnt(0)
	s_barrier
	s_and_saveexec_b64 s[0:1], vcc
	s_cbranch_execz .LBB48_47
; %bb.46:
	s_ashr_i32 s7, s6, 31
	s_lshl_b64 s[10:11], s[6:7], 2
	s_add_u32 s5, s22, s10
	s_mul_i32 s2, s16, s2
	s_addc_u32 s7, s23, s11
	s_ashr_i32 s3, s2, 31
	s_lshl_b64 s[2:3], s[2:3], 2
	s_add_u32 s15, s5, s2
	s_addc_u32 s7, s7, s3
	s_ashr_i32 s5, s4, 31
	s_lshl_b64 s[22:23], s[4:5], 2
	s_add_u32 s38, s15, s22
	s_addc_u32 s39, s7, s23
	s_add_u32 s5, s20, s10
	s_addc_u32 s7, s21, s11
	;; [unrolled: 2-line block ×3, first 2 shown]
	s_add_u32 s2, s2, s22
	v_mov_b32_e32 v2, 0
	s_addc_u32 s3, s3, s23
	global_store_dword v2, v4, s[38:39]
	global_store_dword v2, v5, s[2:3]
.LBB48_47:
	s_or_b64 exec, exec, s[0:1]
	v_mov_b32_e32 v57, 0
	v_and_b32_e32 v92, 7, v0
	v_mov_b32_e32 v56, 0
	v_mov_b32_e32 v59, 0
	;; [unrolled: 1-line block ×11, first 2 shown]
	s_and_saveexec_b64 s[2:3], s[8:9]
	s_cbranch_execz .LBB48_77
; %bb.48:
	s_ashr_i32 s15, s14, 31
	s_sub_i32 s5, s48, s17
	s_lshl_b64 s[0:1], s[14:15], 2
	s_add_u32 s8, s36, s0
	s_addc_u32 s9, s37, s1
	s_abs_i32 s18, s18
	v_cvt_f32_u32_e32 v3, s18
	s_sub_i32 s0, 0, s18
	s_add_i32 s17, s12, -1
	v_and_b32_e32 v2, 0xfc, v6
	v_rcp_iflag_f32_e32 v3, v3
	v_and_b32_e32 v93, 28, v6
	v_mov_b32_e32 v67, 0
	v_or_b32_e32 v4, 0x400, v2
	v_mul_f32_e32 v3, 0x4f7ffffe, v3
	v_cvt_u32_f32_e32 v3, v3
	v_or_b32_e32 v6, 0x500, v2
	v_or_b32_e32 v8, 0x600, v2
	;; [unrolled: 1-line block ×3, first 2 shown]
	v_mul_lo_u32 v5, s0, v3
	v_mul_hi_u32 v5, v3, v5
	s_lshl_b64 s[0:1], s[34:35], 2
	v_add_u32_e32 v94, v3, v5
	s_add_u32 s0, s30, s0
	v_lshlrev_b32_e32 v3, 4, v92
	v_or_b32_e32 v12, 0x800, v2
	v_or_b32_e32 v14, 0x900, v2
	;; [unrolled: 1-line block ×4, first 2 shown]
	s_addc_u32 s1, s31, s1
	v_lshl_or_b32 v3, v7, 7, v3
	s_mov_b32 s7, s13
	v_lshl_add_u64 v[70:71], v[54:55], 2, s[0:1]
	v_add_u32_e32 v55, 0x190, v3
	s_mov_b64 s[10:11], 0
	v_lshlrev_b32_e32 v72, 2, v2
	v_lshlrev_b32_e32 v66, 2, v4
	;; [unrolled: 1-line block ×9, first 2 shown]
	v_mov_b32_e32 v57, v67
	v_mov_b32_e32 v56, v67
	;; [unrolled: 1-line block ×12, first 2 shown]
	s_branch .LBB48_51
.LBB48_49:                              ;   in Loop: Header=BB48_51 Depth=1
	s_or_b64 exec, exec, s[0:1]
	s_waitcnt vmcnt(1) lgkmcnt(0)
	v_mul_f32_e32 v51, v3, v51
	v_mul_f32_e32 v47, v3, v47
	;; [unrolled: 1-line block ×11, first 2 shown]
	s_waitcnt vmcnt(0)
	v_mul_f32_e32 v3, v3, v43
	v_fmac_f32_e32 v51, v2, v50
	v_fmac_f32_e32 v47, v2, v46
	;; [unrolled: 1-line block ×36, first 2 shown]
	v_add_f32_e32 v56, v56, v51
	v_add_f32_e32 v59, v59, v47
	;; [unrolled: 1-line block ×12, first 2 shown]
.LBB48_50:                              ;   in Loop: Header=BB48_51 Depth=1
	s_or_b64 exec, exec, s[12:13]
	v_add_u32_e32 v54, 2, v54
	v_cmp_le_i32_e32 vcc, s47, v54
	v_lshl_add_u64 v[70:71], v[70:71], 0, 8
	v_add_u32_e32 v1, 64, v1
	s_or_b64 s[10:11], vcc, s[10:11]
	v_add_u32_e32 v55, 0x100, v55
	s_andn2_b64 exec, exec, s[10:11]
	s_cbranch_execz .LBB48_76
.LBB48_51:                              ; =>This Inner Loop Header: Depth=1
	v_sub_u32_e32 v3, 0, v1
	v_max_i32_e32 v3, v1, v3
	v_mul_hi_u32 v4, v3, s33
	v_mul_lo_u32 v5, v4, s25
	v_sub_u32_e32 v3, v3, v5
	v_add_u32_e32 v5, 1, v4
	v_cmp_le_u32_e32 vcc, s25, v3
	v_ashrrev_i32_e32 v2, 31, v1
	v_xor_b32_e32 v2, s19, v2
	v_cndmask_b32_e32 v4, v4, v5, vcc
	v_subrev_u32_e32 v5, s25, v3
	v_cndmask_b32_e32 v3, v3, v5, vcc
	v_add_u32_e32 v5, 1, v4
	v_cmp_le_u32_e32 vcc, s25, v3
	s_nop 1
	v_cndmask_b32_e32 v3, v4, v5, vcc
	v_xor_b32_e32 v3, v3, v2
	v_sub_u32_e32 v2, v3, v2
	v_add_u32_e32 v3, s46, v2
	v_sub_u32_e32 v5, 0, v3
	v_ashrrev_i32_e32 v4, 31, v3
	v_max_i32_e32 v3, v3, v5
	v_mul_hi_u32 v5, v3, v94
	v_mul_lo_u32 v5, v5, s18
	v_sub_u32_e32 v3, v3, v5
	v_subrev_u32_e32 v5, s18, v3
	v_cmp_le_u32_e32 vcc, s18, v3
	v_cmp_lt_i32_e64 s[0:1], s5, v2
	s_nop 0
	v_cndmask_b32_e32 v3, v3, v5, vcc
	v_subrev_u32_e32 v5, s18, v3
	v_cmp_le_u32_e32 vcc, s18, v3
	s_nop 1
	v_cndmask_b32_e32 v3, v3, v5, vcc
	v_xor_b32_e32 v3, v3, v4
	v_sub_u32_e32 v3, v3, v4
	v_cmp_eq_u32_e32 vcc, 0, v3
	s_or_b64 s[0:1], vcc, s[0:1]
	s_and_saveexec_b64 s[12:13], s[0:1]
	s_cbranch_execz .LBB48_50
; %bb.52:                               ;   in Loop: Header=BB48_51 Depth=1
	global_load_dword v2, v[70:71], off
	v_mov_b32_e32 v73, v67
	v_cmp_eq_u32_e32 vcc, s17, v54
	s_waitcnt vmcnt(0)
	v_mad_i64_i32 v[2:3], s[0:1], v2, s7, 0
	v_lshl_add_u64 v[42:43], v[2:3], 2, s[8:9]
	v_lshl_add_u64 v[18:19], v[42:43], 0, v[72:73]
	global_load_dwordx4 v[6:9], v[18:19], off
	ds_read_b128 v[2:5], v55
	v_add_u32_e32 v73, v93, v1
	v_add_u32_e32 v97, 1, v73
	;; [unrolled: 1-line block ×4, first 2 shown]
	s_and_saveexec_b64 s[14:15], vcc
	s_cbranch_execnz .LBB48_73
; %bb.53:                               ;   in Loop: Header=BB48_51 Depth=1
	s_or_b64 exec, exec, s[14:15]
	global_load_dwordx4 v[10:13], v[18:19], off offset:1024
	s_and_saveexec_b64 s[14:15], vcc
	s_cbranch_execnz .LBB48_74
.LBB48_54:                              ;   in Loop: Header=BB48_51 Depth=1
	s_or_b64 exec, exec, s[14:15]
	global_load_dwordx4 v[14:17], v[18:19], off offset:2048
	s_and_saveexec_b64 s[14:15], vcc
	s_cbranch_execnz .LBB48_75
.LBB48_55:                              ;   in Loop: Header=BB48_51 Depth=1
	s_or_b64 exec, exec, s[14:15]
	global_load_dwordx4 v[18:21], v[18:19], off offset:3072
	s_and_saveexec_b64 s[14:15], vcc
	s_cbranch_execz .LBB48_57
.LBB48_56:                              ;   in Loop: Header=BB48_51 Depth=1
	v_cmp_gt_i32_e64 s[0:1], s29, v73
	s_waitcnt vmcnt(0)
	s_nop 0
	v_cndmask_b32_e64 v18, 0, v18, s[0:1]
	v_cmp_gt_i32_e64 s[0:1], s29, v97
	s_nop 1
	v_cndmask_b32_e64 v19, 0, v19, s[0:1]
	v_cmp_gt_i32_e64 s[0:1], s29, v96
	s_nop 1
	v_cndmask_b32_e64 v20, 0, v20, s[0:1]
	v_cmp_gt_i32_e64 s[0:1], s29, v95
	s_nop 1
	v_cndmask_b32_e64 v21, 0, v21, s[0:1]
.LBB48_57:                              ;   in Loop: Header=BB48_51 Depth=1
	s_or_b64 exec, exec, s[14:15]
	v_lshl_add_u64 v[22:23], v[42:43], 0, v[66:67]
	global_load_dwordx4 v[22:25], v[22:23], off
	s_and_saveexec_b64 s[14:15], vcc
	s_cbranch_execz .LBB48_59
; %bb.58:                               ;   in Loop: Header=BB48_51 Depth=1
	v_cmp_gt_i32_e64 s[0:1], s29, v73
	s_waitcnt vmcnt(0)
	s_nop 0
	v_cndmask_b32_e64 v22, 0, v22, s[0:1]
	v_cmp_gt_i32_e64 s[0:1], s29, v97
	s_nop 1
	v_cndmask_b32_e64 v23, 0, v23, s[0:1]
	v_cmp_gt_i32_e64 s[0:1], s29, v96
	s_nop 1
	v_cndmask_b32_e64 v24, 0, v24, s[0:1]
	v_cmp_gt_i32_e64 s[0:1], s29, v95
	s_nop 1
	v_cndmask_b32_e64 v25, 0, v25, s[0:1]
.LBB48_59:                              ;   in Loop: Header=BB48_51 Depth=1
	s_or_b64 exec, exec, s[14:15]
	v_mov_b32_e32 v75, v67
	v_lshl_add_u64 v[26:27], v[42:43], 0, v[74:75]
	global_load_dwordx4 v[26:29], v[26:27], off
	s_and_saveexec_b64 s[14:15], vcc
	s_cbranch_execz .LBB48_61
; %bb.60:                               ;   in Loop: Header=BB48_51 Depth=1
	v_cmp_gt_i32_e64 s[0:1], s29, v73
	s_waitcnt vmcnt(0)
	s_nop 0
	v_cndmask_b32_e64 v26, 0, v26, s[0:1]
	v_cmp_gt_i32_e64 s[0:1], s29, v97
	s_nop 1
	v_cndmask_b32_e64 v27, 0, v27, s[0:1]
	v_cmp_gt_i32_e64 s[0:1], s29, v96
	s_nop 1
	v_cndmask_b32_e64 v28, 0, v28, s[0:1]
	v_cmp_gt_i32_e64 s[0:1], s29, v95
	s_nop 1
	v_cndmask_b32_e64 v29, 0, v29, s[0:1]
.LBB48_61:                              ;   in Loop: Header=BB48_51 Depth=1
	s_or_b64 exec, exec, s[14:15]
	v_mov_b32_e32 v77, v67
	;; [unrolled: 21-line block ×7, first 2 shown]
	v_lshl_add_u64 v[42:43], v[42:43], 0, v[86:87]
	global_load_dwordx4 v[42:45], v[42:43], off
	s_and_saveexec_b64 s[0:1], vcc
	s_cbranch_execz .LBB48_49
; %bb.72:                               ;   in Loop: Header=BB48_51 Depth=1
	v_cmp_gt_i32_e32 vcc, s29, v73
	s_waitcnt vmcnt(0)
	s_nop 0
	v_cndmask_b32_e32 v42, 0, v42, vcc
	v_cmp_gt_i32_e32 vcc, s29, v97
	s_nop 1
	v_cndmask_b32_e32 v43, 0, v43, vcc
	v_cmp_gt_i32_e32 vcc, s29, v96
	;; [unrolled: 3-line block ×3, first 2 shown]
	s_nop 1
	v_cndmask_b32_e32 v45, 0, v45, vcc
	s_branch .LBB48_49
.LBB48_73:                              ;   in Loop: Header=BB48_51 Depth=1
	v_cmp_gt_i32_e64 s[0:1], s29, v73
	s_waitcnt vmcnt(0)
	s_nop 0
	v_cndmask_b32_e64 v6, 0, v6, s[0:1]
	v_cmp_gt_i32_e64 s[0:1], s29, v97
	s_nop 1
	v_cndmask_b32_e64 v7, 0, v7, s[0:1]
	v_cmp_gt_i32_e64 s[0:1], s29, v96
	;; [unrolled: 3-line block ×3, first 2 shown]
	s_nop 1
	v_cndmask_b32_e64 v9, 0, v9, s[0:1]
	s_or_b64 exec, exec, s[14:15]
	global_load_dwordx4 v[10:13], v[18:19], off offset:1024
	s_and_saveexec_b64 s[14:15], vcc
	s_cbranch_execz .LBB48_54
.LBB48_74:                              ;   in Loop: Header=BB48_51 Depth=1
	v_cmp_gt_i32_e64 s[0:1], s29, v73
	s_waitcnt vmcnt(0)
	s_nop 0
	v_cndmask_b32_e64 v10, 0, v10, s[0:1]
	v_cmp_gt_i32_e64 s[0:1], s29, v97
	s_nop 1
	v_cndmask_b32_e64 v11, 0, v11, s[0:1]
	v_cmp_gt_i32_e64 s[0:1], s29, v96
	;; [unrolled: 3-line block ×3, first 2 shown]
	s_nop 1
	v_cndmask_b32_e64 v13, 0, v13, s[0:1]
	s_or_b64 exec, exec, s[14:15]
	global_load_dwordx4 v[14:17], v[18:19], off offset:2048
	s_and_saveexec_b64 s[14:15], vcc
	s_cbranch_execz .LBB48_55
.LBB48_75:                              ;   in Loop: Header=BB48_51 Depth=1
	v_cmp_gt_i32_e64 s[0:1], s29, v73
	s_waitcnt vmcnt(0)
	s_nop 0
	v_cndmask_b32_e64 v14, 0, v14, s[0:1]
	v_cmp_gt_i32_e64 s[0:1], s29, v97
	s_nop 1
	v_cndmask_b32_e64 v15, 0, v15, s[0:1]
	v_cmp_gt_i32_e64 s[0:1], s29, v96
	;; [unrolled: 3-line block ×3, first 2 shown]
	s_nop 1
	v_cndmask_b32_e64 v17, 0, v17, s[0:1]
	s_or_b64 exec, exec, s[14:15]
	global_load_dwordx4 v[18:21], v[18:19], off offset:3072
	s_and_saveexec_b64 s[14:15], vcc
	s_cbranch_execnz .LBB48_56
	s_branch .LBB48_57
.LBB48_76:
	s_or_b64 exec, exec, s[10:11]
.LBB48_77:
	s_or_b64 exec, exec, s[2:3]
	ds_bpermute_b32 v2, v89, v68
	ds_bpermute_b32 v3, v89, v69
	;; [unrolled: 1-line block ×6, first 2 shown]
	s_waitcnt lgkmcnt(4)
	v_pk_add_f32 v[2:3], v[68:69], v[2:3]
	ds_bpermute_b32 v6, v90, v2
	ds_bpermute_b32 v7, v90, v3
	s_waitcnt lgkmcnt(4)
	v_pk_add_f32 v[10:11], v[62:63], v[10:11]
	ds_bpermute_b32 v12, v90, v10
	ds_bpermute_b32 v13, v90, v11
	;; [unrolled: 1-line block ×3, first 2 shown]
	s_waitcnt lgkmcnt(3)
	v_pk_add_f32 v[2:3], v[2:3], v[6:7]
	ds_bpermute_b32 v6, v91, v2
	ds_bpermute_b32 v7, v91, v3
	;; [unrolled: 1-line block ×3, first 2 shown]
	v_pk_add_f32 v[4:5], v[64:65], v[4:5]
	ds_bpermute_b32 v8, v90, v4
	ds_bpermute_b32 v9, v90, v5
	s_waitcnt lgkmcnt(3)
	v_pk_add_f32 v[2:3], v[2:3], v[6:7]
	ds_bpermute_b32 v6, v89, v60
	ds_bpermute_b32 v7, v89, v61
	v_pk_add_f32 v[12:13], v[10:11], v[12:13]
	s_waitcnt lgkmcnt(4)
	v_pk_add_f32 v[10:11], v[58:59], v[16:17]
	ds_bpermute_b32 v20, v89, v56
	ds_bpermute_b32 v21, v89, v57
	s_waitcnt lgkmcnt(2)
	v_pk_add_f32 v[6:7], v[60:61], v[6:7]
	ds_bpermute_b32 v14, v90, v6
	ds_bpermute_b32 v15, v90, v7
	v_pk_add_f32 v[4:5], v[4:5], v[8:9]
	s_waitcnt lgkmcnt(2)
	v_pk_add_f32 v[20:21], v[56:57], v[20:21]
	ds_bpermute_b32 v8, v91, v4
	ds_bpermute_b32 v9, v91, v5
	s_waitcnt lgkmcnt(2)
	v_pk_add_f32 v[6:7], v[6:7], v[14:15]
	ds_bpermute_b32 v14, v90, v10
	ds_bpermute_b32 v15, v90, v11
	;; [unrolled: 1-line block ×6, first 2 shown]
	s_waitcnt lgkmcnt(4)
	v_pk_add_f32 v[14:15], v[10:11], v[14:15]
	ds_bpermute_b32 v22, v91, v14
	ds_bpermute_b32 v23, v91, v15
	;; [unrolled: 1-line block ×4, first 2 shown]
	v_pk_add_f32 v[10:11], v[4:5], v[8:9]
	s_waitcnt lgkmcnt(6)
	v_pk_add_f32 v[8:9], v[12:13], v[18:19]
	s_waitcnt lgkmcnt(4)
	;; [unrolled: 2-line block ×3, first 2 shown]
	v_pk_add_f32 v[4:5], v[14:15], v[22:23]
	ds_bpermute_b32 v14, v91, v12
	ds_bpermute_b32 v15, v91, v13
	v_and_b32_e32 v1, 0x3c7, v0
	s_waitcnt lgkmcnt(2)
	v_pk_add_f32 v[6:7], v[6:7], v[16:17]
	v_cmp_ne_u32_e32 vcc, 64, v1
	s_waitcnt lgkmcnt(0)
	s_barrier
	s_and_saveexec_b64 s[0:1], vcc
	s_xor_b64 s[0:1], exec, s[0:1]
; %bb.78:
                                        ; implicit-def: $vgpr88
; %bb.79:
	s_or_saveexec_b64 s[0:1], s[0:1]
	v_pk_add_f32 v[12:13], v[12:13], v[14:15]
	s_xor_b64 exec, exec, s[0:1]
	s_cbranch_execz .LBB48_81
; %bb.80:
	v_lshrrev_b32_e32 v14, 1, v88
	v_add_u32_e32 v14, 0x190, v14
	ds_write2_b32 v14, v2, v3 offset1:8
	ds_write2_b32 v14, v10, v11 offset0:16 offset1:24
	ds_write2_b32 v14, v8, v9 offset0:32 offset1:40
	;; [unrolled: 1-line block ×5, first 2 shown]
.LBB48_81:
	s_or_b64 exec, exec, s[0:1]
	v_cmp_gt_u32_e32 vcc, 64, v0
	s_waitcnt lgkmcnt(0)
	s_barrier
	s_and_saveexec_b64 s[0:1], vcc
	s_cbranch_execz .LBB48_96
; %bb.82:
	v_cmp_eq_u32_e32 vcc, 0, v92
	v_lshrrev_b32_e32 v14, 3, v0
	s_and_saveexec_b64 s[2:3], vcc
	s_cbranch_execnz .LBB48_99
; %bb.83:
	s_or_b64 exec, exec, s[2:3]
	s_and_saveexec_b64 s[2:3], vcc
	s_cbranch_execnz .LBB48_100
.LBB48_84:
	s_or_b64 exec, exec, s[2:3]
	s_and_saveexec_b64 s[2:3], vcc
	s_cbranch_execnz .LBB48_101
.LBB48_85:
	s_or_b64 exec, exec, s[2:3]
	s_and_saveexec_b64 s[2:3], vcc
	s_cbranch_execnz .LBB48_102
.LBB48_86:
	s_or_b64 exec, exec, s[2:3]
	s_and_saveexec_b64 s[2:3], vcc
	s_cbranch_execnz .LBB48_103
.LBB48_87:
	s_or_b64 exec, exec, s[2:3]
	s_and_saveexec_b64 s[2:3], vcc
	s_cbranch_execnz .LBB48_104
.LBB48_88:
	s_or_b64 exec, exec, s[2:3]
	s_and_saveexec_b64 s[2:3], vcc
	s_cbranch_execnz .LBB48_105
.LBB48_89:
	s_or_b64 exec, exec, s[2:3]
	s_and_saveexec_b64 s[2:3], vcc
	s_cbranch_execnz .LBB48_106
.LBB48_90:
	s_or_b64 exec, exec, s[2:3]
	s_and_saveexec_b64 s[2:3], vcc
	s_cbranch_execnz .LBB48_107
.LBB48_91:
	s_or_b64 exec, exec, s[2:3]
	s_and_saveexec_b64 s[2:3], vcc
	s_cbranch_execnz .LBB48_108
.LBB48_92:
	s_or_b64 exec, exec, s[2:3]
	s_and_saveexec_b64 s[2:3], vcc
	s_cbranch_execnz .LBB48_109
.LBB48_93:
	s_or_b64 exec, exec, s[2:3]
	s_and_saveexec_b64 s[2:3], vcc
	s_cbranch_execz .LBB48_95
.LBB48_94:
	v_mov_b32_e32 v15, 0x190
	v_lshl_add_u32 v14, v14, 2, v15
	ds_read_b32 v14, v14 offset:352
	s_waitcnt lgkmcnt(0)
	v_add_f32_e32 v13, v13, v14
.LBB48_95:
	s_or_b64 exec, exec, s[2:3]
.LBB48_96:
	s_or_b64 exec, exec, s[0:1]
	v_cmp_eq_u32_e32 vcc, 0, v1
	s_barrier
	s_and_saveexec_b64 s[0:1], vcc
	s_cbranch_execz .LBB48_98
; %bb.97:
	s_mul_i32 s0, s6, 0x60
	s_ashr_i32 s1, s0, 31
	s_lshl_b64 s[0:1], s[0:1], 2
	s_add_u32 s2, s26, s0
	s_mul_i32 s0, s16, s24
	s_addc_u32 s3, s27, s1
	s_ashr_i32 s1, s0, 31
	s_lshl_b64 s[0:1], s[0:1], 2
	s_add_u32 s2, s2, s0
	s_mul_i32 s0, s4, 0x60
	s_addc_u32 s3, s3, s1
	s_ashr_i32 s1, s0, 31
	s_lshl_b64 s[0:1], s[0:1], 2
	s_add_u32 s0, s2, s0
	s_addc_u32 s1, s3, s1
	v_lshrrev_b32_e32 v0, 1, v0
	global_store_dword v0, v2, s[0:1]
	global_store_dword v0, v3, s[0:1] offset:32
	global_store_dword v0, v10, s[0:1] offset:64
	;; [unrolled: 1-line block ×11, first 2 shown]
.LBB48_98:
	s_endpgm
.LBB48_99:
	v_mov_b32_e32 v15, 0x190
	v_lshl_add_u32 v15, v14, 2, v15
	ds_read_b32 v15, v15
	s_waitcnt lgkmcnt(0)
	v_add_f32_e32 v2, v2, v15
	s_or_b64 exec, exec, s[2:3]
	s_and_saveexec_b64 s[2:3], vcc
	s_cbranch_execz .LBB48_84
.LBB48_100:
	v_mov_b32_e32 v15, 0x190
	v_lshl_add_u32 v15, v14, 2, v15
	ds_read_b32 v15, v15 offset:32
	s_waitcnt lgkmcnt(0)
	v_add_f32_e32 v3, v3, v15
	s_or_b64 exec, exec, s[2:3]
	s_and_saveexec_b64 s[2:3], vcc
	s_cbranch_execz .LBB48_85
.LBB48_101:
	v_mov_b32_e32 v15, 0x190
	v_lshl_add_u32 v15, v14, 2, v15
	ds_read_b32 v15, v15 offset:64
	s_waitcnt lgkmcnt(0)
	v_add_f32_e32 v10, v10, v15
	s_or_b64 exec, exec, s[2:3]
	s_and_saveexec_b64 s[2:3], vcc
	s_cbranch_execz .LBB48_86
.LBB48_102:
	v_mov_b32_e32 v15, 0x190
	v_lshl_add_u32 v15, v14, 2, v15
	ds_read_b32 v15, v15 offset:96
	s_waitcnt lgkmcnt(0)
	v_add_f32_e32 v11, v11, v15
	s_or_b64 exec, exec, s[2:3]
	s_and_saveexec_b64 s[2:3], vcc
	s_cbranch_execz .LBB48_87
.LBB48_103:
	v_mov_b32_e32 v15, 0x190
	v_lshl_add_u32 v15, v14, 2, v15
	ds_read_b32 v15, v15 offset:128
	s_waitcnt lgkmcnt(0)
	v_add_f32_e32 v8, v8, v15
	s_or_b64 exec, exec, s[2:3]
	s_and_saveexec_b64 s[2:3], vcc
	s_cbranch_execz .LBB48_88
.LBB48_104:
	v_mov_b32_e32 v15, 0x190
	v_lshl_add_u32 v15, v14, 2, v15
	ds_read_b32 v15, v15 offset:160
	s_waitcnt lgkmcnt(0)
	v_add_f32_e32 v9, v9, v15
	s_or_b64 exec, exec, s[2:3]
	s_and_saveexec_b64 s[2:3], vcc
	s_cbranch_execz .LBB48_89
.LBB48_105:
	v_mov_b32_e32 v15, 0x190
	v_lshl_add_u32 v15, v14, 2, v15
	ds_read_b32 v15, v15 offset:192
	s_waitcnt lgkmcnt(0)
	v_add_f32_e32 v6, v6, v15
	s_or_b64 exec, exec, s[2:3]
	s_and_saveexec_b64 s[2:3], vcc
	s_cbranch_execz .LBB48_90
.LBB48_106:
	v_mov_b32_e32 v15, 0x190
	v_lshl_add_u32 v15, v14, 2, v15
	ds_read_b32 v15, v15 offset:224
	s_waitcnt lgkmcnt(0)
	v_add_f32_e32 v7, v7, v15
	s_or_b64 exec, exec, s[2:3]
	s_and_saveexec_b64 s[2:3], vcc
	s_cbranch_execz .LBB48_91
.LBB48_107:
	v_mov_b32_e32 v15, 0x190
	v_lshl_add_u32 v15, v14, 2, v15
	ds_read_b32 v15, v15 offset:256
	s_waitcnt lgkmcnt(0)
	v_add_f32_e32 v4, v4, v15
	s_or_b64 exec, exec, s[2:3]
	s_and_saveexec_b64 s[2:3], vcc
	s_cbranch_execz .LBB48_92
.LBB48_108:
	v_mov_b32_e32 v15, 0x190
	v_lshl_add_u32 v15, v14, 2, v15
	ds_read_b32 v15, v15 offset:288
	s_waitcnt lgkmcnt(0)
	v_add_f32_e32 v5, v5, v15
	s_or_b64 exec, exec, s[2:3]
	s_and_saveexec_b64 s[2:3], vcc
	s_cbranch_execz .LBB48_93
.LBB48_109:
	v_mov_b32_e32 v15, 0x190
	v_lshl_add_u32 v15, v14, 2, v15
	ds_read_b32 v15, v15 offset:320
	s_waitcnt lgkmcnt(0)
	v_add_f32_e32 v12, v12, v15
	s_or_b64 exec, exec, s[2:3]
	s_and_saveexec_b64 s[2:3], vcc
	s_cbranch_execnz .LBB48_94
	s_branch .LBB48_95
	.section	.rodata,"a",@progbits
	.p2align	6, 0x0
	.amdhsa_kernel _ZN4vllm25paged_attention_v2_kernelIffLi96ELi32ELi128ELNS_18Fp8KVCacheDataTypeE0ELb1ELi512EEEvPfS2_PT_PKS3_PKT0_S9_ifPKiSB_iPKfiiiSD_SD_iiiii
		.amdhsa_group_segment_fixed_size 400
		.amdhsa_private_segment_fixed_size 0
		.amdhsa_kernarg_size 400
		.amdhsa_user_sgpr_count 2
		.amdhsa_user_sgpr_dispatch_ptr 0
		.amdhsa_user_sgpr_queue_ptr 0
		.amdhsa_user_sgpr_kernarg_segment_ptr 1
		.amdhsa_user_sgpr_dispatch_id 0
		.amdhsa_user_sgpr_kernarg_preload_length 0
		.amdhsa_user_sgpr_kernarg_preload_offset 0
		.amdhsa_user_sgpr_private_segment_size 0
		.amdhsa_uses_dynamic_stack 0
		.amdhsa_enable_private_segment 0
		.amdhsa_system_sgpr_workgroup_id_x 1
		.amdhsa_system_sgpr_workgroup_id_y 1
		.amdhsa_system_sgpr_workgroup_id_z 1
		.amdhsa_system_sgpr_workgroup_info 0
		.amdhsa_system_vgpr_workitem_id 0
		.amdhsa_next_free_vgpr 106
		.amdhsa_next_free_sgpr 54
		.amdhsa_accum_offset 108
		.amdhsa_reserve_vcc 1
		.amdhsa_float_round_mode_32 0
		.amdhsa_float_round_mode_16_64 0
		.amdhsa_float_denorm_mode_32 3
		.amdhsa_float_denorm_mode_16_64 3
		.amdhsa_dx10_clamp 1
		.amdhsa_ieee_mode 1
		.amdhsa_fp16_overflow 0
		.amdhsa_tg_split 0
		.amdhsa_exception_fp_ieee_invalid_op 0
		.amdhsa_exception_fp_denorm_src 0
		.amdhsa_exception_fp_ieee_div_zero 0
		.amdhsa_exception_fp_ieee_overflow 0
		.amdhsa_exception_fp_ieee_underflow 0
		.amdhsa_exception_fp_ieee_inexact 0
		.amdhsa_exception_int_div_zero 0
	.end_amdhsa_kernel
	.section	.text._ZN4vllm25paged_attention_v2_kernelIffLi96ELi32ELi128ELNS_18Fp8KVCacheDataTypeE0ELb1ELi512EEEvPfS2_PT_PKS3_PKT0_S9_ifPKiSB_iPKfiiiSD_SD_iiiii,"axG",@progbits,_ZN4vllm25paged_attention_v2_kernelIffLi96ELi32ELi128ELNS_18Fp8KVCacheDataTypeE0ELb1ELi512EEEvPfS2_PT_PKS3_PKT0_S9_ifPKiSB_iPKfiiiSD_SD_iiiii,comdat
.Lfunc_end48:
	.size	_ZN4vllm25paged_attention_v2_kernelIffLi96ELi32ELi128ELNS_18Fp8KVCacheDataTypeE0ELb1ELi512EEEvPfS2_PT_PKS3_PKT0_S9_ifPKiSB_iPKfiiiSD_SD_iiiii, .Lfunc_end48-_ZN4vllm25paged_attention_v2_kernelIffLi96ELi32ELi128ELNS_18Fp8KVCacheDataTypeE0ELb1ELi512EEEvPfS2_PT_PKS3_PKT0_S9_ifPKiSB_iPKfiiiSD_SD_iiiii
                                        ; -- End function
	.section	.AMDGPU.csdata,"",@progbits
; Kernel info:
; codeLenInByte = 7388
; NumSgprs: 60
; NumVgprs: 106
; NumAgprs: 0
; TotalNumVgprs: 106
; ScratchSize: 0
; MemoryBound: 0
; FloatMode: 240
; IeeeMode: 1
; LDSByteSize: 400 bytes/workgroup (compile time only)
; SGPRBlocks: 7
; VGPRBlocks: 13
; NumSGPRsForWavesPerEU: 60
; NumVGPRsForWavesPerEU: 106
; AccumOffset: 108
; Occupancy: 4
; WaveLimiterHint : 1
; COMPUTE_PGM_RSRC2:SCRATCH_EN: 0
; COMPUTE_PGM_RSRC2:USER_SGPR: 2
; COMPUTE_PGM_RSRC2:TRAP_HANDLER: 0
; COMPUTE_PGM_RSRC2:TGID_X_EN: 1
; COMPUTE_PGM_RSRC2:TGID_Y_EN: 1
; COMPUTE_PGM_RSRC2:TGID_Z_EN: 1
; COMPUTE_PGM_RSRC2:TIDIG_COMP_CNT: 0
; COMPUTE_PGM_RSRC3_GFX90A:ACCUM_OFFSET: 26
; COMPUTE_PGM_RSRC3_GFX90A:TG_SPLIT: 0
	.section	.text._ZN4vllm25paged_attention_v2_kernelIffLi112ELi32ELi128ELNS_18Fp8KVCacheDataTypeE0ELb1ELi512EEEvPfS2_PT_PKS3_PKT0_S9_ifPKiSB_iPKfiiiSD_SD_iiiii,"axG",@progbits,_ZN4vllm25paged_attention_v2_kernelIffLi112ELi32ELi128ELNS_18Fp8KVCacheDataTypeE0ELb1ELi512EEEvPfS2_PT_PKS3_PKT0_S9_ifPKiSB_iPKfiiiSD_SD_iiiii,comdat
	.protected	_ZN4vllm25paged_attention_v2_kernelIffLi112ELi32ELi128ELNS_18Fp8KVCacheDataTypeE0ELb1ELi512EEEvPfS2_PT_PKS3_PKT0_S9_ifPKiSB_iPKfiiiSD_SD_iiiii ; -- Begin function _ZN4vllm25paged_attention_v2_kernelIffLi112ELi32ELi128ELNS_18Fp8KVCacheDataTypeE0ELb1ELi512EEEvPfS2_PT_PKS3_PKT0_S9_ifPKiSB_iPKfiiiSD_SD_iiiii
	.globl	_ZN4vllm25paged_attention_v2_kernelIffLi112ELi32ELi128ELNS_18Fp8KVCacheDataTypeE0ELb1ELi512EEEvPfS2_PT_PKS3_PKT0_S9_ifPKiSB_iPKfiiiSD_SD_iiiii
	.p2align	8
	.type	_ZN4vllm25paged_attention_v2_kernelIffLi112ELi32ELi128ELNS_18Fp8KVCacheDataTypeE0ELb1ELi512EEEvPfS2_PT_PKS3_PKT0_S9_ifPKiSB_iPKfiiiSD_SD_iiiii,@function
_ZN4vllm25paged_attention_v2_kernelIffLi112ELi32ELi128ELNS_18Fp8KVCacheDataTypeE0ELb1ELi512EEEvPfS2_PT_PKS3_PKT0_S9_ifPKiSB_iPKfiiiSD_SD_iiiii: ; @_ZN4vllm25paged_attention_v2_kernelIffLi112ELi32ELi128ELNS_18Fp8KVCacheDataTypeE0ELb1ELi512EEEvPfS2_PT_PKS3_PKT0_S9_ifPKiSB_iPKfiiiSD_SD_iiiii
; %bb.0:
	s_load_dwordx2 s[6:7], s[0:1], 0x40
	s_mov_b32 s28, s3
	s_ashr_i32 s29, s3, 31
	s_lshl_b64 s[8:9], s[28:29], 2
	s_waitcnt lgkmcnt(0)
	s_add_u32 s6, s6, s8
	s_addc_u32 s7, s7, s9
	s_load_dword s29, s[6:7], 0x0
	s_lshl_b32 s49, s4, 9
	s_waitcnt lgkmcnt(0)
	s_cmp_ge_i32 s49, s29
	s_cbranch_scc1 .LBB49_104
; %bb.1:
	s_load_dword s5, s[0:1], 0x90
	s_load_dwordx2 s[38:39], s[0:1], 0x30
	s_waitcnt lgkmcnt(0)
	s_abs_i32 s7, s5
	s_abs_i32 s3, s38
	v_cvt_f32_u32_e32 v1, s3
	s_sub_i32 s8, 0, s3
	s_xor_b32 s6, s5, s38
	s_ashr_i32 s6, s6, 31
	v_rcp_iflag_f32_e32 v1, v1
	s_nop 0
	v_mul_f32_e32 v1, 0x4f7ffffe, v1
	v_cvt_u32_f32_e32 v1, v1
	s_nop 0
	v_readfirstlane_b32 s9, v1
	s_mul_i32 s8, s8, s9
	s_mul_hi_u32 s8, s9, s8
	s_add_i32 s9, s9, s8
	s_mul_hi_u32 s8, s7, s9
	s_mul_i32 s9, s8, s3
	s_sub_i32 s7, s7, s9
	s_add_i32 s10, s8, 1
	s_sub_i32 s9, s7, s3
	s_cmp_ge_u32 s7, s3
	s_cselect_b32 s8, s10, s8
	s_cselect_b32 s7, s9, s7
	s_add_i32 s9, s8, 1
	s_cmp_ge_u32 s7, s3
	s_cselect_b32 s3, s9, s8
	s_xor_b32 s3, s3, s6
	s_sub_i32 s12, s3, s6
	s_abs_i32 s8, s12
	v_cvt_f32_u32_e32 v1, s8
	s_load_dwordx2 s[6:7], s[0:1], 0x50
	s_sub_i32 s10, 0, s8
	s_abs_i32 s9, s2
	v_rcp_iflag_f32_e32 v1, v1
	s_mov_b32 s3, 0
	v_mul_f32_e32 v1, 0x4f7ffffe, v1
	v_cvt_u32_f32_e32 v1, v1
	s_nop 0
	v_readfirstlane_b32 s11, v1
	s_mul_i32 s10, s10, s11
	s_mul_hi_u32 s10, s11, s10
	s_add_i32 s11, s11, s10
	s_waitcnt lgkmcnt(0)
	s_cmp_eq_u64 s[6:7], 0
	s_mul_hi_u32 s10, s9, s11
	s_cbranch_scc1 .LBB49_3
; %bb.2:
	s_ashr_i32 s3, s2, 31
	s_lshl_b64 s[14:15], s[2:3], 2
	s_add_u32 s6, s6, s14
	s_addc_u32 s7, s7, s15
	s_load_dword s3, s[6:7], 0x0
.LBB49_3:
	s_ashr_i32 s16, s12, 31
	s_load_dwordx4 s[12:15], s[0:1], 0x58
	s_ashr_i32 s11, s2, 31
	v_and_b32_e32 v4, 1, v0
	s_mul_i32 s24, s2, 0x70
	v_cmp_gt_u32_e32 vcc, 56, v0
	v_lshlrev_b32_e32 v2, 3, v0
	v_lshlrev_b32_e32 v34, 2, v0
	s_and_saveexec_b64 s[6:7], vcc
	s_cbranch_execz .LBB49_5
; %bb.4:
	s_load_dwordx2 s[18:19], s[0:1], 0x18
	s_waitcnt lgkmcnt(0)
	s_mul_i32 s20, s28, s12
	s_ashr_i32 s21, s20, 31
	s_lshl_b64 s[20:21], s[20:21], 2
	v_and_b32_e32 v1, 0xff8, v34
	s_add_u32 s12, s18, s20
	s_addc_u32 s15, s19, s21
	s_ashr_i32 s25, s24, 31
	s_lshl_b64 s[18:19], s[24:25], 2
	s_add_u32 s18, s12, s18
	s_addc_u32 s19, s15, s19
	global_load_dwordx2 v[6:7], v2, s[18:19]
	s_movk_i32 s12, 0xe0
	v_mad_u32_u24 v1, v4, s12, v1
	s_waitcnt vmcnt(0)
	ds_write_b64 v1, v[6:7]
.LBB49_5:
	s_or_b64 exec, exec, s[6:7]
	s_mul_i32 s7, s10, s8
	s_sub_i32 s7, s9, s7
	s_xor_b32 s6, s11, s16
	s_add_i32 s9, s10, 1
	s_sub_i32 s11, s7, s8
	s_load_dwordx4 s[16:19], s[0:1], 0x78
	s_cmp_ge_u32 s7, s8
	s_cselect_b32 s9, s9, s10
	s_cselect_b32 s7, s11, s7
	s_load_dword s11, s[0:1], 0x88
	s_add_i32 s10, s9, 1
	s_cmp_ge_u32 s7, s8
	s_cselect_b32 s7, s10, s9
	s_waitcnt lgkmcnt(0)
	s_abs_i32 s25, s19
	v_cvt_f32_u32_e32 v1, s25
	s_xor_b32 s7, s7, s6
	s_sub_i32 s10, s7, s6
	s_sub_i32 s6, 0, s25
	v_rcp_iflag_f32_e32 v1, v1
	s_add_i32 s12, s29, -1
	s_abs_i32 s8, s12
	v_mul_f32_e32 v1, 0x4f7ffffe, v1
	v_cvt_u32_f32_e32 v1, v1
	s_barrier
	v_readfirstlane_b32 s33, v1
	s_mul_i32 s6, s6, s33
	s_mul_hi_u32 s6, s33, s6
	s_add_i32 s33, s33, s6
	s_cmp_lt_i32 s11, 0
	s_mul_hi_u32 s9, s8, s33
	s_cbranch_scc0 .LBB49_7
; %bb.6:
	s_mul_i32 s6, s16, s38
	s_add_i32 s6, s10, s6
	s_mul_i32 s6, s6, s11
	s_sub_i32 s46, 1, s6
	s_mov_b64 s[6:7], 0
	s_branch .LBB49_8
.LBB49_7:
	s_mov_b64 s[6:7], -1
                                        ; implicit-def: $sgpr46
.LBB49_8:
	s_load_dwordx2 s[30:31], s[0:1], 0x38
	s_ashr_i32 s12, s12, 31
	s_andn2_b64 vcc, exec, s[6:7]
	s_ashr_i32 s19, s19, 31
	s_cbranch_vccnz .LBB49_10
; %bb.9:
	s_mul_i32 s6, s5, s16
	s_add_i32 s6, s6, s2
	s_mul_i32 s6, s6, s11
	s_add_i32 s46, s6, 1
.LBB49_10:
	s_load_dword s6, s[0:1], 0x48
	s_load_dwordx2 s[36:37], s[0:1], 0x28
	s_load_dword s16, s[0:1], 0x98
	s_load_dwordx4 s[20:23], s[0:1], 0x0
	s_load_dwordx2 s[26:27], s[0:1], 0x10
	s_mul_i32 s7, s9, s25
	s_waitcnt lgkmcnt(0)
	s_mul_i32 s34, s28, s6
	s_sub_i32 s7, s8, s7
	s_ashr_i32 s35, s34, 31
	s_xor_b32 s6, s12, s19
	s_add_i32 s8, s9, 1
	s_sub_i32 s11, s7, s25
	s_cmp_ge_u32 s7, s25
	s_cselect_b32 s8, s8, s9
	s_cselect_b32 s7, s11, s7
	s_add_i32 s9, s8, 1
	s_cmp_ge_u32 s7, s25
	s_cselect_b32 s7, s9, s8
	s_xor_b32 s7, s7, s6
	s_sub_i32 s48, s7, s6
	s_add_i32 s6, s29, 31
	s_ashr_i32 s7, s6, 31
	s_lshr_b32 s7, s7, 27
	s_add_i32 s6, s6, s7
	s_lshl_b32 s38, s4, 4
	s_ashr_i32 s12, s6, 5
	s_add_i32 s6, s38, 16
	v_lshrrev_b32_e32 v35, 6, v0
	s_min_i32 s47, s6, s12
	v_or_b32_e32 v62, s38, v35
	v_cmp_gt_i32_e64 s[8:9], s47, v62
	v_mov_b32_e32 v39, 0xff7fffff
	s_mul_i32 s14, s10, s14
	v_ashrrev_i32_e32 v63, 31, v62
	v_lshl_add_u32 v1, v35, 5, s49
	v_mbcnt_lo_u32_b32 v36, -1, 0
	s_and_saveexec_b64 s[40:41], s[8:9]
	s_cbranch_execz .LBB49_20
; %bb.11:
	s_load_dwordx2 s[0:1], s[0:1], 0x20
	s_ashr_i32 s15, s14, 31
	s_sub_i32 s50, s48, s17
	s_lshl_b64 s[6:7], s[14:15], 2
	v_bfe_u32 v37, v0, 1, 5
	s_waitcnt lgkmcnt(0)
	s_add_u32 s0, s0, s6
	s_addc_u32 s1, s1, s7
	s_abs_i32 s15, s18
	v_cvt_f32_u32_e32 v3, s15
	v_lshlrev_b32_e32 v6, 4, v37
	v_mov_b32_e32 v7, 0
	v_lshlrev_b32_e32 v10, 2, v37
	v_rcp_iflag_f32_e32 v5, v3
	v_lshl_add_u64 v[8:9], s[0:1], 0, v[6:7]
	v_and_b32_e32 v6, 8, v2
	s_sub_i32 s0, 0, s15
	v_mul_f32_e32 v5, 0x4f7ffffe, v5
	v_cvt_u32_f32_e32 v5, v5
	v_cmp_eq_u32_e32 vcc, 0, v4
	v_lshl_add_u64 v[2:3], v[8:9], 0, v[6:7]
	v_mul_u32_u24_e32 v38, 0xe0, v4
	v_mul_lo_u32 v4, s0, v5
	s_lshl_b64 s[0:1], s[34:35], 2
	v_lshl_or_b32 v6, v35, 7, v10
	s_add_u32 s0, s30, s0
	v_add_u32_e32 v42, 0x1d0, v6
	v_subrev_u32_e32 v6, s29, v37
	v_mbcnt_hi_u32_b32 v45, -1, v36
	v_mul_hi_u32 v4, v5, v4
	s_addc_u32 s1, s31, s1
	v_add_u32_e32 v43, 1, v6
	v_and_b32_e32 v6, 64, v45
	s_mov_b32 s51, s13
	v_cmp_neq_f32_e64 s[6:7], s3, 0
	v_add_u32_e32 v40, v5, v4
	v_lshl_add_u64 v[4:5], v[62:63], 2, s[0:1]
	v_lshl_add_u32 v41, v35, 5, s49
	s_mov_b64 s[42:43], 0
	v_mov_b32_e32 v44, 0xff7fffff
	s_movk_i32 s52, 0x1000
	s_movk_i32 s53, 0x2000
	;; [unrolled: 1-line block ×3, first 2 shown]
	v_xor_b32_e32 v46, 1, v45
	v_add_u32_e32 v47, 64, v6
	v_mov_b32_e32 v39, 0xff7fffff
	v_mov_b32_e32 v48, v62
	s_branch .LBB49_14
.LBB49_12:                              ;   in Loop: Header=BB49_14 Depth=1
	s_or_b64 exec, exec, s[44:45]
.LBB49_13:                              ;   in Loop: Header=BB49_14 Depth=1
	s_or_b64 exec, exec, s[10:11]
	v_add_u32_e32 v48, 2, v48
	v_cmp_le_i32_e64 s[0:1], s47, v48
	v_lshl_add_u64 v[4:5], v[4:5], 0, 8
	v_add_u32_e32 v41, 64, v41
	s_or_b64 s[42:43], s[0:1], s[42:43]
	v_add_u32_e32 v42, 0x100, v42
	s_andn2_b64 exec, exec, s[42:43]
	s_cbranch_execz .LBB49_19
.LBB49_14:                              ; =>This Inner Loop Header: Depth=1
	s_waitcnt lgkmcnt(0)
	v_sub_u32_e32 v7, 0, v41
	v_max_i32_e32 v7, v41, v7
	v_mul_hi_u32 v8, v7, s33
	v_mul_lo_u32 v9, v8, s25
	v_sub_u32_e32 v7, v7, v9
	v_add_u32_e32 v9, 1, v8
	v_cmp_le_u32_e64 s[0:1], s25, v7
	v_ashrrev_i32_e32 v6, 31, v41
	v_xor_b32_e32 v6, s19, v6
	v_cndmask_b32_e64 v8, v8, v9, s[0:1]
	v_subrev_u32_e32 v9, s25, v7
	v_cndmask_b32_e64 v7, v7, v9, s[0:1]
	v_add_u32_e32 v9, 1, v8
	v_cmp_le_u32_e64 s[0:1], s25, v7
	s_nop 1
	v_cndmask_b32_e64 v7, v8, v9, s[0:1]
	v_xor_b32_e32 v7, v7, v6
	v_sub_u32_e32 v6, v7, v6
	v_add_u32_e32 v7, s46, v6
	v_sub_u32_e32 v9, 0, v7
	v_ashrrev_i32_e32 v8, 31, v7
	v_max_i32_e32 v7, v7, v9
	v_mul_hi_u32 v9, v7, v40
	v_mul_lo_u32 v9, v9, s15
	v_sub_u32_e32 v7, v7, v9
	v_subrev_u32_e32 v9, s15, v7
	v_cmp_le_u32_e64 s[0:1], s15, v7
	v_cmp_ge_i32_e64 s[10:11], s50, v6
	s_nop 0
	v_cndmask_b32_e64 v7, v7, v9, s[0:1]
	v_subrev_u32_e32 v9, s15, v7
	v_cmp_le_u32_e64 s[0:1], s15, v7
	s_nop 1
	v_cndmask_b32_e64 v7, v7, v9, s[0:1]
	v_xor_b32_e32 v7, v7, v8
	v_sub_u32_e32 v7, v7, v8
	v_cmp_ne_u32_e64 s[0:1], 0, v7
	s_and_b64 s[0:1], s[0:1], s[10:11]
	s_and_b64 s[44:45], vcc, s[0:1]
	s_and_saveexec_b64 s[10:11], s[44:45]
	s_cbranch_execz .LBB49_16
; %bb.15:                               ;   in Loop: Header=BB49_14 Depth=1
	ds_write_b32 v42, v44
.LBB49_16:                              ;   in Loop: Header=BB49_14 Depth=1
	s_or_b64 exec, exec, s[10:11]
	s_xor_b64 s[0:1], s[0:1], -1
	s_and_saveexec_b64 s[10:11], s[0:1]
	s_cbranch_execz .LBB49_13
; %bb.17:                               ;   in Loop: Header=BB49_14 Depth=1
	global_load_dword v6, v[4:5], off
	s_waitcnt vmcnt(0)
	v_mad_i64_i32 v[6:7], s[0:1], v6, s51, 0
	v_lshl_add_u64 v[16:17], v[6:7], 2, v[2:3]
	global_load_dwordx2 v[10:11], v[16:17], off offset:512
	global_load_dwordx2 v[18:19], v[16:17], off
	global_load_dwordx2 v[20:21], v[16:17], off offset:1024
	global_load_dwordx2 v[22:23], v[16:17], off offset:1536
	;; [unrolled: 1-line block ×6, first 2 shown]
	v_add_co_u32_e64 v60, s[0:1], s53, v16
	s_nop 1
	v_addc_co_u32_e64 v61, s[0:1], 0, v17, s[0:1]
	global_load_dwordx2 v[64:65], v[60:61], off offset:-4096
	v_add_co_u32_e64 v66, s[0:1], s52, v16
	s_nop 1
	v_addc_co_u32_e64 v67, s[0:1], 0, v17, s[0:1]
	global_load_dwordx2 v[68:69], v[66:67], off offset:512
	global_load_dwordx2 v[70:71], v[66:67], off offset:1024
	;; [unrolled: 1-line block ×4, first 2 shown]
	ds_read_b128 v[6:9], v38
	global_load_dwordx2 v[32:33], v[66:67], off offset:2560
	ds_read_b128 v[12:15], v38 offset:16
	ds_read_b128 v[24:27], v38 offset:32
	;; [unrolled: 1-line block ×3, first 2 shown]
	global_load_dwordx2 v[74:75], v[66:67], off offset:3072
	global_load_dwordx2 v[76:77], v[66:67], off offset:3584
	s_waitcnt vmcnt(15) lgkmcnt(3)
	v_mul_f32_e32 v49, v8, v10
	v_mul_f32_e32 v78, v9, v11
	s_waitcnt vmcnt(14)
	v_fmac_f32_e32 v49, v6, v18
	v_fmac_f32_e32 v78, v7, v19
	s_waitcnt vmcnt(13) lgkmcnt(2)
	v_fmac_f32_e32 v49, v12, v20
	v_fmac_f32_e32 v78, v13, v21
	global_load_dwordx2 v[12:13], v[60:61], off
	global_load_dwordx2 v[10:11], v[60:61], off offset:512
	global_load_dwordx2 v[8:9], v[60:61], off offset:1024
	;; [unrolled: 1-line block ×3, first 2 shown]
	s_waitcnt vmcnt(16)
	v_fmac_f32_e32 v49, v14, v22
	v_fmac_f32_e32 v78, v15, v23
	global_load_dwordx2 v[14:15], v[60:61], off offset:2048
	v_add_co_u32_e64 v22, s[0:1], s54, v16
	s_waitcnt vmcnt(16) lgkmcnt(1)
	v_fmac_f32_e32 v49, v24, v28
	v_addc_co_u32_e64 v23, s[0:1], 0, v17, s[0:1]
	global_load_dwordx2 v[20:21], v[60:61], off offset:2560
	global_load_dwordx2 v[18:19], v[60:61], off offset:3072
	;; [unrolled: 1-line block ×3, first 2 shown]
	v_fmac_f32_e32 v78, v25, v29
	global_load_dwordx2 v[24:25], v[22:23], off
	s_waitcnt vmcnt(19)
	v_fmac_f32_e32 v49, v26, v54
	v_fmac_f32_e32 v78, v27, v55
	global_load_dwordx2 v[28:29], v[22:23], off offset:512
	global_load_dwordx2 v[26:27], v[22:23], off offset:1024
	s_nop 0
	global_load_dwordx2 v[22:23], v[22:23], off offset:1536
	s_waitcnt vmcnt(21) lgkmcnt(0)
	v_fmac_f32_e32 v49, v50, v56
	v_fmac_f32_e32 v78, v51, v57
	ds_read_b128 v[54:57], v38 offset:64
	s_waitcnt vmcnt(20)
	v_fmac_f32_e32 v49, v52, v58
	v_fmac_f32_e32 v78, v53, v59
	ds_read_b128 v[50:53], v38 offset:80
	v_cmp_lt_i32_e64 s[0:1], v46, v47
	s_waitcnt vmcnt(19) lgkmcnt(1)
	v_fmac_f32_e32 v49, v54, v64
	v_fmac_f32_e32 v78, v55, v65
	s_waitcnt vmcnt(18)
	v_fmac_f32_e32 v49, v56, v68
	v_fmac_f32_e32 v78, v57, v69
	ds_read_b128 v[54:57], v38 offset:96
	ds_read_b128 v[58:61], v38 offset:112
	s_waitcnt vmcnt(17) lgkmcnt(2)
	v_fmac_f32_e32 v49, v50, v70
	v_fmac_f32_e32 v78, v51, v71
	s_waitcnt vmcnt(16)
	v_fmac_f32_e32 v49, v52, v72
	v_fmac_f32_e32 v78, v53, v73
	ds_read_b128 v[50:53], v38 offset:128
	ds_read_b128 v[64:67], v38 offset:144
	s_waitcnt vmcnt(15) lgkmcnt(3)
	v_fmac_f32_e32 v49, v54, v30
	v_fmac_f32_e32 v78, v55, v31
	s_waitcnt vmcnt(14)
	v_fmac_f32_e32 v49, v56, v32
	v_fmac_f32_e32 v78, v57, v33
	s_waitcnt vmcnt(13) lgkmcnt(2)
	v_fmac_f32_e32 v49, v58, v74
	v_fmac_f32_e32 v78, v59, v75
	s_waitcnt vmcnt(12)
	v_fmac_f32_e32 v49, v60, v76
	v_fmac_f32_e32 v78, v61, v77
	ds_read_b128 v[30:33], v38 offset:160
	ds_read_b128 v[54:57], v38 offset:176
	;; [unrolled: 1-line block ×4, first 2 shown]
	v_cndmask_b32_e64 v72, v45, v46, s[0:1]
	v_lshlrev_b32_e32 v72, 2, v72
	s_waitcnt vmcnt(11) lgkmcnt(5)
	v_fmac_f32_e32 v49, v50, v12
	v_fmac_f32_e32 v78, v51, v13
	s_waitcnt vmcnt(10)
	v_fmac_f32_e32 v49, v52, v10
	v_fmac_f32_e32 v78, v53, v11
	s_waitcnt vmcnt(9) lgkmcnt(4)
	v_fmac_f32_e32 v49, v64, v8
	v_fmac_f32_e32 v78, v65, v9
	s_waitcnt vmcnt(8)
	v_fmac_f32_e32 v49, v66, v6
	v_fmac_f32_e32 v78, v67, v7
	;; [unrolled: 6-line block ×6, first 2 shown]
	v_add_f32_e32 v6, v49, v78
	ds_bpermute_b32 v7, v72, v6
	s_and_saveexec_b64 s[44:45], vcc
	s_cbranch_execz .LBB49_12
; %bb.18:                               ;   in Loop: Header=BB49_14 Depth=1
	v_add_u32_e32 v8, v43, v41
	v_cvt_f32_i32_e32 v8, v8
	s_waitcnt lgkmcnt(0)
	v_add_f32_e32 v6, v6, v7
	v_add_u32_e32 v9, v37, v41
	v_cmp_gt_i32_e64 s[0:1], s29, v9
	v_mul_f32_e32 v7, s3, v8
	v_cndmask_b32_e64 v7, 0, v7, s[6:7]
	v_fmac_f32_e32 v7, s39, v6
	v_cndmask_b32_e64 v6, 0, v7, s[0:1]
	ds_write_b32 v42, v6
	v_max_f32_e32 v6, v39, v39
	v_max_f32_e32 v6, v6, v7
	v_cndmask_b32_e64 v39, v39, v6, s[0:1]
	s_branch .LBB49_12
.LBB49_19:
	s_or_b64 exec, exec, s[42:43]
.LBB49_20:
	s_or_b64 exec, exec, s[40:41]
	v_mbcnt_hi_u32_b32 v4, -1, v36
	v_and_b32_e32 v2, 64, v4
	v_add_u32_e32 v8, 64, v2
	v_xor_b32_e32 v2, 32, v4
	v_cmp_lt_i32_e32 vcc, v2, v8
	v_xor_b32_e32 v6, 16, v4
	v_max_f32_e32 v5, v39, v39
	v_cndmask_b32_e32 v2, v4, v2, vcc
	v_lshlrev_b32_e32 v2, 2, v2
	ds_bpermute_b32 v3, v2, v39
	v_cmp_lt_i32_e32 vcc, v6, v8
	s_waitcnt lgkmcnt(1)
	v_xor_b32_e32 v7, 8, v4
	v_xor_b32_e32 v9, 4, v4
	v_and_b32_e32 v102, 63, v0
	s_waitcnt lgkmcnt(0)
	v_max_f32_e32 v3, v3, v3
	v_max_f32_e32 v5, v5, v3
	v_cndmask_b32_e32 v3, v4, v6, vcc
	v_lshlrev_b32_e32 v3, 2, v3
	ds_bpermute_b32 v6, v3, v5
	v_cmp_lt_i32_e32 vcc, v7, v8
	s_waitcnt lgkmcnt(0)
	v_max_f32_e32 v6, v6, v6
	v_max_f32_e32 v6, v5, v6
	v_cndmask_b32_e32 v5, v4, v7, vcc
	v_lshlrev_b32_e32 v5, 2, v5
	ds_bpermute_b32 v7, v5, v6
	v_cmp_lt_i32_e32 vcc, v9, v8
	s_waitcnt lgkmcnt(0)
	v_max_f32_e32 v7, v7, v7
	v_max_f32_e32 v6, v6, v7
	v_cndmask_b32_e32 v7, v4, v9, vcc
	v_lshlrev_b32_e32 v104, 2, v7
	ds_bpermute_b32 v7, v104, v6
	v_xor_b32_e32 v9, 2, v4
	v_cmp_lt_i32_e32 vcc, v9, v8
	s_waitcnt lgkmcnt(0)
	v_max_f32_e32 v7, v7, v7
	v_max_f32_e32 v7, v6, v7
	v_cndmask_b32_e32 v6, v4, v9, vcc
	v_lshlrev_b32_e32 v103, 2, v6
	ds_bpermute_b32 v9, v103, v7
	v_cmp_eq_u32_e32 vcc, 0, v102
	v_lshlrev_b32_e32 v6, 2, v35
	s_and_saveexec_b64 s[0:1], vcc
	s_cbranch_execz .LBB49_22
; %bb.21:
	s_waitcnt lgkmcnt(0)
	v_max_f32_e32 v9, v9, v9
	v_max_f32_e32 v7, v7, v7
	;; [unrolled: 1-line block ×3, first 2 shown]
	ds_write_b32 v6, v7 offset:448
.LBB49_22:
	s_or_b64 exec, exec, s[0:1]
	v_cmp_gt_u32_e64 s[0:1], 2, v102
	s_waitcnt lgkmcnt(0)
	v_mov_b32_e32 v9, 0xff7fffff
	v_lshlrev_b32_e32 v7, 2, v102
	s_barrier
	s_and_saveexec_b64 s[6:7], s[0:1]
	s_cbranch_execz .LBB49_24
; %bb.23:
	ds_read_b32 v9, v7 offset:448
.LBB49_24:
	s_or_b64 exec, exec, s[6:7]
	v_xor_b32_e32 v10, 1, v4
	v_cmp_lt_i32_e64 s[6:7], v10, v8
	s_sub_i32 s3, s47, s38
	s_lshl_b32 s3, s3, 5
	v_cndmask_b32_e64 v8, v4, v10, s[6:7]
	v_lshlrev_b32_e32 v105, 2, v8
	s_waitcnt lgkmcnt(0)
	ds_bpermute_b32 v8, v105, v9
	v_max_f32_e32 v9, v9, v9
	v_lshlrev_b32_e32 v4, 2, v4
	s_add_i32 s3, s3, s49
	s_min_i32 s15, s3, s29
	s_waitcnt lgkmcnt(0)
	v_max_f32_e32 v8, v8, v8
	v_max_f32_e32 v9, v9, v8
	v_and_b32_e32 v8, 0x100, v4
	ds_bpermute_b32 v4, v8, v9
	s_sub_i32 s3, s15, s49
	v_cmp_gt_i32_e64 s[6:7], s3, v0
	v_mov_b32_e32 v9, 0
	s_and_saveexec_b64 s[38:39], s[6:7]
	s_cbranch_execz .LBB49_28
; %bb.25:
	v_mov_b32_e32 v9, 0x1d0
	v_lshl_add_u32 v10, v0, 2, v9
	s_mov_b64 s[40:41], 0
	v_mov_b32_e32 v9, 0
	v_mov_b32_e32 v11, v0
.LBB49_26:                              ; =>This Inner Loop Header: Depth=1
	ds_read_b32 v12, v10
	v_add_u32_e32 v11, 0x80, v11
	v_cmp_le_i32_e64 s[10:11], s3, v11
	s_or_b64 s[40:41], s[10:11], s[40:41]
	s_waitcnt lgkmcnt(0)
	v_sub_f32_e32 v12, v12, v4
	v_mul_f32_e32 v12, 0x3fb8aa3b, v12
	v_exp_f32_e32 v12, v12
	ds_write_b32 v10, v12
	v_add_f32_e32 v9, v9, v12
	v_add_u32_e32 v10, 0x200, v10
	s_andn2_b64 exec, exec, s[40:41]
	s_cbranch_execnz .LBB49_26
; %bb.27:
	s_or_b64 exec, exec, s[40:41]
.LBB49_28:
	s_or_b64 exec, exec, s[38:39]
	ds_bpermute_b32 v2, v2, v9
	s_waitcnt lgkmcnt(0)
	v_add_f32_e32 v2, v9, v2
	ds_bpermute_b32 v3, v3, v2
	s_waitcnt lgkmcnt(0)
	v_add_f32_e32 v2, v2, v3
	;; [unrolled: 3-line block ×6, first 2 shown]
	s_and_saveexec_b64 s[10:11], vcc
	s_cbranch_execz .LBB49_30
; %bb.29:
	ds_write_b32 v6, v2 offset:456
.LBB49_30:
	s_or_b64 exec, exec, s[10:11]
	s_waitcnt lgkmcnt(0)
	s_barrier
	s_and_saveexec_b64 s[10:11], s[0:1]
	s_cbranch_execz .LBB49_32
; %bb.31:
	ds_read_b32 v2, v7 offset:456
.LBB49_32:
	s_or_b64 exec, exec, s[10:11]
	s_waitcnt lgkmcnt(0)
	ds_bpermute_b32 v3, v105, v2
	s_waitcnt lgkmcnt(0)
	v_add_f32_e32 v2, v2, v3
	ds_bpermute_b32 v5, v8, v2
	s_and_saveexec_b64 s[0:1], s[6:7]
	s_cbranch_execz .LBB49_45
; %bb.33:
	s_waitcnt lgkmcnt(0)
	v_add_f32_e32 v2, 0x358637bd, v5
	v_div_scale_f32 v3, s[6:7], v2, v2, 1.0
	v_rcp_f32_e32 v6, v3
	v_div_scale_f32 v7, vcc, 1.0, v2, 1.0
	s_movk_i32 s6, 0x7f
	v_fma_f32 v8, -v3, v6, 1.0
	v_fmac_f32_e32 v6, v8, v6
	v_mul_f32_e32 v8, v7, v6
	v_fma_f32 v9, -v3, v8, v7
	v_fmac_f32_e32 v8, v9, v6
	v_fma_f32 v3, -v3, v8, v7
	v_div_fmas_f32 v3, v3, v6, v8
	v_div_fixup_f32 v2, v3, v2, 1.0
	v_xad_u32 v3, v0, -1, s15
	v_subrev_u32_e32 v6, s49, v3
	v_cmp_lt_u32_e32 vcc, s6, v6
	s_mov_b64 s[10:11], -1
	v_mov_b32_e32 v3, v0
	s_and_saveexec_b64 s[6:7], vcc
	s_cbranch_execz .LBB49_42
; %bb.34:
	v_lshrrev_b32_e32 v6, 7, v6
	v_add_u32_e32 v8, -1, v6
	v_lshrrev_b32_e32 v7, 1, v8
	v_mov_b32_e32 v3, v2
	v_add_u32_e32 v7, 1, v7
	v_cmp_lt_u32_e32 vcc, 13, v8
	v_mov_b32_e32 v10, 0
	s_and_saveexec_b64 s[10:11], vcc
	s_cbranch_execz .LBB49_38
; %bb.35:
	v_mov_b32_e32 v9, 0x1d0
	v_and_b32_e32 v8, -8, v7
	v_lshl_add_u32 v9, v0, 2, v9
	s_mov_b32 s15, 0
	s_mov_b64 s[38:39], 0
.LBB49_36:                              ; =>This Inner Loop Header: Depth=1
	ds_read2st64_b32 v[10:11], v9 offset1:2
	ds_read2st64_b32 v[12:13], v9 offset0:4 offset1:6
	ds_read2st64_b32 v[14:15], v9 offset0:8 offset1:10
	;; [unrolled: 1-line block ×3, first 2 shown]
	v_add_u32_e32 v8, -8, v8
	s_waitcnt lgkmcnt(3)
	v_pk_mul_f32 v[10:11], v[2:3], v[10:11]
	s_waitcnt lgkmcnt(2)
	v_pk_mul_f32 v[12:13], v[2:3], v[12:13]
	ds_write2st64_b32 v9, v10, v11 offset1:2
	ds_write2st64_b32 v9, v12, v13 offset0:4 offset1:6
	ds_read2st64_b32 v[12:13], v9 offset0:16 offset1:18
	s_waitcnt lgkmcnt(4)
	v_pk_mul_f32 v[10:11], v[2:3], v[14:15]
	ds_write2st64_b32 v9, v10, v11 offset0:8 offset1:10
	s_waitcnt lgkmcnt(4)
	v_pk_mul_f32 v[10:11], v[2:3], v[16:17]
	ds_write2st64_b32 v9, v10, v11 offset0:12 offset1:14
	ds_read2st64_b32 v[10:11], v9 offset0:20 offset1:22
	s_waitcnt lgkmcnt(3)
	v_pk_mul_f32 v[12:13], v[2:3], v[12:13]
	ds_read2st64_b32 v[14:15], v9 offset0:24 offset1:26
	ds_write2st64_b32 v9, v12, v13 offset0:16 offset1:18
	ds_read2st64_b32 v[12:13], v9 offset0:28 offset1:30
	s_waitcnt lgkmcnt(3)
	v_pk_mul_f32 v[10:11], v[2:3], v[10:11]
	ds_write2st64_b32 v9, v10, v11 offset0:20 offset1:22
	s_waitcnt lgkmcnt(3)
	v_pk_mul_f32 v[10:11], v[2:3], v[14:15]
	ds_write2st64_b32 v9, v10, v11 offset0:24 offset1:26
	s_waitcnt lgkmcnt(2)
	v_pk_mul_f32 v[10:11], v[2:3], v[12:13]
	s_add_i32 s15, s15, 16
	v_cmp_eq_u32_e32 vcc, 0, v8
	ds_write2st64_b32 v9, v10, v11 offset0:28 offset1:30
	v_add_u32_e32 v9, 0x2000, v9
	s_or_b64 s[38:39], vcc, s[38:39]
	v_mov_b32_e32 v10, s15
	s_andn2_b64 exec, exec, s[38:39]
	s_cbranch_execnz .LBB49_36
; %bb.37:
	s_or_b64 exec, exec, s[38:39]
.LBB49_38:
	s_or_b64 exec, exec, s[10:11]
	v_and_b32_e32 v7, 7, v7
	v_cmp_ne_u32_e32 vcc, 0, v7
	s_and_saveexec_b64 s[10:11], vcc
	s_cbranch_execz .LBB49_41
; %bb.39:
	v_lshlrev_b32_e32 v8, 9, v10
	s_movk_i32 s15, 0x1d0
	v_add3_u32 v8, v8, v34, s15
	s_mov_b64 s[38:39], 0
.LBB49_40:                              ; =>This Inner Loop Header: Depth=1
	ds_read2st64_b32 v[10:11], v8 offset1:2
	v_add_u32_e32 v7, -1, v7
	v_cmp_eq_u32_e32 vcc, 0, v7
	s_or_b64 s[38:39], vcc, s[38:39]
	s_waitcnt lgkmcnt(0)
	v_pk_mul_f32 v[10:11], v[2:3], v[10:11]
	ds_write2st64_b32 v8, v10, v11 offset1:2
	v_add_u32_e32 v8, 0x400, v8
	s_andn2_b64 exec, exec, s[38:39]
	s_cbranch_execnz .LBB49_40
.LBB49_41:
	s_or_b64 exec, exec, s[10:11]
	v_add_u32_e32 v6, 1, v6
	v_and_b32_e32 v7, 0x3fffffe, v6
	v_cmp_ne_u32_e32 vcc, v6, v7
	v_lshl_add_u32 v3, v7, 7, v0
	s_orn2_b64 s[10:11], vcc, exec
.LBB49_42:
	s_or_b64 exec, exec, s[6:7]
	s_and_b64 exec, exec, s[10:11]
	s_cbranch_execz .LBB49_45
; %bb.43:
	v_mov_b32_e32 v6, 0x1d0
	v_lshl_add_u32 v6, v3, 2, v6
	s_mov_b64 s[6:7], 0
.LBB49_44:                              ; =>This Inner Loop Header: Depth=1
	ds_read_b32 v7, v6
	v_add_u32_e32 v3, 0x80, v3
	v_cmp_le_i32_e32 vcc, s3, v3
	s_or_b64 s[6:7], vcc, s[6:7]
	s_waitcnt lgkmcnt(0)
	v_mul_f32_e32 v7, v2, v7
	ds_write_b32 v6, v7
	v_add_u32_e32 v6, 0x200, v6
	s_andn2_b64 exec, exec, s[6:7]
	s_cbranch_execnz .LBB49_44
.LBB49_45:
	s_or_b64 exec, exec, s[0:1]
	s_mul_i32 s0, s16, s28
	v_cmp_eq_u32_e32 vcc, 0, v0
	s_mul_i32 s6, s0, s5
	s_waitcnt lgkmcnt(0)
	s_barrier
	s_and_saveexec_b64 s[0:1], vcc
	s_cbranch_execz .LBB49_47
; %bb.46:
	s_ashr_i32 s7, s6, 31
	s_lshl_b64 s[10:11], s[6:7], 2
	s_add_u32 s5, s22, s10
	s_mul_i32 s2, s16, s2
	s_addc_u32 s7, s23, s11
	s_ashr_i32 s3, s2, 31
	s_lshl_b64 s[2:3], s[2:3], 2
	s_add_u32 s15, s5, s2
	s_addc_u32 s7, s7, s3
	s_ashr_i32 s5, s4, 31
	s_lshl_b64 s[22:23], s[4:5], 2
	s_add_u32 s38, s15, s22
	s_addc_u32 s39, s7, s23
	s_add_u32 s5, s20, s10
	s_addc_u32 s7, s21, s11
	;; [unrolled: 2-line block ×3, first 2 shown]
	s_add_u32 s2, s2, s22
	v_mov_b32_e32 v2, 0
	s_addc_u32 s3, s3, s23
	global_store_dword v2, v4, s[38:39]
	global_store_dword v2, v5, s[2:3]
.LBB49_47:
	s_or_b64 exec, exec, s[0:1]
	v_mov_b32_e32 v78, 0
	v_and_b32_e32 v106, 7, v0
	v_mov_b32_e32 v79, 0
	v_mov_b32_e32 v74, 0
	;; [unrolled: 1-line block ×13, first 2 shown]
	s_and_saveexec_b64 s[2:3], s[8:9]
	s_cbranch_execz .LBB49_81
; %bb.48:
	s_ashr_i32 s15, s14, 31
	s_sub_i32 s5, s48, s17
	s_lshl_b64 s[0:1], s[14:15], 2
	s_add_u32 s8, s36, s0
	s_addc_u32 s9, s37, s1
	s_abs_i32 s18, s18
	v_cvt_f32_u32_e32 v3, s18
	s_sub_i32 s0, 0, s18
	s_add_i32 s17, s12, -1
	v_and_b32_e32 v2, 0xfc, v34
	v_rcp_iflag_f32_e32 v3, v3
	v_mov_b32_e32 v77, 0
	v_or_b32_e32 v4, 0x400, v2
	v_or_b32_e32 v6, 0x500, v2
	v_mul_f32_e32 v3, 0x4f7ffffe, v3
	v_cvt_u32_f32_e32 v3, v3
	v_or_b32_e32 v8, 0x600, v2
	v_or_b32_e32 v10, 0x700, v2
	;; [unrolled: 1-line block ×3, first 2 shown]
	v_mul_lo_u32 v5, s0, v3
	v_mul_hi_u32 v5, v3, v5
	s_lshl_b64 s[0:1], s[34:35], 2
	v_add_u32_e32 v108, v3, v5
	s_add_u32 s0, s30, s0
	v_lshlrev_b32_e32 v3, 4, v106
	v_or_b32_e32 v14, 0x900, v2
	v_or_b32_e32 v16, 0xa00, v2
	;; [unrolled: 1-line block ×5, first 2 shown]
	s_addc_u32 s1, s31, s1
	v_lshl_or_b32 v3, v35, 7, v3
	v_and_b32_e32 v107, 28, v34
	s_mov_b32 s7, s13
	v_lshl_add_u64 v[80:81], v[62:63], 2, s[0:1]
	v_add_u32_e32 v63, 0x1d0, v3
	s_mov_b64 s[10:11], 0
	v_lshlrev_b32_e32 v82, 2, v2
	v_lshlrev_b32_e32 v76, 2, v4
	;; [unrolled: 1-line block ×11, first 2 shown]
	v_mov_b32_e32 v65, v77
	v_mov_b32_e32 v64, v77
	;; [unrolled: 1-line block ×14, first 2 shown]
	s_branch .LBB49_51
.LBB49_49:                              ;   in Loop: Header=BB49_51 Depth=1
	s_or_b64 exec, exec, s[0:1]
	s_waitcnt vmcnt(1) lgkmcnt(0)
	v_mul_f32_e32 v59, v3, v59
	v_mul_f32_e32 v55, v3, v55
	;; [unrolled: 1-line block ×13, first 2 shown]
	s_waitcnt vmcnt(0)
	v_mul_f32_e32 v3, v3, v51
	v_fmac_f32_e32 v59, v2, v58
	v_fmac_f32_e32 v55, v2, v54
	;; [unrolled: 1-line block ×42, first 2 shown]
	v_add_f32_e32 v64, v64, v59
	v_add_f32_e32 v67, v67, v55
	;; [unrolled: 1-line block ×14, first 2 shown]
.LBB49_50:                              ;   in Loop: Header=BB49_51 Depth=1
	s_or_b64 exec, exec, s[12:13]
	v_add_u32_e32 v62, 2, v62
	v_cmp_le_i32_e32 vcc, s47, v62
	v_lshl_add_u64 v[80:81], v[80:81], 0, 8
	v_add_u32_e32 v1, 64, v1
	s_or_b64 s[10:11], vcc, s[10:11]
	v_add_u32_e32 v63, 0x100, v63
	s_andn2_b64 exec, exec, s[10:11]
	s_cbranch_execz .LBB49_80
.LBB49_51:                              ; =>This Inner Loop Header: Depth=1
	v_sub_u32_e32 v3, 0, v1
	v_max_i32_e32 v3, v1, v3
	v_mul_hi_u32 v4, v3, s33
	v_mul_lo_u32 v5, v4, s25
	v_sub_u32_e32 v3, v3, v5
	v_add_u32_e32 v5, 1, v4
	v_cmp_le_u32_e32 vcc, s25, v3
	v_ashrrev_i32_e32 v2, 31, v1
	v_xor_b32_e32 v2, s19, v2
	v_cndmask_b32_e32 v4, v4, v5, vcc
	v_subrev_u32_e32 v5, s25, v3
	v_cndmask_b32_e32 v3, v3, v5, vcc
	v_add_u32_e32 v5, 1, v4
	v_cmp_le_u32_e32 vcc, s25, v3
	s_nop 1
	v_cndmask_b32_e32 v3, v4, v5, vcc
	v_xor_b32_e32 v3, v3, v2
	v_sub_u32_e32 v2, v3, v2
	v_add_u32_e32 v3, s46, v2
	v_sub_u32_e32 v5, 0, v3
	v_ashrrev_i32_e32 v4, 31, v3
	v_max_i32_e32 v3, v3, v5
	v_mul_hi_u32 v5, v3, v108
	v_mul_lo_u32 v5, v5, s18
	v_sub_u32_e32 v3, v3, v5
	v_subrev_u32_e32 v5, s18, v3
	v_cmp_le_u32_e32 vcc, s18, v3
	v_cmp_lt_i32_e64 s[0:1], s5, v2
	s_nop 0
	v_cndmask_b32_e32 v3, v3, v5, vcc
	v_subrev_u32_e32 v5, s18, v3
	v_cmp_le_u32_e32 vcc, s18, v3
	s_nop 1
	v_cndmask_b32_e32 v3, v3, v5, vcc
	v_xor_b32_e32 v3, v3, v4
	v_sub_u32_e32 v3, v3, v4
	v_cmp_eq_u32_e32 vcc, 0, v3
	s_or_b64 s[0:1], vcc, s[0:1]
	s_and_saveexec_b64 s[12:13], s[0:1]
	s_cbranch_execz .LBB49_50
; %bb.52:                               ;   in Loop: Header=BB49_51 Depth=1
	global_load_dword v2, v[80:81], off
	v_mov_b32_e32 v83, v77
	v_cmp_eq_u32_e32 vcc, s17, v62
	s_waitcnt vmcnt(0)
	v_mad_i64_i32 v[2:3], s[0:1], v2, s7, 0
	v_lshl_add_u64 v[50:51], v[2:3], 2, s[8:9]
	v_lshl_add_u64 v[18:19], v[50:51], 0, v[82:83]
	global_load_dwordx4 v[6:9], v[18:19], off
	ds_read_b128 v[2:5], v63
	v_add_u32_e32 v83, v107, v1
	v_add_u32_e32 v111, 1, v83
	;; [unrolled: 1-line block ×4, first 2 shown]
	s_and_saveexec_b64 s[14:15], vcc
	s_cbranch_execnz .LBB49_77
; %bb.53:                               ;   in Loop: Header=BB49_51 Depth=1
	s_or_b64 exec, exec, s[14:15]
	global_load_dwordx4 v[10:13], v[18:19], off offset:1024
	s_and_saveexec_b64 s[14:15], vcc
	s_cbranch_execnz .LBB49_78
.LBB49_54:                              ;   in Loop: Header=BB49_51 Depth=1
	s_or_b64 exec, exec, s[14:15]
	global_load_dwordx4 v[14:17], v[18:19], off offset:2048
	s_and_saveexec_b64 s[14:15], vcc
	s_cbranch_execnz .LBB49_79
.LBB49_55:                              ;   in Loop: Header=BB49_51 Depth=1
	s_or_b64 exec, exec, s[14:15]
	global_load_dwordx4 v[18:21], v[18:19], off offset:3072
	s_and_saveexec_b64 s[14:15], vcc
	s_cbranch_execz .LBB49_57
.LBB49_56:                              ;   in Loop: Header=BB49_51 Depth=1
	v_cmp_gt_i32_e64 s[0:1], s29, v83
	s_waitcnt vmcnt(0)
	s_nop 0
	v_cndmask_b32_e64 v18, 0, v18, s[0:1]
	v_cmp_gt_i32_e64 s[0:1], s29, v111
	s_nop 1
	v_cndmask_b32_e64 v19, 0, v19, s[0:1]
	v_cmp_gt_i32_e64 s[0:1], s29, v110
	;; [unrolled: 3-line block ×3, first 2 shown]
	s_nop 1
	v_cndmask_b32_e64 v21, 0, v21, s[0:1]
.LBB49_57:                              ;   in Loop: Header=BB49_51 Depth=1
	s_or_b64 exec, exec, s[14:15]
	v_lshl_add_u64 v[22:23], v[50:51], 0, v[76:77]
	global_load_dwordx4 v[22:25], v[22:23], off
	s_and_saveexec_b64 s[14:15], vcc
	s_cbranch_execz .LBB49_59
; %bb.58:                               ;   in Loop: Header=BB49_51 Depth=1
	v_cmp_gt_i32_e64 s[0:1], s29, v83
	s_waitcnt vmcnt(0)
	s_nop 0
	v_cndmask_b32_e64 v22, 0, v22, s[0:1]
	v_cmp_gt_i32_e64 s[0:1], s29, v111
	s_nop 1
	v_cndmask_b32_e64 v23, 0, v23, s[0:1]
	v_cmp_gt_i32_e64 s[0:1], s29, v110
	s_nop 1
	v_cndmask_b32_e64 v24, 0, v24, s[0:1]
	v_cmp_gt_i32_e64 s[0:1], s29, v109
	s_nop 1
	v_cndmask_b32_e64 v25, 0, v25, s[0:1]
.LBB49_59:                              ;   in Loop: Header=BB49_51 Depth=1
	s_or_b64 exec, exec, s[14:15]
	v_mov_b32_e32 v85, v77
	v_lshl_add_u64 v[26:27], v[50:51], 0, v[84:85]
	global_load_dwordx4 v[26:29], v[26:27], off
	s_and_saveexec_b64 s[14:15], vcc
	s_cbranch_execz .LBB49_61
; %bb.60:                               ;   in Loop: Header=BB49_51 Depth=1
	v_cmp_gt_i32_e64 s[0:1], s29, v83
	s_waitcnt vmcnt(0)
	s_nop 0
	v_cndmask_b32_e64 v26, 0, v26, s[0:1]
	v_cmp_gt_i32_e64 s[0:1], s29, v111
	s_nop 1
	v_cndmask_b32_e64 v27, 0, v27, s[0:1]
	v_cmp_gt_i32_e64 s[0:1], s29, v110
	s_nop 1
	v_cndmask_b32_e64 v28, 0, v28, s[0:1]
	v_cmp_gt_i32_e64 s[0:1], s29, v109
	s_nop 1
	v_cndmask_b32_e64 v29, 0, v29, s[0:1]
.LBB49_61:                              ;   in Loop: Header=BB49_51 Depth=1
	s_or_b64 exec, exec, s[14:15]
	v_mov_b32_e32 v87, v77
	;; [unrolled: 21-line block ×9, first 2 shown]
	v_lshl_add_u64 v[50:51], v[50:51], 0, v[100:101]
	global_load_dwordx4 v[50:53], v[50:51], off
	s_and_saveexec_b64 s[0:1], vcc
	s_cbranch_execz .LBB49_49
; %bb.76:                               ;   in Loop: Header=BB49_51 Depth=1
	v_cmp_gt_i32_e32 vcc, s29, v83
	s_waitcnt vmcnt(0)
	s_nop 0
	v_cndmask_b32_e32 v50, 0, v50, vcc
	v_cmp_gt_i32_e32 vcc, s29, v111
	s_nop 1
	v_cndmask_b32_e32 v51, 0, v51, vcc
	v_cmp_gt_i32_e32 vcc, s29, v110
	;; [unrolled: 3-line block ×3, first 2 shown]
	s_nop 1
	v_cndmask_b32_e32 v53, 0, v53, vcc
	s_branch .LBB49_49
.LBB49_77:                              ;   in Loop: Header=BB49_51 Depth=1
	v_cmp_gt_i32_e64 s[0:1], s29, v83
	s_waitcnt vmcnt(0)
	s_nop 0
	v_cndmask_b32_e64 v6, 0, v6, s[0:1]
	v_cmp_gt_i32_e64 s[0:1], s29, v111
	s_nop 1
	v_cndmask_b32_e64 v7, 0, v7, s[0:1]
	v_cmp_gt_i32_e64 s[0:1], s29, v110
	;; [unrolled: 3-line block ×3, first 2 shown]
	s_nop 1
	v_cndmask_b32_e64 v9, 0, v9, s[0:1]
	s_or_b64 exec, exec, s[14:15]
	global_load_dwordx4 v[10:13], v[18:19], off offset:1024
	s_and_saveexec_b64 s[14:15], vcc
	s_cbranch_execz .LBB49_54
.LBB49_78:                              ;   in Loop: Header=BB49_51 Depth=1
	v_cmp_gt_i32_e64 s[0:1], s29, v83
	s_waitcnt vmcnt(0)
	s_nop 0
	v_cndmask_b32_e64 v10, 0, v10, s[0:1]
	v_cmp_gt_i32_e64 s[0:1], s29, v111
	s_nop 1
	v_cndmask_b32_e64 v11, 0, v11, s[0:1]
	v_cmp_gt_i32_e64 s[0:1], s29, v110
	;; [unrolled: 3-line block ×3, first 2 shown]
	s_nop 1
	v_cndmask_b32_e64 v13, 0, v13, s[0:1]
	s_or_b64 exec, exec, s[14:15]
	global_load_dwordx4 v[14:17], v[18:19], off offset:2048
	s_and_saveexec_b64 s[14:15], vcc
	s_cbranch_execz .LBB49_55
.LBB49_79:                              ;   in Loop: Header=BB49_51 Depth=1
	v_cmp_gt_i32_e64 s[0:1], s29, v83
	s_waitcnt vmcnt(0)
	s_nop 0
	v_cndmask_b32_e64 v14, 0, v14, s[0:1]
	v_cmp_gt_i32_e64 s[0:1], s29, v111
	s_nop 1
	v_cndmask_b32_e64 v15, 0, v15, s[0:1]
	v_cmp_gt_i32_e64 s[0:1], s29, v110
	;; [unrolled: 3-line block ×3, first 2 shown]
	s_nop 1
	v_cndmask_b32_e64 v17, 0, v17, s[0:1]
	s_or_b64 exec, exec, s[14:15]
	global_load_dwordx4 v[18:21], v[18:19], off offset:3072
	s_and_saveexec_b64 s[14:15], vcc
	s_cbranch_execnz .LBB49_56
	s_branch .LBB49_57
.LBB49_80:
	s_or_b64 exec, exec, s[10:11]
.LBB49_81:
	s_or_b64 exec, exec, s[2:3]
	ds_bpermute_b32 v2, v104, v78
	ds_bpermute_b32 v3, v104, v79
	;; [unrolled: 1-line block ×6, first 2 shown]
	s_waitcnt lgkmcnt(4)
	v_pk_add_f32 v[2:3], v[78:79], v[2:3]
	ds_bpermute_b32 v6, v103, v2
	s_waitcnt lgkmcnt(3)
	v_pk_add_f32 v[4:5], v[74:75], v[4:5]
	ds_bpermute_b32 v7, v103, v3
	ds_bpermute_b32 v10, v103, v4
	;; [unrolled: 1-line block ×3, first 2 shown]
	s_waitcnt lgkmcnt(4)
	v_pk_add_f32 v[8:9], v[72:73], v[8:9]
	ds_bpermute_b32 v14, v103, v8
	s_waitcnt lgkmcnt(3)
	v_pk_add_f32 v[2:3], v[2:3], v[6:7]
	ds_bpermute_b32 v6, v105, v2
	;; [unrolled: 3-line block ×3, first 2 shown]
	ds_bpermute_b32 v12, v105, v10
	ds_bpermute_b32 v13, v105, v11
	;; [unrolled: 1-line block ×4, first 2 shown]
	s_waitcnt lgkmcnt(4)
	v_pk_add_f32 v[4:5], v[2:3], v[6:7]
	ds_bpermute_b32 v19, v104, v67
	s_waitcnt lgkmcnt(3)
	v_pk_add_f32 v[2:3], v[10:11], v[12:13]
	ds_bpermute_b32 v12, v104, v68
	ds_bpermute_b32 v13, v104, v69
	s_waitcnt lgkmcnt(4)
	v_pk_add_f32 v[6:7], v[8:9], v[14:15]
	ds_bpermute_b32 v8, v104, v70
	ds_bpermute_b32 v9, v104, v71
	;; [unrolled: 1-line block ×3, first 2 shown]
	s_waitcnt lgkmcnt(3)
	v_pk_add_f32 v[12:13], v[68:69], v[12:13]
	ds_bpermute_b32 v16, v103, v12
	ds_bpermute_b32 v17, v103, v13
	s_waitcnt lgkmcnt(3)
	v_pk_add_f32 v[8:9], v[70:71], v[8:9]
	ds_bpermute_b32 v14, v103, v8
	ds_bpermute_b32 v15, v103, v9
	;; [unrolled: 1-line block ×3, first 2 shown]
	s_waitcnt lgkmcnt(3)
	v_pk_add_f32 v[16:17], v[12:13], v[16:17]
	v_pk_add_f32 v[12:13], v[66:67], v[18:19]
	ds_bpermute_b32 v18, v103, v12
	s_waitcnt lgkmcnt(2)
	v_pk_add_f32 v[8:9], v[8:9], v[14:15]
	ds_bpermute_b32 v19, v103, v13
	s_waitcnt lgkmcnt(2)
	v_pk_add_f32 v[22:23], v[64:65], v[22:23]
	ds_bpermute_b32 v10, v105, v6
	ds_bpermute_b32 v11, v105, v7
	ds_bpermute_b32 v14, v105, v8
	ds_bpermute_b32 v15, v105, v9
	ds_bpermute_b32 v26, v103, v22
	ds_bpermute_b32 v27, v103, v23
	ds_bpermute_b32 v20, v105, v16
	ds_bpermute_b32 v21, v105, v17
	s_waitcnt lgkmcnt(8)
	v_pk_add_f32 v[18:19], v[12:13], v[18:19]
	ds_bpermute_b32 v24, v105, v18
	ds_bpermute_b32 v25, v105, v19
	s_waitcnt lgkmcnt(8)
	v_pk_add_f32 v[12:13], v[6:7], v[10:11]
	s_waitcnt lgkmcnt(6)
	v_pk_add_f32 v[10:11], v[8:9], v[14:15]
	;; [unrolled: 2-line block ×4, first 2 shown]
	ds_bpermute_b32 v16, v105, v14
	ds_bpermute_b32 v17, v105, v15
	v_and_b32_e32 v1, 0x3c7, v0
	s_waitcnt lgkmcnt(2)
	v_pk_add_f32 v[6:7], v[18:19], v[24:25]
	v_cmp_ne_u32_e32 vcc, 64, v1
	s_waitcnt lgkmcnt(0)
	s_barrier
	s_and_saveexec_b64 s[0:1], vcc
	s_xor_b64 s[0:1], exec, s[0:1]
; %bb.82:
                                        ; implicit-def: $vgpr102
; %bb.83:
	s_or_saveexec_b64 s[0:1], s[0:1]
	v_pk_add_f32 v[14:15], v[14:15], v[16:17]
	s_xor_b64 exec, exec, s[0:1]
	s_cbranch_execz .LBB49_85
; %bb.84:
	v_lshrrev_b32_e32 v16, 1, v102
	v_add_u32_e32 v16, 0x1d0, v16
	ds_write2_b32 v16, v4, v5 offset1:8
	ds_write2_b32 v16, v2, v3 offset0:16 offset1:24
	ds_write2_b32 v16, v12, v13 offset0:32 offset1:40
	ds_write2_b32 v16, v10, v11 offset0:48 offset1:56
	ds_write2_b32 v16, v8, v9 offset0:64 offset1:72
	ds_write2_b32 v16, v6, v7 offset0:80 offset1:88
	ds_write2_b32 v16, v14, v15 offset0:96 offset1:104
.LBB49_85:
	s_or_b64 exec, exec, s[0:1]
	v_cmp_gt_u32_e32 vcc, 64, v0
	s_waitcnt lgkmcnt(0)
	s_barrier
	s_and_saveexec_b64 s[0:1], vcc
	s_cbranch_execz .LBB49_102
; %bb.86:
	v_cmp_eq_u32_e32 vcc, 0, v106
	v_lshrrev_b32_e32 v16, 3, v0
	s_and_saveexec_b64 s[2:3], vcc
	s_cbranch_execnz .LBB49_105
; %bb.87:
	s_or_b64 exec, exec, s[2:3]
	s_and_saveexec_b64 s[2:3], vcc
	s_cbranch_execnz .LBB49_106
.LBB49_88:
	s_or_b64 exec, exec, s[2:3]
	s_and_saveexec_b64 s[2:3], vcc
	s_cbranch_execnz .LBB49_107
.LBB49_89:
	s_or_b64 exec, exec, s[2:3]
	s_and_saveexec_b64 s[2:3], vcc
	s_cbranch_execnz .LBB49_108
.LBB49_90:
	s_or_b64 exec, exec, s[2:3]
	s_and_saveexec_b64 s[2:3], vcc
	s_cbranch_execnz .LBB49_109
.LBB49_91:
	s_or_b64 exec, exec, s[2:3]
	s_and_saveexec_b64 s[2:3], vcc
	s_cbranch_execnz .LBB49_110
.LBB49_92:
	s_or_b64 exec, exec, s[2:3]
	s_and_saveexec_b64 s[2:3], vcc
	s_cbranch_execnz .LBB49_111
.LBB49_93:
	s_or_b64 exec, exec, s[2:3]
	s_and_saveexec_b64 s[2:3], vcc
	s_cbranch_execnz .LBB49_112
.LBB49_94:
	s_or_b64 exec, exec, s[2:3]
	s_and_saveexec_b64 s[2:3], vcc
	s_cbranch_execnz .LBB49_113
.LBB49_95:
	s_or_b64 exec, exec, s[2:3]
	s_and_saveexec_b64 s[2:3], vcc
	s_cbranch_execnz .LBB49_114
.LBB49_96:
	s_or_b64 exec, exec, s[2:3]
	s_and_saveexec_b64 s[2:3], vcc
	s_cbranch_execnz .LBB49_115
.LBB49_97:
	s_or_b64 exec, exec, s[2:3]
	s_and_saveexec_b64 s[2:3], vcc
	s_cbranch_execnz .LBB49_116
.LBB49_98:
	s_or_b64 exec, exec, s[2:3]
	s_and_saveexec_b64 s[2:3], vcc
	s_cbranch_execnz .LBB49_117
.LBB49_99:
	s_or_b64 exec, exec, s[2:3]
	s_and_saveexec_b64 s[2:3], vcc
	s_cbranch_execz .LBB49_101
.LBB49_100:
	v_mov_b32_e32 v17, 0x1d0
	v_lshl_add_u32 v16, v16, 2, v17
	ds_read_b32 v16, v16 offset:416
	s_waitcnt lgkmcnt(0)
	v_add_f32_e32 v15, v15, v16
.LBB49_101:
	s_or_b64 exec, exec, s[2:3]
.LBB49_102:
	s_or_b64 exec, exec, s[0:1]
	v_cmp_eq_u32_e32 vcc, 0, v1
	s_barrier
	s_and_saveexec_b64 s[0:1], vcc
	s_cbranch_execz .LBB49_104
; %bb.103:
	s_mul_i32 s0, s6, 0x70
	s_ashr_i32 s1, s0, 31
	s_lshl_b64 s[0:1], s[0:1], 2
	s_add_u32 s2, s26, s0
	s_mul_i32 s0, s16, s24
	s_addc_u32 s3, s27, s1
	s_ashr_i32 s1, s0, 31
	s_lshl_b64 s[0:1], s[0:1], 2
	s_add_u32 s2, s2, s0
	s_mul_i32 s0, s4, 0x70
	s_addc_u32 s3, s3, s1
	s_ashr_i32 s1, s0, 31
	s_lshl_b64 s[0:1], s[0:1], 2
	s_add_u32 s0, s2, s0
	s_addc_u32 s1, s3, s1
	v_lshrrev_b32_e32 v0, 1, v0
	global_store_dword v0, v4, s[0:1]
	global_store_dword v0, v5, s[0:1] offset:32
	global_store_dword v0, v2, s[0:1] offset:64
	;; [unrolled: 1-line block ×13, first 2 shown]
.LBB49_104:
	s_endpgm
.LBB49_105:
	v_mov_b32_e32 v17, 0x1d0
	v_lshl_add_u32 v17, v16, 2, v17
	ds_read_b32 v17, v17
	s_waitcnt lgkmcnt(0)
	v_add_f32_e32 v4, v4, v17
	s_or_b64 exec, exec, s[2:3]
	s_and_saveexec_b64 s[2:3], vcc
	s_cbranch_execz .LBB49_88
.LBB49_106:
	v_mov_b32_e32 v17, 0x1d0
	v_lshl_add_u32 v17, v16, 2, v17
	ds_read_b32 v17, v17 offset:32
	s_waitcnt lgkmcnt(0)
	v_add_f32_e32 v5, v5, v17
	s_or_b64 exec, exec, s[2:3]
	s_and_saveexec_b64 s[2:3], vcc
	s_cbranch_execz .LBB49_89
.LBB49_107:
	v_mov_b32_e32 v17, 0x1d0
	v_lshl_add_u32 v17, v16, 2, v17
	ds_read_b32 v17, v17 offset:64
	s_waitcnt lgkmcnt(0)
	v_add_f32_e32 v2, v2, v17
	s_or_b64 exec, exec, s[2:3]
	s_and_saveexec_b64 s[2:3], vcc
	s_cbranch_execz .LBB49_90
.LBB49_108:
	v_mov_b32_e32 v17, 0x1d0
	v_lshl_add_u32 v17, v16, 2, v17
	ds_read_b32 v17, v17 offset:96
	s_waitcnt lgkmcnt(0)
	v_add_f32_e32 v3, v3, v17
	s_or_b64 exec, exec, s[2:3]
	s_and_saveexec_b64 s[2:3], vcc
	s_cbranch_execz .LBB49_91
.LBB49_109:
	v_mov_b32_e32 v17, 0x1d0
	v_lshl_add_u32 v17, v16, 2, v17
	ds_read_b32 v17, v17 offset:128
	s_waitcnt lgkmcnt(0)
	v_add_f32_e32 v12, v12, v17
	s_or_b64 exec, exec, s[2:3]
	s_and_saveexec_b64 s[2:3], vcc
	s_cbranch_execz .LBB49_92
.LBB49_110:
	v_mov_b32_e32 v17, 0x1d0
	v_lshl_add_u32 v17, v16, 2, v17
	ds_read_b32 v17, v17 offset:160
	s_waitcnt lgkmcnt(0)
	v_add_f32_e32 v13, v13, v17
	s_or_b64 exec, exec, s[2:3]
	s_and_saveexec_b64 s[2:3], vcc
	s_cbranch_execz .LBB49_93
.LBB49_111:
	v_mov_b32_e32 v17, 0x1d0
	v_lshl_add_u32 v17, v16, 2, v17
	ds_read_b32 v17, v17 offset:192
	s_waitcnt lgkmcnt(0)
	v_add_f32_e32 v10, v10, v17
	s_or_b64 exec, exec, s[2:3]
	s_and_saveexec_b64 s[2:3], vcc
	s_cbranch_execz .LBB49_94
.LBB49_112:
	v_mov_b32_e32 v17, 0x1d0
	v_lshl_add_u32 v17, v16, 2, v17
	ds_read_b32 v17, v17 offset:224
	s_waitcnt lgkmcnt(0)
	v_add_f32_e32 v11, v11, v17
	s_or_b64 exec, exec, s[2:3]
	s_and_saveexec_b64 s[2:3], vcc
	s_cbranch_execz .LBB49_95
.LBB49_113:
	v_mov_b32_e32 v17, 0x1d0
	v_lshl_add_u32 v17, v16, 2, v17
	ds_read_b32 v17, v17 offset:256
	s_waitcnt lgkmcnt(0)
	v_add_f32_e32 v8, v8, v17
	s_or_b64 exec, exec, s[2:3]
	s_and_saveexec_b64 s[2:3], vcc
	s_cbranch_execz .LBB49_96
.LBB49_114:
	v_mov_b32_e32 v17, 0x1d0
	v_lshl_add_u32 v17, v16, 2, v17
	ds_read_b32 v17, v17 offset:288
	s_waitcnt lgkmcnt(0)
	v_add_f32_e32 v9, v9, v17
	s_or_b64 exec, exec, s[2:3]
	s_and_saveexec_b64 s[2:3], vcc
	s_cbranch_execz .LBB49_97
.LBB49_115:
	v_mov_b32_e32 v17, 0x1d0
	v_lshl_add_u32 v17, v16, 2, v17
	ds_read_b32 v17, v17 offset:320
	s_waitcnt lgkmcnt(0)
	v_add_f32_e32 v6, v6, v17
	s_or_b64 exec, exec, s[2:3]
	s_and_saveexec_b64 s[2:3], vcc
	s_cbranch_execz .LBB49_98
.LBB49_116:
	v_mov_b32_e32 v17, 0x1d0
	v_lshl_add_u32 v17, v16, 2, v17
	ds_read_b32 v17, v17 offset:352
	s_waitcnt lgkmcnt(0)
	v_add_f32_e32 v7, v7, v17
	s_or_b64 exec, exec, s[2:3]
	s_and_saveexec_b64 s[2:3], vcc
	s_cbranch_execz .LBB49_99
.LBB49_117:
	v_mov_b32_e32 v17, 0x1d0
	v_lshl_add_u32 v17, v16, 2, v17
	ds_read_b32 v17, v17 offset:384
	s_waitcnt lgkmcnt(0)
	v_add_f32_e32 v14, v14, v17
	s_or_b64 exec, exec, s[2:3]
	s_and_saveexec_b64 s[2:3], vcc
	s_cbranch_execnz .LBB49_100
	s_branch .LBB49_101
	.section	.rodata,"a",@progbits
	.p2align	6, 0x0
	.amdhsa_kernel _ZN4vllm25paged_attention_v2_kernelIffLi112ELi32ELi128ELNS_18Fp8KVCacheDataTypeE0ELb1ELi512EEEvPfS2_PT_PKS3_PKT0_S9_ifPKiSB_iPKfiiiSD_SD_iiiii
		.amdhsa_group_segment_fixed_size 464
		.amdhsa_private_segment_fixed_size 0
		.amdhsa_kernarg_size 400
		.amdhsa_user_sgpr_count 2
		.amdhsa_user_sgpr_dispatch_ptr 0
		.amdhsa_user_sgpr_queue_ptr 0
		.amdhsa_user_sgpr_kernarg_segment_ptr 1
		.amdhsa_user_sgpr_dispatch_id 0
		.amdhsa_user_sgpr_kernarg_preload_length 0
		.amdhsa_user_sgpr_kernarg_preload_offset 0
		.amdhsa_user_sgpr_private_segment_size 0
		.amdhsa_uses_dynamic_stack 0
		.amdhsa_enable_private_segment 0
		.amdhsa_system_sgpr_workgroup_id_x 1
		.amdhsa_system_sgpr_workgroup_id_y 1
		.amdhsa_system_sgpr_workgroup_id_z 1
		.amdhsa_system_sgpr_workgroup_info 0
		.amdhsa_system_vgpr_workitem_id 0
		.amdhsa_next_free_vgpr 112
		.amdhsa_next_free_sgpr 55
		.amdhsa_accum_offset 112
		.amdhsa_reserve_vcc 1
		.amdhsa_float_round_mode_32 0
		.amdhsa_float_round_mode_16_64 0
		.amdhsa_float_denorm_mode_32 3
		.amdhsa_float_denorm_mode_16_64 3
		.amdhsa_dx10_clamp 1
		.amdhsa_ieee_mode 1
		.amdhsa_fp16_overflow 0
		.amdhsa_tg_split 0
		.amdhsa_exception_fp_ieee_invalid_op 0
		.amdhsa_exception_fp_denorm_src 0
		.amdhsa_exception_fp_ieee_div_zero 0
		.amdhsa_exception_fp_ieee_overflow 0
		.amdhsa_exception_fp_ieee_underflow 0
		.amdhsa_exception_fp_ieee_inexact 0
		.amdhsa_exception_int_div_zero 0
	.end_amdhsa_kernel
	.section	.text._ZN4vllm25paged_attention_v2_kernelIffLi112ELi32ELi128ELNS_18Fp8KVCacheDataTypeE0ELb1ELi512EEEvPfS2_PT_PKS3_PKT0_S9_ifPKiSB_iPKfiiiSD_SD_iiiii,"axG",@progbits,_ZN4vllm25paged_attention_v2_kernelIffLi112ELi32ELi128ELNS_18Fp8KVCacheDataTypeE0ELb1ELi512EEEvPfS2_PT_PKS3_PKT0_S9_ifPKiSB_iPKfiiiSD_SD_iiiii,comdat
.Lfunc_end49:
	.size	_ZN4vllm25paged_attention_v2_kernelIffLi112ELi32ELi128ELNS_18Fp8KVCacheDataTypeE0ELb1ELi512EEEvPfS2_PT_PKS3_PKT0_S9_ifPKiSB_iPKfiiiSD_SD_iiiii, .Lfunc_end49-_ZN4vllm25paged_attention_v2_kernelIffLi112ELi32ELi128ELNS_18Fp8KVCacheDataTypeE0ELb1ELi512EEEvPfS2_PT_PKS3_PKT0_S9_ifPKiSB_iPKfiiiSD_SD_iiiii
                                        ; -- End function
	.section	.AMDGPU.csdata,"",@progbits
; Kernel info:
; codeLenInByte = 8060
; NumSgprs: 61
; NumVgprs: 112
; NumAgprs: 0
; TotalNumVgprs: 112
; ScratchSize: 0
; MemoryBound: 0
; FloatMode: 240
; IeeeMode: 1
; LDSByteSize: 464 bytes/workgroup (compile time only)
; SGPRBlocks: 7
; VGPRBlocks: 13
; NumSGPRsForWavesPerEU: 61
; NumVGPRsForWavesPerEU: 112
; AccumOffset: 112
; Occupancy: 4
; WaveLimiterHint : 1
; COMPUTE_PGM_RSRC2:SCRATCH_EN: 0
; COMPUTE_PGM_RSRC2:USER_SGPR: 2
; COMPUTE_PGM_RSRC2:TRAP_HANDLER: 0
; COMPUTE_PGM_RSRC2:TGID_X_EN: 1
; COMPUTE_PGM_RSRC2:TGID_Y_EN: 1
; COMPUTE_PGM_RSRC2:TGID_Z_EN: 1
; COMPUTE_PGM_RSRC2:TIDIG_COMP_CNT: 0
; COMPUTE_PGM_RSRC3_GFX90A:ACCUM_OFFSET: 27
; COMPUTE_PGM_RSRC3_GFX90A:TG_SPLIT: 0
	.section	.text._ZN4vllm25paged_attention_v2_kernelIffLi120ELi32ELi128ELNS_18Fp8KVCacheDataTypeE0ELb1ELi512EEEvPfS2_PT_PKS3_PKT0_S9_ifPKiSB_iPKfiiiSD_SD_iiiii,"axG",@progbits,_ZN4vllm25paged_attention_v2_kernelIffLi120ELi32ELi128ELNS_18Fp8KVCacheDataTypeE0ELb1ELi512EEEvPfS2_PT_PKS3_PKT0_S9_ifPKiSB_iPKfiiiSD_SD_iiiii,comdat
	.protected	_ZN4vllm25paged_attention_v2_kernelIffLi120ELi32ELi128ELNS_18Fp8KVCacheDataTypeE0ELb1ELi512EEEvPfS2_PT_PKS3_PKT0_S9_ifPKiSB_iPKfiiiSD_SD_iiiii ; -- Begin function _ZN4vllm25paged_attention_v2_kernelIffLi120ELi32ELi128ELNS_18Fp8KVCacheDataTypeE0ELb1ELi512EEEvPfS2_PT_PKS3_PKT0_S9_ifPKiSB_iPKfiiiSD_SD_iiiii
	.globl	_ZN4vllm25paged_attention_v2_kernelIffLi120ELi32ELi128ELNS_18Fp8KVCacheDataTypeE0ELb1ELi512EEEvPfS2_PT_PKS3_PKT0_S9_ifPKiSB_iPKfiiiSD_SD_iiiii
	.p2align	8
	.type	_ZN4vllm25paged_attention_v2_kernelIffLi120ELi32ELi128ELNS_18Fp8KVCacheDataTypeE0ELb1ELi512EEEvPfS2_PT_PKS3_PKT0_S9_ifPKiSB_iPKfiiiSD_SD_iiiii,@function
_ZN4vllm25paged_attention_v2_kernelIffLi120ELi32ELi128ELNS_18Fp8KVCacheDataTypeE0ELb1ELi512EEEvPfS2_PT_PKS3_PKT0_S9_ifPKiSB_iPKfiiiSD_SD_iiiii: ; @_ZN4vllm25paged_attention_v2_kernelIffLi120ELi32ELi128ELNS_18Fp8KVCacheDataTypeE0ELb1ELi512EEEvPfS2_PT_PKS3_PKT0_S9_ifPKiSB_iPKfiiiSD_SD_iiiii
; %bb.0:
	s_load_dwordx2 s[6:7], s[0:1], 0x40
	s_mov_b32 s28, s3
	s_ashr_i32 s29, s3, 31
	s_lshl_b64 s[8:9], s[28:29], 2
	s_waitcnt lgkmcnt(0)
	s_add_u32 s6, s6, s8
	s_addc_u32 s7, s7, s9
	s_load_dword s29, s[6:7], 0x0
	s_lshl_b32 s49, s4, 9
	s_waitcnt lgkmcnt(0)
	s_cmp_ge_i32 s49, s29
	s_cbranch_scc1 .LBB50_107
; %bb.1:
	s_load_dword s5, s[0:1], 0x90
	s_load_dwordx2 s[38:39], s[0:1], 0x30
	s_waitcnt lgkmcnt(0)
	s_abs_i32 s7, s5
	s_abs_i32 s3, s38
	v_cvt_f32_u32_e32 v1, s3
	s_sub_i32 s8, 0, s3
	s_xor_b32 s6, s5, s38
	s_ashr_i32 s6, s6, 31
	v_rcp_iflag_f32_e32 v1, v1
	s_nop 0
	v_mul_f32_e32 v1, 0x4f7ffffe, v1
	v_cvt_u32_f32_e32 v1, v1
	s_nop 0
	v_readfirstlane_b32 s9, v1
	s_mul_i32 s8, s8, s9
	s_mul_hi_u32 s8, s9, s8
	s_add_i32 s9, s9, s8
	s_mul_hi_u32 s8, s7, s9
	s_mul_i32 s9, s8, s3
	s_sub_i32 s7, s7, s9
	s_add_i32 s10, s8, 1
	s_sub_i32 s9, s7, s3
	s_cmp_ge_u32 s7, s3
	s_cselect_b32 s8, s10, s8
	s_cselect_b32 s7, s9, s7
	s_add_i32 s9, s8, 1
	s_cmp_ge_u32 s7, s3
	s_cselect_b32 s3, s9, s8
	s_xor_b32 s3, s3, s6
	s_sub_i32 s12, s3, s6
	s_abs_i32 s8, s12
	v_cvt_f32_u32_e32 v1, s8
	s_load_dwordx2 s[6:7], s[0:1], 0x50
	s_sub_i32 s10, 0, s8
	s_abs_i32 s9, s2
	v_rcp_iflag_f32_e32 v1, v1
	s_mov_b32 s3, 0
	v_mul_f32_e32 v1, 0x4f7ffffe, v1
	v_cvt_u32_f32_e32 v1, v1
	s_nop 0
	v_readfirstlane_b32 s11, v1
	s_mul_i32 s10, s10, s11
	s_mul_hi_u32 s10, s11, s10
	s_add_i32 s11, s11, s10
	s_waitcnt lgkmcnt(0)
	s_cmp_eq_u64 s[6:7], 0
	s_mul_hi_u32 s10, s9, s11
	s_cbranch_scc1 .LBB50_3
; %bb.2:
	s_ashr_i32 s3, s2, 31
	s_lshl_b64 s[14:15], s[2:3], 2
	s_add_u32 s6, s6, s14
	s_addc_u32 s7, s7, s15
	s_load_dword s3, s[6:7], 0x0
.LBB50_3:
	s_ashr_i32 s16, s12, 31
	s_load_dwordx4 s[12:15], s[0:1], 0x58
	s_ashr_i32 s11, s2, 31
	v_and_b32_e32 v4, 1, v0
	s_mul_i32 s24, s2, 0x78
	v_cmp_gt_u32_e32 vcc, 60, v0
	v_lshlrev_b32_e32 v2, 3, v0
	v_lshlrev_b32_e32 v34, 2, v0
	s_and_saveexec_b64 s[6:7], vcc
	s_cbranch_execz .LBB50_5
; %bb.4:
	s_load_dwordx2 s[18:19], s[0:1], 0x18
	s_waitcnt lgkmcnt(0)
	s_mul_i32 s20, s28, s12
	s_ashr_i32 s21, s20, 31
	s_lshl_b64 s[20:21], s[20:21], 2
	v_and_b32_e32 v1, 0xff8, v34
	s_add_u32 s12, s18, s20
	s_addc_u32 s15, s19, s21
	s_ashr_i32 s25, s24, 31
	s_lshl_b64 s[18:19], s[24:25], 2
	s_add_u32 s18, s12, s18
	s_addc_u32 s19, s15, s19
	global_load_dwordx2 v[6:7], v2, s[18:19]
	s_movk_i32 s12, 0xf0
	v_mad_u32_u24 v1, v4, s12, v1
	s_waitcnt vmcnt(0)
	ds_write_b64 v1, v[6:7]
.LBB50_5:
	s_or_b64 exec, exec, s[6:7]
	s_mul_i32 s7, s10, s8
	s_sub_i32 s7, s9, s7
	s_xor_b32 s6, s11, s16
	s_add_i32 s9, s10, 1
	s_sub_i32 s11, s7, s8
	s_load_dwordx4 s[16:19], s[0:1], 0x78
	s_cmp_ge_u32 s7, s8
	s_cselect_b32 s9, s9, s10
	s_cselect_b32 s7, s11, s7
	s_load_dword s11, s[0:1], 0x88
	s_add_i32 s10, s9, 1
	s_cmp_ge_u32 s7, s8
	s_cselect_b32 s7, s10, s9
	s_waitcnt lgkmcnt(0)
	s_abs_i32 s25, s19
	v_cvt_f32_u32_e32 v1, s25
	s_xor_b32 s7, s7, s6
	s_sub_i32 s10, s7, s6
	s_sub_i32 s6, 0, s25
	v_rcp_iflag_f32_e32 v1, v1
	s_add_i32 s12, s29, -1
	s_abs_i32 s8, s12
	v_mul_f32_e32 v1, 0x4f7ffffe, v1
	v_cvt_u32_f32_e32 v1, v1
	s_barrier
	v_readfirstlane_b32 s33, v1
	s_mul_i32 s6, s6, s33
	s_mul_hi_u32 s6, s33, s6
	s_add_i32 s33, s33, s6
	s_cmp_lt_i32 s11, 0
	s_mul_hi_u32 s9, s8, s33
	s_cbranch_scc0 .LBB50_7
; %bb.6:
	s_mul_i32 s6, s16, s38
	s_add_i32 s6, s10, s6
	s_mul_i32 s6, s6, s11
	s_sub_i32 s46, 1, s6
	s_mov_b64 s[6:7], 0
	s_branch .LBB50_8
.LBB50_7:
	s_mov_b64 s[6:7], -1
                                        ; implicit-def: $sgpr46
.LBB50_8:
	s_load_dwordx2 s[30:31], s[0:1], 0x38
	s_ashr_i32 s12, s12, 31
	s_andn2_b64 vcc, exec, s[6:7]
	s_ashr_i32 s19, s19, 31
	s_cbranch_vccnz .LBB50_10
; %bb.9:
	s_mul_i32 s6, s5, s16
	s_add_i32 s6, s6, s2
	s_mul_i32 s6, s6, s11
	s_add_i32 s46, s6, 1
.LBB50_10:
	s_load_dword s6, s[0:1], 0x48
	s_load_dwordx2 s[36:37], s[0:1], 0x28
	s_load_dword s16, s[0:1], 0x98
	s_load_dwordx4 s[20:23], s[0:1], 0x0
	s_load_dwordx2 s[26:27], s[0:1], 0x10
	s_mul_i32 s7, s9, s25
	s_waitcnt lgkmcnt(0)
	s_mul_i32 s34, s28, s6
	s_sub_i32 s7, s8, s7
	s_ashr_i32 s35, s34, 31
	s_xor_b32 s6, s12, s19
	s_add_i32 s8, s9, 1
	s_sub_i32 s11, s7, s25
	s_cmp_ge_u32 s7, s25
	s_cselect_b32 s8, s8, s9
	s_cselect_b32 s7, s11, s7
	s_add_i32 s9, s8, 1
	s_cmp_ge_u32 s7, s25
	s_cselect_b32 s7, s9, s8
	s_xor_b32 s7, s7, s6
	s_sub_i32 s48, s7, s6
	s_add_i32 s6, s29, 31
	s_ashr_i32 s7, s6, 31
	s_lshr_b32 s7, s7, 27
	s_add_i32 s6, s6, s7
	s_lshl_b32 s38, s4, 4
	s_ashr_i32 s12, s6, 5
	s_add_i32 s6, s38, 16
	v_lshrrev_b32_e32 v35, 6, v0
	s_min_i32 s47, s6, s12
	v_or_b32_e32 v66, s38, v35
	v_cmp_gt_i32_e64 s[8:9], s47, v66
	v_mov_b32_e32 v39, 0xff7fffff
	s_mul_i32 s14, s10, s14
	v_ashrrev_i32_e32 v67, 31, v66
	v_lshl_add_u32 v1, v35, 5, s49
	v_mbcnt_lo_u32_b32 v36, -1, 0
	s_and_saveexec_b64 s[40:41], s[8:9]
	s_cbranch_execz .LBB50_20
; %bb.11:
	s_load_dwordx2 s[0:1], s[0:1], 0x20
	s_ashr_i32 s15, s14, 31
	s_sub_i32 s50, s48, s17
	s_lshl_b64 s[6:7], s[14:15], 2
	v_bfe_u32 v37, v0, 1, 5
	s_waitcnt lgkmcnt(0)
	s_add_u32 s0, s0, s6
	s_addc_u32 s1, s1, s7
	s_abs_i32 s15, s18
	v_cvt_f32_u32_e32 v3, s15
	v_lshlrev_b32_e32 v6, 4, v37
	v_mov_b32_e32 v7, 0
	v_lshlrev_b32_e32 v10, 2, v37
	v_rcp_iflag_f32_e32 v5, v3
	v_lshl_add_u64 v[8:9], s[0:1], 0, v[6:7]
	v_and_b32_e32 v6, 8, v2
	s_sub_i32 s0, 0, s15
	v_mul_f32_e32 v5, 0x4f7ffffe, v5
	v_cvt_u32_f32_e32 v5, v5
	v_cmp_eq_u32_e32 vcc, 0, v4
	v_lshl_add_u64 v[2:3], v[8:9], 0, v[6:7]
	v_mul_u32_u24_e32 v38, 0xf0, v4
	v_mul_lo_u32 v4, s0, v5
	s_lshl_b64 s[0:1], s[34:35], 2
	v_lshl_or_b32 v6, v35, 7, v10
	s_add_u32 s0, s30, s0
	v_add_u32_e32 v42, 0x1f0, v6
	v_subrev_u32_e32 v6, s29, v37
	v_mbcnt_hi_u32_b32 v45, -1, v36
	v_mul_hi_u32 v4, v5, v4
	s_addc_u32 s1, s31, s1
	v_add_u32_e32 v43, 1, v6
	v_and_b32_e32 v6, 64, v45
	s_mov_b32 s51, s13
	v_cmp_neq_f32_e64 s[6:7], s3, 0
	v_add_u32_e32 v40, v5, v4
	v_lshl_add_u64 v[4:5], v[66:67], 2, s[0:1]
	v_lshl_add_u32 v41, v35, 5, s49
	s_mov_b64 s[42:43], 0
	v_mov_b32_e32 v44, 0xff7fffff
	s_movk_i32 s52, 0x1000
	s_movk_i32 s53, 0x2000
	;; [unrolled: 1-line block ×3, first 2 shown]
	v_xor_b32_e32 v46, 1, v45
	v_add_u32_e32 v47, 64, v6
	v_mov_b32_e32 v39, 0xff7fffff
	v_mov_b32_e32 v48, v66
	s_branch .LBB50_14
.LBB50_12:                              ;   in Loop: Header=BB50_14 Depth=1
	s_or_b64 exec, exec, s[44:45]
.LBB50_13:                              ;   in Loop: Header=BB50_14 Depth=1
	s_or_b64 exec, exec, s[10:11]
	v_add_u32_e32 v48, 2, v48
	v_cmp_le_i32_e64 s[0:1], s47, v48
	v_lshl_add_u64 v[4:5], v[4:5], 0, 8
	v_add_u32_e32 v41, 64, v41
	s_or_b64 s[42:43], s[0:1], s[42:43]
	v_add_u32_e32 v42, 0x100, v42
	s_andn2_b64 exec, exec, s[42:43]
	s_cbranch_execz .LBB50_19
.LBB50_14:                              ; =>This Inner Loop Header: Depth=1
	s_waitcnt lgkmcnt(0)
	v_sub_u32_e32 v7, 0, v41
	v_max_i32_e32 v7, v41, v7
	v_mul_hi_u32 v8, v7, s33
	v_mul_lo_u32 v9, v8, s25
	v_sub_u32_e32 v7, v7, v9
	v_add_u32_e32 v9, 1, v8
	v_cmp_le_u32_e64 s[0:1], s25, v7
	v_ashrrev_i32_e32 v6, 31, v41
	v_xor_b32_e32 v6, s19, v6
	v_cndmask_b32_e64 v8, v8, v9, s[0:1]
	v_subrev_u32_e32 v9, s25, v7
	v_cndmask_b32_e64 v7, v7, v9, s[0:1]
	v_add_u32_e32 v9, 1, v8
	v_cmp_le_u32_e64 s[0:1], s25, v7
	s_nop 1
	v_cndmask_b32_e64 v7, v8, v9, s[0:1]
	v_xor_b32_e32 v7, v7, v6
	v_sub_u32_e32 v6, v7, v6
	v_add_u32_e32 v7, s46, v6
	v_sub_u32_e32 v9, 0, v7
	v_ashrrev_i32_e32 v8, 31, v7
	v_max_i32_e32 v7, v7, v9
	v_mul_hi_u32 v9, v7, v40
	v_mul_lo_u32 v9, v9, s15
	v_sub_u32_e32 v7, v7, v9
	v_subrev_u32_e32 v9, s15, v7
	v_cmp_le_u32_e64 s[0:1], s15, v7
	v_cmp_ge_i32_e64 s[10:11], s50, v6
	s_nop 0
	v_cndmask_b32_e64 v7, v7, v9, s[0:1]
	v_subrev_u32_e32 v9, s15, v7
	v_cmp_le_u32_e64 s[0:1], s15, v7
	s_nop 1
	v_cndmask_b32_e64 v7, v7, v9, s[0:1]
	v_xor_b32_e32 v7, v7, v8
	v_sub_u32_e32 v7, v7, v8
	v_cmp_ne_u32_e64 s[0:1], 0, v7
	s_and_b64 s[0:1], s[0:1], s[10:11]
	s_and_b64 s[44:45], vcc, s[0:1]
	s_and_saveexec_b64 s[10:11], s[44:45]
	s_cbranch_execz .LBB50_16
; %bb.15:                               ;   in Loop: Header=BB50_14 Depth=1
	ds_write_b32 v42, v44
.LBB50_16:                              ;   in Loop: Header=BB50_14 Depth=1
	s_or_b64 exec, exec, s[10:11]
	s_xor_b64 s[0:1], s[0:1], -1
	s_and_saveexec_b64 s[10:11], s[0:1]
	s_cbranch_execz .LBB50_13
; %bb.17:                               ;   in Loop: Header=BB50_14 Depth=1
	global_load_dword v6, v[4:5], off
	s_waitcnt vmcnt(0)
	v_mad_i64_i32 v[6:7], s[0:1], v6, s51, 0
	v_lshl_add_u64 v[18:19], v[6:7], 2, v[2:3]
	global_load_dwordx2 v[24:25], v[18:19], off offset:512
	global_load_dwordx2 v[26:27], v[18:19], off
	global_load_dwordx2 v[28:29], v[18:19], off offset:1024
	global_load_dwordx2 v[60:61], v[18:19], off offset:1536
	;; [unrolled: 1-line block ×6, first 2 shown]
	v_add_co_u32_e64 v72, s[0:1], s53, v18
	s_nop 1
	v_addc_co_u32_e64 v73, s[0:1], 0, v19, s[0:1]
	global_load_dwordx2 v[74:75], v[72:73], off offset:-4096
	v_add_co_u32_e64 v52, s[0:1], s52, v18
	s_nop 1
	v_addc_co_u32_e64 v53, s[0:1], 0, v19, s[0:1]
	global_load_dwordx2 v[76:77], v[52:53], off offset:512
	global_load_dwordx2 v[30:31], v[52:53], off offset:1024
	ds_read_b128 v[6:9], v38
	ds_read_b128 v[10:13], v38 offset:16
	global_load_dwordx2 v[32:33], v[52:53], off offset:1536
	ds_read_b128 v[14:17], v38 offset:32
	ds_read_b128 v[20:23], v38 offset:48
	global_load_dwordx2 v[78:79], v[52:53], off offset:2048
	global_load_dwordx2 v[80:81], v[52:53], off offset:2560
	;; [unrolled: 1-line block ×4, first 2 shown]
	ds_read_b128 v[52:55], v38 offset:64
	ds_read_b128 v[56:59], v38 offset:80
	global_load_dwordx2 v[86:87], v[72:73], off
	global_load_dwordx2 v[88:89], v[72:73], off offset:512
	s_waitcnt vmcnt(17) lgkmcnt(5)
	v_mul_f32_e32 v49, v8, v24
	v_mul_f32_e32 v50, v9, v25
	s_waitcnt vmcnt(16)
	v_fmac_f32_e32 v49, v6, v26
	v_fmac_f32_e32 v50, v7, v27
	s_waitcnt vmcnt(15) lgkmcnt(4)
	v_fmac_f32_e32 v49, v10, v28
	v_fmac_f32_e32 v50, v11, v29
	global_load_dwordx2 v[8:9], v[72:73], off offset:1024
	s_waitcnt vmcnt(15)
	v_fmac_f32_e32 v49, v12, v60
	v_fmac_f32_e32 v50, v13, v61
	global_load_dwordx2 v[12:13], v[72:73], off offset:1536
	v_add_co_u32_e64 v24, s[0:1], s54, v18
	s_waitcnt vmcnt(15) lgkmcnt(3)
	v_fmac_f32_e32 v49, v14, v62
	v_fmac_f32_e32 v50, v15, v63
	v_addc_co_u32_e64 v25, s[0:1], 0, v19, s[0:1]
	s_waitcnt vmcnt(14)
	v_fmac_f32_e32 v49, v16, v64
	v_fmac_f32_e32 v50, v17, v65
	global_load_dwordx2 v[18:19], v[72:73], off offset:2048
	global_load_dwordx2 v[16:17], v[72:73], off offset:2560
	;; [unrolled: 1-line block ×4, first 2 shown]
	s_waitcnt vmcnt(17) lgkmcnt(2)
	v_fmac_f32_e32 v49, v20, v68
	v_fmac_f32_e32 v50, v21, v69
	global_load_dwordx2 v[20:21], v[24:25], off
	s_waitcnt vmcnt(17)
	v_fmac_f32_e32 v49, v22, v70
	v_fmac_f32_e32 v50, v23, v71
	global_load_dwordx2 v[6:7], v[24:25], off offset:2560
	global_load_dwordx2 v[22:23], v[24:25], off offset:512
	;; [unrolled: 1-line block ×4, first 2 shown]
	s_nop 0
	global_load_dwordx2 v[24:25], v[24:25], off offset:2048
	s_waitcnt vmcnt(21) lgkmcnt(1)
	v_fmac_f32_e32 v49, v52, v74
	v_fmac_f32_e32 v50, v53, v75
	s_waitcnt vmcnt(20)
	v_fmac_f32_e32 v49, v54, v76
	v_fmac_f32_e32 v50, v55, v77
	ds_read_b128 v[52:55], v38 offset:96
	ds_read_b128 v[60:63], v38 offset:112
	s_waitcnt vmcnt(19) lgkmcnt(2)
	v_fmac_f32_e32 v49, v56, v30
	v_fmac_f32_e32 v50, v57, v31
	s_waitcnt vmcnt(18)
	v_fmac_f32_e32 v49, v58, v32
	v_fmac_f32_e32 v50, v59, v33
	s_waitcnt vmcnt(17) lgkmcnt(1)
	v_fmac_f32_e32 v49, v52, v78
	v_fmac_f32_e32 v50, v53, v79
	ds_read_b128 v[30:33], v38 offset:128
	ds_read_b128 v[56:59], v38 offset:144
	s_waitcnt vmcnt(16)
	v_fmac_f32_e32 v49, v54, v80
	v_fmac_f32_e32 v50, v55, v81
	s_waitcnt vmcnt(15) lgkmcnt(2)
	v_fmac_f32_e32 v49, v60, v82
	v_fmac_f32_e32 v50, v61, v83
	s_waitcnt vmcnt(14)
	v_fmac_f32_e32 v49, v62, v84
	v_fmac_f32_e32 v50, v63, v85
	ds_read_b128 v[52:55], v38 offset:160
	ds_read_b128 v[68:71], v38 offset:176
	s_waitcnt vmcnt(13) lgkmcnt(3)
	v_fmac_f32_e32 v49, v30, v86
	v_fmac_f32_e32 v50, v31, v87
	s_waitcnt vmcnt(12)
	v_fmac_f32_e32 v49, v32, v88
	v_fmac_f32_e32 v50, v33, v89
	ds_read_b128 v[30:33], v38 offset:192
	ds_read_b128 v[60:63], v38 offset:208
	;; [unrolled: 1-line block ×3, first 2 shown]
	v_cmp_lt_i32_e64 s[0:1], v46, v47
	s_waitcnt vmcnt(11) lgkmcnt(5)
	v_fmac_f32_e32 v49, v56, v8
	v_fmac_f32_e32 v50, v57, v9
	v_cndmask_b32_e64 v51, v45, v46, s[0:1]
	s_waitcnt vmcnt(10)
	v_fmac_f32_e32 v49, v58, v12
	v_fmac_f32_e32 v50, v59, v13
	v_lshlrev_b32_e32 v51, 2, v51
	s_waitcnt vmcnt(9) lgkmcnt(4)
	v_fmac_f32_e32 v49, v52, v18
	v_fmac_f32_e32 v50, v53, v19
	s_waitcnt vmcnt(8)
	v_fmac_f32_e32 v49, v54, v16
	v_fmac_f32_e32 v50, v55, v17
	s_waitcnt vmcnt(7) lgkmcnt(3)
	v_fmac_f32_e32 v49, v68, v14
	v_fmac_f32_e32 v50, v69, v15
	s_waitcnt vmcnt(6)
	v_fmac_f32_e32 v49, v70, v10
	v_fmac_f32_e32 v50, v71, v11
	;; [unrolled: 6-line block ×4, first 2 shown]
	s_waitcnt vmcnt(0) lgkmcnt(0)
	v_fmac_f32_e32 v49, v24, v72
	v_fmac_f32_e32 v50, v25, v73
	;; [unrolled: 1-line block ×4, first 2 shown]
	v_add_f32_e32 v6, v49, v50
	ds_bpermute_b32 v7, v51, v6
	s_and_saveexec_b64 s[44:45], vcc
	s_cbranch_execz .LBB50_12
; %bb.18:                               ;   in Loop: Header=BB50_14 Depth=1
	v_add_u32_e32 v8, v43, v41
	v_cvt_f32_i32_e32 v8, v8
	s_waitcnt lgkmcnt(0)
	v_add_f32_e32 v6, v6, v7
	v_add_u32_e32 v9, v37, v41
	v_cmp_gt_i32_e64 s[0:1], s29, v9
	v_mul_f32_e32 v7, s3, v8
	v_cndmask_b32_e64 v7, 0, v7, s[6:7]
	v_fmac_f32_e32 v7, s39, v6
	v_cndmask_b32_e64 v6, 0, v7, s[0:1]
	ds_write_b32 v42, v6
	v_max_f32_e32 v6, v39, v39
	v_max_f32_e32 v6, v6, v7
	v_cndmask_b32_e64 v39, v39, v6, s[0:1]
	s_branch .LBB50_12
.LBB50_19:
	s_or_b64 exec, exec, s[42:43]
.LBB50_20:
	s_or_b64 exec, exec, s[40:41]
	v_mbcnt_hi_u32_b32 v4, -1, v36
	v_and_b32_e32 v2, 64, v4
	v_add_u32_e32 v8, 64, v2
	v_xor_b32_e32 v2, 32, v4
	v_cmp_lt_i32_e32 vcc, v2, v8
	v_xor_b32_e32 v6, 16, v4
	v_max_f32_e32 v5, v39, v39
	v_cndmask_b32_e32 v2, v4, v2, vcc
	v_lshlrev_b32_e32 v2, 2, v2
	ds_bpermute_b32 v3, v2, v39
	v_cmp_lt_i32_e32 vcc, v6, v8
	s_waitcnt lgkmcnt(1)
	v_xor_b32_e32 v7, 8, v4
	v_xor_b32_e32 v9, 4, v4
	v_and_b32_e32 v108, 63, v0
	s_waitcnt lgkmcnt(0)
	v_max_f32_e32 v3, v3, v3
	v_max_f32_e32 v5, v5, v3
	v_cndmask_b32_e32 v3, v4, v6, vcc
	v_lshlrev_b32_e32 v3, 2, v3
	ds_bpermute_b32 v6, v3, v5
	v_cmp_lt_i32_e32 vcc, v7, v8
	s_waitcnt lgkmcnt(0)
	v_max_f32_e32 v6, v6, v6
	v_max_f32_e32 v6, v5, v6
	v_cndmask_b32_e32 v5, v4, v7, vcc
	v_lshlrev_b32_e32 v5, 2, v5
	ds_bpermute_b32 v7, v5, v6
	v_cmp_lt_i32_e32 vcc, v9, v8
	s_waitcnt lgkmcnt(0)
	v_max_f32_e32 v7, v7, v7
	v_max_f32_e32 v6, v6, v7
	v_cndmask_b32_e32 v7, v4, v9, vcc
	v_lshlrev_b32_e32 v109, 2, v7
	ds_bpermute_b32 v7, v109, v6
	v_xor_b32_e32 v9, 2, v4
	v_cmp_lt_i32_e32 vcc, v9, v8
	s_waitcnt lgkmcnt(0)
	v_max_f32_e32 v7, v7, v7
	v_max_f32_e32 v7, v6, v7
	v_cndmask_b32_e32 v6, v4, v9, vcc
	v_lshlrev_b32_e32 v110, 2, v6
	ds_bpermute_b32 v9, v110, v7
	v_cmp_eq_u32_e32 vcc, 0, v108
	v_lshlrev_b32_e32 v6, 2, v35
	s_and_saveexec_b64 s[0:1], vcc
	s_cbranch_execz .LBB50_22
; %bb.21:
	s_waitcnt lgkmcnt(0)
	v_max_f32_e32 v9, v9, v9
	v_max_f32_e32 v7, v7, v7
	;; [unrolled: 1-line block ×3, first 2 shown]
	ds_write_b32 v6, v7 offset:480
.LBB50_22:
	s_or_b64 exec, exec, s[0:1]
	v_cmp_gt_u32_e64 s[0:1], 2, v108
	s_waitcnt lgkmcnt(0)
	v_mov_b32_e32 v9, 0xff7fffff
	v_lshlrev_b32_e32 v7, 2, v108
	s_barrier
	s_and_saveexec_b64 s[6:7], s[0:1]
	s_cbranch_execz .LBB50_24
; %bb.23:
	ds_read_b32 v9, v7 offset:480
.LBB50_24:
	s_or_b64 exec, exec, s[6:7]
	v_xor_b32_e32 v10, 1, v4
	v_cmp_lt_i32_e64 s[6:7], v10, v8
	s_sub_i32 s3, s47, s38
	s_lshl_b32 s3, s3, 5
	v_cndmask_b32_e64 v8, v4, v10, s[6:7]
	v_lshlrev_b32_e32 v111, 2, v8
	s_waitcnt lgkmcnt(0)
	ds_bpermute_b32 v8, v111, v9
	v_max_f32_e32 v9, v9, v9
	v_lshlrev_b32_e32 v4, 2, v4
	s_add_i32 s3, s3, s49
	s_min_i32 s15, s3, s29
	s_waitcnt lgkmcnt(0)
	v_max_f32_e32 v8, v8, v8
	v_max_f32_e32 v9, v9, v8
	v_and_b32_e32 v8, 0x100, v4
	ds_bpermute_b32 v4, v8, v9
	s_sub_i32 s3, s15, s49
	v_cmp_gt_i32_e64 s[6:7], s3, v0
	v_mov_b32_e32 v9, 0
	s_and_saveexec_b64 s[38:39], s[6:7]
	s_cbranch_execz .LBB50_28
; %bb.25:
	v_mov_b32_e32 v9, 0x1f0
	v_lshl_add_u32 v10, v0, 2, v9
	s_mov_b64 s[40:41], 0
	v_mov_b32_e32 v9, 0
	v_mov_b32_e32 v11, v0
.LBB50_26:                              ; =>This Inner Loop Header: Depth=1
	ds_read_b32 v12, v10
	v_add_u32_e32 v11, 0x80, v11
	v_cmp_le_i32_e64 s[10:11], s3, v11
	s_or_b64 s[40:41], s[10:11], s[40:41]
	s_waitcnt lgkmcnt(0)
	v_sub_f32_e32 v12, v12, v4
	v_mul_f32_e32 v12, 0x3fb8aa3b, v12
	v_exp_f32_e32 v12, v12
	ds_write_b32 v10, v12
	v_add_f32_e32 v9, v9, v12
	v_add_u32_e32 v10, 0x200, v10
	s_andn2_b64 exec, exec, s[40:41]
	s_cbranch_execnz .LBB50_26
; %bb.27:
	s_or_b64 exec, exec, s[40:41]
.LBB50_28:
	s_or_b64 exec, exec, s[38:39]
	ds_bpermute_b32 v2, v2, v9
	s_waitcnt lgkmcnt(0)
	v_add_f32_e32 v2, v9, v2
	ds_bpermute_b32 v3, v3, v2
	s_waitcnt lgkmcnt(0)
	v_add_f32_e32 v2, v2, v3
	;; [unrolled: 3-line block ×6, first 2 shown]
	s_and_saveexec_b64 s[10:11], vcc
	s_cbranch_execz .LBB50_30
; %bb.29:
	ds_write_b32 v6, v2 offset:488
.LBB50_30:
	s_or_b64 exec, exec, s[10:11]
	s_waitcnt lgkmcnt(0)
	s_barrier
	s_and_saveexec_b64 s[10:11], s[0:1]
	s_cbranch_execz .LBB50_32
; %bb.31:
	ds_read_b32 v2, v7 offset:488
.LBB50_32:
	s_or_b64 exec, exec, s[10:11]
	s_waitcnt lgkmcnt(0)
	ds_bpermute_b32 v3, v111, v2
	s_waitcnt lgkmcnt(0)
	v_add_f32_e32 v2, v2, v3
	ds_bpermute_b32 v5, v8, v2
	s_and_saveexec_b64 s[0:1], s[6:7]
	s_cbranch_execz .LBB50_45
; %bb.33:
	s_waitcnt lgkmcnt(0)
	v_add_f32_e32 v2, 0x358637bd, v5
	v_div_scale_f32 v3, s[6:7], v2, v2, 1.0
	v_rcp_f32_e32 v6, v3
	v_div_scale_f32 v7, vcc, 1.0, v2, 1.0
	s_movk_i32 s6, 0x7f
	v_fma_f32 v8, -v3, v6, 1.0
	v_fmac_f32_e32 v6, v8, v6
	v_mul_f32_e32 v8, v7, v6
	v_fma_f32 v9, -v3, v8, v7
	v_fmac_f32_e32 v8, v9, v6
	v_fma_f32 v3, -v3, v8, v7
	v_div_fmas_f32 v3, v3, v6, v8
	v_div_fixup_f32 v2, v3, v2, 1.0
	v_xad_u32 v3, v0, -1, s15
	v_subrev_u32_e32 v6, s49, v3
	v_cmp_lt_u32_e32 vcc, s6, v6
	s_mov_b64 s[10:11], -1
	v_mov_b32_e32 v3, v0
	s_and_saveexec_b64 s[6:7], vcc
	s_cbranch_execz .LBB50_42
; %bb.34:
	v_lshrrev_b32_e32 v6, 7, v6
	v_add_u32_e32 v8, -1, v6
	v_lshrrev_b32_e32 v7, 1, v8
	v_mov_b32_e32 v3, v2
	v_add_u32_e32 v7, 1, v7
	v_cmp_lt_u32_e32 vcc, 13, v8
	v_mov_b32_e32 v10, 0
	s_and_saveexec_b64 s[10:11], vcc
	s_cbranch_execz .LBB50_38
; %bb.35:
	v_mov_b32_e32 v9, 0x1f0
	v_and_b32_e32 v8, -8, v7
	v_lshl_add_u32 v9, v0, 2, v9
	s_mov_b32 s15, 0
	s_mov_b64 s[38:39], 0
.LBB50_36:                              ; =>This Inner Loop Header: Depth=1
	ds_read2st64_b32 v[10:11], v9 offset1:2
	ds_read2st64_b32 v[12:13], v9 offset0:4 offset1:6
	ds_read2st64_b32 v[14:15], v9 offset0:8 offset1:10
	;; [unrolled: 1-line block ×3, first 2 shown]
	v_add_u32_e32 v8, -8, v8
	s_waitcnt lgkmcnt(3)
	v_pk_mul_f32 v[10:11], v[2:3], v[10:11]
	s_waitcnt lgkmcnt(2)
	v_pk_mul_f32 v[12:13], v[2:3], v[12:13]
	ds_write2st64_b32 v9, v10, v11 offset1:2
	ds_write2st64_b32 v9, v12, v13 offset0:4 offset1:6
	ds_read2st64_b32 v[12:13], v9 offset0:16 offset1:18
	s_waitcnt lgkmcnt(4)
	v_pk_mul_f32 v[10:11], v[2:3], v[14:15]
	ds_write2st64_b32 v9, v10, v11 offset0:8 offset1:10
	s_waitcnt lgkmcnt(4)
	v_pk_mul_f32 v[10:11], v[2:3], v[16:17]
	ds_write2st64_b32 v9, v10, v11 offset0:12 offset1:14
	ds_read2st64_b32 v[10:11], v9 offset0:20 offset1:22
	s_waitcnt lgkmcnt(3)
	v_pk_mul_f32 v[12:13], v[2:3], v[12:13]
	ds_read2st64_b32 v[14:15], v9 offset0:24 offset1:26
	ds_write2st64_b32 v9, v12, v13 offset0:16 offset1:18
	ds_read2st64_b32 v[12:13], v9 offset0:28 offset1:30
	s_waitcnt lgkmcnt(3)
	v_pk_mul_f32 v[10:11], v[2:3], v[10:11]
	ds_write2st64_b32 v9, v10, v11 offset0:20 offset1:22
	s_waitcnt lgkmcnt(3)
	v_pk_mul_f32 v[10:11], v[2:3], v[14:15]
	ds_write2st64_b32 v9, v10, v11 offset0:24 offset1:26
	s_waitcnt lgkmcnt(2)
	v_pk_mul_f32 v[10:11], v[2:3], v[12:13]
	s_add_i32 s15, s15, 16
	v_cmp_eq_u32_e32 vcc, 0, v8
	ds_write2st64_b32 v9, v10, v11 offset0:28 offset1:30
	v_add_u32_e32 v9, 0x2000, v9
	s_or_b64 s[38:39], vcc, s[38:39]
	v_mov_b32_e32 v10, s15
	s_andn2_b64 exec, exec, s[38:39]
	s_cbranch_execnz .LBB50_36
; %bb.37:
	s_or_b64 exec, exec, s[38:39]
.LBB50_38:
	s_or_b64 exec, exec, s[10:11]
	v_and_b32_e32 v7, 7, v7
	v_cmp_ne_u32_e32 vcc, 0, v7
	s_and_saveexec_b64 s[10:11], vcc
	s_cbranch_execz .LBB50_41
; %bb.39:
	v_lshlrev_b32_e32 v8, 9, v10
	s_movk_i32 s15, 0x1f0
	v_add3_u32 v8, v8, v34, s15
	s_mov_b64 s[38:39], 0
.LBB50_40:                              ; =>This Inner Loop Header: Depth=1
	ds_read2st64_b32 v[10:11], v8 offset1:2
	v_add_u32_e32 v7, -1, v7
	v_cmp_eq_u32_e32 vcc, 0, v7
	s_or_b64 s[38:39], vcc, s[38:39]
	s_waitcnt lgkmcnt(0)
	v_pk_mul_f32 v[10:11], v[2:3], v[10:11]
	ds_write2st64_b32 v8, v10, v11 offset1:2
	v_add_u32_e32 v8, 0x400, v8
	s_andn2_b64 exec, exec, s[38:39]
	s_cbranch_execnz .LBB50_40
.LBB50_41:
	s_or_b64 exec, exec, s[10:11]
	v_add_u32_e32 v6, 1, v6
	v_and_b32_e32 v7, 0x3fffffe, v6
	v_cmp_ne_u32_e32 vcc, v6, v7
	v_lshl_add_u32 v3, v7, 7, v0
	s_orn2_b64 s[10:11], vcc, exec
.LBB50_42:
	s_or_b64 exec, exec, s[6:7]
	s_and_b64 exec, exec, s[10:11]
	s_cbranch_execz .LBB50_45
; %bb.43:
	v_mov_b32_e32 v6, 0x1f0
	v_lshl_add_u32 v6, v3, 2, v6
	s_mov_b64 s[6:7], 0
.LBB50_44:                              ; =>This Inner Loop Header: Depth=1
	ds_read_b32 v7, v6
	v_add_u32_e32 v3, 0x80, v3
	v_cmp_le_i32_e32 vcc, s3, v3
	s_or_b64 s[6:7], vcc, s[6:7]
	s_waitcnt lgkmcnt(0)
	v_mul_f32_e32 v7, v2, v7
	ds_write_b32 v6, v7
	v_add_u32_e32 v6, 0x200, v6
	s_andn2_b64 exec, exec, s[6:7]
	s_cbranch_execnz .LBB50_44
.LBB50_45:
	s_or_b64 exec, exec, s[0:1]
	s_mul_i32 s0, s16, s28
	v_cmp_eq_u32_e32 vcc, 0, v0
	s_mul_i32 s6, s0, s5
	s_waitcnt lgkmcnt(0)
	s_barrier
	s_and_saveexec_b64 s[0:1], vcc
	s_cbranch_execz .LBB50_47
; %bb.46:
	s_ashr_i32 s7, s6, 31
	s_lshl_b64 s[10:11], s[6:7], 2
	s_add_u32 s5, s22, s10
	s_mul_i32 s2, s16, s2
	s_addc_u32 s7, s23, s11
	s_ashr_i32 s3, s2, 31
	s_lshl_b64 s[2:3], s[2:3], 2
	s_add_u32 s15, s5, s2
	s_addc_u32 s7, s7, s3
	s_ashr_i32 s5, s4, 31
	s_lshl_b64 s[22:23], s[4:5], 2
	s_add_u32 s38, s15, s22
	s_addc_u32 s39, s7, s23
	s_add_u32 s5, s20, s10
	s_addc_u32 s7, s21, s11
	;; [unrolled: 2-line block ×3, first 2 shown]
	s_add_u32 s2, s2, s22
	v_mov_b32_e32 v2, 0
	s_addc_u32 s3, s3, s23
	global_store_dword v2, v4, s[38:39]
	global_store_dword v2, v5, s[2:3]
.LBB50_47:
	s_or_b64 exec, exec, s[0:1]
	v_mov_b32_e32 v82, 0
	v_and_b32_e32 v112, 7, v0
	v_mov_b32_e32 v83, 0
	v_mov_b32_e32 v78, 0
	;; [unrolled: 1-line block ×14, first 2 shown]
	s_and_saveexec_b64 s[2:3], s[8:9]
	s_cbranch_execz .LBB50_83
; %bb.48:
	s_ashr_i32 s15, s14, 31
	s_sub_i32 s5, s48, s17
	s_lshl_b64 s[0:1], s[14:15], 2
	s_add_u32 s8, s36, s0
	s_addc_u32 s9, s37, s1
	s_abs_i32 s18, s18
	v_cvt_f32_u32_e32 v3, s18
	s_sub_i32 s0, 0, s18
	s_add_i32 s17, s12, -1
	v_and_b32_e32 v2, 0xfc, v34
	v_rcp_iflag_f32_e32 v3, v3
	v_mov_b32_e32 v81, 0
	v_or_b32_e32 v4, 0x400, v2
	v_or_b32_e32 v6, 0x500, v2
	v_mul_f32_e32 v3, 0x4f7ffffe, v3
	v_cvt_u32_f32_e32 v3, v3
	v_or_b32_e32 v8, 0x600, v2
	v_or_b32_e32 v10, 0x700, v2
	;; [unrolled: 1-line block ×3, first 2 shown]
	v_mul_lo_u32 v5, s0, v3
	v_mul_hi_u32 v5, v3, v5
	s_lshl_b64 s[0:1], s[34:35], 2
	v_add_u32_e32 v115, v3, v5
	s_add_u32 s0, s30, s0
	v_lshlrev_b32_e32 v3, 4, v112
	v_or_b32_e32 v14, 0x900, v2
	v_or_b32_e32 v16, 0xa00, v2
	;; [unrolled: 1-line block ×6, first 2 shown]
	s_addc_u32 s1, s31, s1
	v_lshl_or_b32 v3, v35, 7, v3
	v_and_b32_e32 v114, 28, v34
	s_mov_b32 s7, s13
	v_lshl_add_u64 v[84:85], v[66:67], 2, s[0:1]
	v_add_u32_e32 v67, 0x1f0, v3
	s_mov_b64 s[10:11], 0
	v_lshlrev_b32_e32 v86, 2, v2
	v_lshlrev_b32_e32 v80, 2, v4
	;; [unrolled: 1-line block ×12, first 2 shown]
	v_mov_b32_e32 v113, v81
	v_mov_b32_e32 v69, v81
	;; [unrolled: 1-line block ×15, first 2 shown]
	s_branch .LBB50_51
.LBB50_49:                              ;   in Loop: Header=BB50_51 Depth=1
	s_or_b64 exec, exec, s[0:1]
	s_waitcnt vmcnt(1) lgkmcnt(0)
	v_mul_f32_e32 v63, v3, v63
	v_mul_f32_e32 v59, v3, v59
	v_mul_f32_e32 v51, v3, v51
	v_mul_f32_e32 v47, v3, v47
	v_mul_f32_e32 v43, v3, v43
	v_mul_f32_e32 v39, v3, v39
	v_mul_f32_e32 v35, v3, v35
	v_mul_f32_e32 v31, v3, v31
	v_mul_f32_e32 v27, v3, v27
	v_mul_f32_e32 v23, v3, v23
	v_mul_f32_e32 v19, v3, v19
	v_mul_f32_e32 v15, v3, v15
	v_mul_f32_e32 v11, v3, v11
	v_mul_f32_e32 v7, v3, v7
	s_waitcnt vmcnt(0)
	v_mul_f32_e32 v3, v3, v55
	v_fmac_f32_e32 v63, v2, v62
	v_fmac_f32_e32 v59, v2, v58
	;; [unrolled: 1-line block ×45, first 2 shown]
	v_add_f32_e32 v69, v69, v63
	v_add_f32_e32 v68, v68, v59
	;; [unrolled: 1-line block ×15, first 2 shown]
.LBB50_50:                              ;   in Loop: Header=BB50_51 Depth=1
	s_or_b64 exec, exec, s[12:13]
	v_add_u32_e32 v66, 2, v66
	v_cmp_le_i32_e32 vcc, s47, v66
	v_lshl_add_u64 v[84:85], v[84:85], 0, 8
	v_add_u32_e32 v1, 64, v1
	s_or_b64 s[10:11], vcc, s[10:11]
	v_add_u32_e32 v67, 0x100, v67
	s_andn2_b64 exec, exec, s[10:11]
	s_cbranch_execz .LBB50_82
.LBB50_51:                              ; =>This Inner Loop Header: Depth=1
	v_sub_u32_e32 v3, 0, v1
	v_max_i32_e32 v3, v1, v3
	v_mul_hi_u32 v4, v3, s33
	v_mul_lo_u32 v5, v4, s25
	v_sub_u32_e32 v3, v3, v5
	v_add_u32_e32 v5, 1, v4
	v_cmp_le_u32_e32 vcc, s25, v3
	v_ashrrev_i32_e32 v2, 31, v1
	v_xor_b32_e32 v2, s19, v2
	v_cndmask_b32_e32 v4, v4, v5, vcc
	v_subrev_u32_e32 v5, s25, v3
	v_cndmask_b32_e32 v3, v3, v5, vcc
	v_add_u32_e32 v5, 1, v4
	v_cmp_le_u32_e32 vcc, s25, v3
	s_nop 1
	v_cndmask_b32_e32 v3, v4, v5, vcc
	v_xor_b32_e32 v3, v3, v2
	v_sub_u32_e32 v2, v3, v2
	v_add_u32_e32 v3, s46, v2
	v_sub_u32_e32 v5, 0, v3
	v_ashrrev_i32_e32 v4, 31, v3
	v_max_i32_e32 v3, v3, v5
	v_mul_hi_u32 v5, v3, v115
	v_mul_lo_u32 v5, v5, s18
	v_sub_u32_e32 v3, v3, v5
	v_subrev_u32_e32 v5, s18, v3
	v_cmp_le_u32_e32 vcc, s18, v3
	v_cmp_lt_i32_e64 s[0:1], s5, v2
	s_nop 0
	v_cndmask_b32_e32 v3, v3, v5, vcc
	v_subrev_u32_e32 v5, s18, v3
	v_cmp_le_u32_e32 vcc, s18, v3
	s_nop 1
	v_cndmask_b32_e32 v3, v3, v5, vcc
	v_xor_b32_e32 v3, v3, v4
	v_sub_u32_e32 v3, v3, v4
	v_cmp_eq_u32_e32 vcc, 0, v3
	s_or_b64 s[0:1], vcc, s[0:1]
	s_and_saveexec_b64 s[12:13], s[0:1]
	s_cbranch_execz .LBB50_50
; %bb.52:                               ;   in Loop: Header=BB50_51 Depth=1
	global_load_dword v2, v[84:85], off
	v_mov_b32_e32 v87, v81
	v_cmp_eq_u32_e32 vcc, s17, v66
	s_waitcnt vmcnt(0)
	v_mad_i64_i32 v[2:3], s[0:1], v2, s7, 0
	v_lshl_add_u64 v[54:55], v[2:3], 2, s[8:9]
	v_lshl_add_u64 v[18:19], v[54:55], 0, v[86:87]
	global_load_dwordx4 v[6:9], v[18:19], off
	ds_read_b128 v[2:5], v67
	v_add_u32_e32 v87, v114, v1
	v_add_u32_e32 v118, 1, v87
	v_add_u32_e32 v117, 2, v87
	v_add_u32_e32 v116, 3, v87
	s_and_saveexec_b64 s[14:15], vcc
	s_cbranch_execnz .LBB50_79
; %bb.53:                               ;   in Loop: Header=BB50_51 Depth=1
	s_or_b64 exec, exec, s[14:15]
	global_load_dwordx4 v[10:13], v[18:19], off offset:1024
	s_and_saveexec_b64 s[14:15], vcc
	s_cbranch_execnz .LBB50_80
.LBB50_54:                              ;   in Loop: Header=BB50_51 Depth=1
	s_or_b64 exec, exec, s[14:15]
	global_load_dwordx4 v[14:17], v[18:19], off offset:2048
	s_and_saveexec_b64 s[14:15], vcc
	s_cbranch_execnz .LBB50_81
.LBB50_55:                              ;   in Loop: Header=BB50_51 Depth=1
	s_or_b64 exec, exec, s[14:15]
	global_load_dwordx4 v[18:21], v[18:19], off offset:3072
	s_and_saveexec_b64 s[14:15], vcc
	s_cbranch_execz .LBB50_57
.LBB50_56:                              ;   in Loop: Header=BB50_51 Depth=1
	v_cmp_gt_i32_e64 s[0:1], s29, v87
	s_waitcnt vmcnt(0)
	s_nop 0
	v_cndmask_b32_e64 v18, 0, v18, s[0:1]
	v_cmp_gt_i32_e64 s[0:1], s29, v118
	s_nop 1
	v_cndmask_b32_e64 v19, 0, v19, s[0:1]
	v_cmp_gt_i32_e64 s[0:1], s29, v117
	s_nop 1
	v_cndmask_b32_e64 v20, 0, v20, s[0:1]
	v_cmp_gt_i32_e64 s[0:1], s29, v116
	s_nop 1
	v_cndmask_b32_e64 v21, 0, v21, s[0:1]
.LBB50_57:                              ;   in Loop: Header=BB50_51 Depth=1
	s_or_b64 exec, exec, s[14:15]
	v_lshl_add_u64 v[22:23], v[54:55], 0, v[80:81]
	global_load_dwordx4 v[22:25], v[22:23], off
	s_and_saveexec_b64 s[14:15], vcc
	s_cbranch_execz .LBB50_59
; %bb.58:                               ;   in Loop: Header=BB50_51 Depth=1
	v_cmp_gt_i32_e64 s[0:1], s29, v87
	s_waitcnt vmcnt(0)
	s_nop 0
	v_cndmask_b32_e64 v22, 0, v22, s[0:1]
	v_cmp_gt_i32_e64 s[0:1], s29, v118
	s_nop 1
	v_cndmask_b32_e64 v23, 0, v23, s[0:1]
	v_cmp_gt_i32_e64 s[0:1], s29, v117
	s_nop 1
	v_cndmask_b32_e64 v24, 0, v24, s[0:1]
	v_cmp_gt_i32_e64 s[0:1], s29, v116
	s_nop 1
	v_cndmask_b32_e64 v25, 0, v25, s[0:1]
.LBB50_59:                              ;   in Loop: Header=BB50_51 Depth=1
	s_or_b64 exec, exec, s[14:15]
	v_mov_b32_e32 v89, v81
	v_lshl_add_u64 v[26:27], v[54:55], 0, v[88:89]
	global_load_dwordx4 v[26:29], v[26:27], off
	s_and_saveexec_b64 s[14:15], vcc
	s_cbranch_execz .LBB50_61
; %bb.60:                               ;   in Loop: Header=BB50_51 Depth=1
	v_cmp_gt_i32_e64 s[0:1], s29, v87
	s_waitcnt vmcnt(0)
	s_nop 0
	v_cndmask_b32_e64 v26, 0, v26, s[0:1]
	v_cmp_gt_i32_e64 s[0:1], s29, v118
	s_nop 1
	v_cndmask_b32_e64 v27, 0, v27, s[0:1]
	v_cmp_gt_i32_e64 s[0:1], s29, v117
	s_nop 1
	v_cndmask_b32_e64 v28, 0, v28, s[0:1]
	v_cmp_gt_i32_e64 s[0:1], s29, v116
	s_nop 1
	v_cndmask_b32_e64 v29, 0, v29, s[0:1]
.LBB50_61:                              ;   in Loop: Header=BB50_51 Depth=1
	s_or_b64 exec, exec, s[14:15]
	v_mov_b32_e32 v91, v81
	;; [unrolled: 21-line block ×10, first 2 shown]
	v_lshl_add_u64 v[54:55], v[54:55], 0, v[106:107]
	global_load_dwordx4 v[54:57], v[54:55], off
	s_and_saveexec_b64 s[0:1], vcc
	s_cbranch_execz .LBB50_49
; %bb.78:                               ;   in Loop: Header=BB50_51 Depth=1
	v_cmp_gt_i32_e32 vcc, s29, v87
	s_waitcnt vmcnt(0)
	s_nop 0
	v_cndmask_b32_e32 v54, 0, v54, vcc
	v_cmp_gt_i32_e32 vcc, s29, v118
	s_nop 1
	v_cndmask_b32_e32 v55, 0, v55, vcc
	v_cmp_gt_i32_e32 vcc, s29, v117
	;; [unrolled: 3-line block ×3, first 2 shown]
	s_nop 1
	v_cndmask_b32_e32 v57, 0, v57, vcc
	s_branch .LBB50_49
.LBB50_79:                              ;   in Loop: Header=BB50_51 Depth=1
	v_cmp_gt_i32_e64 s[0:1], s29, v87
	s_waitcnt vmcnt(0)
	s_nop 0
	v_cndmask_b32_e64 v6, 0, v6, s[0:1]
	v_cmp_gt_i32_e64 s[0:1], s29, v118
	s_nop 1
	v_cndmask_b32_e64 v7, 0, v7, s[0:1]
	v_cmp_gt_i32_e64 s[0:1], s29, v117
	;; [unrolled: 3-line block ×3, first 2 shown]
	s_nop 1
	v_cndmask_b32_e64 v9, 0, v9, s[0:1]
	s_or_b64 exec, exec, s[14:15]
	global_load_dwordx4 v[10:13], v[18:19], off offset:1024
	s_and_saveexec_b64 s[14:15], vcc
	s_cbranch_execz .LBB50_54
.LBB50_80:                              ;   in Loop: Header=BB50_51 Depth=1
	v_cmp_gt_i32_e64 s[0:1], s29, v87
	s_waitcnt vmcnt(0)
	s_nop 0
	v_cndmask_b32_e64 v10, 0, v10, s[0:1]
	v_cmp_gt_i32_e64 s[0:1], s29, v118
	s_nop 1
	v_cndmask_b32_e64 v11, 0, v11, s[0:1]
	v_cmp_gt_i32_e64 s[0:1], s29, v117
	;; [unrolled: 3-line block ×3, first 2 shown]
	s_nop 1
	v_cndmask_b32_e64 v13, 0, v13, s[0:1]
	s_or_b64 exec, exec, s[14:15]
	global_load_dwordx4 v[14:17], v[18:19], off offset:2048
	s_and_saveexec_b64 s[14:15], vcc
	s_cbranch_execz .LBB50_55
.LBB50_81:                              ;   in Loop: Header=BB50_51 Depth=1
	v_cmp_gt_i32_e64 s[0:1], s29, v87
	s_waitcnt vmcnt(0)
	s_nop 0
	v_cndmask_b32_e64 v14, 0, v14, s[0:1]
	v_cmp_gt_i32_e64 s[0:1], s29, v118
	s_nop 1
	v_cndmask_b32_e64 v15, 0, v15, s[0:1]
	v_cmp_gt_i32_e64 s[0:1], s29, v117
	;; [unrolled: 3-line block ×3, first 2 shown]
	s_nop 1
	v_cndmask_b32_e64 v17, 0, v17, s[0:1]
	s_or_b64 exec, exec, s[14:15]
	global_load_dwordx4 v[18:21], v[18:19], off offset:3072
	s_and_saveexec_b64 s[14:15], vcc
	s_cbranch_execnz .LBB50_56
	s_branch .LBB50_57
.LBB50_82:
	s_or_b64 exec, exec, s[10:11]
.LBB50_83:
	s_or_b64 exec, exec, s[2:3]
	ds_bpermute_b32 v4, v109, v78
	ds_bpermute_b32 v5, v109, v79
	;; [unrolled: 1-line block ×6, first 2 shown]
	s_waitcnt lgkmcnt(4)
	v_pk_add_f32 v[4:5], v[78:79], v[4:5]
	ds_bpermute_b32 v8, v110, v4
	ds_bpermute_b32 v9, v110, v5
	s_waitcnt lgkmcnt(4)
	v_pk_add_f32 v[2:3], v[82:83], v[2:3]
	ds_bpermute_b32 v6, v110, v2
	ds_bpermute_b32 v7, v110, v3
	;; [unrolled: 1-line block ×3, first 2 shown]
	s_waitcnt lgkmcnt(3)
	v_pk_add_f32 v[4:5], v[4:5], v[8:9]
	v_pk_add_f32 v[8:9], v[76:77], v[10:11]
	ds_bpermute_b32 v10, v110, v8
	ds_bpermute_b32 v11, v110, v9
	ds_bpermute_b32 v15, v109, v75
	s_waitcnt lgkmcnt(4)
	v_pk_add_f32 v[2:3], v[2:3], v[6:7]
	ds_bpermute_b32 v6, v111, v2
	ds_bpermute_b32 v7, v111, v3
	s_waitcnt lgkmcnt(3)
	v_pk_add_f32 v[8:9], v[8:9], v[10:11]
	s_waitcnt lgkmcnt(2)
	v_pk_add_f32 v[14:15], v[74:75], v[14:15]
	ds_bpermute_b32 v10, v111, v8
	ds_bpermute_b32 v11, v111, v9
	;; [unrolled: 1-line block ×6, first 2 shown]
	s_waitcnt lgkmcnt(6)
	v_pk_add_f32 v[6:7], v[2:3], v[6:7]
	s_waitcnt lgkmcnt(4)
	v_pk_add_f32 v[2:3], v[8:9], v[10:11]
	;; [unrolled: 2-line block ×3, first 2 shown]
	ds_bpermute_b32 v16, v109, v70
	ds_bpermute_b32 v17, v109, v71
	;; [unrolled: 1-line block ×4, first 2 shown]
	s_waitcnt lgkmcnt(4)
	v_pk_add_f32 v[10:11], v[72:73], v[18:19]
	ds_bpermute_b32 v18, v109, v68
	ds_bpermute_b32 v19, v109, v69
	s_waitcnt lgkmcnt(4)
	v_pk_add_f32 v[16:17], v[70:71], v[16:17]
	s_waitcnt lgkmcnt(2)
	v_pk_add_f32 v[4:5], v[4:5], v[12:13]
	ds_bpermute_b32 v12, v110, v10
	ds_bpermute_b32 v13, v110, v11
	;; [unrolled: 1-line block ×5, first 2 shown]
	s_waitcnt lgkmcnt(5)
	v_pk_add_f32 v[18:19], v[68:69], v[18:19]
	s_waitcnt lgkmcnt(3)
	v_pk_add_f32 v[10:11], v[10:11], v[12:13]
	ds_bpermute_b32 v22, v110, v18
	ds_bpermute_b32 v23, v110, v19
	s_waitcnt lgkmcnt(3)
	v_pk_add_f32 v[16:17], v[16:17], v[20:21]
	s_waitcnt lgkmcnt(2)
	v_add_f32_e32 v1, v113, v1
	ds_bpermute_b32 v12, v111, v10
	ds_bpermute_b32 v13, v111, v11
	;; [unrolled: 1-line block ×5, first 2 shown]
	s_waitcnt lgkmcnt(5)
	v_pk_add_f32 v[18:19], v[18:19], v[22:23]
	ds_bpermute_b32 v14, v111, v8
	ds_bpermute_b32 v15, v111, v9
	;; [unrolled: 1-line block ×4, first 2 shown]
	s_waitcnt lgkmcnt(7)
	v_pk_add_f32 v[12:13], v[10:11], v[12:13]
	s_waitcnt lgkmcnt(5)
	v_pk_add_f32 v[10:11], v[16:17], v[20:21]
	s_waitcnt lgkmcnt(4)
	v_add_f32_e32 v16, v1, v24
	ds_bpermute_b32 v17, v111, v16
	v_and_b32_e32 v1, 0x3c7, v0
	s_waitcnt lgkmcnt(3)
	v_pk_add_f32 v[14:15], v[8:9], v[14:15]
	s_waitcnt lgkmcnt(1)
	v_pk_add_f32 v[8:9], v[18:19], v[22:23]
	v_cmp_ne_u32_e32 vcc, 64, v1
	s_waitcnt lgkmcnt(0)
	s_barrier
	s_and_saveexec_b64 s[0:1], vcc
	s_xor_b64 s[0:1], exec, s[0:1]
; %bb.84:
                                        ; implicit-def: $vgpr108
; %bb.85:
	s_or_saveexec_b64 s[0:1], s[0:1]
	v_add_f32_e32 v16, v16, v17
	s_xor_b64 exec, exec, s[0:1]
	s_cbranch_execz .LBB50_87
; %bb.86:
	v_lshrrev_b32_e32 v17, 1, v108
	v_add_u32_e32 v17, 0x1f0, v17
	ds_write2_b32 v17, v6, v7 offset1:8
	ds_write2_b32 v17, v4, v5 offset0:16 offset1:24
	ds_write2_b32 v17, v2, v3 offset0:32 offset1:40
	;; [unrolled: 1-line block ×6, first 2 shown]
	ds_write_b32 v17, v16 offset:448
.LBB50_87:
	s_or_b64 exec, exec, s[0:1]
	v_cmp_gt_u32_e32 vcc, 64, v0
	s_waitcnt lgkmcnt(0)
	s_barrier
	s_and_saveexec_b64 s[0:1], vcc
	s_cbranch_execz .LBB50_105
; %bb.88:
	v_cmp_eq_u32_e32 vcc, 0, v112
	v_lshrrev_b32_e32 v17, 3, v0
	s_and_saveexec_b64 s[2:3], vcc
	s_cbranch_execnz .LBB50_108
; %bb.89:
	s_or_b64 exec, exec, s[2:3]
	s_and_saveexec_b64 s[2:3], vcc
	s_cbranch_execnz .LBB50_109
.LBB50_90:
	s_or_b64 exec, exec, s[2:3]
	s_and_saveexec_b64 s[2:3], vcc
	s_cbranch_execnz .LBB50_110
.LBB50_91:
	s_or_b64 exec, exec, s[2:3]
	s_and_saveexec_b64 s[2:3], vcc
	s_cbranch_execnz .LBB50_111
.LBB50_92:
	s_or_b64 exec, exec, s[2:3]
	s_and_saveexec_b64 s[2:3], vcc
	s_cbranch_execnz .LBB50_112
.LBB50_93:
	s_or_b64 exec, exec, s[2:3]
	s_and_saveexec_b64 s[2:3], vcc
	s_cbranch_execnz .LBB50_113
.LBB50_94:
	s_or_b64 exec, exec, s[2:3]
	s_and_saveexec_b64 s[2:3], vcc
	s_cbranch_execnz .LBB50_114
.LBB50_95:
	s_or_b64 exec, exec, s[2:3]
	s_and_saveexec_b64 s[2:3], vcc
	s_cbranch_execnz .LBB50_115
.LBB50_96:
	s_or_b64 exec, exec, s[2:3]
	s_and_saveexec_b64 s[2:3], vcc
	s_cbranch_execnz .LBB50_116
.LBB50_97:
	s_or_b64 exec, exec, s[2:3]
	s_and_saveexec_b64 s[2:3], vcc
	s_cbranch_execnz .LBB50_117
.LBB50_98:
	s_or_b64 exec, exec, s[2:3]
	s_and_saveexec_b64 s[2:3], vcc
	s_cbranch_execnz .LBB50_118
.LBB50_99:
	s_or_b64 exec, exec, s[2:3]
	s_and_saveexec_b64 s[2:3], vcc
	s_cbranch_execnz .LBB50_119
.LBB50_100:
	s_or_b64 exec, exec, s[2:3]
	s_and_saveexec_b64 s[2:3], vcc
	s_cbranch_execnz .LBB50_120
.LBB50_101:
	s_or_b64 exec, exec, s[2:3]
	s_and_saveexec_b64 s[2:3], vcc
	s_cbranch_execnz .LBB50_121
.LBB50_102:
	s_or_b64 exec, exec, s[2:3]
	s_and_saveexec_b64 s[2:3], vcc
	s_cbranch_execz .LBB50_104
.LBB50_103:
	v_mov_b32_e32 v18, 0x1f0
	v_lshl_add_u32 v17, v17, 2, v18
	ds_read_b32 v17, v17 offset:448
	s_waitcnt lgkmcnt(0)
	v_add_f32_e32 v16, v16, v17
.LBB50_104:
	s_or_b64 exec, exec, s[2:3]
.LBB50_105:
	s_or_b64 exec, exec, s[0:1]
	v_cmp_eq_u32_e32 vcc, 0, v1
	s_barrier
	s_and_saveexec_b64 s[0:1], vcc
	s_cbranch_execz .LBB50_107
; %bb.106:
	s_mul_i32 s0, s6, 0x78
	s_ashr_i32 s1, s0, 31
	s_lshl_b64 s[0:1], s[0:1], 2
	s_add_u32 s2, s26, s0
	s_mul_i32 s0, s16, s24
	s_addc_u32 s3, s27, s1
	s_ashr_i32 s1, s0, 31
	s_lshl_b64 s[0:1], s[0:1], 2
	s_add_u32 s2, s2, s0
	s_mul_i32 s0, s4, 0x78
	s_addc_u32 s3, s3, s1
	s_ashr_i32 s1, s0, 31
	s_lshl_b64 s[0:1], s[0:1], 2
	s_add_u32 s0, s2, s0
	s_addc_u32 s1, s3, s1
	v_lshrrev_b32_e32 v0, 1, v0
	global_store_dword v0, v6, s[0:1]
	global_store_dword v0, v7, s[0:1] offset:32
	global_store_dword v0, v4, s[0:1] offset:64
	;; [unrolled: 1-line block ×14, first 2 shown]
.LBB50_107:
	s_endpgm
.LBB50_108:
	v_mov_b32_e32 v18, 0x1f0
	v_lshl_add_u32 v18, v17, 2, v18
	ds_read_b32 v18, v18
	s_waitcnt lgkmcnt(0)
	v_add_f32_e32 v6, v6, v18
	s_or_b64 exec, exec, s[2:3]
	s_and_saveexec_b64 s[2:3], vcc
	s_cbranch_execz .LBB50_90
.LBB50_109:
	v_mov_b32_e32 v18, 0x1f0
	v_lshl_add_u32 v18, v17, 2, v18
	ds_read_b32 v18, v18 offset:32
	s_waitcnt lgkmcnt(0)
	v_add_f32_e32 v7, v7, v18
	s_or_b64 exec, exec, s[2:3]
	s_and_saveexec_b64 s[2:3], vcc
	s_cbranch_execz .LBB50_91
.LBB50_110:
	v_mov_b32_e32 v18, 0x1f0
	v_lshl_add_u32 v18, v17, 2, v18
	ds_read_b32 v18, v18 offset:64
	s_waitcnt lgkmcnt(0)
	v_add_f32_e32 v4, v4, v18
	s_or_b64 exec, exec, s[2:3]
	s_and_saveexec_b64 s[2:3], vcc
	s_cbranch_execz .LBB50_92
.LBB50_111:
	v_mov_b32_e32 v18, 0x1f0
	v_lshl_add_u32 v18, v17, 2, v18
	ds_read_b32 v18, v18 offset:96
	s_waitcnt lgkmcnt(0)
	v_add_f32_e32 v5, v5, v18
	s_or_b64 exec, exec, s[2:3]
	s_and_saveexec_b64 s[2:3], vcc
	s_cbranch_execz .LBB50_93
.LBB50_112:
	v_mov_b32_e32 v18, 0x1f0
	v_lshl_add_u32 v18, v17, 2, v18
	ds_read_b32 v18, v18 offset:128
	s_waitcnt lgkmcnt(0)
	v_add_f32_e32 v2, v2, v18
	s_or_b64 exec, exec, s[2:3]
	s_and_saveexec_b64 s[2:3], vcc
	s_cbranch_execz .LBB50_94
.LBB50_113:
	v_mov_b32_e32 v18, 0x1f0
	v_lshl_add_u32 v18, v17, 2, v18
	ds_read_b32 v18, v18 offset:160
	s_waitcnt lgkmcnt(0)
	v_add_f32_e32 v3, v3, v18
	s_or_b64 exec, exec, s[2:3]
	s_and_saveexec_b64 s[2:3], vcc
	s_cbranch_execz .LBB50_95
.LBB50_114:
	v_mov_b32_e32 v18, 0x1f0
	v_lshl_add_u32 v18, v17, 2, v18
	ds_read_b32 v18, v18 offset:192
	s_waitcnt lgkmcnt(0)
	v_add_f32_e32 v14, v14, v18
	s_or_b64 exec, exec, s[2:3]
	s_and_saveexec_b64 s[2:3], vcc
	s_cbranch_execz .LBB50_96
.LBB50_115:
	v_mov_b32_e32 v18, 0x1f0
	v_lshl_add_u32 v18, v17, 2, v18
	ds_read_b32 v18, v18 offset:224
	s_waitcnt lgkmcnt(0)
	v_add_f32_e32 v15, v15, v18
	s_or_b64 exec, exec, s[2:3]
	s_and_saveexec_b64 s[2:3], vcc
	s_cbranch_execz .LBB50_97
.LBB50_116:
	v_mov_b32_e32 v18, 0x1f0
	v_lshl_add_u32 v18, v17, 2, v18
	ds_read_b32 v18, v18 offset:256
	s_waitcnt lgkmcnt(0)
	v_add_f32_e32 v12, v12, v18
	s_or_b64 exec, exec, s[2:3]
	s_and_saveexec_b64 s[2:3], vcc
	s_cbranch_execz .LBB50_98
.LBB50_117:
	v_mov_b32_e32 v18, 0x1f0
	v_lshl_add_u32 v18, v17, 2, v18
	ds_read_b32 v18, v18 offset:288
	s_waitcnt lgkmcnt(0)
	v_add_f32_e32 v13, v13, v18
	s_or_b64 exec, exec, s[2:3]
	s_and_saveexec_b64 s[2:3], vcc
	s_cbranch_execz .LBB50_99
.LBB50_118:
	v_mov_b32_e32 v18, 0x1f0
	v_lshl_add_u32 v18, v17, 2, v18
	ds_read_b32 v18, v18 offset:320
	s_waitcnt lgkmcnt(0)
	v_add_f32_e32 v10, v10, v18
	s_or_b64 exec, exec, s[2:3]
	s_and_saveexec_b64 s[2:3], vcc
	s_cbranch_execz .LBB50_100
.LBB50_119:
	v_mov_b32_e32 v18, 0x1f0
	v_lshl_add_u32 v18, v17, 2, v18
	ds_read_b32 v18, v18 offset:352
	s_waitcnt lgkmcnt(0)
	v_add_f32_e32 v11, v11, v18
	s_or_b64 exec, exec, s[2:3]
	s_and_saveexec_b64 s[2:3], vcc
	s_cbranch_execz .LBB50_101
.LBB50_120:
	v_mov_b32_e32 v18, 0x1f0
	v_lshl_add_u32 v18, v17, 2, v18
	ds_read_b32 v18, v18 offset:384
	s_waitcnt lgkmcnt(0)
	v_add_f32_e32 v8, v8, v18
	s_or_b64 exec, exec, s[2:3]
	s_and_saveexec_b64 s[2:3], vcc
	s_cbranch_execz .LBB50_102
.LBB50_121:
	v_mov_b32_e32 v18, 0x1f0
	v_lshl_add_u32 v18, v17, 2, v18
	ds_read_b32 v18, v18 offset:416
	s_waitcnt lgkmcnt(0)
	v_add_f32_e32 v9, v9, v18
	s_or_b64 exec, exec, s[2:3]
	s_and_saveexec_b64 s[2:3], vcc
	s_cbranch_execnz .LBB50_103
	s_branch .LBB50_104
	.section	.rodata,"a",@progbits
	.p2align	6, 0x0
	.amdhsa_kernel _ZN4vllm25paged_attention_v2_kernelIffLi120ELi32ELi128ELNS_18Fp8KVCacheDataTypeE0ELb1ELi512EEEvPfS2_PT_PKS3_PKT0_S9_ifPKiSB_iPKfiiiSD_SD_iiiii
		.amdhsa_group_segment_fixed_size 496
		.amdhsa_private_segment_fixed_size 0
		.amdhsa_kernarg_size 400
		.amdhsa_user_sgpr_count 2
		.amdhsa_user_sgpr_dispatch_ptr 0
		.amdhsa_user_sgpr_queue_ptr 0
		.amdhsa_user_sgpr_kernarg_segment_ptr 1
		.amdhsa_user_sgpr_dispatch_id 0
		.amdhsa_user_sgpr_kernarg_preload_length 0
		.amdhsa_user_sgpr_kernarg_preload_offset 0
		.amdhsa_user_sgpr_private_segment_size 0
		.amdhsa_uses_dynamic_stack 0
		.amdhsa_enable_private_segment 0
		.amdhsa_system_sgpr_workgroup_id_x 1
		.amdhsa_system_sgpr_workgroup_id_y 1
		.amdhsa_system_sgpr_workgroup_id_z 1
		.amdhsa_system_sgpr_workgroup_info 0
		.amdhsa_system_vgpr_workitem_id 0
		.amdhsa_next_free_vgpr 119
		.amdhsa_next_free_sgpr 55
		.amdhsa_accum_offset 120
		.amdhsa_reserve_vcc 1
		.amdhsa_float_round_mode_32 0
		.amdhsa_float_round_mode_16_64 0
		.amdhsa_float_denorm_mode_32 3
		.amdhsa_float_denorm_mode_16_64 3
		.amdhsa_dx10_clamp 1
		.amdhsa_ieee_mode 1
		.amdhsa_fp16_overflow 0
		.amdhsa_tg_split 0
		.amdhsa_exception_fp_ieee_invalid_op 0
		.amdhsa_exception_fp_denorm_src 0
		.amdhsa_exception_fp_ieee_div_zero 0
		.amdhsa_exception_fp_ieee_overflow 0
		.amdhsa_exception_fp_ieee_underflow 0
		.amdhsa_exception_fp_ieee_inexact 0
		.amdhsa_exception_int_div_zero 0
	.end_amdhsa_kernel
	.section	.text._ZN4vllm25paged_attention_v2_kernelIffLi120ELi32ELi128ELNS_18Fp8KVCacheDataTypeE0ELb1ELi512EEEvPfS2_PT_PKS3_PKT0_S9_ifPKiSB_iPKfiiiSD_SD_iiiii,"axG",@progbits,_ZN4vllm25paged_attention_v2_kernelIffLi120ELi32ELi128ELNS_18Fp8KVCacheDataTypeE0ELb1ELi512EEEvPfS2_PT_PKS3_PKT0_S9_ifPKiSB_iPKfiiiSD_SD_iiiii,comdat
.Lfunc_end50:
	.size	_ZN4vllm25paged_attention_v2_kernelIffLi120ELi32ELi128ELNS_18Fp8KVCacheDataTypeE0ELb1ELi512EEEvPfS2_PT_PKS3_PKT0_S9_ifPKiSB_iPKfiiiSD_SD_iiiii, .Lfunc_end50-_ZN4vllm25paged_attention_v2_kernelIffLi120ELi32ELi128ELNS_18Fp8KVCacheDataTypeE0ELb1ELi512EEEvPfS2_PT_PKS3_PKT0_S9_ifPKiSB_iPKfiiiSD_SD_iiiii
                                        ; -- End function
	.section	.AMDGPU.csdata,"",@progbits
; Kernel info:
; codeLenInByte = 8380
; NumSgprs: 61
; NumVgprs: 119
; NumAgprs: 0
; TotalNumVgprs: 119
; ScratchSize: 0
; MemoryBound: 0
; FloatMode: 240
; IeeeMode: 1
; LDSByteSize: 496 bytes/workgroup (compile time only)
; SGPRBlocks: 7
; VGPRBlocks: 14
; NumSGPRsForWavesPerEU: 61
; NumVGPRsForWavesPerEU: 119
; AccumOffset: 120
; Occupancy: 4
; WaveLimiterHint : 1
; COMPUTE_PGM_RSRC2:SCRATCH_EN: 0
; COMPUTE_PGM_RSRC2:USER_SGPR: 2
; COMPUTE_PGM_RSRC2:TRAP_HANDLER: 0
; COMPUTE_PGM_RSRC2:TGID_X_EN: 1
; COMPUTE_PGM_RSRC2:TGID_Y_EN: 1
; COMPUTE_PGM_RSRC2:TGID_Z_EN: 1
; COMPUTE_PGM_RSRC2:TIDIG_COMP_CNT: 0
; COMPUTE_PGM_RSRC3_GFX90A:ACCUM_OFFSET: 29
; COMPUTE_PGM_RSRC3_GFX90A:TG_SPLIT: 0
	.section	.text._ZN4vllm25paged_attention_v2_kernelIffLi128ELi32ELi128ELNS_18Fp8KVCacheDataTypeE0ELb1ELi512EEEvPfS2_PT_PKS3_PKT0_S9_ifPKiSB_iPKfiiiSD_SD_iiiii,"axG",@progbits,_ZN4vllm25paged_attention_v2_kernelIffLi128ELi32ELi128ELNS_18Fp8KVCacheDataTypeE0ELb1ELi512EEEvPfS2_PT_PKS3_PKT0_S9_ifPKiSB_iPKfiiiSD_SD_iiiii,comdat
	.protected	_ZN4vllm25paged_attention_v2_kernelIffLi128ELi32ELi128ELNS_18Fp8KVCacheDataTypeE0ELb1ELi512EEEvPfS2_PT_PKS3_PKT0_S9_ifPKiSB_iPKfiiiSD_SD_iiiii ; -- Begin function _ZN4vllm25paged_attention_v2_kernelIffLi128ELi32ELi128ELNS_18Fp8KVCacheDataTypeE0ELb1ELi512EEEvPfS2_PT_PKS3_PKT0_S9_ifPKiSB_iPKfiiiSD_SD_iiiii
	.globl	_ZN4vllm25paged_attention_v2_kernelIffLi128ELi32ELi128ELNS_18Fp8KVCacheDataTypeE0ELb1ELi512EEEvPfS2_PT_PKS3_PKT0_S9_ifPKiSB_iPKfiiiSD_SD_iiiii
	.p2align	8
	.type	_ZN4vllm25paged_attention_v2_kernelIffLi128ELi32ELi128ELNS_18Fp8KVCacheDataTypeE0ELb1ELi512EEEvPfS2_PT_PKS3_PKT0_S9_ifPKiSB_iPKfiiiSD_SD_iiiii,@function
_ZN4vllm25paged_attention_v2_kernelIffLi128ELi32ELi128ELNS_18Fp8KVCacheDataTypeE0ELb1ELi512EEEvPfS2_PT_PKS3_PKT0_S9_ifPKiSB_iPKfiiiSD_SD_iiiii: ; @_ZN4vllm25paged_attention_v2_kernelIffLi128ELi32ELi128ELNS_18Fp8KVCacheDataTypeE0ELb1ELi512EEEvPfS2_PT_PKS3_PKT0_S9_ifPKiSB_iPKfiiiSD_SD_iiiii
; %bb.0:
	s_load_dwordx2 s[6:7], s[0:1], 0x40
	s_mov_b32 s30, s3
	s_ashr_i32 s31, s3, 31
	s_lshl_b64 s[8:9], s[30:31], 2
	s_waitcnt lgkmcnt(0)
	s_add_u32 s6, s6, s8
	s_addc_u32 s7, s7, s9
	s_load_dword s31, s[6:7], 0x0
	s_lshl_b32 s51, s4, 9
	s_waitcnt lgkmcnt(0)
	s_cmp_ge_i32 s51, s31
	s_cbranch_scc1 .LBB51_110
; %bb.1:
	s_load_dword s5, s[0:1], 0x90
	s_load_dwordx2 s[40:41], s[0:1], 0x30
	s_waitcnt lgkmcnt(0)
	s_abs_i32 s7, s5
	s_abs_i32 s3, s40
	v_cvt_f32_u32_e32 v1, s3
	s_sub_i32 s8, 0, s3
	s_xor_b32 s6, s5, s40
	s_ashr_i32 s6, s6, 31
	v_rcp_iflag_f32_e32 v1, v1
	s_nop 0
	v_mul_f32_e32 v1, 0x4f7ffffe, v1
	v_cvt_u32_f32_e32 v1, v1
	s_nop 0
	v_readfirstlane_b32 s9, v1
	s_mul_i32 s8, s8, s9
	s_mul_hi_u32 s8, s9, s8
	s_add_i32 s9, s9, s8
	s_mul_hi_u32 s8, s7, s9
	s_mul_i32 s9, s8, s3
	s_sub_i32 s7, s7, s9
	s_add_i32 s10, s8, 1
	s_sub_i32 s9, s7, s3
	s_cmp_ge_u32 s7, s3
	s_cselect_b32 s8, s10, s8
	s_cselect_b32 s7, s9, s7
	s_add_i32 s9, s8, 1
	s_cmp_ge_u32 s7, s3
	s_cselect_b32 s3, s9, s8
	s_xor_b32 s3, s3, s6
	s_sub_i32 s10, s3, s6
	s_abs_i32 s8, s10
	v_cvt_f32_u32_e32 v1, s8
	s_load_dwordx2 s[6:7], s[0:1], 0x50
	s_sub_i32 s11, 0, s8
	s_abs_i32 s9, s2
	v_rcp_iflag_f32_e32 v1, v1
	s_mov_b32 s3, 0
	v_mul_f32_e32 v1, 0x4f7ffffe, v1
	v_cvt_u32_f32_e32 v1, v1
	s_nop 0
	v_readfirstlane_b32 s12, v1
	s_mul_i32 s11, s11, s12
	s_mul_hi_u32 s11, s12, s11
	s_add_i32 s12, s12, s11
	s_waitcnt lgkmcnt(0)
	s_cmp_eq_u64 s[6:7], 0
	s_mul_hi_u32 s12, s9, s12
	s_cbranch_scc1 .LBB51_3
; %bb.2:
	s_ashr_i32 s3, s2, 31
	s_lshl_b64 s[14:15], s[2:3], 2
	s_add_u32 s6, s6, s14
	s_addc_u32 s7, s7, s15
	s_load_dword s3, s[6:7], 0x0
.LBB51_3:
	s_load_dwordx4 s[16:19], s[0:1], 0x58
	s_ashr_i32 s13, s2, 31
	s_ashr_i32 s20, s10, 31
	v_and_b32_e32 v4, 1, v0
	s_lshl_b32 s14, s2, 7
	v_cmp_gt_u32_e64 s[10:11], 64, v0
	v_lshlrev_b32_e32 v2, 3, v0
	v_lshlrev_b32_e32 v44, 2, v0
	s_and_saveexec_b64 s[6:7], s[10:11]
	s_cbranch_execz .LBB51_5
; %bb.4:
	s_load_dwordx2 s[22:23], s[0:1], 0x18
	s_waitcnt lgkmcnt(0)
	s_mul_i32 s24, s30, s16
	s_ashr_i32 s25, s24, 31
	s_lshl_b64 s[24:25], s[24:25], 2
	v_and_b32_e32 v1, 0xff8, v44
	s_add_u32 s16, s22, s24
	s_addc_u32 s19, s23, s25
	s_ashr_i32 s15, s14, 31
	s_lshl_b64 s[22:23], s[14:15], 2
	s_add_u32 s22, s16, s22
	s_addc_u32 s23, s19, s23
	global_load_dwordx2 v[6:7], v2, s[22:23]
	v_lshl_add_u32 v1, v4, 8, v1
	s_waitcnt vmcnt(0)
	ds_write_b64 v1, v[6:7]
.LBB51_5:
	s_or_b64 exec, exec, s[6:7]
	s_mul_i32 s7, s12, s8
	s_sub_i32 s7, s9, s7
	s_xor_b32 s6, s13, s20
	s_add_i32 s9, s12, 1
	s_sub_i32 s13, s7, s8
	s_load_dwordx4 s[20:23], s[0:1], 0x78
	s_cmp_ge_u32 s7, s8
	s_cselect_b32 s9, s9, s12
	s_cselect_b32 s7, s13, s7
	s_load_dword s13, s[0:1], 0x88
	s_add_i32 s12, s9, 1
	s_cmp_ge_u32 s7, s8
	s_cselect_b32 s7, s12, s9
	s_waitcnt lgkmcnt(0)
	s_abs_i32 s33, s23
	v_cvt_f32_u32_e32 v1, s33
	s_xor_b32 s7, s7, s6
	s_sub_i32 s8, s7, s6
	s_sub_i32 s6, 0, s33
	v_rcp_iflag_f32_e32 v1, v1
	s_add_i32 s15, s31, -1
	s_abs_i32 s9, s15
	v_mul_f32_e32 v1, 0x4f7ffffe, v1
	v_cvt_u32_f32_e32 v1, v1
	s_barrier
	v_readfirstlane_b32 s48, v1
	s_mul_i32 s6, s6, s48
	s_mul_hi_u32 s6, s48, s6
	s_add_i32 s48, s48, s6
	s_cmp_lt_i32 s13, 0
	s_mul_hi_u32 s12, s9, s48
	s_cbranch_scc0 .LBB51_7
; %bb.6:
	s_mul_i32 s6, s20, s40
	s_add_i32 s6, s8, s6
	s_mul_i32 s6, s6, s13
	s_sub_i32 s49, 1, s6
	s_mov_b64 s[6:7], 0
	s_branch .LBB51_8
.LBB51_7:
	s_mov_b64 s[6:7], -1
                                        ; implicit-def: $sgpr49
.LBB51_8:
	s_load_dwordx2 s[34:35], s[0:1], 0x38
	s_ashr_i32 s16, s15, 31
	s_andn2_b64 vcc, exec, s[6:7]
	s_ashr_i32 s23, s23, 31
	s_cbranch_vccnz .LBB51_10
; %bb.9:
	s_mul_i32 s6, s5, s20
	s_add_i32 s6, s6, s2
	s_mul_i32 s6, s6, s13
	s_add_i32 s49, s6, 1
.LBB51_10:
	s_load_dword s6, s[0:1], 0x48
	s_load_dwordx2 s[38:39], s[0:1], 0x28
	s_load_dword s15, s[0:1], 0x98
	s_load_dwordx4 s[24:27], s[0:1], 0x0
	s_load_dwordx2 s[28:29], s[0:1], 0x10
	s_mul_i32 s7, s12, s33
	s_waitcnt lgkmcnt(0)
	s_mul_i32 s36, s30, s6
	s_sub_i32 s7, s9, s7
	s_ashr_i32 s37, s36, 31
	s_xor_b32 s6, s16, s23
	s_add_i32 s9, s12, 1
	s_sub_i32 s13, s7, s33
	s_cmp_ge_u32 s7, s33
	s_cselect_b32 s9, s9, s12
	s_cselect_b32 s7, s13, s7
	s_add_i32 s12, s9, 1
	s_cmp_ge_u32 s7, s33
	s_cselect_b32 s7, s12, s9
	s_xor_b32 s7, s7, s6
	s_sub_i32 s50, s7, s6
	s_add_i32 s6, s31, 31
	s_ashr_i32 s7, s6, 31
	s_lshr_b32 s7, s7, 27
	s_add_i32 s6, s6, s7
	s_lshl_b32 s40, s4, 4
	s_ashr_i32 s16, s6, 5
	s_add_i32 s6, s40, 16
	v_lshrrev_b32_e32 v45, 6, v0
	s_min_i32 s20, s6, s16
	v_or_b32_e32 v70, s40, v45
	v_cmp_gt_i32_e64 s[6:7], s20, v70
	v_mov_b32_e32 v49, 0xff7fffff
	s_mul_i32 s18, s8, s18
	v_ashrrev_i32_e32 v71, 31, v70
	v_lshl_add_u32 v1, v45, 5, s51
	v_mbcnt_lo_u32_b32 v46, -1, 0
	s_and_saveexec_b64 s[42:43], s[6:7]
	s_cbranch_execz .LBB51_20
; %bb.11:
	s_load_dwordx2 s[0:1], s[0:1], 0x20
	s_ashr_i32 s19, s18, 31
	s_sub_i32 s52, s50, s21
	s_lshl_b64 s[8:9], s[18:19], 2
	v_bfe_u32 v47, v0, 1, 5
	s_waitcnt lgkmcnt(0)
	s_add_u32 s0, s0, s8
	s_addc_u32 s1, s1, s9
	s_abs_i32 s19, s22
	v_cvt_f32_u32_e32 v3, s19
	v_lshlrev_b32_e32 v6, 4, v47
	v_mov_b32_e32 v7, 0
	v_lshlrev_b32_e32 v10, 2, v47
	v_rcp_iflag_f32_e32 v5, v3
	v_lshl_add_u64 v[8:9], s[0:1], 0, v[6:7]
	v_and_b32_e32 v6, 8, v2
	s_sub_i32 s0, 0, s19
	v_mul_f32_e32 v5, 0x4f7ffffe, v5
	v_cvt_u32_f32_e32 v5, v5
	v_cmp_eq_u32_e32 vcc, 0, v4
	v_lshl_add_u64 v[2:3], v[8:9], 0, v[6:7]
	v_lshlrev_b32_e32 v48, 8, v4
	v_mul_lo_u32 v4, s0, v5
	s_lshl_b64 s[0:1], s[36:37], 2
	v_lshl_or_b32 v6, v45, 7, v10
	s_add_u32 s0, s34, s0
	v_add_u32_e32 v52, 0x210, v6
	v_subrev_u32_e32 v6, s31, v47
	v_mbcnt_hi_u32_b32 v55, -1, v46
	v_mul_hi_u32 v4, v5, v4
	s_addc_u32 s1, s35, s1
	v_add_u32_e32 v53, 1, v6
	v_and_b32_e32 v6, 64, v55
	s_mov_b32 s53, s17
	v_cmp_neq_f32_e64 s[8:9], s3, 0
	v_add_u32_e32 v50, v5, v4
	v_lshl_add_u64 v[4:5], v[70:71], 2, s[0:1]
	v_lshl_add_u32 v51, v45, 5, s51
	s_mov_b64 s[44:45], 0
	v_mov_b32_e32 v54, 0xff7fffff
	s_movk_i32 s54, 0x1000
	s_movk_i32 s55, 0x2000
	;; [unrolled: 1-line block ×3, first 2 shown]
	v_xor_b32_e32 v56, 1, v55
	v_add_u32_e32 v57, 64, v6
	v_mov_b32_e32 v49, 0xff7fffff
	v_mov_b32_e32 v58, v70
	s_branch .LBB51_14
.LBB51_12:                              ;   in Loop: Header=BB51_14 Depth=1
	s_or_b64 exec, exec, s[46:47]
.LBB51_13:                              ;   in Loop: Header=BB51_14 Depth=1
	s_or_b64 exec, exec, s[12:13]
	v_add_u32_e32 v58, 2, v58
	v_cmp_le_i32_e64 s[0:1], s20, v58
	v_lshl_add_u64 v[4:5], v[4:5], 0, 8
	v_add_u32_e32 v51, 64, v51
	s_or_b64 s[44:45], s[0:1], s[44:45]
	v_add_u32_e32 v52, 0x100, v52
	s_andn2_b64 exec, exec, s[44:45]
	s_cbranch_execz .LBB51_19
.LBB51_14:                              ; =>This Inner Loop Header: Depth=1
	s_waitcnt lgkmcnt(0)
	v_sub_u32_e32 v7, 0, v51
	v_max_i32_e32 v7, v51, v7
	v_mul_hi_u32 v8, v7, s48
	v_mul_lo_u32 v9, v8, s33
	v_sub_u32_e32 v7, v7, v9
	v_add_u32_e32 v9, 1, v8
	v_cmp_le_u32_e64 s[0:1], s33, v7
	v_ashrrev_i32_e32 v6, 31, v51
	v_xor_b32_e32 v6, s23, v6
	v_cndmask_b32_e64 v8, v8, v9, s[0:1]
	v_subrev_u32_e32 v9, s33, v7
	v_cndmask_b32_e64 v7, v7, v9, s[0:1]
	v_add_u32_e32 v9, 1, v8
	v_cmp_le_u32_e64 s[0:1], s33, v7
	s_nop 1
	v_cndmask_b32_e64 v7, v8, v9, s[0:1]
	v_xor_b32_e32 v7, v7, v6
	v_sub_u32_e32 v6, v7, v6
	v_add_u32_e32 v7, s49, v6
	v_sub_u32_e32 v9, 0, v7
	v_ashrrev_i32_e32 v8, 31, v7
	v_max_i32_e32 v7, v7, v9
	v_mul_hi_u32 v9, v7, v50
	v_mul_lo_u32 v9, v9, s19
	v_sub_u32_e32 v7, v7, v9
	v_subrev_u32_e32 v9, s19, v7
	v_cmp_le_u32_e64 s[0:1], s19, v7
	v_cmp_ge_i32_e64 s[12:13], s52, v6
	s_nop 0
	v_cndmask_b32_e64 v7, v7, v9, s[0:1]
	v_subrev_u32_e32 v9, s19, v7
	v_cmp_le_u32_e64 s[0:1], s19, v7
	s_nop 1
	v_cndmask_b32_e64 v7, v7, v9, s[0:1]
	v_xor_b32_e32 v7, v7, v8
	v_sub_u32_e32 v7, v7, v8
	v_cmp_ne_u32_e64 s[0:1], 0, v7
	s_and_b64 s[0:1], s[0:1], s[12:13]
	s_and_b64 s[46:47], vcc, s[0:1]
	s_and_saveexec_b64 s[12:13], s[46:47]
	s_cbranch_execz .LBB51_16
; %bb.15:                               ;   in Loop: Header=BB51_14 Depth=1
	ds_write_b32 v52, v54
.LBB51_16:                              ;   in Loop: Header=BB51_14 Depth=1
	s_or_b64 exec, exec, s[12:13]
	s_xor_b64 s[0:1], s[0:1], -1
	s_and_saveexec_b64 s[12:13], s[0:1]
	s_cbranch_execz .LBB51_13
; %bb.17:                               ;   in Loop: Header=BB51_14 Depth=1
	global_load_dword v6, v[4:5], off
	s_waitcnt vmcnt(0)
	v_mad_i64_i32 v[6:7], s[0:1], v6, s53, 0
	v_lshl_add_u64 v[14:15], v[6:7], 2, v[2:3]
	v_add_co_u32_e64 v74, s[0:1], s55, v14
	global_load_dwordx2 v[16:17], v[14:15], off offset:512
	global_load_dwordx2 v[22:23], v[14:15], off
	global_load_dwordx2 v[24:25], v[14:15], off offset:1024
	global_load_dwordx2 v[26:27], v[14:15], off offset:1536
	;; [unrolled: 1-line block ×6, first 2 shown]
	v_addc_co_u32_e64 v75, s[0:1], 0, v15, s[0:1]
	global_load_dwordx2 v[76:77], v[74:75], off offset:-4096
	v_add_co_u32_e64 v18, s[0:1], s54, v14
	s_nop 1
	v_addc_co_u32_e64 v19, s[0:1], 0, v15, s[0:1]
	global_load_dwordx2 v[78:79], v[18:19], off offset:512
	global_load_dwordx2 v[80:81], v[18:19], off offset:1024
	ds_read_b128 v[6:9], v48
	ds_read_b128 v[10:13], v48 offset:16
	global_load_dwordx2 v[42:43], v[18:19], off offset:1536
	global_load_dwordx2 v[36:37], v[18:19], off offset:2048
	;; [unrolled: 1-line block ×5, first 2 shown]
	v_add_co_u32_e64 v82, s[0:1], s56, v14
	s_waitcnt vmcnt(15) lgkmcnt(1)
	v_mul_f32_e32 v59, v8, v16
	v_addc_co_u32_e64 v83, s[0:1], 0, v15, s[0:1]
	v_mul_f32_e32 v60, v9, v17
	ds_read_b128 v[14:17], v48 offset:32
	ds_read_b128 v[18:21], v48 offset:48
	global_load_dwordx2 v[84:85], v[74:75], off
	global_load_dwordx2 v[86:87], v[74:75], off offset:512
	global_load_dwordx2 v[32:33], v[74:75], off offset:1024
	;; [unrolled: 1-line block ×3, first 2 shown]
	s_waitcnt vmcnt(18)
	v_fmac_f32_e32 v59, v6, v22
	v_fmac_f32_e32 v60, v7, v23
	s_waitcnt vmcnt(17) lgkmcnt(2)
	v_fmac_f32_e32 v59, v10, v24
	v_fmac_f32_e32 v60, v11, v25
	s_waitcnt vmcnt(16)
	v_fmac_f32_e32 v59, v12, v26
	v_fmac_f32_e32 v60, v13, v27
	s_waitcnt vmcnt(15) lgkmcnt(1)
	v_fmac_f32_e32 v59, v14, v28
	v_fmac_f32_e32 v60, v15, v29
	ds_read_b128 v[24:27], v48 offset:64
	ds_read_b128 v[62:65], v48 offset:80
	global_load_dwordx2 v[14:15], v[74:75], off offset:2048
	global_load_dwordx2 v[12:13], v[74:75], off offset:2560
	global_load_dwordx2 v[10:11], v[74:75], off offset:3072
	global_load_dwordx2 v[8:9], v[74:75], off offset:3584
	s_waitcnt vmcnt(18)
	v_fmac_f32_e32 v59, v16, v66
	v_fmac_f32_e32 v60, v17, v67
	global_load_dwordx2 v[16:17], v[82:83], off
	s_waitcnt vmcnt(18) lgkmcnt(2)
	v_fmac_f32_e32 v59, v18, v68
	v_fmac_f32_e32 v60, v19, v69
	global_load_dwordx2 v[18:19], v[82:83], off offset:512
	s_waitcnt vmcnt(18)
	v_fmac_f32_e32 v59, v20, v72
	v_fmac_f32_e32 v60, v21, v73
	global_load_dwordx2 v[20:21], v[82:83], off offset:1024
	s_waitcnt vmcnt(18) lgkmcnt(1)
	v_fmac_f32_e32 v59, v24, v76
	v_fmac_f32_e32 v60, v25, v77
	global_load_dwordx2 v[24:25], v[82:83], off offset:1536
	global_load_dwordx2 v[6:7], v[82:83], off offset:3584
	s_waitcnt vmcnt(19)
	v_fmac_f32_e32 v59, v26, v78
	v_fmac_f32_e32 v60, v27, v79
	global_load_dwordx2 v[28:29], v[82:83], off offset:2048
	global_load_dwordx2 v[26:27], v[82:83], off offset:2560
	;; [unrolled: 1-line block ×3, first 2 shown]
	ds_read_b128 v[66:69], v48 offset:96
	s_waitcnt vmcnt(21) lgkmcnt(1)
	v_fmac_f32_e32 v59, v62, v80
	v_fmac_f32_e32 v60, v63, v81
	s_waitcnt vmcnt(20)
	v_fmac_f32_e32 v59, v64, v42
	v_fmac_f32_e32 v60, v65, v43
	ds_read_b128 v[62:65], v48 offset:112
	s_waitcnt vmcnt(19) lgkmcnt(1)
	v_fmac_f32_e32 v59, v66, v36
	v_fmac_f32_e32 v60, v67, v37
	s_waitcnt vmcnt(18)
	v_fmac_f32_e32 v59, v68, v34
	v_fmac_f32_e32 v60, v69, v35
	ds_read_b128 v[34:37], v48 offset:128
	ds_read_b128 v[66:69], v48 offset:144
	s_waitcnt vmcnt(17) lgkmcnt(2)
	v_fmac_f32_e32 v59, v62, v40
	v_fmac_f32_e32 v60, v63, v41
	s_waitcnt vmcnt(16)
	v_fmac_f32_e32 v59, v64, v38
	v_fmac_f32_e32 v60, v65, v39
	ds_read_b128 v[38:41], v48 offset:160
	ds_read_b128 v[62:65], v48 offset:176
	v_cmp_lt_i32_e64 s[0:1], v56, v57
	s_waitcnt vmcnt(15) lgkmcnt(3)
	v_fmac_f32_e32 v59, v34, v84
	v_fmac_f32_e32 v60, v35, v85
	s_waitcnt vmcnt(14)
	v_fmac_f32_e32 v59, v36, v86
	v_fmac_f32_e32 v60, v37, v87
	s_waitcnt vmcnt(13) lgkmcnt(2)
	v_fmac_f32_e32 v59, v66, v32
	v_fmac_f32_e32 v60, v67, v33
	s_waitcnt vmcnt(12)
	v_fmac_f32_e32 v59, v68, v30
	v_fmac_f32_e32 v60, v69, v31
	ds_read_b128 v[34:37], v48 offset:192
	ds_read_b128 v[72:75], v48 offset:208
	;; [unrolled: 1-line block ×4, first 2 shown]
	s_waitcnt vmcnt(11) lgkmcnt(5)
	v_fmac_f32_e32 v59, v38, v14
	v_fmac_f32_e32 v60, v39, v15
	s_waitcnt vmcnt(10)
	v_fmac_f32_e32 v59, v40, v12
	v_fmac_f32_e32 v60, v41, v13
	s_waitcnt vmcnt(9) lgkmcnt(4)
	v_fmac_f32_e32 v59, v62, v10
	v_fmac_f32_e32 v60, v63, v11
	s_waitcnt vmcnt(8)
	v_fmac_f32_e32 v59, v64, v8
	v_fmac_f32_e32 v60, v65, v9
	;; [unrolled: 6-line block ×3, first 2 shown]
	s_waitcnt vmcnt(5) lgkmcnt(2)
	v_fmac_f32_e32 v59, v20, v72
	v_fmac_f32_e32 v60, v21, v73
	v_cndmask_b32_e64 v42, v55, v56, s[0:1]
	s_waitcnt vmcnt(4)
	v_fmac_f32_e32 v59, v24, v74
	v_fmac_f32_e32 v60, v25, v75
	s_waitcnt vmcnt(2) lgkmcnt(1)
	v_fmac_f32_e32 v59, v28, v30
	v_fmac_f32_e32 v60, v29, v31
	s_waitcnt vmcnt(1)
	v_fmac_f32_e32 v59, v26, v32
	v_fmac_f32_e32 v60, v27, v33
	s_waitcnt vmcnt(0) lgkmcnt(0)
	v_fmac_f32_e32 v59, v22, v66
	v_fmac_f32_e32 v60, v23, v67
	;; [unrolled: 1-line block ×4, first 2 shown]
	v_lshlrev_b32_e32 v42, 2, v42
	v_add_f32_e32 v6, v59, v60
	ds_bpermute_b32 v7, v42, v6
	s_and_saveexec_b64 s[46:47], vcc
	s_cbranch_execz .LBB51_12
; %bb.18:                               ;   in Loop: Header=BB51_14 Depth=1
	v_add_u32_e32 v8, v53, v51
	v_cvt_f32_i32_e32 v8, v8
	s_waitcnt lgkmcnt(0)
	v_add_f32_e32 v6, v6, v7
	v_add_u32_e32 v9, v47, v51
	v_cmp_gt_i32_e64 s[0:1], s31, v9
	v_mul_f32_e32 v7, s3, v8
	v_cndmask_b32_e64 v7, 0, v7, s[8:9]
	v_fmac_f32_e32 v7, s41, v6
	v_cndmask_b32_e64 v6, 0, v7, s[0:1]
	ds_write_b32 v52, v6
	v_max_f32_e32 v6, v49, v49
	v_max_f32_e32 v6, v6, v7
	v_cndmask_b32_e64 v49, v49, v6, s[0:1]
	s_branch .LBB51_12
.LBB51_19:
	s_or_b64 exec, exec, s[44:45]
.LBB51_20:
	s_or_b64 exec, exec, s[42:43]
	v_mbcnt_hi_u32_b32 v4, -1, v46
	v_and_b32_e32 v2, 64, v4
	v_add_u32_e32 v8, 64, v2
	v_xor_b32_e32 v2, 32, v4
	v_cmp_lt_i32_e32 vcc, v2, v8
	v_xor_b32_e32 v6, 16, v4
	v_max_f32_e32 v5, v49, v49
	v_cndmask_b32_e32 v2, v4, v2, vcc
	v_lshlrev_b32_e32 v2, 2, v2
	ds_bpermute_b32 v3, v2, v49
	v_cmp_lt_i32_e32 vcc, v6, v8
	s_waitcnt lgkmcnt(1)
	v_xor_b32_e32 v7, 8, v4
	v_xor_b32_e32 v9, 4, v4
	v_and_b32_e32 v116, 63, v0
	s_waitcnt lgkmcnt(0)
	v_max_f32_e32 v3, v3, v3
	v_max_f32_e32 v5, v5, v3
	v_cndmask_b32_e32 v3, v4, v6, vcc
	v_lshlrev_b32_e32 v3, 2, v3
	ds_bpermute_b32 v6, v3, v5
	v_cmp_lt_i32_e32 vcc, v7, v8
	s_waitcnt lgkmcnt(0)
	v_max_f32_e32 v6, v6, v6
	v_max_f32_e32 v6, v5, v6
	v_cndmask_b32_e32 v5, v4, v7, vcc
	v_lshlrev_b32_e32 v5, 2, v5
	ds_bpermute_b32 v7, v5, v6
	v_cmp_lt_i32_e32 vcc, v9, v8
	s_waitcnt lgkmcnt(0)
	v_max_f32_e32 v7, v7, v7
	v_max_f32_e32 v6, v6, v7
	v_cndmask_b32_e32 v7, v4, v9, vcc
	v_lshlrev_b32_e32 v118, 2, v7
	ds_bpermute_b32 v7, v118, v6
	v_xor_b32_e32 v9, 2, v4
	v_cmp_lt_i32_e32 vcc, v9, v8
	s_waitcnt lgkmcnt(0)
	v_max_f32_e32 v7, v7, v7
	v_max_f32_e32 v7, v6, v7
	v_cndmask_b32_e32 v6, v4, v9, vcc
	v_lshlrev_b32_e32 v117, 2, v6
	ds_bpermute_b32 v9, v117, v7
	v_cmp_eq_u32_e32 vcc, 0, v116
	v_lshlrev_b32_e32 v6, 2, v45
	s_and_saveexec_b64 s[0:1], vcc
	s_cbranch_execz .LBB51_22
; %bb.21:
	s_waitcnt lgkmcnt(0)
	v_max_f32_e32 v9, v9, v9
	v_max_f32_e32 v7, v7, v7
	;; [unrolled: 1-line block ×3, first 2 shown]
	ds_write_b32 v6, v7 offset:512
.LBB51_22:
	s_or_b64 exec, exec, s[0:1]
	v_cmp_gt_u32_e64 s[0:1], 2, v116
	s_waitcnt lgkmcnt(0)
	v_mov_b32_e32 v9, 0xff7fffff
	v_lshlrev_b32_e32 v7, 2, v116
	s_barrier
	s_and_saveexec_b64 s[8:9], s[0:1]
	s_cbranch_execz .LBB51_24
; %bb.23:
	ds_read_b32 v9, v7 offset:512
.LBB51_24:
	s_or_b64 exec, exec, s[8:9]
	v_xor_b32_e32 v10, 1, v4
	v_cmp_lt_i32_e64 s[8:9], v10, v8
	s_sub_i32 s3, s20, s40
	s_lshl_b32 s3, s3, 5
	v_cndmask_b32_e64 v8, v4, v10, s[8:9]
	v_lshlrev_b32_e32 v119, 2, v8
	s_waitcnt lgkmcnt(0)
	ds_bpermute_b32 v8, v119, v9
	v_max_f32_e32 v9, v9, v9
	v_lshlrev_b32_e32 v4, 2, v4
	s_add_i32 s3, s3, s51
	s_min_i32 s19, s3, s31
	s_waitcnt lgkmcnt(0)
	v_max_f32_e32 v8, v8, v8
	v_max_f32_e32 v9, v9, v8
	v_and_b32_e32 v8, 0x100, v4
	ds_bpermute_b32 v4, v8, v9
	s_sub_i32 s3, s19, s51
	v_cmp_gt_i32_e64 s[8:9], s3, v0
	v_mov_b32_e32 v9, 0
	s_and_saveexec_b64 s[40:41], s[8:9]
	s_cbranch_execz .LBB51_28
; %bb.25:
	v_mov_b32_e32 v9, 0x210
	v_lshl_add_u32 v10, v0, 2, v9
	s_mov_b64 s[42:43], 0
	v_mov_b32_e32 v9, 0
	v_mov_b32_e32 v11, v0
.LBB51_26:                              ; =>This Inner Loop Header: Depth=1
	ds_read_b32 v12, v10
	v_add_u32_e32 v11, 0x80, v11
	v_cmp_le_i32_e64 s[12:13], s3, v11
	s_or_b64 s[42:43], s[12:13], s[42:43]
	s_waitcnt lgkmcnt(0)
	v_sub_f32_e32 v12, v12, v4
	v_mul_f32_e32 v12, 0x3fb8aa3b, v12
	v_exp_f32_e32 v12, v12
	ds_write_b32 v10, v12
	v_add_f32_e32 v9, v9, v12
	v_add_u32_e32 v10, 0x200, v10
	s_andn2_b64 exec, exec, s[42:43]
	s_cbranch_execnz .LBB51_26
; %bb.27:
	s_or_b64 exec, exec, s[42:43]
.LBB51_28:
	s_or_b64 exec, exec, s[40:41]
	ds_bpermute_b32 v2, v2, v9
	s_waitcnt lgkmcnt(0)
	v_add_f32_e32 v2, v9, v2
	ds_bpermute_b32 v3, v3, v2
	s_waitcnt lgkmcnt(0)
	v_add_f32_e32 v2, v2, v3
	;; [unrolled: 3-line block ×6, first 2 shown]
	s_and_saveexec_b64 s[12:13], vcc
	s_cbranch_execz .LBB51_30
; %bb.29:
	ds_write_b32 v6, v2 offset:520
.LBB51_30:
	s_or_b64 exec, exec, s[12:13]
	s_waitcnt lgkmcnt(0)
	s_barrier
	s_and_saveexec_b64 s[12:13], s[0:1]
	s_cbranch_execz .LBB51_32
; %bb.31:
	ds_read_b32 v2, v7 offset:520
.LBB51_32:
	s_or_b64 exec, exec, s[12:13]
	s_waitcnt lgkmcnt(0)
	ds_bpermute_b32 v3, v119, v2
	s_waitcnt lgkmcnt(0)
	v_add_f32_e32 v2, v2, v3
	ds_bpermute_b32 v5, v8, v2
	s_and_saveexec_b64 s[0:1], s[8:9]
	s_cbranch_execz .LBB51_45
; %bb.33:
	s_waitcnt lgkmcnt(0)
	v_add_f32_e32 v2, 0x358637bd, v5
	v_div_scale_f32 v3, s[8:9], v2, v2, 1.0
	v_rcp_f32_e32 v6, v3
	v_div_scale_f32 v7, vcc, 1.0, v2, 1.0
	s_movk_i32 s8, 0x7f
	v_fma_f32 v8, -v3, v6, 1.0
	v_fmac_f32_e32 v6, v8, v6
	v_mul_f32_e32 v8, v7, v6
	v_fma_f32 v9, -v3, v8, v7
	v_fmac_f32_e32 v8, v9, v6
	v_fma_f32 v3, -v3, v8, v7
	v_div_fmas_f32 v3, v3, v6, v8
	v_div_fixup_f32 v2, v3, v2, 1.0
	v_xad_u32 v3, v0, -1, s19
	v_subrev_u32_e32 v6, s51, v3
	v_cmp_lt_u32_e32 vcc, s8, v6
	s_mov_b64 s[12:13], -1
	v_mov_b32_e32 v3, v0
	s_and_saveexec_b64 s[8:9], vcc
	s_cbranch_execz .LBB51_42
; %bb.34:
	v_lshrrev_b32_e32 v6, 7, v6
	v_add_u32_e32 v8, -1, v6
	v_lshrrev_b32_e32 v7, 1, v8
	v_mov_b32_e32 v3, v2
	v_add_u32_e32 v7, 1, v7
	v_cmp_lt_u32_e32 vcc, 13, v8
	v_mov_b32_e32 v10, 0
	s_and_saveexec_b64 s[12:13], vcc
	s_cbranch_execz .LBB51_38
; %bb.35:
	v_mov_b32_e32 v9, 0x210
	v_and_b32_e32 v8, -8, v7
	v_lshl_add_u32 v9, v0, 2, v9
	s_mov_b32 s19, 0
	s_mov_b64 s[40:41], 0
.LBB51_36:                              ; =>This Inner Loop Header: Depth=1
	ds_read2st64_b32 v[10:11], v9 offset1:2
	ds_read2st64_b32 v[12:13], v9 offset0:4 offset1:6
	ds_read2st64_b32 v[14:15], v9 offset0:8 offset1:10
	;; [unrolled: 1-line block ×3, first 2 shown]
	v_add_u32_e32 v8, -8, v8
	s_waitcnt lgkmcnt(3)
	v_pk_mul_f32 v[10:11], v[2:3], v[10:11]
	s_waitcnt lgkmcnt(2)
	v_pk_mul_f32 v[12:13], v[2:3], v[12:13]
	ds_write2st64_b32 v9, v10, v11 offset1:2
	ds_write2st64_b32 v9, v12, v13 offset0:4 offset1:6
	ds_read2st64_b32 v[12:13], v9 offset0:16 offset1:18
	s_waitcnt lgkmcnt(4)
	v_pk_mul_f32 v[10:11], v[2:3], v[14:15]
	ds_write2st64_b32 v9, v10, v11 offset0:8 offset1:10
	s_waitcnt lgkmcnt(4)
	v_pk_mul_f32 v[10:11], v[2:3], v[16:17]
	ds_write2st64_b32 v9, v10, v11 offset0:12 offset1:14
	ds_read2st64_b32 v[10:11], v9 offset0:20 offset1:22
	s_waitcnt lgkmcnt(3)
	v_pk_mul_f32 v[12:13], v[2:3], v[12:13]
	ds_read2st64_b32 v[14:15], v9 offset0:24 offset1:26
	ds_write2st64_b32 v9, v12, v13 offset0:16 offset1:18
	ds_read2st64_b32 v[12:13], v9 offset0:28 offset1:30
	s_waitcnt lgkmcnt(3)
	v_pk_mul_f32 v[10:11], v[2:3], v[10:11]
	ds_write2st64_b32 v9, v10, v11 offset0:20 offset1:22
	s_waitcnt lgkmcnt(3)
	v_pk_mul_f32 v[10:11], v[2:3], v[14:15]
	ds_write2st64_b32 v9, v10, v11 offset0:24 offset1:26
	s_waitcnt lgkmcnt(2)
	v_pk_mul_f32 v[10:11], v[2:3], v[12:13]
	s_add_i32 s19, s19, 16
	v_cmp_eq_u32_e32 vcc, 0, v8
	ds_write2st64_b32 v9, v10, v11 offset0:28 offset1:30
	v_add_u32_e32 v9, 0x2000, v9
	s_or_b64 s[40:41], vcc, s[40:41]
	v_mov_b32_e32 v10, s19
	s_andn2_b64 exec, exec, s[40:41]
	s_cbranch_execnz .LBB51_36
; %bb.37:
	s_or_b64 exec, exec, s[40:41]
.LBB51_38:
	s_or_b64 exec, exec, s[12:13]
	v_and_b32_e32 v7, 7, v7
	v_cmp_ne_u32_e32 vcc, 0, v7
	s_and_saveexec_b64 s[12:13], vcc
	s_cbranch_execz .LBB51_41
; %bb.39:
	v_lshlrev_b32_e32 v8, 9, v10
	s_movk_i32 s19, 0x210
	v_add3_u32 v8, v8, v44, s19
	s_mov_b64 s[40:41], 0
.LBB51_40:                              ; =>This Inner Loop Header: Depth=1
	ds_read2st64_b32 v[10:11], v8 offset1:2
	v_add_u32_e32 v7, -1, v7
	v_cmp_eq_u32_e32 vcc, 0, v7
	s_or_b64 s[40:41], vcc, s[40:41]
	s_waitcnt lgkmcnt(0)
	v_pk_mul_f32 v[10:11], v[2:3], v[10:11]
	ds_write2st64_b32 v8, v10, v11 offset1:2
	v_add_u32_e32 v8, 0x400, v8
	s_andn2_b64 exec, exec, s[40:41]
	s_cbranch_execnz .LBB51_40
.LBB51_41:
	s_or_b64 exec, exec, s[12:13]
	v_add_u32_e32 v6, 1, v6
	v_and_b32_e32 v7, 0x3fffffe, v6
	v_cmp_ne_u32_e32 vcc, v6, v7
	v_lshl_add_u32 v3, v7, 7, v0
	s_orn2_b64 s[12:13], vcc, exec
.LBB51_42:
	s_or_b64 exec, exec, s[8:9]
	s_and_b64 exec, exec, s[12:13]
	s_cbranch_execz .LBB51_45
; %bb.43:
	v_mov_b32_e32 v6, 0x210
	v_lshl_add_u32 v6, v3, 2, v6
	s_mov_b64 s[8:9], 0
.LBB51_44:                              ; =>This Inner Loop Header: Depth=1
	ds_read_b32 v7, v6
	v_add_u32_e32 v3, 0x80, v3
	v_cmp_le_i32_e32 vcc, s3, v3
	s_or_b64 s[8:9], vcc, s[8:9]
	s_waitcnt lgkmcnt(0)
	v_mul_f32_e32 v7, v2, v7
	ds_write_b32 v6, v7
	v_add_u32_e32 v6, 0x200, v6
	s_andn2_b64 exec, exec, s[8:9]
	s_cbranch_execnz .LBB51_44
.LBB51_45:
	s_or_b64 exec, exec, s[0:1]
	s_mul_i32 s0, s15, s30
	v_cmp_eq_u32_e32 vcc, 0, v0
	s_mul_i32 s8, s0, s5
	s_waitcnt lgkmcnt(0)
	s_barrier
	s_and_saveexec_b64 s[0:1], vcc
	s_cbranch_execz .LBB51_47
; %bb.46:
	s_ashr_i32 s9, s8, 31
	s_lshl_b64 s[12:13], s[8:9], 2
	s_add_u32 s5, s26, s12
	s_mul_i32 s2, s15, s2
	s_addc_u32 s9, s27, s13
	s_ashr_i32 s3, s2, 31
	s_lshl_b64 s[2:3], s[2:3], 2
	s_add_u32 s19, s5, s2
	s_addc_u32 s9, s9, s3
	s_ashr_i32 s5, s4, 31
	s_lshl_b64 s[26:27], s[4:5], 2
	s_add_u32 s40, s19, s26
	s_addc_u32 s41, s9, s27
	s_add_u32 s5, s24, s12
	s_addc_u32 s9, s25, s13
	;; [unrolled: 2-line block ×3, first 2 shown]
	s_add_u32 s2, s2, s26
	v_mov_b32_e32 v2, 0
	s_addc_u32 s3, s3, s27
	global_store_dword v2, v4, s[40:41]
	global_store_dword v2, v5, s[2:3]
.LBB51_47:
	s_or_b64 exec, exec, s[0:1]
	v_mov_b32_e32 v88, 0
	v_and_b32_e32 v120, 7, v0
	v_mov_b32_e32 v89, 0
	v_mov_b32_e32 v86, 0
	;; [unrolled: 1-line block ×15, first 2 shown]
	s_and_saveexec_b64 s[2:3], s[6:7]
	s_cbranch_execz .LBB51_85
; %bb.48:
	s_ashr_i32 s19, s18, 31
	s_sub_i32 s5, s50, s21
	s_lshl_b64 s[0:1], s[18:19], 2
	s_add_u32 s6, s38, s0
	s_addc_u32 s7, s39, s1
	s_abs_i32 s22, s22
	v_cvt_f32_u32_e32 v3, s22
	s_sub_i32 s0, 0, s22
	s_add_i32 s21, s16, -1
	v_and_b32_e32 v2, 0xfc, v44
	v_rcp_iflag_f32_e32 v3, v3
	v_mov_b32_e32 v85, 0
	v_or_b32_e32 v4, 0x400, v2
	v_or_b32_e32 v6, 0x500, v2
	v_mul_f32_e32 v3, 0x4f7ffffe, v3
	v_cvt_u32_f32_e32 v3, v3
	v_or_b32_e32 v8, 0x600, v2
	v_or_b32_e32 v10, 0x700, v2
	;; [unrolled: 1-line block ×3, first 2 shown]
	v_mul_lo_u32 v5, s0, v3
	v_mul_hi_u32 v5, v3, v5
	s_lshl_b64 s[0:1], s[36:37], 2
	v_add_u32_e32 v122, v3, v5
	s_add_u32 s0, s34, s0
	v_lshlrev_b32_e32 v3, 4, v120
	v_or_b32_e32 v14, 0x900, v2
	v_or_b32_e32 v16, 0xa00, v2
	v_or_b32_e32 v18, 0xb00, v2
	v_or_b32_e32 v20, 0xc00, v2
	v_or_b32_e32 v22, 0xd00, v2
	v_or_b32_e32 v24, 0xe00, v2
	v_or_b32_e32 v26, 0xf00, v44
	s_addc_u32 s1, s35, s1
	v_lshl_or_b32 v3, v45, 7, v3
	v_and_b32_e32 v121, 28, v44
	s_mov_b32 s9, s17
	v_lshl_add_u64 v[90:91], v[70:71], 2, s[0:1]
	v_add_u32_e32 v71, 0x210, v3
	s_mov_b64 s[12:13], 0
	v_lshlrev_b32_e32 v92, 2, v2
	v_lshlrev_b32_e32 v84, 2, v4
	;; [unrolled: 1-line block ×13, first 2 shown]
	v_mov_b32_e32 v73, v85
	v_mov_b32_e32 v72, v85
	;; [unrolled: 1-line block ×16, first 2 shown]
	s_branch .LBB51_51
.LBB51_49:                              ;   in Loop: Header=BB51_51 Depth=1
	s_or_b64 exec, exec, s[0:1]
	s_waitcnt vmcnt(1) lgkmcnt(0)
	v_mul_f32_e32 v67, v3, v67
	v_mul_f32_e32 v63, v3, v63
	v_mul_f32_e32 v55, v3, v55
	v_mul_f32_e32 v51, v3, v51
	v_mul_f32_e32 v47, v3, v47
	v_mul_f32_e32 v43, v3, v43
	v_mul_f32_e32 v39, v3, v39
	v_mul_f32_e32 v35, v3, v35
	v_mul_f32_e32 v31, v3, v31
	v_mul_f32_e32 v27, v3, v27
	v_mul_f32_e32 v23, v3, v23
	v_mul_f32_e32 v19, v3, v19
	v_mul_f32_e32 v15, v3, v15
	v_mul_f32_e32 v11, v3, v11
	v_mul_f32_e32 v7, v3, v7
	s_waitcnt vmcnt(0)
	v_mul_f32_e32 v3, v3, v59
	v_fmac_f32_e32 v67, v2, v66
	v_fmac_f32_e32 v63, v2, v62
	v_fmac_f32_e32 v55, v2, v54
	v_fmac_f32_e32 v51, v2, v50
	v_fmac_f32_e32 v47, v2, v46
	v_fmac_f32_e32 v43, v2, v42
	v_fmac_f32_e32 v39, v2, v38
	v_fmac_f32_e32 v35, v2, v34
	v_fmac_f32_e32 v31, v2, v30
	v_fmac_f32_e32 v27, v2, v26
	v_fmac_f32_e32 v23, v2, v22
	v_fmac_f32_e32 v19, v2, v18
	v_fmac_f32_e32 v15, v2, v14
	v_fmac_f32_e32 v11, v2, v10
	v_fmac_f32_e32 v7, v2, v6
	v_fmac_f32_e32 v3, v2, v58
	v_fmac_f32_e32 v67, v4, v68
	v_fmac_f32_e32 v63, v4, v64
	v_fmac_f32_e32 v55, v4, v56
	v_fmac_f32_e32 v51, v4, v52
	v_fmac_f32_e32 v47, v4, v48
	v_fmac_f32_e32 v43, v4, v44
	v_fmac_f32_e32 v39, v4, v40
	v_fmac_f32_e32 v35, v4, v36
	v_fmac_f32_e32 v31, v4, v32
	v_fmac_f32_e32 v27, v4, v28
	v_fmac_f32_e32 v23, v4, v24
	v_fmac_f32_e32 v19, v4, v20
	v_fmac_f32_e32 v15, v4, v16
	v_fmac_f32_e32 v11, v4, v12
	v_fmac_f32_e32 v7, v4, v8
	v_fmac_f32_e32 v3, v4, v60
	v_fmac_f32_e32 v67, v5, v69
	v_fmac_f32_e32 v63, v5, v65
	v_fmac_f32_e32 v55, v5, v57
	v_fmac_f32_e32 v51, v5, v53
	v_fmac_f32_e32 v47, v5, v49
	v_fmac_f32_e32 v43, v5, v45
	v_fmac_f32_e32 v39, v5, v41
	v_fmac_f32_e32 v35, v5, v37
	v_fmac_f32_e32 v31, v5, v33
	v_fmac_f32_e32 v27, v5, v29
	v_fmac_f32_e32 v23, v5, v25
	v_fmac_f32_e32 v19, v5, v21
	v_fmac_f32_e32 v15, v5, v17
	v_fmac_f32_e32 v11, v5, v13
	v_fmac_f32_e32 v7, v5, v9
	v_fmac_f32_e32 v3, v5, v61
	v_add_f32_e32 v72, v72, v67
	v_add_f32_e32 v75, v75, v63
	;; [unrolled: 1-line block ×16, first 2 shown]
.LBB51_50:                              ;   in Loop: Header=BB51_51 Depth=1
	s_or_b64 exec, exec, s[16:17]
	v_add_u32_e32 v70, 2, v70
	v_cmp_le_i32_e32 vcc, s20, v70
	v_lshl_add_u64 v[90:91], v[90:91], 0, 8
	v_add_u32_e32 v1, 64, v1
	s_or_b64 s[12:13], vcc, s[12:13]
	v_add_u32_e32 v71, 0x100, v71
	s_andn2_b64 exec, exec, s[12:13]
	s_cbranch_execz .LBB51_84
.LBB51_51:                              ; =>This Inner Loop Header: Depth=1
	v_sub_u32_e32 v3, 0, v1
	v_max_i32_e32 v3, v1, v3
	v_mul_hi_u32 v4, v3, s48
	v_mul_lo_u32 v5, v4, s33
	v_sub_u32_e32 v3, v3, v5
	v_add_u32_e32 v5, 1, v4
	v_cmp_le_u32_e32 vcc, s33, v3
	v_ashrrev_i32_e32 v2, 31, v1
	v_xor_b32_e32 v2, s23, v2
	v_cndmask_b32_e32 v4, v4, v5, vcc
	v_subrev_u32_e32 v5, s33, v3
	v_cndmask_b32_e32 v3, v3, v5, vcc
	v_add_u32_e32 v5, 1, v4
	v_cmp_le_u32_e32 vcc, s33, v3
	s_nop 1
	v_cndmask_b32_e32 v3, v4, v5, vcc
	v_xor_b32_e32 v3, v3, v2
	v_sub_u32_e32 v2, v3, v2
	v_add_u32_e32 v3, s49, v2
	v_sub_u32_e32 v5, 0, v3
	v_ashrrev_i32_e32 v4, 31, v3
	v_max_i32_e32 v3, v3, v5
	v_mul_hi_u32 v5, v3, v122
	v_mul_lo_u32 v5, v5, s22
	v_sub_u32_e32 v3, v3, v5
	v_subrev_u32_e32 v5, s22, v3
	v_cmp_le_u32_e32 vcc, s22, v3
	v_cmp_lt_i32_e64 s[0:1], s5, v2
	s_nop 0
	v_cndmask_b32_e32 v3, v3, v5, vcc
	v_subrev_u32_e32 v5, s22, v3
	v_cmp_le_u32_e32 vcc, s22, v3
	s_nop 1
	v_cndmask_b32_e32 v3, v3, v5, vcc
	v_xor_b32_e32 v3, v3, v4
	v_sub_u32_e32 v3, v3, v4
	v_cmp_eq_u32_e32 vcc, 0, v3
	s_or_b64 s[0:1], vcc, s[0:1]
	s_and_saveexec_b64 s[16:17], s[0:1]
	s_cbranch_execz .LBB51_50
; %bb.52:                               ;   in Loop: Header=BB51_51 Depth=1
	global_load_dword v2, v[90:91], off
	v_mov_b32_e32 v93, v85
	v_cmp_eq_u32_e32 vcc, s21, v70
	s_waitcnt vmcnt(0)
	v_mad_i64_i32 v[2:3], s[0:1], v2, s9, 0
	v_lshl_add_u64 v[58:59], v[2:3], 2, s[6:7]
	v_lshl_add_u64 v[18:19], v[58:59], 0, v[92:93]
	global_load_dwordx4 v[6:9], v[18:19], off
	ds_read_b128 v[2:5], v71
	v_add_u32_e32 v93, v121, v1
	v_add_u32_e32 v125, 1, v93
	;; [unrolled: 1-line block ×4, first 2 shown]
	s_and_saveexec_b64 s[18:19], vcc
	s_cbranch_execnz .LBB51_81
; %bb.53:                               ;   in Loop: Header=BB51_51 Depth=1
	s_or_b64 exec, exec, s[18:19]
	global_load_dwordx4 v[10:13], v[18:19], off offset:1024
	s_and_saveexec_b64 s[18:19], vcc
	s_cbranch_execnz .LBB51_82
.LBB51_54:                              ;   in Loop: Header=BB51_51 Depth=1
	s_or_b64 exec, exec, s[18:19]
	global_load_dwordx4 v[14:17], v[18:19], off offset:2048
	s_and_saveexec_b64 s[18:19], vcc
	s_cbranch_execnz .LBB51_83
.LBB51_55:                              ;   in Loop: Header=BB51_51 Depth=1
	s_or_b64 exec, exec, s[18:19]
	global_load_dwordx4 v[18:21], v[18:19], off offset:3072
	s_and_saveexec_b64 s[18:19], vcc
	s_cbranch_execz .LBB51_57
.LBB51_56:                              ;   in Loop: Header=BB51_51 Depth=1
	v_cmp_gt_i32_e64 s[0:1], s31, v93
	s_waitcnt vmcnt(0)
	s_nop 0
	v_cndmask_b32_e64 v18, 0, v18, s[0:1]
	v_cmp_gt_i32_e64 s[0:1], s31, v125
	s_nop 1
	v_cndmask_b32_e64 v19, 0, v19, s[0:1]
	v_cmp_gt_i32_e64 s[0:1], s31, v124
	;; [unrolled: 3-line block ×3, first 2 shown]
	s_nop 1
	v_cndmask_b32_e64 v21, 0, v21, s[0:1]
.LBB51_57:                              ;   in Loop: Header=BB51_51 Depth=1
	s_or_b64 exec, exec, s[18:19]
	v_lshl_add_u64 v[22:23], v[58:59], 0, v[84:85]
	global_load_dwordx4 v[22:25], v[22:23], off
	s_and_saveexec_b64 s[18:19], vcc
	s_cbranch_execz .LBB51_59
; %bb.58:                               ;   in Loop: Header=BB51_51 Depth=1
	v_cmp_gt_i32_e64 s[0:1], s31, v93
	s_waitcnt vmcnt(0)
	s_nop 0
	v_cndmask_b32_e64 v22, 0, v22, s[0:1]
	v_cmp_gt_i32_e64 s[0:1], s31, v125
	s_nop 1
	v_cndmask_b32_e64 v23, 0, v23, s[0:1]
	v_cmp_gt_i32_e64 s[0:1], s31, v124
	s_nop 1
	v_cndmask_b32_e64 v24, 0, v24, s[0:1]
	v_cmp_gt_i32_e64 s[0:1], s31, v123
	s_nop 1
	v_cndmask_b32_e64 v25, 0, v25, s[0:1]
.LBB51_59:                              ;   in Loop: Header=BB51_51 Depth=1
	s_or_b64 exec, exec, s[18:19]
	v_mov_b32_e32 v95, v85
	v_lshl_add_u64 v[26:27], v[58:59], 0, v[94:95]
	global_load_dwordx4 v[26:29], v[26:27], off
	s_and_saveexec_b64 s[18:19], vcc
	s_cbranch_execz .LBB51_61
; %bb.60:                               ;   in Loop: Header=BB51_51 Depth=1
	v_cmp_gt_i32_e64 s[0:1], s31, v93
	s_waitcnt vmcnt(0)
	s_nop 0
	v_cndmask_b32_e64 v26, 0, v26, s[0:1]
	v_cmp_gt_i32_e64 s[0:1], s31, v125
	s_nop 1
	v_cndmask_b32_e64 v27, 0, v27, s[0:1]
	v_cmp_gt_i32_e64 s[0:1], s31, v124
	s_nop 1
	v_cndmask_b32_e64 v28, 0, v28, s[0:1]
	v_cmp_gt_i32_e64 s[0:1], s31, v123
	s_nop 1
	v_cndmask_b32_e64 v29, 0, v29, s[0:1]
.LBB51_61:                              ;   in Loop: Header=BB51_51 Depth=1
	s_or_b64 exec, exec, s[18:19]
	v_mov_b32_e32 v97, v85
	;; [unrolled: 21-line block ×11, first 2 shown]
	v_lshl_add_u64 v[58:59], v[58:59], 0, v[114:115]
	global_load_dwordx4 v[58:61], v[58:59], off
	s_and_saveexec_b64 s[0:1], vcc
	s_cbranch_execz .LBB51_49
; %bb.80:                               ;   in Loop: Header=BB51_51 Depth=1
	v_cmp_gt_i32_e32 vcc, s31, v93
	s_waitcnt vmcnt(0)
	s_nop 0
	v_cndmask_b32_e32 v58, 0, v58, vcc
	v_cmp_gt_i32_e32 vcc, s31, v125
	s_nop 1
	v_cndmask_b32_e32 v59, 0, v59, vcc
	v_cmp_gt_i32_e32 vcc, s31, v124
	s_nop 1
	v_cndmask_b32_e32 v60, 0, v60, vcc
	v_cmp_gt_i32_e32 vcc, s31, v123
	s_nop 1
	v_cndmask_b32_e32 v61, 0, v61, vcc
	s_branch .LBB51_49
.LBB51_81:                              ;   in Loop: Header=BB51_51 Depth=1
	v_cmp_gt_i32_e64 s[0:1], s31, v93
	s_waitcnt vmcnt(0)
	s_nop 0
	v_cndmask_b32_e64 v6, 0, v6, s[0:1]
	v_cmp_gt_i32_e64 s[0:1], s31, v125
	s_nop 1
	v_cndmask_b32_e64 v7, 0, v7, s[0:1]
	v_cmp_gt_i32_e64 s[0:1], s31, v124
	;; [unrolled: 3-line block ×3, first 2 shown]
	s_nop 1
	v_cndmask_b32_e64 v9, 0, v9, s[0:1]
	s_or_b64 exec, exec, s[18:19]
	global_load_dwordx4 v[10:13], v[18:19], off offset:1024
	s_and_saveexec_b64 s[18:19], vcc
	s_cbranch_execz .LBB51_54
.LBB51_82:                              ;   in Loop: Header=BB51_51 Depth=1
	v_cmp_gt_i32_e64 s[0:1], s31, v93
	s_waitcnt vmcnt(0)
	s_nop 0
	v_cndmask_b32_e64 v10, 0, v10, s[0:1]
	v_cmp_gt_i32_e64 s[0:1], s31, v125
	s_nop 1
	v_cndmask_b32_e64 v11, 0, v11, s[0:1]
	v_cmp_gt_i32_e64 s[0:1], s31, v124
	;; [unrolled: 3-line block ×3, first 2 shown]
	s_nop 1
	v_cndmask_b32_e64 v13, 0, v13, s[0:1]
	s_or_b64 exec, exec, s[18:19]
	global_load_dwordx4 v[14:17], v[18:19], off offset:2048
	s_and_saveexec_b64 s[18:19], vcc
	s_cbranch_execz .LBB51_55
.LBB51_83:                              ;   in Loop: Header=BB51_51 Depth=1
	v_cmp_gt_i32_e64 s[0:1], s31, v93
	s_waitcnt vmcnt(0)
	s_nop 0
	v_cndmask_b32_e64 v14, 0, v14, s[0:1]
	v_cmp_gt_i32_e64 s[0:1], s31, v125
	s_nop 1
	v_cndmask_b32_e64 v15, 0, v15, s[0:1]
	v_cmp_gt_i32_e64 s[0:1], s31, v124
	;; [unrolled: 3-line block ×3, first 2 shown]
	s_nop 1
	v_cndmask_b32_e64 v17, 0, v17, s[0:1]
	s_or_b64 exec, exec, s[18:19]
	global_load_dwordx4 v[18:21], v[18:19], off offset:3072
	s_and_saveexec_b64 s[18:19], vcc
	s_cbranch_execnz .LBB51_56
	s_branch .LBB51_57
.LBB51_84:
	s_or_b64 exec, exec, s[12:13]
.LBB51_85:
	s_or_b64 exec, exec, s[2:3]
	ds_bpermute_b32 v4, v118, v86
	ds_bpermute_b32 v5, v118, v87
	;; [unrolled: 1-line block ×6, first 2 shown]
	s_waitcnt lgkmcnt(4)
	v_pk_add_f32 v[4:5], v[86:87], v[4:5]
	ds_bpermute_b32 v8, v117, v4
	ds_bpermute_b32 v9, v117, v5
	s_waitcnt lgkmcnt(4)
	v_pk_add_f32 v[2:3], v[88:89], v[2:3]
	ds_bpermute_b32 v6, v117, v2
	ds_bpermute_b32 v7, v117, v3
	ds_bpermute_b32 v14, v118, v80
	s_waitcnt lgkmcnt(3)
	v_pk_add_f32 v[4:5], v[4:5], v[8:9]
	v_pk_add_f32 v[8:9], v[82:83], v[10:11]
	ds_bpermute_b32 v10, v117, v8
	ds_bpermute_b32 v11, v117, v9
	;; [unrolled: 1-line block ×3, first 2 shown]
	s_waitcnt lgkmcnt(4)
	v_pk_add_f32 v[2:3], v[2:3], v[6:7]
	ds_bpermute_b32 v6, v119, v2
	ds_bpermute_b32 v7, v119, v3
	s_waitcnt lgkmcnt(3)
	v_pk_add_f32 v[8:9], v[8:9], v[10:11]
	s_waitcnt lgkmcnt(2)
	v_pk_add_f32 v[14:15], v[80:81], v[14:15]
	ds_bpermute_b32 v10, v119, v8
	ds_bpermute_b32 v11, v119, v9
	;; [unrolled: 1-line block ×4, first 2 shown]
	s_waitcnt lgkmcnt(4)
	v_pk_add_f32 v[6:7], v[2:3], v[6:7]
	ds_bpermute_b32 v20, v118, v74
	s_waitcnt lgkmcnt(3)
	v_pk_add_f32 v[2:3], v[8:9], v[10:11]
	ds_bpermute_b32 v10, v118, v78
	;; [unrolled: 3-line block ×3, first 2 shown]
	ds_bpermute_b32 v15, v118, v77
	ds_bpermute_b32 v11, v118, v79
	;; [unrolled: 1-line block ×5, first 2 shown]
	s_waitcnt lgkmcnt(4)
	v_pk_add_f32 v[14:15], v[76:77], v[14:15]
	s_waitcnt lgkmcnt(3)
	v_pk_add_f32 v[10:11], v[78:79], v[10:11]
	ds_bpermute_b32 v18, v117, v14
	ds_bpermute_b32 v19, v117, v15
	;; [unrolled: 1-line block ×6, first 2 shown]
	s_waitcnt lgkmcnt(4)
	v_pk_add_f32 v[18:19], v[14:15], v[18:19]
	v_pk_add_f32 v[14:15], v[74:75], v[20:21]
	s_waitcnt lgkmcnt(2)
	v_pk_add_f32 v[10:11], v[10:11], v[16:17]
	ds_bpermute_b32 v20, v117, v14
	ds_bpermute_b32 v21, v117, v15
	v_pk_add_f32 v[24:25], v[72:73], v[24:25]
	s_waitcnt lgkmcnt(2)
	v_pk_add_f32 v[4:5], v[4:5], v[12:13]
	ds_bpermute_b32 v12, v119, v8
	ds_bpermute_b32 v13, v119, v9
	;; [unrolled: 1-line block ×8, first 2 shown]
	s_waitcnt lgkmcnt(8)
	v_pk_add_f32 v[20:21], v[14:15], v[20:21]
	ds_bpermute_b32 v26, v119, v20
	ds_bpermute_b32 v27, v119, v21
	s_waitcnt lgkmcnt(8)
	v_pk_add_f32 v[14:15], v[8:9], v[12:13]
	s_waitcnt lgkmcnt(6)
	v_pk_add_f32 v[12:13], v[10:11], v[16:17]
	s_waitcnt lgkmcnt(4)
	v_pk_add_f32 v[16:17], v[24:25], v[28:29]
	s_waitcnt lgkmcnt(2)
	v_pk_add_f32 v[10:11], v[18:19], v[22:23]
	ds_bpermute_b32 v18, v119, v16
	ds_bpermute_b32 v19, v119, v17
	v_and_b32_e32 v1, 0x3c7, v0
	s_waitcnt lgkmcnt(2)
	v_pk_add_f32 v[8:9], v[20:21], v[26:27]
	v_cmp_ne_u32_e32 vcc, 64, v1
	s_waitcnt lgkmcnt(0)
	s_barrier
	s_and_saveexec_b64 s[0:1], vcc
	s_xor_b64 s[0:1], exec, s[0:1]
; %bb.86:
                                        ; implicit-def: $vgpr116
; %bb.87:
	s_or_saveexec_b64 s[0:1], s[0:1]
	v_pk_add_f32 v[16:17], v[16:17], v[18:19]
	s_xor_b64 exec, exec, s[0:1]
	s_cbranch_execz .LBB51_89
; %bb.88:
	v_lshrrev_b32_e32 v18, 1, v116
	v_add_u32_e32 v18, 0x210, v18
	ds_write2_b32 v18, v6, v7 offset1:8
	ds_write2_b32 v18, v4, v5 offset0:16 offset1:24
	ds_write2_b32 v18, v2, v3 offset0:32 offset1:40
	;; [unrolled: 1-line block ×7, first 2 shown]
.LBB51_89:
	s_or_b64 exec, exec, s[0:1]
	s_waitcnt lgkmcnt(0)
	s_barrier
	s_and_saveexec_b64 s[0:1], s[10:11]
	s_cbranch_execz .LBB51_108
; %bb.90:
	v_cmp_eq_u32_e32 vcc, 0, v120
	v_lshrrev_b32_e32 v18, 3, v0
	s_and_saveexec_b64 s[2:3], vcc
	s_cbranch_execnz .LBB51_111
; %bb.91:
	s_or_b64 exec, exec, s[2:3]
	s_and_saveexec_b64 s[2:3], vcc
	s_cbranch_execnz .LBB51_112
.LBB51_92:
	s_or_b64 exec, exec, s[2:3]
	s_and_saveexec_b64 s[2:3], vcc
	s_cbranch_execnz .LBB51_113
.LBB51_93:
	s_or_b64 exec, exec, s[2:3]
	s_and_saveexec_b64 s[2:3], vcc
	s_cbranch_execnz .LBB51_114
.LBB51_94:
	s_or_b64 exec, exec, s[2:3]
	s_and_saveexec_b64 s[2:3], vcc
	s_cbranch_execnz .LBB51_115
.LBB51_95:
	s_or_b64 exec, exec, s[2:3]
	s_and_saveexec_b64 s[2:3], vcc
	s_cbranch_execnz .LBB51_116
.LBB51_96:
	s_or_b64 exec, exec, s[2:3]
	s_and_saveexec_b64 s[2:3], vcc
	s_cbranch_execnz .LBB51_117
.LBB51_97:
	s_or_b64 exec, exec, s[2:3]
	s_and_saveexec_b64 s[2:3], vcc
	s_cbranch_execnz .LBB51_118
.LBB51_98:
	s_or_b64 exec, exec, s[2:3]
	s_and_saveexec_b64 s[2:3], vcc
	s_cbranch_execnz .LBB51_119
.LBB51_99:
	s_or_b64 exec, exec, s[2:3]
	s_and_saveexec_b64 s[2:3], vcc
	s_cbranch_execnz .LBB51_120
.LBB51_100:
	s_or_b64 exec, exec, s[2:3]
	s_and_saveexec_b64 s[2:3], vcc
	s_cbranch_execnz .LBB51_121
.LBB51_101:
	s_or_b64 exec, exec, s[2:3]
	s_and_saveexec_b64 s[2:3], vcc
	s_cbranch_execnz .LBB51_122
.LBB51_102:
	s_or_b64 exec, exec, s[2:3]
	s_and_saveexec_b64 s[2:3], vcc
	s_cbranch_execnz .LBB51_123
.LBB51_103:
	s_or_b64 exec, exec, s[2:3]
	s_and_saveexec_b64 s[2:3], vcc
	s_cbranch_execnz .LBB51_124
.LBB51_104:
	s_or_b64 exec, exec, s[2:3]
	s_and_saveexec_b64 s[2:3], vcc
	s_cbranch_execnz .LBB51_125
.LBB51_105:
	s_or_b64 exec, exec, s[2:3]
	s_and_saveexec_b64 s[2:3], vcc
	s_cbranch_execz .LBB51_107
.LBB51_106:
	v_mov_b32_e32 v19, 0x210
	v_lshl_add_u32 v18, v18, 2, v19
	ds_read_b32 v18, v18 offset:480
	s_waitcnt lgkmcnt(0)
	v_add_f32_e32 v17, v17, v18
.LBB51_107:
	s_or_b64 exec, exec, s[2:3]
.LBB51_108:
	s_or_b64 exec, exec, s[0:1]
	v_cmp_eq_u32_e32 vcc, 0, v1
	s_barrier
	s_and_saveexec_b64 s[0:1], vcc
	s_cbranch_execz .LBB51_110
; %bb.109:
	s_lshl_b32 s0, s8, 7
	s_ashr_i32 s1, s0, 31
	s_lshl_b64 s[0:1], s[0:1], 2
	s_add_u32 s2, s28, s0
	s_mul_i32 s0, s15, s14
	s_addc_u32 s3, s29, s1
	s_ashr_i32 s1, s0, 31
	s_lshl_b64 s[0:1], s[0:1], 2
	s_add_u32 s2, s2, s0
	s_addc_u32 s3, s3, s1
	s_lshl_b32 s0, s4, 7
	s_ashr_i32 s1, s0, 31
	s_lshl_b64 s[0:1], s[0:1], 2
	s_add_u32 s0, s2, s0
	s_addc_u32 s1, s3, s1
	v_lshrrev_b32_e32 v0, 1, v0
	global_store_dword v0, v6, s[0:1]
	global_store_dword v0, v7, s[0:1] offset:32
	global_store_dword v0, v4, s[0:1] offset:64
	;; [unrolled: 1-line block ×15, first 2 shown]
.LBB51_110:
	s_endpgm
.LBB51_111:
	v_mov_b32_e32 v19, 0x210
	v_lshl_add_u32 v19, v18, 2, v19
	ds_read_b32 v19, v19
	s_waitcnt lgkmcnt(0)
	v_add_f32_e32 v6, v6, v19
	s_or_b64 exec, exec, s[2:3]
	s_and_saveexec_b64 s[2:3], vcc
	s_cbranch_execz .LBB51_92
.LBB51_112:
	v_mov_b32_e32 v19, 0x210
	v_lshl_add_u32 v19, v18, 2, v19
	ds_read_b32 v19, v19 offset:32
	s_waitcnt lgkmcnt(0)
	v_add_f32_e32 v7, v7, v19
	s_or_b64 exec, exec, s[2:3]
	s_and_saveexec_b64 s[2:3], vcc
	s_cbranch_execz .LBB51_93
.LBB51_113:
	v_mov_b32_e32 v19, 0x210
	v_lshl_add_u32 v19, v18, 2, v19
	ds_read_b32 v19, v19 offset:64
	s_waitcnt lgkmcnt(0)
	v_add_f32_e32 v4, v4, v19
	s_or_b64 exec, exec, s[2:3]
	s_and_saveexec_b64 s[2:3], vcc
	s_cbranch_execz .LBB51_94
.LBB51_114:
	v_mov_b32_e32 v19, 0x210
	v_lshl_add_u32 v19, v18, 2, v19
	ds_read_b32 v19, v19 offset:96
	s_waitcnt lgkmcnt(0)
	v_add_f32_e32 v5, v5, v19
	s_or_b64 exec, exec, s[2:3]
	s_and_saveexec_b64 s[2:3], vcc
	s_cbranch_execz .LBB51_95
.LBB51_115:
	v_mov_b32_e32 v19, 0x210
	v_lshl_add_u32 v19, v18, 2, v19
	ds_read_b32 v19, v19 offset:128
	s_waitcnt lgkmcnt(0)
	v_add_f32_e32 v2, v2, v19
	s_or_b64 exec, exec, s[2:3]
	s_and_saveexec_b64 s[2:3], vcc
	s_cbranch_execz .LBB51_96
.LBB51_116:
	v_mov_b32_e32 v19, 0x210
	v_lshl_add_u32 v19, v18, 2, v19
	ds_read_b32 v19, v19 offset:160
	s_waitcnt lgkmcnt(0)
	v_add_f32_e32 v3, v3, v19
	s_or_b64 exec, exec, s[2:3]
	s_and_saveexec_b64 s[2:3], vcc
	s_cbranch_execz .LBB51_97
.LBB51_117:
	v_mov_b32_e32 v19, 0x210
	v_lshl_add_u32 v19, v18, 2, v19
	ds_read_b32 v19, v19 offset:192
	s_waitcnt lgkmcnt(0)
	v_add_f32_e32 v14, v14, v19
	s_or_b64 exec, exec, s[2:3]
	s_and_saveexec_b64 s[2:3], vcc
	s_cbranch_execz .LBB51_98
.LBB51_118:
	v_mov_b32_e32 v19, 0x210
	v_lshl_add_u32 v19, v18, 2, v19
	ds_read_b32 v19, v19 offset:224
	s_waitcnt lgkmcnt(0)
	v_add_f32_e32 v15, v15, v19
	s_or_b64 exec, exec, s[2:3]
	s_and_saveexec_b64 s[2:3], vcc
	s_cbranch_execz .LBB51_99
.LBB51_119:
	v_mov_b32_e32 v19, 0x210
	v_lshl_add_u32 v19, v18, 2, v19
	ds_read_b32 v19, v19 offset:256
	s_waitcnt lgkmcnt(0)
	v_add_f32_e32 v12, v12, v19
	s_or_b64 exec, exec, s[2:3]
	s_and_saveexec_b64 s[2:3], vcc
	s_cbranch_execz .LBB51_100
.LBB51_120:
	v_mov_b32_e32 v19, 0x210
	v_lshl_add_u32 v19, v18, 2, v19
	ds_read_b32 v19, v19 offset:288
	s_waitcnt lgkmcnt(0)
	v_add_f32_e32 v13, v13, v19
	s_or_b64 exec, exec, s[2:3]
	s_and_saveexec_b64 s[2:3], vcc
	s_cbranch_execz .LBB51_101
.LBB51_121:
	v_mov_b32_e32 v19, 0x210
	v_lshl_add_u32 v19, v18, 2, v19
	ds_read_b32 v19, v19 offset:320
	s_waitcnt lgkmcnt(0)
	v_add_f32_e32 v10, v10, v19
	s_or_b64 exec, exec, s[2:3]
	s_and_saveexec_b64 s[2:3], vcc
	s_cbranch_execz .LBB51_102
.LBB51_122:
	v_mov_b32_e32 v19, 0x210
	v_lshl_add_u32 v19, v18, 2, v19
	ds_read_b32 v19, v19 offset:352
	s_waitcnt lgkmcnt(0)
	v_add_f32_e32 v11, v11, v19
	s_or_b64 exec, exec, s[2:3]
	s_and_saveexec_b64 s[2:3], vcc
	s_cbranch_execz .LBB51_103
.LBB51_123:
	v_mov_b32_e32 v19, 0x210
	v_lshl_add_u32 v19, v18, 2, v19
	ds_read_b32 v19, v19 offset:384
	s_waitcnt lgkmcnt(0)
	v_add_f32_e32 v8, v8, v19
	s_or_b64 exec, exec, s[2:3]
	s_and_saveexec_b64 s[2:3], vcc
	s_cbranch_execz .LBB51_104
.LBB51_124:
	v_mov_b32_e32 v19, 0x210
	v_lshl_add_u32 v19, v18, 2, v19
	ds_read_b32 v19, v19 offset:416
	s_waitcnt lgkmcnt(0)
	v_add_f32_e32 v9, v9, v19
	s_or_b64 exec, exec, s[2:3]
	s_and_saveexec_b64 s[2:3], vcc
	s_cbranch_execz .LBB51_105
.LBB51_125:
	v_mov_b32_e32 v19, 0x210
	v_lshl_add_u32 v19, v18, 2, v19
	ds_read_b32 v19, v19 offset:448
	s_waitcnt lgkmcnt(0)
	v_add_f32_e32 v16, v16, v19
	s_or_b64 exec, exec, s[2:3]
	s_and_saveexec_b64 s[2:3], vcc
	s_cbranch_execnz .LBB51_106
	s_branch .LBB51_107
	.section	.rodata,"a",@progbits
	.p2align	6, 0x0
	.amdhsa_kernel _ZN4vllm25paged_attention_v2_kernelIffLi128ELi32ELi128ELNS_18Fp8KVCacheDataTypeE0ELb1ELi512EEEvPfS2_PT_PKS3_PKT0_S9_ifPKiSB_iPKfiiiSD_SD_iiiii
		.amdhsa_group_segment_fixed_size 528
		.amdhsa_private_segment_fixed_size 0
		.amdhsa_kernarg_size 400
		.amdhsa_user_sgpr_count 2
		.amdhsa_user_sgpr_dispatch_ptr 0
		.amdhsa_user_sgpr_queue_ptr 0
		.amdhsa_user_sgpr_kernarg_segment_ptr 1
		.amdhsa_user_sgpr_dispatch_id 0
		.amdhsa_user_sgpr_kernarg_preload_length 0
		.amdhsa_user_sgpr_kernarg_preload_offset 0
		.amdhsa_user_sgpr_private_segment_size 0
		.amdhsa_uses_dynamic_stack 0
		.amdhsa_enable_private_segment 0
		.amdhsa_system_sgpr_workgroup_id_x 1
		.amdhsa_system_sgpr_workgroup_id_y 1
		.amdhsa_system_sgpr_workgroup_id_z 1
		.amdhsa_system_sgpr_workgroup_info 0
		.amdhsa_system_vgpr_workitem_id 0
		.amdhsa_next_free_vgpr 126
		.amdhsa_next_free_sgpr 57
		.amdhsa_accum_offset 128
		.amdhsa_reserve_vcc 1
		.amdhsa_float_round_mode_32 0
		.amdhsa_float_round_mode_16_64 0
		.amdhsa_float_denorm_mode_32 3
		.amdhsa_float_denorm_mode_16_64 3
		.amdhsa_dx10_clamp 1
		.amdhsa_ieee_mode 1
		.amdhsa_fp16_overflow 0
		.amdhsa_tg_split 0
		.amdhsa_exception_fp_ieee_invalid_op 0
		.amdhsa_exception_fp_denorm_src 0
		.amdhsa_exception_fp_ieee_div_zero 0
		.amdhsa_exception_fp_ieee_overflow 0
		.amdhsa_exception_fp_ieee_underflow 0
		.amdhsa_exception_fp_ieee_inexact 0
		.amdhsa_exception_int_div_zero 0
	.end_amdhsa_kernel
	.section	.text._ZN4vllm25paged_attention_v2_kernelIffLi128ELi32ELi128ELNS_18Fp8KVCacheDataTypeE0ELb1ELi512EEEvPfS2_PT_PKS3_PKT0_S9_ifPKiSB_iPKfiiiSD_SD_iiiii,"axG",@progbits,_ZN4vllm25paged_attention_v2_kernelIffLi128ELi32ELi128ELNS_18Fp8KVCacheDataTypeE0ELb1ELi512EEEvPfS2_PT_PKS3_PKT0_S9_ifPKiSB_iPKfiiiSD_SD_iiiii,comdat
.Lfunc_end51:
	.size	_ZN4vllm25paged_attention_v2_kernelIffLi128ELi32ELi128ELNS_18Fp8KVCacheDataTypeE0ELb1ELi512EEEvPfS2_PT_PKS3_PKT0_S9_ifPKiSB_iPKfiiiSD_SD_iiiii, .Lfunc_end51-_ZN4vllm25paged_attention_v2_kernelIffLi128ELi32ELi128ELNS_18Fp8KVCacheDataTypeE0ELb1ELi512EEEvPfS2_PT_PKS3_PKT0_S9_ifPKiSB_iPKfiiiSD_SD_iiiii
                                        ; -- End function
	.section	.AMDGPU.csdata,"",@progbits
; Kernel info:
; codeLenInByte = 8648
; NumSgprs: 63
; NumVgprs: 126
; NumAgprs: 0
; TotalNumVgprs: 126
; ScratchSize: 0
; MemoryBound: 0
; FloatMode: 240
; IeeeMode: 1
; LDSByteSize: 528 bytes/workgroup (compile time only)
; SGPRBlocks: 7
; VGPRBlocks: 15
; NumSGPRsForWavesPerEU: 63
; NumVGPRsForWavesPerEU: 126
; AccumOffset: 128
; Occupancy: 4
; WaveLimiterHint : 1
; COMPUTE_PGM_RSRC2:SCRATCH_EN: 0
; COMPUTE_PGM_RSRC2:USER_SGPR: 2
; COMPUTE_PGM_RSRC2:TRAP_HANDLER: 0
; COMPUTE_PGM_RSRC2:TGID_X_EN: 1
; COMPUTE_PGM_RSRC2:TGID_Y_EN: 1
; COMPUTE_PGM_RSRC2:TGID_Z_EN: 1
; COMPUTE_PGM_RSRC2:TIDIG_COMP_CNT: 0
; COMPUTE_PGM_RSRC3_GFX90A:ACCUM_OFFSET: 31
; COMPUTE_PGM_RSRC3_GFX90A:TG_SPLIT: 0
	.section	.text._ZN4vllm25paged_attention_v2_kernelIffLi192ELi32ELi128ELNS_18Fp8KVCacheDataTypeE0ELb1ELi512EEEvPfS2_PT_PKS3_PKT0_S9_ifPKiSB_iPKfiiiSD_SD_iiiii,"axG",@progbits,_ZN4vllm25paged_attention_v2_kernelIffLi192ELi32ELi128ELNS_18Fp8KVCacheDataTypeE0ELb1ELi512EEEvPfS2_PT_PKS3_PKT0_S9_ifPKiSB_iPKfiiiSD_SD_iiiii,comdat
	.protected	_ZN4vllm25paged_attention_v2_kernelIffLi192ELi32ELi128ELNS_18Fp8KVCacheDataTypeE0ELb1ELi512EEEvPfS2_PT_PKS3_PKT0_S9_ifPKiSB_iPKfiiiSD_SD_iiiii ; -- Begin function _ZN4vllm25paged_attention_v2_kernelIffLi192ELi32ELi128ELNS_18Fp8KVCacheDataTypeE0ELb1ELi512EEEvPfS2_PT_PKS3_PKT0_S9_ifPKiSB_iPKfiiiSD_SD_iiiii
	.globl	_ZN4vllm25paged_attention_v2_kernelIffLi192ELi32ELi128ELNS_18Fp8KVCacheDataTypeE0ELb1ELi512EEEvPfS2_PT_PKS3_PKT0_S9_ifPKiSB_iPKfiiiSD_SD_iiiii
	.p2align	8
	.type	_ZN4vllm25paged_attention_v2_kernelIffLi192ELi32ELi128ELNS_18Fp8KVCacheDataTypeE0ELb1ELi512EEEvPfS2_PT_PKS3_PKT0_S9_ifPKiSB_iPKfiiiSD_SD_iiiii,@function
_ZN4vllm25paged_attention_v2_kernelIffLi192ELi32ELi128ELNS_18Fp8KVCacheDataTypeE0ELb1ELi512EEEvPfS2_PT_PKS3_PKT0_S9_ifPKiSB_iPKfiiiSD_SD_iiiii: ; @_ZN4vllm25paged_attention_v2_kernelIffLi192ELi32ELi128ELNS_18Fp8KVCacheDataTypeE0ELb1ELi512EEEvPfS2_PT_PKS3_PKT0_S9_ifPKiSB_iPKfiiiSD_SD_iiiii
; %bb.0:
	s_load_dwordx2 s[6:7], s[0:1], 0x40
	s_mov_b32 s28, s3
	s_ashr_i32 s29, s3, 31
	s_lshl_b64 s[8:9], s[28:29], 2
	s_waitcnt lgkmcnt(0)
	s_add_u32 s6, s6, s8
	s_addc_u32 s7, s7, s9
	s_load_dword s29, s[6:7], 0x0
	s_lshl_b32 s49, s4, 9
	s_waitcnt lgkmcnt(0)
	s_cmp_ge_i32 s49, s29
	s_cbranch_scc1 .LBB52_134
; %bb.1:
	s_load_dword s5, s[0:1], 0x90
	s_load_dwordx2 s[38:39], s[0:1], 0x30
	v_mov_b32_e32 v111, v0
	s_waitcnt lgkmcnt(0)
	s_abs_i32 s7, s5
	s_abs_i32 s3, s38
	v_cvt_f32_u32_e32 v0, s3
	s_sub_i32 s8, 0, s3
	s_xor_b32 s6, s5, s38
	s_ashr_i32 s6, s6, 31
	v_rcp_iflag_f32_e32 v0, v0
	s_nop 0
	v_mul_f32_e32 v0, 0x4f7ffffe, v0
	v_cvt_u32_f32_e32 v0, v0
	s_nop 0
	v_readfirstlane_b32 s9, v0
	s_mul_i32 s8, s8, s9
	s_mul_hi_u32 s8, s9, s8
	s_add_i32 s9, s9, s8
	s_mul_hi_u32 s8, s7, s9
	s_mul_i32 s9, s8, s3
	s_sub_i32 s7, s7, s9
	s_add_i32 s10, s8, 1
	s_sub_i32 s9, s7, s3
	s_cmp_ge_u32 s7, s3
	s_cselect_b32 s8, s10, s8
	s_cselect_b32 s7, s9, s7
	s_add_i32 s9, s8, 1
	s_cmp_ge_u32 s7, s3
	s_cselect_b32 s3, s9, s8
	s_xor_b32 s3, s3, s6
	s_sub_i32 s12, s3, s6
	s_abs_i32 s8, s12
	v_cvt_f32_u32_e32 v0, s8
	s_load_dwordx2 s[6:7], s[0:1], 0x50
	s_sub_i32 s10, 0, s8
	s_abs_i32 s9, s2
	v_rcp_iflag_f32_e32 v0, v0
	s_mov_b32 s3, 0
	v_mul_f32_e32 v0, 0x4f7ffffe, v0
	v_cvt_u32_f32_e32 v0, v0
	s_nop 0
	v_readfirstlane_b32 s11, v0
	s_mul_i32 s10, s10, s11
	s_mul_hi_u32 s10, s11, s10
	s_add_i32 s11, s11, s10
	s_waitcnt lgkmcnt(0)
	s_cmp_eq_u64 s[6:7], 0
	s_mul_hi_u32 s10, s9, s11
	s_cbranch_scc1 .LBB52_3
; %bb.2:
	s_ashr_i32 s3, s2, 31
	s_lshl_b64 s[14:15], s[2:3], 2
	s_add_u32 s6, s6, s14
	s_addc_u32 s7, s7, s15
	s_load_dword s3, s[6:7], 0x0
.LBB52_3:
	s_load_dwordx4 s[16:19], s[0:1], 0x58
	s_movk_i32 s6, 0x60
	s_ashr_i32 s11, s2, 31
	s_ashr_i32 s12, s12, 31
	v_and_b32_e32 v2, 1, v111
	s_mul_i32 s24, s2, 0xc0
	v_cmp_gt_u32_e32 vcc, s6, v111
	v_lshlrev_b32_e32 v0, 3, v111
	v_lshlrev_b32_e32 v50, 2, v111
	s_and_saveexec_b64 s[6:7], vcc
	s_cbranch_execz .LBB52_5
; %bb.4:
	s_load_dwordx2 s[14:15], s[0:1], 0x18
	s_waitcnt lgkmcnt(0)
	s_mul_i32 s20, s28, s16
	s_ashr_i32 s21, s20, 31
	s_lshl_b64 s[20:21], s[20:21], 2
	v_and_b32_e32 v1, 0xff8, v50
	s_add_u32 s13, s14, s20
	s_addc_u32 s16, s15, s21
	s_ashr_i32 s25, s24, 31
	s_lshl_b64 s[14:15], s[24:25], 2
	s_add_u32 s14, s13, s14
	s_addc_u32 s15, s16, s15
	global_load_dwordx2 v[4:5], v0, s[14:15]
	s_movk_i32 s13, 0x180
	v_mad_u32_u24 v1, v2, s13, v1
	s_waitcnt vmcnt(0)
	ds_write_b64 v1, v[4:5]
.LBB52_5:
	s_or_b64 exec, exec, s[6:7]
	s_mul_i32 s7, s10, s8
	s_sub_i32 s7, s9, s7
	s_xor_b32 s6, s11, s12
	s_add_i32 s9, s10, 1
	s_sub_i32 s11, s7, s8
	s_load_dwordx4 s[12:15], s[0:1], 0x78
	s_cmp_ge_u32 s7, s8
	s_cselect_b32 s9, s9, s10
	s_cselect_b32 s7, s11, s7
	s_load_dword s11, s[0:1], 0x88
	s_add_i32 s10, s9, 1
	s_cmp_ge_u32 s7, s8
	s_cselect_b32 s7, s10, s9
	s_waitcnt lgkmcnt(0)
	s_abs_i32 s25, s15
	v_cvt_f32_u32_e32 v1, s25
	s_xor_b32 s7, s7, s6
	s_sub_i32 s10, s7, s6
	s_sub_i32 s6, 0, s25
	v_rcp_iflag_f32_e32 v1, v1
	s_add_i32 s16, s29, -1
	s_abs_i32 s8, s16
	v_mul_f32_e32 v1, 0x4f7ffffe, v1
	v_cvt_u32_f32_e32 v1, v1
	s_barrier
	v_readfirstlane_b32 s33, v1
	s_mul_i32 s6, s6, s33
	s_mul_hi_u32 s6, s33, s6
	s_add_i32 s33, s33, s6
	s_cmp_lt_i32 s11, 0
	s_mul_hi_u32 s9, s8, s33
	s_cbranch_scc0 .LBB52_7
; %bb.6:
	s_mul_i32 s6, s12, s38
	s_add_i32 s6, s10, s6
	s_mul_i32 s6, s6, s11
	s_sub_i32 s46, 1, s6
	s_mov_b64 s[6:7], 0
	s_branch .LBB52_8
.LBB52_7:
	s_mov_b64 s[6:7], -1
                                        ; implicit-def: $sgpr46
.LBB52_8:
	s_load_dwordx2 s[30:31], s[0:1], 0x38
	s_ashr_i32 s19, s16, 31
	s_andn2_b64 vcc, exec, s[6:7]
	s_ashr_i32 s47, s15, 31
	s_cbranch_vccnz .LBB52_10
; %bb.9:
	s_mul_i32 s6, s5, s12
	s_add_i32 s6, s6, s2
	s_mul_i32 s6, s6, s11
	s_add_i32 s46, s6, 1
.LBB52_10:
	s_load_dword s6, s[0:1], 0x48
	s_load_dwordx2 s[36:37], s[0:1], 0x28
	s_load_dword s16, s[0:1], 0x98
	s_load_dwordx4 s[20:23], s[0:1], 0x0
	s_load_dwordx2 s[26:27], s[0:1], 0x10
	s_mul_i32 s7, s9, s25
	s_waitcnt lgkmcnt(0)
	s_mul_i32 s34, s28, s6
	s_sub_i32 s7, s8, s7
	s_ashr_i32 s35, s34, 31
	s_xor_b32 s6, s19, s47
	s_add_i32 s8, s9, 1
	s_sub_i32 s11, s7, s25
	s_cmp_ge_u32 s7, s25
	s_cselect_b32 s8, s8, s9
	s_cselect_b32 s7, s11, s7
	s_add_i32 s9, s8, 1
	s_cmp_ge_u32 s7, s25
	s_cselect_b32 s7, s9, s8
	s_xor_b32 s7, s7, s6
	s_sub_i32 s15, s7, s6
	s_add_i32 s6, s29, 31
	s_ashr_i32 s7, s6, 31
	s_lshr_b32 s7, s7, 27
	s_add_i32 s6, s6, s7
	s_lshl_b32 s38, s4, 4
	s_ashr_i32 s12, s6, 5
	s_add_i32 s6, s38, 16
	v_lshrrev_b32_e32 v51, 6, v111
	s_min_i32 s48, s6, s12
	v_or_b32_e32 v102, s38, v51
	v_cmp_gt_i32_e64 s[8:9], s48, v102
	v_mov_b32_e32 v55, 0xff7fffff
	s_mul_i32 s18, s10, s18
	v_ashrrev_i32_e32 v103, 31, v102
	v_lshl_add_u32 v106, v51, 5, s49
	v_mbcnt_lo_u32_b32 v52, -1, 0
	s_and_saveexec_b64 s[40:41], s[8:9]
	s_cbranch_execz .LBB52_20
; %bb.11:
	s_load_dwordx2 s[0:1], s[0:1], 0x20
	s_ashr_i32 s19, s18, 31
	s_sub_i32 s50, s15, s13
	s_lshl_b64 s[6:7], s[18:19], 2
	v_bfe_u32 v53, v111, 1, 5
	s_waitcnt lgkmcnt(0)
	s_add_u32 s0, s0, s6
	s_addc_u32 s1, s1, s7
	s_abs_i32 s19, s14
	v_cvt_f32_u32_e32 v1, s19
	v_lshlrev_b32_e32 v4, 4, v53
	v_mov_b32_e32 v5, 0
	v_lshlrev_b32_e32 v8, 2, v53
	v_rcp_iflag_f32_e32 v3, v1
	v_lshl_add_u64 v[6:7], s[0:1], 0, v[4:5]
	v_and_b32_e32 v4, 8, v0
	s_sub_i32 s0, 0, s19
	v_mul_f32_e32 v3, 0x4f7ffffe, v3
	v_cvt_u32_f32_e32 v3, v3
	v_cmp_eq_u32_e32 vcc, 0, v2
	v_lshl_add_u64 v[0:1], v[6:7], 0, v[4:5]
	v_mul_u32_u24_e32 v54, 0x180, v2
	v_mul_lo_u32 v2, s0, v3
	s_lshl_b64 s[0:1], s[34:35], 2
	v_lshl_or_b32 v4, v51, 7, v8
	s_add_u32 s0, s30, s0
	v_add_u32_e32 v58, 0x310, v4
	v_subrev_u32_e32 v4, s29, v53
	v_mbcnt_hi_u32_b32 v61, -1, v52
	v_mul_hi_u32 v2, v3, v2
	s_addc_u32 s1, s31, s1
	v_add_u32_e32 v59, 1, v4
	v_and_b32_e32 v4, 64, v61
	s_mov_b32 s51, s17
	v_cmp_neq_f32_e64 s[6:7], s3, 0
	v_add_u32_e32 v56, v3, v2
	v_lshl_add_u64 v[2:3], v[102:103], 2, s[0:1]
	v_lshl_add_u32 v57, v51, 5, s49
	s_mov_b64 s[42:43], 0
	v_mov_b32_e32 v60, 0xff7fffff
	s_movk_i32 s52, 0x1000
	s_movk_i32 s53, 0x2000
	;; [unrolled: 1-line block ×5, first 2 shown]
	v_xor_b32_e32 v62, 1, v61
	v_add_u32_e32 v63, 64, v4
	v_mov_b32_e32 v55, 0xff7fffff
	v_mov_b32_e32 v64, v102
	s_branch .LBB52_14
.LBB52_12:                              ;   in Loop: Header=BB52_14 Depth=1
	s_or_b64 exec, exec, s[44:45]
.LBB52_13:                              ;   in Loop: Header=BB52_14 Depth=1
	s_or_b64 exec, exec, s[10:11]
	v_add_u32_e32 v64, 2, v64
	v_cmp_le_i32_e64 s[0:1], s48, v64
	v_lshl_add_u64 v[2:3], v[2:3], 0, 8
	v_add_u32_e32 v57, 64, v57
	s_or_b64 s[42:43], s[0:1], s[42:43]
	v_add_u32_e32 v58, 0x100, v58
	s_andn2_b64 exec, exec, s[42:43]
	s_cbranch_execz .LBB52_19
.LBB52_14:                              ; =>This Inner Loop Header: Depth=1
	s_waitcnt lgkmcnt(0)
	v_sub_u32_e32 v5, 0, v57
	v_max_i32_e32 v5, v57, v5
	v_mul_hi_u32 v6, v5, s33
	v_mul_lo_u32 v7, v6, s25
	v_sub_u32_e32 v5, v5, v7
	v_add_u32_e32 v7, 1, v6
	v_cmp_le_u32_e64 s[0:1], s25, v5
	v_ashrrev_i32_e32 v4, 31, v57
	v_xor_b32_e32 v4, s47, v4
	v_cndmask_b32_e64 v6, v6, v7, s[0:1]
	v_subrev_u32_e32 v7, s25, v5
	v_cndmask_b32_e64 v5, v5, v7, s[0:1]
	v_add_u32_e32 v7, 1, v6
	v_cmp_le_u32_e64 s[0:1], s25, v5
	s_nop 1
	v_cndmask_b32_e64 v5, v6, v7, s[0:1]
	v_xor_b32_e32 v5, v5, v4
	v_sub_u32_e32 v4, v5, v4
	v_add_u32_e32 v5, s46, v4
	v_sub_u32_e32 v7, 0, v5
	v_ashrrev_i32_e32 v6, 31, v5
	v_max_i32_e32 v5, v5, v7
	v_mul_hi_u32 v7, v5, v56
	v_mul_lo_u32 v7, v7, s19
	v_sub_u32_e32 v5, v5, v7
	v_subrev_u32_e32 v7, s19, v5
	v_cmp_le_u32_e64 s[0:1], s19, v5
	v_cmp_ge_i32_e64 s[10:11], s50, v4
	s_nop 0
	v_cndmask_b32_e64 v5, v5, v7, s[0:1]
	v_subrev_u32_e32 v7, s19, v5
	v_cmp_le_u32_e64 s[0:1], s19, v5
	s_nop 1
	v_cndmask_b32_e64 v5, v5, v7, s[0:1]
	v_xor_b32_e32 v5, v5, v6
	v_sub_u32_e32 v5, v5, v6
	v_cmp_ne_u32_e64 s[0:1], 0, v5
	s_and_b64 s[0:1], s[0:1], s[10:11]
	s_and_b64 s[44:45], vcc, s[0:1]
	s_and_saveexec_b64 s[10:11], s[44:45]
	s_cbranch_execz .LBB52_16
; %bb.15:                               ;   in Loop: Header=BB52_14 Depth=1
	ds_write_b32 v58, v60
.LBB52_16:                              ;   in Loop: Header=BB52_14 Depth=1
	s_or_b64 exec, exec, s[10:11]
	s_xor_b64 s[0:1], s[0:1], -1
	s_and_saveexec_b64 s[10:11], s[0:1]
	s_cbranch_execz .LBB52_13
; %bb.17:                               ;   in Loop: Header=BB52_14 Depth=1
	global_load_dword v4, v[2:3], off
	s_waitcnt vmcnt(0)
	v_mad_i64_i32 v[4:5], s[0:1], v4, s51, 0
	v_lshl_add_u64 v[4:5], v[4:5], 2, v[0:1]
	global_load_dwordx2 v[10:11], v[4:5], off offset:512
	global_load_dwordx2 v[26:27], v[4:5], off
	global_load_dwordx2 v[30:31], v[4:5], off offset:1024
	global_load_dwordx2 v[36:37], v[4:5], off offset:1536
	global_load_dwordx2 v[38:39], v[4:5], off offset:2048
	global_load_dwordx2 v[44:45], v[4:5], off offset:2560
	global_load_dwordx2 v[46:47], v[4:5], off offset:3072
	global_load_dwordx2 v[48:49], v[4:5], off offset:3584
	v_add_co_u32_e64 v72, s[0:1], s53, v4
	s_nop 1
	v_addc_co_u32_e64 v73, s[0:1], 0, v5, s[0:1]
	global_load_dwordx2 v[74:75], v[72:73], off offset:-4096
	v_add_co_u32_e64 v40, s[0:1], s52, v4
	s_nop 1
	v_addc_co_u32_e64 v41, s[0:1], 0, v5, s[0:1]
	global_load_dwordx2 v[76:77], v[40:41], off offset:512
	global_load_dwordx2 v[78:79], v[40:41], off offset:1024
	;; [unrolled: 1-line block ×3, first 2 shown]
	ds_read_b128 v[6:9], v54
	ds_read_b128 v[18:21], v54 offset:16
	global_load_dwordx2 v[16:17], v[40:41], off offset:2048
	ds_read_b128 v[22:25], v54 offset:32
	ds_read_b128 v[32:35], v54 offset:48
	global_load_dwordx2 v[28:29], v[40:41], off offset:2560
	v_add_co_u32_e64 v80, s[0:1], s54, v4
	s_waitcnt vmcnt(13) lgkmcnt(3)
	v_mul_f32_e32 v65, v8, v10
	v_mul_f32_e32 v66, v9, v11
	global_load_dwordx2 v[12:13], v[40:41], off offset:3072
	global_load_dwordx2 v[10:11], v[40:41], off offset:3584
	s_waitcnt vmcnt(14)
	v_fmac_f32_e32 v65, v6, v26
	v_fmac_f32_e32 v66, v7, v27
	global_load_dwordx2 v[8:9], v[72:73], off
	s_waitcnt vmcnt(14) lgkmcnt(2)
	v_fmac_f32_e32 v65, v18, v30
	v_fmac_f32_e32 v66, v19, v31
	s_waitcnt vmcnt(13)
	v_fmac_f32_e32 v65, v20, v36
	v_fmac_f32_e32 v66, v21, v37
	ds_read_b128 v[40:43], v54 offset:64
	ds_read_b128 v[68:71], v54 offset:80
	global_load_dwordx2 v[36:37], v[72:73], off offset:512
	s_waitcnt vmcnt(13) lgkmcnt(3)
	v_fmac_f32_e32 v65, v22, v38
	v_fmac_f32_e32 v66, v23, v39
	global_load_dwordx2 v[38:39], v[72:73], off offset:1024
	global_load_dwordx2 v[30:31], v[72:73], off offset:1536
	s_waitcnt vmcnt(14)
	v_fmac_f32_e32 v65, v24, v44
	v_fmac_f32_e32 v66, v25, v45
	global_load_dwordx2 v[44:45], v[72:73], off offset:2048
	s_waitcnt vmcnt(14) lgkmcnt(2)
	v_fmac_f32_e32 v65, v32, v46
	v_fmac_f32_e32 v66, v33, v47
	global_load_dwordx2 v[46:47], v[72:73], off offset:2560
	global_load_dwordx2 v[18:19], v[72:73], off offset:3072
	v_addc_co_u32_e64 v81, s[0:1], 0, v5, s[0:1]
	v_add_co_u32_e64 v24, s[0:1], s55, v4
	global_load_dwordx2 v[20:21], v[72:73], off offset:3584
	s_nop 0
	v_addc_co_u32_e64 v25, s[0:1], 0, v5, s[0:1]
	v_add_co_u32_e64 v6, s[0:1], s56, v4
	s_waitcnt vmcnt(16)
	v_fmac_f32_e32 v65, v34, v48
	v_addc_co_u32_e64 v7, s[0:1], 0, v5, s[0:1]
	global_load_dwordx2 v[22:23], v[24:25], off offset:-4096
	global_load_dwordx2 v[4:5], v[6:7], off offset:3584
	global_load_dwordx2 v[26:27], v[80:81], off offset:512
	v_fmac_f32_e32 v66, v35, v49
	s_waitcnt vmcnt(18) lgkmcnt(1)
	v_fmac_f32_e32 v65, v40, v74
	v_fmac_f32_e32 v66, v41, v75
	ds_read_b128 v[32:35], v54 offset:96
	ds_read_b128 v[72:75], v54 offset:112
	s_waitcnt vmcnt(17)
	v_fmac_f32_e32 v65, v42, v76
	v_fmac_f32_e32 v66, v43, v77
	s_waitcnt vmcnt(16) lgkmcnt(2)
	v_fmac_f32_e32 v65, v68, v78
	v_fmac_f32_e32 v66, v69, v79
	global_load_dwordx2 v[76:77], v[80:81], off offset:1024
	global_load_dwordx2 v[48:49], v[80:81], off offset:1536
	s_waitcnt vmcnt(17)
	v_fmac_f32_e32 v65, v70, v14
	v_fmac_f32_e32 v66, v71, v15
	s_waitcnt vmcnt(16) lgkmcnt(1)
	v_fmac_f32_e32 v65, v32, v16
	v_fmac_f32_e32 v66, v33, v17
	ds_read_b128 v[14:17], v54 offset:128
	ds_read_b128 v[68:71], v54 offset:144
	s_waitcnt vmcnt(15)
	v_fmac_f32_e32 v65, v34, v28
	v_fmac_f32_e32 v66, v35, v29
	global_load_dwordx2 v[42:43], v[80:81], off offset:2048
	global_load_dwordx2 v[40:41], v[80:81], off offset:2560
	;; [unrolled: 1-line block ×4, first 2 shown]
	v_cmp_lt_i32_e64 s[0:1], v62, v63
	s_waitcnt vmcnt(18) lgkmcnt(2)
	v_fmac_f32_e32 v65, v72, v12
	v_fmac_f32_e32 v66, v73, v13
	s_waitcnt vmcnt(17)
	v_fmac_f32_e32 v65, v74, v10
	v_fmac_f32_e32 v66, v75, v11
	s_waitcnt vmcnt(16) lgkmcnt(1)
	v_fmac_f32_e32 v65, v14, v8
	v_fmac_f32_e32 v66, v15, v9
	ds_read_b128 v[8:11], v54 offset:160
	ds_read_b128 v[72:75], v54 offset:176
	s_waitcnt vmcnt(15)
	v_fmac_f32_e32 v65, v16, v36
	v_fmac_f32_e32 v66, v17, v37
	global_load_dwordx2 v[36:37], v[24:25], off
	s_waitcnt vmcnt(15) lgkmcnt(2)
	v_fmac_f32_e32 v65, v68, v38
	v_fmac_f32_e32 v66, v69, v39
	global_load_dwordx2 v[38:39], v[24:25], off offset:512
	s_waitcnt vmcnt(15)
	v_fmac_f32_e32 v65, v70, v30
	v_fmac_f32_e32 v66, v71, v31
	global_load_dwordx2 v[30:31], v[24:25], off offset:1024
	global_load_dwordx2 v[28:29], v[24:25], off offset:1536
	s_waitcnt vmcnt(16) lgkmcnt(1)
	v_fmac_f32_e32 v65, v8, v44
	v_fmac_f32_e32 v66, v9, v45
	s_waitcnt vmcnt(15)
	v_fmac_f32_e32 v65, v10, v46
	v_fmac_f32_e32 v66, v11, v47
	ds_read_b128 v[44:47], v54 offset:192
	ds_read_b128 v[68:71], v54 offset:208
	global_load_dwordx2 v[14:15], v[24:25], off offset:2048
	global_load_dwordx2 v[16:17], v[24:25], off offset:2560
	s_waitcnt vmcnt(16) lgkmcnt(2)
	v_fmac_f32_e32 v65, v72, v18
	v_fmac_f32_e32 v66, v73, v19
	global_load_dwordx2 v[18:19], v[24:25], off offset:3072
	global_load_dwordx2 v[8:9], v[24:25], off offset:3584
	s_waitcnt vmcnt(17)
	v_fmac_f32_e32 v65, v74, v20
	v_fmac_f32_e32 v66, v75, v21
	global_load_dwordx2 v[20:21], v[6:7], off
	global_load_dwordx2 v[10:11], v[6:7], off offset:512
	s_waitcnt vmcnt(18) lgkmcnt(1)
	v_fmac_f32_e32 v65, v44, v22
	v_fmac_f32_e32 v66, v45, v23
	global_load_dwordx2 v[22:23], v[6:7], off offset:1024
	global_load_dwordx2 v[24:25], v[6:7], off offset:1536
	s_waitcnt vmcnt(18)
	v_fmac_f32_e32 v65, v26, v46
	v_fmac_f32_e32 v66, v27, v47
	global_load_dwordx2 v[26:27], v[6:7], off offset:2048
	global_load_dwordx2 v[12:13], v[6:7], off offset:2560
	s_nop 0
	global_load_dwordx2 v[6:7], v[6:7], off offset:3072
	ds_read_b128 v[44:47], v54 offset:224
	s_waitcnt vmcnt(20) lgkmcnt(1)
	v_fmac_f32_e32 v65, v76, v68
	v_fmac_f32_e32 v66, v77, v69
	s_waitcnt vmcnt(19)
	v_fmac_f32_e32 v65, v48, v70
	v_fmac_f32_e32 v66, v49, v71
	ds_read_b128 v[68:71], v54 offset:240
	v_cndmask_b32_e64 v48, v61, v62, s[0:1]
	v_lshlrev_b32_e32 v48, 2, v48
	s_waitcnt vmcnt(18) lgkmcnt(1)
	v_fmac_f32_e32 v65, v42, v44
	v_fmac_f32_e32 v66, v43, v45
	s_waitcnt vmcnt(17)
	v_fmac_f32_e32 v65, v40, v46
	v_fmac_f32_e32 v66, v41, v47
	ds_read_b128 v[40:43], v54 offset:256
	ds_read_b128 v[44:47], v54 offset:272
	s_waitcnt vmcnt(16) lgkmcnt(2)
	v_fmac_f32_e32 v65, v34, v68
	v_fmac_f32_e32 v66, v35, v69
	s_waitcnt vmcnt(15)
	v_fmac_f32_e32 v65, v32, v70
	v_fmac_f32_e32 v66, v33, v71
	ds_read_b128 v[32:35], v54 offset:288
	ds_read_b128 v[68:71], v54 offset:304
	s_waitcnt vmcnt(14) lgkmcnt(3)
	v_fmac_f32_e32 v65, v36, v40
	v_fmac_f32_e32 v66, v37, v41
	s_waitcnt vmcnt(13)
	v_fmac_f32_e32 v65, v38, v42
	v_fmac_f32_e32 v66, v39, v43
	s_waitcnt vmcnt(12) lgkmcnt(2)
	v_fmac_f32_e32 v65, v30, v44
	v_fmac_f32_e32 v66, v31, v45
	s_waitcnt vmcnt(11)
	v_fmac_f32_e32 v65, v28, v46
	v_fmac_f32_e32 v66, v29, v47
	ds_read_b128 v[36:39], v54 offset:320
	ds_read_b128 v[40:43], v54 offset:336
	;; [unrolled: 1-line block ×4, first 2 shown]
	s_waitcnt vmcnt(10) lgkmcnt(5)
	v_fmac_f32_e32 v65, v14, v32
	v_fmac_f32_e32 v66, v15, v33
	s_waitcnt vmcnt(9)
	v_fmac_f32_e32 v65, v16, v34
	v_fmac_f32_e32 v66, v17, v35
	s_waitcnt vmcnt(8) lgkmcnt(4)
	v_fmac_f32_e32 v65, v18, v68
	v_fmac_f32_e32 v66, v19, v69
	s_waitcnt vmcnt(7)
	v_fmac_f32_e32 v65, v8, v70
	v_fmac_f32_e32 v66, v9, v71
	;; [unrolled: 6-line block ×5, first 2 shown]
	s_waitcnt vmcnt(0) lgkmcnt(0)
	v_fmac_f32_e32 v65, v6, v44
	v_fmac_f32_e32 v66, v7, v45
	v_fmac_f32_e32 v65, v4, v46
	v_fmac_f32_e32 v66, v5, v47
	v_add_f32_e32 v4, v65, v66
	ds_bpermute_b32 v5, v48, v4
	s_and_saveexec_b64 s[44:45], vcc
	s_cbranch_execz .LBB52_12
; %bb.18:                               ;   in Loop: Header=BB52_14 Depth=1
	v_add_u32_e32 v6, v59, v57
	v_cvt_f32_i32_e32 v6, v6
	s_waitcnt lgkmcnt(0)
	v_add_f32_e32 v4, v4, v5
	v_add_u32_e32 v7, v53, v57
	v_cmp_gt_i32_e64 s[0:1], s29, v7
	v_mul_f32_e32 v5, s3, v6
	v_cndmask_b32_e64 v5, 0, v5, s[6:7]
	v_fmac_f32_e32 v5, s39, v4
	v_cndmask_b32_e64 v4, 0, v5, s[0:1]
	ds_write_b32 v58, v4
	v_max_f32_e32 v4, v55, v55
	v_max_f32_e32 v4, v4, v5
	v_cndmask_b32_e64 v55, v55, v4, s[0:1]
	s_branch .LBB52_12
.LBB52_19:
	s_or_b64 exec, exec, s[42:43]
.LBB52_20:
	s_or_b64 exec, exec, s[40:41]
	v_mbcnt_hi_u32_b32 v2, -1, v52
	v_and_b32_e32 v0, 64, v2
	v_add_u32_e32 v6, 64, v0
	v_xor_b32_e32 v0, 32, v2
	v_cmp_lt_i32_e32 vcc, v0, v6
	v_xor_b32_e32 v4, 16, v2
	v_max_f32_e32 v3, v55, v55
	v_cndmask_b32_e32 v0, v2, v0, vcc
	v_lshlrev_b32_e32 v0, 2, v0
	ds_bpermute_b32 v1, v0, v55
	v_cmp_lt_i32_e32 vcc, v4, v6
	s_waitcnt lgkmcnt(1)
	v_xor_b32_e32 v5, 8, v2
	v_xor_b32_e32 v7, 4, v2
	v_and_b32_e32 v36, 63, v111
	s_waitcnt lgkmcnt(0)
	v_max_f32_e32 v1, v1, v1
	v_max_f32_e32 v3, v3, v1
	v_cndmask_b32_e32 v1, v2, v4, vcc
	v_lshlrev_b32_e32 v1, 2, v1
	ds_bpermute_b32 v4, v1, v3
	v_cmp_lt_i32_e32 vcc, v5, v6
	s_waitcnt lgkmcnt(0)
	v_max_f32_e32 v4, v4, v4
	v_max_f32_e32 v4, v3, v4
	v_cndmask_b32_e32 v3, v2, v5, vcc
	v_lshlrev_b32_e32 v3, 2, v3
	ds_bpermute_b32 v5, v3, v4
	v_cmp_lt_i32_e32 vcc, v7, v6
	s_waitcnt lgkmcnt(0)
	v_max_f32_e32 v5, v5, v5
	v_max_f32_e32 v4, v4, v5
	v_cndmask_b32_e32 v5, v2, v7, vcc
	v_lshlrev_b32_e32 v29, 2, v5
	ds_bpermute_b32 v5, v29, v4
	v_xor_b32_e32 v7, 2, v2
	v_cmp_lt_i32_e32 vcc, v7, v6
	s_waitcnt lgkmcnt(0)
	v_max_f32_e32 v5, v5, v5
	v_max_f32_e32 v5, v4, v5
	v_cndmask_b32_e32 v4, v2, v7, vcc
	v_lshlrev_b32_e32 v35, 2, v4
	ds_bpermute_b32 v7, v35, v5
	v_cmp_eq_u32_e32 vcc, 0, v36
	v_lshlrev_b32_e32 v4, 2, v51
	s_and_saveexec_b64 s[0:1], vcc
	s_cbranch_execz .LBB52_22
; %bb.21:
	s_waitcnt lgkmcnt(0)
	v_max_f32_e32 v7, v7, v7
	v_max_f32_e32 v5, v5, v5
	;; [unrolled: 1-line block ×3, first 2 shown]
	ds_write_b32 v4, v5 offset:768
.LBB52_22:
	s_or_b64 exec, exec, s[0:1]
	v_cmp_gt_u32_e64 s[0:1], 2, v36
	s_waitcnt lgkmcnt(0)
	v_mov_b32_e32 v7, 0xff7fffff
	v_lshlrev_b32_e32 v5, 2, v36
	s_barrier
	s_and_saveexec_b64 s[6:7], s[0:1]
	s_cbranch_execz .LBB52_24
; %bb.23:
	ds_read_b32 v7, v5 offset:768
.LBB52_24:
	s_or_b64 exec, exec, s[6:7]
	v_xor_b32_e32 v8, 1, v2
	v_cmp_lt_i32_e64 s[6:7], v8, v6
	s_sub_i32 s3, s48, s38
	s_lshl_b32 s3, s3, 5
	v_cndmask_b32_e64 v6, v2, v8, s[6:7]
	v_lshlrev_b32_e32 v37, 2, v6
	s_waitcnt lgkmcnt(0)
	ds_bpermute_b32 v6, v37, v7
	v_max_f32_e32 v7, v7, v7
	v_lshlrev_b32_e32 v2, 2, v2
	s_add_i32 s3, s3, s49
	s_min_i32 s19, s3, s29
	s_waitcnt lgkmcnt(0)
	v_max_f32_e32 v6, v6, v6
	v_max_f32_e32 v7, v7, v6
	v_and_b32_e32 v6, 0x100, v2
	ds_bpermute_b32 v2, v6, v7
	s_sub_i32 s3, s19, s49
	v_cmp_gt_i32_e64 s[6:7], s3, v111
	v_mov_b32_e32 v7, 0
	s_and_saveexec_b64 s[38:39], s[6:7]
	s_cbranch_execz .LBB52_28
; %bb.25:
	v_mov_b32_e32 v7, 0x310
	v_lshl_add_u32 v8, v111, 2, v7
	s_mov_b64 s[40:41], 0
	v_mov_b32_e32 v7, 0
	v_mov_b32_e32 v9, v111
.LBB52_26:                              ; =>This Inner Loop Header: Depth=1
	ds_read_b32 v10, v8
	v_add_u32_e32 v9, 0x80, v9
	v_cmp_le_i32_e64 s[10:11], s3, v9
	s_or_b64 s[40:41], s[10:11], s[40:41]
	s_waitcnt lgkmcnt(0)
	v_sub_f32_e32 v10, v10, v2
	v_mul_f32_e32 v10, 0x3fb8aa3b, v10
	v_exp_f32_e32 v10, v10
	ds_write_b32 v8, v10
	v_add_f32_e32 v7, v7, v10
	v_add_u32_e32 v8, 0x200, v8
	s_andn2_b64 exec, exec, s[40:41]
	s_cbranch_execnz .LBB52_26
; %bb.27:
	s_or_b64 exec, exec, s[40:41]
.LBB52_28:
	s_or_b64 exec, exec, s[38:39]
	ds_bpermute_b32 v0, v0, v7
	s_waitcnt lgkmcnt(0)
	v_add_f32_e32 v0, v7, v0
	ds_bpermute_b32 v1, v1, v0
	s_waitcnt lgkmcnt(0)
	v_add_f32_e32 v0, v0, v1
	;; [unrolled: 3-line block ×6, first 2 shown]
	s_and_saveexec_b64 s[10:11], vcc
	s_cbranch_execz .LBB52_30
; %bb.29:
	ds_write_b32 v4, v0 offset:776
.LBB52_30:
	s_or_b64 exec, exec, s[10:11]
	s_waitcnt lgkmcnt(0)
	s_barrier
	s_and_saveexec_b64 s[10:11], s[0:1]
	s_cbranch_execz .LBB52_32
; %bb.31:
	ds_read_b32 v0, v5 offset:776
.LBB52_32:
	s_or_b64 exec, exec, s[10:11]
	s_waitcnt lgkmcnt(0)
	ds_bpermute_b32 v1, v37, v0
	s_waitcnt lgkmcnt(0)
	v_add_f32_e32 v0, v0, v1
	ds_bpermute_b32 v3, v6, v0
	s_and_saveexec_b64 s[0:1], s[6:7]
	s_cbranch_execz .LBB52_45
; %bb.33:
	s_waitcnt lgkmcnt(0)
	v_add_f32_e32 v0, 0x358637bd, v3
	v_div_scale_f32 v1, s[6:7], v0, v0, 1.0
	v_rcp_f32_e32 v4, v1
	v_div_scale_f32 v5, vcc, 1.0, v0, 1.0
	s_movk_i32 s6, 0x7f
	v_fma_f32 v6, -v1, v4, 1.0
	v_fmac_f32_e32 v4, v6, v4
	v_mul_f32_e32 v6, v5, v4
	v_fma_f32 v7, -v1, v6, v5
	v_fmac_f32_e32 v6, v7, v4
	v_fma_f32 v1, -v1, v6, v5
	v_div_fmas_f32 v1, v1, v4, v6
	v_div_fixup_f32 v0, v1, v0, 1.0
	v_xad_u32 v1, v111, -1, s19
	v_subrev_u32_e32 v4, s49, v1
	v_cmp_lt_u32_e32 vcc, s6, v4
	s_mov_b64 s[10:11], -1
	v_mov_b32_e32 v1, v111
	s_and_saveexec_b64 s[6:7], vcc
	s_cbranch_execz .LBB52_42
; %bb.34:
	v_lshrrev_b32_e32 v4, 7, v4
	v_add_u32_e32 v6, -1, v4
	v_lshrrev_b32_e32 v5, 1, v6
	v_mov_b32_e32 v1, v0
	v_add_u32_e32 v5, 1, v5
	v_cmp_lt_u32_e32 vcc, 13, v6
	v_mov_b32_e32 v8, 0
	s_and_saveexec_b64 s[10:11], vcc
	s_cbranch_execz .LBB52_38
; %bb.35:
	v_mov_b32_e32 v7, 0x310
	v_and_b32_e32 v6, -8, v5
	v_lshl_add_u32 v7, v111, 2, v7
	s_mov_b32 s19, 0
	s_mov_b64 s[38:39], 0
.LBB52_36:                              ; =>This Inner Loop Header: Depth=1
	ds_read2st64_b32 v[8:9], v7 offset1:2
	ds_read2st64_b32 v[10:11], v7 offset0:4 offset1:6
	ds_read2st64_b32 v[12:13], v7 offset0:8 offset1:10
	;; [unrolled: 1-line block ×3, first 2 shown]
	v_add_u32_e32 v6, -8, v6
	s_waitcnt lgkmcnt(3)
	v_pk_mul_f32 v[8:9], v[0:1], v[8:9]
	s_waitcnt lgkmcnt(2)
	v_pk_mul_f32 v[10:11], v[0:1], v[10:11]
	ds_write2st64_b32 v7, v8, v9 offset1:2
	ds_write2st64_b32 v7, v10, v11 offset0:4 offset1:6
	ds_read2st64_b32 v[10:11], v7 offset0:16 offset1:18
	s_waitcnt lgkmcnt(4)
	v_pk_mul_f32 v[8:9], v[0:1], v[12:13]
	ds_write2st64_b32 v7, v8, v9 offset0:8 offset1:10
	s_waitcnt lgkmcnt(4)
	v_pk_mul_f32 v[8:9], v[0:1], v[14:15]
	ds_write2st64_b32 v7, v8, v9 offset0:12 offset1:14
	ds_read2st64_b32 v[8:9], v7 offset0:20 offset1:22
	s_waitcnt lgkmcnt(3)
	v_pk_mul_f32 v[10:11], v[0:1], v[10:11]
	ds_read2st64_b32 v[12:13], v7 offset0:24 offset1:26
	ds_write2st64_b32 v7, v10, v11 offset0:16 offset1:18
	ds_read2st64_b32 v[10:11], v7 offset0:28 offset1:30
	s_waitcnt lgkmcnt(3)
	v_pk_mul_f32 v[8:9], v[0:1], v[8:9]
	ds_write2st64_b32 v7, v8, v9 offset0:20 offset1:22
	s_waitcnt lgkmcnt(3)
	v_pk_mul_f32 v[8:9], v[0:1], v[12:13]
	ds_write2st64_b32 v7, v8, v9 offset0:24 offset1:26
	s_waitcnt lgkmcnt(2)
	v_pk_mul_f32 v[8:9], v[0:1], v[10:11]
	s_add_i32 s19, s19, 16
	v_cmp_eq_u32_e32 vcc, 0, v6
	ds_write2st64_b32 v7, v8, v9 offset0:28 offset1:30
	v_add_u32_e32 v7, 0x2000, v7
	s_or_b64 s[38:39], vcc, s[38:39]
	v_mov_b32_e32 v8, s19
	s_andn2_b64 exec, exec, s[38:39]
	s_cbranch_execnz .LBB52_36
; %bb.37:
	s_or_b64 exec, exec, s[38:39]
.LBB52_38:
	s_or_b64 exec, exec, s[10:11]
	v_and_b32_e32 v5, 7, v5
	v_cmp_ne_u32_e32 vcc, 0, v5
	s_and_saveexec_b64 s[10:11], vcc
	s_cbranch_execz .LBB52_41
; %bb.39:
	v_lshlrev_b32_e32 v6, 9, v8
	s_movk_i32 s19, 0x310
	v_add3_u32 v6, v6, v50, s19
	s_mov_b64 s[38:39], 0
.LBB52_40:                              ; =>This Inner Loop Header: Depth=1
	ds_read2st64_b32 v[8:9], v6 offset1:2
	v_add_u32_e32 v5, -1, v5
	v_cmp_eq_u32_e32 vcc, 0, v5
	s_or_b64 s[38:39], vcc, s[38:39]
	s_waitcnt lgkmcnt(0)
	v_pk_mul_f32 v[8:9], v[0:1], v[8:9]
	ds_write2st64_b32 v6, v8, v9 offset1:2
	v_add_u32_e32 v6, 0x400, v6
	s_andn2_b64 exec, exec, s[38:39]
	s_cbranch_execnz .LBB52_40
.LBB52_41:
	s_or_b64 exec, exec, s[10:11]
	v_add_u32_e32 v4, 1, v4
	v_and_b32_e32 v5, 0x3fffffe, v4
	v_cmp_ne_u32_e32 vcc, v4, v5
	v_lshl_add_u32 v1, v5, 7, v111
	s_orn2_b64 s[10:11], vcc, exec
.LBB52_42:
	s_or_b64 exec, exec, s[6:7]
	s_and_b64 exec, exec, s[10:11]
	s_cbranch_execz .LBB52_45
; %bb.43:
	v_mov_b32_e32 v4, 0x310
	v_lshl_add_u32 v4, v1, 2, v4
	s_mov_b64 s[6:7], 0
.LBB52_44:                              ; =>This Inner Loop Header: Depth=1
	ds_read_b32 v5, v4
	v_add_u32_e32 v1, 0x80, v1
	v_cmp_le_i32_e32 vcc, s3, v1
	s_or_b64 s[6:7], vcc, s[6:7]
	s_waitcnt lgkmcnt(0)
	v_mul_f32_e32 v5, v0, v5
	ds_write_b32 v4, v5
	v_add_u32_e32 v4, 0x200, v4
	s_andn2_b64 exec, exec, s[6:7]
	s_cbranch_execnz .LBB52_44
.LBB52_45:
	s_or_b64 exec, exec, s[0:1]
	s_mul_i32 s0, s16, s28
	v_cmp_eq_u32_e32 vcc, 0, v111
	s_mul_i32 s6, s0, s5
	s_waitcnt lgkmcnt(0)
	s_barrier
	s_and_saveexec_b64 s[0:1], vcc
	s_cbranch_execz .LBB52_47
; %bb.46:
	s_ashr_i32 s7, s6, 31
	s_lshl_b64 s[10:11], s[6:7], 2
	s_add_u32 s5, s22, s10
	s_mul_i32 s2, s16, s2
	s_addc_u32 s7, s23, s11
	s_ashr_i32 s3, s2, 31
	s_lshl_b64 s[2:3], s[2:3], 2
	s_add_u32 s19, s5, s2
	s_addc_u32 s7, s7, s3
	s_ashr_i32 s5, s4, 31
	s_lshl_b64 s[22:23], s[4:5], 2
	s_add_u32 s38, s19, s22
	s_addc_u32 s39, s7, s23
	s_add_u32 s5, s20, s10
	s_addc_u32 s7, s21, s11
	;; [unrolled: 2-line block ×3, first 2 shown]
	s_add_u32 s2, s2, s22
	v_mov_b32_e32 v0, 0
	s_addc_u32 s3, s3, s23
	global_store_dword v0, v2, s[38:39]
	global_store_dword v0, v3, s[2:3]
.LBB52_47:
	s_or_b64 exec, exec, s[0:1]
	v_mov_b32_e32 v104, 0
	v_and_b32_e32 v39, 7, v111
	v_mov_b32_e32 v105, 0
	v_mov_b32_e32 v126, 0
	v_mov_b32_e32 v127, 0
	v_mov_b32_e32 v122, 0
	v_mov_b32_e32 v123, 0
	v_mov_b32_e32 v120, 0
	v_mov_b32_e32 v121, 0
	v_mov_b32_e32 v118, 0
	v_mov_b32_e32 v119, 0
	v_mov_b32_e32 v116, 0
	v_mov_b32_e32 v117, 0
	v_mov_b32_e32 v114, 0
	v_mov_b32_e32 v115, 0
	v_mov_b32_e32 v26, 0
	v_mov_b32_e32 v27, 0
	v_mov_b32_e32 v42, 0
	v_mov_b32_e32 v43, 0
	v_mov_b32_e32 v32, 0
	v_mov_b32_e32 v33, 0
	v_mov_b32_e32 v30, 0
	v_mov_b32_e32 v31, 0
	v_mov_b32_e32 v40, 0
	v_mov_b32_e32 v41, 0
	s_and_saveexec_b64 s[2:3], s[8:9]
	s_cbranch_execz .LBB52_101
; %bb.48:
	v_and_b32_e32 v2, 0xfc, v50
	v_lshlrev_b32_e32 v3, 4, v39
	s_ashr_i32 s19, s18, 31
	v_or_b32_e32 v4, 0x400, v2
	v_or_b32_e32 v6, 0x500, v2
	;; [unrolled: 1-line block ×19, first 2 shown]
	v_lshl_or_b32 v3, v51, 7, v3
	v_lshlrev_b32_e32 v2, 2, v2
	scratch_store_dword off, v37, off offset:216 ; 4-byte Folded Spill
	scratch_store_dword off, v29, off offset:212 ; 4-byte Folded Spill
	;; [unrolled: 1-line block ×3, first 2 shown]
	s_sub_i32 s5, s15, s13
	s_lshl_b64 s[0:1], s[18:19], 2
	scratch_store_dwordx2 off, v[2:3], off offset:44 ; 8-byte Folded Spill
	v_lshlrev_b32_e32 v2, 2, v6
	s_add_u32 s8, s36, s0
	scratch_store_dwordx2 off, v[2:3], off offset:52 ; 8-byte Folded Spill
	v_lshlrev_b32_e32 v2, 2, v8
	v_and_b32_e32 v0, 28, v50
	s_addc_u32 s9, s37, s1
	s_abs_i32 s18, s14
	scratch_store_dwordx2 off, v[2:3], off offset:60 ; 8-byte Folded Spill
	v_lshlrev_b32_e32 v2, 2, v10
	scratch_store_dword off, v0, off offset:204 ; 4-byte Folded Spill
	v_cvt_f32_u32_e32 v0, s18
	scratch_store_dwordx2 off, v[2:3], off offset:68 ; 8-byte Folded Spill
	v_lshlrev_b32_e32 v2, 2, v12
	scratch_store_dwordx2 off, v[2:3], off offset:76 ; 8-byte Folded Spill
	v_lshlrev_b32_e32 v2, 2, v14
	;; [unrolled: 2-line block ×4, first 2 shown]
	v_rcp_iflag_f32_e32 v0, v0
	scratch_store_dwordx2 off, v[2:3], off offset:100 ; 8-byte Folded Spill
	v_lshlrev_b32_e32 v2, 2, v20
	scratch_store_dwordx2 off, v[2:3], off offset:108 ; 8-byte Folded Spill
	v_lshlrev_b32_e32 v2, 2, v22
	v_or_b32_e32 v26, 0xf00, v50
	scratch_store_dwordx2 off, v[2:3], off offset:116 ; 8-byte Folded Spill
	v_lshlrev_b32_e32 v2, 2, v24
	scratch_store_dwordx2 off, v[2:3], off offset:124 ; 8-byte Folded Spill
	v_lshlrev_b32_e32 v2, 2, v26
	v_mul_f32_e32 v0, 0x4f7ffffe, v0
	scratch_store_dwordx2 off, v[2:3], off offset:132 ; 8-byte Folded Spill
	v_lshlrev_b32_e32 v2, 2, v28
	v_cvt_u32_f32_e32 v0, v0
	scratch_store_dwordx2 off, v[2:3], off offset:140 ; 8-byte Folded Spill
	v_lshlrev_b32_e32 v2, 2, v30
	scratch_store_dwordx2 off, v[2:3], off offset:148 ; 8-byte Folded Spill
	v_lshlrev_b32_e32 v2, 2, v32
	;; [unrolled: 2-line block ×3, first 2 shown]
	s_sub_i32 s0, 0, s18
	scratch_store_dwordx2 off, v[2:3], off offset:164 ; 8-byte Folded Spill
	v_lshlrev_b32_e32 v2, 2, v36
	s_mov_b32 s7, s17
	s_add_i32 s17, s12, -1
	v_mul_lo_u32 v1, s0, v0
	s_lshl_b64 s[0:1], s[34:35], 2
	scratch_store_dwordx2 off, v[2:3], off offset:172 ; 8-byte Folded Spill
	v_lshlrev_b32_e32 v2, 2, v38
	v_mul_hi_u32 v1, v0, v1
	s_add_u32 s0, s30, s0
	scratch_store_dwordx2 off, v[2:3], off offset:180 ; 8-byte Folded Spill
	v_lshlrev_b32_e32 v2, 2, v40
	v_mov_b32_e32 v113, 0
	v_add_u32_e32 v0, v0, v1
	s_addc_u32 s1, s31, s1
	scratch_store_dwordx2 off, v[2:3], off offset:188 ; 8-byte Folded Spill
	v_lshlrev_b32_e32 v2, 2, v42
	scratch_store_dword off, v0, off offset:40 ; 4-byte Folded Spill
	v_lshl_add_u64 v[0:1], v[102:103], 2, s[0:1]
	v_add_u32_e32 v103, 0x310, v3
	s_mov_b64 s[10:11], 0
	v_lshlrev_b32_e32 v112, 2, v4
	scratch_store_dwordx2 off, v[2:3], off offset:196 ; 8-byte Folded Spill
	v_mov_b32_e32 v3, v113
	v_mov_b32_e32 v2, v113
	;; [unrolled: 1-line block ×16, first 2 shown]
	scratch_store_dwordx2 off, v[2:3], off  ; 8-byte Folded Spill
	scratch_store_dwordx2 off, v[2:3], off offset:8 ; 8-byte Folded Spill
	scratch_store_dwordx2 off, v[2:3], off offset:16 ; 8-byte Folded Spill
	;; [unrolled: 1-line block ×4, first 2 shown]
	s_branch .LBB52_51
.LBB52_49:                              ;   in Loop: Header=BB52_51 Depth=1
	s_or_b64 exec, exec, s[0:1]
	s_waitcnt lgkmcnt(0)
	v_mul_f32_e32 v99, v3, v99
	v_mul_f32_e32 v95, v3, v95
	;; [unrolled: 1-line block ×5, first 2 shown]
	v_fmac_f32_e32 v99, v2, v98
	v_fmac_f32_e32 v95, v2, v94
	;; [unrolled: 1-line block ×11, first 2 shown]
	scratch_load_dwordx2 v[100:101], off, off ; 8-byte Folded Reload
	v_fmac_f32_e32 v95, v5, v97
	scratch_load_dwordx2 v[96:97], off, off offset:8 ; 8-byte Folded Reload
	v_fmac_f32_e32 v87, v5, v89
	scratch_load_dwordx2 v[88:89], off, off offset:16 ; 8-byte Folded Reload
	;; [unrolled: 2-line block ×4, first 2 shown]
	v_mul_f32_e32 v91, v3, v91
	v_mul_f32_e32 v79, v3, v79
	v_mul_f32_e32 v71, v3, v71
	v_mul_f32_e32 v63, v3, v63
	v_mul_f32_e32 v59, v3, v59
	v_mul_f32_e32 v55, v3, v55
	v_mul_f32_e32 v51, v3, v51
	v_mul_f32_e32 v47, v3, v47
	v_mul_f32_e32 v43, v3, v43
	v_mul_f32_e32 v39, v3, v39
	v_mul_f32_e32 v35, v3, v35
	v_mul_f32_e32 v31, v3, v31
	v_mul_f32_e32 v27, v3, v27
	v_mul_f32_e32 v23, v3, v23
	v_mul_f32_e32 v19, v3, v19
	v_mul_f32_e32 v15, v3, v15
	v_mul_f32_e32 v11, v3, v11
	v_mul_f32_e32 v7, v3, v7
	s_waitcnt vmcnt(5)
	v_mul_f32_e32 v3, v3, v83
	v_fmac_f32_e32 v91, v2, v90
	v_fmac_f32_e32 v79, v2, v78
	;; [unrolled: 1-line block ×57, first 2 shown]
	s_waitcnt vmcnt(4)
	v_add_f32_e32 v100, v100, v99
	s_waitcnt vmcnt(3)
	v_add_f32_e32 v97, v97, v95
	v_add_f32_e32 v96, v96, v91
	s_waitcnt vmcnt(2)
	v_add_f32_e32 v89, v89, v87
	;; [unrolled: 3-line block ×4, first 2 shown]
	v_add_f32_e32 v68, v68, v63
	v_add_f32_e32 v115, v115, v59
	;; [unrolled: 1-line block ×16, first 2 shown]
	scratch_store_dwordx2 off, v[96:97], off offset:8 ; 8-byte Folded Spill
	scratch_store_dwordx2 off, v[88:89], off offset:16 ; 8-byte Folded Spill
	;; [unrolled: 1-line block ×4, first 2 shown]
	scratch_store_dwordx2 off, v[100:101], off ; 8-byte Folded Spill
.LBB52_50:                              ;   in Loop: Header=BB52_51 Depth=1
	s_or_b64 exec, exec, s[12:13]
	v_add_u32_e32 v102, 2, v102
	v_cmp_le_i32_e32 vcc, s48, v102
	v_lshl_add_u64 v[0:1], v[0:1], 0, 8
	v_add_u32_e32 v106, 64, v106
	s_or_b64 s[10:11], vcc, s[10:11]
	v_add_u32_e32 v103, 0x100, v103
	s_andn2_b64 exec, exec, s[10:11]
	s_cbranch_execz .LBB52_100
.LBB52_51:                              ; =>This Inner Loop Header: Depth=1
	v_sub_u32_e32 v3, 0, v106
	v_max_i32_e32 v3, v106, v3
	v_mul_hi_u32 v4, v3, s33
	v_mul_lo_u32 v5, v4, s25
	v_sub_u32_e32 v3, v3, v5
	v_add_u32_e32 v5, 1, v4
	v_cmp_le_u32_e32 vcc, s25, v3
	v_ashrrev_i32_e32 v2, 31, v106
	v_xor_b32_e32 v2, s47, v2
	v_cndmask_b32_e32 v4, v4, v5, vcc
	v_subrev_u32_e32 v5, s25, v3
	v_cndmask_b32_e32 v3, v3, v5, vcc
	v_add_u32_e32 v5, 1, v4
	v_cmp_le_u32_e32 vcc, s25, v3
	s_nop 1
	v_cndmask_b32_e32 v3, v4, v5, vcc
	v_xor_b32_e32 v3, v3, v2
	v_sub_u32_e32 v2, v3, v2
	v_add_u32_e32 v3, s46, v2
	v_sub_u32_e32 v5, 0, v3
	v_ashrrev_i32_e32 v4, 31, v3
	v_max_i32_e32 v3, v3, v5
	scratch_load_dword v5, off, off offset:40 ; 4-byte Folded Reload
	v_cmp_lt_i32_e64 s[0:1], s5, v2
	s_waitcnt vmcnt(0)
	v_mul_hi_u32 v5, v3, v5
	v_mul_lo_u32 v5, v5, s18
	v_sub_u32_e32 v3, v3, v5
	v_subrev_u32_e32 v5, s18, v3
	v_cmp_le_u32_e32 vcc, s18, v3
	s_nop 1
	v_cndmask_b32_e32 v3, v3, v5, vcc
	v_subrev_u32_e32 v5, s18, v3
	v_cmp_le_u32_e32 vcc, s18, v3
	s_nop 1
	v_cndmask_b32_e32 v3, v3, v5, vcc
	v_xor_b32_e32 v3, v3, v4
	v_sub_u32_e32 v3, v3, v4
	v_cmp_eq_u32_e32 vcc, 0, v3
	s_or_b64 s[0:1], vcc, s[0:1]
	s_and_saveexec_b64 s[12:13], s[0:1]
	s_cbranch_execz .LBB52_50
; %bb.52:                               ;   in Loop: Header=BB52_51 Depth=1
	global_load_dword v2, v[0:1], off
	v_cmp_eq_u32_e32 vcc, s17, v102
	s_waitcnt vmcnt(0)
	v_mad_i64_i32 v[2:3], s[0:1], v2, s7, 0
	v_lshl_add_u64 v[82:83], v[2:3], 2, s[8:9]
	scratch_load_dwordx2 v[2:3], off, off offset:44 ; 8-byte Folded Reload
	s_waitcnt vmcnt(0)
	v_mov_b32_e32 v3, v113
	v_mov_b32_e32 v4, v2
	scratch_store_dwordx2 off, v[4:5], off offset:44 ; 8-byte Folded Spill
	v_lshl_add_u64 v[18:19], v[82:83], 0, v[2:3]
	global_load_dwordx4 v[6:9], v[18:19], off
	scratch_load_dword v2, off, off offset:204 ; 4-byte Folded Reload
	s_waitcnt vmcnt(0)
	v_add_u32_e32 v107, v2, v106
	ds_read_b128 v[2:5], v103
	v_add_u32_e32 v110, 1, v107
	v_add_u32_e32 v109, 2, v107
	;; [unrolled: 1-line block ×3, first 2 shown]
	s_and_saveexec_b64 s[14:15], vcc
	s_cbranch_execnz .LBB52_97
; %bb.53:                               ;   in Loop: Header=BB52_51 Depth=1
	s_or_b64 exec, exec, s[14:15]
	global_load_dwordx4 v[10:13], v[18:19], off offset:1024
	s_and_saveexec_b64 s[14:15], vcc
	s_cbranch_execnz .LBB52_98
.LBB52_54:                              ;   in Loop: Header=BB52_51 Depth=1
	s_or_b64 exec, exec, s[14:15]
	global_load_dwordx4 v[14:17], v[18:19], off offset:2048
	s_and_saveexec_b64 s[14:15], vcc
	s_cbranch_execnz .LBB52_99
.LBB52_55:                              ;   in Loop: Header=BB52_51 Depth=1
	s_or_b64 exec, exec, s[14:15]
	global_load_dwordx4 v[18:21], v[18:19], off offset:3072
	s_and_saveexec_b64 s[14:15], vcc
	s_cbranch_execz .LBB52_57
.LBB52_56:                              ;   in Loop: Header=BB52_51 Depth=1
	v_cmp_gt_i32_e64 s[0:1], s29, v107
	s_waitcnt vmcnt(0)
	s_nop 0
	v_cndmask_b32_e64 v18, 0, v18, s[0:1]
	v_cmp_gt_i32_e64 s[0:1], s29, v110
	s_nop 1
	v_cndmask_b32_e64 v19, 0, v19, s[0:1]
	v_cmp_gt_i32_e64 s[0:1], s29, v109
	;; [unrolled: 3-line block ×3, first 2 shown]
	s_nop 1
	v_cndmask_b32_e64 v21, 0, v21, s[0:1]
.LBB52_57:                              ;   in Loop: Header=BB52_51 Depth=1
	s_or_b64 exec, exec, s[14:15]
	v_lshl_add_u64 v[22:23], v[82:83], 0, v[112:113]
	global_load_dwordx4 v[22:25], v[22:23], off
	s_and_saveexec_b64 s[14:15], vcc
	s_cbranch_execz .LBB52_59
; %bb.58:                               ;   in Loop: Header=BB52_51 Depth=1
	v_cmp_gt_i32_e64 s[0:1], s29, v107
	s_waitcnt vmcnt(0)
	s_nop 0
	v_cndmask_b32_e64 v22, 0, v22, s[0:1]
	v_cmp_gt_i32_e64 s[0:1], s29, v110
	s_nop 1
	v_cndmask_b32_e64 v23, 0, v23, s[0:1]
	v_cmp_gt_i32_e64 s[0:1], s29, v109
	s_nop 1
	v_cndmask_b32_e64 v24, 0, v24, s[0:1]
	v_cmp_gt_i32_e64 s[0:1], s29, v108
	s_nop 1
	v_cndmask_b32_e64 v25, 0, v25, s[0:1]
.LBB52_59:                              ;   in Loop: Header=BB52_51 Depth=1
	s_or_b64 exec, exec, s[14:15]
	scratch_load_dwordx2 v[26:27], off, off offset:52 ; 8-byte Folded Reload
	s_waitcnt vmcnt(0)
	v_mov_b32_e32 v27, v113
	v_mov_b32_e32 v28, v26
	v_lshl_add_u64 v[26:27], v[82:83], 0, v[26:27]
	scratch_store_dwordx2 off, v[28:29], off offset:52 ; 8-byte Folded Spill
	global_load_dwordx4 v[26:29], v[26:27], off
	s_and_saveexec_b64 s[14:15], vcc
	s_cbranch_execz .LBB52_61
; %bb.60:                               ;   in Loop: Header=BB52_51 Depth=1
	v_cmp_gt_i32_e64 s[0:1], s29, v107
	s_waitcnt vmcnt(0)
	s_nop 0
	v_cndmask_b32_e64 v26, 0, v26, s[0:1]
	v_cmp_gt_i32_e64 s[0:1], s29, v110
	s_nop 1
	v_cndmask_b32_e64 v27, 0, v27, s[0:1]
	v_cmp_gt_i32_e64 s[0:1], s29, v109
	s_nop 1
	v_cndmask_b32_e64 v28, 0, v28, s[0:1]
	v_cmp_gt_i32_e64 s[0:1], s29, v108
	s_nop 1
	v_cndmask_b32_e64 v29, 0, v29, s[0:1]
.LBB52_61:                              ;   in Loop: Header=BB52_51 Depth=1
	s_or_b64 exec, exec, s[14:15]
	scratch_load_dwordx2 v[30:31], off, off offset:60 ; 8-byte Folded Reload
	s_waitcnt vmcnt(0)
	v_mov_b32_e32 v31, v113
	v_mov_b32_e32 v32, v30
	v_lshl_add_u64 v[30:31], v[82:83], 0, v[30:31]
	scratch_store_dwordx2 off, v[32:33], off offset:60 ; 8-byte Folded Spill
	;; [unrolled: 25-line block ×18, first 2 shown]
	global_load_dwordx4 v[98:101], v[84:85], off
	s_and_saveexec_b64 s[14:15], vcc
	s_cbranch_execz .LBB52_95
; %bb.94:                               ;   in Loop: Header=BB52_51 Depth=1
	v_cmp_gt_i32_e64 s[0:1], s29, v107
	s_waitcnt vmcnt(0)
	s_nop 0
	v_cndmask_b32_e64 v98, 0, v98, s[0:1]
	v_cmp_gt_i32_e64 s[0:1], s29, v110
	s_nop 1
	v_cndmask_b32_e64 v99, 0, v99, s[0:1]
	v_cmp_gt_i32_e64 s[0:1], s29, v109
	s_nop 1
	v_cndmask_b32_e64 v100, 0, v100, s[0:1]
	v_cmp_gt_i32_e64 s[0:1], s29, v108
	s_nop 1
	v_cndmask_b32_e64 v101, 0, v101, s[0:1]
.LBB52_95:                              ;   in Loop: Header=BB52_51 Depth=1
	s_or_b64 exec, exec, s[14:15]
	scratch_load_dwordx2 v[84:85], off, off offset:196 ; 8-byte Folded Reload
	v_mov_b32_e32 v125, v113
	s_waitcnt vmcnt(0)
	v_mov_b32_e32 v124, v84
	v_lshl_add_u64 v[82:83], v[82:83], 0, v[124:125]
	scratch_store_dwordx2 off, v[84:85], off offset:196 ; 8-byte Folded Spill
	global_load_dwordx4 v[82:85], v[82:83], off
	s_and_saveexec_b64 s[0:1], vcc
	s_cbranch_execz .LBB52_49
; %bb.96:                               ;   in Loop: Header=BB52_51 Depth=1
	v_cmp_gt_i32_e32 vcc, s29, v107
	s_waitcnt vmcnt(0)
	s_nop 0
	v_cndmask_b32_e32 v82, 0, v82, vcc
	v_cmp_gt_i32_e32 vcc, s29, v110
	s_nop 1
	v_cndmask_b32_e32 v83, 0, v83, vcc
	v_cmp_gt_i32_e32 vcc, s29, v109
	s_nop 1
	v_cndmask_b32_e32 v84, 0, v84, vcc
	v_cmp_gt_i32_e32 vcc, s29, v108
	s_nop 1
	v_cndmask_b32_e32 v85, 0, v85, vcc
	s_branch .LBB52_49
.LBB52_97:                              ;   in Loop: Header=BB52_51 Depth=1
	v_cmp_gt_i32_e64 s[0:1], s29, v107
	s_nop 1
	v_cndmask_b32_e64 v6, 0, v6, s[0:1]
	v_cmp_gt_i32_e64 s[0:1], s29, v110
	s_nop 1
	v_cndmask_b32_e64 v7, 0, v7, s[0:1]
	;; [unrolled: 3-line block ×4, first 2 shown]
	s_or_b64 exec, exec, s[14:15]
	global_load_dwordx4 v[10:13], v[18:19], off offset:1024
	s_and_saveexec_b64 s[14:15], vcc
	s_cbranch_execz .LBB52_54
.LBB52_98:                              ;   in Loop: Header=BB52_51 Depth=1
	v_cmp_gt_i32_e64 s[0:1], s29, v107
	s_waitcnt vmcnt(0)
	s_nop 0
	v_cndmask_b32_e64 v10, 0, v10, s[0:1]
	v_cmp_gt_i32_e64 s[0:1], s29, v110
	s_nop 1
	v_cndmask_b32_e64 v11, 0, v11, s[0:1]
	v_cmp_gt_i32_e64 s[0:1], s29, v109
	;; [unrolled: 3-line block ×3, first 2 shown]
	s_nop 1
	v_cndmask_b32_e64 v13, 0, v13, s[0:1]
	s_or_b64 exec, exec, s[14:15]
	global_load_dwordx4 v[14:17], v[18:19], off offset:2048
	s_and_saveexec_b64 s[14:15], vcc
	s_cbranch_execz .LBB52_55
.LBB52_99:                              ;   in Loop: Header=BB52_51 Depth=1
	v_cmp_gt_i32_e64 s[0:1], s29, v107
	s_waitcnt vmcnt(0)
	s_nop 0
	v_cndmask_b32_e64 v14, 0, v14, s[0:1]
	v_cmp_gt_i32_e64 s[0:1], s29, v110
	s_nop 1
	v_cndmask_b32_e64 v15, 0, v15, s[0:1]
	v_cmp_gt_i32_e64 s[0:1], s29, v109
	;; [unrolled: 3-line block ×3, first 2 shown]
	s_nop 1
	v_cndmask_b32_e64 v17, 0, v17, s[0:1]
	s_or_b64 exec, exec, s[14:15]
	global_load_dwordx4 v[18:21], v[18:19], off offset:3072
	s_and_saveexec_b64 s[14:15], vcc
	s_cbranch_execnz .LBB52_56
	s_branch .LBB52_57
.LBB52_100:
	s_or_b64 exec, exec, s[10:11]
	scratch_load_dword v35, off, off offset:208 ; 4-byte Folded Reload
	scratch_load_dword v29, off, off offset:212 ; 4-byte Folded Reload
	;; [unrolled: 1-line block ×3, first 2 shown]
	scratch_load_dwordx2 v[40:41], off, off ; 8-byte Folded Reload
	scratch_load_dwordx2 v[30:31], off, off offset:8 ; 8-byte Folded Reload
	scratch_load_dwordx2 v[32:33], off, off offset:16 ; 8-byte Folded Reload
	;; [unrolled: 1-line block ×4, first 2 shown]
	v_and_b32_e32 v36, 63, v111
	v_and_b32_e32 v39, 7, v111
.LBB52_101:
	s_or_b64 exec, exec, s[2:3]
	s_waitcnt vmcnt(6)
	ds_bpermute_b32 v2, v29, v126
	ds_bpermute_b32 v3, v29, v127
	;; [unrolled: 1-line block ×6, first 2 shown]
	s_waitcnt lgkmcnt(4)
	v_pk_add_f32 v[2:3], v[126:127], v[2:3]
	ds_bpermute_b32 v6, v35, v2
	ds_bpermute_b32 v7, v35, v3
	s_waitcnt lgkmcnt(4)
	v_pk_add_f32 v[0:1], v[104:105], v[0:1]
	ds_bpermute_b32 v4, v35, v0
	ds_bpermute_b32 v5, v35, v1
	;; [unrolled: 1-line block ×3, first 2 shown]
	s_waitcnt lgkmcnt(3)
	v_pk_add_f32 v[2:3], v[2:3], v[6:7]
	v_pk_add_f32 v[6:7], v[122:123], v[8:9]
	ds_bpermute_b32 v8, v35, v6
	ds_bpermute_b32 v9, v35, v7
	;; [unrolled: 1-line block ×3, first 2 shown]
	s_waitcnt lgkmcnt(4)
	v_pk_add_f32 v[0:1], v[0:1], v[4:5]
	s_waitcnt vmcnt(5)
	ds_bpermute_b32 v4, v37, v0
	ds_bpermute_b32 v5, v37, v1
	s_waitcnt lgkmcnt(3)
	v_pk_add_f32 v[6:7], v[6:7], v[8:9]
	s_waitcnt lgkmcnt(2)
	v_pk_add_f32 v[12:13], v[120:121], v[12:13]
	ds_bpermute_b32 v8, v37, v6
	ds_bpermute_b32 v9, v37, v7
	;; [unrolled: 1-line block ×4, first 2 shown]
	s_waitcnt lgkmcnt(4)
	v_pk_add_f32 v[4:5], v[0:1], v[4:5]
	ds_bpermute_b32 v18, v29, v114
	s_waitcnt lgkmcnt(3)
	v_pk_add_f32 v[0:1], v[6:7], v[8:9]
	ds_bpermute_b32 v8, v29, v118
	;; [unrolled: 3-line block ×3, first 2 shown]
	ds_bpermute_b32 v12, v29, v116
	ds_bpermute_b32 v13, v29, v117
	;; [unrolled: 1-line block ×4, first 2 shown]
	s_waitcnt lgkmcnt(4)
	v_pk_add_f32 v[8:9], v[118:119], v[8:9]
	ds_bpermute_b32 v14, v35, v8
	s_waitcnt lgkmcnt(3)
	v_pk_add_f32 v[12:13], v[116:117], v[12:13]
	ds_bpermute_b32 v15, v35, v9
	ds_bpermute_b32 v16, v35, v12
	;; [unrolled: 1-line block ×4, first 2 shown]
	s_waitcnt vmcnt(0)
	ds_bpermute_b32 v22, v29, v26
	s_waitcnt lgkmcnt(4)
	v_pk_add_f32 v[8:9], v[8:9], v[14:15]
	ds_bpermute_b32 v14, v37, v8
	s_waitcnt lgkmcnt(3)
	v_pk_add_f32 v[16:17], v[12:13], v[16:17]
	v_pk_add_f32 v[12:13], v[114:115], v[18:19]
	s_waitcnt lgkmcnt(2)
	v_pk_add_f32 v[2:3], v[2:3], v[10:11]
	ds_bpermute_b32 v10, v37, v6
	ds_bpermute_b32 v11, v37, v7
	;; [unrolled: 1-line block ×8, first 2 shown]
	s_waitcnt lgkmcnt(0)
	v_pk_add_f32 v[18:19], v[12:13], v[18:19]
	v_pk_add_f32 v[12:13], v[6:7], v[10:11]
	;; [unrolled: 1-line block ×5, first 2 shown]
	ds_bpermute_b32 v20, v29, v32
	ds_bpermute_b32 v21, v29, v33
	;; [unrolled: 1-line block ×8, first 2 shown]
	s_waitcnt lgkmcnt(6)
	v_pk_add_f32 v[20:21], v[32:33], v[20:21]
	s_waitcnt lgkmcnt(4)
	v_pk_add_f32 v[6:7], v[18:19], v[24:25]
	s_waitcnt lgkmcnt(2)
	v_pk_add_f32 v[14:15], v[22:23], v[26:27]
	ds_bpermute_b32 v24, v35, v20
	ds_bpermute_b32 v25, v35, v21
	;; [unrolled: 1-line block ×4, first 2 shown]
	s_waitcnt lgkmcnt(4)
	v_pk_add_f32 v[16:17], v[42:43], v[16:17]
	ds_bpermute_b32 v22, v35, v16
	ds_bpermute_b32 v23, v35, v17
	s_waitcnt lgkmcnt(4)
	v_pk_add_f32 v[24:25], v[20:21], v[24:25]
	s_waitcnt lgkmcnt(2)
	v_pk_add_f32 v[20:21], v[30:31], v[26:27]
	ds_bpermute_b32 v30, v29, v40
	ds_bpermute_b32 v31, v29, v41
	ds_bpermute_b32 v26, v35, v20
	ds_bpermute_b32 v27, v35, v21
	s_waitcnt lgkmcnt(4)
	v_pk_add_f32 v[16:17], v[16:17], v[22:23]
	ds_bpermute_b32 v18, v37, v14
	s_waitcnt lgkmcnt(3)
	v_pk_add_f32 v[30:31], v[40:41], v[30:31]
	ds_bpermute_b32 v19, v37, v15
	ds_bpermute_b32 v22, v37, v16
	;; [unrolled: 1-line block ×7, first 2 shown]
	s_waitcnt lgkmcnt(8)
	v_pk_add_f32 v[26:27], v[20:21], v[26:27]
	ds_bpermute_b32 v32, v37, v26
	ds_bpermute_b32 v33, v37, v27
	s_waitcnt lgkmcnt(8)
	v_pk_add_f32 v[20:21], v[14:15], v[18:19]
	s_waitcnt lgkmcnt(6)
	v_pk_add_f32 v[18:19], v[16:17], v[22:23]
	;; [unrolled: 2-line block ×4, first 2 shown]
	ds_bpermute_b32 v24, v37, v22
	ds_bpermute_b32 v25, v37, v23
	s_waitcnt lgkmcnt(2)
	v_pk_add_f32 v[14:15], v[26:27], v[32:33]
	v_and_b32_e32 v26, 0x3c7, v111
	v_cmp_ne_u32_e32 vcc, 64, v26
	s_barrier
	s_waitcnt lgkmcnt(0)
	s_and_saveexec_b64 s[0:1], vcc
	s_xor_b64 s[0:1], exec, s[0:1]
; %bb.102:
                                        ; implicit-def: $vgpr36
; %bb.103:
	s_or_saveexec_b64 s[0:1], s[0:1]
	v_pk_add_f32 v[22:23], v[22:23], v[24:25]
	s_xor_b64 exec, exec, s[0:1]
	s_cbranch_execz .LBB52_105
; %bb.104:
	v_lshrrev_b32_e32 v24, 1, v36
	v_add_u32_e32 v24, 0x310, v24
	ds_write2_b32 v24, v4, v5 offset1:8
	ds_write2_b32 v24, v2, v3 offset0:16 offset1:24
	ds_write2_b32 v24, v0, v1 offset0:32 offset1:40
	;; [unrolled: 1-line block ×11, first 2 shown]
.LBB52_105:
	s_or_b64 exec, exec, s[0:1]
	v_cmp_gt_u32_e32 vcc, 64, v111
	s_waitcnt lgkmcnt(0)
	s_barrier
	s_and_saveexec_b64 s[0:1], vcc
	s_cbranch_execz .LBB52_132
; %bb.106:
	v_cmp_eq_u32_e32 vcc, 0, v39
	v_lshrrev_b32_e32 v24, 3, v111
	s_and_saveexec_b64 s[2:3], vcc
	s_cbranch_execnz .LBB52_135
; %bb.107:
	s_or_b64 exec, exec, s[2:3]
	s_and_saveexec_b64 s[2:3], vcc
	s_cbranch_execnz .LBB52_136
.LBB52_108:
	s_or_b64 exec, exec, s[2:3]
	s_and_saveexec_b64 s[2:3], vcc
	s_cbranch_execnz .LBB52_137
.LBB52_109:
	s_or_b64 exec, exec, s[2:3]
	s_and_saveexec_b64 s[2:3], vcc
	s_cbranch_execnz .LBB52_138
.LBB52_110:
	s_or_b64 exec, exec, s[2:3]
	s_and_saveexec_b64 s[2:3], vcc
	s_cbranch_execnz .LBB52_139
.LBB52_111:
	s_or_b64 exec, exec, s[2:3]
	s_and_saveexec_b64 s[2:3], vcc
	s_cbranch_execnz .LBB52_140
.LBB52_112:
	s_or_b64 exec, exec, s[2:3]
	s_and_saveexec_b64 s[2:3], vcc
	s_cbranch_execnz .LBB52_141
.LBB52_113:
	s_or_b64 exec, exec, s[2:3]
	s_and_saveexec_b64 s[2:3], vcc
	s_cbranch_execnz .LBB52_142
.LBB52_114:
	s_or_b64 exec, exec, s[2:3]
	s_and_saveexec_b64 s[2:3], vcc
	s_cbranch_execnz .LBB52_143
.LBB52_115:
	s_or_b64 exec, exec, s[2:3]
	s_and_saveexec_b64 s[2:3], vcc
	s_cbranch_execnz .LBB52_144
.LBB52_116:
	s_or_b64 exec, exec, s[2:3]
	s_and_saveexec_b64 s[2:3], vcc
	s_cbranch_execnz .LBB52_145
.LBB52_117:
	s_or_b64 exec, exec, s[2:3]
	s_and_saveexec_b64 s[2:3], vcc
	s_cbranch_execnz .LBB52_146
.LBB52_118:
	s_or_b64 exec, exec, s[2:3]
	s_and_saveexec_b64 s[2:3], vcc
	s_cbranch_execnz .LBB52_147
.LBB52_119:
	s_or_b64 exec, exec, s[2:3]
	s_and_saveexec_b64 s[2:3], vcc
	s_cbranch_execnz .LBB52_148
.LBB52_120:
	s_or_b64 exec, exec, s[2:3]
	s_and_saveexec_b64 s[2:3], vcc
	s_cbranch_execnz .LBB52_149
.LBB52_121:
	s_or_b64 exec, exec, s[2:3]
	s_and_saveexec_b64 s[2:3], vcc
	s_cbranch_execnz .LBB52_150
.LBB52_122:
	s_or_b64 exec, exec, s[2:3]
	s_and_saveexec_b64 s[2:3], vcc
	s_cbranch_execnz .LBB52_151
.LBB52_123:
	s_or_b64 exec, exec, s[2:3]
	s_and_saveexec_b64 s[2:3], vcc
	s_cbranch_execnz .LBB52_152
.LBB52_124:
	s_or_b64 exec, exec, s[2:3]
	s_and_saveexec_b64 s[2:3], vcc
	s_cbranch_execnz .LBB52_153
.LBB52_125:
	s_or_b64 exec, exec, s[2:3]
	s_and_saveexec_b64 s[2:3], vcc
	s_cbranch_execnz .LBB52_154
.LBB52_126:
	s_or_b64 exec, exec, s[2:3]
	s_and_saveexec_b64 s[2:3], vcc
	s_cbranch_execnz .LBB52_155
.LBB52_127:
	s_or_b64 exec, exec, s[2:3]
	s_and_saveexec_b64 s[2:3], vcc
	s_cbranch_execnz .LBB52_156
.LBB52_128:
	s_or_b64 exec, exec, s[2:3]
	s_and_saveexec_b64 s[2:3], vcc
	s_cbranch_execnz .LBB52_157
.LBB52_129:
	s_or_b64 exec, exec, s[2:3]
	s_and_saveexec_b64 s[2:3], vcc
	s_cbranch_execz .LBB52_131
.LBB52_130:
	v_mov_b32_e32 v25, 0x310
	v_lshl_add_u32 v24, v24, 2, v25
	ds_read_b32 v24, v24 offset:736
	s_waitcnt lgkmcnt(0)
	v_add_f32_e32 v23, v23, v24
.LBB52_131:
	s_or_b64 exec, exec, s[2:3]
.LBB52_132:
	s_or_b64 exec, exec, s[0:1]
	v_cmp_eq_u32_e32 vcc, 0, v26
	s_barrier
	s_and_saveexec_b64 s[0:1], vcc
	s_cbranch_execz .LBB52_134
; %bb.133:
	s_mul_i32 s0, s6, 0xc0
	s_ashr_i32 s1, s0, 31
	s_lshl_b64 s[0:1], s[0:1], 2
	s_add_u32 s2, s26, s0
	s_mul_i32 s0, s16, s24
	s_addc_u32 s3, s27, s1
	s_ashr_i32 s1, s0, 31
	s_lshl_b64 s[0:1], s[0:1], 2
	s_add_u32 s2, s2, s0
	s_mul_i32 s0, s4, 0xc0
	s_addc_u32 s3, s3, s1
	s_ashr_i32 s1, s0, 31
	s_lshl_b64 s[0:1], s[0:1], 2
	s_add_u32 s0, s2, s0
	s_addc_u32 s1, s3, s1
	v_lshrrev_b32_e32 v24, 1, v111
	global_store_dword v24, v4, s[0:1]
	global_store_dword v24, v5, s[0:1] offset:32
	global_store_dword v24, v2, s[0:1] offset:64
	;; [unrolled: 1-line block ×23, first 2 shown]
.LBB52_134:
	s_endpgm
.LBB52_135:
	v_mov_b32_e32 v25, 0x310
	v_lshl_add_u32 v25, v24, 2, v25
	ds_read_b32 v25, v25
	s_waitcnt lgkmcnt(0)
	v_add_f32_e32 v4, v4, v25
	s_or_b64 exec, exec, s[2:3]
	s_and_saveexec_b64 s[2:3], vcc
	s_cbranch_execz .LBB52_108
.LBB52_136:
	v_mov_b32_e32 v25, 0x310
	v_lshl_add_u32 v25, v24, 2, v25
	ds_read_b32 v25, v25 offset:32
	s_waitcnt lgkmcnt(0)
	v_add_f32_e32 v5, v5, v25
	s_or_b64 exec, exec, s[2:3]
	s_and_saveexec_b64 s[2:3], vcc
	s_cbranch_execz .LBB52_109
.LBB52_137:
	v_mov_b32_e32 v25, 0x310
	v_lshl_add_u32 v25, v24, 2, v25
	ds_read_b32 v25, v25 offset:64
	s_waitcnt lgkmcnt(0)
	v_add_f32_e32 v2, v2, v25
	s_or_b64 exec, exec, s[2:3]
	s_and_saveexec_b64 s[2:3], vcc
	s_cbranch_execz .LBB52_110
.LBB52_138:
	v_mov_b32_e32 v25, 0x310
	v_lshl_add_u32 v25, v24, 2, v25
	ds_read_b32 v25, v25 offset:96
	s_waitcnt lgkmcnt(0)
	v_add_f32_e32 v3, v3, v25
	s_or_b64 exec, exec, s[2:3]
	s_and_saveexec_b64 s[2:3], vcc
	s_cbranch_execz .LBB52_111
.LBB52_139:
	v_mov_b32_e32 v25, 0x310
	v_lshl_add_u32 v25, v24, 2, v25
	ds_read_b32 v25, v25 offset:128
	s_waitcnt lgkmcnt(0)
	v_add_f32_e32 v0, v0, v25
	s_or_b64 exec, exec, s[2:3]
	s_and_saveexec_b64 s[2:3], vcc
	s_cbranch_execz .LBB52_112
.LBB52_140:
	v_mov_b32_e32 v25, 0x310
	v_lshl_add_u32 v25, v24, 2, v25
	ds_read_b32 v25, v25 offset:160
	s_waitcnt lgkmcnt(0)
	v_add_f32_e32 v1, v1, v25
	s_or_b64 exec, exec, s[2:3]
	s_and_saveexec_b64 s[2:3], vcc
	s_cbranch_execz .LBB52_113
.LBB52_141:
	v_mov_b32_e32 v25, 0x310
	v_lshl_add_u32 v25, v24, 2, v25
	ds_read_b32 v25, v25 offset:192
	s_waitcnt lgkmcnt(0)
	v_add_f32_e32 v12, v12, v25
	s_or_b64 exec, exec, s[2:3]
	s_and_saveexec_b64 s[2:3], vcc
	s_cbranch_execz .LBB52_114
.LBB52_142:
	v_mov_b32_e32 v25, 0x310
	v_lshl_add_u32 v25, v24, 2, v25
	ds_read_b32 v25, v25 offset:224
	s_waitcnt lgkmcnt(0)
	v_add_f32_e32 v13, v13, v25
	s_or_b64 exec, exec, s[2:3]
	s_and_saveexec_b64 s[2:3], vcc
	s_cbranch_execz .LBB52_115
.LBB52_143:
	v_mov_b32_e32 v25, 0x310
	v_lshl_add_u32 v25, v24, 2, v25
	ds_read_b32 v25, v25 offset:256
	s_waitcnt lgkmcnt(0)
	v_add_f32_e32 v10, v10, v25
	s_or_b64 exec, exec, s[2:3]
	s_and_saveexec_b64 s[2:3], vcc
	s_cbranch_execz .LBB52_116
.LBB52_144:
	v_mov_b32_e32 v25, 0x310
	v_lshl_add_u32 v25, v24, 2, v25
	ds_read_b32 v25, v25 offset:288
	s_waitcnt lgkmcnt(0)
	v_add_f32_e32 v11, v11, v25
	s_or_b64 exec, exec, s[2:3]
	s_and_saveexec_b64 s[2:3], vcc
	s_cbranch_execz .LBB52_117
.LBB52_145:
	v_mov_b32_e32 v25, 0x310
	v_lshl_add_u32 v25, v24, 2, v25
	ds_read_b32 v25, v25 offset:320
	s_waitcnt lgkmcnt(0)
	v_add_f32_e32 v8, v8, v25
	s_or_b64 exec, exec, s[2:3]
	s_and_saveexec_b64 s[2:3], vcc
	s_cbranch_execz .LBB52_118
.LBB52_146:
	v_mov_b32_e32 v25, 0x310
	v_lshl_add_u32 v25, v24, 2, v25
	ds_read_b32 v25, v25 offset:352
	s_waitcnt lgkmcnt(0)
	v_add_f32_e32 v9, v9, v25
	s_or_b64 exec, exec, s[2:3]
	s_and_saveexec_b64 s[2:3], vcc
	s_cbranch_execz .LBB52_119
.LBB52_147:
	v_mov_b32_e32 v25, 0x310
	v_lshl_add_u32 v25, v24, 2, v25
	ds_read_b32 v25, v25 offset:384
	s_waitcnt lgkmcnt(0)
	v_add_f32_e32 v6, v6, v25
	s_or_b64 exec, exec, s[2:3]
	s_and_saveexec_b64 s[2:3], vcc
	s_cbranch_execz .LBB52_120
.LBB52_148:
	v_mov_b32_e32 v25, 0x310
	v_lshl_add_u32 v25, v24, 2, v25
	ds_read_b32 v25, v25 offset:416
	s_waitcnt lgkmcnt(0)
	v_add_f32_e32 v7, v7, v25
	s_or_b64 exec, exec, s[2:3]
	s_and_saveexec_b64 s[2:3], vcc
	s_cbranch_execz .LBB52_121
.LBB52_149:
	v_mov_b32_e32 v25, 0x310
	v_lshl_add_u32 v25, v24, 2, v25
	ds_read_b32 v25, v25 offset:448
	s_waitcnt lgkmcnt(0)
	v_add_f32_e32 v20, v20, v25
	s_or_b64 exec, exec, s[2:3]
	s_and_saveexec_b64 s[2:3], vcc
	s_cbranch_execz .LBB52_122
.LBB52_150:
	v_mov_b32_e32 v25, 0x310
	v_lshl_add_u32 v25, v24, 2, v25
	ds_read_b32 v25, v25 offset:480
	s_waitcnt lgkmcnt(0)
	v_add_f32_e32 v21, v21, v25
	s_or_b64 exec, exec, s[2:3]
	s_and_saveexec_b64 s[2:3], vcc
	s_cbranch_execz .LBB52_123
.LBB52_151:
	v_mov_b32_e32 v25, 0x310
	v_lshl_add_u32 v25, v24, 2, v25
	ds_read_b32 v25, v25 offset:512
	s_waitcnt lgkmcnt(0)
	v_add_f32_e32 v18, v18, v25
	s_or_b64 exec, exec, s[2:3]
	s_and_saveexec_b64 s[2:3], vcc
	s_cbranch_execz .LBB52_124
.LBB52_152:
	v_mov_b32_e32 v25, 0x310
	v_lshl_add_u32 v25, v24, 2, v25
	ds_read_b32 v25, v25 offset:544
	s_waitcnt lgkmcnt(0)
	v_add_f32_e32 v19, v19, v25
	s_or_b64 exec, exec, s[2:3]
	s_and_saveexec_b64 s[2:3], vcc
	s_cbranch_execz .LBB52_125
.LBB52_153:
	v_mov_b32_e32 v25, 0x310
	v_lshl_add_u32 v25, v24, 2, v25
	ds_read_b32 v25, v25 offset:576
	s_waitcnt lgkmcnt(0)
	v_add_f32_e32 v16, v16, v25
	s_or_b64 exec, exec, s[2:3]
	s_and_saveexec_b64 s[2:3], vcc
	s_cbranch_execz .LBB52_126
.LBB52_154:
	v_mov_b32_e32 v25, 0x310
	v_lshl_add_u32 v25, v24, 2, v25
	ds_read_b32 v25, v25 offset:608
	s_waitcnt lgkmcnt(0)
	v_add_f32_e32 v17, v17, v25
	s_or_b64 exec, exec, s[2:3]
	s_and_saveexec_b64 s[2:3], vcc
	s_cbranch_execz .LBB52_127
.LBB52_155:
	v_mov_b32_e32 v25, 0x310
	v_lshl_add_u32 v25, v24, 2, v25
	ds_read_b32 v25, v25 offset:640
	s_waitcnt lgkmcnt(0)
	v_add_f32_e32 v14, v14, v25
	s_or_b64 exec, exec, s[2:3]
	s_and_saveexec_b64 s[2:3], vcc
	s_cbranch_execz .LBB52_128
.LBB52_156:
	v_mov_b32_e32 v25, 0x310
	v_lshl_add_u32 v25, v24, 2, v25
	ds_read_b32 v25, v25 offset:672
	s_waitcnt lgkmcnt(0)
	v_add_f32_e32 v15, v15, v25
	s_or_b64 exec, exec, s[2:3]
	s_and_saveexec_b64 s[2:3], vcc
	s_cbranch_execz .LBB52_129
.LBB52_157:
	v_mov_b32_e32 v25, 0x310
	v_lshl_add_u32 v25, v24, 2, v25
	ds_read_b32 v25, v25 offset:704
	s_waitcnt lgkmcnt(0)
	v_add_f32_e32 v22, v22, v25
	s_or_b64 exec, exec, s[2:3]
	s_and_saveexec_b64 s[2:3], vcc
	s_cbranch_execnz .LBB52_130
	s_branch .LBB52_131
	.section	.rodata,"a",@progbits
	.p2align	6, 0x0
	.amdhsa_kernel _ZN4vllm25paged_attention_v2_kernelIffLi192ELi32ELi128ELNS_18Fp8KVCacheDataTypeE0ELb1ELi512EEEvPfS2_PT_PKS3_PKT0_S9_ifPKiSB_iPKfiiiSD_SD_iiiii
		.amdhsa_group_segment_fixed_size 784
		.amdhsa_private_segment_fixed_size 224
		.amdhsa_kernarg_size 400
		.amdhsa_user_sgpr_count 2
		.amdhsa_user_sgpr_dispatch_ptr 0
		.amdhsa_user_sgpr_queue_ptr 0
		.amdhsa_user_sgpr_kernarg_segment_ptr 1
		.amdhsa_user_sgpr_dispatch_id 0
		.amdhsa_user_sgpr_kernarg_preload_length 0
		.amdhsa_user_sgpr_kernarg_preload_offset 0
		.amdhsa_user_sgpr_private_segment_size 0
		.amdhsa_uses_dynamic_stack 0
		.amdhsa_enable_private_segment 1
		.amdhsa_system_sgpr_workgroup_id_x 1
		.amdhsa_system_sgpr_workgroup_id_y 1
		.amdhsa_system_sgpr_workgroup_id_z 1
		.amdhsa_system_sgpr_workgroup_info 0
		.amdhsa_system_vgpr_workitem_id 0
		.amdhsa_next_free_vgpr 128
		.amdhsa_next_free_sgpr 57
		.amdhsa_accum_offset 128
		.amdhsa_reserve_vcc 1
		.amdhsa_float_round_mode_32 0
		.amdhsa_float_round_mode_16_64 0
		.amdhsa_float_denorm_mode_32 3
		.amdhsa_float_denorm_mode_16_64 3
		.amdhsa_dx10_clamp 1
		.amdhsa_ieee_mode 1
		.amdhsa_fp16_overflow 0
		.amdhsa_tg_split 0
		.amdhsa_exception_fp_ieee_invalid_op 0
		.amdhsa_exception_fp_denorm_src 0
		.amdhsa_exception_fp_ieee_div_zero 0
		.amdhsa_exception_fp_ieee_overflow 0
		.amdhsa_exception_fp_ieee_underflow 0
		.amdhsa_exception_fp_ieee_inexact 0
		.amdhsa_exception_int_div_zero 0
	.end_amdhsa_kernel
	.section	.text._ZN4vllm25paged_attention_v2_kernelIffLi192ELi32ELi128ELNS_18Fp8KVCacheDataTypeE0ELb1ELi512EEEvPfS2_PT_PKS3_PKT0_S9_ifPKiSB_iPKfiiiSD_SD_iiiii,"axG",@progbits,_ZN4vllm25paged_attention_v2_kernelIffLi192ELi32ELi128ELNS_18Fp8KVCacheDataTypeE0ELb1ELi512EEEvPfS2_PT_PKS3_PKT0_S9_ifPKiSB_iPKfiiiSD_SD_iiiii,comdat
.Lfunc_end52:
	.size	_ZN4vllm25paged_attention_v2_kernelIffLi192ELi32ELi128ELNS_18Fp8KVCacheDataTypeE0ELb1ELi512EEEvPfS2_PT_PKS3_PKT0_S9_ifPKiSB_iPKfiiiSD_SD_iiiii, .Lfunc_end52-_ZN4vllm25paged_attention_v2_kernelIffLi192ELi32ELi128ELNS_18Fp8KVCacheDataTypeE0ELb1ELi512EEEvPfS2_PT_PKS3_PKT0_S9_ifPKiSB_iPKfiiiSD_SD_iiiii
                                        ; -- End function
	.section	.AMDGPU.csdata,"",@progbits
; Kernel info:
; codeLenInByte = 12120
; NumSgprs: 63
; NumVgprs: 128
; NumAgprs: 0
; TotalNumVgprs: 128
; ScratchSize: 224
; MemoryBound: 0
; FloatMode: 240
; IeeeMode: 1
; LDSByteSize: 784 bytes/workgroup (compile time only)
; SGPRBlocks: 7
; VGPRBlocks: 15
; NumSGPRsForWavesPerEU: 63
; NumVGPRsForWavesPerEU: 128
; AccumOffset: 128
; Occupancy: 4
; WaveLimiterHint : 1
; COMPUTE_PGM_RSRC2:SCRATCH_EN: 1
; COMPUTE_PGM_RSRC2:USER_SGPR: 2
; COMPUTE_PGM_RSRC2:TRAP_HANDLER: 0
; COMPUTE_PGM_RSRC2:TGID_X_EN: 1
; COMPUTE_PGM_RSRC2:TGID_Y_EN: 1
; COMPUTE_PGM_RSRC2:TGID_Z_EN: 1
; COMPUTE_PGM_RSRC2:TIDIG_COMP_CNT: 0
; COMPUTE_PGM_RSRC3_GFX90A:ACCUM_OFFSET: 31
; COMPUTE_PGM_RSRC3_GFX90A:TG_SPLIT: 0
	.section	.text._ZN4vllm25paged_attention_v2_kernelIffLi256ELi32ELi128ELNS_18Fp8KVCacheDataTypeE0ELb1ELi512EEEvPfS2_PT_PKS3_PKT0_S9_ifPKiSB_iPKfiiiSD_SD_iiiii,"axG",@progbits,_ZN4vllm25paged_attention_v2_kernelIffLi256ELi32ELi128ELNS_18Fp8KVCacheDataTypeE0ELb1ELi512EEEvPfS2_PT_PKS3_PKT0_S9_ifPKiSB_iPKfiiiSD_SD_iiiii,comdat
	.protected	_ZN4vllm25paged_attention_v2_kernelIffLi256ELi32ELi128ELNS_18Fp8KVCacheDataTypeE0ELb1ELi512EEEvPfS2_PT_PKS3_PKT0_S9_ifPKiSB_iPKfiiiSD_SD_iiiii ; -- Begin function _ZN4vllm25paged_attention_v2_kernelIffLi256ELi32ELi128ELNS_18Fp8KVCacheDataTypeE0ELb1ELi512EEEvPfS2_PT_PKS3_PKT0_S9_ifPKiSB_iPKfiiiSD_SD_iiiii
	.globl	_ZN4vllm25paged_attention_v2_kernelIffLi256ELi32ELi128ELNS_18Fp8KVCacheDataTypeE0ELb1ELi512EEEvPfS2_PT_PKS3_PKT0_S9_ifPKiSB_iPKfiiiSD_SD_iiiii
	.p2align	8
	.type	_ZN4vllm25paged_attention_v2_kernelIffLi256ELi32ELi128ELNS_18Fp8KVCacheDataTypeE0ELb1ELi512EEEvPfS2_PT_PKS3_PKT0_S9_ifPKiSB_iPKfiiiSD_SD_iiiii,@function
_ZN4vllm25paged_attention_v2_kernelIffLi256ELi32ELi128ELNS_18Fp8KVCacheDataTypeE0ELb1ELi512EEEvPfS2_PT_PKS3_PKT0_S9_ifPKiSB_iPKfiiiSD_SD_iiiii: ; @_ZN4vllm25paged_attention_v2_kernelIffLi256ELi32ELi128ELNS_18Fp8KVCacheDataTypeE0ELb1ELi512EEEvPfS2_PT_PKS3_PKT0_S9_ifPKiSB_iPKfiiiSD_SD_iiiii
; %bb.0:
	s_load_dwordx2 s[6:7], s[0:1], 0x40
	s_mov_b32 s28, s3
	s_ashr_i32 s29, s3, 31
	s_lshl_b64 s[8:9], s[28:29], 2
	s_waitcnt lgkmcnt(0)
	s_add_u32 s6, s6, s8
	s_addc_u32 s7, s7, s9
	s_load_dword s29, s[6:7], 0x0
	s_lshl_b32 s49, s4, 9
	s_waitcnt lgkmcnt(0)
	s_cmp_ge_i32 s49, s29
	s_cbranch_scc1 .LBB53_158
; %bb.1:
	s_load_dword s5, s[0:1], 0x90
	s_load_dwordx2 s[38:39], s[0:1], 0x30
	v_mov_b32_e32 v75, v0
	s_waitcnt lgkmcnt(0)
	s_abs_i32 s7, s5
	s_abs_i32 s3, s38
	v_cvt_f32_u32_e32 v0, s3
	s_sub_i32 s8, 0, s3
	s_xor_b32 s6, s5, s38
	s_ashr_i32 s6, s6, 31
	v_rcp_iflag_f32_e32 v0, v0
	s_nop 0
	v_mul_f32_e32 v0, 0x4f7ffffe, v0
	v_cvt_u32_f32_e32 v0, v0
	s_nop 0
	v_readfirstlane_b32 s9, v0
	s_mul_i32 s8, s8, s9
	s_mul_hi_u32 s8, s9, s8
	s_add_i32 s9, s9, s8
	s_mul_hi_u32 s8, s7, s9
	s_mul_i32 s9, s8, s3
	s_sub_i32 s7, s7, s9
	s_add_i32 s10, s8, 1
	s_sub_i32 s9, s7, s3
	s_cmp_ge_u32 s7, s3
	s_cselect_b32 s8, s10, s8
	s_cselect_b32 s7, s9, s7
	s_add_i32 s9, s8, 1
	s_cmp_ge_u32 s7, s3
	s_cselect_b32 s3, s9, s8
	s_xor_b32 s3, s3, s6
	s_sub_i32 s12, s3, s6
	s_abs_i32 s8, s12
	v_cvt_f32_u32_e32 v0, s8
	s_load_dwordx2 s[6:7], s[0:1], 0x50
	s_sub_i32 s10, 0, s8
	s_abs_i32 s9, s2
	v_rcp_iflag_f32_e32 v0, v0
	s_mov_b32 s3, 0
	v_mul_f32_e32 v0, 0x4f7ffffe, v0
	v_cvt_u32_f32_e32 v0, v0
	s_nop 0
	v_readfirstlane_b32 s11, v0
	s_mul_i32 s10, s10, s11
	s_mul_hi_u32 s10, s11, s10
	s_add_i32 s11, s11, s10
	s_waitcnt lgkmcnt(0)
	s_cmp_eq_u64 s[6:7], 0
	s_mul_hi_u32 s10, s9, s11
	s_cbranch_scc1 .LBB53_3
; %bb.2:
	s_ashr_i32 s3, s2, 31
	s_lshl_b64 s[14:15], s[2:3], 2
	s_add_u32 s6, s6, s14
	s_addc_u32 s7, s7, s15
	s_load_dword s3, s[6:7], 0x0
.LBB53_3:
	s_load_dwordx4 s[16:19], s[0:1], 0x58
	s_movk_i32 s6, 0x80
	s_ashr_i32 s11, s2, 31
	s_ashr_i32 s12, s12, 31
	v_and_b32_e32 v2, 1, v75
	s_lshl_b32 s24, s2, 8
	v_cmp_gt_u32_e32 vcc, s6, v75
	v_lshlrev_b32_e32 v0, 3, v75
	v_lshlrev_b32_e32 v58, 2, v75
	s_and_saveexec_b64 s[6:7], vcc
	s_cbranch_execz .LBB53_5
; %bb.4:
	s_load_dwordx2 s[14:15], s[0:1], 0x18
	s_waitcnt lgkmcnt(0)
	s_mul_i32 s20, s28, s16
	s_ashr_i32 s21, s20, 31
	s_lshl_b64 s[20:21], s[20:21], 2
	v_and_b32_e32 v1, 0xff8, v58
	s_add_u32 s13, s14, s20
	s_addc_u32 s16, s15, s21
	s_ashr_i32 s25, s24, 31
	s_lshl_b64 s[14:15], s[24:25], 2
	s_add_u32 s14, s13, s14
	s_addc_u32 s15, s16, s15
	global_load_dwordx2 v[4:5], v0, s[14:15]
	v_lshl_add_u32 v1, v2, 9, v1
	s_waitcnt vmcnt(0)
	ds_write_b64 v1, v[4:5]
.LBB53_5:
	s_or_b64 exec, exec, s[6:7]
	s_mul_i32 s7, s10, s8
	s_sub_i32 s7, s9, s7
	s_xor_b32 s6, s11, s12
	s_add_i32 s9, s10, 1
	s_sub_i32 s11, s7, s8
	s_load_dwordx4 s[12:15], s[0:1], 0x78
	s_cmp_ge_u32 s7, s8
	s_cselect_b32 s9, s9, s10
	s_cselect_b32 s7, s11, s7
	s_load_dword s11, s[0:1], 0x88
	s_add_i32 s10, s9, 1
	s_cmp_ge_u32 s7, s8
	s_cselect_b32 s7, s10, s9
	s_waitcnt lgkmcnt(0)
	s_abs_i32 s25, s15
	v_cvt_f32_u32_e32 v1, s25
	s_xor_b32 s7, s7, s6
	s_sub_i32 s10, s7, s6
	s_sub_i32 s6, 0, s25
	v_rcp_iflag_f32_e32 v1, v1
	s_add_i32 s16, s29, -1
	s_abs_i32 s8, s16
	v_mul_f32_e32 v1, 0x4f7ffffe, v1
	v_cvt_u32_f32_e32 v1, v1
	s_barrier
	v_readfirstlane_b32 s33, v1
	s_mul_i32 s6, s6, s33
	s_mul_hi_u32 s6, s33, s6
	s_add_i32 s33, s33, s6
	s_cmp_lt_i32 s11, 0
	s_mul_hi_u32 s9, s8, s33
	s_cbranch_scc0 .LBB53_7
; %bb.6:
	s_mul_i32 s6, s12, s38
	s_add_i32 s6, s10, s6
	s_mul_i32 s6, s6, s11
	s_sub_i32 s46, 1, s6
	s_mov_b64 s[6:7], 0
	s_branch .LBB53_8
.LBB53_7:
	s_mov_b64 s[6:7], -1
                                        ; implicit-def: $sgpr46
.LBB53_8:
	s_load_dwordx2 s[30:31], s[0:1], 0x38
	s_ashr_i32 s19, s16, 31
	s_andn2_b64 vcc, exec, s[6:7]
	s_ashr_i32 s47, s15, 31
	s_cbranch_vccnz .LBB53_10
; %bb.9:
	s_mul_i32 s6, s5, s12
	s_add_i32 s6, s6, s2
	s_mul_i32 s6, s6, s11
	s_add_i32 s46, s6, 1
.LBB53_10:
	s_load_dword s6, s[0:1], 0x48
	s_load_dwordx2 s[36:37], s[0:1], 0x28
	s_load_dword s16, s[0:1], 0x98
	s_load_dwordx4 s[20:23], s[0:1], 0x0
	s_load_dwordx2 s[26:27], s[0:1], 0x10
	s_mul_i32 s7, s9, s25
	s_waitcnt lgkmcnt(0)
	s_mul_i32 s34, s28, s6
	s_sub_i32 s7, s8, s7
	s_ashr_i32 s35, s34, 31
	s_xor_b32 s6, s19, s47
	s_add_i32 s8, s9, 1
	s_sub_i32 s11, s7, s25
	s_cmp_ge_u32 s7, s25
	s_cselect_b32 s8, s8, s9
	s_cselect_b32 s7, s11, s7
	s_add_i32 s9, s8, 1
	s_cmp_ge_u32 s7, s25
	s_cselect_b32 s7, s9, s8
	s_xor_b32 s7, s7, s6
	s_sub_i32 s15, s7, s6
	s_add_i32 s6, s29, 31
	s_ashr_i32 s7, s6, 31
	s_lshr_b32 s7, s7, 27
	s_add_i32 s6, s6, s7
	s_lshl_b32 s38, s4, 4
	s_ashr_i32 s12, s6, 5
	s_add_i32 s6, s38, 16
	v_lshrrev_b32_e32 v59, 6, v75
	s_min_i32 s48, s6, s12
	v_or_b32_e32 v4, s38, v59
	v_cmp_gt_i32_e64 s[8:9], s48, v4
	v_mov_b32_e32 v64, 0xff7fffff
	s_mul_i32 s18, s10, s18
	v_ashrrev_i32_e32 v5, 31, v4
	v_lshl_add_u32 v80, v59, 5, s49
	v_mbcnt_lo_u32_b32 v60, -1, 0
	scratch_store_dwordx2 off, v[4:5], off  ; 8-byte Folded Spill
	s_and_saveexec_b64 s[40:41], s[8:9]
	s_cbranch_execz .LBB53_20
; %bb.11:
	s_load_dwordx2 s[0:1], s[0:1], 0x20
	s_ashr_i32 s19, s18, 31
	s_sub_i32 s50, s15, s13
	s_lshl_b64 s[6:7], s[18:19], 2
	v_bfe_u32 v61, v75, 1, 5
	s_waitcnt lgkmcnt(0)
	s_add_u32 s0, s0, s6
	s_addc_u32 s1, s1, s7
	s_abs_i32 s19, s14
	v_cvt_f32_u32_e32 v1, s19
	v_lshlrev_b32_e32 v4, 4, v61
	v_mov_b32_e32 v5, 0
	v_lshl_add_u64 v[6:7], s[0:1], 0, v[4:5]
	v_rcp_iflag_f32_e32 v8, v1
	v_and_b32_e32 v4, 8, v0
	v_lshl_add_u64 v[0:1], v[6:7], 0, v[4:5]
	s_sub_i32 s0, 0, s19
	v_mul_f32_e32 v4, 0x4f7ffffe, v8
	v_cvt_u32_f32_e32 v4, v4
	v_cmp_eq_u32_e32 vcc, 0, v2
	v_lshlrev_b32_e32 v62, 9, v2
	v_lshlrev_b32_e32 v3, 2, v61
	v_mul_lo_u32 v2, s0, v4
	v_mul_hi_u32 v2, v4, v2
	v_add_u32_e32 v63, v4, v2
	scratch_load_dwordx2 v[4:5], off, off   ; 8-byte Folded Reload
	s_lshl_b64 s[0:1], s[34:35], 2
	v_lshl_or_b32 v2, v59, 7, v3
	s_add_u32 s0, s30, s0
	v_add_u32_e32 v66, 0x410, v2
	v_subrev_u32_e32 v2, s29, v61
	v_mbcnt_hi_u32_b32 v69, -1, v60
	s_addc_u32 s1, s31, s1
	v_add_u32_e32 v67, 1, v2
	v_and_b32_e32 v2, 64, v69
	s_mov_b32 s51, s17
	v_cmp_neq_f32_e64 s[6:7], s3, 0
	v_lshl_add_u32 v65, v59, 5, s49
	s_mov_b64 s[42:43], 0
	v_mov_b32_e32 v68, 0xff7fffff
	s_movk_i32 s52, 0x1000
	s_movk_i32 s53, 0x2000
	;; [unrolled: 1-line block ×7, first 2 shown]
	v_xor_b32_e32 v70, 1, v69
	v_add_u32_e32 v71, 64, v2
	v_mov_b32_e32 v64, 0xff7fffff
	s_waitcnt vmcnt(0)
	v_lshl_add_u64 v[6:7], v[4:5], 2, s[0:1]
	v_mov_b32_e32 v72, v4
	s_branch .LBB53_14
.LBB53_12:                              ;   in Loop: Header=BB53_14 Depth=1
	s_or_b64 exec, exec, s[44:45]
.LBB53_13:                              ;   in Loop: Header=BB53_14 Depth=1
	s_or_b64 exec, exec, s[10:11]
	v_add_u32_e32 v72, 2, v72
	v_cmp_le_i32_e64 s[0:1], s48, v72
	v_lshl_add_u64 v[6:7], v[6:7], 0, 8
	v_add_u32_e32 v65, 64, v65
	s_or_b64 s[42:43], s[0:1], s[42:43]
	v_add_u32_e32 v66, 0x100, v66
	s_andn2_b64 exec, exec, s[42:43]
	s_cbranch_execz .LBB53_19
.LBB53_14:                              ; =>This Inner Loop Header: Depth=1
	s_waitcnt lgkmcnt(0)
	v_sub_u32_e32 v3, 0, v65
	v_max_i32_e32 v3, v65, v3
	v_mul_hi_u32 v4, v3, s33
	v_mul_lo_u32 v5, v4, s25
	v_sub_u32_e32 v3, v3, v5
	v_add_u32_e32 v5, 1, v4
	v_cmp_le_u32_e64 s[0:1], s25, v3
	v_ashrrev_i32_e32 v2, 31, v65
	v_xor_b32_e32 v2, s47, v2
	v_cndmask_b32_e64 v4, v4, v5, s[0:1]
	v_subrev_u32_e32 v5, s25, v3
	v_cndmask_b32_e64 v3, v3, v5, s[0:1]
	v_add_u32_e32 v5, 1, v4
	v_cmp_le_u32_e64 s[0:1], s25, v3
	s_nop 1
	v_cndmask_b32_e64 v3, v4, v5, s[0:1]
	v_xor_b32_e32 v3, v3, v2
	v_sub_u32_e32 v2, v3, v2
	v_add_u32_e32 v3, s46, v2
	v_sub_u32_e32 v5, 0, v3
	v_ashrrev_i32_e32 v4, 31, v3
	v_max_i32_e32 v3, v3, v5
	v_mul_hi_u32 v5, v3, v63
	v_mul_lo_u32 v5, v5, s19
	v_sub_u32_e32 v3, v3, v5
	v_subrev_u32_e32 v5, s19, v3
	v_cmp_le_u32_e64 s[0:1], s19, v3
	v_cmp_ge_i32_e64 s[10:11], s50, v2
	s_nop 0
	v_cndmask_b32_e64 v3, v3, v5, s[0:1]
	v_subrev_u32_e32 v5, s19, v3
	v_cmp_le_u32_e64 s[0:1], s19, v3
	s_nop 1
	v_cndmask_b32_e64 v3, v3, v5, s[0:1]
	v_xor_b32_e32 v3, v3, v4
	v_sub_u32_e32 v3, v3, v4
	v_cmp_ne_u32_e64 s[0:1], 0, v3
	s_and_b64 s[0:1], s[0:1], s[10:11]
	s_and_b64 s[44:45], vcc, s[0:1]
	s_and_saveexec_b64 s[10:11], s[44:45]
	s_cbranch_execz .LBB53_16
; %bb.15:                               ;   in Loop: Header=BB53_14 Depth=1
	ds_write_b32 v66, v68
.LBB53_16:                              ;   in Loop: Header=BB53_14 Depth=1
	s_or_b64 exec, exec, s[10:11]
	s_xor_b64 s[0:1], s[0:1], -1
	s_and_saveexec_b64 s[10:11], s[0:1]
	s_cbranch_execz .LBB53_13
; %bb.17:                               ;   in Loop: Header=BB53_14 Depth=1
	global_load_dword v2, v[6:7], off
	s_waitcnt vmcnt(0)
	v_mad_i64_i32 v[2:3], s[0:1], v2, s51, 0
	v_lshl_add_u64 v[2:3], v[2:3], 2, v[0:1]
	global_load_dwordx2 v[4:5], v[2:3], off offset:512
	global_load_dwordx2 v[16:17], v[2:3], off
	global_load_dwordx2 v[50:51], v[2:3], off offset:1024
	global_load_dwordx2 v[52:53], v[2:3], off offset:1536
	;; [unrolled: 1-line block ×6, first 2 shown]
	v_add_co_u32_e64 v54, s[0:1], s53, v2
	s_nop 1
	v_addc_co_u32_e64 v55, s[0:1], 0, v3, s[0:1]
	global_load_dwordx2 v[44:45], v[54:55], off offset:-4096
	v_add_co_u32_e64 v12, s[0:1], s52, v2
	s_nop 1
	v_addc_co_u32_e64 v13, s[0:1], 0, v3, s[0:1]
	global_load_dwordx2 v[38:39], v[12:13], off offset:512
	global_load_dwordx2 v[36:37], v[12:13], off offset:1024
	;; [unrolled: 1-line block ×7, first 2 shown]
	global_load_dwordx2 v[20:21], v[54:55], off
	ds_read_b128 v[12:15], v62
	global_load_dwordx2 v[26:27], v[54:55], off offset:512
	global_load_dwordx2 v[22:23], v[54:55], off offset:1024
	;; [unrolled: 1-line block ×3, first 2 shown]
	ds_read_b128 v[46:49], v62 offset:16
	s_waitcnt vmcnt(19) lgkmcnt(1)
	v_mul_f32_e32 v73, v14, v4
	v_mul_f32_e32 v74, v15, v5
	s_waitcnt vmcnt(18)
	v_fmac_f32_e32 v73, v12, v16
	v_fmac_f32_e32 v74, v13, v17
	global_load_dwordx2 v[16:17], v[54:55], off offset:2048
	global_load_dwordx2 v[14:15], v[54:55], off offset:2560
	;; [unrolled: 1-line block ×4, first 2 shown]
	s_waitcnt vmcnt(21) lgkmcnt(0)
	v_fmac_f32_e32 v73, v46, v50
	v_fmac_f32_e32 v74, v47, v51
	s_waitcnt vmcnt(20)
	v_fmac_f32_e32 v73, v48, v52
	v_fmac_f32_e32 v74, v49, v53
	ds_read_b128 v[46:49], v62 offset:32
	ds_read_b128 v[50:53], v62 offset:48
	s_waitcnt vmcnt(19) lgkmcnt(1)
	v_fmac_f32_e32 v73, v46, v40
	v_add_co_u32_e64 v40, s[0:1], s55, v2
	v_fmac_f32_e32 v74, v47, v41
	s_nop 0
	v_addc_co_u32_e64 v41, s[0:1], 0, v3, s[0:1]
	s_waitcnt vmcnt(18)
	v_fmac_f32_e32 v73, v48, v42
	v_fmac_f32_e32 v74, v49, v43
	global_load_dwordx2 v[42:43], v[40:41], off offset:-4096
	s_waitcnt vmcnt(18) lgkmcnt(0)
	v_fmac_f32_e32 v73, v50, v10
	v_fmac_f32_e32 v74, v51, v11
	s_waitcnt vmcnt(17)
	v_fmac_f32_e32 v73, v52, v8
	v_fmac_f32_e32 v74, v53, v9
	ds_read_b128 v[46:49], v62 offset:64
	ds_read_b128 v[50:53], v62 offset:80
	v_add_co_u32_e64 v10, s[0:1], s58, v2
	s_waitcnt vmcnt(16) lgkmcnt(1)
	v_fmac_f32_e32 v73, v46, v44
	v_addc_co_u32_e64 v11, s[0:1], 0, v3, s[0:1]
	v_add_co_u32_e64 v76, s[0:1], s54, v2
	v_fmac_f32_e32 v74, v47, v45
	s_nop 0
	v_addc_co_u32_e64 v77, s[0:1], 0, v3, s[0:1]
	global_load_dwordx2 v[8:9], v[10:11], off offset:3584
	global_load_dwordx2 v[54:55], v[76:77], off offset:512
	;; [unrolled: 1-line block ×3, first 2 shown]
	s_waitcnt vmcnt(18)
	v_fmac_f32_e32 v73, v48, v38
	v_fmac_f32_e32 v74, v49, v39
	s_waitcnt vmcnt(17) lgkmcnt(0)
	v_fmac_f32_e32 v73, v50, v36
	v_fmac_f32_e32 v74, v51, v37
	ds_read_b128 v[36:39], v62 offset:96
	ds_read_b128 v[44:47], v62 offset:112
	s_waitcnt vmcnt(16)
	v_fmac_f32_e32 v73, v52, v34
	v_fmac_f32_e32 v74, v53, v35
	global_load_dwordx2 v[52:53], v[76:77], off offset:1536
	s_waitcnt vmcnt(16) lgkmcnt(1)
	v_fmac_f32_e32 v73, v36, v32
	v_fmac_f32_e32 v74, v37, v33
	s_waitcnt vmcnt(15)
	v_fmac_f32_e32 v73, v38, v30
	v_fmac_f32_e32 v74, v39, v31
	global_load_dwordx2 v[50:51], v[76:77], off offset:2048
	global_load_dwordx2 v[48:49], v[76:77], off offset:2560
	;; [unrolled: 1-line block ×3, first 2 shown]
	ds_read_b128 v[32:35], v62 offset:128
	ds_read_b128 v[36:39], v62 offset:144
	s_waitcnt vmcnt(17) lgkmcnt(2)
	v_fmac_f32_e32 v73, v44, v28
	v_fmac_f32_e32 v74, v45, v29
	global_load_dwordx2 v[28:29], v[76:77], off offset:3584
	global_load_dwordx2 v[44:45], v[40:41], off
	s_waitcnt vmcnt(18)
	v_fmac_f32_e32 v73, v46, v24
	v_fmac_f32_e32 v74, v47, v25
	s_waitcnt vmcnt(17) lgkmcnt(1)
	v_fmac_f32_e32 v73, v32, v20
	v_fmac_f32_e32 v74, v33, v21
	global_load_dwordx2 v[46:47], v[40:41], off offset:512
	s_waitcnt vmcnt(17)
	v_fmac_f32_e32 v73, v34, v26
	v_fmac_f32_e32 v74, v35, v27
	s_waitcnt vmcnt(16) lgkmcnt(0)
	v_fmac_f32_e32 v73, v36, v22
	v_fmac_f32_e32 v74, v37, v23
	ds_read_b128 v[20:23], v62 offset:160
	ds_read_b128 v[34:37], v62 offset:176
	s_waitcnt vmcnt(15)
	v_fmac_f32_e32 v73, v38, v18
	v_fmac_f32_e32 v74, v39, v19
	global_load_dwordx2 v[32:33], v[40:41], off offset:1024
	global_load_dwordx2 v[26:27], v[40:41], off offset:1536
	;; [unrolled: 1-line block ×3, first 2 shown]
	v_add_co_u32_e64 v76, s[0:1], s56, v2
	s_waitcnt vmcnt(17) lgkmcnt(1)
	v_fmac_f32_e32 v73, v20, v16
	v_fmac_f32_e32 v74, v21, v17
	s_waitcnt vmcnt(16)
	v_fmac_f32_e32 v73, v22, v14
	v_fmac_f32_e32 v74, v23, v15
	s_waitcnt vmcnt(15) lgkmcnt(0)
	v_fmac_f32_e32 v73, v34, v12
	v_fmac_f32_e32 v74, v35, v13
	ds_read_b128 v[14:17], v62 offset:192
	ds_read_b128 v[20:23], v62 offset:208
	s_waitcnt vmcnt(14)
	v_fmac_f32_e32 v73, v36, v4
	v_fmac_f32_e32 v74, v37, v5
	global_load_dwordx2 v[38:39], v[40:41], off offset:2560
	global_load_dwordx2 v[36:37], v[40:41], off offset:3072
	v_addc_co_u32_e64 v77, s[0:1], 0, v3, s[0:1]
	global_load_dwordx2 v[34:35], v[40:41], off offset:3584
	v_add_co_u32_e64 v40, s[0:1], s57, v2
	s_waitcnt vmcnt(16) lgkmcnt(1)
	v_fmac_f32_e32 v73, v14, v42
	v_addc_co_u32_e64 v41, s[0:1], 0, v3, s[0:1]
	global_load_dwordx2 v[18:19], v[40:41], off offset:-4096
	v_fmac_f32_e32 v74, v15, v43
	global_load_dwordx2 v[14:15], v[76:77], off offset:512
	v_cmp_lt_i32_e64 s[0:1], v70, v71
	s_waitcnt vmcnt(16)
	v_fmac_f32_e32 v73, v54, v16
	v_fmac_f32_e32 v74, v55, v17
	s_waitcnt vmcnt(15) lgkmcnt(0)
	v_fmac_f32_e32 v73, v56, v20
	v_fmac_f32_e32 v74, v57, v21
	ds_read_b128 v[2:5], v62 offset:224
	ds_read_b128 v[54:57], v62 offset:240
	global_load_dwordx2 v[16:17], v[76:77], off offset:1024
	global_load_dwordx2 v[12:13], v[76:77], off offset:1536
	s_waitcnt vmcnt(16)
	v_fmac_f32_e32 v73, v52, v22
	v_fmac_f32_e32 v74, v53, v23
	s_waitcnt vmcnt(15) lgkmcnt(1)
	v_fmac_f32_e32 v73, v50, v2
	v_fmac_f32_e32 v74, v51, v3
	s_waitcnt vmcnt(14)
	v_fmac_f32_e32 v73, v48, v4
	v_fmac_f32_e32 v74, v49, v5
	ds_read_b128 v[48:51], v62 offset:256
	ds_read_b128 v[2:5], v62 offset:272
	s_waitcnt vmcnt(13) lgkmcnt(2)
	v_fmac_f32_e32 v73, v30, v54
	v_fmac_f32_e32 v74, v31, v55
	s_waitcnt vmcnt(12)
	v_fmac_f32_e32 v73, v28, v56
	v_fmac_f32_e32 v74, v29, v57
	global_load_dwordx2 v[30:31], v[76:77], off offset:2048
	global_load_dwordx2 v[28:29], v[76:77], off offset:2560
	;; [unrolled: 1-line block ×4, first 2 shown]
	s_waitcnt vmcnt(15) lgkmcnt(1)
	v_fmac_f32_e32 v73, v44, v48
	v_fmac_f32_e32 v74, v45, v49
	ds_read_b128 v[52:55], v62 offset:288
	ds_read_b128 v[76:79], v62 offset:304
	global_load_dwordx2 v[48:49], v[40:41], off
	s_waitcnt vmcnt(15)
	v_fmac_f32_e32 v73, v46, v50
	v_fmac_f32_e32 v74, v47, v51
	global_load_dwordx2 v[50:51], v[40:41], off offset:512
	global_load_dwordx2 v[44:45], v[40:41], off offset:1024
	;; [unrolled: 1-line block ×3, first 2 shown]
	s_waitcnt vmcnt(17) lgkmcnt(2)
	v_fmac_f32_e32 v73, v32, v2
	v_fmac_f32_e32 v74, v33, v3
	s_waitcnt vmcnt(16)
	v_fmac_f32_e32 v73, v26, v4
	v_fmac_f32_e32 v74, v27, v5
	s_waitcnt vmcnt(15) lgkmcnt(1)
	v_fmac_f32_e32 v73, v24, v52
	v_fmac_f32_e32 v74, v25, v53
	global_load_dwordx2 v[42:43], v[40:41], off offset:2048
	global_load_dwordx2 v[32:33], v[40:41], off offset:2560
	;; [unrolled: 1-line block ×4, first 2 shown]
	global_load_dwordx2 v[4:5], v[10:11], off
	global_load_dwordx2 v[2:3], v[10:11], off offset:512
	s_waitcnt vmcnt(20)
	v_fmac_f32_e32 v73, v38, v54
	v_fmac_f32_e32 v74, v39, v55
	s_waitcnt vmcnt(19) lgkmcnt(0)
	v_fmac_f32_e32 v73, v36, v76
	v_fmac_f32_e32 v74, v37, v77
	ds_read_b128 v[36:39], v62 offset:320
	ds_read_b128 v[52:55], v62 offset:336
	s_waitcnt vmcnt(18)
	v_fmac_f32_e32 v73, v34, v78
	v_fmac_f32_e32 v74, v35, v79
	global_load_dwordx2 v[34:35], v[10:11], off offset:1024
	s_waitcnt vmcnt(18) lgkmcnt(1)
	v_fmac_f32_e32 v73, v18, v36
	v_fmac_f32_e32 v74, v19, v37
	global_load_dwordx2 v[36:37], v[10:11], off offset:1536
	s_waitcnt vmcnt(18)
	v_fmac_f32_e32 v73, v14, v38
	v_fmac_f32_e32 v74, v15, v39
	global_load_dwordx2 v[18:19], v[10:11], off offset:2048
	global_load_dwordx2 v[14:15], v[10:11], off offset:2560
	s_nop 0
	global_load_dwordx2 v[10:11], v[10:11], off offset:3072
	ds_read_b128 v[38:41], v62 offset:352
	s_waitcnt vmcnt(20) lgkmcnt(1)
	v_fmac_f32_e32 v73, v16, v52
	v_fmac_f32_e32 v74, v17, v53
	s_waitcnt vmcnt(19)
	v_fmac_f32_e32 v73, v12, v54
	v_fmac_f32_e32 v74, v13, v55
	ds_read_b128 v[52:55], v62 offset:368
	v_cndmask_b32_e64 v12, v69, v70, s[0:1]
	v_lshlrev_b32_e32 v12, 2, v12
	s_waitcnt vmcnt(18) lgkmcnt(1)
	v_fmac_f32_e32 v73, v30, v38
	v_fmac_f32_e32 v74, v31, v39
	s_waitcnt vmcnt(17)
	v_fmac_f32_e32 v73, v28, v40
	v_fmac_f32_e32 v74, v29, v41
	ds_read_b128 v[28:31], v62 offset:384
	s_waitcnt vmcnt(16) lgkmcnt(1)
	v_fmac_f32_e32 v73, v22, v52
	v_fmac_f32_e32 v74, v23, v53
	s_waitcnt vmcnt(15)
	v_fmac_f32_e32 v73, v20, v54
	v_fmac_f32_e32 v74, v21, v55
	ds_read_b128 v[20:23], v62 offset:400
	;; [unrolled: 7-line block ×8, first 2 shown]
	s_waitcnt vmcnt(2) lgkmcnt(1)
	v_fmac_f32_e32 v73, v18, v2
	v_fmac_f32_e32 v74, v19, v3
	s_waitcnt vmcnt(1)
	v_fmac_f32_e32 v73, v14, v4
	v_fmac_f32_e32 v74, v15, v5
	s_waitcnt vmcnt(0) lgkmcnt(0)
	v_fmac_f32_e32 v73, v10, v20
	v_fmac_f32_e32 v74, v11, v21
	v_fmac_f32_e32 v73, v8, v22
	v_fmac_f32_e32 v74, v9, v23
	v_add_f32_e32 v2, v73, v74
	ds_bpermute_b32 v3, v12, v2
	s_and_saveexec_b64 s[44:45], vcc
	s_cbranch_execz .LBB53_12
; %bb.18:                               ;   in Loop: Header=BB53_14 Depth=1
	v_add_u32_e32 v4, v67, v65
	v_cvt_f32_i32_e32 v4, v4
	s_waitcnt lgkmcnt(0)
	v_add_f32_e32 v2, v2, v3
	v_add_u32_e32 v5, v61, v65
	v_cmp_gt_i32_e64 s[0:1], s29, v5
	v_mul_f32_e32 v3, s3, v4
	v_cndmask_b32_e64 v3, 0, v3, s[6:7]
	v_fmac_f32_e32 v3, s39, v2
	v_cndmask_b32_e64 v2, 0, v3, s[0:1]
	ds_write_b32 v66, v2
	v_max_f32_e32 v2, v64, v64
	v_max_f32_e32 v2, v2, v3
	v_cndmask_b32_e64 v64, v64, v2, s[0:1]
	s_branch .LBB53_12
.LBB53_19:
	s_or_b64 exec, exec, s[42:43]
.LBB53_20:
	s_or_b64 exec, exec, s[40:41]
	v_mbcnt_hi_u32_b32 v2, -1, v60
	v_and_b32_e32 v0, 64, v2
	v_add_u32_e32 v6, 64, v0
	v_xor_b32_e32 v0, 32, v2
	v_cmp_lt_i32_e32 vcc, v0, v6
	v_xor_b32_e32 v4, 16, v2
	s_waitcnt lgkmcnt(0)
	v_max_f32_e32 v3, v64, v64
	v_cndmask_b32_e32 v0, v2, v0, vcc
	v_lshlrev_b32_e32 v0, 2, v0
	ds_bpermute_b32 v1, v0, v64
	v_cmp_lt_i32_e32 vcc, v4, v6
	v_xor_b32_e32 v5, 8, v2
	v_xor_b32_e32 v7, 4, v2
	v_and_b32_e32 v44, 63, v75
	s_waitcnt lgkmcnt(0)
	v_max_f32_e32 v1, v1, v1
	v_max_f32_e32 v3, v3, v1
	v_cndmask_b32_e32 v1, v2, v4, vcc
	v_lshlrev_b32_e32 v1, 2, v1
	ds_bpermute_b32 v4, v1, v3
	v_cmp_lt_i32_e32 vcc, v5, v6
	s_waitcnt lgkmcnt(0)
	v_max_f32_e32 v4, v4, v4
	v_max_f32_e32 v4, v3, v4
	v_cndmask_b32_e32 v3, v2, v5, vcc
	v_lshlrev_b32_e32 v3, 2, v3
	ds_bpermute_b32 v5, v3, v4
	v_cmp_lt_i32_e32 vcc, v7, v6
	s_waitcnt lgkmcnt(0)
	v_max_f32_e32 v5, v5, v5
	v_max_f32_e32 v4, v4, v5
	v_cndmask_b32_e32 v5, v2, v7, vcc
	v_lshlrev_b32_e32 v37, 2, v5
	ds_bpermute_b32 v5, v37, v4
	v_xor_b32_e32 v7, 2, v2
	v_cmp_lt_i32_e32 vcc, v7, v6
	s_waitcnt lgkmcnt(0)
	v_max_f32_e32 v5, v5, v5
	v_max_f32_e32 v5, v4, v5
	v_cndmask_b32_e32 v4, v2, v7, vcc
	v_lshlrev_b32_e32 v43, 2, v4
	ds_bpermute_b32 v7, v43, v5
	v_cmp_eq_u32_e32 vcc, 0, v44
	v_lshlrev_b32_e32 v4, 2, v59
	s_and_saveexec_b64 s[0:1], vcc
	s_cbranch_execz .LBB53_22
; %bb.21:
	s_waitcnt lgkmcnt(0)
	v_max_f32_e32 v7, v7, v7
	v_max_f32_e32 v5, v5, v5
	;; [unrolled: 1-line block ×3, first 2 shown]
	ds_write_b32 v4, v5 offset:1024
.LBB53_22:
	s_or_b64 exec, exec, s[0:1]
	v_cmp_gt_u32_e64 s[0:1], 2, v44
	s_waitcnt lgkmcnt(0)
	v_mov_b32_e32 v7, 0xff7fffff
	v_lshlrev_b32_e32 v5, 2, v44
	s_barrier
	s_and_saveexec_b64 s[6:7], s[0:1]
	s_cbranch_execz .LBB53_24
; %bb.23:
	ds_read_b32 v7, v5 offset:1024
.LBB53_24:
	s_or_b64 exec, exec, s[6:7]
	v_xor_b32_e32 v8, 1, v2
	v_cmp_lt_i32_e64 s[6:7], v8, v6
	s_sub_i32 s3, s48, s38
	s_lshl_b32 s3, s3, 5
	v_cndmask_b32_e64 v6, v2, v8, s[6:7]
	v_lshlrev_b32_e32 v45, 2, v6
	s_waitcnt lgkmcnt(0)
	ds_bpermute_b32 v6, v45, v7
	v_max_f32_e32 v7, v7, v7
	v_lshlrev_b32_e32 v2, 2, v2
	s_add_i32 s3, s3, s49
	s_min_i32 s19, s3, s29
	s_waitcnt lgkmcnt(0)
	v_max_f32_e32 v6, v6, v6
	v_max_f32_e32 v7, v7, v6
	v_and_b32_e32 v6, 0x100, v2
	ds_bpermute_b32 v2, v6, v7
	s_sub_i32 s3, s19, s49
	v_cmp_gt_i32_e64 s[6:7], s3, v75
	v_mov_b32_e32 v7, 0
	s_and_saveexec_b64 s[38:39], s[6:7]
	s_cbranch_execz .LBB53_28
; %bb.25:
	v_mov_b32_e32 v7, 0x410
	v_lshl_add_u32 v8, v75, 2, v7
	s_mov_b64 s[40:41], 0
	v_mov_b32_e32 v7, 0
	v_mov_b32_e32 v9, v75
.LBB53_26:                              ; =>This Inner Loop Header: Depth=1
	ds_read_b32 v10, v8
	v_add_u32_e32 v9, 0x80, v9
	v_cmp_le_i32_e64 s[10:11], s3, v9
	s_or_b64 s[40:41], s[10:11], s[40:41]
	s_waitcnt lgkmcnt(0)
	v_sub_f32_e32 v10, v10, v2
	v_mul_f32_e32 v10, 0x3fb8aa3b, v10
	v_exp_f32_e32 v10, v10
	ds_write_b32 v8, v10
	v_add_f32_e32 v7, v7, v10
	v_add_u32_e32 v8, 0x200, v8
	s_andn2_b64 exec, exec, s[40:41]
	s_cbranch_execnz .LBB53_26
; %bb.27:
	s_or_b64 exec, exec, s[40:41]
.LBB53_28:
	s_or_b64 exec, exec, s[38:39]
	ds_bpermute_b32 v0, v0, v7
	s_waitcnt lgkmcnt(0)
	v_add_f32_e32 v0, v7, v0
	ds_bpermute_b32 v1, v1, v0
	s_waitcnt lgkmcnt(0)
	v_add_f32_e32 v0, v0, v1
	;; [unrolled: 3-line block ×6, first 2 shown]
	s_and_saveexec_b64 s[10:11], vcc
	s_cbranch_execz .LBB53_30
; %bb.29:
	ds_write_b32 v4, v0 offset:1032
.LBB53_30:
	s_or_b64 exec, exec, s[10:11]
	s_waitcnt lgkmcnt(0)
	s_barrier
	s_and_saveexec_b64 s[10:11], s[0:1]
	s_cbranch_execz .LBB53_32
; %bb.31:
	ds_read_b32 v0, v5 offset:1032
.LBB53_32:
	s_or_b64 exec, exec, s[10:11]
	s_waitcnt lgkmcnt(0)
	ds_bpermute_b32 v1, v45, v0
	s_waitcnt lgkmcnt(0)
	v_add_f32_e32 v0, v0, v1
	ds_bpermute_b32 v3, v6, v0
	s_and_saveexec_b64 s[0:1], s[6:7]
	s_cbranch_execz .LBB53_45
; %bb.33:
	s_waitcnt lgkmcnt(0)
	v_add_f32_e32 v0, 0x358637bd, v3
	v_div_scale_f32 v1, s[6:7], v0, v0, 1.0
	v_rcp_f32_e32 v4, v1
	v_div_scale_f32 v5, vcc, 1.0, v0, 1.0
	s_movk_i32 s6, 0x7f
	v_fma_f32 v6, -v1, v4, 1.0
	v_fmac_f32_e32 v4, v6, v4
	v_mul_f32_e32 v6, v5, v4
	v_fma_f32 v7, -v1, v6, v5
	v_fmac_f32_e32 v6, v7, v4
	v_fma_f32 v1, -v1, v6, v5
	v_div_fmas_f32 v1, v1, v4, v6
	v_div_fixup_f32 v0, v1, v0, 1.0
	v_xad_u32 v1, v75, -1, s19
	v_subrev_u32_e32 v4, s49, v1
	v_cmp_lt_u32_e32 vcc, s6, v4
	s_mov_b64 s[10:11], -1
	v_mov_b32_e32 v1, v75
	s_and_saveexec_b64 s[6:7], vcc
	s_cbranch_execz .LBB53_42
; %bb.34:
	v_lshrrev_b32_e32 v4, 7, v4
	v_add_u32_e32 v6, -1, v4
	v_lshrrev_b32_e32 v5, 1, v6
	v_mov_b32_e32 v1, v0
	v_add_u32_e32 v5, 1, v5
	v_cmp_lt_u32_e32 vcc, 13, v6
	v_mov_b32_e32 v8, 0
	s_and_saveexec_b64 s[10:11], vcc
	s_cbranch_execz .LBB53_38
; %bb.35:
	v_mov_b32_e32 v7, 0x410
	v_and_b32_e32 v6, -8, v5
	v_lshl_add_u32 v7, v75, 2, v7
	s_mov_b32 s19, 0
	s_mov_b64 s[38:39], 0
.LBB53_36:                              ; =>This Inner Loop Header: Depth=1
	ds_read2st64_b32 v[8:9], v7 offset1:2
	ds_read2st64_b32 v[10:11], v7 offset0:4 offset1:6
	ds_read2st64_b32 v[12:13], v7 offset0:8 offset1:10
	;; [unrolled: 1-line block ×3, first 2 shown]
	v_add_u32_e32 v6, -8, v6
	s_waitcnt lgkmcnt(3)
	v_pk_mul_f32 v[8:9], v[0:1], v[8:9]
	s_waitcnt lgkmcnt(2)
	v_pk_mul_f32 v[10:11], v[0:1], v[10:11]
	ds_write2st64_b32 v7, v8, v9 offset1:2
	ds_write2st64_b32 v7, v10, v11 offset0:4 offset1:6
	ds_read2st64_b32 v[10:11], v7 offset0:16 offset1:18
	s_waitcnt lgkmcnt(4)
	v_pk_mul_f32 v[8:9], v[0:1], v[12:13]
	ds_write2st64_b32 v7, v8, v9 offset0:8 offset1:10
	s_waitcnt lgkmcnt(4)
	v_pk_mul_f32 v[8:9], v[0:1], v[14:15]
	ds_write2st64_b32 v7, v8, v9 offset0:12 offset1:14
	ds_read2st64_b32 v[8:9], v7 offset0:20 offset1:22
	s_waitcnt lgkmcnt(3)
	v_pk_mul_f32 v[10:11], v[0:1], v[10:11]
	ds_read2st64_b32 v[12:13], v7 offset0:24 offset1:26
	ds_write2st64_b32 v7, v10, v11 offset0:16 offset1:18
	ds_read2st64_b32 v[10:11], v7 offset0:28 offset1:30
	s_waitcnt lgkmcnt(3)
	v_pk_mul_f32 v[8:9], v[0:1], v[8:9]
	ds_write2st64_b32 v7, v8, v9 offset0:20 offset1:22
	s_waitcnt lgkmcnt(3)
	v_pk_mul_f32 v[8:9], v[0:1], v[12:13]
	ds_write2st64_b32 v7, v8, v9 offset0:24 offset1:26
	s_waitcnt lgkmcnt(2)
	v_pk_mul_f32 v[8:9], v[0:1], v[10:11]
	s_add_i32 s19, s19, 16
	v_cmp_eq_u32_e32 vcc, 0, v6
	ds_write2st64_b32 v7, v8, v9 offset0:28 offset1:30
	v_add_u32_e32 v7, 0x2000, v7
	s_or_b64 s[38:39], vcc, s[38:39]
	v_mov_b32_e32 v8, s19
	s_andn2_b64 exec, exec, s[38:39]
	s_cbranch_execnz .LBB53_36
; %bb.37:
	s_or_b64 exec, exec, s[38:39]
.LBB53_38:
	s_or_b64 exec, exec, s[10:11]
	v_and_b32_e32 v5, 7, v5
	v_cmp_ne_u32_e32 vcc, 0, v5
	s_and_saveexec_b64 s[10:11], vcc
	s_cbranch_execz .LBB53_41
; %bb.39:
	v_lshlrev_b32_e32 v6, 9, v8
	s_movk_i32 s19, 0x410
	v_add3_u32 v6, v6, v58, s19
	s_mov_b64 s[38:39], 0
.LBB53_40:                              ; =>This Inner Loop Header: Depth=1
	ds_read2st64_b32 v[8:9], v6 offset1:2
	v_add_u32_e32 v5, -1, v5
	v_cmp_eq_u32_e32 vcc, 0, v5
	s_or_b64 s[38:39], vcc, s[38:39]
	s_waitcnt lgkmcnt(0)
	v_pk_mul_f32 v[8:9], v[0:1], v[8:9]
	ds_write2st64_b32 v6, v8, v9 offset1:2
	v_add_u32_e32 v6, 0x400, v6
	s_andn2_b64 exec, exec, s[38:39]
	s_cbranch_execnz .LBB53_40
.LBB53_41:
	s_or_b64 exec, exec, s[10:11]
	v_add_u32_e32 v4, 1, v4
	v_and_b32_e32 v5, 0x3fffffe, v4
	v_cmp_ne_u32_e32 vcc, v4, v5
	v_lshl_add_u32 v1, v5, 7, v75
	s_orn2_b64 s[10:11], vcc, exec
.LBB53_42:
	s_or_b64 exec, exec, s[6:7]
	s_and_b64 exec, exec, s[10:11]
	s_cbranch_execz .LBB53_45
; %bb.43:
	v_mov_b32_e32 v4, 0x410
	v_lshl_add_u32 v4, v1, 2, v4
	s_mov_b64 s[6:7], 0
.LBB53_44:                              ; =>This Inner Loop Header: Depth=1
	ds_read_b32 v5, v4
	v_add_u32_e32 v1, 0x80, v1
	v_cmp_le_i32_e32 vcc, s3, v1
	s_or_b64 s[6:7], vcc, s[6:7]
	s_waitcnt lgkmcnt(0)
	v_mul_f32_e32 v5, v0, v5
	ds_write_b32 v4, v5
	v_add_u32_e32 v4, 0x200, v4
	s_andn2_b64 exec, exec, s[6:7]
	s_cbranch_execnz .LBB53_44
.LBB53_45:
	s_or_b64 exec, exec, s[0:1]
	s_mul_i32 s0, s16, s28
	v_cmp_eq_u32_e32 vcc, 0, v75
	s_mul_i32 s6, s0, s5
	s_waitcnt lgkmcnt(0)
	s_barrier
	s_and_saveexec_b64 s[0:1], vcc
	s_cbranch_execz .LBB53_47
; %bb.46:
	s_ashr_i32 s7, s6, 31
	s_lshl_b64 s[10:11], s[6:7], 2
	s_add_u32 s5, s22, s10
	s_mul_i32 s2, s16, s2
	s_addc_u32 s7, s23, s11
	s_ashr_i32 s3, s2, 31
	s_lshl_b64 s[2:3], s[2:3], 2
	s_add_u32 s19, s5, s2
	s_addc_u32 s7, s7, s3
	s_ashr_i32 s5, s4, 31
	s_lshl_b64 s[22:23], s[4:5], 2
	s_add_u32 s38, s19, s22
	s_addc_u32 s39, s7, s23
	s_add_u32 s5, s20, s10
	s_addc_u32 s7, s21, s11
	;; [unrolled: 2-line block ×3, first 2 shown]
	s_add_u32 s2, s2, s22
	v_mov_b32_e32 v0, 0
	s_addc_u32 s3, s3, s23
	global_store_dword v0, v2, s[38:39]
	global_store_dword v0, v3, s[2:3]
.LBB53_47:
	s_or_b64 exec, exec, s[0:1]
	v_mov_b32_e32 v4, 0
	v_and_b32_e32 v47, 7, v75
	v_mov_b32_e32 v5, 0
	v_mov_b32_e32 v6, 0
	;; [unrolled: 1-line block ×31, first 2 shown]
	s_and_saveexec_b64 s[2:3], s[8:9]
	s_cbranch_execz .LBB53_117
; %bb.48:
	s_ashr_i32 s19, s18, 31
	s_sub_i32 s5, s15, s13
	s_lshl_b64 s[0:1], s[18:19], 2
	s_add_u32 s8, s36, s0
	s_addc_u32 s9, s37, s1
	s_abs_i32 s18, s14
	v_cvt_f32_u32_e32 v3, s18
	s_sub_i32 s0, 0, s18
	v_and_b32_e32 v0, 28, v58
	scratch_store_dword off, v45, off offset:448 ; 4-byte Folded Spill
	scratch_store_dword off, v37, off offset:444 ; 4-byte Folded Spill
	;; [unrolled: 1-line block ×5, first 2 shown]
	v_rcp_iflag_f32_e32 v3, v3
	scratch_store_dword off, v0, off offset:428 ; 4-byte Folded Spill
	v_and_b32_e32 v0, 0xfc, v58
	v_mov_b32_e32 v1, 0
	v_mul_f32_e32 v3, 0x4f7ffffe, v3
	v_cvt_u32_f32_e32 v3, v3
	v_or_b32_e32 v2, 0x400, v0
	v_or_b32_e32 v4, 0x500, v0
	;; [unrolled: 1-line block ×3, first 2 shown]
	v_mul_lo_u32 v5, s0, v3
	v_mul_hi_u32 v5, v3, v5
	v_add_u32_e32 v3, v3, v5
	v_or_b32_e32 v8, 0x700, v0
	v_or_b32_e32 v10, 0x800, v0
	;; [unrolled: 1-line block ×23, first 2 shown]
	scratch_store_dword off, v3, off offset:184 ; 4-byte Folded Spill
	v_lshlrev_b32_e32 v3, 4, v47
	v_lshlrev_b32_e32 v0, 2, v0
	v_lshl_or_b32 v3, v59, 7, v3
	scratch_store_dwordx2 off, v[0:1], off offset:188 ; 8-byte Folded Spill
	v_lshlrev_b32_e32 v0, 2, v2
	v_lshlrev_b32_e32 v2, 2, v4
	scratch_store_dwordx2 off, v[2:3], off offset:196 ; 8-byte Folded Spill
	v_lshlrev_b32_e32 v2, 2, v6
	scratch_store_dwordx2 off, v[2:3], off offset:204 ; 8-byte Folded Spill
	;; [unrolled: 2-line block ×8, first 2 shown]
	v_lshlrev_b32_e32 v2, 2, v22
	v_or_b32_e32 v26, 0xf00, v58
	scratch_store_dwordx2 off, v[2:3], off offset:260 ; 8-byte Folded Spill
	v_lshlrev_b32_e32 v2, 2, v24
	scratch_store_dwordx2 off, v[2:3], off offset:268 ; 8-byte Folded Spill
	v_lshlrev_b32_e32 v2, 2, v26
	;; [unrolled: 2-line block ×16, first 2 shown]
	v_or_b32_e32 v58, 0x1f00, v58
	scratch_store_dwordx2 off, v[2:3], off offset:388 ; 8-byte Folded Spill
	v_lshlrev_b32_e32 v2, 2, v56
	scratch_store_dwordx2 off, v[2:3], off offset:396 ; 8-byte Folded Spill
	v_lshlrev_b32_e32 v2, 2, v58
	v_add_u32_e32 v14, 0x410, v3
	scratch_store_dwordx2 off, v[2:3], off offset:404 ; 8-byte Folded Spill
	v_mov_b32_e32 v3, v1
	v_mov_b32_e32 v2, v1
	scratch_store_dword off, v47, off offset:452 ; 4-byte Folded Spill
	scratch_store_dwordx2 off, v[2:3], off offset:72 ; 8-byte Folded Spill
	scratch_store_dwordx2 off, v[2:3], off offset:80 ; 8-byte Folded Spill
	;; [unrolled: 1-line block ×14, first 2 shown]
	scratch_load_dwordx2 v[2:3], off, off   ; 8-byte Folded Reload
	s_mov_b32 s7, s17
	s_add_i32 s17, s12, -1
	s_lshl_b64 s[0:1], s[34:35], 2
	s_add_u32 s0, s30, s0
	s_addc_u32 s1, s31, s1
	s_mov_b64 s[10:11], 0
	v_mov_b32_e32 v17, v1
	v_mov_b32_e32 v16, v1
	;; [unrolled: 1-line block ×4, first 2 shown]
	s_waitcnt vmcnt(0)
	v_lshl_add_u64 v[126:127], v[2:3], 2, s[0:1]
	s_branch .LBB53_51
.LBB53_49:                              ;   in Loop: Header=BB53_51 Depth=1
	s_or_b64 exec, exec, s[0:1]
	s_waitcnt lgkmcnt(0)
	v_mul_f32_e32 v17, v3, v87
	v_fmac_f32_e32 v17, v2, v86
	scratch_load_dwordx2 v[20:21], off, off offset:72 ; 8-byte Folded Reload
	scratch_load_dwordx2 v[86:87], off, off offset:80 ; 8-byte Folded Reload
	v_mul_f32_e32 v7, v3, v7
	v_fmac_f32_e32 v7, v2, v6
	v_mul_f32_e32 v6, v3, v123
	v_fmac_f32_e32 v6, v2, v122
	v_fmac_f32_e32 v7, v4, v8
	;; [unrolled: 1-line block ×5, first 2 shown]
	v_mul_f32_e32 v8, v3, v119
	v_mul_f32_e32 v9, v3, v115
	v_fmac_f32_e32 v8, v2, v118
	v_fmac_f32_e32 v9, v2, v114
	;; [unrolled: 1-line block ×6, first 2 shown]
	v_mul_f32_e32 v11, v3, v11
	v_fmac_f32_e32 v11, v2, v10
	v_fmac_f32_e32 v11, v4, v12
	v_mul_f32_e32 v10, v3, v111
	v_mul_f32_e32 v12, v3, v103
	v_fmac_f32_e32 v10, v2, v110
	v_fmac_f32_e32 v12, v2, v102
	;; [unrolled: 1-line block ×7, first 2 shown]
	v_mul_f32_e32 v13, v3, v99
	v_mul_f32_e32 v15, v3, v95
	v_fmac_f32_e32 v13, v2, v98
	v_fmac_f32_e32 v15, v2, v94
	;; [unrolled: 1-line block ×6, first 2 shown]
	v_mul_f32_e32 v16, v3, v91
	v_fmac_f32_e32 v16, v2, v90
	v_fmac_f32_e32 v16, v4, v92
	;; [unrolled: 1-line block ×5, first 2 shown]
	s_waitcnt vmcnt(1)
	v_add_f32_e32 v20, v20, v11
	s_waitcnt vmcnt(0)
	v_add_f32_e32 v87, v87, v7
	v_add_f32_e32 v86, v86, v6
	scratch_load_dwordx2 v[6:7], off, off offset:88 ; 8-byte Folded Reload
	s_waitcnt vmcnt(0)
	v_add_f32_e32 v7, v7, v8
	v_add_f32_e32 v6, v6, v9
	scratch_store_dwordx2 off, v[6:7], off offset:88 ; 8-byte Folded Spill
	scratch_load_dwordx2 v[6:7], off, off offset:96 ; 8-byte Folded Reload
	s_nop 0
	scratch_load_dwordx2 v[8:9], off, off offset:120 ; 8-byte Folded Reload
	s_waitcnt vmcnt(1)
	v_add_f32_e32 v7, v7, v10
	v_add_f32_e32 v6, v6, v12
	scratch_store_dwordx2 off, v[6:7], off offset:96 ; 8-byte Folded Spill
	scratch_load_dwordx2 v[6:7], off, off offset:104 ; 8-byte Folded Reload
	s_waitcnt vmcnt(0)
	v_add_f32_e32 v7, v7, v13
	v_add_f32_e32 v6, v6, v15
	scratch_store_dwordx2 off, v[6:7], off offset:104 ; 8-byte Folded Spill
	;; [unrolled: 5-line block ×3, first 2 shown]
	v_mul_f32_e32 v6, v3, v83
	v_fmac_f32_e32 v6, v2, v82
	v_fmac_f32_e32 v6, v4, v84
	;; [unrolled: 1-line block ×3, first 2 shown]
	v_add_f32_e32 v9, v9, v6
	v_mul_f32_e32 v6, v3, v79
	v_fmac_f32_e32 v6, v2, v78
	v_fmac_f32_e32 v6, v4, v80
	;; [unrolled: 1-line block ×3, first 2 shown]
	v_add_f32_e32 v8, v8, v6
	scratch_store_dwordx2 off, v[8:9], off offset:120 ; 8-byte Folded Spill
	scratch_load_dwordx2 v[8:9], off, off offset:128 ; 8-byte Folded Reload
	v_mul_f32_e32 v6, v3, v75
	scratch_load_dwordx2 v[16:17], off, off offset:412 ; 8-byte Folded Reload
	v_fmac_f32_e32 v6, v2, v74
	v_fmac_f32_e32 v6, v4, v76
	;; [unrolled: 1-line block ×3, first 2 shown]
	scratch_load_dwordx4 v[10:13], off, off offset:56 ; 16-byte Folded Reload
	s_waitcnt vmcnt(2)
	v_add_f32_e32 v9, v9, v6
	v_mul_f32_e32 v6, v3, v71
	v_fmac_f32_e32 v6, v2, v70
	v_fmac_f32_e32 v6, v4, v72
	;; [unrolled: 1-line block ×3, first 2 shown]
	v_add_f32_e32 v8, v8, v6
	scratch_store_dwordx2 off, v[8:9], off offset:128 ; 8-byte Folded Spill
	scratch_load_dwordx2 v[8:9], off, off offset:136 ; 8-byte Folded Reload
	v_mul_f32_e32 v6, v3, v67
	v_fmac_f32_e32 v6, v2, v66
	v_fmac_f32_e32 v6, v4, v68
	;; [unrolled: 1-line block ×3, first 2 shown]
	scratch_store_dwordx2 off, v[86:87], off offset:80 ; 8-byte Folded Spill
	s_waitcnt vmcnt(1)
	v_add_f32_e32 v9, v9, v6
	v_mul_f32_e32 v6, v3, v63
	v_fmac_f32_e32 v6, v2, v62
	v_fmac_f32_e32 v6, v4, v64
	;; [unrolled: 1-line block ×3, first 2 shown]
	v_add_f32_e32 v8, v8, v6
	scratch_store_dwordx2 off, v[8:9], off offset:136 ; 8-byte Folded Spill
	scratch_load_dwordx2 v[8:9], off, off offset:144 ; 8-byte Folded Reload
	v_mul_f32_e32 v6, v3, v59
	v_fmac_f32_e32 v6, v2, v58
	v_fmac_f32_e32 v6, v4, v60
	;; [unrolled: 1-line block ×3, first 2 shown]
	s_waitcnt vmcnt(0)
	v_add_f32_e32 v9, v9, v6
	v_mul_f32_e32 v6, v3, v55
	v_fmac_f32_e32 v6, v2, v54
	v_fmac_f32_e32 v6, v4, v56
	;; [unrolled: 1-line block ×3, first 2 shown]
	v_add_f32_e32 v8, v8, v6
	scratch_store_dwordx2 off, v[8:9], off offset:144 ; 8-byte Folded Spill
	scratch_load_dwordx2 v[8:9], off, off offset:152 ; 8-byte Folded Reload
	v_mul_f32_e32 v6, v3, v51
	v_fmac_f32_e32 v6, v2, v50
	v_fmac_f32_e32 v6, v4, v52
	;; [unrolled: 1-line block ×3, first 2 shown]
	v_add_f32_e32 v17, v17, v6
	v_mul_f32_e32 v6, v3, v47
	v_fmac_f32_e32 v6, v2, v46
	v_fmac_f32_e32 v6, v4, v48
	v_fmac_f32_e32 v6, v5, v49
	v_add_f32_e32 v16, v16, v6
	v_mul_f32_e32 v6, v3, v43
	v_fmac_f32_e32 v6, v2, v42
	v_fmac_f32_e32 v6, v4, v44
	;; [unrolled: 1-line block ×3, first 2 shown]
	s_waitcnt vmcnt(0)
	v_add_f32_e32 v9, v9, v6
	v_mul_f32_e32 v6, v3, v39
	v_fmac_f32_e32 v6, v2, v38
	v_fmac_f32_e32 v6, v4, v40
	v_fmac_f32_e32 v6, v5, v41
	v_add_f32_e32 v8, v8, v6
	scratch_store_dwordx2 off, v[8:9], off offset:152 ; 8-byte Folded Spill
	scratch_load_dwordx2 v[8:9], off, off offset:160 ; 8-byte Folded Reload
	v_mul_f32_e32 v6, v3, v35
	v_fmac_f32_e32 v6, v2, v34
	v_fmac_f32_e32 v6, v4, v36
	;; [unrolled: 1-line block ×3, first 2 shown]
	s_waitcnt vmcnt(0)
	v_add_f32_e32 v9, v9, v6
	v_mul_f32_e32 v6, v3, v31
	v_fmac_f32_e32 v6, v2, v30
	v_fmac_f32_e32 v6, v4, v32
	;; [unrolled: 1-line block ×3, first 2 shown]
	v_add_f32_e32 v8, v8, v6
	scratch_store_dwordx2 off, v[8:9], off offset:160 ; 8-byte Folded Spill
	scratch_load_dwordx2 v[8:9], off, off offset:420 ; 8-byte Folded Reload
	v_mul_f32_e32 v6, v3, v27
	v_fmac_f32_e32 v6, v2, v26
	v_fmac_f32_e32 v6, v4, v28
	;; [unrolled: 1-line block ×3, first 2 shown]
	s_waitcnt vmcnt(0)
	v_add_f32_e32 v9, v9, v6
	v_mul_f32_e32 v6, v3, v23
	v_fmac_f32_e32 v6, v2, v22
	v_fmac_f32_e32 v6, v4, v24
	;; [unrolled: 1-line block ×3, first 2 shown]
	scratch_load_dwordx4 v[22:25], off, off offset:40 ; 16-byte Folded Reload
	v_add_f32_e32 v8, v8, v6
	v_mul_f32_e32 v6, v3, v11
	v_fmac_f32_e32 v6, v2, v10
	scratch_load_dwordx2 v[10:11], off, off offset:168 ; 8-byte Folded Reload
	v_fmac_f32_e32 v6, v4, v12
	v_fmac_f32_e32 v6, v5, v13
	s_waitcnt vmcnt(0)
	v_add_f32_e32 v11, v11, v6
	v_mul_f32_e32 v6, v3, v23
	v_fmac_f32_e32 v6, v2, v22
	v_fmac_f32_e32 v6, v4, v24
	;; [unrolled: 1-line block ×3, first 2 shown]
	v_add_f32_e32 v10, v10, v6
	scratch_store_dwordx2 off, v[10:11], off offset:168 ; 8-byte Folded Spill
	scratch_load_dwordx4 v[10:13], off, off offset:24 ; 16-byte Folded Reload
	s_nop 0
	scratch_load_dwordx4 v[22:25], off, off offset:8 ; 16-byte Folded Reload
	s_waitcnt vmcnt(1)
	v_mul_f32_e32 v6, v3, v11
	v_fmac_f32_e32 v6, v2, v10
	scratch_load_dwordx2 v[10:11], off, off offset:176 ; 8-byte Folded Reload
	v_fmac_f32_e32 v6, v4, v12
	v_fmac_f32_e32 v6, v5, v13
	s_waitcnt vmcnt(0)
	v_add_f32_e32 v11, v11, v6
	v_mul_f32_e32 v6, v3, v23
	v_mul_f32_e32 v3, v3, v107
	v_fmac_f32_e32 v6, v2, v22
	v_fmac_f32_e32 v3, v2, v106
	;; [unrolled: 1-line block ×6, first 2 shown]
	v_add_f32_e32 v10, v10, v6
	v_add_f32_e32 v21, v21, v3
	scratch_store_dwordx2 off, v[10:11], off offset:176 ; 8-byte Folded Spill
	scratch_store_dwordx2 off, v[20:21], off offset:72 ; 8-byte Folded Spill
.LBB53_50:                              ;   in Loop: Header=BB53_51 Depth=1
	s_or_b64 exec, exec, s[12:13]
	scratch_load_dwordx2 v[2:3], off, off   ; 8-byte Folded Reload
	v_mov_b32_e32 v80, v19
	v_lshl_add_u64 v[126:127], v[126:127], 0, 8
	v_add_u32_e32 v80, 64, v80
	v_add_u32_e32 v14, 0x100, v14
	s_waitcnt vmcnt(0)
	v_mov_b32_e32 v4, v2
	v_add_u32_e32 v4, 2, v4
	v_cmp_le_i32_e32 vcc, s48, v4
	v_mov_b32_e32 v2, v4
	s_or_b64 s[10:11], vcc, s[10:11]
	scratch_store_dwordx2 off, v[2:3], off  ; 8-byte Folded Spill
	s_andn2_b64 exec, exec, s[10:11]
	s_cbranch_execz .LBB53_116
.LBB53_51:                              ; =>This Inner Loop Header: Depth=1
	v_sub_u32_e32 v3, 0, v80
	v_max_i32_e32 v3, v80, v3
	v_mul_hi_u32 v4, v3, s33
	v_mul_lo_u32 v5, v4, s25
	v_sub_u32_e32 v3, v3, v5
	v_add_u32_e32 v5, 1, v4
	v_cmp_le_u32_e32 vcc, s25, v3
	v_ashrrev_i32_e32 v2, 31, v80
	v_xor_b32_e32 v2, s47, v2
	v_cndmask_b32_e32 v4, v4, v5, vcc
	v_subrev_u32_e32 v5, s25, v3
	v_cndmask_b32_e32 v3, v3, v5, vcc
	v_add_u32_e32 v5, 1, v4
	v_cmp_le_u32_e32 vcc, s25, v3
	v_mov_b32_e32 v19, v80
	s_nop 0
	v_cndmask_b32_e32 v3, v4, v5, vcc
	v_xor_b32_e32 v3, v3, v2
	v_sub_u32_e32 v2, v3, v2
	v_add_u32_e32 v3, s46, v2
	v_sub_u32_e32 v5, 0, v3
	v_ashrrev_i32_e32 v4, 31, v3
	v_max_i32_e32 v3, v3, v5
	scratch_load_dword v5, off, off offset:184 ; 4-byte Folded Reload
	v_cmp_lt_i32_e64 s[0:1], s5, v2
	s_waitcnt vmcnt(0)
	v_mul_hi_u32 v5, v3, v5
	v_mul_lo_u32 v5, v5, s18
	v_sub_u32_e32 v3, v3, v5
	v_subrev_u32_e32 v5, s18, v3
	v_cmp_le_u32_e32 vcc, s18, v3
	s_nop 1
	v_cndmask_b32_e32 v3, v3, v5, vcc
	v_subrev_u32_e32 v5, s18, v3
	v_cmp_le_u32_e32 vcc, s18, v3
	s_nop 1
	v_cndmask_b32_e32 v3, v3, v5, vcc
	v_xor_b32_e32 v3, v3, v4
	v_sub_u32_e32 v3, v3, v4
	v_cmp_eq_u32_e32 vcc, 0, v3
	s_or_b64 s[0:1], vcc, s[0:1]
	s_and_saveexec_b64 s[12:13], s[0:1]
	s_cbranch_execz .LBB53_50
; %bb.52:                               ;   in Loop: Header=BB53_51 Depth=1
	scratch_store_dwordx2 off, v[8:9], off offset:420 ; 8-byte Folded Spill
	scratch_store_dwordx2 off, v[16:17], off offset:412 ; 8-byte Folded Spill
	global_load_dword v2, v[126:127], off
	s_waitcnt vmcnt(0)
	v_mad_i64_i32 v[2:3], s[0:1], v2, s7, 0
	v_lshl_add_u64 v[106:107], v[2:3], 2, s[8:9]
	scratch_load_dwordx2 v[2:3], off, off offset:188 ; 8-byte Folded Reload
	scratch_load_dwordx2 v[8:9], off, off   ; 8-byte Folded Reload
	s_waitcnt vmcnt(1)
	v_mov_b32_e32 v3, v1
	v_mov_b32_e32 v4, v2
	v_lshl_add_u64 v[6:7], v[106:107], 0, v[2:3]
	scratch_store_dwordx2 off, v[4:5], off offset:188 ; 8-byte Folded Spill
	global_load_dwordx4 v[2:5], v[6:7], off
	s_waitcnt vmcnt(2)
	v_cmp_eq_u32_e32 vcc, s17, v8
	s_waitcnt vmcnt(0)
	scratch_store_dwordx4 off, v[2:5], off offset:8 ; 16-byte Folded Spill
	scratch_load_dword v2, off, off offset:428 ; 4-byte Folded Reload
	s_waitcnt vmcnt(0)
	v_add_u32_e32 v15, v2, v19
	ds_read_b128 v[2:5], v14
	v_add_u32_e32 v18, 1, v15
	v_add_u32_e32 v17, 2, v15
	;; [unrolled: 1-line block ×3, first 2 shown]
	s_and_saveexec_b64 s[14:15], vcc
	s_cbranch_execz .LBB53_54
; %bb.53:                               ;   in Loop: Header=BB53_51 Depth=1
	scratch_load_dwordx4 v[8:11], off, off offset:8 ; 16-byte Folded Reload
	v_cmp_gt_i32_e64 s[0:1], s29, v15
	s_waitcnt vmcnt(0)
	s_nop 0
	v_cndmask_b32_e64 v8, 0, v8, s[0:1]
	v_cmp_gt_i32_e64 s[0:1], s29, v18
	s_nop 1
	v_cndmask_b32_e64 v9, 0, v9, s[0:1]
	v_cmp_gt_i32_e64 s[0:1], s29, v17
	s_nop 1
	v_cndmask_b32_e64 v10, 0, v10, s[0:1]
	v_cmp_gt_i32_e64 s[0:1], s29, v16
	s_nop 1
	v_cndmask_b32_e64 v11, 0, v11, s[0:1]
	scratch_store_dwordx4 off, v[8:11], off offset:8 ; 16-byte Folded Spill
.LBB53_54:                              ;   in Loop: Header=BB53_51 Depth=1
	s_or_b64 exec, exec, s[14:15]
	global_load_dwordx4 v[8:11], v[6:7], off offset:1024
	s_waitcnt vmcnt(0)
	scratch_store_dwordx4 off, v[8:11], off offset:24 ; 16-byte Folded Spill
	s_and_saveexec_b64 s[14:15], vcc
	s_cbranch_execz .LBB53_56
; %bb.55:                               ;   in Loop: Header=BB53_51 Depth=1
	scratch_load_dwordx4 v[8:11], off, off offset:24 ; 16-byte Folded Reload
	v_cmp_gt_i32_e64 s[0:1], s29, v15
	s_waitcnt vmcnt(0)
	s_nop 0
	v_cndmask_b32_e64 v8, 0, v8, s[0:1]
	v_cmp_gt_i32_e64 s[0:1], s29, v18
	s_nop 1
	v_cndmask_b32_e64 v9, 0, v9, s[0:1]
	v_cmp_gt_i32_e64 s[0:1], s29, v17
	s_nop 1
	v_cndmask_b32_e64 v10, 0, v10, s[0:1]
	v_cmp_gt_i32_e64 s[0:1], s29, v16
	s_nop 1
	v_cndmask_b32_e64 v11, 0, v11, s[0:1]
	scratch_store_dwordx4 off, v[8:11], off offset:24 ; 16-byte Folded Spill
.LBB53_56:                              ;   in Loop: Header=BB53_51 Depth=1
	s_or_b64 exec, exec, s[14:15]
	global_load_dwordx4 v[8:11], v[6:7], off offset:2048
	s_waitcnt vmcnt(0)
	scratch_store_dwordx4 off, v[8:11], off offset:40 ; 16-byte Folded Spill
	;; [unrolled: 23-line block ×3, first 2 shown]
	s_and_saveexec_b64 s[14:15], vcc
	s_cbranch_execz .LBB53_60
; %bb.59:                               ;   in Loop: Header=BB53_51 Depth=1
	scratch_load_dwordx4 v[6:9], off, off offset:56 ; 16-byte Folded Reload
	v_cmp_gt_i32_e64 s[0:1], s29, v15
	s_waitcnt vmcnt(0)
	s_nop 0
	v_cndmask_b32_e64 v6, 0, v6, s[0:1]
	v_cmp_gt_i32_e64 s[0:1], s29, v18
	s_nop 1
	v_cndmask_b32_e64 v7, 0, v7, s[0:1]
	v_cmp_gt_i32_e64 s[0:1], s29, v17
	;; [unrolled: 3-line block ×3, first 2 shown]
	s_nop 1
	v_cndmask_b32_e64 v9, 0, v9, s[0:1]
	scratch_store_dwordx4 off, v[6:9], off offset:56 ; 16-byte Folded Spill
.LBB53_60:                              ;   in Loop: Header=BB53_51 Depth=1
	s_or_b64 exec, exec, s[14:15]
	s_nop 0
	v_lshl_add_u64 v[6:7], v[106:107], 0, v[0:1]
	global_load_dwordx4 v[22:25], v[6:7], off
	s_and_saveexec_b64 s[14:15], vcc
	s_cbranch_execz .LBB53_62
; %bb.61:                               ;   in Loop: Header=BB53_51 Depth=1
	v_cmp_gt_i32_e64 s[0:1], s29, v15
	s_waitcnt vmcnt(0)
	s_nop 0
	v_cndmask_b32_e64 v22, 0, v22, s[0:1]
	v_cmp_gt_i32_e64 s[0:1], s29, v18
	s_nop 1
	v_cndmask_b32_e64 v23, 0, v23, s[0:1]
	v_cmp_gt_i32_e64 s[0:1], s29, v17
	s_nop 1
	v_cndmask_b32_e64 v24, 0, v24, s[0:1]
	v_cmp_gt_i32_e64 s[0:1], s29, v16
	s_nop 1
	v_cndmask_b32_e64 v25, 0, v25, s[0:1]
.LBB53_62:                              ;   in Loop: Header=BB53_51 Depth=1
	s_or_b64 exec, exec, s[14:15]
	scratch_load_dwordx2 v[6:7], off, off offset:196 ; 8-byte Folded Reload
	s_waitcnt vmcnt(0)
	v_mov_b32_e32 v7, v1
	v_mov_b32_e32 v8, v6
	v_lshl_add_u64 v[6:7], v[106:107], 0, v[6:7]
	global_load_dwordx4 v[26:29], v[6:7], off
	s_nop 0
	scratch_store_dwordx2 off, v[8:9], off offset:196 ; 8-byte Folded Spill
	s_and_saveexec_b64 s[14:15], vcc
	s_cbranch_execz .LBB53_64
; %bb.63:                               ;   in Loop: Header=BB53_51 Depth=1
	v_cmp_gt_i32_e64 s[0:1], s29, v15
	s_waitcnt vmcnt(1)
	s_nop 0
	v_cndmask_b32_e64 v26, 0, v26, s[0:1]
	v_cmp_gt_i32_e64 s[0:1], s29, v18
	s_nop 1
	v_cndmask_b32_e64 v27, 0, v27, s[0:1]
	v_cmp_gt_i32_e64 s[0:1], s29, v17
	s_nop 1
	v_cndmask_b32_e64 v28, 0, v28, s[0:1]
	v_cmp_gt_i32_e64 s[0:1], s29, v16
	s_nop 1
	v_cndmask_b32_e64 v29, 0, v29, s[0:1]
.LBB53_64:                              ;   in Loop: Header=BB53_51 Depth=1
	s_or_b64 exec, exec, s[14:15]
	scratch_load_dwordx2 v[6:7], off, off offset:204 ; 8-byte Folded Reload
	s_waitcnt vmcnt(0)
	v_mov_b32_e32 v7, v1
	v_mov_b32_e32 v8, v6
	v_lshl_add_u64 v[6:7], v[106:107], 0, v[6:7]
	global_load_dwordx4 v[30:33], v[6:7], off
	s_nop 0
	scratch_store_dwordx2 off, v[8:9], off offset:204 ; 8-byte Folded Spill
	;; [unrolled: 26-line block ×19, first 2 shown]
	s_and_saveexec_b64 s[14:15], vcc
	s_cbranch_execz .LBB53_100
; %bb.99:                               ;   in Loop: Header=BB53_51 Depth=1
	v_cmp_gt_i32_e64 s[0:1], s29, v15
	s_waitcnt vmcnt(1)
	s_nop 0
	v_cndmask_b32_e64 v98, 0, v98, s[0:1]
	v_cmp_gt_i32_e64 s[0:1], s29, v18
	s_nop 1
	v_cndmask_b32_e64 v99, 0, v99, s[0:1]
	v_cmp_gt_i32_e64 s[0:1], s29, v17
	;; [unrolled: 3-line block ×3, first 2 shown]
	s_nop 1
	v_cndmask_b32_e64 v101, 0, v101, s[0:1]
.LBB53_100:                             ;   in Loop: Header=BB53_51 Depth=1
	s_or_b64 exec, exec, s[14:15]
	scratch_load_dwordx2 v[6:7], off, off offset:348 ; 8-byte Folded Reload
	s_waitcnt vmcnt(0)
	v_mov_b32_e32 v7, v1
	v_mov_b32_e32 v8, v6
	v_lshl_add_u64 v[6:7], v[106:107], 0, v[6:7]
	global_load_dwordx4 v[102:105], v[6:7], off
	s_nop 0
	scratch_store_dwordx2 off, v[8:9], off offset:348 ; 8-byte Folded Spill
	s_and_saveexec_b64 s[14:15], vcc
	s_cbranch_execz .LBB53_102
; %bb.101:                              ;   in Loop: Header=BB53_51 Depth=1
	v_cmp_gt_i32_e64 s[0:1], s29, v15
	s_waitcnt vmcnt(1)
	s_nop 0
	v_cndmask_b32_e64 v102, 0, v102, s[0:1]
	v_cmp_gt_i32_e64 s[0:1], s29, v18
	s_nop 1
	v_cndmask_b32_e64 v103, 0, v103, s[0:1]
	v_cmp_gt_i32_e64 s[0:1], s29, v17
	s_nop 1
	v_cndmask_b32_e64 v104, 0, v104, s[0:1]
	v_cmp_gt_i32_e64 s[0:1], s29, v16
	s_nop 1
	v_cndmask_b32_e64 v105, 0, v105, s[0:1]
.LBB53_102:                             ;   in Loop: Header=BB53_51 Depth=1
	s_or_b64 exec, exec, s[14:15]
	scratch_load_dwordx2 v[6:7], off, off offset:356 ; 8-byte Folded Reload
	s_waitcnt vmcnt(0)
	v_mov_b32_e32 v7, v1
	v_mov_b32_e32 v8, v6
	v_lshl_add_u64 v[6:7], v[106:107], 0, v[6:7]
	global_load_dwordx4 v[110:113], v[6:7], off
	s_nop 0
	scratch_store_dwordx2 off, v[8:9], off offset:356 ; 8-byte Folded Spill
	s_and_saveexec_b64 s[14:15], vcc
	s_cbranch_execz .LBB53_104
; %bb.103:                              ;   in Loop: Header=BB53_51 Depth=1
	v_cmp_gt_i32_e64 s[0:1], s29, v15
	s_waitcnt vmcnt(1)
	s_nop 0
	v_cndmask_b32_e64 v110, 0, v110, s[0:1]
	v_cmp_gt_i32_e64 s[0:1], s29, v18
	s_nop 1
	v_cndmask_b32_e64 v111, 0, v111, s[0:1]
	v_cmp_gt_i32_e64 s[0:1], s29, v17
	s_nop 1
	v_cndmask_b32_e64 v112, 0, v112, s[0:1]
	v_cmp_gt_i32_e64 s[0:1], s29, v16
	s_nop 1
	v_cndmask_b32_e64 v113, 0, v113, s[0:1]
.LBB53_104:                             ;   in Loop: Header=BB53_51 Depth=1
	;; [unrolled: 26-line block ×5, first 2 shown]
	s_or_b64 exec, exec, s[14:15]
	scratch_load_dwordx2 v[6:7], off, off offset:388 ; 8-byte Folded Reload
	s_waitcnt vmcnt(0)
	v_mov_b32_e32 v7, v1
	v_mov_b32_e32 v8, v6
	v_lshl_add_u64 v[6:7], v[106:107], 0, v[6:7]
	scratch_store_dwordx2 off, v[8:9], off offset:388 ; 8-byte Folded Spill
	global_load_dwordx4 v[6:9], v[6:7], off
	s_and_saveexec_b64 s[14:15], vcc
	s_cbranch_execz .LBB53_112
; %bb.111:                              ;   in Loop: Header=BB53_51 Depth=1
	v_cmp_gt_i32_e64 s[0:1], s29, v15
	s_waitcnt vmcnt(0)
	s_nop 0
	v_cndmask_b32_e64 v6, 0, v6, s[0:1]
	v_cmp_gt_i32_e64 s[0:1], s29, v18
	s_nop 1
	v_cndmask_b32_e64 v7, 0, v7, s[0:1]
	v_cmp_gt_i32_e64 s[0:1], s29, v17
	;; [unrolled: 3-line block ×3, first 2 shown]
	s_nop 1
	v_cndmask_b32_e64 v9, 0, v9, s[0:1]
.LBB53_112:                             ;   in Loop: Header=BB53_51 Depth=1
	s_or_b64 exec, exec, s[14:15]
	scratch_load_dwordx2 v[10:11], off, off offset:396 ; 8-byte Folded Reload
	s_waitcnt vmcnt(0)
	v_mov_b32_e32 v11, v1
	v_mov_b32_e32 v12, v10
	v_lshl_add_u64 v[10:11], v[106:107], 0, v[10:11]
	scratch_store_dwordx2 off, v[12:13], off offset:396 ; 8-byte Folded Spill
	global_load_dwordx4 v[10:13], v[10:11], off
	s_and_saveexec_b64 s[14:15], vcc
	s_cbranch_execz .LBB53_114
; %bb.113:                              ;   in Loop: Header=BB53_51 Depth=1
	v_cmp_gt_i32_e64 s[0:1], s29, v15
	s_waitcnt vmcnt(0)
	s_nop 0
	v_cndmask_b32_e64 v10, 0, v10, s[0:1]
	v_cmp_gt_i32_e64 s[0:1], s29, v18
	s_nop 1
	v_cndmask_b32_e64 v11, 0, v11, s[0:1]
	v_cmp_gt_i32_e64 s[0:1], s29, v17
	;; [unrolled: 3-line block ×3, first 2 shown]
	s_nop 1
	v_cndmask_b32_e64 v13, 0, v13, s[0:1]
.LBB53_114:                             ;   in Loop: Header=BB53_51 Depth=1
	s_or_b64 exec, exec, s[14:15]
	scratch_load_dwordx2 v[20:21], off, off offset:404 ; 8-byte Folded Reload
	s_waitcnt vmcnt(0)
	v_mov_b32_e32 v21, v1
	v_mov_b32_e32 v108, v20
	v_lshl_add_u64 v[20:21], v[106:107], 0, v[20:21]
	scratch_store_dwordx2 off, v[108:109], off offset:404 ; 8-byte Folded Spill
	global_load_dwordx4 v[106:109], v[20:21], off
	s_and_saveexec_b64 s[0:1], vcc
	s_cbranch_execz .LBB53_49
; %bb.115:                              ;   in Loop: Header=BB53_51 Depth=1
	v_cmp_gt_i32_e32 vcc, s29, v15
	s_waitcnt vmcnt(0)
	s_nop 0
	v_cndmask_b32_e32 v106, 0, v106, vcc
	v_cmp_gt_i32_e32 vcc, s29, v18
	s_nop 1
	v_cndmask_b32_e32 v107, 0, v107, vcc
	v_cmp_gt_i32_e32 vcc, s29, v17
	;; [unrolled: 3-line block ×3, first 2 shown]
	s_nop 1
	v_cndmask_b32_e32 v109, 0, v109, vcc
	s_branch .LBB53_49
.LBB53_116:
	s_or_b64 exec, exec, s[10:11]
	scratch_load_dword v75, off, off offset:432 ; 4-byte Folded Reload
	scratch_load_dword v44, off, off offset:436 ; 4-byte Folded Reload
	;; [unrolled: 1-line block ×6, first 2 shown]
	scratch_load_dwordx2 v[48:49], off, off offset:72 ; 8-byte Folded Reload
	scratch_load_dwordx2 v[38:39], off, off offset:80 ; 8-byte Folded Reload
	;; [unrolled: 1-line block ×14, first 2 shown]
.LBB53_117:
	s_or_b64 exec, exec, s[2:3]
	s_waitcnt vmcnt(1)
	ds_bpermute_b32 v2, v37, v6
	ds_bpermute_b32 v3, v37, v7
	v_mov_b64_e32 v[10:11], v[8:9]
	s_waitcnt vmcnt(0)
	ds_bpermute_b32 v0, v37, v4
	ds_bpermute_b32 v1, v37, v5
	ds_bpermute_b32 v8, v37, v10
	s_waitcnt lgkmcnt(3)
	v_pk_add_f32 v[2:3], v[6:7], v[2:3]
	ds_bpermute_b32 v6, v43, v2
	ds_bpermute_b32 v7, v43, v3
	;; [unrolled: 1-line block ×3, first 2 shown]
	s_waitcnt lgkmcnt(4)
	v_pk_add_f32 v[0:1], v[4:5], v[0:1]
	ds_bpermute_b32 v4, v43, v0
	ds_bpermute_b32 v5, v43, v1
	s_waitcnt lgkmcnt(3)
	v_pk_add_f32 v[2:3], v[2:3], v[6:7]
	s_waitcnt lgkmcnt(2)
	v_pk_add_f32 v[6:7], v[10:11], v[8:9]
	ds_bpermute_b32 v8, v43, v6
	ds_bpermute_b32 v9, v43, v7
	ds_bpermute_b32 v12, v37, v14
	ds_bpermute_b32 v13, v37, v15
	s_waitcnt lgkmcnt(4)
	v_pk_add_f32 v[0:1], v[0:1], v[4:5]
	ds_bpermute_b32 v4, v45, v0
	s_waitcnt lgkmcnt(3)
	v_pk_add_f32 v[6:7], v[6:7], v[8:9]
	ds_bpermute_b32 v5, v45, v1
	;; [unrolled: 3-line block ×3, first 2 shown]
	ds_bpermute_b32 v9, v45, v7
	ds_bpermute_b32 v14, v43, v12
	;; [unrolled: 1-line block ×3, first 2 shown]
	s_waitcnt lgkmcnt(4)
	v_pk_add_f32 v[4:5], v[0:1], v[4:5]
	ds_bpermute_b32 v10, v45, v2
	s_waitcnt lgkmcnt(3)
	v_pk_add_f32 v[0:1], v[6:7], v[8:9]
	ds_bpermute_b32 v8, v37, v18
	;; [unrolled: 3-line block ×3, first 2 shown]
	ds_bpermute_b32 v12, v37, v16
	ds_bpermute_b32 v13, v37, v17
	;; [unrolled: 1-line block ×4, first 2 shown]
	s_waitcnt lgkmcnt(4)
	v_pk_add_f32 v[8:9], v[18:19], v[8:9]
	ds_bpermute_b32 v14, v43, v8
	s_waitcnt lgkmcnt(3)
	v_pk_add_f32 v[12:13], v[16:17], v[12:13]
	ds_bpermute_b32 v15, v43, v9
	ds_bpermute_b32 v16, v43, v12
	;; [unrolled: 1-line block ×5, first 2 shown]
	s_waitcnt lgkmcnt(4)
	v_pk_add_f32 v[8:9], v[8:9], v[14:15]
	v_pk_add_f32 v[2:3], v[2:3], v[10:11]
	s_waitcnt lgkmcnt(2)
	v_pk_add_f32 v[16:17], v[12:13], v[16:17]
	ds_bpermute_b32 v10, v45, v6
	s_waitcnt lgkmcnt(1)
	v_pk_add_f32 v[12:13], v[20:21], v[18:19]
	ds_bpermute_b32 v11, v45, v7
	ds_bpermute_b32 v14, v45, v8
	;; [unrolled: 1-line block ×8, first 2 shown]
	s_waitcnt lgkmcnt(0)
	v_pk_add_f32 v[18:19], v[12:13], v[18:19]
	v_pk_add_f32 v[12:13], v[6:7], v[10:11]
	;; [unrolled: 1-line block ×5, first 2 shown]
	ds_bpermute_b32 v16, v37, v32
	ds_bpermute_b32 v17, v37, v33
	;; [unrolled: 1-line block ×8, first 2 shown]
	s_waitcnt lgkmcnt(6)
	v_pk_add_f32 v[16:17], v[32:33], v[16:17]
	s_waitcnt lgkmcnt(4)
	v_pk_add_f32 v[20:21], v[30:31], v[20:21]
	;; [unrolled: 2-line block ×3, first 2 shown]
	ds_bpermute_b32 v24, v43, v20
	s_waitcnt lgkmcnt(1)
	v_pk_add_f32 v[14:15], v[22:23], v[26:27]
	ds_bpermute_b32 v22, v43, v16
	ds_bpermute_b32 v23, v43, v17
	;; [unrolled: 1-line block ×6, first 2 shown]
	s_waitcnt lgkmcnt(4)
	v_pk_add_f32 v[16:17], v[16:17], v[22:23]
	s_waitcnt lgkmcnt(3)
	v_pk_add_f32 v[24:25], v[20:21], v[24:25]
	ds_bpermute_b32 v19, v45, v15
	s_waitcnt lgkmcnt(2)
	v_pk_add_f32 v[20:21], v[28:29], v[26:27]
	ds_bpermute_b32 v22, v45, v16
	ds_bpermute_b32 v23, v45, v17
	;; [unrolled: 1-line block ×8, first 2 shown]
	s_waitcnt lgkmcnt(4)
	v_pk_add_f32 v[26:27], v[20:21], v[26:27]
	v_pk_add_f32 v[20:21], v[14:15], v[18:19]
	;; [unrolled: 1-line block ×3, first 2 shown]
	s_waitcnt lgkmcnt(1)
	v_pk_add_f32 v[30:31], v[34:35], v[30:31]
	s_waitcnt lgkmcnt(0)
	v_pk_add_f32 v[16:17], v[24:25], v[28:29]
	ds_bpermute_b32 v28, v37, v40
	ds_bpermute_b32 v29, v37, v41
	;; [unrolled: 1-line block ×8, first 2 shown]
	s_waitcnt lgkmcnt(6)
	v_pk_add_f32 v[28:29], v[40:41], v[28:29]
	s_waitcnt lgkmcnt(4)
	v_pk_add_f32 v[14:15], v[26:27], v[32:33]
	s_waitcnt lgkmcnt(2)
	v_pk_add_f32 v[22:23], v[30:31], v[34:35]
	ds_bpermute_b32 v32, v43, v28
	ds_bpermute_b32 v33, v43, v29
	ds_bpermute_b32 v34, v37, v38
	ds_bpermute_b32 v35, v37, v39
	s_waitcnt lgkmcnt(4)
	v_pk_add_f32 v[24:25], v[50:51], v[24:25]
	ds_bpermute_b32 v30, v43, v24
	ds_bpermute_b32 v31, v43, v25
	s_waitcnt lgkmcnt(4)
	v_pk_add_f32 v[32:33], v[28:29], v[32:33]
	s_waitcnt lgkmcnt(2)
	v_pk_add_f32 v[28:29], v[38:39], v[34:35]
	ds_bpermute_b32 v38, v37, v48
	ds_bpermute_b32 v39, v37, v49
	;; [unrolled: 1-line block ×4, first 2 shown]
	s_waitcnt lgkmcnt(4)
	v_pk_add_f32 v[24:25], v[24:25], v[30:31]
	ds_bpermute_b32 v26, v45, v22
	s_waitcnt lgkmcnt(3)
	v_pk_add_f32 v[38:39], v[48:49], v[38:39]
	ds_bpermute_b32 v27, v45, v23
	ds_bpermute_b32 v30, v45, v24
	ds_bpermute_b32 v31, v45, v25
	ds_bpermute_b32 v42, v43, v38
	ds_bpermute_b32 v43, v43, v39
	ds_bpermute_b32 v36, v45, v32
	ds_bpermute_b32 v37, v45, v33
	s_waitcnt lgkmcnt(8)
	v_pk_add_f32 v[34:35], v[28:29], v[34:35]
	ds_bpermute_b32 v40, v45, v34
	ds_bpermute_b32 v41, v45, v35
	s_waitcnt lgkmcnt(8)
	v_pk_add_f32 v[28:29], v[22:23], v[26:27]
	s_waitcnt lgkmcnt(6)
	v_pk_add_f32 v[26:27], v[24:25], v[30:31]
	;; [unrolled: 2-line block ×4, first 2 shown]
	ds_bpermute_b32 v32, v45, v30
	ds_bpermute_b32 v33, v45, v31
	s_waitcnt lgkmcnt(2)
	v_pk_add_f32 v[22:23], v[34:35], v[40:41]
	v_and_b32_e32 v34, 0x3c7, v75
	v_cmp_ne_u32_e32 vcc, 64, v34
	s_barrier
	s_waitcnt lgkmcnt(0)
	s_and_saveexec_b64 s[0:1], vcc
	s_xor_b64 s[0:1], exec, s[0:1]
; %bb.118:
                                        ; implicit-def: $vgpr44
; %bb.119:
	s_or_saveexec_b64 s[0:1], s[0:1]
	v_pk_add_f32 v[30:31], v[30:31], v[32:33]
	s_xor_b64 exec, exec, s[0:1]
	s_cbranch_execz .LBB53_121
; %bb.120:
	v_lshrrev_b32_e32 v32, 1, v44
	v_add_u32_e32 v32, 0x410, v32
	ds_write2_b32 v32, v4, v5 offset1:8
	ds_write2_b32 v32, v2, v3 offset0:16 offset1:24
	ds_write2_b32 v32, v0, v1 offset0:32 offset1:40
	;; [unrolled: 1-line block ×15, first 2 shown]
.LBB53_121:
	s_or_b64 exec, exec, s[0:1]
	v_cmp_gt_u32_e32 vcc, 64, v75
	s_waitcnt lgkmcnt(0)
	s_barrier
	s_and_saveexec_b64 s[0:1], vcc
	s_cbranch_execz .LBB53_156
; %bb.122:
	v_cmp_eq_u32_e32 vcc, 0, v47
	v_lshrrev_b32_e32 v32, 3, v75
	s_and_saveexec_b64 s[2:3], vcc
	s_cbranch_execnz .LBB53_159
; %bb.123:
	s_or_b64 exec, exec, s[2:3]
	s_and_saveexec_b64 s[2:3], vcc
	s_cbranch_execnz .LBB53_160
.LBB53_124:
	s_or_b64 exec, exec, s[2:3]
	s_and_saveexec_b64 s[2:3], vcc
	s_cbranch_execnz .LBB53_161
.LBB53_125:
	s_or_b64 exec, exec, s[2:3]
	s_and_saveexec_b64 s[2:3], vcc
	s_cbranch_execnz .LBB53_162
.LBB53_126:
	s_or_b64 exec, exec, s[2:3]
	s_and_saveexec_b64 s[2:3], vcc
	s_cbranch_execnz .LBB53_163
.LBB53_127:
	s_or_b64 exec, exec, s[2:3]
	s_and_saveexec_b64 s[2:3], vcc
	s_cbranch_execnz .LBB53_164
.LBB53_128:
	s_or_b64 exec, exec, s[2:3]
	s_and_saveexec_b64 s[2:3], vcc
	s_cbranch_execnz .LBB53_165
.LBB53_129:
	s_or_b64 exec, exec, s[2:3]
	s_and_saveexec_b64 s[2:3], vcc
	s_cbranch_execnz .LBB53_166
.LBB53_130:
	s_or_b64 exec, exec, s[2:3]
	s_and_saveexec_b64 s[2:3], vcc
	s_cbranch_execnz .LBB53_167
.LBB53_131:
	s_or_b64 exec, exec, s[2:3]
	s_and_saveexec_b64 s[2:3], vcc
	s_cbranch_execnz .LBB53_168
.LBB53_132:
	s_or_b64 exec, exec, s[2:3]
	s_and_saveexec_b64 s[2:3], vcc
	s_cbranch_execnz .LBB53_169
.LBB53_133:
	s_or_b64 exec, exec, s[2:3]
	s_and_saveexec_b64 s[2:3], vcc
	s_cbranch_execnz .LBB53_170
.LBB53_134:
	s_or_b64 exec, exec, s[2:3]
	s_and_saveexec_b64 s[2:3], vcc
	s_cbranch_execnz .LBB53_171
.LBB53_135:
	s_or_b64 exec, exec, s[2:3]
	s_and_saveexec_b64 s[2:3], vcc
	s_cbranch_execnz .LBB53_172
.LBB53_136:
	s_or_b64 exec, exec, s[2:3]
	s_and_saveexec_b64 s[2:3], vcc
	s_cbranch_execnz .LBB53_173
.LBB53_137:
	s_or_b64 exec, exec, s[2:3]
	s_and_saveexec_b64 s[2:3], vcc
	s_cbranch_execnz .LBB53_174
.LBB53_138:
	s_or_b64 exec, exec, s[2:3]
	s_and_saveexec_b64 s[2:3], vcc
	s_cbranch_execnz .LBB53_175
.LBB53_139:
	s_or_b64 exec, exec, s[2:3]
	s_and_saveexec_b64 s[2:3], vcc
	s_cbranch_execnz .LBB53_176
.LBB53_140:
	s_or_b64 exec, exec, s[2:3]
	s_and_saveexec_b64 s[2:3], vcc
	s_cbranch_execnz .LBB53_177
.LBB53_141:
	s_or_b64 exec, exec, s[2:3]
	s_and_saveexec_b64 s[2:3], vcc
	s_cbranch_execnz .LBB53_178
.LBB53_142:
	s_or_b64 exec, exec, s[2:3]
	s_and_saveexec_b64 s[2:3], vcc
	s_cbranch_execnz .LBB53_179
.LBB53_143:
	s_or_b64 exec, exec, s[2:3]
	s_and_saveexec_b64 s[2:3], vcc
	s_cbranch_execnz .LBB53_180
.LBB53_144:
	s_or_b64 exec, exec, s[2:3]
	s_and_saveexec_b64 s[2:3], vcc
	s_cbranch_execnz .LBB53_181
.LBB53_145:
	s_or_b64 exec, exec, s[2:3]
	s_and_saveexec_b64 s[2:3], vcc
	s_cbranch_execnz .LBB53_182
.LBB53_146:
	s_or_b64 exec, exec, s[2:3]
	s_and_saveexec_b64 s[2:3], vcc
	s_cbranch_execnz .LBB53_183
.LBB53_147:
	s_or_b64 exec, exec, s[2:3]
	s_and_saveexec_b64 s[2:3], vcc
	s_cbranch_execnz .LBB53_184
.LBB53_148:
	s_or_b64 exec, exec, s[2:3]
	s_and_saveexec_b64 s[2:3], vcc
	s_cbranch_execnz .LBB53_185
.LBB53_149:
	s_or_b64 exec, exec, s[2:3]
	s_and_saveexec_b64 s[2:3], vcc
	s_cbranch_execnz .LBB53_186
.LBB53_150:
	s_or_b64 exec, exec, s[2:3]
	s_and_saveexec_b64 s[2:3], vcc
	s_cbranch_execnz .LBB53_187
.LBB53_151:
	s_or_b64 exec, exec, s[2:3]
	s_and_saveexec_b64 s[2:3], vcc
	s_cbranch_execnz .LBB53_188
.LBB53_152:
	s_or_b64 exec, exec, s[2:3]
	s_and_saveexec_b64 s[2:3], vcc
	s_cbranch_execnz .LBB53_189
.LBB53_153:
	s_or_b64 exec, exec, s[2:3]
	s_and_saveexec_b64 s[2:3], vcc
	s_cbranch_execz .LBB53_155
.LBB53_154:
	v_mov_b32_e32 v33, 0x410
	v_lshl_add_u32 v32, v32, 2, v33
	ds_read_b32 v32, v32 offset:992
	s_waitcnt lgkmcnt(0)
	v_add_f32_e32 v31, v31, v32
.LBB53_155:
	s_or_b64 exec, exec, s[2:3]
.LBB53_156:
	s_or_b64 exec, exec, s[0:1]
	v_cmp_eq_u32_e32 vcc, 0, v34
	s_barrier
	s_and_saveexec_b64 s[0:1], vcc
	s_cbranch_execz .LBB53_158
; %bb.157:
	s_lshl_b32 s0, s6, 8
	s_ashr_i32 s1, s0, 31
	s_lshl_b64 s[0:1], s[0:1], 2
	s_add_u32 s2, s26, s0
	s_mul_i32 s0, s16, s24
	s_addc_u32 s3, s27, s1
	s_ashr_i32 s1, s0, 31
	s_lshl_b64 s[0:1], s[0:1], 2
	s_add_u32 s2, s2, s0
	s_addc_u32 s3, s3, s1
	s_lshl_b32 s0, s4, 8
	s_ashr_i32 s1, s0, 31
	s_lshl_b64 s[0:1], s[0:1], 2
	s_add_u32 s0, s2, s0
	s_addc_u32 s1, s3, s1
	v_lshrrev_b32_e32 v32, 1, v75
	global_store_dword v32, v4, s[0:1]
	global_store_dword v32, v5, s[0:1] offset:32
	global_store_dword v32, v2, s[0:1] offset:64
	;; [unrolled: 1-line block ×31, first 2 shown]
.LBB53_158:
	s_endpgm
.LBB53_159:
	v_mov_b32_e32 v33, 0x410
	v_lshl_add_u32 v33, v32, 2, v33
	ds_read_b32 v33, v33
	s_waitcnt lgkmcnt(0)
	v_add_f32_e32 v4, v4, v33
	s_or_b64 exec, exec, s[2:3]
	s_and_saveexec_b64 s[2:3], vcc
	s_cbranch_execz .LBB53_124
.LBB53_160:
	v_mov_b32_e32 v33, 0x410
	v_lshl_add_u32 v33, v32, 2, v33
	ds_read_b32 v33, v33 offset:32
	s_waitcnt lgkmcnt(0)
	v_add_f32_e32 v5, v5, v33
	s_or_b64 exec, exec, s[2:3]
	s_and_saveexec_b64 s[2:3], vcc
	s_cbranch_execz .LBB53_125
.LBB53_161:
	v_mov_b32_e32 v33, 0x410
	v_lshl_add_u32 v33, v32, 2, v33
	ds_read_b32 v33, v33 offset:64
	s_waitcnt lgkmcnt(0)
	v_add_f32_e32 v2, v2, v33
	s_or_b64 exec, exec, s[2:3]
	s_and_saveexec_b64 s[2:3], vcc
	s_cbranch_execz .LBB53_126
.LBB53_162:
	v_mov_b32_e32 v33, 0x410
	v_lshl_add_u32 v33, v32, 2, v33
	ds_read_b32 v33, v33 offset:96
	s_waitcnt lgkmcnt(0)
	v_add_f32_e32 v3, v3, v33
	s_or_b64 exec, exec, s[2:3]
	s_and_saveexec_b64 s[2:3], vcc
	s_cbranch_execz .LBB53_127
.LBB53_163:
	v_mov_b32_e32 v33, 0x410
	v_lshl_add_u32 v33, v32, 2, v33
	ds_read_b32 v33, v33 offset:128
	s_waitcnt lgkmcnt(0)
	v_add_f32_e32 v0, v0, v33
	s_or_b64 exec, exec, s[2:3]
	s_and_saveexec_b64 s[2:3], vcc
	s_cbranch_execz .LBB53_128
.LBB53_164:
	v_mov_b32_e32 v33, 0x410
	v_lshl_add_u32 v33, v32, 2, v33
	ds_read_b32 v33, v33 offset:160
	s_waitcnt lgkmcnt(0)
	v_add_f32_e32 v1, v1, v33
	s_or_b64 exec, exec, s[2:3]
	s_and_saveexec_b64 s[2:3], vcc
	s_cbranch_execz .LBB53_129
.LBB53_165:
	v_mov_b32_e32 v33, 0x410
	v_lshl_add_u32 v33, v32, 2, v33
	ds_read_b32 v33, v33 offset:192
	s_waitcnt lgkmcnt(0)
	v_add_f32_e32 v12, v12, v33
	s_or_b64 exec, exec, s[2:3]
	s_and_saveexec_b64 s[2:3], vcc
	s_cbranch_execz .LBB53_130
.LBB53_166:
	v_mov_b32_e32 v33, 0x410
	v_lshl_add_u32 v33, v32, 2, v33
	ds_read_b32 v33, v33 offset:224
	s_waitcnt lgkmcnt(0)
	v_add_f32_e32 v13, v13, v33
	s_or_b64 exec, exec, s[2:3]
	s_and_saveexec_b64 s[2:3], vcc
	s_cbranch_execz .LBB53_131
.LBB53_167:
	v_mov_b32_e32 v33, 0x410
	v_lshl_add_u32 v33, v32, 2, v33
	ds_read_b32 v33, v33 offset:256
	s_waitcnt lgkmcnt(0)
	v_add_f32_e32 v10, v10, v33
	s_or_b64 exec, exec, s[2:3]
	s_and_saveexec_b64 s[2:3], vcc
	s_cbranch_execz .LBB53_132
.LBB53_168:
	v_mov_b32_e32 v33, 0x410
	v_lshl_add_u32 v33, v32, 2, v33
	ds_read_b32 v33, v33 offset:288
	s_waitcnt lgkmcnt(0)
	v_add_f32_e32 v11, v11, v33
	s_or_b64 exec, exec, s[2:3]
	s_and_saveexec_b64 s[2:3], vcc
	s_cbranch_execz .LBB53_133
.LBB53_169:
	v_mov_b32_e32 v33, 0x410
	v_lshl_add_u32 v33, v32, 2, v33
	ds_read_b32 v33, v33 offset:320
	s_waitcnt lgkmcnt(0)
	v_add_f32_e32 v8, v8, v33
	s_or_b64 exec, exec, s[2:3]
	s_and_saveexec_b64 s[2:3], vcc
	s_cbranch_execz .LBB53_134
.LBB53_170:
	v_mov_b32_e32 v33, 0x410
	v_lshl_add_u32 v33, v32, 2, v33
	ds_read_b32 v33, v33 offset:352
	s_waitcnt lgkmcnt(0)
	v_add_f32_e32 v9, v9, v33
	s_or_b64 exec, exec, s[2:3]
	s_and_saveexec_b64 s[2:3], vcc
	s_cbranch_execz .LBB53_135
.LBB53_171:
	v_mov_b32_e32 v33, 0x410
	v_lshl_add_u32 v33, v32, 2, v33
	ds_read_b32 v33, v33 offset:384
	s_waitcnt lgkmcnt(0)
	v_add_f32_e32 v6, v6, v33
	s_or_b64 exec, exec, s[2:3]
	s_and_saveexec_b64 s[2:3], vcc
	s_cbranch_execz .LBB53_136
.LBB53_172:
	v_mov_b32_e32 v33, 0x410
	v_lshl_add_u32 v33, v32, 2, v33
	ds_read_b32 v33, v33 offset:416
	s_waitcnt lgkmcnt(0)
	v_add_f32_e32 v7, v7, v33
	s_or_b64 exec, exec, s[2:3]
	s_and_saveexec_b64 s[2:3], vcc
	s_cbranch_execz .LBB53_137
.LBB53_173:
	v_mov_b32_e32 v33, 0x410
	v_lshl_add_u32 v33, v32, 2, v33
	ds_read_b32 v33, v33 offset:448
	s_waitcnt lgkmcnt(0)
	v_add_f32_e32 v20, v20, v33
	s_or_b64 exec, exec, s[2:3]
	s_and_saveexec_b64 s[2:3], vcc
	s_cbranch_execz .LBB53_138
.LBB53_174:
	v_mov_b32_e32 v33, 0x410
	v_lshl_add_u32 v33, v32, 2, v33
	ds_read_b32 v33, v33 offset:480
	s_waitcnt lgkmcnt(0)
	v_add_f32_e32 v21, v21, v33
	s_or_b64 exec, exec, s[2:3]
	s_and_saveexec_b64 s[2:3], vcc
	s_cbranch_execz .LBB53_139
.LBB53_175:
	v_mov_b32_e32 v33, 0x410
	v_lshl_add_u32 v33, v32, 2, v33
	ds_read_b32 v33, v33 offset:512
	s_waitcnt lgkmcnt(0)
	v_add_f32_e32 v18, v18, v33
	s_or_b64 exec, exec, s[2:3]
	s_and_saveexec_b64 s[2:3], vcc
	s_cbranch_execz .LBB53_140
.LBB53_176:
	v_mov_b32_e32 v33, 0x410
	v_lshl_add_u32 v33, v32, 2, v33
	ds_read_b32 v33, v33 offset:544
	s_waitcnt lgkmcnt(0)
	v_add_f32_e32 v19, v19, v33
	s_or_b64 exec, exec, s[2:3]
	s_and_saveexec_b64 s[2:3], vcc
	s_cbranch_execz .LBB53_141
.LBB53_177:
	v_mov_b32_e32 v33, 0x410
	v_lshl_add_u32 v33, v32, 2, v33
	ds_read_b32 v33, v33 offset:576
	s_waitcnt lgkmcnt(0)
	v_add_f32_e32 v16, v16, v33
	s_or_b64 exec, exec, s[2:3]
	s_and_saveexec_b64 s[2:3], vcc
	s_cbranch_execz .LBB53_142
.LBB53_178:
	v_mov_b32_e32 v33, 0x410
	v_lshl_add_u32 v33, v32, 2, v33
	ds_read_b32 v33, v33 offset:608
	s_waitcnt lgkmcnt(0)
	v_add_f32_e32 v17, v17, v33
	s_or_b64 exec, exec, s[2:3]
	s_and_saveexec_b64 s[2:3], vcc
	s_cbranch_execz .LBB53_143
.LBB53_179:
	v_mov_b32_e32 v33, 0x410
	v_lshl_add_u32 v33, v32, 2, v33
	ds_read_b32 v33, v33 offset:640
	s_waitcnt lgkmcnt(0)
	v_add_f32_e32 v14, v14, v33
	s_or_b64 exec, exec, s[2:3]
	s_and_saveexec_b64 s[2:3], vcc
	s_cbranch_execz .LBB53_144
.LBB53_180:
	v_mov_b32_e32 v33, 0x410
	v_lshl_add_u32 v33, v32, 2, v33
	ds_read_b32 v33, v33 offset:672
	s_waitcnt lgkmcnt(0)
	v_add_f32_e32 v15, v15, v33
	s_or_b64 exec, exec, s[2:3]
	s_and_saveexec_b64 s[2:3], vcc
	s_cbranch_execz .LBB53_145
.LBB53_181:
	v_mov_b32_e32 v33, 0x410
	v_lshl_add_u32 v33, v32, 2, v33
	ds_read_b32 v33, v33 offset:704
	s_waitcnt lgkmcnt(0)
	v_add_f32_e32 v28, v28, v33
	s_or_b64 exec, exec, s[2:3]
	s_and_saveexec_b64 s[2:3], vcc
	s_cbranch_execz .LBB53_146
.LBB53_182:
	v_mov_b32_e32 v33, 0x410
	v_lshl_add_u32 v33, v32, 2, v33
	ds_read_b32 v33, v33 offset:736
	s_waitcnt lgkmcnt(0)
	v_add_f32_e32 v29, v29, v33
	s_or_b64 exec, exec, s[2:3]
	s_and_saveexec_b64 s[2:3], vcc
	s_cbranch_execz .LBB53_147
.LBB53_183:
	v_mov_b32_e32 v33, 0x410
	v_lshl_add_u32 v33, v32, 2, v33
	ds_read_b32 v33, v33 offset:768
	s_waitcnt lgkmcnt(0)
	v_add_f32_e32 v26, v26, v33
	s_or_b64 exec, exec, s[2:3]
	s_and_saveexec_b64 s[2:3], vcc
	s_cbranch_execz .LBB53_148
.LBB53_184:
	v_mov_b32_e32 v33, 0x410
	v_lshl_add_u32 v33, v32, 2, v33
	ds_read_b32 v33, v33 offset:800
	s_waitcnt lgkmcnt(0)
	v_add_f32_e32 v27, v27, v33
	s_or_b64 exec, exec, s[2:3]
	s_and_saveexec_b64 s[2:3], vcc
	s_cbranch_execz .LBB53_149
.LBB53_185:
	v_mov_b32_e32 v33, 0x410
	v_lshl_add_u32 v33, v32, 2, v33
	ds_read_b32 v33, v33 offset:832
	s_waitcnt lgkmcnt(0)
	v_add_f32_e32 v24, v24, v33
	s_or_b64 exec, exec, s[2:3]
	s_and_saveexec_b64 s[2:3], vcc
	s_cbranch_execz .LBB53_150
.LBB53_186:
	v_mov_b32_e32 v33, 0x410
	v_lshl_add_u32 v33, v32, 2, v33
	ds_read_b32 v33, v33 offset:864
	s_waitcnt lgkmcnt(0)
	v_add_f32_e32 v25, v25, v33
	s_or_b64 exec, exec, s[2:3]
	s_and_saveexec_b64 s[2:3], vcc
	s_cbranch_execz .LBB53_151
.LBB53_187:
	v_mov_b32_e32 v33, 0x410
	v_lshl_add_u32 v33, v32, 2, v33
	ds_read_b32 v33, v33 offset:896
	s_waitcnt lgkmcnt(0)
	v_add_f32_e32 v22, v22, v33
	s_or_b64 exec, exec, s[2:3]
	s_and_saveexec_b64 s[2:3], vcc
	s_cbranch_execz .LBB53_152
.LBB53_188:
	v_mov_b32_e32 v33, 0x410
	v_lshl_add_u32 v33, v32, 2, v33
	ds_read_b32 v33, v33 offset:928
	s_waitcnt lgkmcnt(0)
	v_add_f32_e32 v23, v23, v33
	s_or_b64 exec, exec, s[2:3]
	s_and_saveexec_b64 s[2:3], vcc
	s_cbranch_execz .LBB53_153
.LBB53_189:
	v_mov_b32_e32 v33, 0x410
	v_lshl_add_u32 v33, v32, 2, v33
	ds_read_b32 v33, v33 offset:960
	s_waitcnt lgkmcnt(0)
	v_add_f32_e32 v30, v30, v33
	s_or_b64 exec, exec, s[2:3]
	s_and_saveexec_b64 s[2:3], vcc
	s_cbranch_execnz .LBB53_154
	s_branch .LBB53_155
	.section	.rodata,"a",@progbits
	.p2align	6, 0x0
	.amdhsa_kernel _ZN4vllm25paged_attention_v2_kernelIffLi256ELi32ELi128ELNS_18Fp8KVCacheDataTypeE0ELb1ELi512EEEvPfS2_PT_PKS3_PKT0_S9_ifPKiSB_iPKfiiiSD_SD_iiiii
		.amdhsa_group_segment_fixed_size 1040
		.amdhsa_private_segment_fixed_size 460
		.amdhsa_kernarg_size 400
		.amdhsa_user_sgpr_count 2
		.amdhsa_user_sgpr_dispatch_ptr 0
		.amdhsa_user_sgpr_queue_ptr 0
		.amdhsa_user_sgpr_kernarg_segment_ptr 1
		.amdhsa_user_sgpr_dispatch_id 0
		.amdhsa_user_sgpr_kernarg_preload_length 0
		.amdhsa_user_sgpr_kernarg_preload_offset 0
		.amdhsa_user_sgpr_private_segment_size 0
		.amdhsa_uses_dynamic_stack 0
		.amdhsa_enable_private_segment 1
		.amdhsa_system_sgpr_workgroup_id_x 1
		.amdhsa_system_sgpr_workgroup_id_y 1
		.amdhsa_system_sgpr_workgroup_id_z 1
		.amdhsa_system_sgpr_workgroup_info 0
		.amdhsa_system_vgpr_workitem_id 0
		.amdhsa_next_free_vgpr 128
		.amdhsa_next_free_sgpr 59
		.amdhsa_accum_offset 128
		.amdhsa_reserve_vcc 1
		.amdhsa_float_round_mode_32 0
		.amdhsa_float_round_mode_16_64 0
		.amdhsa_float_denorm_mode_32 3
		.amdhsa_float_denorm_mode_16_64 3
		.amdhsa_dx10_clamp 1
		.amdhsa_ieee_mode 1
		.amdhsa_fp16_overflow 0
		.amdhsa_tg_split 0
		.amdhsa_exception_fp_ieee_invalid_op 0
		.amdhsa_exception_fp_denorm_src 0
		.amdhsa_exception_fp_ieee_div_zero 0
		.amdhsa_exception_fp_ieee_overflow 0
		.amdhsa_exception_fp_ieee_underflow 0
		.amdhsa_exception_fp_ieee_inexact 0
		.amdhsa_exception_int_div_zero 0
	.end_amdhsa_kernel
	.section	.text._ZN4vllm25paged_attention_v2_kernelIffLi256ELi32ELi128ELNS_18Fp8KVCacheDataTypeE0ELb1ELi512EEEvPfS2_PT_PKS3_PKT0_S9_ifPKiSB_iPKfiiiSD_SD_iiiii,"axG",@progbits,_ZN4vllm25paged_attention_v2_kernelIffLi256ELi32ELi128ELNS_18Fp8KVCacheDataTypeE0ELb1ELi512EEEvPfS2_PT_PKS3_PKT0_S9_ifPKiSB_iPKfiiiSD_SD_iiiii,comdat
.Lfunc_end53:
	.size	_ZN4vllm25paged_attention_v2_kernelIffLi256ELi32ELi128ELNS_18Fp8KVCacheDataTypeE0ELb1ELi512EEEvPfS2_PT_PKS3_PKT0_S9_ifPKiSB_iPKfiiiSD_SD_iiiii, .Lfunc_end53-_ZN4vllm25paged_attention_v2_kernelIffLi256ELi32ELi128ELNS_18Fp8KVCacheDataTypeE0ELb1ELi512EEEvPfS2_PT_PKS3_PKT0_S9_ifPKiSB_iPKfiiiSD_SD_iiiii
                                        ; -- End function
	.section	.AMDGPU.csdata,"",@progbits
; Kernel info:
; codeLenInByte = 15504
; NumSgprs: 65
; NumVgprs: 128
; NumAgprs: 0
; TotalNumVgprs: 128
; ScratchSize: 460
; MemoryBound: 0
; FloatMode: 240
; IeeeMode: 1
; LDSByteSize: 1040 bytes/workgroup (compile time only)
; SGPRBlocks: 8
; VGPRBlocks: 15
; NumSGPRsForWavesPerEU: 65
; NumVGPRsForWavesPerEU: 128
; AccumOffset: 128
; Occupancy: 4
; WaveLimiterHint : 1
; COMPUTE_PGM_RSRC2:SCRATCH_EN: 1
; COMPUTE_PGM_RSRC2:USER_SGPR: 2
; COMPUTE_PGM_RSRC2:TRAP_HANDLER: 0
; COMPUTE_PGM_RSRC2:TGID_X_EN: 1
; COMPUTE_PGM_RSRC2:TGID_Y_EN: 1
; COMPUTE_PGM_RSRC2:TGID_Z_EN: 1
; COMPUTE_PGM_RSRC2:TIDIG_COMP_CNT: 0
; COMPUTE_PGM_RSRC3_GFX90A:ACCUM_OFFSET: 31
; COMPUTE_PGM_RSRC3_GFX90A:TG_SPLIT: 0
	.section	.text._ZN4vllm25paged_attention_v2_kernelIffLi32ELi32ELi128ELNS_18Fp8KVCacheDataTypeE0ELb0ELi512EEEvPfS2_PT_PKS3_PKT0_S9_ifPKiSB_iPKfiiiSD_SD_iiiii,"axG",@progbits,_ZN4vllm25paged_attention_v2_kernelIffLi32ELi32ELi128ELNS_18Fp8KVCacheDataTypeE0ELb0ELi512EEEvPfS2_PT_PKS3_PKT0_S9_ifPKiSB_iPKfiiiSD_SD_iiiii,comdat
	.protected	_ZN4vllm25paged_attention_v2_kernelIffLi32ELi32ELi128ELNS_18Fp8KVCacheDataTypeE0ELb0ELi512EEEvPfS2_PT_PKS3_PKT0_S9_ifPKiSB_iPKfiiiSD_SD_iiiii ; -- Begin function _ZN4vllm25paged_attention_v2_kernelIffLi32ELi32ELi128ELNS_18Fp8KVCacheDataTypeE0ELb0ELi512EEEvPfS2_PT_PKS3_PKT0_S9_ifPKiSB_iPKfiiiSD_SD_iiiii
	.globl	_ZN4vllm25paged_attention_v2_kernelIffLi32ELi32ELi128ELNS_18Fp8KVCacheDataTypeE0ELb0ELi512EEEvPfS2_PT_PKS3_PKT0_S9_ifPKiSB_iPKfiiiSD_SD_iiiii
	.p2align	8
	.type	_ZN4vllm25paged_attention_v2_kernelIffLi32ELi32ELi128ELNS_18Fp8KVCacheDataTypeE0ELb0ELi512EEEvPfS2_PT_PKS3_PKT0_S9_ifPKiSB_iPKfiiiSD_SD_iiiii,@function
_ZN4vllm25paged_attention_v2_kernelIffLi32ELi32ELi128ELNS_18Fp8KVCacheDataTypeE0ELb0ELi512EEEvPfS2_PT_PKS3_PKT0_S9_ifPKiSB_iPKfiiiSD_SD_iiiii: ; @_ZN4vllm25paged_attention_v2_kernelIffLi32ELi32ELi128ELNS_18Fp8KVCacheDataTypeE0ELb0ELi512EEEvPfS2_PT_PKS3_PKT0_S9_ifPKiSB_iPKfiiiSD_SD_iiiii
; %bb.0:
	s_load_dwordx2 s[6:7], s[0:1], 0x40
	s_mov_b32 s24, s3
	s_ashr_i32 s25, s3, 31
	s_lshl_b64 s[8:9], s[24:25], 2
	s_waitcnt lgkmcnt(0)
	s_add_u32 s6, s6, s8
	s_addc_u32 s7, s7, s9
	s_load_dword s25, s[6:7], 0x0
	s_lshl_b32 s33, s4, 9
	s_waitcnt lgkmcnt(0)
	s_cmp_ge_i32 s33, s25
	s_cbranch_scc1 .LBB54_63
; %bb.1:
	s_load_dword s5, s[0:1], 0x90
	s_load_dwordx2 s[10:11], s[0:1], 0x30
	s_waitcnt lgkmcnt(0)
	s_abs_i32 s7, s5
	s_abs_i32 s3, s10
	v_cvt_f32_u32_e32 v1, s3
	s_sub_i32 s8, 0, s3
	s_xor_b32 s6, s5, s10
	s_ashr_i32 s6, s6, 31
	v_rcp_iflag_f32_e32 v1, v1
	s_nop 0
	v_mul_f32_e32 v1, 0x4f7ffffe, v1
	v_cvt_u32_f32_e32 v1, v1
	s_nop 0
	v_readfirstlane_b32 s9, v1
	s_mul_i32 s8, s8, s9
	s_mul_hi_u32 s8, s9, s8
	s_add_i32 s9, s9, s8
	s_mul_hi_u32 s8, s7, s9
	s_mul_i32 s9, s8, s3
	s_sub_i32 s7, s7, s9
	s_add_i32 s10, s8, 1
	s_sub_i32 s9, s7, s3
	s_cmp_ge_u32 s7, s3
	s_cselect_b32 s8, s10, s8
	s_cselect_b32 s7, s9, s7
	s_add_i32 s9, s8, 1
	s_cmp_ge_u32 s7, s3
	s_cselect_b32 s3, s9, s8
	s_xor_b32 s3, s3, s6
	s_sub_i32 s12, s3, s6
	s_abs_i32 s8, s12
	v_cvt_f32_u32_e32 v1, s8
	s_load_dwordx2 s[6:7], s[0:1], 0x50
	s_sub_i32 s3, 0, s8
	s_abs_i32 s9, s2
	v_rcp_iflag_f32_e32 v1, v1
	s_mov_b32 s10, 0
	v_mul_f32_e32 v1, 0x4f7ffffe, v1
	v_cvt_u32_f32_e32 v1, v1
	s_nop 0
	v_readfirstlane_b32 s13, v1
	s_mul_i32 s3, s3, s13
	s_mul_hi_u32 s3, s13, s3
	s_add_i32 s13, s13, s3
	s_waitcnt lgkmcnt(0)
	s_cmp_eq_u64 s[6:7], 0
	s_mul_hi_u32 s16, s9, s13
	s_cbranch_scc1 .LBB54_3
; %bb.2:
	s_ashr_i32 s3, s2, 31
	s_lshl_b64 s[14:15], s[2:3], 2
	s_add_u32 s6, s6, s14
	s_addc_u32 s7, s7, s15
	s_load_dword s10, s[6:7], 0x0
.LBB54_3:
	s_ashr_i32 s18, s12, 31
	s_load_dwordx4 s[12:15], s[0:1], 0x58
	s_ashr_i32 s17, s2, 31
	v_and_b32_e32 v20, 1, v0
	s_lshl_b32 s20, s2, 5
	v_cmp_gt_u32_e32 vcc, 16, v0
	v_lshlrev_b32_e32 v2, 3, v0
	v_lshlrev_b32_e32 v1, 2, v0
	s_and_saveexec_b64 s[6:7], vcc
	s_cbranch_execz .LBB54_5
; %bb.4:
	s_load_dwordx2 s[22:23], s[0:1], 0x18
	s_waitcnt lgkmcnt(0)
	s_mul_i32 s26, s24, s12
	s_ashr_i32 s27, s26, 31
	s_lshl_b64 s[26:27], s[26:27], 2
	v_and_b32_e32 v3, 0xff8, v1
	s_add_u32 s3, s22, s26
	s_addc_u32 s12, s23, s27
	s_ashr_i32 s21, s20, 31
	s_lshl_b64 s[22:23], s[20:21], 2
	s_add_u32 s22, s3, s22
	s_addc_u32 s23, s12, s23
	global_load_dwordx2 v[4:5], v2, s[22:23]
	v_lshl_add_u32 v3, v20, 6, v3
	s_waitcnt vmcnt(0)
	ds_write_b64 v3, v[4:5]
.LBB54_5:
	s_or_b64 exec, exec, s[6:7]
	s_add_i32 s3, s25, 31
	s_ashr_i32 s6, s3, 31
	s_lshr_b32 s6, s6, 27
	s_add_i32 s3, s3, s6
	s_ashr_i32 s40, s3, 5
	s_lshl_b32 s3, s4, 4
	s_mul_i32 s7, s16, s8
	s_add_i32 s6, s3, 16
	s_sub_i32 s7, s9, s7
	s_min_i32 s21, s6, s40
	s_xor_b32 s6, s17, s18
	s_add_i32 s9, s16, 1
	s_waitcnt lgkmcnt(0)
	s_sub_i32 s12, s7, s8
	s_cmp_ge_u32 s7, s8
	s_cselect_b32 s9, s9, s16
	s_cselect_b32 s7, s12, s7
	s_add_i32 s12, s9, 1
	s_cmp_ge_u32 s7, s8
	s_load_dwordx2 s[26:27], s[0:1], 0x38
	s_load_dword s8, s[0:1], 0x48
	v_lshrrev_b32_e32 v30, 6, v0
	s_cselect_b32 s7, s12, s9
	s_xor_b32 s7, s7, s6
	v_or_b32_e32 v22, s3, v30
	s_waitcnt lgkmcnt(0)
	s_mul_i32 s28, s24, s8
	s_sub_i32 s15, s7, s6
	s_ashr_i32 s29, s28, 31
	v_cmp_gt_i32_e64 s[6:7], s21, v22
	v_cmp_le_i32_e32 vcc, s21, v22
	v_mbcnt_lo_u32_b32 v21, -1, 0
	s_barrier
	s_waitcnt lgkmcnt(0)
                                        ; implicit-def: $sgpr36
                                        ; implicit-def: $vgpr24
                                        ; implicit-def: $vgpr25
	s_and_saveexec_b64 s[8:9], vcc
	s_xor_b64 s[8:9], exec, s[8:9]
; %bb.6:
	v_mbcnt_hi_u32_b32 v24, -1, v21
	v_and_b32_e32 v2, 64, v24
	v_add_u32_e32 v25, 64, v2
	s_mov_b32 s36, 0xff7fffff
                                        ; implicit-def: $vgpr2
                                        ; implicit-def: $vgpr20
                                        ; implicit-def: $vgpr21
; %bb.7:
	s_or_saveexec_b64 s[34:35], s[8:9]
	s_load_dwordx4 s[16:19], s[0:1], 0x0
	s_load_dwordx2 s[22:23], s[0:1], 0x10
	s_load_dwordx2 s[30:31], s[0:1], 0x28
	s_load_dword s12, s[0:1], 0x98
	v_mov_b32_e32 v26, s36
	s_mul_i32 s14, s15, s14
	v_ashrrev_i32_e32 v23, 31, v22
	s_xor_b64 exec, exec, s[34:35]
	s_cbranch_execz .LBB54_13
; %bb.8:
	s_load_dwordx2 s[0:1], s[0:1], 0x20
	s_ashr_i32 s15, s14, 31
	s_lshl_b64 s[8:9], s[14:15], 2
	v_bfe_u32 v26, v0, 1, 5
	v_lshlrev_b32_e32 v4, 4, v26
	s_waitcnt lgkmcnt(0)
	s_add_u32 s0, s0, s8
	s_addc_u32 s1, s1, s9
	v_mov_b32_e32 v5, 0
	v_lshl_add_u64 v[6:7], s[0:1], 0, v[4:5]
	v_and_b32_e32 v4, 8, v2
	v_lshlrev_b32_e32 v14, 6, v20
	v_lshl_add_u64 v[18:19], v[6:7], 0, v[4:5]
	ds_read_b128 v[2:5], v14
	ds_read_b128 v[6:9], v14 offset:16
	ds_read_b128 v[10:13], v14 offset:32
	;; [unrolled: 1-line block ×3, first 2 shown]
	v_mbcnt_hi_u32_b32 v24, -1, v21
	v_and_b32_e32 v25, 64, v24
	v_xor_b32_e32 v21, 1, v24
	v_add_u32_e32 v25, 64, v25
	v_cmp_lt_i32_e32 vcc, v21, v25
	s_sub_i32 s15, 1, s25
	s_lshl_b64 s[8:9], s[28:29], 2
	v_lshlrev_b32_e32 v29, 2, v26
	v_cndmask_b32_e32 v21, v24, v21, vcc
	v_cmp_eq_u32_e32 vcc, 0, v20
	v_lshlrev_b32_e32 v20, 5, v30
	s_add_u32 s8, s26, s8
	v_add3_u32 v28, s33, v20, v26
	v_lshl_or_b32 v20, v30, 7, v29
	s_addc_u32 s9, s27, s9
	s_mov_b32 s41, s13
	v_lshlrev_b32_e32 v27, 2, v21
	v_cmp_neq_f32_e64 s[0:1], s10, 0
	v_add_u32_e32 v29, 0x90, v20
	v_lshl_add_u64 v[20:21], v[22:23], 2, s[8:9]
	s_mov_b64 s[36:37], 0
	v_mov_b32_e32 v26, 0xff7fffff
	v_mov_b32_e32 v31, v22
	s_branch .LBB54_10
.LBB54_9:                               ;   in Loop: Header=BB54_10 Depth=1
	s_or_b64 exec, exec, s[38:39]
	v_add_u32_e32 v31, 2, v31
	v_cmp_le_i32_e64 s[8:9], s21, v31
	v_add_u32_e32 v28, 64, v28
	v_add_u32_e32 v29, 0x100, v29
	s_or_b64 s[36:37], s[8:9], s[36:37]
	v_lshl_add_u64 v[20:21], v[20:21], 0, 8
	s_andn2_b64 exec, exec, s[36:37]
	s_cbranch_execz .LBB54_12
.LBB54_10:                              ; =>This Inner Loop Header: Depth=1
	global_load_dword v32, v[20:21], off
	s_waitcnt vmcnt(0) lgkmcnt(0)
	v_mad_i64_i32 v[32:33], s[8:9], v32, s41, 0
	v_lshl_add_u64 v[32:33], v[32:33], 2, v[18:19]
	global_load_dwordx2 v[34:35], v[32:33], off offset:512
	global_load_dwordx2 v[36:37], v[32:33], off
	global_load_dwordx2 v[38:39], v[32:33], off offset:1024
	global_load_dwordx2 v[40:41], v[32:33], off offset:1536
	;; [unrolled: 1-line block ×6, first 2 shown]
	s_waitcnt vmcnt(7) lgkmcnt(3)
	v_mul_f32_e32 v32, v4, v34
	v_mul_f32_e32 v33, v5, v35
	s_waitcnt vmcnt(6)
	v_fmac_f32_e32 v32, v2, v36
	v_fmac_f32_e32 v33, v3, v37
	s_waitcnt vmcnt(5) lgkmcnt(2)
	v_fmac_f32_e32 v32, v6, v38
	v_fmac_f32_e32 v33, v7, v39
	s_waitcnt vmcnt(4)
	v_fmac_f32_e32 v32, v8, v40
	v_fmac_f32_e32 v33, v9, v41
	s_waitcnt vmcnt(3) lgkmcnt(1)
	v_fmac_f32_e32 v32, v10, v42
	v_fmac_f32_e32 v33, v11, v43
	s_waitcnt vmcnt(2)
	v_fmac_f32_e32 v32, v12, v44
	v_fmac_f32_e32 v33, v13, v45
	s_waitcnt vmcnt(1) lgkmcnt(0)
	v_fmac_f32_e32 v32, v14, v46
	v_fmac_f32_e32 v33, v15, v47
	s_waitcnt vmcnt(0)
	v_fmac_f32_e32 v32, v16, v48
	v_fmac_f32_e32 v33, v17, v49
	v_add_f32_e32 v32, v32, v33
	ds_bpermute_b32 v33, v27, v32
	s_and_saveexec_b64 s[38:39], vcc
	s_cbranch_execz .LBB54_9
; %bb.11:                               ;   in Loop: Header=BB54_10 Depth=1
	v_add_u32_e32 v34, s15, v28
	v_cvt_f32_i32_e32 v34, v34
	s_waitcnt lgkmcnt(0)
	v_add_f32_e32 v32, v32, v33
	v_cmp_gt_i32_e64 s[8:9], s25, v28
	v_max_f32_e32 v33, v26, v26
	v_mul_f32_e32 v34, s10, v34
	v_cndmask_b32_e64 v34, 0, v34, s[0:1]
	v_fmac_f32_e32 v34, s11, v32
	v_cndmask_b32_e64 v32, 0, v34, s[8:9]
	ds_write_b32 v29, v32
	v_max_f32_e32 v32, v33, v34
	v_cndmask_b32_e64 v26, v26, v32, s[8:9]
	s_branch .LBB54_9
.LBB54_12:
	s_or_b64 exec, exec, s[36:37]
.LBB54_13:
	s_or_b64 exec, exec, s[34:35]
	v_xor_b32_e32 v2, 32, v24
	v_cmp_lt_i32_e32 vcc, v2, v25
	v_xor_b32_e32 v5, 16, v24
	v_max_f32_e32 v4, v26, v26
	v_cndmask_b32_e32 v2, v24, v2, vcc
	v_lshlrev_b32_e32 v2, 2, v2
	ds_bpermute_b32 v3, v2, v26
	v_cmp_lt_i32_e32 vcc, v5, v25
	v_xor_b32_e32 v6, 8, v24
	v_xor_b32_e32 v7, 4, v24
	v_and_b32_e32 v32, 63, v0
	s_waitcnt lgkmcnt(0)
	v_max_f32_e32 v3, v3, v3
	v_max_f32_e32 v4, v4, v3
	v_cndmask_b32_e32 v3, v24, v5, vcc
	v_lshlrev_b32_e32 v3, 2, v3
	ds_bpermute_b32 v5, v3, v4
	v_cmp_lt_i32_e32 vcc, v6, v25
	s_waitcnt lgkmcnt(0)
	v_max_f32_e32 v5, v5, v5
	v_max_f32_e32 v4, v4, v5
	v_cndmask_b32_e32 v5, v24, v6, vcc
	v_lshlrev_b32_e32 v5, 2, v5
	ds_bpermute_b32 v6, v5, v4
	v_cmp_lt_i32_e32 vcc, v7, v25
	s_waitcnt lgkmcnt(0)
	v_max_f32_e32 v6, v6, v6
	v_max_f32_e32 v4, v4, v6
	v_cndmask_b32_e32 v6, v24, v7, vcc
	v_lshlrev_b32_e32 v34, 2, v6
	ds_bpermute_b32 v6, v34, v4
	v_xor_b32_e32 v7, 2, v24
	v_cmp_lt_i32_e32 vcc, v7, v25
	s_waitcnt lgkmcnt(0)
	v_max_f32_e32 v6, v6, v6
	v_max_f32_e32 v4, v4, v6
	v_cndmask_b32_e32 v6, v24, v7, vcc
	v_lshlrev_b32_e32 v33, 2, v6
	ds_bpermute_b32 v7, v33, v4
	v_cmp_eq_u32_e32 vcc, 0, v32
	v_lshlrev_b32_e32 v6, 2, v30
	s_and_saveexec_b64 s[0:1], vcc
	s_cbranch_execz .LBB54_15
; %bb.14:
	s_waitcnt lgkmcnt(0)
	v_max_f32_e32 v7, v7, v7
	v_max_f32_e32 v4, v4, v4
	v_max_f32_e32 v4, v4, v7
	ds_write_b32 v6, v4 offset:128
.LBB54_15:
	s_or_b64 exec, exec, s[0:1]
	v_cmp_gt_u32_e64 s[0:1], 2, v32
	v_mov_b32_e32 v4, 0xff7fffff
	s_waitcnt lgkmcnt(0)
	v_lshlrev_b32_e32 v7, 2, v32
	s_barrier
	s_and_saveexec_b64 s[8:9], s[0:1]
	s_cbranch_execz .LBB54_17
; %bb.16:
	ds_read_b32 v4, v7 offset:128
.LBB54_17:
	s_or_b64 exec, exec, s[8:9]
	v_xor_b32_e32 v8, 1, v24
	v_cmp_lt_i32_e64 s[8:9], v8, v25
	s_sub_i32 s3, s21, s3
	s_lshl_b32 s3, s3, 5
	v_cndmask_b32_e64 v8, v24, v8, s[8:9]
	v_lshlrev_b32_e32 v35, 2, v8
	s_waitcnt lgkmcnt(0)
	ds_bpermute_b32 v8, v35, v4
	v_max_f32_e32 v4, v4, v4
	s_add_i32 s3, s3, s33
	s_min_i32 s15, s3, s25
	s_sub_i32 s3, s15, s33
	s_waitcnt lgkmcnt(0)
	v_max_f32_e32 v8, v8, v8
	v_max_f32_e32 v4, v4, v8
	v_lshlrev_b32_e32 v8, 2, v24
	v_and_b32_e32 v8, 0xffffff00, v8
	ds_bpermute_b32 v4, v8, v4
	v_cmp_gt_i32_e64 s[8:9], s3, v0
	v_mov_b32_e32 v9, 0
	s_and_saveexec_b64 s[34:35], s[8:9]
	s_cbranch_execz .LBB54_21
; %bb.18:
	v_mov_b32_e32 v9, 0x90
	v_lshl_add_u32 v10, v0, 2, v9
	s_mov_b64 s[36:37], 0
	v_mov_b32_e32 v9, 0
	v_mov_b32_e32 v11, v0
.LBB54_19:                              ; =>This Inner Loop Header: Depth=1
	ds_read_b32 v12, v10
	v_add_u32_e32 v11, 0x80, v11
	v_cmp_le_i32_e64 s[10:11], s3, v11
	s_or_b64 s[36:37], s[10:11], s[36:37]
	s_waitcnt lgkmcnt(0)
	v_sub_f32_e32 v12, v12, v4
	v_mul_f32_e32 v12, 0x3fb8aa3b, v12
	v_exp_f32_e32 v12, v12
	ds_write_b32 v10, v12
	v_add_f32_e32 v9, v9, v12
	v_add_u32_e32 v10, 0x200, v10
	s_andn2_b64 exec, exec, s[36:37]
	s_cbranch_execnz .LBB54_19
; %bb.20:
	s_or_b64 exec, exec, s[36:37]
.LBB54_21:
	s_or_b64 exec, exec, s[34:35]
	ds_bpermute_b32 v2, v2, v9
	s_waitcnt lgkmcnt(0)
	v_add_f32_e32 v2, v9, v2
	ds_bpermute_b32 v3, v3, v2
	s_waitcnt lgkmcnt(0)
	v_add_f32_e32 v2, v2, v3
	;; [unrolled: 3-line block ×6, first 2 shown]
	s_and_saveexec_b64 s[10:11], vcc
	s_cbranch_execz .LBB54_23
; %bb.22:
	ds_write_b32 v6, v2 offset:136
.LBB54_23:
	s_or_b64 exec, exec, s[10:11]
	s_waitcnt lgkmcnt(0)
	s_barrier
	s_and_saveexec_b64 s[10:11], s[0:1]
	s_cbranch_execz .LBB54_25
; %bb.24:
	ds_read_b32 v2, v7 offset:136
.LBB54_25:
	s_or_b64 exec, exec, s[10:11]
	s_waitcnt lgkmcnt(0)
	ds_bpermute_b32 v3, v35, v2
	s_waitcnt lgkmcnt(0)
	v_add_f32_e32 v2, v2, v3
	ds_bpermute_b32 v5, v8, v2
	s_and_saveexec_b64 s[0:1], s[8:9]
	s_cbranch_execz .LBB54_38
; %bb.26:
	s_waitcnt lgkmcnt(0)
	v_add_f32_e32 v2, 0x358637bd, v5
	v_div_scale_f32 v3, s[8:9], v2, v2, 1.0
	v_rcp_f32_e32 v6, v3
	v_div_scale_f32 v7, vcc, 1.0, v2, 1.0
	s_movk_i32 s8, 0x7f
	v_fma_f32 v8, -v3, v6, 1.0
	v_fmac_f32_e32 v6, v8, v6
	v_mul_f32_e32 v8, v7, v6
	v_fma_f32 v9, -v3, v8, v7
	v_fmac_f32_e32 v8, v9, v6
	v_fma_f32 v3, -v3, v8, v7
	v_div_fmas_f32 v3, v3, v6, v8
	v_div_fixup_f32 v2, v3, v2, 1.0
	v_xad_u32 v3, v0, -1, s15
	v_subrev_u32_e32 v6, s33, v3
	v_cmp_lt_u32_e32 vcc, s8, v6
	s_mov_b64 s[10:11], -1
	v_mov_b32_e32 v3, v0
	s_and_saveexec_b64 s[8:9], vcc
	s_cbranch_execz .LBB54_35
; %bb.27:
	v_lshrrev_b32_e32 v6, 7, v6
	v_add_u32_e32 v8, -1, v6
	v_lshrrev_b32_e32 v7, 1, v8
	v_mov_b32_e32 v3, v2
	v_add_u32_e32 v7, 1, v7
	v_cmp_lt_u32_e32 vcc, 13, v8
	v_mov_b32_e32 v10, 0
	s_and_saveexec_b64 s[10:11], vcc
	s_cbranch_execz .LBB54_31
; %bb.28:
	v_mov_b32_e32 v9, 0x90
	v_and_b32_e32 v8, -8, v7
	v_lshl_add_u32 v9, v0, 2, v9
	s_mov_b32 s15, 0
	s_mov_b64 s[34:35], 0
.LBB54_29:                              ; =>This Inner Loop Header: Depth=1
	ds_read2st64_b32 v[10:11], v9 offset1:2
	ds_read2st64_b32 v[12:13], v9 offset0:4 offset1:6
	ds_read2st64_b32 v[14:15], v9 offset0:8 offset1:10
	ds_read2st64_b32 v[16:17], v9 offset0:12 offset1:14
	v_add_u32_e32 v8, -8, v8
	s_waitcnt lgkmcnt(3)
	v_pk_mul_f32 v[10:11], v[2:3], v[10:11]
	s_waitcnt lgkmcnt(2)
	v_pk_mul_f32 v[12:13], v[2:3], v[12:13]
	ds_write2st64_b32 v9, v10, v11 offset1:2
	ds_write2st64_b32 v9, v12, v13 offset0:4 offset1:6
	ds_read2st64_b32 v[12:13], v9 offset0:16 offset1:18
	s_waitcnt lgkmcnt(4)
	v_pk_mul_f32 v[10:11], v[2:3], v[14:15]
	ds_write2st64_b32 v9, v10, v11 offset0:8 offset1:10
	s_waitcnt lgkmcnt(4)
	v_pk_mul_f32 v[10:11], v[2:3], v[16:17]
	ds_write2st64_b32 v9, v10, v11 offset0:12 offset1:14
	ds_read2st64_b32 v[10:11], v9 offset0:20 offset1:22
	s_waitcnt lgkmcnt(3)
	v_pk_mul_f32 v[12:13], v[2:3], v[12:13]
	ds_read2st64_b32 v[14:15], v9 offset0:24 offset1:26
	ds_write2st64_b32 v9, v12, v13 offset0:16 offset1:18
	ds_read2st64_b32 v[12:13], v9 offset0:28 offset1:30
	s_waitcnt lgkmcnt(3)
	v_pk_mul_f32 v[10:11], v[2:3], v[10:11]
	ds_write2st64_b32 v9, v10, v11 offset0:20 offset1:22
	s_waitcnt lgkmcnt(3)
	v_pk_mul_f32 v[10:11], v[2:3], v[14:15]
	ds_write2st64_b32 v9, v10, v11 offset0:24 offset1:26
	s_waitcnt lgkmcnt(2)
	v_pk_mul_f32 v[10:11], v[2:3], v[12:13]
	s_add_i32 s15, s15, 16
	v_cmp_eq_u32_e32 vcc, 0, v8
	ds_write2st64_b32 v9, v10, v11 offset0:28 offset1:30
	v_add_u32_e32 v9, 0x2000, v9
	s_or_b64 s[34:35], vcc, s[34:35]
	v_mov_b32_e32 v10, s15
	s_andn2_b64 exec, exec, s[34:35]
	s_cbranch_execnz .LBB54_29
; %bb.30:
	s_or_b64 exec, exec, s[34:35]
.LBB54_31:
	s_or_b64 exec, exec, s[10:11]
	v_and_b32_e32 v7, 7, v7
	v_cmp_ne_u32_e32 vcc, 0, v7
	s_and_saveexec_b64 s[10:11], vcc
	s_cbranch_execz .LBB54_34
; %bb.32:
	v_lshlrev_b32_e32 v8, 9, v10
	s_movk_i32 s15, 0x90
	v_add3_u32 v8, v8, v1, s15
	s_mov_b64 s[34:35], 0
.LBB54_33:                              ; =>This Inner Loop Header: Depth=1
	ds_read2st64_b32 v[10:11], v8 offset1:2
	v_add_u32_e32 v7, -1, v7
	v_cmp_eq_u32_e32 vcc, 0, v7
	s_or_b64 s[34:35], vcc, s[34:35]
	s_waitcnt lgkmcnt(0)
	v_pk_mul_f32 v[10:11], v[2:3], v[10:11]
	ds_write2st64_b32 v8, v10, v11 offset1:2
	v_add_u32_e32 v8, 0x400, v8
	s_andn2_b64 exec, exec, s[34:35]
	s_cbranch_execnz .LBB54_33
.LBB54_34:
	s_or_b64 exec, exec, s[10:11]
	v_add_u32_e32 v6, 1, v6
	v_and_b32_e32 v7, 0x3fffffe, v6
	v_cmp_ne_u32_e32 vcc, v6, v7
	v_lshl_add_u32 v3, v7, 7, v0
	s_orn2_b64 s[10:11], vcc, exec
.LBB54_35:
	s_or_b64 exec, exec, s[8:9]
	s_and_b64 exec, exec, s[10:11]
	s_cbranch_execz .LBB54_38
; %bb.36:
	v_mov_b32_e32 v6, 0x90
	v_lshl_add_u32 v6, v3, 2, v6
	s_mov_b64 s[8:9], 0
.LBB54_37:                              ; =>This Inner Loop Header: Depth=1
	ds_read_b32 v7, v6
	v_add_u32_e32 v3, 0x80, v3
	v_cmp_le_i32_e32 vcc, s3, v3
	s_or_b64 s[8:9], vcc, s[8:9]
	s_waitcnt lgkmcnt(0)
	v_mul_f32_e32 v7, v2, v7
	ds_write_b32 v6, v7
	v_add_u32_e32 v6, 0x200, v6
	s_andn2_b64 exec, exec, s[8:9]
	s_cbranch_execnz .LBB54_37
.LBB54_38:
	s_or_b64 exec, exec, s[0:1]
	s_mul_i32 s0, s12, s24
	v_cmp_eq_u32_e32 vcc, 0, v0
	s_mul_i32 s8, s0, s5
	s_waitcnt lgkmcnt(0)
	s_barrier
	s_and_saveexec_b64 s[0:1], vcc
	s_cbranch_execz .LBB54_40
; %bb.39:
	s_ashr_i32 s9, s8, 31
	s_lshl_b64 s[10:11], s[8:9], 2
	s_add_u32 s5, s18, s10
	s_mul_i32 s2, s12, s2
	s_addc_u32 s9, s19, s11
	s_ashr_i32 s3, s2, 31
	s_lshl_b64 s[2:3], s[2:3], 2
	s_add_u32 s15, s5, s2
	s_addc_u32 s9, s9, s3
	s_ashr_i32 s5, s4, 31
	s_lshl_b64 s[18:19], s[4:5], 2
	s_add_u32 s34, s15, s18
	s_addc_u32 s35, s9, s19
	s_add_u32 s5, s16, s10
	s_addc_u32 s9, s17, s11
	;; [unrolled: 2-line block ×3, first 2 shown]
	s_add_u32 s2, s2, s18
	v_mov_b32_e32 v2, 0
	s_addc_u32 s3, s3, s19
	global_store_dword v2, v4, s[34:35]
	global_store_dword v2, v5, s[2:3]
.LBB54_40:
	s_or_b64 exec, exec, s[0:1]
	v_mov_b32_e32 v27, 0
	v_and_b32_e32 v36, 7, v0
	v_mov_b32_e32 v26, 0
	v_mov_b32_e32 v25, 0
	;; [unrolled: 1-line block ×3, first 2 shown]
	s_and_saveexec_b64 s[2:3], s[6:7]
	s_cbranch_execz .LBB54_52
; %bb.41:
	s_ashr_i32 s15, s14, 31
	s_lshl_b64 s[0:1], s[14:15], 2
	s_add_u32 s0, s30, s0
	v_lshlrev_b32_e32 v2, 4, v0
	s_addc_u32 s1, s31, s1
	v_and_b32_e32 v24, 0x3f0, v2
	v_mov_b32_e32 v25, 0
	v_and_b32_e32 v1, 28, v1
	s_add_i32 s40, s40, -1
	v_lshl_add_u64 v[28:29], s[0:1], 0, v[24:25]
	v_lshl_add_u32 v2, v30, 5, s33
	s_lshl_b64 s[0:1], s[28:29], 2
	v_add3_u32 v1, v2, v1, 3
	v_lshlrev_b32_e32 v2, 4, v36
	s_add_u32 s0, s26, s0
	v_lshl_or_b32 v2, v30, 7, v2
	s_addc_u32 s1, s27, s1
	s_mov_b32 s5, s13
	v_add_u32_e32 v37, 0x90, v2
	v_lshl_add_u64 v[30:31], v[22:23], 2, s[0:1]
	s_mov_b64 s[6:7], 0
	v_mov_b32_e32 v24, v25
	v_mov_b32_e32 v26, v25
	;; [unrolled: 1-line block ×3, first 2 shown]
	s_branch .LBB54_43
.LBB54_42:                              ;   in Loop: Header=BB54_43 Depth=1
	s_or_b64 exec, exec, s[0:1]
	s_waitcnt vmcnt(3) lgkmcnt(0)
	v_mul_f32_e32 v7, v3, v7
	v_fmac_f32_e32 v7, v2, v6
	s_waitcnt vmcnt(2)
	v_mul_f32_e32 v6, v3, v11
	v_fmac_f32_e32 v6, v2, v10
	v_fmac_f32_e32 v6, v4, v12
	;; [unrolled: 1-line block ×3, first 2 shown]
	v_add_f32_e32 v25, v25, v6
	s_waitcnt vmcnt(1)
	v_mul_f32_e32 v6, v3, v15
	s_waitcnt vmcnt(0)
	v_mul_f32_e32 v3, v3, v19
	v_fmac_f32_e32 v6, v2, v14
	v_fmac_f32_e32 v3, v2, v18
	;; [unrolled: 1-line block ×5, first 2 shown]
	v_add_u32_e32 v22, 2, v22
	v_fmac_f32_e32 v7, v5, v9
	v_fmac_f32_e32 v6, v5, v17
	;; [unrolled: 1-line block ×3, first 2 shown]
	v_cmp_le_i32_e32 vcc, s21, v22
	v_add_f32_e32 v24, v24, v7
	v_add_f32_e32 v26, v26, v6
	;; [unrolled: 1-line block ×3, first 2 shown]
	v_add_u32_e32 v1, 64, v1
	v_add_u32_e32 v37, 0x100, v37
	s_or_b64 s[6:7], vcc, s[6:7]
	v_lshl_add_u64 v[30:31], v[30:31], 0, 8
	s_andn2_b64 exec, exec, s[6:7]
	s_cbranch_execz .LBB54_51
.LBB54_43:                              ; =>This Inner Loop Header: Depth=1
	global_load_dword v2, v[30:31], off
	v_add_u32_e32 v23, -3, v1
	v_cmp_eq_u32_e32 vcc, s40, v22
	v_add_u32_e32 v39, -2, v1
	v_add_u32_e32 v38, -1, v1
	s_waitcnt vmcnt(0)
	v_mad_i64_i32 v[2:3], s[0:1], v2, s5, 0
	v_lshl_add_u64 v[18:19], v[2:3], 2, v[28:29]
	global_load_dwordx4 v[6:9], v[18:19], off
	ds_read_b128 v[2:5], v37
	s_and_saveexec_b64 s[10:11], vcc
	s_cbranch_execnz .LBB54_47
; %bb.44:                               ;   in Loop: Header=BB54_43 Depth=1
	s_or_b64 exec, exec, s[10:11]
	global_load_dwordx4 v[10:13], v[18:19], off offset:1024
	s_and_saveexec_b64 s[10:11], vcc
	s_cbranch_execnz .LBB54_48
.LBB54_45:                              ;   in Loop: Header=BB54_43 Depth=1
	s_or_b64 exec, exec, s[10:11]
	global_load_dwordx4 v[14:17], v[18:19], off offset:2048
	s_and_saveexec_b64 s[10:11], vcc
	s_cbranch_execnz .LBB54_49
.LBB54_46:                              ;   in Loop: Header=BB54_43 Depth=1
	s_or_b64 exec, exec, s[10:11]
	global_load_dwordx4 v[18:21], v[18:19], off offset:3072
	s_and_saveexec_b64 s[0:1], vcc
	s_cbranch_execz .LBB54_42
	s_branch .LBB54_50
.LBB54_47:                              ;   in Loop: Header=BB54_43 Depth=1
	v_cmp_gt_i32_e64 s[0:1], s25, v23
	s_waitcnt vmcnt(0)
	s_nop 0
	v_cndmask_b32_e64 v6, 0, v6, s[0:1]
	v_cmp_gt_i32_e64 s[0:1], s25, v39
	s_nop 1
	v_cndmask_b32_e64 v7, 0, v7, s[0:1]
	v_cmp_gt_i32_e64 s[0:1], s25, v38
	;; [unrolled: 3-line block ×3, first 2 shown]
	s_nop 1
	v_cndmask_b32_e64 v9, 0, v9, s[0:1]
	s_or_b64 exec, exec, s[10:11]
	global_load_dwordx4 v[10:13], v[18:19], off offset:1024
	s_and_saveexec_b64 s[10:11], vcc
	s_cbranch_execz .LBB54_45
.LBB54_48:                              ;   in Loop: Header=BB54_43 Depth=1
	v_cmp_gt_i32_e64 s[0:1], s25, v23
	s_waitcnt vmcnt(0)
	s_nop 0
	v_cndmask_b32_e64 v10, 0, v10, s[0:1]
	v_cmp_gt_i32_e64 s[0:1], s25, v39
	s_nop 1
	v_cndmask_b32_e64 v11, 0, v11, s[0:1]
	v_cmp_gt_i32_e64 s[0:1], s25, v38
	;; [unrolled: 3-line block ×3, first 2 shown]
	s_nop 1
	v_cndmask_b32_e64 v13, 0, v13, s[0:1]
	s_or_b64 exec, exec, s[10:11]
	global_load_dwordx4 v[14:17], v[18:19], off offset:2048
	s_and_saveexec_b64 s[10:11], vcc
	s_cbranch_execz .LBB54_46
.LBB54_49:                              ;   in Loop: Header=BB54_43 Depth=1
	v_cmp_gt_i32_e64 s[0:1], s25, v23
	s_waitcnt vmcnt(0)
	s_nop 0
	v_cndmask_b32_e64 v14, 0, v14, s[0:1]
	v_cmp_gt_i32_e64 s[0:1], s25, v39
	s_nop 1
	v_cndmask_b32_e64 v15, 0, v15, s[0:1]
	v_cmp_gt_i32_e64 s[0:1], s25, v38
	;; [unrolled: 3-line block ×3, first 2 shown]
	s_nop 1
	v_cndmask_b32_e64 v17, 0, v17, s[0:1]
	s_or_b64 exec, exec, s[10:11]
	global_load_dwordx4 v[18:21], v[18:19], off offset:3072
	s_and_saveexec_b64 s[0:1], vcc
	s_cbranch_execz .LBB54_42
.LBB54_50:                              ;   in Loop: Header=BB54_43 Depth=1
	v_cmp_gt_i32_e32 vcc, s25, v23
	s_waitcnt vmcnt(0)
	s_nop 0
	v_cndmask_b32_e32 v18, 0, v18, vcc
	v_cmp_gt_i32_e32 vcc, s25, v39
	s_nop 1
	v_cndmask_b32_e32 v19, 0, v19, vcc
	v_cmp_gt_i32_e32 vcc, s25, v38
	;; [unrolled: 3-line block ×3, first 2 shown]
	s_nop 1
	v_cndmask_b32_e32 v21, 0, v21, vcc
	s_branch .LBB54_42
.LBB54_51:
	s_or_b64 exec, exec, s[6:7]
.LBB54_52:
	s_or_b64 exec, exec, s[2:3]
	ds_bpermute_b32 v2, v34, v24
	ds_bpermute_b32 v3, v34, v25
	;; [unrolled: 1-line block ×4, first 2 shown]
	v_and_b32_e32 v1, 0x3c7, v0
	v_cmp_eq_u32_e32 vcc, 64, v1
	s_waitcnt lgkmcnt(2)
	v_pk_add_f32 v[2:3], v[24:25], v[2:3]
	ds_bpermute_b32 v6, v33, v2
	s_waitcnt lgkmcnt(1)
	v_pk_add_f32 v[4:5], v[26:27], v[4:5]
	ds_bpermute_b32 v7, v33, v3
	ds_bpermute_b32 v8, v33, v4
	ds_bpermute_b32 v9, v33, v5
	s_waitcnt lgkmcnt(0)
	s_barrier
	v_pk_add_f32 v[2:3], v[2:3], v[6:7]
	ds_bpermute_b32 v6, v35, v2
	v_pk_add_f32 v[4:5], v[4:5], v[8:9]
	ds_bpermute_b32 v7, v35, v3
	ds_bpermute_b32 v8, v35, v4
	;; [unrolled: 1-line block ×3, first 2 shown]
	s_waitcnt lgkmcnt(0)
	v_pk_add_f32 v[2:3], v[2:3], v[6:7]
	v_pk_add_f32 v[4:5], v[4:5], v[8:9]
	s_and_saveexec_b64 s[0:1], vcc
	s_cbranch_execz .LBB54_54
; %bb.53:
	v_lshrrev_b32_e32 v6, 1, v32
	v_add_u32_e32 v6, 0x90, v6
	ds_write2_b32 v6, v2, v3 offset1:8
	ds_write2_b32 v6, v4, v5 offset0:16 offset1:24
.LBB54_54:
	s_or_b64 exec, exec, s[0:1]
	v_cmp_gt_u32_e32 vcc, 64, v0
	s_waitcnt lgkmcnt(0)
	s_barrier
	s_and_saveexec_b64 s[0:1], vcc
	s_cbranch_execz .LBB54_61
; %bb.55:
	v_cmp_eq_u32_e32 vcc, 0, v36
	v_lshrrev_b32_e32 v6, 3, v0
	s_and_saveexec_b64 s[2:3], vcc
	s_cbranch_execnz .LBB54_64
; %bb.56:
	s_or_b64 exec, exec, s[2:3]
	s_and_saveexec_b64 s[2:3], vcc
	s_cbranch_execnz .LBB54_65
.LBB54_57:
	s_or_b64 exec, exec, s[2:3]
	s_and_saveexec_b64 s[2:3], vcc
	s_cbranch_execnz .LBB54_66
.LBB54_58:
	s_or_b64 exec, exec, s[2:3]
	s_and_saveexec_b64 s[2:3], vcc
	s_cbranch_execz .LBB54_60
.LBB54_59:
	v_mov_b32_e32 v7, 0x90
	v_lshl_add_u32 v6, v6, 2, v7
	ds_read_b32 v6, v6 offset:96
	s_waitcnt lgkmcnt(0)
	v_add_f32_e32 v5, v5, v6
.LBB54_60:
	s_or_b64 exec, exec, s[2:3]
.LBB54_61:
	s_or_b64 exec, exec, s[0:1]
	v_cmp_eq_u32_e32 vcc, 0, v1
	s_barrier
	s_and_saveexec_b64 s[0:1], vcc
	s_cbranch_execz .LBB54_63
; %bb.62:
	s_lshl_b32 s0, s8, 5
	s_ashr_i32 s1, s0, 31
	s_lshl_b64 s[0:1], s[0:1], 2
	s_add_u32 s2, s22, s0
	s_mul_i32 s0, s12, s20
	s_addc_u32 s3, s23, s1
	s_ashr_i32 s1, s0, 31
	s_lshl_b64 s[0:1], s[0:1], 2
	s_add_u32 s2, s2, s0
	s_addc_u32 s3, s3, s1
	s_lshl_b32 s0, s4, 5
	s_ashr_i32 s1, s0, 31
	s_lshl_b64 s[0:1], s[0:1], 2
	s_add_u32 s0, s2, s0
	s_addc_u32 s1, s3, s1
	v_lshrrev_b32_e32 v0, 1, v0
	global_store_dword v0, v2, s[0:1]
	global_store_dword v0, v3, s[0:1] offset:32
	global_store_dword v0, v4, s[0:1] offset:64
	;; [unrolled: 1-line block ×3, first 2 shown]
.LBB54_63:
	s_endpgm
.LBB54_64:
	v_mov_b32_e32 v7, 0x90
	v_lshl_add_u32 v7, v6, 2, v7
	ds_read_b32 v7, v7
	s_waitcnt lgkmcnt(0)
	v_add_f32_e32 v2, v2, v7
	s_or_b64 exec, exec, s[2:3]
	s_and_saveexec_b64 s[2:3], vcc
	s_cbranch_execz .LBB54_57
.LBB54_65:
	v_mov_b32_e32 v7, 0x90
	v_lshl_add_u32 v7, v6, 2, v7
	ds_read_b32 v7, v7 offset:32
	s_waitcnt lgkmcnt(0)
	v_add_f32_e32 v3, v3, v7
	s_or_b64 exec, exec, s[2:3]
	s_and_saveexec_b64 s[2:3], vcc
	s_cbranch_execz .LBB54_58
.LBB54_66:
	v_mov_b32_e32 v7, 0x90
	v_lshl_add_u32 v7, v6, 2, v7
	ds_read_b32 v7, v7 offset:64
	s_waitcnt lgkmcnt(0)
	v_add_f32_e32 v4, v4, v7
	s_or_b64 exec, exec, s[2:3]
	s_and_saveexec_b64 s[2:3], vcc
	s_cbranch_execnz .LBB54_59
	s_branch .LBB54_60
	.section	.rodata,"a",@progbits
	.p2align	6, 0x0
	.amdhsa_kernel _ZN4vllm25paged_attention_v2_kernelIffLi32ELi32ELi128ELNS_18Fp8KVCacheDataTypeE0ELb0ELi512EEEvPfS2_PT_PKS3_PKT0_S9_ifPKiSB_iPKfiiiSD_SD_iiiii
		.amdhsa_group_segment_fixed_size 144
		.amdhsa_private_segment_fixed_size 0
		.amdhsa_kernarg_size 400
		.amdhsa_user_sgpr_count 2
		.amdhsa_user_sgpr_dispatch_ptr 0
		.amdhsa_user_sgpr_queue_ptr 0
		.amdhsa_user_sgpr_kernarg_segment_ptr 1
		.amdhsa_user_sgpr_dispatch_id 0
		.amdhsa_user_sgpr_kernarg_preload_length 0
		.amdhsa_user_sgpr_kernarg_preload_offset 0
		.amdhsa_user_sgpr_private_segment_size 0
		.amdhsa_uses_dynamic_stack 0
		.amdhsa_enable_private_segment 0
		.amdhsa_system_sgpr_workgroup_id_x 1
		.amdhsa_system_sgpr_workgroup_id_y 1
		.amdhsa_system_sgpr_workgroup_id_z 1
		.amdhsa_system_sgpr_workgroup_info 0
		.amdhsa_system_vgpr_workitem_id 0
		.amdhsa_next_free_vgpr 50
		.amdhsa_next_free_sgpr 42
		.amdhsa_accum_offset 52
		.amdhsa_reserve_vcc 1
		.amdhsa_float_round_mode_32 0
		.amdhsa_float_round_mode_16_64 0
		.amdhsa_float_denorm_mode_32 3
		.amdhsa_float_denorm_mode_16_64 3
		.amdhsa_dx10_clamp 1
		.amdhsa_ieee_mode 1
		.amdhsa_fp16_overflow 0
		.amdhsa_tg_split 0
		.amdhsa_exception_fp_ieee_invalid_op 0
		.amdhsa_exception_fp_denorm_src 0
		.amdhsa_exception_fp_ieee_div_zero 0
		.amdhsa_exception_fp_ieee_overflow 0
		.amdhsa_exception_fp_ieee_underflow 0
		.amdhsa_exception_fp_ieee_inexact 0
		.amdhsa_exception_int_div_zero 0
	.end_amdhsa_kernel
	.section	.text._ZN4vllm25paged_attention_v2_kernelIffLi32ELi32ELi128ELNS_18Fp8KVCacheDataTypeE0ELb0ELi512EEEvPfS2_PT_PKS3_PKT0_S9_ifPKiSB_iPKfiiiSD_SD_iiiii,"axG",@progbits,_ZN4vllm25paged_attention_v2_kernelIffLi32ELi32ELi128ELNS_18Fp8KVCacheDataTypeE0ELb0ELi512EEEvPfS2_PT_PKS3_PKT0_S9_ifPKiSB_iPKfiiiSD_SD_iiiii,comdat
.Lfunc_end54:
	.size	_ZN4vllm25paged_attention_v2_kernelIffLi32ELi32ELi128ELNS_18Fp8KVCacheDataTypeE0ELb0ELi512EEEvPfS2_PT_PKS3_PKT0_S9_ifPKiSB_iPKfiiiSD_SD_iiiii, .Lfunc_end54-_ZN4vllm25paged_attention_v2_kernelIffLi32ELi32ELi128ELNS_18Fp8KVCacheDataTypeE0ELb0ELi512EEEvPfS2_PT_PKS3_PKT0_S9_ifPKiSB_iPKfiiiSD_SD_iiiii
                                        ; -- End function
	.section	.AMDGPU.csdata,"",@progbits
; Kernel info:
; codeLenInByte = 4084
; NumSgprs: 48
; NumVgprs: 50
; NumAgprs: 0
; TotalNumVgprs: 50
; ScratchSize: 0
; MemoryBound: 0
; FloatMode: 240
; IeeeMode: 1
; LDSByteSize: 144 bytes/workgroup (compile time only)
; SGPRBlocks: 5
; VGPRBlocks: 6
; NumSGPRsForWavesPerEU: 48
; NumVGPRsForWavesPerEU: 50
; AccumOffset: 52
; Occupancy: 8
; WaveLimiterHint : 1
; COMPUTE_PGM_RSRC2:SCRATCH_EN: 0
; COMPUTE_PGM_RSRC2:USER_SGPR: 2
; COMPUTE_PGM_RSRC2:TRAP_HANDLER: 0
; COMPUTE_PGM_RSRC2:TGID_X_EN: 1
; COMPUTE_PGM_RSRC2:TGID_Y_EN: 1
; COMPUTE_PGM_RSRC2:TGID_Z_EN: 1
; COMPUTE_PGM_RSRC2:TIDIG_COMP_CNT: 0
; COMPUTE_PGM_RSRC3_GFX90A:ACCUM_OFFSET: 12
; COMPUTE_PGM_RSRC3_GFX90A:TG_SPLIT: 0
	.section	.text._ZN4vllm25paged_attention_v2_kernelIffLi64ELi32ELi128ELNS_18Fp8KVCacheDataTypeE0ELb0ELi512EEEvPfS2_PT_PKS3_PKT0_S9_ifPKiSB_iPKfiiiSD_SD_iiiii,"axG",@progbits,_ZN4vllm25paged_attention_v2_kernelIffLi64ELi32ELi128ELNS_18Fp8KVCacheDataTypeE0ELb0ELi512EEEvPfS2_PT_PKS3_PKT0_S9_ifPKiSB_iPKfiiiSD_SD_iiiii,comdat
	.protected	_ZN4vllm25paged_attention_v2_kernelIffLi64ELi32ELi128ELNS_18Fp8KVCacheDataTypeE0ELb0ELi512EEEvPfS2_PT_PKS3_PKT0_S9_ifPKiSB_iPKfiiiSD_SD_iiiii ; -- Begin function _ZN4vllm25paged_attention_v2_kernelIffLi64ELi32ELi128ELNS_18Fp8KVCacheDataTypeE0ELb0ELi512EEEvPfS2_PT_PKS3_PKT0_S9_ifPKiSB_iPKfiiiSD_SD_iiiii
	.globl	_ZN4vllm25paged_attention_v2_kernelIffLi64ELi32ELi128ELNS_18Fp8KVCacheDataTypeE0ELb0ELi512EEEvPfS2_PT_PKS3_PKT0_S9_ifPKiSB_iPKfiiiSD_SD_iiiii
	.p2align	8
	.type	_ZN4vllm25paged_attention_v2_kernelIffLi64ELi32ELi128ELNS_18Fp8KVCacheDataTypeE0ELb0ELi512EEEvPfS2_PT_PKS3_PKT0_S9_ifPKiSB_iPKfiiiSD_SD_iiiii,@function
_ZN4vllm25paged_attention_v2_kernelIffLi64ELi32ELi128ELNS_18Fp8KVCacheDataTypeE0ELb0ELi512EEEvPfS2_PT_PKS3_PKT0_S9_ifPKiSB_iPKfiiiSD_SD_iiiii: ; @_ZN4vllm25paged_attention_v2_kernelIffLi64ELi32ELi128ELNS_18Fp8KVCacheDataTypeE0ELb0ELi512EEEvPfS2_PT_PKS3_PKT0_S9_ifPKiSB_iPKfiiiSD_SD_iiiii
; %bb.0:
	s_load_dwordx2 s[6:7], s[0:1], 0x40
	s_mov_b32 s24, s3
	s_ashr_i32 s25, s3, 31
	s_lshl_b64 s[8:9], s[24:25], 2
	s_waitcnt lgkmcnt(0)
	s_add_u32 s6, s6, s8
	s_addc_u32 s7, s7, s9
	s_load_dword s25, s[6:7], 0x0
	s_lshl_b32 s40, s4, 9
	s_waitcnt lgkmcnt(0)
	s_cmp_ge_i32 s40, s25
	s_cbranch_scc1 .LBB55_75
; %bb.1:
	s_load_dword s5, s[0:1], 0x90
	s_load_dwordx2 s[10:11], s[0:1], 0x30
	s_waitcnt lgkmcnt(0)
	s_abs_i32 s7, s5
	s_abs_i32 s3, s10
	v_cvt_f32_u32_e32 v1, s3
	s_sub_i32 s8, 0, s3
	s_xor_b32 s6, s5, s10
	s_ashr_i32 s6, s6, 31
	v_rcp_iflag_f32_e32 v1, v1
	s_nop 0
	v_mul_f32_e32 v1, 0x4f7ffffe, v1
	v_cvt_u32_f32_e32 v1, v1
	s_nop 0
	v_readfirstlane_b32 s9, v1
	s_mul_i32 s8, s8, s9
	s_mul_hi_u32 s8, s9, s8
	s_add_i32 s9, s9, s8
	s_mul_hi_u32 s8, s7, s9
	s_mul_i32 s9, s8, s3
	s_sub_i32 s7, s7, s9
	s_add_i32 s10, s8, 1
	s_sub_i32 s9, s7, s3
	s_cmp_ge_u32 s7, s3
	s_cselect_b32 s8, s10, s8
	s_cselect_b32 s7, s9, s7
	s_add_i32 s9, s8, 1
	s_cmp_ge_u32 s7, s3
	s_cselect_b32 s3, s9, s8
	s_xor_b32 s3, s3, s6
	s_sub_i32 s12, s3, s6
	s_abs_i32 s8, s12
	v_cvt_f32_u32_e32 v1, s8
	s_load_dwordx2 s[6:7], s[0:1], 0x50
	s_sub_i32 s3, 0, s8
	s_abs_i32 s9, s2
	v_rcp_iflag_f32_e32 v1, v1
	s_mov_b32 s10, 0
	v_mul_f32_e32 v1, 0x4f7ffffe, v1
	v_cvt_u32_f32_e32 v1, v1
	s_nop 0
	v_readfirstlane_b32 s13, v1
	s_mul_i32 s3, s3, s13
	s_mul_hi_u32 s3, s13, s3
	s_add_i32 s13, s13, s3
	s_waitcnt lgkmcnt(0)
	s_cmp_eq_u64 s[6:7], 0
	s_mul_hi_u32 s16, s9, s13
	s_cbranch_scc1 .LBB55_3
; %bb.2:
	s_ashr_i32 s3, s2, 31
	s_lshl_b64 s[14:15], s[2:3], 2
	s_add_u32 s6, s6, s14
	s_addc_u32 s7, s7, s15
	s_load_dword s10, s[6:7], 0x0
.LBB55_3:
	s_ashr_i32 s18, s12, 31
	s_load_dwordx4 s[12:15], s[0:1], 0x58
	s_ashr_i32 s17, s2, 31
	v_and_b32_e32 v36, 1, v0
	s_lshl_b32 s20, s2, 6
	v_cmp_gt_u32_e32 vcc, 32, v0
	v_lshlrev_b32_e32 v2, 3, v0
	v_lshlrev_b32_e32 v48, 2, v0
	s_and_saveexec_b64 s[6:7], vcc
	s_cbranch_execz .LBB55_5
; %bb.4:
	s_load_dwordx2 s[22:23], s[0:1], 0x18
	s_waitcnt lgkmcnt(0)
	s_mul_i32 s26, s24, s12
	s_ashr_i32 s27, s26, 31
	s_lshl_b64 s[26:27], s[26:27], 2
	v_and_b32_e32 v1, 0xff8, v48
	s_add_u32 s3, s22, s26
	s_addc_u32 s12, s23, s27
	s_ashr_i32 s21, s20, 31
	s_lshl_b64 s[22:23], s[20:21], 2
	s_add_u32 s22, s3, s22
	s_addc_u32 s23, s12, s23
	global_load_dwordx2 v[4:5], v2, s[22:23]
	v_lshl_add_u32 v1, v36, 7, v1
	s_waitcnt vmcnt(0)
	ds_write_b64 v1, v[4:5]
.LBB55_5:
	s_or_b64 exec, exec, s[6:7]
	s_add_i32 s3, s25, 31
	s_ashr_i32 s6, s3, 31
	s_lshr_b32 s6, s6, 27
	s_add_i32 s3, s3, s6
	s_waitcnt lgkmcnt(0)
	s_ashr_i32 s12, s3, 5
	s_lshl_b32 s3, s4, 4
	s_mul_i32 s7, s16, s8
	s_add_i32 s6, s3, 16
	s_sub_i32 s7, s9, s7
	s_min_i32 s33, s6, s12
	s_xor_b32 s6, s17, s18
	s_add_i32 s9, s16, 1
	s_sub_i32 s15, s7, s8
	s_cmp_ge_u32 s7, s8
	s_cselect_b32 s9, s9, s16
	s_cselect_b32 s7, s15, s7
	s_add_i32 s15, s9, 1
	s_cmp_ge_u32 s7, s8
	s_load_dwordx2 s[26:27], s[0:1], 0x38
	s_load_dword s8, s[0:1], 0x48
	v_lshrrev_b32_e32 v50, 6, v0
	s_cselect_b32 s7, s15, s9
	s_xor_b32 s7, s7, s6
	v_or_b32_e32 v38, s3, v50
	s_waitcnt lgkmcnt(0)
	s_mul_i32 s28, s24, s8
	s_sub_i32 s15, s7, s6
	s_ashr_i32 s29, s28, 31
	v_cmp_gt_i32_e64 s[6:7], s33, v38
	v_cmp_le_i32_e32 vcc, s33, v38
	v_mbcnt_lo_u32_b32 v37, -1, 0
	s_barrier
	s_waitcnt lgkmcnt(0)
                                        ; implicit-def: $sgpr36
                                        ; implicit-def: $vgpr40
                                        ; implicit-def: $vgpr41
	s_and_saveexec_b64 s[8:9], vcc
	s_xor_b64 s[8:9], exec, s[8:9]
; %bb.6:
	v_mbcnt_hi_u32_b32 v40, -1, v37
	v_and_b32_e32 v1, 64, v40
	v_add_u32_e32 v41, 64, v1
	s_mov_b32 s36, 0xff7fffff
                                        ; implicit-def: $vgpr2
                                        ; implicit-def: $vgpr36
                                        ; implicit-def: $vgpr37
; %bb.7:
	s_or_saveexec_b64 s[34:35], s[8:9]
	s_load_dwordx4 s[16:19], s[0:1], 0x0
	s_load_dwordx2 s[22:23], s[0:1], 0x10
	s_load_dwordx2 s[30:31], s[0:1], 0x28
	s_load_dword s21, s[0:1], 0x98
	v_mov_b32_e32 v1, s36
	s_mul_i32 s14, s15, s14
	v_ashrrev_i32_e32 v39, 31, v38
	s_xor_b64 exec, exec, s[34:35]
	s_cbranch_execz .LBB55_13
; %bb.8:
	s_load_dwordx2 s[0:1], s[0:1], 0x20
	s_ashr_i32 s15, s14, 31
	s_lshl_b64 s[8:9], s[14:15], 2
	v_bfe_u32 v1, v0, 1, 5
	v_lshlrev_b32_e32 v4, 4, v1
	s_waitcnt lgkmcnt(0)
	s_add_u32 s0, s0, s8
	s_addc_u32 s1, s1, s9
	v_mov_b32_e32 v5, 0
	v_lshl_add_u64 v[6:7], s[0:1], 0, v[4:5]
	v_and_b32_e32 v4, 8, v2
	v_lshlrev_b32_e32 v30, 7, v36
	v_lshl_add_u64 v[34:35], v[6:7], 0, v[4:5]
	ds_read_b128 v[2:5], v30
	ds_read_b128 v[6:9], v30 offset:16
	ds_read_b128 v[10:13], v30 offset:32
	;; [unrolled: 1-line block ×7, first 2 shown]
	v_mbcnt_hi_u32_b32 v40, -1, v37
	v_and_b32_e32 v41, 64, v40
	v_xor_b32_e32 v37, 1, v40
	v_add_u32_e32 v41, 64, v41
	v_cmp_lt_i32_e32 vcc, v37, v41
	s_sub_i32 s15, 1, s25
	s_lshl_b64 s[8:9], s[28:29], 2
	v_lshlrev_b32_e32 v44, 2, v1
	v_cndmask_b32_e32 v37, v40, v37, vcc
	v_cmp_eq_u32_e32 vcc, 0, v36
	v_lshlrev_b32_e32 v36, 5, v50
	s_add_u32 s8, s26, s8
	v_add3_u32 v43, s40, v36, v1
	v_lshl_or_b32 v1, v50, 7, v44
	s_addc_u32 s9, s27, s9
	s_mov_b32 s41, s13
	v_lshlrev_b32_e32 v42, 2, v37
	v_cmp_neq_f32_e64 s[0:1], s10, 0
	v_add_u32_e32 v44, 0x110, v1
	v_lshl_add_u64 v[36:37], v[38:39], 2, s[8:9]
	s_mov_b64 s[36:37], 0
	v_mov_b32_e32 v1, 0xff7fffff
	s_movk_i32 s42, 0x1000
	v_mov_b32_e32 v45, v38
	s_branch .LBB55_10
.LBB55_9:                               ;   in Loop: Header=BB55_10 Depth=1
	s_or_b64 exec, exec, s[38:39]
	v_add_u32_e32 v45, 2, v45
	v_cmp_le_i32_e64 s[8:9], s33, v45
	v_add_u32_e32 v43, 64, v43
	v_add_u32_e32 v44, 0x100, v44
	s_or_b64 s[36:37], s[8:9], s[36:37]
	v_lshl_add_u64 v[36:37], v[36:37], 0, 8
	s_andn2_b64 exec, exec, s[36:37]
	s_cbranch_execz .LBB55_12
.LBB55_10:                              ; =>This Inner Loop Header: Depth=1
	global_load_dword v46, v[36:37], off
	s_waitcnt vmcnt(0) lgkmcnt(0)
	v_mad_i64_i32 v[46:47], s[8:9], v46, s41, 0
	v_lshl_add_u64 v[46:47], v[46:47], 2, v[34:35]
	global_load_dwordx2 v[52:53], v[46:47], off offset:512
	global_load_dwordx2 v[54:55], v[46:47], off offset:1024
	;; [unrolled: 1-line block ×3, first 2 shown]
	global_load_dwordx2 v[58:59], v[46:47], off
	global_load_dwordx2 v[60:61], v[46:47], off offset:2048
	global_load_dwordx2 v[62:63], v[46:47], off offset:2560
	;; [unrolled: 1-line block ×4, first 2 shown]
	v_add_co_u32_e64 v46, s[8:9], s42, v46
	s_waitcnt vmcnt(7) lgkmcnt(7)
	v_mul_f32_e32 v49, v4, v52
	v_addc_co_u32_e64 v47, s[8:9], 0, v47, s[8:9]
	global_load_dwordx2 v[68:69], v[46:47], off
	global_load_dwordx2 v[70:71], v[46:47], off offset:512
	global_load_dwordx2 v[72:73], v[46:47], off offset:1024
	;; [unrolled: 1-line block ×3, first 2 shown]
	v_mul_f32_e32 v51, v5, v53
	global_load_dwordx2 v[52:53], v[46:47], off offset:2048
	global_load_dwordx2 v[76:77], v[46:47], off offset:2560
	s_waitcnt vmcnt(10)
	v_fmac_f32_e32 v49, v2, v58
	v_fmac_f32_e32 v51, v3, v59
	global_load_dwordx2 v[58:59], v[46:47], off offset:3072
	s_nop 0
	global_load_dwordx2 v[46:47], v[46:47], off offset:3584
	s_waitcnt lgkmcnt(6)
	v_fmac_f32_e32 v49, v6, v54
	v_fmac_f32_e32 v51, v7, v55
	v_fmac_f32_e32 v49, v8, v56
	v_fmac_f32_e32 v51, v9, v57
	s_waitcnt vmcnt(11) lgkmcnt(5)
	v_fmac_f32_e32 v49, v10, v60
	v_fmac_f32_e32 v51, v11, v61
	s_waitcnt vmcnt(10)
	v_fmac_f32_e32 v49, v12, v62
	v_fmac_f32_e32 v51, v13, v63
	s_waitcnt vmcnt(9) lgkmcnt(4)
	v_fmac_f32_e32 v49, v14, v64
	v_fmac_f32_e32 v51, v15, v65
	s_waitcnt vmcnt(8)
	v_fmac_f32_e32 v49, v16, v66
	v_fmac_f32_e32 v51, v17, v67
	;; [unrolled: 6-line block ×6, first 2 shown]
	v_add_f32_e32 v46, v49, v51
	ds_bpermute_b32 v47, v42, v46
	s_and_saveexec_b64 s[38:39], vcc
	s_cbranch_execz .LBB55_9
; %bb.11:                               ;   in Loop: Header=BB55_10 Depth=1
	v_add_u32_e32 v49, s15, v43
	v_cvt_f32_i32_e32 v49, v49
	s_waitcnt lgkmcnt(0)
	v_add_f32_e32 v46, v46, v47
	v_cmp_gt_i32_e64 s[8:9], s25, v43
	v_max_f32_e32 v47, v1, v1
	v_mul_f32_e32 v49, s10, v49
	v_cndmask_b32_e64 v49, 0, v49, s[0:1]
	v_fmac_f32_e32 v49, s11, v46
	v_cndmask_b32_e64 v46, 0, v49, s[8:9]
	ds_write_b32 v44, v46
	v_max_f32_e32 v46, v47, v49
	v_cndmask_b32_e64 v1, v1, v46, s[8:9]
	s_branch .LBB55_9
.LBB55_12:
	s_or_b64 exec, exec, s[36:37]
.LBB55_13:
	s_or_b64 exec, exec, s[34:35]
	v_xor_b32_e32 v2, 32, v40
	v_cmp_lt_i32_e32 vcc, v2, v41
	v_xor_b32_e32 v4, 16, v40
	v_xor_b32_e32 v5, 8, v40
	v_cndmask_b32_e32 v2, v40, v2, vcc
	v_lshlrev_b32_e32 v2, 2, v2
	ds_bpermute_b32 v3, v2, v1
	v_max_f32_e32 v1, v1, v1
	v_cmp_lt_i32_e32 vcc, v4, v41
	v_xor_b32_e32 v6, 4, v40
	s_waitcnt lgkmcnt(0)
	v_max_f32_e32 v3, v3, v3
	v_max_f32_e32 v1, v1, v3
	v_cndmask_b32_e32 v3, v40, v4, vcc
	v_lshlrev_b32_e32 v3, 2, v3
	ds_bpermute_b32 v4, v3, v1
	v_cmp_lt_i32_e32 vcc, v5, v41
	s_waitcnt lgkmcnt(0)
	v_max_f32_e32 v4, v4, v4
	v_max_f32_e32 v1, v1, v4
	v_cndmask_b32_e32 v4, v40, v5, vcc
	v_lshlrev_b32_e32 v5, 2, v4
	ds_bpermute_b32 v4, v5, v1
	v_cmp_lt_i32_e32 vcc, v6, v41
	s_waitcnt lgkmcnt(0)
	v_max_f32_e32 v4, v4, v4
	v_max_f32_e32 v1, v1, v4
	v_cndmask_b32_e32 v4, v40, v6, vcc
	v_lshlrev_b32_e32 v61, 2, v4
	ds_bpermute_b32 v4, v61, v1
	v_xor_b32_e32 v6, 2, v40
	v_cmp_lt_i32_e32 vcc, v6, v41
	s_waitcnt lgkmcnt(0)
	v_max_f32_e32 v4, v4, v4
	v_max_f32_e32 v4, v1, v4
	v_cndmask_b32_e32 v1, v40, v6, vcc
	v_lshlrev_b32_e32 v60, 2, v1
	ds_bpermute_b32 v7, v60, v4
	v_and_b32_e32 v1, 63, v0
	v_cmp_eq_u32_e32 vcc, 0, v1
	v_lshlrev_b32_e32 v6, 2, v50
	s_and_saveexec_b64 s[0:1], vcc
	s_cbranch_execz .LBB55_15
; %bb.14:
	s_waitcnt lgkmcnt(0)
	v_max_f32_e32 v7, v7, v7
	v_max_f32_e32 v4, v4, v4
	;; [unrolled: 1-line block ×3, first 2 shown]
	ds_write_b32 v6, v4 offset:256
.LBB55_15:
	s_or_b64 exec, exec, s[0:1]
	v_cmp_gt_u32_e64 s[0:1], 2, v1
	v_mov_b32_e32 v4, 0xff7fffff
	s_waitcnt lgkmcnt(0)
	v_lshlrev_b32_e32 v7, 2, v1
	s_barrier
	s_and_saveexec_b64 s[8:9], s[0:1]
	s_cbranch_execz .LBB55_17
; %bb.16:
	ds_read_b32 v4, v7 offset:256
.LBB55_17:
	s_or_b64 exec, exec, s[8:9]
	v_xor_b32_e32 v8, 1, v40
	v_cmp_lt_i32_e64 s[8:9], v8, v41
	s_sub_i32 s3, s33, s3
	s_lshl_b32 s3, s3, 5
	v_cndmask_b32_e64 v8, v40, v8, s[8:9]
	v_lshlrev_b32_e32 v62, 2, v8
	s_waitcnt lgkmcnt(0)
	ds_bpermute_b32 v8, v62, v4
	v_max_f32_e32 v4, v4, v4
	s_add_i32 s3, s3, s40
	s_min_i32 s15, s3, s25
	s_sub_i32 s3, s15, s40
	s_waitcnt lgkmcnt(0)
	v_max_f32_e32 v8, v8, v8
	v_max_f32_e32 v4, v4, v8
	v_lshlrev_b32_e32 v8, 2, v40
	v_and_b32_e32 v8, 0xffffff00, v8
	ds_bpermute_b32 v4, v8, v4
	v_cmp_gt_i32_e64 s[8:9], s3, v0
	v_mov_b32_e32 v9, 0
	s_and_saveexec_b64 s[34:35], s[8:9]
	s_cbranch_execz .LBB55_21
; %bb.18:
	v_mov_b32_e32 v9, 0x110
	v_lshl_add_u32 v10, v0, 2, v9
	s_mov_b64 s[36:37], 0
	v_mov_b32_e32 v9, 0
	v_mov_b32_e32 v11, v0
.LBB55_19:                              ; =>This Inner Loop Header: Depth=1
	ds_read_b32 v12, v10
	v_add_u32_e32 v11, 0x80, v11
	v_cmp_le_i32_e64 s[10:11], s3, v11
	s_or_b64 s[36:37], s[10:11], s[36:37]
	s_waitcnt lgkmcnt(0)
	v_sub_f32_e32 v12, v12, v4
	v_mul_f32_e32 v12, 0x3fb8aa3b, v12
	v_exp_f32_e32 v12, v12
	ds_write_b32 v10, v12
	v_add_f32_e32 v9, v9, v12
	v_add_u32_e32 v10, 0x200, v10
	s_andn2_b64 exec, exec, s[36:37]
	s_cbranch_execnz .LBB55_19
; %bb.20:
	s_or_b64 exec, exec, s[36:37]
.LBB55_21:
	s_or_b64 exec, exec, s[34:35]
	ds_bpermute_b32 v2, v2, v9
	s_waitcnt lgkmcnt(0)
	v_add_f32_e32 v2, v9, v2
	ds_bpermute_b32 v3, v3, v2
	s_waitcnt lgkmcnt(0)
	v_add_f32_e32 v2, v2, v3
	;; [unrolled: 3-line block ×6, first 2 shown]
	s_and_saveexec_b64 s[10:11], vcc
	s_cbranch_execz .LBB55_23
; %bb.22:
	ds_write_b32 v6, v2 offset:264
.LBB55_23:
	s_or_b64 exec, exec, s[10:11]
	s_waitcnt lgkmcnt(0)
	s_barrier
	s_and_saveexec_b64 s[10:11], s[0:1]
	s_cbranch_execz .LBB55_25
; %bb.24:
	ds_read_b32 v2, v7 offset:264
.LBB55_25:
	s_or_b64 exec, exec, s[10:11]
	s_waitcnt lgkmcnt(0)
	ds_bpermute_b32 v3, v62, v2
	s_waitcnt lgkmcnt(0)
	v_add_f32_e32 v2, v2, v3
	ds_bpermute_b32 v5, v8, v2
	s_and_saveexec_b64 s[0:1], s[8:9]
	s_cbranch_execz .LBB55_38
; %bb.26:
	s_waitcnt lgkmcnt(0)
	v_add_f32_e32 v2, 0x358637bd, v5
	v_div_scale_f32 v3, s[8:9], v2, v2, 1.0
	v_rcp_f32_e32 v6, v3
	v_div_scale_f32 v7, vcc, 1.0, v2, 1.0
	s_movk_i32 s8, 0x7f
	v_fma_f32 v8, -v3, v6, 1.0
	v_fmac_f32_e32 v6, v8, v6
	v_mul_f32_e32 v8, v7, v6
	v_fma_f32 v9, -v3, v8, v7
	v_fmac_f32_e32 v8, v9, v6
	v_fma_f32 v3, -v3, v8, v7
	v_div_fmas_f32 v3, v3, v6, v8
	v_div_fixup_f32 v2, v3, v2, 1.0
	v_xad_u32 v3, v0, -1, s15
	v_subrev_u32_e32 v6, s40, v3
	v_cmp_lt_u32_e32 vcc, s8, v6
	s_mov_b64 s[10:11], -1
	v_mov_b32_e32 v3, v0
	s_and_saveexec_b64 s[8:9], vcc
	s_cbranch_execz .LBB55_35
; %bb.27:
	v_lshrrev_b32_e32 v6, 7, v6
	v_add_u32_e32 v8, -1, v6
	v_lshrrev_b32_e32 v7, 1, v8
	v_mov_b32_e32 v3, v2
	v_add_u32_e32 v7, 1, v7
	v_cmp_lt_u32_e32 vcc, 13, v8
	v_mov_b32_e32 v10, 0
	s_and_saveexec_b64 s[10:11], vcc
	s_cbranch_execz .LBB55_31
; %bb.28:
	v_mov_b32_e32 v9, 0x110
	v_and_b32_e32 v8, -8, v7
	v_lshl_add_u32 v9, v0, 2, v9
	s_mov_b32 s15, 0
	s_mov_b64 s[34:35], 0
.LBB55_29:                              ; =>This Inner Loop Header: Depth=1
	ds_read2st64_b32 v[10:11], v9 offset1:2
	ds_read2st64_b32 v[12:13], v9 offset0:4 offset1:6
	ds_read2st64_b32 v[14:15], v9 offset0:8 offset1:10
	;; [unrolled: 1-line block ×3, first 2 shown]
	v_add_u32_e32 v8, -8, v8
	s_waitcnt lgkmcnt(3)
	v_pk_mul_f32 v[10:11], v[2:3], v[10:11]
	s_waitcnt lgkmcnt(2)
	v_pk_mul_f32 v[12:13], v[2:3], v[12:13]
	ds_write2st64_b32 v9, v10, v11 offset1:2
	ds_write2st64_b32 v9, v12, v13 offset0:4 offset1:6
	ds_read2st64_b32 v[12:13], v9 offset0:16 offset1:18
	s_waitcnt lgkmcnt(4)
	v_pk_mul_f32 v[10:11], v[2:3], v[14:15]
	ds_write2st64_b32 v9, v10, v11 offset0:8 offset1:10
	s_waitcnt lgkmcnt(4)
	v_pk_mul_f32 v[10:11], v[2:3], v[16:17]
	ds_write2st64_b32 v9, v10, v11 offset0:12 offset1:14
	ds_read2st64_b32 v[10:11], v9 offset0:20 offset1:22
	s_waitcnt lgkmcnt(3)
	v_pk_mul_f32 v[12:13], v[2:3], v[12:13]
	ds_read2st64_b32 v[14:15], v9 offset0:24 offset1:26
	ds_write2st64_b32 v9, v12, v13 offset0:16 offset1:18
	ds_read2st64_b32 v[12:13], v9 offset0:28 offset1:30
	s_waitcnt lgkmcnt(3)
	v_pk_mul_f32 v[10:11], v[2:3], v[10:11]
	ds_write2st64_b32 v9, v10, v11 offset0:20 offset1:22
	s_waitcnt lgkmcnt(3)
	v_pk_mul_f32 v[10:11], v[2:3], v[14:15]
	ds_write2st64_b32 v9, v10, v11 offset0:24 offset1:26
	s_waitcnt lgkmcnt(2)
	v_pk_mul_f32 v[10:11], v[2:3], v[12:13]
	s_add_i32 s15, s15, 16
	v_cmp_eq_u32_e32 vcc, 0, v8
	ds_write2st64_b32 v9, v10, v11 offset0:28 offset1:30
	v_add_u32_e32 v9, 0x2000, v9
	s_or_b64 s[34:35], vcc, s[34:35]
	v_mov_b32_e32 v10, s15
	s_andn2_b64 exec, exec, s[34:35]
	s_cbranch_execnz .LBB55_29
; %bb.30:
	s_or_b64 exec, exec, s[34:35]
.LBB55_31:
	s_or_b64 exec, exec, s[10:11]
	v_and_b32_e32 v7, 7, v7
	v_cmp_ne_u32_e32 vcc, 0, v7
	s_and_saveexec_b64 s[10:11], vcc
	s_cbranch_execz .LBB55_34
; %bb.32:
	v_lshlrev_b32_e32 v8, 9, v10
	s_movk_i32 s15, 0x110
	v_add3_u32 v8, v8, v48, s15
	s_mov_b64 s[34:35], 0
.LBB55_33:                              ; =>This Inner Loop Header: Depth=1
	ds_read2st64_b32 v[10:11], v8 offset1:2
	v_add_u32_e32 v7, -1, v7
	v_cmp_eq_u32_e32 vcc, 0, v7
	s_or_b64 s[34:35], vcc, s[34:35]
	s_waitcnt lgkmcnt(0)
	v_pk_mul_f32 v[10:11], v[2:3], v[10:11]
	ds_write2st64_b32 v8, v10, v11 offset1:2
	v_add_u32_e32 v8, 0x400, v8
	s_andn2_b64 exec, exec, s[34:35]
	s_cbranch_execnz .LBB55_33
.LBB55_34:
	s_or_b64 exec, exec, s[10:11]
	v_add_u32_e32 v6, 1, v6
	v_and_b32_e32 v7, 0x3fffffe, v6
	v_cmp_ne_u32_e32 vcc, v6, v7
	v_lshl_add_u32 v3, v7, 7, v0
	s_orn2_b64 s[10:11], vcc, exec
.LBB55_35:
	s_or_b64 exec, exec, s[8:9]
	s_and_b64 exec, exec, s[10:11]
	s_cbranch_execz .LBB55_38
; %bb.36:
	v_mov_b32_e32 v6, 0x110
	v_lshl_add_u32 v6, v3, 2, v6
	s_mov_b64 s[8:9], 0
.LBB55_37:                              ; =>This Inner Loop Header: Depth=1
	ds_read_b32 v7, v6
	v_add_u32_e32 v3, 0x80, v3
	v_cmp_le_i32_e32 vcc, s3, v3
	s_or_b64 s[8:9], vcc, s[8:9]
	s_waitcnt lgkmcnt(0)
	v_mul_f32_e32 v7, v2, v7
	ds_write_b32 v6, v7
	v_add_u32_e32 v6, 0x200, v6
	s_andn2_b64 exec, exec, s[8:9]
	s_cbranch_execnz .LBB55_37
.LBB55_38:
	s_or_b64 exec, exec, s[0:1]
	s_mul_i32 s0, s21, s24
	v_cmp_eq_u32_e32 vcc, 0, v0
	s_mul_i32 s8, s0, s5
	s_waitcnt lgkmcnt(0)
	s_barrier
	s_and_saveexec_b64 s[0:1], vcc
	s_cbranch_execz .LBB55_40
; %bb.39:
	s_ashr_i32 s9, s8, 31
	s_lshl_b64 s[10:11], s[8:9], 2
	s_add_u32 s5, s18, s10
	s_mul_i32 s2, s21, s2
	s_addc_u32 s9, s19, s11
	s_ashr_i32 s3, s2, 31
	s_lshl_b64 s[2:3], s[2:3], 2
	s_add_u32 s15, s5, s2
	s_addc_u32 s9, s9, s3
	s_ashr_i32 s5, s4, 31
	s_lshl_b64 s[18:19], s[4:5], 2
	s_add_u32 s34, s15, s18
	s_addc_u32 s35, s9, s19
	s_add_u32 s5, s16, s10
	s_addc_u32 s9, s17, s11
	;; [unrolled: 2-line block ×3, first 2 shown]
	s_add_u32 s2, s2, s18
	v_mov_b32_e32 v2, 0
	s_addc_u32 s3, s3, s19
	global_store_dword v2, v4, s[34:35]
	global_store_dword v2, v5, s[2:3]
.LBB55_40:
	s_or_b64 exec, exec, s[0:1]
	v_mov_b32_e32 v41, 0
	v_and_b32_e32 v63, 7, v0
	v_mov_b32_e32 v40, 0
	v_mov_b32_e32 v43, 0
	;; [unrolled: 1-line block ×7, first 2 shown]
	s_and_saveexec_b64 s[2:3], s[6:7]
	s_cbranch_execz .LBB55_60
; %bb.41:
	s_ashr_i32 s15, s14, 31
	s_lshl_b64 s[0:1], s[14:15], 2
	s_add_u32 s6, s30, s0
	v_and_b32_e32 v3, 28, v48
	s_addc_u32 s7, s31, s1
	s_add_i32 s9, s12, -1
	v_lshl_add_u32 v5, v50, 5, s40
	s_lshl_b64 s[0:1], s[28:29], 2
	v_and_b32_e32 v2, 0xfc, v48
	v_add3_u32 v64, v5, v3, 3
	v_lshlrev_b32_e32 v3, 4, v63
	s_add_u32 s0, s26, s0
	v_mov_b32_e32 v49, 0
	v_or_b32_e32 v4, 0x400, v2
	v_or_b32_e32 v6, 0x500, v2
	;; [unrolled: 1-line block ×4, first 2 shown]
	v_lshl_or_b32 v3, v50, 7, v3
	s_addc_u32 s1, s27, s1
	s_mov_b32 s5, s13
	v_add_u32_e32 v65, 0x110, v3
	v_lshl_add_u64 v[50:51], v[38:39], 2, s[0:1]
	s_mov_b64 s[10:11], 0
	v_lshlrev_b32_e32 v52, 2, v2
	v_mov_b32_e32 v53, v49
	v_lshlrev_b32_e32 v48, 2, v4
	v_lshlrev_b32_e32 v54, 2, v6
	;; [unrolled: 1-line block ×4, first 2 shown]
	v_mov_b32_e32 v46, v49
	v_mov_b32_e32 v47, v49
	;; [unrolled: 1-line block ×8, first 2 shown]
	s_branch .LBB55_43
.LBB55_42:                              ;   in Loop: Header=BB55_43 Depth=1
	s_or_b64 exec, exec, s[0:1]
	s_waitcnt vmcnt(7) lgkmcnt(0)
	v_mul_f32_e32 v7, v3, v7
	v_fmac_f32_e32 v7, v2, v6
	s_waitcnt vmcnt(6)
	v_mul_f32_e32 v6, v3, v11
	v_fmac_f32_e32 v6, v2, v10
	v_fmac_f32_e32 v6, v4, v12
	v_fmac_f32_e32 v6, v5, v13
	v_add_f32_e32 v47, v47, v6
	s_waitcnt vmcnt(5)
	v_mul_f32_e32 v6, v3, v15
	v_fmac_f32_e32 v6, v2, v14
	v_fmac_f32_e32 v6, v4, v16
	v_fmac_f32_e32 v6, v5, v17
	v_add_f32_e32 v44, v44, v6
	;; [unrolled: 6-line block ×5, first 2 shown]
	s_waitcnt vmcnt(1)
	v_mul_f32_e32 v6, v3, v31
	s_waitcnt vmcnt(0)
	v_mul_f32_e32 v3, v3, v35
	v_fmac_f32_e32 v6, v2, v30
	v_fmac_f32_e32 v3, v2, v34
	;; [unrolled: 1-line block ×5, first 2 shown]
	v_add_u32_e32 v38, 2, v38
	v_fmac_f32_e32 v7, v5, v9
	v_fmac_f32_e32 v6, v5, v33
	;; [unrolled: 1-line block ×3, first 2 shown]
	v_cmp_le_i32_e32 vcc, s33, v38
	v_add_f32_e32 v46, v46, v7
	v_add_f32_e32 v40, v40, v6
	;; [unrolled: 1-line block ×3, first 2 shown]
	v_add_u32_e32 v64, 64, v64
	v_add_u32_e32 v65, 0x100, v65
	s_or_b64 s[10:11], vcc, s[10:11]
	v_lshl_add_u64 v[50:51], v[50:51], 0, 8
	s_andn2_b64 exec, exec, s[10:11]
	s_cbranch_execz .LBB55_59
.LBB55_43:                              ; =>This Inner Loop Header: Depth=1
	global_load_dword v2, v[50:51], off
	v_add_u32_e32 v39, -3, v64
	v_cmp_eq_u32_e32 vcc, s9, v38
	v_add_u32_e32 v67, -2, v64
	v_add_u32_e32 v66, -1, v64
	s_waitcnt vmcnt(0)
	v_mad_i64_i32 v[2:3], s[0:1], v2, s5, 0
	v_lshl_add_u64 v[34:35], v[2:3], 2, s[6:7]
	v_lshl_add_u64 v[18:19], v[34:35], 0, v[52:53]
	global_load_dwordx4 v[6:9], v[18:19], off
	ds_read_b128 v[2:5], v65
	s_and_saveexec_b64 s[12:13], vcc
	s_cbranch_execnz .LBB55_56
; %bb.44:                               ;   in Loop: Header=BB55_43 Depth=1
	s_or_b64 exec, exec, s[12:13]
	global_load_dwordx4 v[10:13], v[18:19], off offset:1024
	s_and_saveexec_b64 s[12:13], vcc
	s_cbranch_execnz .LBB55_57
.LBB55_45:                              ;   in Loop: Header=BB55_43 Depth=1
	s_or_b64 exec, exec, s[12:13]
	global_load_dwordx4 v[14:17], v[18:19], off offset:2048
	s_and_saveexec_b64 s[12:13], vcc
	s_cbranch_execnz .LBB55_58
.LBB55_46:                              ;   in Loop: Header=BB55_43 Depth=1
	s_or_b64 exec, exec, s[12:13]
	global_load_dwordx4 v[18:21], v[18:19], off offset:3072
	s_and_saveexec_b64 s[12:13], vcc
	s_cbranch_execz .LBB55_48
.LBB55_47:                              ;   in Loop: Header=BB55_43 Depth=1
	v_cmp_gt_i32_e64 s[0:1], s25, v39
	s_waitcnt vmcnt(0)
	s_nop 0
	v_cndmask_b32_e64 v18, 0, v18, s[0:1]
	v_cmp_gt_i32_e64 s[0:1], s25, v67
	s_nop 1
	v_cndmask_b32_e64 v19, 0, v19, s[0:1]
	v_cmp_gt_i32_e64 s[0:1], s25, v66
	;; [unrolled: 3-line block ×3, first 2 shown]
	s_nop 1
	v_cndmask_b32_e64 v21, 0, v21, s[0:1]
.LBB55_48:                              ;   in Loop: Header=BB55_43 Depth=1
	s_or_b64 exec, exec, s[12:13]
	v_lshl_add_u64 v[22:23], v[34:35], 0, v[48:49]
	global_load_dwordx4 v[22:25], v[22:23], off
	s_and_saveexec_b64 s[12:13], vcc
	s_cbranch_execz .LBB55_50
; %bb.49:                               ;   in Loop: Header=BB55_43 Depth=1
	v_cmp_gt_i32_e64 s[0:1], s25, v39
	s_waitcnt vmcnt(0)
	s_nop 0
	v_cndmask_b32_e64 v22, 0, v22, s[0:1]
	v_cmp_gt_i32_e64 s[0:1], s25, v67
	s_nop 1
	v_cndmask_b32_e64 v23, 0, v23, s[0:1]
	v_cmp_gt_i32_e64 s[0:1], s25, v66
	s_nop 1
	v_cndmask_b32_e64 v24, 0, v24, s[0:1]
	v_cmp_gt_i32_e64 s[0:1], s25, v64
	s_nop 1
	v_cndmask_b32_e64 v25, 0, v25, s[0:1]
.LBB55_50:                              ;   in Loop: Header=BB55_43 Depth=1
	s_or_b64 exec, exec, s[12:13]
	v_mov_b32_e32 v55, v49
	v_lshl_add_u64 v[26:27], v[34:35], 0, v[54:55]
	global_load_dwordx4 v[26:29], v[26:27], off
	s_and_saveexec_b64 s[12:13], vcc
	s_cbranch_execz .LBB55_52
; %bb.51:                               ;   in Loop: Header=BB55_43 Depth=1
	v_cmp_gt_i32_e64 s[0:1], s25, v39
	s_waitcnt vmcnt(0)
	s_nop 0
	v_cndmask_b32_e64 v26, 0, v26, s[0:1]
	v_cmp_gt_i32_e64 s[0:1], s25, v67
	s_nop 1
	v_cndmask_b32_e64 v27, 0, v27, s[0:1]
	v_cmp_gt_i32_e64 s[0:1], s25, v66
	s_nop 1
	v_cndmask_b32_e64 v28, 0, v28, s[0:1]
	v_cmp_gt_i32_e64 s[0:1], s25, v64
	s_nop 1
	v_cndmask_b32_e64 v29, 0, v29, s[0:1]
.LBB55_52:                              ;   in Loop: Header=BB55_43 Depth=1
	s_or_b64 exec, exec, s[12:13]
	v_mov_b32_e32 v57, v49
	;; [unrolled: 21-line block ×3, first 2 shown]
	v_lshl_add_u64 v[34:35], v[34:35], 0, v[58:59]
	global_load_dwordx4 v[34:37], v[34:35], off
	s_and_saveexec_b64 s[0:1], vcc
	s_cbranch_execz .LBB55_42
; %bb.55:                               ;   in Loop: Header=BB55_43 Depth=1
	v_cmp_gt_i32_e32 vcc, s25, v39
	s_waitcnt vmcnt(0)
	s_nop 0
	v_cndmask_b32_e32 v34, 0, v34, vcc
	v_cmp_gt_i32_e32 vcc, s25, v67
	s_nop 1
	v_cndmask_b32_e32 v35, 0, v35, vcc
	v_cmp_gt_i32_e32 vcc, s25, v66
	;; [unrolled: 3-line block ×3, first 2 shown]
	s_nop 1
	v_cndmask_b32_e32 v37, 0, v37, vcc
	s_branch .LBB55_42
.LBB55_56:                              ;   in Loop: Header=BB55_43 Depth=1
	v_cmp_gt_i32_e64 s[0:1], s25, v39
	s_waitcnt vmcnt(0)
	s_nop 0
	v_cndmask_b32_e64 v6, 0, v6, s[0:1]
	v_cmp_gt_i32_e64 s[0:1], s25, v67
	s_nop 1
	v_cndmask_b32_e64 v7, 0, v7, s[0:1]
	v_cmp_gt_i32_e64 s[0:1], s25, v66
	;; [unrolled: 3-line block ×3, first 2 shown]
	s_nop 1
	v_cndmask_b32_e64 v9, 0, v9, s[0:1]
	s_or_b64 exec, exec, s[12:13]
	global_load_dwordx4 v[10:13], v[18:19], off offset:1024
	s_and_saveexec_b64 s[12:13], vcc
	s_cbranch_execz .LBB55_45
.LBB55_57:                              ;   in Loop: Header=BB55_43 Depth=1
	v_cmp_gt_i32_e64 s[0:1], s25, v39
	s_waitcnt vmcnt(0)
	s_nop 0
	v_cndmask_b32_e64 v10, 0, v10, s[0:1]
	v_cmp_gt_i32_e64 s[0:1], s25, v67
	s_nop 1
	v_cndmask_b32_e64 v11, 0, v11, s[0:1]
	v_cmp_gt_i32_e64 s[0:1], s25, v66
	s_nop 1
	v_cndmask_b32_e64 v12, 0, v12, s[0:1]
	v_cmp_gt_i32_e64 s[0:1], s25, v64
	s_nop 1
	v_cndmask_b32_e64 v13, 0, v13, s[0:1]
	s_or_b64 exec, exec, s[12:13]
	global_load_dwordx4 v[14:17], v[18:19], off offset:2048
	s_and_saveexec_b64 s[12:13], vcc
	s_cbranch_execz .LBB55_46
.LBB55_58:                              ;   in Loop: Header=BB55_43 Depth=1
	v_cmp_gt_i32_e64 s[0:1], s25, v39
	s_waitcnt vmcnt(0)
	s_nop 0
	v_cndmask_b32_e64 v14, 0, v14, s[0:1]
	v_cmp_gt_i32_e64 s[0:1], s25, v67
	s_nop 1
	v_cndmask_b32_e64 v15, 0, v15, s[0:1]
	v_cmp_gt_i32_e64 s[0:1], s25, v66
	;; [unrolled: 3-line block ×3, first 2 shown]
	s_nop 1
	v_cndmask_b32_e64 v17, 0, v17, s[0:1]
	s_or_b64 exec, exec, s[12:13]
	global_load_dwordx4 v[18:21], v[18:19], off offset:3072
	s_and_saveexec_b64 s[12:13], vcc
	s_cbranch_execnz .LBB55_47
	s_branch .LBB55_48
.LBB55_59:
	s_or_b64 exec, exec, s[10:11]
.LBB55_60:
	s_or_b64 exec, exec, s[2:3]
	ds_bpermute_b32 v4, v61, v44
	ds_bpermute_b32 v5, v61, v45
	;; [unrolled: 1-line block ×6, first 2 shown]
	s_waitcnt lgkmcnt(4)
	v_pk_add_f32 v[4:5], v[44:45], v[4:5]
	ds_bpermute_b32 v8, v60, v4
	ds_bpermute_b32 v9, v60, v5
	s_waitcnt lgkmcnt(4)
	v_pk_add_f32 v[2:3], v[46:47], v[2:3]
	s_waitcnt lgkmcnt(2)
	v_pk_add_f32 v[10:11], v[42:43], v[10:11]
	ds_bpermute_b32 v6, v60, v2
	ds_bpermute_b32 v7, v60, v3
	s_waitcnt lgkmcnt(2)
	v_pk_add_f32 v[4:5], v[4:5], v[8:9]
	ds_bpermute_b32 v8, v61, v40
	ds_bpermute_b32 v9, v61, v41
	;; [unrolled: 1-line block ×4, first 2 shown]
	s_waitcnt lgkmcnt(4)
	v_pk_add_f32 v[2:3], v[2:3], v[6:7]
	ds_bpermute_b32 v6, v62, v2
	s_waitcnt lgkmcnt(3)
	v_pk_add_f32 v[8:9], v[40:41], v[8:9]
	ds_bpermute_b32 v16, v60, v8
	ds_bpermute_b32 v17, v60, v9
	s_waitcnt lgkmcnt(3)
	v_pk_add_f32 v[10:11], v[10:11], v[14:15]
	ds_bpermute_b32 v7, v62, v3
	ds_bpermute_b32 v14, v62, v10
	;; [unrolled: 1-line block ×3, first 2 shown]
	s_waitcnt lgkmcnt(3)
	v_pk_add_f32 v[16:17], v[8:9], v[16:17]
	ds_bpermute_b32 v12, v62, v4
	ds_bpermute_b32 v13, v62, v5
	;; [unrolled: 1-line block ×4, first 2 shown]
	s_waitcnt lgkmcnt(6)
	v_pk_add_f32 v[8:9], v[2:3], v[6:7]
	s_waitcnt lgkmcnt(4)
	v_pk_add_f32 v[2:3], v[10:11], v[14:15]
	v_and_b32_e32 v10, 0x3c7, v0
	s_waitcnt lgkmcnt(2)
	v_pk_add_f32 v[6:7], v[4:5], v[12:13]
	s_waitcnt lgkmcnt(0)
	v_pk_add_f32 v[4:5], v[16:17], v[18:19]
	v_cmp_eq_u32_e32 vcc, 64, v10
	s_barrier
	s_and_saveexec_b64 s[0:1], vcc
	s_cbranch_execz .LBB55_62
; %bb.61:
	v_lshrrev_b32_e32 v1, 1, v1
	v_add_u32_e32 v1, 0x110, v1
	ds_write2_b32 v1, v8, v9 offset1:8
	ds_write2_b32 v1, v6, v7 offset0:16 offset1:24
	ds_write2_b32 v1, v2, v3 offset0:32 offset1:40
	;; [unrolled: 1-line block ×3, first 2 shown]
.LBB55_62:
	s_or_b64 exec, exec, s[0:1]
	v_cmp_gt_u32_e32 vcc, 64, v0
	s_waitcnt lgkmcnt(0)
	s_barrier
	s_and_saveexec_b64 s[0:1], vcc
	s_cbranch_execz .LBB55_73
; %bb.63:
	v_cmp_eq_u32_e32 vcc, 0, v63
	v_lshrrev_b32_e32 v1, 3, v0
	s_and_saveexec_b64 s[2:3], vcc
	s_cbranch_execnz .LBB55_76
; %bb.64:
	s_or_b64 exec, exec, s[2:3]
	s_and_saveexec_b64 s[2:3], vcc
	s_cbranch_execnz .LBB55_77
.LBB55_65:
	s_or_b64 exec, exec, s[2:3]
	s_and_saveexec_b64 s[2:3], vcc
	s_cbranch_execnz .LBB55_78
.LBB55_66:
	s_or_b64 exec, exec, s[2:3]
	s_and_saveexec_b64 s[2:3], vcc
	s_cbranch_execnz .LBB55_79
.LBB55_67:
	s_or_b64 exec, exec, s[2:3]
	s_and_saveexec_b64 s[2:3], vcc
	s_cbranch_execnz .LBB55_80
.LBB55_68:
	s_or_b64 exec, exec, s[2:3]
	s_and_saveexec_b64 s[2:3], vcc
	s_cbranch_execnz .LBB55_81
.LBB55_69:
	s_or_b64 exec, exec, s[2:3]
	s_and_saveexec_b64 s[2:3], vcc
	s_cbranch_execnz .LBB55_82
.LBB55_70:
	s_or_b64 exec, exec, s[2:3]
	s_and_saveexec_b64 s[2:3], vcc
	s_cbranch_execz .LBB55_72
.LBB55_71:
	v_mov_b32_e32 v11, 0x110
	v_lshl_add_u32 v1, v1, 2, v11
	ds_read_b32 v1, v1 offset:224
	s_waitcnt lgkmcnt(0)
	v_add_f32_e32 v5, v5, v1
.LBB55_72:
	s_or_b64 exec, exec, s[2:3]
.LBB55_73:
	s_or_b64 exec, exec, s[0:1]
	v_cmp_eq_u32_e32 vcc, 0, v10
	s_barrier
	s_and_saveexec_b64 s[0:1], vcc
	s_cbranch_execz .LBB55_75
; %bb.74:
	s_lshl_b32 s0, s8, 6
	s_ashr_i32 s1, s0, 31
	s_lshl_b64 s[0:1], s[0:1], 2
	s_add_u32 s2, s22, s0
	s_mul_i32 s0, s21, s20
	s_addc_u32 s3, s23, s1
	s_ashr_i32 s1, s0, 31
	s_lshl_b64 s[0:1], s[0:1], 2
	s_add_u32 s2, s2, s0
	s_addc_u32 s3, s3, s1
	s_lshl_b32 s0, s4, 6
	s_ashr_i32 s1, s0, 31
	s_lshl_b64 s[0:1], s[0:1], 2
	s_add_u32 s0, s2, s0
	s_addc_u32 s1, s3, s1
	v_lshrrev_b32_e32 v0, 1, v0
	global_store_dword v0, v8, s[0:1]
	global_store_dword v0, v9, s[0:1] offset:32
	global_store_dword v0, v6, s[0:1] offset:64
	;; [unrolled: 1-line block ×7, first 2 shown]
.LBB55_75:
	s_endpgm
.LBB55_76:
	v_mov_b32_e32 v11, 0x110
	v_lshl_add_u32 v11, v1, 2, v11
	ds_read_b32 v11, v11
	s_waitcnt lgkmcnt(0)
	v_add_f32_e32 v8, v8, v11
	s_or_b64 exec, exec, s[2:3]
	s_and_saveexec_b64 s[2:3], vcc
	s_cbranch_execz .LBB55_65
.LBB55_77:
	v_mov_b32_e32 v11, 0x110
	v_lshl_add_u32 v11, v1, 2, v11
	ds_read_b32 v11, v11 offset:32
	s_waitcnt lgkmcnt(0)
	v_add_f32_e32 v9, v9, v11
	s_or_b64 exec, exec, s[2:3]
	s_and_saveexec_b64 s[2:3], vcc
	s_cbranch_execz .LBB55_66
.LBB55_78:
	v_mov_b32_e32 v11, 0x110
	v_lshl_add_u32 v11, v1, 2, v11
	ds_read_b32 v11, v11 offset:64
	s_waitcnt lgkmcnt(0)
	v_add_f32_e32 v6, v6, v11
	s_or_b64 exec, exec, s[2:3]
	s_and_saveexec_b64 s[2:3], vcc
	s_cbranch_execz .LBB55_67
.LBB55_79:
	v_mov_b32_e32 v11, 0x110
	v_lshl_add_u32 v11, v1, 2, v11
	ds_read_b32 v11, v11 offset:96
	s_waitcnt lgkmcnt(0)
	v_add_f32_e32 v7, v7, v11
	s_or_b64 exec, exec, s[2:3]
	s_and_saveexec_b64 s[2:3], vcc
	s_cbranch_execz .LBB55_68
.LBB55_80:
	v_mov_b32_e32 v11, 0x110
	v_lshl_add_u32 v11, v1, 2, v11
	ds_read_b32 v11, v11 offset:128
	s_waitcnt lgkmcnt(0)
	v_add_f32_e32 v2, v2, v11
	s_or_b64 exec, exec, s[2:3]
	s_and_saveexec_b64 s[2:3], vcc
	s_cbranch_execz .LBB55_69
.LBB55_81:
	v_mov_b32_e32 v11, 0x110
	v_lshl_add_u32 v11, v1, 2, v11
	ds_read_b32 v11, v11 offset:160
	s_waitcnt lgkmcnt(0)
	v_add_f32_e32 v3, v3, v11
	s_or_b64 exec, exec, s[2:3]
	s_and_saveexec_b64 s[2:3], vcc
	s_cbranch_execz .LBB55_70
.LBB55_82:
	v_mov_b32_e32 v11, 0x110
	v_lshl_add_u32 v11, v1, 2, v11
	ds_read_b32 v11, v11 offset:192
	s_waitcnt lgkmcnt(0)
	v_add_f32_e32 v4, v4, v11
	s_or_b64 exec, exec, s[2:3]
	s_and_saveexec_b64 s[2:3], vcc
	s_cbranch_execnz .LBB55_71
	s_branch .LBB55_72
	.section	.rodata,"a",@progbits
	.p2align	6, 0x0
	.amdhsa_kernel _ZN4vllm25paged_attention_v2_kernelIffLi64ELi32ELi128ELNS_18Fp8KVCacheDataTypeE0ELb0ELi512EEEvPfS2_PT_PKS3_PKT0_S9_ifPKiSB_iPKfiiiSD_SD_iiiii
		.amdhsa_group_segment_fixed_size 272
		.amdhsa_private_segment_fixed_size 0
		.amdhsa_kernarg_size 400
		.amdhsa_user_sgpr_count 2
		.amdhsa_user_sgpr_dispatch_ptr 0
		.amdhsa_user_sgpr_queue_ptr 0
		.amdhsa_user_sgpr_kernarg_segment_ptr 1
		.amdhsa_user_sgpr_dispatch_id 0
		.amdhsa_user_sgpr_kernarg_preload_length 0
		.amdhsa_user_sgpr_kernarg_preload_offset 0
		.amdhsa_user_sgpr_private_segment_size 0
		.amdhsa_uses_dynamic_stack 0
		.amdhsa_enable_private_segment 0
		.amdhsa_system_sgpr_workgroup_id_x 1
		.amdhsa_system_sgpr_workgroup_id_y 1
		.amdhsa_system_sgpr_workgroup_id_z 1
		.amdhsa_system_sgpr_workgroup_info 0
		.amdhsa_system_vgpr_workitem_id 0
		.amdhsa_next_free_vgpr 78
		.amdhsa_next_free_sgpr 43
		.amdhsa_accum_offset 80
		.amdhsa_reserve_vcc 1
		.amdhsa_float_round_mode_32 0
		.amdhsa_float_round_mode_16_64 0
		.amdhsa_float_denorm_mode_32 3
		.amdhsa_float_denorm_mode_16_64 3
		.amdhsa_dx10_clamp 1
		.amdhsa_ieee_mode 1
		.amdhsa_fp16_overflow 0
		.amdhsa_tg_split 0
		.amdhsa_exception_fp_ieee_invalid_op 0
		.amdhsa_exception_fp_denorm_src 0
		.amdhsa_exception_fp_ieee_div_zero 0
		.amdhsa_exception_fp_ieee_overflow 0
		.amdhsa_exception_fp_ieee_underflow 0
		.amdhsa_exception_fp_ieee_inexact 0
		.amdhsa_exception_int_div_zero 0
	.end_amdhsa_kernel
	.section	.text._ZN4vllm25paged_attention_v2_kernelIffLi64ELi32ELi128ELNS_18Fp8KVCacheDataTypeE0ELb0ELi512EEEvPfS2_PT_PKS3_PKT0_S9_ifPKiSB_iPKfiiiSD_SD_iiiii,"axG",@progbits,_ZN4vllm25paged_attention_v2_kernelIffLi64ELi32ELi128ELNS_18Fp8KVCacheDataTypeE0ELb0ELi512EEEvPfS2_PT_PKS3_PKT0_S9_ifPKiSB_iPKfiiiSD_SD_iiiii,comdat
.Lfunc_end55:
	.size	_ZN4vllm25paged_attention_v2_kernelIffLi64ELi32ELi128ELNS_18Fp8KVCacheDataTypeE0ELb0ELi512EEEvPfS2_PT_PKS3_PKT0_S9_ifPKiSB_iPKfiiiSD_SD_iiiii, .Lfunc_end55-_ZN4vllm25paged_attention_v2_kernelIffLi64ELi32ELi128ELNS_18Fp8KVCacheDataTypeE0ELb0ELi512EEEvPfS2_PT_PKS3_PKT0_S9_ifPKiSB_iPKfiiiSD_SD_iiiii
                                        ; -- End function
	.section	.AMDGPU.csdata,"",@progbits
; Kernel info:
; codeLenInByte = 5388
; NumSgprs: 49
; NumVgprs: 78
; NumAgprs: 0
; TotalNumVgprs: 78
; ScratchSize: 0
; MemoryBound: 0
; FloatMode: 240
; IeeeMode: 1
; LDSByteSize: 272 bytes/workgroup (compile time only)
; SGPRBlocks: 6
; VGPRBlocks: 9
; NumSGPRsForWavesPerEU: 49
; NumVGPRsForWavesPerEU: 78
; AccumOffset: 80
; Occupancy: 6
; WaveLimiterHint : 1
; COMPUTE_PGM_RSRC2:SCRATCH_EN: 0
; COMPUTE_PGM_RSRC2:USER_SGPR: 2
; COMPUTE_PGM_RSRC2:TRAP_HANDLER: 0
; COMPUTE_PGM_RSRC2:TGID_X_EN: 1
; COMPUTE_PGM_RSRC2:TGID_Y_EN: 1
; COMPUTE_PGM_RSRC2:TGID_Z_EN: 1
; COMPUTE_PGM_RSRC2:TIDIG_COMP_CNT: 0
; COMPUTE_PGM_RSRC3_GFX90A:ACCUM_OFFSET: 19
; COMPUTE_PGM_RSRC3_GFX90A:TG_SPLIT: 0
	.section	.text._ZN4vllm25paged_attention_v2_kernelIffLi80ELi32ELi128ELNS_18Fp8KVCacheDataTypeE0ELb0ELi512EEEvPfS2_PT_PKS3_PKT0_S9_ifPKiSB_iPKfiiiSD_SD_iiiii,"axG",@progbits,_ZN4vllm25paged_attention_v2_kernelIffLi80ELi32ELi128ELNS_18Fp8KVCacheDataTypeE0ELb0ELi512EEEvPfS2_PT_PKS3_PKT0_S9_ifPKiSB_iPKfiiiSD_SD_iiiii,comdat
	.protected	_ZN4vllm25paged_attention_v2_kernelIffLi80ELi32ELi128ELNS_18Fp8KVCacheDataTypeE0ELb0ELi512EEEvPfS2_PT_PKS3_PKT0_S9_ifPKiSB_iPKfiiiSD_SD_iiiii ; -- Begin function _ZN4vllm25paged_attention_v2_kernelIffLi80ELi32ELi128ELNS_18Fp8KVCacheDataTypeE0ELb0ELi512EEEvPfS2_PT_PKS3_PKT0_S9_ifPKiSB_iPKfiiiSD_SD_iiiii
	.globl	_ZN4vllm25paged_attention_v2_kernelIffLi80ELi32ELi128ELNS_18Fp8KVCacheDataTypeE0ELb0ELi512EEEvPfS2_PT_PKS3_PKT0_S9_ifPKiSB_iPKfiiiSD_SD_iiiii
	.p2align	8
	.type	_ZN4vllm25paged_attention_v2_kernelIffLi80ELi32ELi128ELNS_18Fp8KVCacheDataTypeE0ELb0ELi512EEEvPfS2_PT_PKS3_PKT0_S9_ifPKiSB_iPKfiiiSD_SD_iiiii,@function
_ZN4vllm25paged_attention_v2_kernelIffLi80ELi32ELi128ELNS_18Fp8KVCacheDataTypeE0ELb0ELi512EEEvPfS2_PT_PKS3_PKT0_S9_ifPKiSB_iPKfiiiSD_SD_iiiii: ; @_ZN4vllm25paged_attention_v2_kernelIffLi80ELi32ELi128ELNS_18Fp8KVCacheDataTypeE0ELb0ELi512EEEvPfS2_PT_PKS3_PKT0_S9_ifPKiSB_iPKfiiiSD_SD_iiiii
; %bb.0:
	s_load_dwordx2 s[6:7], s[0:1], 0x40
	s_mov_b32 s24, s3
	s_ashr_i32 s25, s3, 31
	s_lshl_b64 s[8:9], s[24:25], 2
	s_waitcnt lgkmcnt(0)
	s_add_u32 s6, s6, s8
	s_addc_u32 s7, s7, s9
	s_load_dword s25, s[6:7], 0x0
	s_lshl_b32 s40, s4, 9
	s_waitcnt lgkmcnt(0)
	s_cmp_ge_i32 s40, s25
	s_cbranch_scc1 .LBB56_83
; %bb.1:
	s_load_dword s5, s[0:1], 0x90
	s_load_dwordx2 s[10:11], s[0:1], 0x30
	s_waitcnt lgkmcnt(0)
	s_abs_i32 s7, s5
	s_abs_i32 s3, s10
	v_cvt_f32_u32_e32 v1, s3
	s_sub_i32 s8, 0, s3
	s_xor_b32 s6, s5, s10
	s_ashr_i32 s6, s6, 31
	v_rcp_iflag_f32_e32 v1, v1
	s_nop 0
	v_mul_f32_e32 v1, 0x4f7ffffe, v1
	v_cvt_u32_f32_e32 v1, v1
	s_nop 0
	v_readfirstlane_b32 s9, v1
	s_mul_i32 s8, s8, s9
	s_mul_hi_u32 s8, s9, s8
	s_add_i32 s9, s9, s8
	s_mul_hi_u32 s8, s7, s9
	s_mul_i32 s9, s8, s3
	s_sub_i32 s7, s7, s9
	s_add_i32 s10, s8, 1
	s_sub_i32 s9, s7, s3
	s_cmp_ge_u32 s7, s3
	s_cselect_b32 s8, s10, s8
	s_cselect_b32 s7, s9, s7
	s_add_i32 s9, s8, 1
	s_cmp_ge_u32 s7, s3
	s_cselect_b32 s3, s9, s8
	s_xor_b32 s3, s3, s6
	s_sub_i32 s12, s3, s6
	s_abs_i32 s8, s12
	v_cvt_f32_u32_e32 v1, s8
	s_load_dwordx2 s[6:7], s[0:1], 0x50
	s_sub_i32 s3, 0, s8
	s_abs_i32 s9, s2
	v_rcp_iflag_f32_e32 v1, v1
	s_mov_b32 s10, 0
	v_mul_f32_e32 v1, 0x4f7ffffe, v1
	v_cvt_u32_f32_e32 v1, v1
	s_nop 0
	v_readfirstlane_b32 s13, v1
	s_mul_i32 s3, s3, s13
	s_mul_hi_u32 s3, s13, s3
	s_add_i32 s13, s13, s3
	s_waitcnt lgkmcnt(0)
	s_cmp_eq_u64 s[6:7], 0
	s_mul_hi_u32 s16, s9, s13
	s_cbranch_scc1 .LBB56_3
; %bb.2:
	s_ashr_i32 s3, s2, 31
	s_lshl_b64 s[14:15], s[2:3], 2
	s_add_u32 s6, s6, s14
	s_addc_u32 s7, s7, s15
	s_load_dword s10, s[6:7], 0x0
.LBB56_3:
	s_ashr_i32 s18, s12, 31
	s_load_dwordx4 s[12:15], s[0:1], 0x58
	s_ashr_i32 s17, s2, 31
	v_and_b32_e32 v44, 1, v0
	s_mul_i32 s20, s2, 0x50
	v_cmp_gt_u32_e32 vcc, 40, v0
	v_lshlrev_b32_e32 v2, 3, v0
	v_lshlrev_b32_e32 v58, 2, v0
	s_and_saveexec_b64 s[6:7], vcc
	s_cbranch_execz .LBB56_5
; %bb.4:
	s_load_dwordx2 s[22:23], s[0:1], 0x18
	s_waitcnt lgkmcnt(0)
	s_mul_i32 s26, s24, s12
	s_ashr_i32 s27, s26, 31
	s_lshl_b64 s[26:27], s[26:27], 2
	v_and_b32_e32 v1, 0xff8, v58
	s_add_u32 s3, s22, s26
	s_addc_u32 s12, s23, s27
	s_ashr_i32 s21, s20, 31
	s_lshl_b64 s[22:23], s[20:21], 2
	s_add_u32 s22, s3, s22
	s_addc_u32 s23, s12, s23
	global_load_dwordx2 v[4:5], v2, s[22:23]
	s_movk_i32 s3, 0xa0
	v_mad_u32_u24 v1, v44, s3, v1
	s_waitcnt vmcnt(0)
	ds_write_b64 v1, v[4:5]
.LBB56_5:
	s_or_b64 exec, exec, s[6:7]
	s_add_i32 s3, s25, 31
	s_ashr_i32 s6, s3, 31
	s_lshr_b32 s6, s6, 27
	s_add_i32 s3, s3, s6
	s_waitcnt lgkmcnt(0)
	s_ashr_i32 s12, s3, 5
	s_lshl_b32 s3, s4, 4
	s_mul_i32 s7, s16, s8
	s_add_i32 s6, s3, 16
	s_sub_i32 s7, s9, s7
	s_min_i32 s33, s6, s12
	s_xor_b32 s6, s17, s18
	s_add_i32 s9, s16, 1
	s_sub_i32 s15, s7, s8
	s_cmp_ge_u32 s7, s8
	s_cselect_b32 s9, s9, s16
	s_cselect_b32 s7, s15, s7
	s_add_i32 s15, s9, 1
	s_cmp_ge_u32 s7, s8
	s_load_dwordx2 s[26:27], s[0:1], 0x38
	s_load_dword s8, s[0:1], 0x48
	v_lshrrev_b32_e32 v60, 6, v0
	s_cselect_b32 s7, s15, s9
	s_xor_b32 s7, s7, s6
	v_or_b32_e32 v46, s3, v60
	s_waitcnt lgkmcnt(0)
	s_mul_i32 s28, s24, s8
	s_sub_i32 s15, s7, s6
	s_ashr_i32 s29, s28, 31
	v_cmp_gt_i32_e64 s[8:9], s33, v46
	v_cmp_le_i32_e32 vcc, s33, v46
	v_mbcnt_lo_u32_b32 v45, -1, 0
	s_barrier
	s_waitcnt lgkmcnt(0)
                                        ; implicit-def: $sgpr36
                                        ; implicit-def: $vgpr48
                                        ; implicit-def: $vgpr49
	s_and_saveexec_b64 s[6:7], vcc
	s_xor_b64 s[6:7], exec, s[6:7]
; %bb.6:
	v_mbcnt_hi_u32_b32 v48, -1, v45
	v_and_b32_e32 v1, 64, v48
	v_add_u32_e32 v49, 64, v1
	s_mov_b32 s36, 0xff7fffff
                                        ; implicit-def: $vgpr2
                                        ; implicit-def: $vgpr44
                                        ; implicit-def: $vgpr45
; %bb.7:
	s_or_saveexec_b64 s[34:35], s[6:7]
	s_load_dwordx4 s[16:19], s[0:1], 0x0
	s_load_dwordx2 s[22:23], s[0:1], 0x10
	s_load_dwordx2 s[30:31], s[0:1], 0x28
	s_load_dword s21, s[0:1], 0x98
	v_mov_b32_e32 v1, s36
	s_mul_i32 s14, s15, s14
	v_ashrrev_i32_e32 v47, 31, v46
	s_xor_b64 exec, exec, s[34:35]
	s_cbranch_execz .LBB56_13
; %bb.8:
	s_load_dwordx2 s[0:1], s[0:1], 0x20
	s_ashr_i32 s15, s14, 31
	s_lshl_b64 s[6:7], s[14:15], 2
	v_bfe_u32 v1, v0, 1, 5
	v_lshlrev_b32_e32 v4, 4, v1
	s_waitcnt lgkmcnt(0)
	s_add_u32 s0, s0, s6
	s_addc_u32 s1, s1, s7
	v_mov_b32_e32 v5, 0
	v_lshl_add_u64 v[6:7], s[0:1], 0, v[4:5]
	v_and_b32_e32 v4, 8, v2
	v_mul_u32_u24_e32 v38, 0xa0, v44
	v_lshl_add_u64 v[42:43], v[6:7], 0, v[4:5]
	ds_read_b128 v[2:5], v38
	ds_read_b128 v[6:9], v38 offset:16
	ds_read_b128 v[10:13], v38 offset:32
	;; [unrolled: 1-line block ×9, first 2 shown]
	v_mbcnt_hi_u32_b32 v48, -1, v45
	v_and_b32_e32 v49, 64, v48
	v_xor_b32_e32 v45, 1, v48
	v_add_u32_e32 v49, 64, v49
	v_cmp_lt_i32_e32 vcc, v45, v49
	s_sub_i32 s15, 1, s25
	s_lshl_b64 s[0:1], s[28:29], 2
	v_lshlrev_b32_e32 v52, 2, v1
	v_cndmask_b32_e32 v45, v48, v45, vcc
	v_cmp_eq_u32_e32 vcc, 0, v44
	v_lshlrev_b32_e32 v44, 5, v60
	s_add_u32 s0, s26, s0
	v_add3_u32 v51, s40, v44, v1
	v_lshl_or_b32 v1, v60, 7, v52
	s_addc_u32 s1, s27, s1
	s_mov_b32 s41, s13
	v_lshlrev_b32_e32 v50, 2, v45
	v_cmp_neq_f32_e64 s[6:7], s10, 0
	v_add_u32_e32 v52, 0x150, v1
	v_lshl_add_u64 v[44:45], v[46:47], 2, s[0:1]
	s_mov_b64 s[36:37], 0
	v_mov_b32_e32 v1, 0xff7fffff
	s_movk_i32 s42, 0x1000
	s_movk_i32 s43, 0x2000
	v_mov_b32_e32 v53, v46
	s_branch .LBB56_10
.LBB56_9:                               ;   in Loop: Header=BB56_10 Depth=1
	s_or_b64 exec, exec, s[38:39]
	v_add_u32_e32 v53, 2, v53
	v_cmp_le_i32_e64 s[0:1], s33, v53
	v_add_u32_e32 v51, 64, v51
	v_add_u32_e32 v52, 0x100, v52
	s_or_b64 s[36:37], s[0:1], s[36:37]
	v_lshl_add_u64 v[44:45], v[44:45], 0, 8
	s_andn2_b64 exec, exec, s[36:37]
	s_cbranch_execz .LBB56_12
.LBB56_10:                              ; =>This Inner Loop Header: Depth=1
	global_load_dword v54, v[44:45], off
	s_waitcnt vmcnt(0) lgkmcnt(0)
	v_mad_i64_i32 v[54:55], s[0:1], v54, s41, 0
	v_lshl_add_u64 v[54:55], v[54:55], 2, v[42:43]
	global_load_dwordx2 v[56:57], v[54:55], off offset:512
	global_load_dwordx2 v[62:63], v[54:55], off offset:1024
	;; [unrolled: 1-line block ×3, first 2 shown]
	global_load_dwordx2 v[66:67], v[54:55], off
	global_load_dwordx2 v[68:69], v[54:55], off offset:2048
	global_load_dwordx2 v[70:71], v[54:55], off offset:2560
	v_add_co_u32_e64 v72, s[0:1], s42, v54
	s_waitcnt vmcnt(5) lgkmcnt(9)
	v_mul_f32_e32 v59, v4, v56
	v_addc_co_u32_e64 v73, s[0:1], 0, v55, s[0:1]
	v_add_co_u32_e64 v74, s[0:1], s43, v54
	v_mul_f32_e32 v61, v5, v57
	s_nop 0
	v_addc_co_u32_e64 v75, s[0:1], 0, v55, s[0:1]
	global_load_dwordx2 v[76:77], v[54:55], off offset:3072
	s_nop 0
	global_load_dwordx2 v[54:55], v[54:55], off offset:3584
	s_nop 0
	global_load_dwordx2 v[78:79], v[74:75], off offset:-4096
	global_load_dwordx2 v[80:81], v[72:73], off offset:512
	global_load_dwordx2 v[82:83], v[72:73], off offset:1024
	;; [unrolled: 1-line block ×4, first 2 shown]
	s_waitcnt vmcnt(9)
	v_fmac_f32_e32 v59, v2, v66
	v_fmac_f32_e32 v61, v3, v67
	global_load_dwordx2 v[56:57], v[72:73], off offset:2560
	s_waitcnt lgkmcnt(8)
	v_fmac_f32_e32 v59, v6, v62
	v_fmac_f32_e32 v61, v7, v63
	global_load_dwordx2 v[62:63], v[72:73], off offset:3584
	global_load_dwordx2 v[66:67], v[72:73], off offset:3072
	v_fmac_f32_e32 v59, v8, v64
	v_fmac_f32_e32 v61, v9, v65
	global_load_dwordx2 v[64:65], v[74:75], off
	s_waitcnt vmcnt(12) lgkmcnt(7)
	v_fmac_f32_e32 v59, v10, v68
	v_fmac_f32_e32 v61, v11, v69
	global_load_dwordx2 v[68:69], v[74:75], off offset:512
	s_waitcnt vmcnt(12)
	v_fmac_f32_e32 v59, v12, v70
	v_fmac_f32_e32 v61, v13, v71
	global_load_dwordx2 v[70:71], v[74:75], off offset:1024
	global_load_dwordx2 v[72:73], v[74:75], off offset:1536
	s_waitcnt vmcnt(13) lgkmcnt(6)
	v_fmac_f32_e32 v59, v14, v76
	v_fmac_f32_e32 v61, v15, v77
	s_waitcnt vmcnt(12)
	v_fmac_f32_e32 v59, v16, v54
	v_fmac_f32_e32 v61, v17, v55
	s_waitcnt vmcnt(11) lgkmcnt(5)
	v_fmac_f32_e32 v59, v18, v78
	v_fmac_f32_e32 v61, v19, v79
	s_waitcnt vmcnt(10)
	v_fmac_f32_e32 v59, v20, v80
	v_fmac_f32_e32 v61, v21, v81
	s_waitcnt vmcnt(9) lgkmcnt(4)
	v_fmac_f32_e32 v59, v22, v82
	v_fmac_f32_e32 v61, v23, v83
	s_waitcnt vmcnt(8)
	v_fmac_f32_e32 v59, v24, v84
	v_fmac_f32_e32 v61, v25, v85
	s_waitcnt vmcnt(7) lgkmcnt(3)
	v_fmac_f32_e32 v59, v26, v86
	v_fmac_f32_e32 v61, v27, v87
	s_waitcnt vmcnt(6)
	v_fmac_f32_e32 v59, v28, v56
	v_fmac_f32_e32 v61, v29, v57
	s_waitcnt vmcnt(4) lgkmcnt(2)
	v_fmac_f32_e32 v59, v30, v66
	v_fmac_f32_e32 v61, v31, v67
	;; [unrolled: 1-line block ×4, first 2 shown]
	s_waitcnt vmcnt(3) lgkmcnt(1)
	v_fmac_f32_e32 v59, v34, v64
	v_fmac_f32_e32 v61, v35, v65
	s_waitcnt vmcnt(2)
	v_fmac_f32_e32 v59, v36, v68
	v_fmac_f32_e32 v61, v37, v69
	s_waitcnt vmcnt(1) lgkmcnt(0)
	v_fmac_f32_e32 v59, v38, v70
	v_fmac_f32_e32 v61, v39, v71
	s_waitcnt vmcnt(0)
	v_fmac_f32_e32 v59, v40, v72
	v_fmac_f32_e32 v61, v41, v73
	v_add_f32_e32 v54, v59, v61
	ds_bpermute_b32 v55, v50, v54
	s_and_saveexec_b64 s[38:39], vcc
	s_cbranch_execz .LBB56_9
; %bb.11:                               ;   in Loop: Header=BB56_10 Depth=1
	v_add_u32_e32 v56, s15, v51
	v_cvt_f32_i32_e32 v56, v56
	s_waitcnt lgkmcnt(0)
	v_add_f32_e32 v54, v54, v55
	v_cmp_gt_i32_e64 s[0:1], s25, v51
	v_max_f32_e32 v55, v1, v1
	v_mul_f32_e32 v56, s10, v56
	v_cndmask_b32_e64 v56, 0, v56, s[6:7]
	v_fmac_f32_e32 v56, s11, v54
	v_cndmask_b32_e64 v54, 0, v56, s[0:1]
	ds_write_b32 v52, v54
	v_max_f32_e32 v54, v55, v56
	v_cndmask_b32_e64 v1, v1, v54, s[0:1]
	s_branch .LBB56_9
.LBB56_12:
	s_or_b64 exec, exec, s[36:37]
.LBB56_13:
	s_or_b64 exec, exec, s[34:35]
	v_xor_b32_e32 v2, 32, v48
	v_cmp_lt_i32_e32 vcc, v2, v49
	v_xor_b32_e32 v4, 16, v48
	v_xor_b32_e32 v5, 8, v48
	v_cndmask_b32_e32 v2, v48, v2, vcc
	v_lshlrev_b32_e32 v2, 2, v2
	ds_bpermute_b32 v3, v2, v1
	v_max_f32_e32 v1, v1, v1
	v_cmp_lt_i32_e32 vcc, v4, v49
	v_xor_b32_e32 v6, 4, v48
	s_waitcnt lgkmcnt(0)
	v_max_f32_e32 v3, v3, v3
	v_max_f32_e32 v1, v1, v3
	v_cndmask_b32_e32 v3, v48, v4, vcc
	v_lshlrev_b32_e32 v3, 2, v3
	ds_bpermute_b32 v4, v3, v1
	v_cmp_lt_i32_e32 vcc, v5, v49
	s_waitcnt lgkmcnt(0)
	v_max_f32_e32 v4, v4, v4
	v_max_f32_e32 v1, v1, v4
	v_cndmask_b32_e32 v4, v48, v5, vcc
	v_lshlrev_b32_e32 v5, 2, v4
	ds_bpermute_b32 v4, v5, v1
	v_cmp_lt_i32_e32 vcc, v6, v49
	s_waitcnt lgkmcnt(0)
	v_max_f32_e32 v4, v4, v4
	v_max_f32_e32 v1, v1, v4
	v_cndmask_b32_e32 v4, v48, v6, vcc
	v_lshlrev_b32_e32 v74, 2, v4
	ds_bpermute_b32 v4, v74, v1
	v_xor_b32_e32 v6, 2, v48
	v_cmp_lt_i32_e32 vcc, v6, v49
	s_waitcnt lgkmcnt(0)
	v_max_f32_e32 v4, v4, v4
	v_max_f32_e32 v4, v1, v4
	v_cndmask_b32_e32 v1, v48, v6, vcc
	v_lshlrev_b32_e32 v75, 2, v1
	ds_bpermute_b32 v7, v75, v4
	v_and_b32_e32 v1, 63, v0
	v_cmp_eq_u32_e32 vcc, 0, v1
	v_lshlrev_b32_e32 v6, 2, v60
	s_and_saveexec_b64 s[0:1], vcc
	s_cbranch_execz .LBB56_15
; %bb.14:
	s_waitcnt lgkmcnt(0)
	v_max_f32_e32 v7, v7, v7
	v_max_f32_e32 v4, v4, v4
	;; [unrolled: 1-line block ×3, first 2 shown]
	ds_write_b32 v6, v4 offset:320
.LBB56_15:
	s_or_b64 exec, exec, s[0:1]
	v_cmp_gt_u32_e64 s[0:1], 2, v1
	v_mov_b32_e32 v4, 0xff7fffff
	s_waitcnt lgkmcnt(0)
	v_lshlrev_b32_e32 v7, 2, v1
	s_barrier
	s_and_saveexec_b64 s[6:7], s[0:1]
	s_cbranch_execz .LBB56_17
; %bb.16:
	ds_read_b32 v4, v7 offset:320
.LBB56_17:
	s_or_b64 exec, exec, s[6:7]
	v_xor_b32_e32 v8, 1, v48
	v_cmp_lt_i32_e64 s[6:7], v8, v49
	s_sub_i32 s3, s33, s3
	s_lshl_b32 s3, s3, 5
	v_cndmask_b32_e64 v8, v48, v8, s[6:7]
	v_lshlrev_b32_e32 v76, 2, v8
	s_waitcnt lgkmcnt(0)
	ds_bpermute_b32 v8, v76, v4
	v_max_f32_e32 v4, v4, v4
	s_add_i32 s3, s3, s40
	s_min_i32 s15, s3, s25
	s_sub_i32 s3, s15, s40
	s_waitcnt lgkmcnt(0)
	v_max_f32_e32 v8, v8, v8
	v_max_f32_e32 v4, v4, v8
	v_lshlrev_b32_e32 v8, 2, v48
	v_and_b32_e32 v8, 0xffffff00, v8
	ds_bpermute_b32 v4, v8, v4
	v_cmp_gt_i32_e64 s[6:7], s3, v0
	v_mov_b32_e32 v9, 0
	s_and_saveexec_b64 s[34:35], s[6:7]
	s_cbranch_execz .LBB56_21
; %bb.18:
	v_mov_b32_e32 v9, 0x150
	v_lshl_add_u32 v10, v0, 2, v9
	s_mov_b64 s[36:37], 0
	v_mov_b32_e32 v9, 0
	v_mov_b32_e32 v11, v0
.LBB56_19:                              ; =>This Inner Loop Header: Depth=1
	ds_read_b32 v12, v10
	v_add_u32_e32 v11, 0x80, v11
	v_cmp_le_i32_e64 s[10:11], s3, v11
	s_or_b64 s[36:37], s[10:11], s[36:37]
	s_waitcnt lgkmcnt(0)
	v_sub_f32_e32 v12, v12, v4
	v_mul_f32_e32 v12, 0x3fb8aa3b, v12
	v_exp_f32_e32 v12, v12
	ds_write_b32 v10, v12
	v_add_f32_e32 v9, v9, v12
	v_add_u32_e32 v10, 0x200, v10
	s_andn2_b64 exec, exec, s[36:37]
	s_cbranch_execnz .LBB56_19
; %bb.20:
	s_or_b64 exec, exec, s[36:37]
.LBB56_21:
	s_or_b64 exec, exec, s[34:35]
	ds_bpermute_b32 v2, v2, v9
	s_waitcnt lgkmcnt(0)
	v_add_f32_e32 v2, v9, v2
	ds_bpermute_b32 v3, v3, v2
	s_waitcnt lgkmcnt(0)
	v_add_f32_e32 v2, v2, v3
	;; [unrolled: 3-line block ×6, first 2 shown]
	s_and_saveexec_b64 s[10:11], vcc
	s_cbranch_execz .LBB56_23
; %bb.22:
	ds_write_b32 v6, v2 offset:328
.LBB56_23:
	s_or_b64 exec, exec, s[10:11]
	s_waitcnt lgkmcnt(0)
	s_barrier
	s_and_saveexec_b64 s[10:11], s[0:1]
	s_cbranch_execz .LBB56_25
; %bb.24:
	ds_read_b32 v2, v7 offset:328
.LBB56_25:
	s_or_b64 exec, exec, s[10:11]
	s_waitcnt lgkmcnt(0)
	ds_bpermute_b32 v3, v76, v2
	s_waitcnt lgkmcnt(0)
	v_add_f32_e32 v2, v2, v3
	ds_bpermute_b32 v5, v8, v2
	s_and_saveexec_b64 s[0:1], s[6:7]
	s_cbranch_execz .LBB56_38
; %bb.26:
	s_waitcnt lgkmcnt(0)
	v_add_f32_e32 v2, 0x358637bd, v5
	v_div_scale_f32 v3, s[6:7], v2, v2, 1.0
	v_rcp_f32_e32 v6, v3
	v_div_scale_f32 v7, vcc, 1.0, v2, 1.0
	s_movk_i32 s6, 0x7f
	v_fma_f32 v8, -v3, v6, 1.0
	v_fmac_f32_e32 v6, v8, v6
	v_mul_f32_e32 v8, v7, v6
	v_fma_f32 v9, -v3, v8, v7
	v_fmac_f32_e32 v8, v9, v6
	v_fma_f32 v3, -v3, v8, v7
	v_div_fmas_f32 v3, v3, v6, v8
	v_div_fixup_f32 v2, v3, v2, 1.0
	v_xad_u32 v3, v0, -1, s15
	v_subrev_u32_e32 v6, s40, v3
	v_cmp_lt_u32_e32 vcc, s6, v6
	s_mov_b64 s[10:11], -1
	v_mov_b32_e32 v3, v0
	s_and_saveexec_b64 s[6:7], vcc
	s_cbranch_execz .LBB56_35
; %bb.27:
	v_lshrrev_b32_e32 v6, 7, v6
	v_add_u32_e32 v8, -1, v6
	v_lshrrev_b32_e32 v7, 1, v8
	v_mov_b32_e32 v3, v2
	v_add_u32_e32 v7, 1, v7
	v_cmp_lt_u32_e32 vcc, 13, v8
	v_mov_b32_e32 v10, 0
	s_and_saveexec_b64 s[10:11], vcc
	s_cbranch_execz .LBB56_31
; %bb.28:
	v_mov_b32_e32 v9, 0x150
	v_and_b32_e32 v8, -8, v7
	v_lshl_add_u32 v9, v0, 2, v9
	s_mov_b32 s15, 0
	s_mov_b64 s[34:35], 0
.LBB56_29:                              ; =>This Inner Loop Header: Depth=1
	ds_read2st64_b32 v[10:11], v9 offset1:2
	ds_read2st64_b32 v[12:13], v9 offset0:4 offset1:6
	ds_read2st64_b32 v[14:15], v9 offset0:8 offset1:10
	;; [unrolled: 1-line block ×3, first 2 shown]
	v_add_u32_e32 v8, -8, v8
	s_waitcnt lgkmcnt(3)
	v_pk_mul_f32 v[10:11], v[2:3], v[10:11]
	s_waitcnt lgkmcnt(2)
	v_pk_mul_f32 v[12:13], v[2:3], v[12:13]
	ds_write2st64_b32 v9, v10, v11 offset1:2
	ds_write2st64_b32 v9, v12, v13 offset0:4 offset1:6
	ds_read2st64_b32 v[12:13], v9 offset0:16 offset1:18
	s_waitcnt lgkmcnt(4)
	v_pk_mul_f32 v[10:11], v[2:3], v[14:15]
	ds_write2st64_b32 v9, v10, v11 offset0:8 offset1:10
	s_waitcnt lgkmcnt(4)
	v_pk_mul_f32 v[10:11], v[2:3], v[16:17]
	ds_write2st64_b32 v9, v10, v11 offset0:12 offset1:14
	ds_read2st64_b32 v[10:11], v9 offset0:20 offset1:22
	s_waitcnt lgkmcnt(3)
	v_pk_mul_f32 v[12:13], v[2:3], v[12:13]
	ds_read2st64_b32 v[14:15], v9 offset0:24 offset1:26
	ds_write2st64_b32 v9, v12, v13 offset0:16 offset1:18
	ds_read2st64_b32 v[12:13], v9 offset0:28 offset1:30
	s_waitcnt lgkmcnt(3)
	v_pk_mul_f32 v[10:11], v[2:3], v[10:11]
	ds_write2st64_b32 v9, v10, v11 offset0:20 offset1:22
	s_waitcnt lgkmcnt(3)
	v_pk_mul_f32 v[10:11], v[2:3], v[14:15]
	ds_write2st64_b32 v9, v10, v11 offset0:24 offset1:26
	s_waitcnt lgkmcnt(2)
	v_pk_mul_f32 v[10:11], v[2:3], v[12:13]
	s_add_i32 s15, s15, 16
	v_cmp_eq_u32_e32 vcc, 0, v8
	ds_write2st64_b32 v9, v10, v11 offset0:28 offset1:30
	v_add_u32_e32 v9, 0x2000, v9
	s_or_b64 s[34:35], vcc, s[34:35]
	v_mov_b32_e32 v10, s15
	s_andn2_b64 exec, exec, s[34:35]
	s_cbranch_execnz .LBB56_29
; %bb.30:
	s_or_b64 exec, exec, s[34:35]
.LBB56_31:
	s_or_b64 exec, exec, s[10:11]
	v_and_b32_e32 v7, 7, v7
	v_cmp_ne_u32_e32 vcc, 0, v7
	s_and_saveexec_b64 s[10:11], vcc
	s_cbranch_execz .LBB56_34
; %bb.32:
	v_lshlrev_b32_e32 v8, 9, v10
	s_movk_i32 s15, 0x150
	v_add3_u32 v8, v8, v58, s15
	s_mov_b64 s[34:35], 0
.LBB56_33:                              ; =>This Inner Loop Header: Depth=1
	ds_read2st64_b32 v[10:11], v8 offset1:2
	v_add_u32_e32 v7, -1, v7
	v_cmp_eq_u32_e32 vcc, 0, v7
	s_or_b64 s[34:35], vcc, s[34:35]
	s_waitcnt lgkmcnt(0)
	v_pk_mul_f32 v[10:11], v[2:3], v[10:11]
	ds_write2st64_b32 v8, v10, v11 offset1:2
	v_add_u32_e32 v8, 0x400, v8
	s_andn2_b64 exec, exec, s[34:35]
	s_cbranch_execnz .LBB56_33
.LBB56_34:
	s_or_b64 exec, exec, s[10:11]
	v_add_u32_e32 v6, 1, v6
	v_and_b32_e32 v7, 0x3fffffe, v6
	v_cmp_ne_u32_e32 vcc, v6, v7
	v_lshl_add_u32 v3, v7, 7, v0
	s_orn2_b64 s[10:11], vcc, exec
.LBB56_35:
	s_or_b64 exec, exec, s[6:7]
	s_and_b64 exec, exec, s[10:11]
	s_cbranch_execz .LBB56_38
; %bb.36:
	v_mov_b32_e32 v6, 0x150
	v_lshl_add_u32 v6, v3, 2, v6
	s_mov_b64 s[6:7], 0
.LBB56_37:                              ; =>This Inner Loop Header: Depth=1
	ds_read_b32 v7, v6
	v_add_u32_e32 v3, 0x80, v3
	v_cmp_le_i32_e32 vcc, s3, v3
	s_or_b64 s[6:7], vcc, s[6:7]
	s_waitcnt lgkmcnt(0)
	v_mul_f32_e32 v7, v2, v7
	ds_write_b32 v6, v7
	v_add_u32_e32 v6, 0x200, v6
	s_andn2_b64 exec, exec, s[6:7]
	s_cbranch_execnz .LBB56_37
.LBB56_38:
	s_or_b64 exec, exec, s[0:1]
	s_mul_i32 s0, s21, s24
	v_cmp_eq_u32_e32 vcc, 0, v0
	s_mul_i32 s6, s0, s5
	s_waitcnt lgkmcnt(0)
	s_barrier
	s_and_saveexec_b64 s[0:1], vcc
	s_cbranch_execz .LBB56_40
; %bb.39:
	s_ashr_i32 s7, s6, 31
	s_lshl_b64 s[10:11], s[6:7], 2
	s_add_u32 s5, s18, s10
	s_mul_i32 s2, s21, s2
	s_addc_u32 s7, s19, s11
	s_ashr_i32 s3, s2, 31
	s_lshl_b64 s[2:3], s[2:3], 2
	s_add_u32 s15, s5, s2
	s_addc_u32 s7, s7, s3
	s_ashr_i32 s5, s4, 31
	s_lshl_b64 s[18:19], s[4:5], 2
	s_add_u32 s34, s15, s18
	s_addc_u32 s35, s7, s19
	s_add_u32 s5, s16, s10
	s_addc_u32 s7, s17, s11
	;; [unrolled: 2-line block ×3, first 2 shown]
	s_add_u32 s2, s2, s18
	v_mov_b32_e32 v2, 0
	s_addc_u32 s3, s3, s19
	global_store_dword v2, v4, s[34:35]
	global_store_dword v2, v5, s[2:3]
.LBB56_40:
	s_or_b64 exec, exec, s[0:1]
	v_mov_b32_e32 v49, 0
	v_and_b32_e32 v77, 7, v0
	v_mov_b32_e32 v48, 0
	v_mov_b32_e32 v51, 0
	;; [unrolled: 1-line block ×9, first 2 shown]
	s_and_saveexec_b64 s[2:3], s[8:9]
	s_cbranch_execz .LBB56_64
; %bb.41:
	s_ashr_i32 s15, s14, 31
	s_lshl_b64 s[0:1], s[14:15], 2
	s_add_u32 s8, s30, s0
	v_and_b32_e32 v3, 28, v58
	s_addc_u32 s9, s31, s1
	s_add_i32 s7, s12, -1
	v_lshl_add_u32 v5, v60, 5, s40
	s_lshl_b64 s[0:1], s[28:29], 2
	v_and_b32_e32 v2, 0xfc, v58
	v_add3_u32 v78, v5, v3, 3
	v_lshlrev_b32_e32 v3, 4, v77
	s_add_u32 s0, s26, s0
	v_mov_b32_e32 v59, 0
	v_or_b32_e32 v4, 0x400, v2
	v_or_b32_e32 v6, 0x500, v2
	;; [unrolled: 1-line block ×6, first 2 shown]
	v_lshl_or_b32 v3, v60, 7, v3
	s_addc_u32 s1, s27, s1
	s_mov_b32 s5, s13
	v_add_u32_e32 v79, 0x150, v3
	v_lshl_add_u64 v[60:61], v[46:47], 2, s[0:1]
	s_mov_b64 s[10:11], 0
	v_lshlrev_b32_e32 v62, 2, v2
	v_mov_b32_e32 v63, v59
	v_lshlrev_b32_e32 v58, 2, v4
	v_lshlrev_b32_e32 v64, 2, v6
	;; [unrolled: 1-line block ×6, first 2 shown]
	v_mov_b32_e32 v49, v59
	v_mov_b32_e32 v48, v59
	v_mov_b32_e32 v51, v59
	v_mov_b32_e32 v50, v59
	v_mov_b32_e32 v53, v59
	v_mov_b32_e32 v52, v59
	v_mov_b32_e32 v55, v59
	v_mov_b32_e32 v54, v59
	v_mov_b32_e32 v57, v59
	v_mov_b32_e32 v56, v59
	s_branch .LBB56_43
.LBB56_42:                              ;   in Loop: Header=BB56_43 Depth=1
	s_or_b64 exec, exec, s[0:1]
	s_waitcnt vmcnt(1) lgkmcnt(0)
	v_mul_f32_e32 v43, v3, v43
	v_mul_f32_e32 v35, v3, v35
	;; [unrolled: 1-line block ×9, first 2 shown]
	s_waitcnt vmcnt(0)
	v_mul_f32_e32 v3, v3, v39
	v_fmac_f32_e32 v43, v2, v42
	v_fmac_f32_e32 v35, v2, v34
	;; [unrolled: 1-line block ×20, first 2 shown]
	v_add_u32_e32 v46, 2, v46
	v_fmac_f32_e32 v43, v5, v45
	v_fmac_f32_e32 v35, v5, v37
	v_fmac_f32_e32 v31, v5, v33
	v_fmac_f32_e32 v27, v5, v29
	v_fmac_f32_e32 v23, v5, v25
	v_fmac_f32_e32 v19, v5, v21
	v_fmac_f32_e32 v15, v5, v17
	v_fmac_f32_e32 v11, v5, v13
	v_fmac_f32_e32 v7, v5, v9
	v_fmac_f32_e32 v3, v5, v41
	v_cmp_le_i32_e32 vcc, s33, v46
	v_add_f32_e32 v48, v48, v43
	v_add_f32_e32 v51, v51, v35
	;; [unrolled: 1-line block ×10, first 2 shown]
	v_add_u32_e32 v78, 64, v78
	v_add_u32_e32 v79, 0x100, v79
	s_or_b64 s[10:11], vcc, s[10:11]
	v_lshl_add_u64 v[60:61], v[60:61], 0, 8
	s_andn2_b64 exec, exec, s[10:11]
	s_cbranch_execz .LBB56_63
.LBB56_43:                              ; =>This Inner Loop Header: Depth=1
	global_load_dword v2, v[60:61], off
	v_add_u32_e32 v47, -3, v78
	v_cmp_eq_u32_e32 vcc, s7, v46
	v_add_u32_e32 v81, -2, v78
	v_add_u32_e32 v80, -1, v78
	s_waitcnt vmcnt(0)
	v_mad_i64_i32 v[2:3], s[0:1], v2, s5, 0
	v_lshl_add_u64 v[38:39], v[2:3], 2, s[8:9]
	v_lshl_add_u64 v[18:19], v[38:39], 0, v[62:63]
	global_load_dwordx4 v[6:9], v[18:19], off
	ds_read_b128 v[2:5], v79
	s_and_saveexec_b64 s[12:13], vcc
	s_cbranch_execnz .LBB56_60
; %bb.44:                               ;   in Loop: Header=BB56_43 Depth=1
	s_or_b64 exec, exec, s[12:13]
	global_load_dwordx4 v[10:13], v[18:19], off offset:1024
	s_and_saveexec_b64 s[12:13], vcc
	s_cbranch_execnz .LBB56_61
.LBB56_45:                              ;   in Loop: Header=BB56_43 Depth=1
	s_or_b64 exec, exec, s[12:13]
	global_load_dwordx4 v[14:17], v[18:19], off offset:2048
	s_and_saveexec_b64 s[12:13], vcc
	s_cbranch_execnz .LBB56_62
.LBB56_46:                              ;   in Loop: Header=BB56_43 Depth=1
	s_or_b64 exec, exec, s[12:13]
	global_load_dwordx4 v[18:21], v[18:19], off offset:3072
	s_and_saveexec_b64 s[12:13], vcc
	s_cbranch_execz .LBB56_48
.LBB56_47:                              ;   in Loop: Header=BB56_43 Depth=1
	v_cmp_gt_i32_e64 s[0:1], s25, v47
	s_waitcnt vmcnt(0)
	s_nop 0
	v_cndmask_b32_e64 v18, 0, v18, s[0:1]
	v_cmp_gt_i32_e64 s[0:1], s25, v81
	s_nop 1
	v_cndmask_b32_e64 v19, 0, v19, s[0:1]
	v_cmp_gt_i32_e64 s[0:1], s25, v80
	;; [unrolled: 3-line block ×3, first 2 shown]
	s_nop 1
	v_cndmask_b32_e64 v21, 0, v21, s[0:1]
.LBB56_48:                              ;   in Loop: Header=BB56_43 Depth=1
	s_or_b64 exec, exec, s[12:13]
	v_lshl_add_u64 v[22:23], v[38:39], 0, v[58:59]
	global_load_dwordx4 v[22:25], v[22:23], off
	s_and_saveexec_b64 s[12:13], vcc
	s_cbranch_execz .LBB56_50
; %bb.49:                               ;   in Loop: Header=BB56_43 Depth=1
	v_cmp_gt_i32_e64 s[0:1], s25, v47
	s_waitcnt vmcnt(0)
	s_nop 0
	v_cndmask_b32_e64 v22, 0, v22, s[0:1]
	v_cmp_gt_i32_e64 s[0:1], s25, v81
	s_nop 1
	v_cndmask_b32_e64 v23, 0, v23, s[0:1]
	v_cmp_gt_i32_e64 s[0:1], s25, v80
	s_nop 1
	v_cndmask_b32_e64 v24, 0, v24, s[0:1]
	v_cmp_gt_i32_e64 s[0:1], s25, v78
	s_nop 1
	v_cndmask_b32_e64 v25, 0, v25, s[0:1]
.LBB56_50:                              ;   in Loop: Header=BB56_43 Depth=1
	s_or_b64 exec, exec, s[12:13]
	v_mov_b32_e32 v65, v59
	v_lshl_add_u64 v[26:27], v[38:39], 0, v[64:65]
	global_load_dwordx4 v[26:29], v[26:27], off
	s_and_saveexec_b64 s[12:13], vcc
	s_cbranch_execz .LBB56_52
; %bb.51:                               ;   in Loop: Header=BB56_43 Depth=1
	v_cmp_gt_i32_e64 s[0:1], s25, v47
	s_waitcnt vmcnt(0)
	s_nop 0
	v_cndmask_b32_e64 v26, 0, v26, s[0:1]
	v_cmp_gt_i32_e64 s[0:1], s25, v81
	s_nop 1
	v_cndmask_b32_e64 v27, 0, v27, s[0:1]
	v_cmp_gt_i32_e64 s[0:1], s25, v80
	s_nop 1
	v_cndmask_b32_e64 v28, 0, v28, s[0:1]
	v_cmp_gt_i32_e64 s[0:1], s25, v78
	s_nop 1
	v_cndmask_b32_e64 v29, 0, v29, s[0:1]
.LBB56_52:                              ;   in Loop: Header=BB56_43 Depth=1
	s_or_b64 exec, exec, s[12:13]
	v_mov_b32_e32 v67, v59
	;; [unrolled: 21-line block ×5, first 2 shown]
	v_lshl_add_u64 v[38:39], v[38:39], 0, v[72:73]
	global_load_dwordx4 v[38:41], v[38:39], off
	s_and_saveexec_b64 s[0:1], vcc
	s_cbranch_execz .LBB56_42
; %bb.59:                               ;   in Loop: Header=BB56_43 Depth=1
	v_cmp_gt_i32_e32 vcc, s25, v47
	s_waitcnt vmcnt(0)
	s_nop 0
	v_cndmask_b32_e32 v38, 0, v38, vcc
	v_cmp_gt_i32_e32 vcc, s25, v81
	s_nop 1
	v_cndmask_b32_e32 v39, 0, v39, vcc
	v_cmp_gt_i32_e32 vcc, s25, v80
	;; [unrolled: 3-line block ×3, first 2 shown]
	s_nop 1
	v_cndmask_b32_e32 v41, 0, v41, vcc
	s_branch .LBB56_42
.LBB56_60:                              ;   in Loop: Header=BB56_43 Depth=1
	v_cmp_gt_i32_e64 s[0:1], s25, v47
	s_waitcnt vmcnt(0)
	s_nop 0
	v_cndmask_b32_e64 v6, 0, v6, s[0:1]
	v_cmp_gt_i32_e64 s[0:1], s25, v81
	s_nop 1
	v_cndmask_b32_e64 v7, 0, v7, s[0:1]
	v_cmp_gt_i32_e64 s[0:1], s25, v80
	;; [unrolled: 3-line block ×3, first 2 shown]
	s_nop 1
	v_cndmask_b32_e64 v9, 0, v9, s[0:1]
	s_or_b64 exec, exec, s[12:13]
	global_load_dwordx4 v[10:13], v[18:19], off offset:1024
	s_and_saveexec_b64 s[12:13], vcc
	s_cbranch_execz .LBB56_45
.LBB56_61:                              ;   in Loop: Header=BB56_43 Depth=1
	v_cmp_gt_i32_e64 s[0:1], s25, v47
	s_waitcnt vmcnt(0)
	s_nop 0
	v_cndmask_b32_e64 v10, 0, v10, s[0:1]
	v_cmp_gt_i32_e64 s[0:1], s25, v81
	s_nop 1
	v_cndmask_b32_e64 v11, 0, v11, s[0:1]
	v_cmp_gt_i32_e64 s[0:1], s25, v80
	s_nop 1
	v_cndmask_b32_e64 v12, 0, v12, s[0:1]
	v_cmp_gt_i32_e64 s[0:1], s25, v78
	s_nop 1
	v_cndmask_b32_e64 v13, 0, v13, s[0:1]
	s_or_b64 exec, exec, s[12:13]
	global_load_dwordx4 v[14:17], v[18:19], off offset:2048
	s_and_saveexec_b64 s[12:13], vcc
	s_cbranch_execz .LBB56_46
.LBB56_62:                              ;   in Loop: Header=BB56_43 Depth=1
	v_cmp_gt_i32_e64 s[0:1], s25, v47
	s_waitcnt vmcnt(0)
	s_nop 0
	v_cndmask_b32_e64 v14, 0, v14, s[0:1]
	v_cmp_gt_i32_e64 s[0:1], s25, v81
	s_nop 1
	v_cndmask_b32_e64 v15, 0, v15, s[0:1]
	v_cmp_gt_i32_e64 s[0:1], s25, v80
	;; [unrolled: 3-line block ×3, first 2 shown]
	s_nop 1
	v_cndmask_b32_e64 v17, 0, v17, s[0:1]
	s_or_b64 exec, exec, s[12:13]
	global_load_dwordx4 v[18:21], v[18:19], off offset:3072
	s_and_saveexec_b64 s[12:13], vcc
	s_cbranch_execnz .LBB56_47
	s_branch .LBB56_48
.LBB56_63:
	s_or_b64 exec, exec, s[10:11]
.LBB56_64:
	s_or_b64 exec, exec, s[2:3]
	ds_bpermute_b32 v8, v74, v52
	ds_bpermute_b32 v9, v74, v53
	;; [unrolled: 1-line block ×6, first 2 shown]
	s_waitcnt lgkmcnt(4)
	v_pk_add_f32 v[8:9], v[52:53], v[8:9]
	ds_bpermute_b32 v12, v75, v8
	ds_bpermute_b32 v13, v75, v9
	;; [unrolled: 1-line block ×4, first 2 shown]
	s_waitcnt lgkmcnt(6)
	v_pk_add_f32 v[2:3], v[56:57], v[2:3]
	s_waitcnt lgkmcnt(4)
	v_pk_add_f32 v[4:5], v[54:55], v[4:5]
	ds_bpermute_b32 v6, v75, v2
	ds_bpermute_b32 v7, v75, v3
	;; [unrolled: 1-line block ×6, first 2 shown]
	s_waitcnt lgkmcnt(8)
	v_pk_add_f32 v[12:13], v[8:9], v[12:13]
	s_waitcnt lgkmcnt(6)
	v_pk_add_f32 v[8:9], v[50:51], v[14:15]
	ds_bpermute_b32 v14, v75, v8
	ds_bpermute_b32 v15, v75, v9
	s_waitcnt lgkmcnt(6)
	v_pk_add_f32 v[2:3], v[2:3], v[6:7]
	s_waitcnt lgkmcnt(4)
	v_pk_add_f32 v[4:5], v[4:5], v[10:11]
	;; [unrolled: 2-line block ×3, first 2 shown]
	ds_bpermute_b32 v6, v76, v2
	ds_bpermute_b32 v7, v76, v3
	;; [unrolled: 1-line block ×8, first 2 shown]
	s_waitcnt lgkmcnt(8)
	v_pk_add_f32 v[14:15], v[8:9], v[14:15]
	ds_bpermute_b32 v20, v76, v14
	ds_bpermute_b32 v21, v76, v15
	s_waitcnt lgkmcnt(8)
	v_pk_add_f32 v[8:9], v[2:3], v[6:7]
	s_waitcnt lgkmcnt(6)
	v_pk_add_f32 v[6:7], v[4:5], v[10:11]
	;; [unrolled: 2-line block ×4, first 2 shown]
	ds_bpermute_b32 v12, v76, v10
	ds_bpermute_b32 v13, v76, v11
	s_waitcnt lgkmcnt(2)
	v_pk_add_f32 v[2:3], v[14:15], v[20:21]
	v_and_b32_e32 v14, 0x3c7, v0
	v_cmp_ne_u32_e32 vcc, 64, v14
	s_waitcnt lgkmcnt(0)
	s_barrier
	s_and_saveexec_b64 s[0:1], vcc
	s_xor_b64 s[0:1], exec, s[0:1]
; %bb.65:
                                        ; implicit-def: $vgpr1
; %bb.66:
	s_or_saveexec_b64 s[0:1], s[0:1]
	v_pk_add_f32 v[10:11], v[10:11], v[12:13]
	s_xor_b64 exec, exec, s[0:1]
	s_cbranch_execz .LBB56_68
; %bb.67:
	v_lshrrev_b32_e32 v1, 1, v1
	v_add_u32_e32 v1, 0x150, v1
	ds_write2_b32 v1, v8, v9 offset1:8
	ds_write2_b32 v1, v6, v7 offset0:16 offset1:24
	ds_write2_b32 v1, v4, v5 offset0:32 offset1:40
	;; [unrolled: 1-line block ×4, first 2 shown]
.LBB56_68:
	s_or_b64 exec, exec, s[0:1]
	v_cmp_gt_u32_e32 vcc, 64, v0
	s_waitcnt lgkmcnt(0)
	s_barrier
	s_and_saveexec_b64 s[0:1], vcc
	s_cbranch_execz .LBB56_81
; %bb.69:
	v_cmp_eq_u32_e32 vcc, 0, v77
	v_lshrrev_b32_e32 v1, 3, v0
	s_and_saveexec_b64 s[2:3], vcc
	s_cbranch_execnz .LBB56_84
; %bb.70:
	s_or_b64 exec, exec, s[2:3]
	s_and_saveexec_b64 s[2:3], vcc
	s_cbranch_execnz .LBB56_85
.LBB56_71:
	s_or_b64 exec, exec, s[2:3]
	s_and_saveexec_b64 s[2:3], vcc
	s_cbranch_execnz .LBB56_86
.LBB56_72:
	s_or_b64 exec, exec, s[2:3]
	s_and_saveexec_b64 s[2:3], vcc
	s_cbranch_execnz .LBB56_87
.LBB56_73:
	s_or_b64 exec, exec, s[2:3]
	s_and_saveexec_b64 s[2:3], vcc
	s_cbranch_execnz .LBB56_88
.LBB56_74:
	s_or_b64 exec, exec, s[2:3]
	s_and_saveexec_b64 s[2:3], vcc
	s_cbranch_execnz .LBB56_89
.LBB56_75:
	s_or_b64 exec, exec, s[2:3]
	s_and_saveexec_b64 s[2:3], vcc
	s_cbranch_execnz .LBB56_90
.LBB56_76:
	s_or_b64 exec, exec, s[2:3]
	s_and_saveexec_b64 s[2:3], vcc
	s_cbranch_execnz .LBB56_91
.LBB56_77:
	s_or_b64 exec, exec, s[2:3]
	s_and_saveexec_b64 s[2:3], vcc
	s_cbranch_execnz .LBB56_92
.LBB56_78:
	s_or_b64 exec, exec, s[2:3]
	s_and_saveexec_b64 s[2:3], vcc
	s_cbranch_execz .LBB56_80
.LBB56_79:
	v_mov_b32_e32 v12, 0x150
	v_lshl_add_u32 v1, v1, 2, v12
	ds_read_b32 v1, v1 offset:288
	s_waitcnt lgkmcnt(0)
	v_add_f32_e32 v11, v11, v1
.LBB56_80:
	s_or_b64 exec, exec, s[2:3]
.LBB56_81:
	s_or_b64 exec, exec, s[0:1]
	v_cmp_eq_u32_e32 vcc, 0, v14
	s_barrier
	s_and_saveexec_b64 s[0:1], vcc
	s_cbranch_execz .LBB56_83
; %bb.82:
	s_mul_i32 s0, s6, 0x50
	s_ashr_i32 s1, s0, 31
	s_lshl_b64 s[0:1], s[0:1], 2
	s_add_u32 s2, s22, s0
	s_mul_i32 s0, s21, s20
	s_addc_u32 s3, s23, s1
	s_ashr_i32 s1, s0, 31
	s_lshl_b64 s[0:1], s[0:1], 2
	s_add_u32 s2, s2, s0
	s_mul_i32 s0, s4, 0x50
	s_addc_u32 s3, s3, s1
	s_ashr_i32 s1, s0, 31
	s_lshl_b64 s[0:1], s[0:1], 2
	s_add_u32 s0, s2, s0
	s_addc_u32 s1, s3, s1
	v_lshrrev_b32_e32 v0, 1, v0
	global_store_dword v0, v8, s[0:1]
	global_store_dword v0, v9, s[0:1] offset:32
	global_store_dword v0, v6, s[0:1] offset:64
	;; [unrolled: 1-line block ×9, first 2 shown]
.LBB56_83:
	s_endpgm
.LBB56_84:
	v_mov_b32_e32 v12, 0x150
	v_lshl_add_u32 v12, v1, 2, v12
	ds_read_b32 v12, v12
	s_waitcnt lgkmcnt(0)
	v_add_f32_e32 v8, v8, v12
	s_or_b64 exec, exec, s[2:3]
	s_and_saveexec_b64 s[2:3], vcc
	s_cbranch_execz .LBB56_71
.LBB56_85:
	v_mov_b32_e32 v12, 0x150
	v_lshl_add_u32 v12, v1, 2, v12
	ds_read_b32 v12, v12 offset:32
	s_waitcnt lgkmcnt(0)
	v_add_f32_e32 v9, v9, v12
	s_or_b64 exec, exec, s[2:3]
	s_and_saveexec_b64 s[2:3], vcc
	s_cbranch_execz .LBB56_72
.LBB56_86:
	v_mov_b32_e32 v12, 0x150
	v_lshl_add_u32 v12, v1, 2, v12
	ds_read_b32 v12, v12 offset:64
	s_waitcnt lgkmcnt(0)
	v_add_f32_e32 v6, v6, v12
	s_or_b64 exec, exec, s[2:3]
	s_and_saveexec_b64 s[2:3], vcc
	s_cbranch_execz .LBB56_73
.LBB56_87:
	v_mov_b32_e32 v12, 0x150
	v_lshl_add_u32 v12, v1, 2, v12
	ds_read_b32 v12, v12 offset:96
	s_waitcnt lgkmcnt(0)
	v_add_f32_e32 v7, v7, v12
	s_or_b64 exec, exec, s[2:3]
	s_and_saveexec_b64 s[2:3], vcc
	s_cbranch_execz .LBB56_74
.LBB56_88:
	v_mov_b32_e32 v12, 0x150
	v_lshl_add_u32 v12, v1, 2, v12
	ds_read_b32 v12, v12 offset:128
	s_waitcnt lgkmcnt(0)
	v_add_f32_e32 v4, v4, v12
	s_or_b64 exec, exec, s[2:3]
	s_and_saveexec_b64 s[2:3], vcc
	s_cbranch_execz .LBB56_75
.LBB56_89:
	v_mov_b32_e32 v12, 0x150
	v_lshl_add_u32 v12, v1, 2, v12
	ds_read_b32 v12, v12 offset:160
	s_waitcnt lgkmcnt(0)
	v_add_f32_e32 v5, v5, v12
	s_or_b64 exec, exec, s[2:3]
	s_and_saveexec_b64 s[2:3], vcc
	s_cbranch_execz .LBB56_76
.LBB56_90:
	v_mov_b32_e32 v12, 0x150
	v_lshl_add_u32 v12, v1, 2, v12
	ds_read_b32 v12, v12 offset:192
	s_waitcnt lgkmcnt(0)
	v_add_f32_e32 v2, v2, v12
	s_or_b64 exec, exec, s[2:3]
	s_and_saveexec_b64 s[2:3], vcc
	s_cbranch_execz .LBB56_77
.LBB56_91:
	v_mov_b32_e32 v12, 0x150
	v_lshl_add_u32 v12, v1, 2, v12
	ds_read_b32 v12, v12 offset:224
	s_waitcnt lgkmcnt(0)
	v_add_f32_e32 v3, v3, v12
	s_or_b64 exec, exec, s[2:3]
	s_and_saveexec_b64 s[2:3], vcc
	s_cbranch_execz .LBB56_78
.LBB56_92:
	v_mov_b32_e32 v12, 0x150
	v_lshl_add_u32 v12, v1, 2, v12
	ds_read_b32 v12, v12 offset:256
	s_waitcnt lgkmcnt(0)
	v_add_f32_e32 v10, v10, v12
	s_or_b64 exec, exec, s[2:3]
	s_and_saveexec_b64 s[2:3], vcc
	s_cbranch_execnz .LBB56_79
	s_branch .LBB56_80
	.section	.rodata,"a",@progbits
	.p2align	6, 0x0
	.amdhsa_kernel _ZN4vllm25paged_attention_v2_kernelIffLi80ELi32ELi128ELNS_18Fp8KVCacheDataTypeE0ELb0ELi512EEEvPfS2_PT_PKS3_PKT0_S9_ifPKiSB_iPKfiiiSD_SD_iiiii
		.amdhsa_group_segment_fixed_size 336
		.amdhsa_private_segment_fixed_size 0
		.amdhsa_kernarg_size 400
		.amdhsa_user_sgpr_count 2
		.amdhsa_user_sgpr_dispatch_ptr 0
		.amdhsa_user_sgpr_queue_ptr 0
		.amdhsa_user_sgpr_kernarg_segment_ptr 1
		.amdhsa_user_sgpr_dispatch_id 0
		.amdhsa_user_sgpr_kernarg_preload_length 0
		.amdhsa_user_sgpr_kernarg_preload_offset 0
		.amdhsa_user_sgpr_private_segment_size 0
		.amdhsa_uses_dynamic_stack 0
		.amdhsa_enable_private_segment 0
		.amdhsa_system_sgpr_workgroup_id_x 1
		.amdhsa_system_sgpr_workgroup_id_y 1
		.amdhsa_system_sgpr_workgroup_id_z 1
		.amdhsa_system_sgpr_workgroup_info 0
		.amdhsa_system_vgpr_workitem_id 0
		.amdhsa_next_free_vgpr 88
		.amdhsa_next_free_sgpr 44
		.amdhsa_accum_offset 88
		.amdhsa_reserve_vcc 1
		.amdhsa_float_round_mode_32 0
		.amdhsa_float_round_mode_16_64 0
		.amdhsa_float_denorm_mode_32 3
		.amdhsa_float_denorm_mode_16_64 3
		.amdhsa_dx10_clamp 1
		.amdhsa_ieee_mode 1
		.amdhsa_fp16_overflow 0
		.amdhsa_tg_split 0
		.amdhsa_exception_fp_ieee_invalid_op 0
		.amdhsa_exception_fp_denorm_src 0
		.amdhsa_exception_fp_ieee_div_zero 0
		.amdhsa_exception_fp_ieee_overflow 0
		.amdhsa_exception_fp_ieee_underflow 0
		.amdhsa_exception_fp_ieee_inexact 0
		.amdhsa_exception_int_div_zero 0
	.end_amdhsa_kernel
	.section	.text._ZN4vllm25paged_attention_v2_kernelIffLi80ELi32ELi128ELNS_18Fp8KVCacheDataTypeE0ELb0ELi512EEEvPfS2_PT_PKS3_PKT0_S9_ifPKiSB_iPKfiiiSD_SD_iiiii,"axG",@progbits,_ZN4vllm25paged_attention_v2_kernelIffLi80ELi32ELi128ELNS_18Fp8KVCacheDataTypeE0ELb0ELi512EEEvPfS2_PT_PKS3_PKT0_S9_ifPKiSB_iPKfiiiSD_SD_iiiii,comdat
.Lfunc_end56:
	.size	_ZN4vllm25paged_attention_v2_kernelIffLi80ELi32ELi128ELNS_18Fp8KVCacheDataTypeE0ELb0ELi512EEEvPfS2_PT_PKS3_PKT0_S9_ifPKiSB_iPKfiiiSD_SD_iiiii, .Lfunc_end56-_ZN4vllm25paged_attention_v2_kernelIffLi80ELi32ELi128ELNS_18Fp8KVCacheDataTypeE0ELb0ELi512EEEvPfS2_PT_PKS3_PKT0_S9_ifPKiSB_iPKfiiiSD_SD_iiiii
                                        ; -- End function
	.section	.AMDGPU.csdata,"",@progbits
; Kernel info:
; codeLenInByte = 6048
; NumSgprs: 50
; NumVgprs: 88
; NumAgprs: 0
; TotalNumVgprs: 88
; ScratchSize: 0
; MemoryBound: 0
; FloatMode: 240
; IeeeMode: 1
; LDSByteSize: 336 bytes/workgroup (compile time only)
; SGPRBlocks: 6
; VGPRBlocks: 10
; NumSGPRsForWavesPerEU: 50
; NumVGPRsForWavesPerEU: 88
; AccumOffset: 88
; Occupancy: 5
; WaveLimiterHint : 1
; COMPUTE_PGM_RSRC2:SCRATCH_EN: 0
; COMPUTE_PGM_RSRC2:USER_SGPR: 2
; COMPUTE_PGM_RSRC2:TRAP_HANDLER: 0
; COMPUTE_PGM_RSRC2:TGID_X_EN: 1
; COMPUTE_PGM_RSRC2:TGID_Y_EN: 1
; COMPUTE_PGM_RSRC2:TGID_Z_EN: 1
; COMPUTE_PGM_RSRC2:TIDIG_COMP_CNT: 0
; COMPUTE_PGM_RSRC3_GFX90A:ACCUM_OFFSET: 21
; COMPUTE_PGM_RSRC3_GFX90A:TG_SPLIT: 0
	.section	.text._ZN4vllm25paged_attention_v2_kernelIffLi96ELi32ELi128ELNS_18Fp8KVCacheDataTypeE0ELb0ELi512EEEvPfS2_PT_PKS3_PKT0_S9_ifPKiSB_iPKfiiiSD_SD_iiiii,"axG",@progbits,_ZN4vllm25paged_attention_v2_kernelIffLi96ELi32ELi128ELNS_18Fp8KVCacheDataTypeE0ELb0ELi512EEEvPfS2_PT_PKS3_PKT0_S9_ifPKiSB_iPKfiiiSD_SD_iiiii,comdat
	.protected	_ZN4vllm25paged_attention_v2_kernelIffLi96ELi32ELi128ELNS_18Fp8KVCacheDataTypeE0ELb0ELi512EEEvPfS2_PT_PKS3_PKT0_S9_ifPKiSB_iPKfiiiSD_SD_iiiii ; -- Begin function _ZN4vllm25paged_attention_v2_kernelIffLi96ELi32ELi128ELNS_18Fp8KVCacheDataTypeE0ELb0ELi512EEEvPfS2_PT_PKS3_PKT0_S9_ifPKiSB_iPKfiiiSD_SD_iiiii
	.globl	_ZN4vllm25paged_attention_v2_kernelIffLi96ELi32ELi128ELNS_18Fp8KVCacheDataTypeE0ELb0ELi512EEEvPfS2_PT_PKS3_PKT0_S9_ifPKiSB_iPKfiiiSD_SD_iiiii
	.p2align	8
	.type	_ZN4vllm25paged_attention_v2_kernelIffLi96ELi32ELi128ELNS_18Fp8KVCacheDataTypeE0ELb0ELi512EEEvPfS2_PT_PKS3_PKT0_S9_ifPKiSB_iPKfiiiSD_SD_iiiii,@function
_ZN4vllm25paged_attention_v2_kernelIffLi96ELi32ELi128ELNS_18Fp8KVCacheDataTypeE0ELb0ELi512EEEvPfS2_PT_PKS3_PKT0_S9_ifPKiSB_iPKfiiiSD_SD_iiiii: ; @_ZN4vllm25paged_attention_v2_kernelIffLi96ELi32ELi128ELNS_18Fp8KVCacheDataTypeE0ELb0ELi512EEEvPfS2_PT_PKS3_PKT0_S9_ifPKiSB_iPKfiiiSD_SD_iiiii
; %bb.0:
	s_load_dwordx2 s[6:7], s[0:1], 0x40
	s_mov_b32 s24, s3
	s_ashr_i32 s25, s3, 31
	s_lshl_b64 s[8:9], s[24:25], 2
	s_waitcnt lgkmcnt(0)
	s_add_u32 s6, s6, s8
	s_addc_u32 s7, s7, s9
	s_load_dword s25, s[6:7], 0x0
	s_lshl_b32 s40, s4, 9
	s_waitcnt lgkmcnt(0)
	s_cmp_ge_i32 s40, s25
	s_cbranch_scc1 .LBB57_89
; %bb.1:
	s_load_dword s5, s[0:1], 0x90
	s_load_dwordx2 s[10:11], s[0:1], 0x30
	s_waitcnt lgkmcnt(0)
	s_abs_i32 s7, s5
	s_abs_i32 s3, s10
	v_cvt_f32_u32_e32 v1, s3
	s_sub_i32 s8, 0, s3
	s_xor_b32 s6, s5, s10
	s_ashr_i32 s6, s6, 31
	v_rcp_iflag_f32_e32 v1, v1
	s_nop 0
	v_mul_f32_e32 v1, 0x4f7ffffe, v1
	v_cvt_u32_f32_e32 v1, v1
	s_nop 0
	v_readfirstlane_b32 s9, v1
	s_mul_i32 s8, s8, s9
	s_mul_hi_u32 s8, s9, s8
	s_add_i32 s9, s9, s8
	s_mul_hi_u32 s8, s7, s9
	s_mul_i32 s9, s8, s3
	s_sub_i32 s7, s7, s9
	s_add_i32 s10, s8, 1
	s_sub_i32 s9, s7, s3
	s_cmp_ge_u32 s7, s3
	s_cselect_b32 s8, s10, s8
	s_cselect_b32 s7, s9, s7
	s_add_i32 s9, s8, 1
	s_cmp_ge_u32 s7, s3
	s_cselect_b32 s3, s9, s8
	s_xor_b32 s3, s3, s6
	s_sub_i32 s12, s3, s6
	s_abs_i32 s8, s12
	v_cvt_f32_u32_e32 v1, s8
	s_load_dwordx2 s[6:7], s[0:1], 0x50
	s_sub_i32 s3, 0, s8
	s_abs_i32 s9, s2
	v_rcp_iflag_f32_e32 v1, v1
	s_mov_b32 s10, 0
	v_mul_f32_e32 v1, 0x4f7ffffe, v1
	v_cvt_u32_f32_e32 v1, v1
	s_nop 0
	v_readfirstlane_b32 s13, v1
	s_mul_i32 s3, s3, s13
	s_mul_hi_u32 s3, s13, s3
	s_add_i32 s13, s13, s3
	s_waitcnt lgkmcnt(0)
	s_cmp_eq_u64 s[6:7], 0
	s_mul_hi_u32 s16, s9, s13
	s_cbranch_scc1 .LBB57_3
; %bb.2:
	s_ashr_i32 s3, s2, 31
	s_lshl_b64 s[14:15], s[2:3], 2
	s_add_u32 s6, s6, s14
	s_addc_u32 s7, s7, s15
	s_load_dword s10, s[6:7], 0x0
.LBB57_3:
	s_ashr_i32 s18, s12, 31
	s_load_dwordx4 s[12:15], s[0:1], 0x58
	s_ashr_i32 s17, s2, 31
	v_and_b32_e32 v42, 1, v0
	s_mul_i32 s20, s2, 0x60
	v_cmp_gt_u32_e32 vcc, 48, v0
	v_lshlrev_b32_e32 v2, 3, v0
	v_lshlrev_b32_e32 v68, 2, v0
	s_and_saveexec_b64 s[6:7], vcc
	s_cbranch_execz .LBB57_5
; %bb.4:
	s_load_dwordx2 s[22:23], s[0:1], 0x18
	s_waitcnt lgkmcnt(0)
	s_mul_i32 s26, s24, s12
	s_ashr_i32 s27, s26, 31
	s_lshl_b64 s[26:27], s[26:27], 2
	v_and_b32_e32 v1, 0xff8, v68
	s_add_u32 s3, s22, s26
	s_addc_u32 s12, s23, s27
	s_ashr_i32 s21, s20, 31
	s_lshl_b64 s[22:23], s[20:21], 2
	s_add_u32 s22, s3, s22
	s_addc_u32 s23, s12, s23
	global_load_dwordx2 v[4:5], v2, s[22:23]
	s_movk_i32 s3, 0xc0
	v_mad_u32_u24 v1, v42, s3, v1
	s_waitcnt vmcnt(0)
	ds_write_b64 v1, v[4:5]
.LBB57_5:
	s_or_b64 exec, exec, s[6:7]
	s_add_i32 s3, s25, 31
	s_ashr_i32 s6, s3, 31
	s_lshr_b32 s6, s6, 27
	s_add_i32 s3, s3, s6
	s_waitcnt lgkmcnt(0)
	s_ashr_i32 s12, s3, 5
	s_lshl_b32 s3, s4, 4
	s_mul_i32 s7, s16, s8
	s_add_i32 s6, s3, 16
	s_sub_i32 s7, s9, s7
	s_min_i32 s33, s6, s12
	s_xor_b32 s6, s17, s18
	s_add_i32 s9, s16, 1
	s_sub_i32 s15, s7, s8
	s_cmp_ge_u32 s7, s8
	s_cselect_b32 s9, s9, s16
	s_cselect_b32 s7, s15, s7
	s_add_i32 s15, s9, 1
	s_cmp_ge_u32 s7, s8
	s_load_dwordx2 s[26:27], s[0:1], 0x38
	s_load_dword s8, s[0:1], 0x48
	v_lshrrev_b32_e32 v70, 6, v0
	s_cselect_b32 s7, s15, s9
	s_xor_b32 s7, s7, s6
	v_or_b32_e32 v54, s3, v70
	s_waitcnt lgkmcnt(0)
	s_mul_i32 s28, s24, s8
	s_sub_i32 s15, s7, s6
	s_ashr_i32 s29, s28, 31
	v_cmp_gt_i32_e64 s[8:9], s33, v54
	v_cmp_le_i32_e32 vcc, s33, v54
	v_mbcnt_lo_u32_b32 v43, -1, 0
	s_barrier
	s_waitcnt lgkmcnt(0)
                                        ; implicit-def: $sgpr36
                                        ; implicit-def: $vgpr56
                                        ; implicit-def: $vgpr57
	s_and_saveexec_b64 s[6:7], vcc
	s_xor_b64 s[6:7], exec, s[6:7]
; %bb.6:
	v_mbcnt_hi_u32_b32 v56, -1, v43
	v_and_b32_e32 v1, 64, v56
	v_add_u32_e32 v57, 64, v1
	s_mov_b32 s36, 0xff7fffff
                                        ; implicit-def: $vgpr2
                                        ; implicit-def: $vgpr42
                                        ; implicit-def: $vgpr43
; %bb.7:
	s_or_saveexec_b64 s[34:35], s[6:7]
	s_load_dwordx4 s[16:19], s[0:1], 0x0
	s_load_dwordx2 s[22:23], s[0:1], 0x10
	s_load_dwordx2 s[30:31], s[0:1], 0x28
	s_load_dword s21, s[0:1], 0x98
	v_mov_b32_e32 v1, s36
	s_mul_i32 s14, s15, s14
	v_ashrrev_i32_e32 v55, 31, v54
	s_xor_b64 exec, exec, s[34:35]
	s_cbranch_execz .LBB57_13
; %bb.8:
	s_load_dwordx2 s[0:1], s[0:1], 0x20
	s_ashr_i32 s15, s14, 31
	s_lshl_b64 s[6:7], s[14:15], 2
	v_bfe_u32 v1, v0, 1, 5
	v_lshlrev_b32_e32 v4, 4, v1
	s_waitcnt lgkmcnt(0)
	s_add_u32 s0, s0, s6
	s_addc_u32 s1, s1, s7
	v_mov_b32_e32 v5, 0
	v_lshl_add_u64 v[6:7], s[0:1], 0, v[4:5]
	v_and_b32_e32 v4, 8, v2
	v_mul_u32_u24_e32 v46, 0xc0, v42
	v_lshl_add_u64 v[50:51], v[6:7], 0, v[4:5]
	ds_read_b128 v[2:5], v46
	ds_read_b128 v[6:9], v46 offset:16
	ds_read_b128 v[10:13], v46 offset:32
	;; [unrolled: 1-line block ×9, first 2 shown]
	v_mbcnt_hi_u32_b32 v56, -1, v43
	v_and_b32_e32 v45, 64, v56
	v_xor_b32_e32 v43, 1, v56
	v_add_u32_e32 v57, 64, v45
	v_cmp_lt_i32_e32 vcc, v43, v57
	v_lshlrev_b32_e32 v44, 2, v1
	s_sub_i32 s15, 1, s25
	v_cndmask_b32_e32 v43, v56, v43, vcc
	v_cmp_eq_u32_e32 vcc, 0, v42
	v_lshlrev_b32_e32 v42, 5, v70
	v_lshlrev_b32_e32 v58, 2, v43
	v_add3_u32 v59, s40, v42, v1
	v_lshl_or_b32 v1, v70, 7, v44
	ds_read_b128 v[42:45], v46 offset:160
	ds_read_b128 v[46:49], v46 offset:176
	s_lshl_b64 s[0:1], s[28:29], 2
	s_add_u32 s0, s26, s0
	s_addc_u32 s1, s27, s1
	s_mov_b32 s41, s13
	v_cmp_neq_f32_e64 s[6:7], s10, 0
	v_add_u32_e32 v60, 0x190, v1
	v_lshl_add_u64 v[52:53], v[54:55], 2, s[0:1]
	s_mov_b64 s[36:37], 0
	v_mov_b32_e32 v1, 0xff7fffff
	s_movk_i32 s42, 0x1000
	s_movk_i32 s43, 0x2000
	v_mov_b32_e32 v61, v54
	s_branch .LBB57_10
.LBB57_9:                               ;   in Loop: Header=BB57_10 Depth=1
	s_or_b64 exec, exec, s[38:39]
	v_add_u32_e32 v61, 2, v61
	v_cmp_le_i32_e64 s[0:1], s33, v61
	v_add_u32_e32 v59, 64, v59
	v_add_u32_e32 v60, 0x100, v60
	s_or_b64 s[36:37], s[0:1], s[36:37]
	v_lshl_add_u64 v[52:53], v[52:53], 0, 8
	s_andn2_b64 exec, exec, s[36:37]
	s_cbranch_execz .LBB57_12
.LBB57_10:                              ; =>This Inner Loop Header: Depth=1
	global_load_dword v62, v[52:53], off
	s_waitcnt vmcnt(0) lgkmcnt(0)
	v_mad_i64_i32 v[62:63], s[0:1], v62, s41, 0
	v_lshl_add_u64 v[62:63], v[62:63], 2, v[50:51]
	global_load_dwordx2 v[64:65], v[62:63], off offset:512
	global_load_dwordx2 v[66:67], v[62:63], off offset:1024
	;; [unrolled: 1-line block ×3, first 2 shown]
	global_load_dwordx2 v[74:75], v[62:63], off
	global_load_dwordx2 v[76:77], v[62:63], off offset:2048
	global_load_dwordx2 v[78:79], v[62:63], off offset:2560
	v_add_co_u32_e64 v80, s[0:1], s43, v62
	s_waitcnt vmcnt(5) lgkmcnt(11)
	v_mul_f32_e32 v69, v4, v64
	v_addc_co_u32_e64 v81, s[0:1], 0, v63, s[0:1]
	global_load_dwordx2 v[82:83], v[62:63], off offset:3072
	global_load_dwordx2 v[84:85], v[62:63], off offset:3584
	global_load_dwordx2 v[86:87], v[80:81], off offset:-4096
	v_add_co_u32_e64 v62, s[0:1], s42, v62
	v_mul_f32_e32 v71, v5, v65
	s_nop 0
	v_addc_co_u32_e64 v63, s[0:1], 0, v63, s[0:1]
	global_load_dwordx2 v[88:89], v[62:63], off offset:512
	global_load_dwordx2 v[90:91], v[62:63], off offset:1024
	;; [unrolled: 1-line block ×6, first 2 shown]
	s_nop 0
	global_load_dwordx2 v[62:63], v[62:63], off offset:3072
	s_waitcnt vmcnt(12)
	v_fmac_f32_e32 v69, v2, v74
	v_fmac_f32_e32 v71, v3, v75
	s_waitcnt lgkmcnt(10)
	v_fmac_f32_e32 v69, v6, v66
	v_fmac_f32_e32 v71, v7, v67
	global_load_dwordx2 v[64:65], v[80:81], off
	global_load_dwordx2 v[66:67], v[80:81], off offset:512
	global_load_dwordx2 v[74:75], v[80:81], off offset:1024
	;; [unrolled: 1-line block ×3, first 2 shown]
	v_fmac_f32_e32 v69, v8, v72
	v_fmac_f32_e32 v71, v9, v73
	global_load_dwordx2 v[72:73], v[80:81], off offset:2048
	s_waitcnt vmcnt(16) lgkmcnt(9)
	v_fmac_f32_e32 v69, v10, v76
	v_fmac_f32_e32 v71, v11, v77
	global_load_dwordx2 v[76:77], v[80:81], off offset:2560
	s_waitcnt vmcnt(16)
	v_fmac_f32_e32 v69, v12, v78
	v_fmac_f32_e32 v71, v13, v79
	global_load_dwordx2 v[78:79], v[80:81], off offset:3072
	s_nop 0
	global_load_dwordx2 v[80:81], v[80:81], off offset:3584
	s_waitcnt vmcnt(17) lgkmcnt(8)
	v_fmac_f32_e32 v69, v14, v82
	v_fmac_f32_e32 v71, v15, v83
	s_waitcnt vmcnt(16)
	v_fmac_f32_e32 v69, v16, v84
	v_fmac_f32_e32 v71, v17, v85
	s_waitcnt vmcnt(15) lgkmcnt(7)
	v_fmac_f32_e32 v69, v18, v86
	v_fmac_f32_e32 v71, v19, v87
	s_waitcnt vmcnt(14)
	v_fmac_f32_e32 v69, v20, v88
	v_fmac_f32_e32 v71, v21, v89
	;; [unrolled: 6-line block ×4, first 2 shown]
	s_waitcnt vmcnt(8) lgkmcnt(4)
	v_fmac_f32_e32 v69, v30, v62
	v_fmac_f32_e32 v71, v31, v63
	;; [unrolled: 1-line block ×4, first 2 shown]
	s_waitcnt vmcnt(7) lgkmcnt(3)
	v_fmac_f32_e32 v69, v34, v64
	v_fmac_f32_e32 v71, v35, v65
	s_waitcnt vmcnt(6)
	v_fmac_f32_e32 v69, v36, v66
	v_fmac_f32_e32 v71, v37, v67
	s_waitcnt vmcnt(5) lgkmcnt(2)
	v_fmac_f32_e32 v69, v38, v74
	v_fmac_f32_e32 v71, v39, v75
	s_waitcnt vmcnt(4)
	v_fmac_f32_e32 v69, v40, v100
	v_fmac_f32_e32 v71, v41, v101
	;; [unrolled: 6-line block ×4, first 2 shown]
	v_add_f32_e32 v62, v69, v71
	ds_bpermute_b32 v63, v58, v62
	s_and_saveexec_b64 s[38:39], vcc
	s_cbranch_execz .LBB57_9
; %bb.11:                               ;   in Loop: Header=BB57_10 Depth=1
	v_add_u32_e32 v64, s15, v59
	v_cvt_f32_i32_e32 v64, v64
	s_waitcnt lgkmcnt(0)
	v_add_f32_e32 v62, v62, v63
	v_cmp_gt_i32_e64 s[0:1], s25, v59
	v_max_f32_e32 v63, v1, v1
	v_mul_f32_e32 v64, s10, v64
	v_cndmask_b32_e64 v64, 0, v64, s[6:7]
	v_fmac_f32_e32 v64, s11, v62
	v_cndmask_b32_e64 v62, 0, v64, s[0:1]
	ds_write_b32 v60, v62
	v_max_f32_e32 v62, v63, v64
	v_cndmask_b32_e64 v1, v1, v62, s[0:1]
	s_branch .LBB57_9
.LBB57_12:
	s_or_b64 exec, exec, s[36:37]
.LBB57_13:
	s_or_b64 exec, exec, s[34:35]
	v_xor_b32_e32 v2, 32, v56
	v_cmp_lt_i32_e32 vcc, v2, v57
	v_xor_b32_e32 v4, 16, v56
	v_xor_b32_e32 v5, 8, v56
	v_cndmask_b32_e32 v2, v56, v2, vcc
	v_lshlrev_b32_e32 v2, 2, v2
	ds_bpermute_b32 v3, v2, v1
	v_max_f32_e32 v1, v1, v1
	v_cmp_lt_i32_e32 vcc, v4, v57
	v_xor_b32_e32 v6, 4, v56
	s_waitcnt lgkmcnt(0)
	v_max_f32_e32 v3, v3, v3
	v_max_f32_e32 v1, v1, v3
	v_cndmask_b32_e32 v3, v56, v4, vcc
	v_lshlrev_b32_e32 v3, 2, v3
	ds_bpermute_b32 v4, v3, v1
	v_cmp_lt_i32_e32 vcc, v5, v57
	s_waitcnt lgkmcnt(0)
	v_max_f32_e32 v4, v4, v4
	v_max_f32_e32 v1, v1, v4
	v_cndmask_b32_e32 v4, v56, v5, vcc
	v_lshlrev_b32_e32 v5, 2, v4
	ds_bpermute_b32 v4, v5, v1
	v_cmp_lt_i32_e32 vcc, v6, v57
	s_waitcnt lgkmcnt(0)
	v_max_f32_e32 v4, v4, v4
	v_max_f32_e32 v1, v1, v4
	v_cndmask_b32_e32 v4, v56, v6, vcc
	v_lshlrev_b32_e32 v88, 2, v4
	ds_bpermute_b32 v4, v88, v1
	v_xor_b32_e32 v6, 2, v56
	v_cmp_lt_i32_e32 vcc, v6, v57
	s_waitcnt lgkmcnt(0)
	v_max_f32_e32 v4, v4, v4
	v_max_f32_e32 v4, v1, v4
	v_cndmask_b32_e32 v1, v56, v6, vcc
	v_lshlrev_b32_e32 v89, 2, v1
	ds_bpermute_b32 v7, v89, v4
	v_and_b32_e32 v1, 63, v0
	v_cmp_eq_u32_e32 vcc, 0, v1
	v_lshlrev_b32_e32 v6, 2, v70
	s_and_saveexec_b64 s[0:1], vcc
	s_cbranch_execz .LBB57_15
; %bb.14:
	s_waitcnt lgkmcnt(0)
	v_max_f32_e32 v7, v7, v7
	v_max_f32_e32 v4, v4, v4
	;; [unrolled: 1-line block ×3, first 2 shown]
	ds_write_b32 v6, v4 offset:384
.LBB57_15:
	s_or_b64 exec, exec, s[0:1]
	v_cmp_gt_u32_e64 s[0:1], 2, v1
	v_mov_b32_e32 v4, 0xff7fffff
	s_waitcnt lgkmcnt(0)
	v_lshlrev_b32_e32 v7, 2, v1
	s_barrier
	s_and_saveexec_b64 s[6:7], s[0:1]
	s_cbranch_execz .LBB57_17
; %bb.16:
	ds_read_b32 v4, v7 offset:384
.LBB57_17:
	s_or_b64 exec, exec, s[6:7]
	v_xor_b32_e32 v8, 1, v56
	v_cmp_lt_i32_e64 s[6:7], v8, v57
	s_sub_i32 s3, s33, s3
	s_lshl_b32 s3, s3, 5
	v_cndmask_b32_e64 v8, v56, v8, s[6:7]
	v_lshlrev_b32_e32 v90, 2, v8
	s_waitcnt lgkmcnt(0)
	ds_bpermute_b32 v8, v90, v4
	v_max_f32_e32 v4, v4, v4
	s_add_i32 s3, s3, s40
	s_min_i32 s15, s3, s25
	s_sub_i32 s3, s15, s40
	s_waitcnt lgkmcnt(0)
	v_max_f32_e32 v8, v8, v8
	v_max_f32_e32 v4, v4, v8
	v_lshlrev_b32_e32 v8, 2, v56
	v_and_b32_e32 v8, 0xffffff00, v8
	ds_bpermute_b32 v4, v8, v4
	v_cmp_gt_i32_e64 s[6:7], s3, v0
	v_mov_b32_e32 v9, 0
	s_and_saveexec_b64 s[34:35], s[6:7]
	s_cbranch_execz .LBB57_21
; %bb.18:
	v_mov_b32_e32 v9, 0x190
	v_lshl_add_u32 v10, v0, 2, v9
	s_mov_b64 s[36:37], 0
	v_mov_b32_e32 v9, 0
	v_mov_b32_e32 v11, v0
.LBB57_19:                              ; =>This Inner Loop Header: Depth=1
	ds_read_b32 v12, v10
	v_add_u32_e32 v11, 0x80, v11
	v_cmp_le_i32_e64 s[10:11], s3, v11
	s_or_b64 s[36:37], s[10:11], s[36:37]
	s_waitcnt lgkmcnt(0)
	v_sub_f32_e32 v12, v12, v4
	v_mul_f32_e32 v12, 0x3fb8aa3b, v12
	v_exp_f32_e32 v12, v12
	ds_write_b32 v10, v12
	v_add_f32_e32 v9, v9, v12
	v_add_u32_e32 v10, 0x200, v10
	s_andn2_b64 exec, exec, s[36:37]
	s_cbranch_execnz .LBB57_19
; %bb.20:
	s_or_b64 exec, exec, s[36:37]
.LBB57_21:
	s_or_b64 exec, exec, s[34:35]
	ds_bpermute_b32 v2, v2, v9
	s_waitcnt lgkmcnt(0)
	v_add_f32_e32 v2, v9, v2
	ds_bpermute_b32 v3, v3, v2
	s_waitcnt lgkmcnt(0)
	v_add_f32_e32 v2, v2, v3
	;; [unrolled: 3-line block ×6, first 2 shown]
	s_and_saveexec_b64 s[10:11], vcc
	s_cbranch_execz .LBB57_23
; %bb.22:
	ds_write_b32 v6, v2 offset:392
.LBB57_23:
	s_or_b64 exec, exec, s[10:11]
	s_waitcnt lgkmcnt(0)
	s_barrier
	s_and_saveexec_b64 s[10:11], s[0:1]
	s_cbranch_execz .LBB57_25
; %bb.24:
	ds_read_b32 v2, v7 offset:392
.LBB57_25:
	s_or_b64 exec, exec, s[10:11]
	s_waitcnt lgkmcnt(0)
	ds_bpermute_b32 v3, v90, v2
	s_waitcnt lgkmcnt(0)
	v_add_f32_e32 v2, v2, v3
	ds_bpermute_b32 v5, v8, v2
	s_and_saveexec_b64 s[0:1], s[6:7]
	s_cbranch_execz .LBB57_38
; %bb.26:
	s_waitcnt lgkmcnt(0)
	v_add_f32_e32 v2, 0x358637bd, v5
	v_div_scale_f32 v3, s[6:7], v2, v2, 1.0
	v_rcp_f32_e32 v6, v3
	v_div_scale_f32 v7, vcc, 1.0, v2, 1.0
	s_movk_i32 s6, 0x7f
	v_fma_f32 v8, -v3, v6, 1.0
	v_fmac_f32_e32 v6, v8, v6
	v_mul_f32_e32 v8, v7, v6
	v_fma_f32 v9, -v3, v8, v7
	v_fmac_f32_e32 v8, v9, v6
	v_fma_f32 v3, -v3, v8, v7
	v_div_fmas_f32 v3, v3, v6, v8
	v_div_fixup_f32 v2, v3, v2, 1.0
	v_xad_u32 v3, v0, -1, s15
	v_subrev_u32_e32 v6, s40, v3
	v_cmp_lt_u32_e32 vcc, s6, v6
	s_mov_b64 s[10:11], -1
	v_mov_b32_e32 v3, v0
	s_and_saveexec_b64 s[6:7], vcc
	s_cbranch_execz .LBB57_35
; %bb.27:
	v_lshrrev_b32_e32 v6, 7, v6
	v_add_u32_e32 v8, -1, v6
	v_lshrrev_b32_e32 v7, 1, v8
	v_mov_b32_e32 v3, v2
	v_add_u32_e32 v7, 1, v7
	v_cmp_lt_u32_e32 vcc, 13, v8
	v_mov_b32_e32 v10, 0
	s_and_saveexec_b64 s[10:11], vcc
	s_cbranch_execz .LBB57_31
; %bb.28:
	v_mov_b32_e32 v9, 0x190
	v_and_b32_e32 v8, -8, v7
	v_lshl_add_u32 v9, v0, 2, v9
	s_mov_b32 s15, 0
	s_mov_b64 s[34:35], 0
.LBB57_29:                              ; =>This Inner Loop Header: Depth=1
	ds_read2st64_b32 v[10:11], v9 offset1:2
	ds_read2st64_b32 v[12:13], v9 offset0:4 offset1:6
	ds_read2st64_b32 v[14:15], v9 offset0:8 offset1:10
	;; [unrolled: 1-line block ×3, first 2 shown]
	v_add_u32_e32 v8, -8, v8
	s_waitcnt lgkmcnt(3)
	v_pk_mul_f32 v[10:11], v[2:3], v[10:11]
	s_waitcnt lgkmcnt(2)
	v_pk_mul_f32 v[12:13], v[2:3], v[12:13]
	ds_write2st64_b32 v9, v10, v11 offset1:2
	ds_write2st64_b32 v9, v12, v13 offset0:4 offset1:6
	ds_read2st64_b32 v[12:13], v9 offset0:16 offset1:18
	s_waitcnt lgkmcnt(4)
	v_pk_mul_f32 v[10:11], v[2:3], v[14:15]
	ds_write2st64_b32 v9, v10, v11 offset0:8 offset1:10
	s_waitcnt lgkmcnt(4)
	v_pk_mul_f32 v[10:11], v[2:3], v[16:17]
	ds_write2st64_b32 v9, v10, v11 offset0:12 offset1:14
	ds_read2st64_b32 v[10:11], v9 offset0:20 offset1:22
	s_waitcnt lgkmcnt(3)
	v_pk_mul_f32 v[12:13], v[2:3], v[12:13]
	ds_read2st64_b32 v[14:15], v9 offset0:24 offset1:26
	ds_write2st64_b32 v9, v12, v13 offset0:16 offset1:18
	ds_read2st64_b32 v[12:13], v9 offset0:28 offset1:30
	s_waitcnt lgkmcnt(3)
	v_pk_mul_f32 v[10:11], v[2:3], v[10:11]
	ds_write2st64_b32 v9, v10, v11 offset0:20 offset1:22
	s_waitcnt lgkmcnt(3)
	v_pk_mul_f32 v[10:11], v[2:3], v[14:15]
	ds_write2st64_b32 v9, v10, v11 offset0:24 offset1:26
	s_waitcnt lgkmcnt(2)
	v_pk_mul_f32 v[10:11], v[2:3], v[12:13]
	s_add_i32 s15, s15, 16
	v_cmp_eq_u32_e32 vcc, 0, v8
	ds_write2st64_b32 v9, v10, v11 offset0:28 offset1:30
	v_add_u32_e32 v9, 0x2000, v9
	s_or_b64 s[34:35], vcc, s[34:35]
	v_mov_b32_e32 v10, s15
	s_andn2_b64 exec, exec, s[34:35]
	s_cbranch_execnz .LBB57_29
; %bb.30:
	s_or_b64 exec, exec, s[34:35]
.LBB57_31:
	s_or_b64 exec, exec, s[10:11]
	v_and_b32_e32 v7, 7, v7
	v_cmp_ne_u32_e32 vcc, 0, v7
	s_and_saveexec_b64 s[10:11], vcc
	s_cbranch_execz .LBB57_34
; %bb.32:
	v_lshlrev_b32_e32 v8, 9, v10
	s_movk_i32 s15, 0x190
	v_add3_u32 v8, v8, v68, s15
	s_mov_b64 s[34:35], 0
.LBB57_33:                              ; =>This Inner Loop Header: Depth=1
	ds_read2st64_b32 v[10:11], v8 offset1:2
	v_add_u32_e32 v7, -1, v7
	v_cmp_eq_u32_e32 vcc, 0, v7
	s_or_b64 s[34:35], vcc, s[34:35]
	s_waitcnt lgkmcnt(0)
	v_pk_mul_f32 v[10:11], v[2:3], v[10:11]
	ds_write2st64_b32 v8, v10, v11 offset1:2
	v_add_u32_e32 v8, 0x400, v8
	s_andn2_b64 exec, exec, s[34:35]
	s_cbranch_execnz .LBB57_33
.LBB57_34:
	s_or_b64 exec, exec, s[10:11]
	v_add_u32_e32 v6, 1, v6
	v_and_b32_e32 v7, 0x3fffffe, v6
	v_cmp_ne_u32_e32 vcc, v6, v7
	v_lshl_add_u32 v3, v7, 7, v0
	s_orn2_b64 s[10:11], vcc, exec
.LBB57_35:
	s_or_b64 exec, exec, s[6:7]
	s_and_b64 exec, exec, s[10:11]
	s_cbranch_execz .LBB57_38
; %bb.36:
	v_mov_b32_e32 v6, 0x190
	v_lshl_add_u32 v6, v3, 2, v6
	s_mov_b64 s[6:7], 0
.LBB57_37:                              ; =>This Inner Loop Header: Depth=1
	ds_read_b32 v7, v6
	v_add_u32_e32 v3, 0x80, v3
	v_cmp_le_i32_e32 vcc, s3, v3
	s_or_b64 s[6:7], vcc, s[6:7]
	s_waitcnt lgkmcnt(0)
	v_mul_f32_e32 v7, v2, v7
	ds_write_b32 v6, v7
	v_add_u32_e32 v6, 0x200, v6
	s_andn2_b64 exec, exec, s[6:7]
	s_cbranch_execnz .LBB57_37
.LBB57_38:
	s_or_b64 exec, exec, s[0:1]
	s_mul_i32 s0, s21, s24
	v_cmp_eq_u32_e32 vcc, 0, v0
	s_mul_i32 s6, s0, s5
	s_waitcnt lgkmcnt(0)
	s_barrier
	s_and_saveexec_b64 s[0:1], vcc
	s_cbranch_execz .LBB57_40
; %bb.39:
	s_ashr_i32 s7, s6, 31
	s_lshl_b64 s[10:11], s[6:7], 2
	s_add_u32 s5, s18, s10
	s_mul_i32 s2, s21, s2
	s_addc_u32 s7, s19, s11
	s_ashr_i32 s3, s2, 31
	s_lshl_b64 s[2:3], s[2:3], 2
	s_add_u32 s15, s5, s2
	s_addc_u32 s7, s7, s3
	s_ashr_i32 s5, s4, 31
	s_lshl_b64 s[18:19], s[4:5], 2
	s_add_u32 s34, s15, s18
	s_addc_u32 s35, s7, s19
	s_add_u32 s5, s16, s10
	s_addc_u32 s7, s17, s11
	;; [unrolled: 2-line block ×3, first 2 shown]
	s_add_u32 s2, s2, s18
	v_mov_b32_e32 v2, 0
	s_addc_u32 s3, s3, s19
	global_store_dword v2, v4, s[34:35]
	global_store_dword v2, v5, s[2:3]
.LBB57_40:
	s_or_b64 exec, exec, s[0:1]
	v_mov_b32_e32 v57, 0
	v_and_b32_e32 v91, 7, v0
	v_mov_b32_e32 v56, 0
	v_mov_b32_e32 v59, 0
	;; [unrolled: 1-line block ×11, first 2 shown]
	s_and_saveexec_b64 s[2:3], s[8:9]
	s_cbranch_execz .LBB57_68
; %bb.41:
	s_ashr_i32 s15, s14, 31
	s_lshl_b64 s[0:1], s[14:15], 2
	s_add_u32 s8, s30, s0
	v_and_b32_e32 v3, 28, v68
	s_addc_u32 s9, s31, s1
	s_add_i32 s7, s12, -1
	v_lshl_add_u32 v5, v70, 5, s40
	s_lshl_b64 s[0:1], s[28:29], 2
	v_and_b32_e32 v2, 0xfc, v68
	v_add3_u32 v92, v5, v3, 3
	v_lshlrev_b32_e32 v3, 4, v91
	s_add_u32 s0, s26, s0
	v_mov_b32_e32 v69, 0
	v_or_b32_e32 v4, 0x400, v2
	v_or_b32_e32 v6, 0x500, v2
	;; [unrolled: 1-line block ×8, first 2 shown]
	v_lshl_or_b32 v3, v70, 7, v3
	s_addc_u32 s1, s27, s1
	s_mov_b32 s5, s13
	v_add_u32_e32 v93, 0x190, v3
	v_lshl_add_u64 v[70:71], v[54:55], 2, s[0:1]
	s_mov_b64 s[10:11], 0
	v_lshlrev_b32_e32 v72, 2, v2
	v_lshlrev_b32_e32 v68, 2, v4
	;; [unrolled: 1-line block ×9, first 2 shown]
	v_mov_b32_e32 v73, v69
	v_mov_b32_e32 v57, v69
	;; [unrolled: 1-line block ×13, first 2 shown]
	s_branch .LBB57_43
.LBB57_42:                              ;   in Loop: Header=BB57_43 Depth=1
	s_or_b64 exec, exec, s[0:1]
	s_waitcnt vmcnt(1) lgkmcnt(0)
	v_mul_f32_e32 v51, v3, v51
	v_mul_f32_e32 v47, v3, v47
	;; [unrolled: 1-line block ×11, first 2 shown]
	s_waitcnt vmcnt(0)
	v_mul_f32_e32 v3, v3, v43
	v_fmac_f32_e32 v51, v2, v50
	v_fmac_f32_e32 v47, v2, v46
	;; [unrolled: 1-line block ×24, first 2 shown]
	v_add_u32_e32 v54, 2, v54
	v_fmac_f32_e32 v51, v5, v53
	v_fmac_f32_e32 v47, v5, v49
	;; [unrolled: 1-line block ×12, first 2 shown]
	v_cmp_le_i32_e32 vcc, s33, v54
	v_add_f32_e32 v56, v56, v51
	v_add_f32_e32 v59, v59, v47
	;; [unrolled: 1-line block ×12, first 2 shown]
	v_add_u32_e32 v92, 64, v92
	v_add_u32_e32 v93, 0x100, v93
	s_or_b64 s[10:11], vcc, s[10:11]
	v_lshl_add_u64 v[70:71], v[70:71], 0, 8
	s_andn2_b64 exec, exec, s[10:11]
	s_cbranch_execz .LBB57_67
.LBB57_43:                              ; =>This Inner Loop Header: Depth=1
	global_load_dword v2, v[70:71], off
	v_add_u32_e32 v55, -3, v92
	v_cmp_eq_u32_e32 vcc, s7, v54
	v_add_u32_e32 v95, -2, v92
	v_add_u32_e32 v94, -1, v92
	s_waitcnt vmcnt(0)
	v_mad_i64_i32 v[2:3], s[0:1], v2, s5, 0
	v_lshl_add_u64 v[42:43], v[2:3], 2, s[8:9]
	v_lshl_add_u64 v[18:19], v[42:43], 0, v[72:73]
	global_load_dwordx4 v[6:9], v[18:19], off
	ds_read_b128 v[2:5], v93
	s_and_saveexec_b64 s[12:13], vcc
	s_cbranch_execnz .LBB57_64
; %bb.44:                               ;   in Loop: Header=BB57_43 Depth=1
	s_or_b64 exec, exec, s[12:13]
	global_load_dwordx4 v[10:13], v[18:19], off offset:1024
	s_and_saveexec_b64 s[12:13], vcc
	s_cbranch_execnz .LBB57_65
.LBB57_45:                              ;   in Loop: Header=BB57_43 Depth=1
	s_or_b64 exec, exec, s[12:13]
	global_load_dwordx4 v[14:17], v[18:19], off offset:2048
	s_and_saveexec_b64 s[12:13], vcc
	s_cbranch_execnz .LBB57_66
.LBB57_46:                              ;   in Loop: Header=BB57_43 Depth=1
	s_or_b64 exec, exec, s[12:13]
	global_load_dwordx4 v[18:21], v[18:19], off offset:3072
	s_and_saveexec_b64 s[12:13], vcc
	s_cbranch_execz .LBB57_48
.LBB57_47:                              ;   in Loop: Header=BB57_43 Depth=1
	v_cmp_gt_i32_e64 s[0:1], s25, v55
	s_waitcnt vmcnt(0)
	s_nop 0
	v_cndmask_b32_e64 v18, 0, v18, s[0:1]
	v_cmp_gt_i32_e64 s[0:1], s25, v95
	s_nop 1
	v_cndmask_b32_e64 v19, 0, v19, s[0:1]
	v_cmp_gt_i32_e64 s[0:1], s25, v94
	;; [unrolled: 3-line block ×3, first 2 shown]
	s_nop 1
	v_cndmask_b32_e64 v21, 0, v21, s[0:1]
.LBB57_48:                              ;   in Loop: Header=BB57_43 Depth=1
	s_or_b64 exec, exec, s[12:13]
	v_lshl_add_u64 v[22:23], v[42:43], 0, v[68:69]
	global_load_dwordx4 v[22:25], v[22:23], off
	s_and_saveexec_b64 s[12:13], vcc
	s_cbranch_execz .LBB57_50
; %bb.49:                               ;   in Loop: Header=BB57_43 Depth=1
	v_cmp_gt_i32_e64 s[0:1], s25, v55
	s_waitcnt vmcnt(0)
	s_nop 0
	v_cndmask_b32_e64 v22, 0, v22, s[0:1]
	v_cmp_gt_i32_e64 s[0:1], s25, v95
	s_nop 1
	v_cndmask_b32_e64 v23, 0, v23, s[0:1]
	v_cmp_gt_i32_e64 s[0:1], s25, v94
	s_nop 1
	v_cndmask_b32_e64 v24, 0, v24, s[0:1]
	v_cmp_gt_i32_e64 s[0:1], s25, v92
	s_nop 1
	v_cndmask_b32_e64 v25, 0, v25, s[0:1]
.LBB57_50:                              ;   in Loop: Header=BB57_43 Depth=1
	s_or_b64 exec, exec, s[12:13]
	v_mov_b32_e32 v75, v69
	v_lshl_add_u64 v[26:27], v[42:43], 0, v[74:75]
	global_load_dwordx4 v[26:29], v[26:27], off
	s_and_saveexec_b64 s[12:13], vcc
	s_cbranch_execz .LBB57_52
; %bb.51:                               ;   in Loop: Header=BB57_43 Depth=1
	v_cmp_gt_i32_e64 s[0:1], s25, v55
	s_waitcnt vmcnt(0)
	s_nop 0
	v_cndmask_b32_e64 v26, 0, v26, s[0:1]
	v_cmp_gt_i32_e64 s[0:1], s25, v95
	s_nop 1
	v_cndmask_b32_e64 v27, 0, v27, s[0:1]
	v_cmp_gt_i32_e64 s[0:1], s25, v94
	s_nop 1
	v_cndmask_b32_e64 v28, 0, v28, s[0:1]
	v_cmp_gt_i32_e64 s[0:1], s25, v92
	s_nop 1
	v_cndmask_b32_e64 v29, 0, v29, s[0:1]
.LBB57_52:                              ;   in Loop: Header=BB57_43 Depth=1
	s_or_b64 exec, exec, s[12:13]
	v_mov_b32_e32 v77, v69
	;; [unrolled: 21-line block ×7, first 2 shown]
	v_lshl_add_u64 v[42:43], v[42:43], 0, v[86:87]
	global_load_dwordx4 v[42:45], v[42:43], off
	s_and_saveexec_b64 s[0:1], vcc
	s_cbranch_execz .LBB57_42
; %bb.63:                               ;   in Loop: Header=BB57_43 Depth=1
	v_cmp_gt_i32_e32 vcc, s25, v55
	s_waitcnt vmcnt(0)
	s_nop 0
	v_cndmask_b32_e32 v42, 0, v42, vcc
	v_cmp_gt_i32_e32 vcc, s25, v95
	s_nop 1
	v_cndmask_b32_e32 v43, 0, v43, vcc
	v_cmp_gt_i32_e32 vcc, s25, v94
	s_nop 1
	v_cndmask_b32_e32 v44, 0, v44, vcc
	v_cmp_gt_i32_e32 vcc, s25, v92
	s_nop 1
	v_cndmask_b32_e32 v45, 0, v45, vcc
	s_branch .LBB57_42
.LBB57_64:                              ;   in Loop: Header=BB57_43 Depth=1
	v_cmp_gt_i32_e64 s[0:1], s25, v55
	s_waitcnt vmcnt(0)
	s_nop 0
	v_cndmask_b32_e64 v6, 0, v6, s[0:1]
	v_cmp_gt_i32_e64 s[0:1], s25, v95
	s_nop 1
	v_cndmask_b32_e64 v7, 0, v7, s[0:1]
	v_cmp_gt_i32_e64 s[0:1], s25, v94
	;; [unrolled: 3-line block ×3, first 2 shown]
	s_nop 1
	v_cndmask_b32_e64 v9, 0, v9, s[0:1]
	s_or_b64 exec, exec, s[12:13]
	global_load_dwordx4 v[10:13], v[18:19], off offset:1024
	s_and_saveexec_b64 s[12:13], vcc
	s_cbranch_execz .LBB57_45
.LBB57_65:                              ;   in Loop: Header=BB57_43 Depth=1
	v_cmp_gt_i32_e64 s[0:1], s25, v55
	s_waitcnt vmcnt(0)
	s_nop 0
	v_cndmask_b32_e64 v10, 0, v10, s[0:1]
	v_cmp_gt_i32_e64 s[0:1], s25, v95
	s_nop 1
	v_cndmask_b32_e64 v11, 0, v11, s[0:1]
	v_cmp_gt_i32_e64 s[0:1], s25, v94
	;; [unrolled: 3-line block ×3, first 2 shown]
	s_nop 1
	v_cndmask_b32_e64 v13, 0, v13, s[0:1]
	s_or_b64 exec, exec, s[12:13]
	global_load_dwordx4 v[14:17], v[18:19], off offset:2048
	s_and_saveexec_b64 s[12:13], vcc
	s_cbranch_execz .LBB57_46
.LBB57_66:                              ;   in Loop: Header=BB57_43 Depth=1
	v_cmp_gt_i32_e64 s[0:1], s25, v55
	s_waitcnt vmcnt(0)
	s_nop 0
	v_cndmask_b32_e64 v14, 0, v14, s[0:1]
	v_cmp_gt_i32_e64 s[0:1], s25, v95
	s_nop 1
	v_cndmask_b32_e64 v15, 0, v15, s[0:1]
	v_cmp_gt_i32_e64 s[0:1], s25, v94
	;; [unrolled: 3-line block ×3, first 2 shown]
	s_nop 1
	v_cndmask_b32_e64 v17, 0, v17, s[0:1]
	s_or_b64 exec, exec, s[12:13]
	global_load_dwordx4 v[18:21], v[18:19], off offset:3072
	s_and_saveexec_b64 s[12:13], vcc
	s_cbranch_execnz .LBB57_47
	s_branch .LBB57_48
.LBB57_67:
	s_or_b64 exec, exec, s[10:11]
.LBB57_68:
	s_or_b64 exec, exec, s[2:3]
	ds_bpermute_b32 v2, v88, v66
	ds_bpermute_b32 v3, v88, v67
	;; [unrolled: 1-line block ×6, first 2 shown]
	s_waitcnt lgkmcnt(4)
	v_pk_add_f32 v[2:3], v[66:67], v[2:3]
	ds_bpermute_b32 v6, v89, v2
	ds_bpermute_b32 v7, v89, v3
	s_waitcnt lgkmcnt(4)
	v_pk_add_f32 v[10:11], v[62:63], v[10:11]
	ds_bpermute_b32 v12, v89, v10
	ds_bpermute_b32 v13, v89, v11
	;; [unrolled: 1-line block ×3, first 2 shown]
	s_waitcnt lgkmcnt(3)
	v_pk_add_f32 v[2:3], v[2:3], v[6:7]
	ds_bpermute_b32 v6, v90, v2
	ds_bpermute_b32 v7, v90, v3
	;; [unrolled: 1-line block ×3, first 2 shown]
	v_pk_add_f32 v[4:5], v[64:65], v[4:5]
	ds_bpermute_b32 v8, v89, v4
	ds_bpermute_b32 v9, v89, v5
	s_waitcnt lgkmcnt(3)
	v_pk_add_f32 v[2:3], v[2:3], v[6:7]
	ds_bpermute_b32 v6, v88, v60
	ds_bpermute_b32 v7, v88, v61
	v_pk_add_f32 v[12:13], v[10:11], v[12:13]
	s_waitcnt lgkmcnt(4)
	v_pk_add_f32 v[10:11], v[58:59], v[16:17]
	ds_bpermute_b32 v20, v88, v56
	ds_bpermute_b32 v21, v88, v57
	s_waitcnt lgkmcnt(2)
	v_pk_add_f32 v[6:7], v[60:61], v[6:7]
	ds_bpermute_b32 v14, v89, v6
	ds_bpermute_b32 v15, v89, v7
	v_pk_add_f32 v[4:5], v[4:5], v[8:9]
	s_waitcnt lgkmcnt(2)
	v_pk_add_f32 v[20:21], v[56:57], v[20:21]
	ds_bpermute_b32 v8, v90, v4
	ds_bpermute_b32 v9, v90, v5
	s_waitcnt lgkmcnt(2)
	v_pk_add_f32 v[6:7], v[6:7], v[14:15]
	ds_bpermute_b32 v14, v89, v10
	ds_bpermute_b32 v15, v89, v11
	;; [unrolled: 1-line block ×6, first 2 shown]
	s_waitcnt lgkmcnt(4)
	v_pk_add_f32 v[14:15], v[10:11], v[14:15]
	ds_bpermute_b32 v22, v90, v14
	ds_bpermute_b32 v23, v90, v15
	;; [unrolled: 1-line block ×4, first 2 shown]
	v_pk_add_f32 v[10:11], v[4:5], v[8:9]
	s_waitcnt lgkmcnt(6)
	v_pk_add_f32 v[8:9], v[12:13], v[18:19]
	s_waitcnt lgkmcnt(4)
	;; [unrolled: 2-line block ×3, first 2 shown]
	v_pk_add_f32 v[4:5], v[14:15], v[22:23]
	ds_bpermute_b32 v14, v90, v12
	ds_bpermute_b32 v15, v90, v13
	s_waitcnt lgkmcnt(2)
	v_pk_add_f32 v[6:7], v[6:7], v[16:17]
	v_and_b32_e32 v16, 0x3c7, v0
	v_cmp_ne_u32_e32 vcc, 64, v16
	s_waitcnt lgkmcnt(0)
	s_barrier
	s_and_saveexec_b64 s[0:1], vcc
	s_xor_b64 s[0:1], exec, s[0:1]
; %bb.69:
                                        ; implicit-def: $vgpr1
; %bb.70:
	s_or_saveexec_b64 s[0:1], s[0:1]
	v_pk_add_f32 v[12:13], v[12:13], v[14:15]
	s_xor_b64 exec, exec, s[0:1]
	s_cbranch_execz .LBB57_72
; %bb.71:
	v_lshrrev_b32_e32 v1, 1, v1
	v_add_u32_e32 v1, 0x190, v1
	ds_write2_b32 v1, v2, v3 offset1:8
	ds_write2_b32 v1, v10, v11 offset0:16 offset1:24
	ds_write2_b32 v1, v8, v9 offset0:32 offset1:40
	;; [unrolled: 1-line block ×5, first 2 shown]
.LBB57_72:
	s_or_b64 exec, exec, s[0:1]
	v_cmp_gt_u32_e32 vcc, 64, v0
	s_waitcnt lgkmcnt(0)
	s_barrier
	s_and_saveexec_b64 s[0:1], vcc
	s_cbranch_execz .LBB57_87
; %bb.73:
	v_cmp_eq_u32_e32 vcc, 0, v91
	v_lshrrev_b32_e32 v1, 3, v0
	s_and_saveexec_b64 s[2:3], vcc
	s_cbranch_execnz .LBB57_90
; %bb.74:
	s_or_b64 exec, exec, s[2:3]
	s_and_saveexec_b64 s[2:3], vcc
	s_cbranch_execnz .LBB57_91
.LBB57_75:
	s_or_b64 exec, exec, s[2:3]
	s_and_saveexec_b64 s[2:3], vcc
	s_cbranch_execnz .LBB57_92
.LBB57_76:
	s_or_b64 exec, exec, s[2:3]
	s_and_saveexec_b64 s[2:3], vcc
	s_cbranch_execnz .LBB57_93
.LBB57_77:
	s_or_b64 exec, exec, s[2:3]
	s_and_saveexec_b64 s[2:3], vcc
	s_cbranch_execnz .LBB57_94
.LBB57_78:
	s_or_b64 exec, exec, s[2:3]
	s_and_saveexec_b64 s[2:3], vcc
	s_cbranch_execnz .LBB57_95
.LBB57_79:
	s_or_b64 exec, exec, s[2:3]
	s_and_saveexec_b64 s[2:3], vcc
	s_cbranch_execnz .LBB57_96
.LBB57_80:
	s_or_b64 exec, exec, s[2:3]
	s_and_saveexec_b64 s[2:3], vcc
	s_cbranch_execnz .LBB57_97
.LBB57_81:
	s_or_b64 exec, exec, s[2:3]
	s_and_saveexec_b64 s[2:3], vcc
	s_cbranch_execnz .LBB57_98
.LBB57_82:
	s_or_b64 exec, exec, s[2:3]
	s_and_saveexec_b64 s[2:3], vcc
	s_cbranch_execnz .LBB57_99
.LBB57_83:
	s_or_b64 exec, exec, s[2:3]
	s_and_saveexec_b64 s[2:3], vcc
	s_cbranch_execnz .LBB57_100
.LBB57_84:
	s_or_b64 exec, exec, s[2:3]
	s_and_saveexec_b64 s[2:3], vcc
	s_cbranch_execz .LBB57_86
.LBB57_85:
	v_mov_b32_e32 v14, 0x190
	v_lshl_add_u32 v1, v1, 2, v14
	ds_read_b32 v1, v1 offset:352
	s_waitcnt lgkmcnt(0)
	v_add_f32_e32 v13, v13, v1
.LBB57_86:
	s_or_b64 exec, exec, s[2:3]
.LBB57_87:
	s_or_b64 exec, exec, s[0:1]
	v_cmp_eq_u32_e32 vcc, 0, v16
	s_barrier
	s_and_saveexec_b64 s[0:1], vcc
	s_cbranch_execz .LBB57_89
; %bb.88:
	s_mul_i32 s0, s6, 0x60
	s_ashr_i32 s1, s0, 31
	s_lshl_b64 s[0:1], s[0:1], 2
	s_add_u32 s2, s22, s0
	s_mul_i32 s0, s21, s20
	s_addc_u32 s3, s23, s1
	s_ashr_i32 s1, s0, 31
	s_lshl_b64 s[0:1], s[0:1], 2
	s_add_u32 s2, s2, s0
	s_mul_i32 s0, s4, 0x60
	s_addc_u32 s3, s3, s1
	s_ashr_i32 s1, s0, 31
	s_lshl_b64 s[0:1], s[0:1], 2
	s_add_u32 s0, s2, s0
	s_addc_u32 s1, s3, s1
	v_lshrrev_b32_e32 v0, 1, v0
	global_store_dword v0, v2, s[0:1]
	global_store_dword v0, v3, s[0:1] offset:32
	global_store_dword v0, v10, s[0:1] offset:64
	;; [unrolled: 1-line block ×11, first 2 shown]
.LBB57_89:
	s_endpgm
.LBB57_90:
	v_mov_b32_e32 v14, 0x190
	v_lshl_add_u32 v14, v1, 2, v14
	ds_read_b32 v14, v14
	s_waitcnt lgkmcnt(0)
	v_add_f32_e32 v2, v2, v14
	s_or_b64 exec, exec, s[2:3]
	s_and_saveexec_b64 s[2:3], vcc
	s_cbranch_execz .LBB57_75
.LBB57_91:
	v_mov_b32_e32 v14, 0x190
	v_lshl_add_u32 v14, v1, 2, v14
	ds_read_b32 v14, v14 offset:32
	s_waitcnt lgkmcnt(0)
	v_add_f32_e32 v3, v3, v14
	s_or_b64 exec, exec, s[2:3]
	s_and_saveexec_b64 s[2:3], vcc
	s_cbranch_execz .LBB57_76
.LBB57_92:
	v_mov_b32_e32 v14, 0x190
	v_lshl_add_u32 v14, v1, 2, v14
	ds_read_b32 v14, v14 offset:64
	s_waitcnt lgkmcnt(0)
	v_add_f32_e32 v10, v10, v14
	s_or_b64 exec, exec, s[2:3]
	s_and_saveexec_b64 s[2:3], vcc
	s_cbranch_execz .LBB57_77
.LBB57_93:
	v_mov_b32_e32 v14, 0x190
	v_lshl_add_u32 v14, v1, 2, v14
	ds_read_b32 v14, v14 offset:96
	s_waitcnt lgkmcnt(0)
	v_add_f32_e32 v11, v11, v14
	s_or_b64 exec, exec, s[2:3]
	s_and_saveexec_b64 s[2:3], vcc
	s_cbranch_execz .LBB57_78
.LBB57_94:
	v_mov_b32_e32 v14, 0x190
	v_lshl_add_u32 v14, v1, 2, v14
	ds_read_b32 v14, v14 offset:128
	s_waitcnt lgkmcnt(0)
	v_add_f32_e32 v8, v8, v14
	s_or_b64 exec, exec, s[2:3]
	s_and_saveexec_b64 s[2:3], vcc
	s_cbranch_execz .LBB57_79
.LBB57_95:
	v_mov_b32_e32 v14, 0x190
	v_lshl_add_u32 v14, v1, 2, v14
	ds_read_b32 v14, v14 offset:160
	s_waitcnt lgkmcnt(0)
	v_add_f32_e32 v9, v9, v14
	s_or_b64 exec, exec, s[2:3]
	s_and_saveexec_b64 s[2:3], vcc
	s_cbranch_execz .LBB57_80
.LBB57_96:
	v_mov_b32_e32 v14, 0x190
	v_lshl_add_u32 v14, v1, 2, v14
	ds_read_b32 v14, v14 offset:192
	s_waitcnt lgkmcnt(0)
	v_add_f32_e32 v6, v6, v14
	s_or_b64 exec, exec, s[2:3]
	s_and_saveexec_b64 s[2:3], vcc
	s_cbranch_execz .LBB57_81
.LBB57_97:
	v_mov_b32_e32 v14, 0x190
	v_lshl_add_u32 v14, v1, 2, v14
	ds_read_b32 v14, v14 offset:224
	s_waitcnt lgkmcnt(0)
	v_add_f32_e32 v7, v7, v14
	s_or_b64 exec, exec, s[2:3]
	s_and_saveexec_b64 s[2:3], vcc
	s_cbranch_execz .LBB57_82
.LBB57_98:
	v_mov_b32_e32 v14, 0x190
	v_lshl_add_u32 v14, v1, 2, v14
	ds_read_b32 v14, v14 offset:256
	s_waitcnt lgkmcnt(0)
	v_add_f32_e32 v4, v4, v14
	s_or_b64 exec, exec, s[2:3]
	s_and_saveexec_b64 s[2:3], vcc
	s_cbranch_execz .LBB57_83
.LBB57_99:
	v_mov_b32_e32 v14, 0x190
	v_lshl_add_u32 v14, v1, 2, v14
	ds_read_b32 v14, v14 offset:288
	s_waitcnt lgkmcnt(0)
	v_add_f32_e32 v5, v5, v14
	s_or_b64 exec, exec, s[2:3]
	s_and_saveexec_b64 s[2:3], vcc
	s_cbranch_execz .LBB57_84
.LBB57_100:
	v_mov_b32_e32 v14, 0x190
	v_lshl_add_u32 v14, v1, 2, v14
	ds_read_b32 v14, v14 offset:320
	s_waitcnt lgkmcnt(0)
	v_add_f32_e32 v12, v12, v14
	s_or_b64 exec, exec, s[2:3]
	s_and_saveexec_b64 s[2:3], vcc
	s_cbranch_execnz .LBB57_85
	s_branch .LBB57_86
	.section	.rodata,"a",@progbits
	.p2align	6, 0x0
	.amdhsa_kernel _ZN4vllm25paged_attention_v2_kernelIffLi96ELi32ELi128ELNS_18Fp8KVCacheDataTypeE0ELb0ELi512EEEvPfS2_PT_PKS3_PKT0_S9_ifPKiSB_iPKfiiiSD_SD_iiiii
		.amdhsa_group_segment_fixed_size 400
		.amdhsa_private_segment_fixed_size 0
		.amdhsa_kernarg_size 400
		.amdhsa_user_sgpr_count 2
		.amdhsa_user_sgpr_dispatch_ptr 0
		.amdhsa_user_sgpr_queue_ptr 0
		.amdhsa_user_sgpr_kernarg_segment_ptr 1
		.amdhsa_user_sgpr_dispatch_id 0
		.amdhsa_user_sgpr_kernarg_preload_length 0
		.amdhsa_user_sgpr_kernarg_preload_offset 0
		.amdhsa_user_sgpr_private_segment_size 0
		.amdhsa_uses_dynamic_stack 0
		.amdhsa_enable_private_segment 0
		.amdhsa_system_sgpr_workgroup_id_x 1
		.amdhsa_system_sgpr_workgroup_id_y 1
		.amdhsa_system_sgpr_workgroup_id_z 1
		.amdhsa_system_sgpr_workgroup_info 0
		.amdhsa_system_vgpr_workitem_id 0
		.amdhsa_next_free_vgpr 102
		.amdhsa_next_free_sgpr 44
		.amdhsa_accum_offset 104
		.amdhsa_reserve_vcc 1
		.amdhsa_float_round_mode_32 0
		.amdhsa_float_round_mode_16_64 0
		.amdhsa_float_denorm_mode_32 3
		.amdhsa_float_denorm_mode_16_64 3
		.amdhsa_dx10_clamp 1
		.amdhsa_ieee_mode 1
		.amdhsa_fp16_overflow 0
		.amdhsa_tg_split 0
		.amdhsa_exception_fp_ieee_invalid_op 0
		.amdhsa_exception_fp_denorm_src 0
		.amdhsa_exception_fp_ieee_div_zero 0
		.amdhsa_exception_fp_ieee_overflow 0
		.amdhsa_exception_fp_ieee_underflow 0
		.amdhsa_exception_fp_ieee_inexact 0
		.amdhsa_exception_int_div_zero 0
	.end_amdhsa_kernel
	.section	.text._ZN4vllm25paged_attention_v2_kernelIffLi96ELi32ELi128ELNS_18Fp8KVCacheDataTypeE0ELb0ELi512EEEvPfS2_PT_PKS3_PKT0_S9_ifPKiSB_iPKfiiiSD_SD_iiiii,"axG",@progbits,_ZN4vllm25paged_attention_v2_kernelIffLi96ELi32ELi128ELNS_18Fp8KVCacheDataTypeE0ELb0ELi512EEEvPfS2_PT_PKS3_PKT0_S9_ifPKiSB_iPKfiiiSD_SD_iiiii,comdat
.Lfunc_end57:
	.size	_ZN4vllm25paged_attention_v2_kernelIffLi96ELi32ELi128ELNS_18Fp8KVCacheDataTypeE0ELb0ELi512EEEvPfS2_PT_PKS3_PKT0_S9_ifPKiSB_iPKfiiiSD_SD_iiiii, .Lfunc_end57-_ZN4vllm25paged_attention_v2_kernelIffLi96ELi32ELi128ELNS_18Fp8KVCacheDataTypeE0ELb0ELi512EEEvPfS2_PT_PKS3_PKT0_S9_ifPKiSB_iPKfiiiSD_SD_iiiii
                                        ; -- End function
	.section	.AMDGPU.csdata,"",@progbits
; Kernel info:
; codeLenInByte = 6660
; NumSgprs: 50
; NumVgprs: 102
; NumAgprs: 0
; TotalNumVgprs: 102
; ScratchSize: 0
; MemoryBound: 0
; FloatMode: 240
; IeeeMode: 1
; LDSByteSize: 400 bytes/workgroup (compile time only)
; SGPRBlocks: 6
; VGPRBlocks: 12
; NumSGPRsForWavesPerEU: 50
; NumVGPRsForWavesPerEU: 102
; AccumOffset: 104
; Occupancy: 4
; WaveLimiterHint : 1
; COMPUTE_PGM_RSRC2:SCRATCH_EN: 0
; COMPUTE_PGM_RSRC2:USER_SGPR: 2
; COMPUTE_PGM_RSRC2:TRAP_HANDLER: 0
; COMPUTE_PGM_RSRC2:TGID_X_EN: 1
; COMPUTE_PGM_RSRC2:TGID_Y_EN: 1
; COMPUTE_PGM_RSRC2:TGID_Z_EN: 1
; COMPUTE_PGM_RSRC2:TIDIG_COMP_CNT: 0
; COMPUTE_PGM_RSRC3_GFX90A:ACCUM_OFFSET: 25
; COMPUTE_PGM_RSRC3_GFX90A:TG_SPLIT: 0
	.section	.text._ZN4vllm25paged_attention_v2_kernelIffLi112ELi32ELi128ELNS_18Fp8KVCacheDataTypeE0ELb0ELi512EEEvPfS2_PT_PKS3_PKT0_S9_ifPKiSB_iPKfiiiSD_SD_iiiii,"axG",@progbits,_ZN4vllm25paged_attention_v2_kernelIffLi112ELi32ELi128ELNS_18Fp8KVCacheDataTypeE0ELb0ELi512EEEvPfS2_PT_PKS3_PKT0_S9_ifPKiSB_iPKfiiiSD_SD_iiiii,comdat
	.protected	_ZN4vllm25paged_attention_v2_kernelIffLi112ELi32ELi128ELNS_18Fp8KVCacheDataTypeE0ELb0ELi512EEEvPfS2_PT_PKS3_PKT0_S9_ifPKiSB_iPKfiiiSD_SD_iiiii ; -- Begin function _ZN4vllm25paged_attention_v2_kernelIffLi112ELi32ELi128ELNS_18Fp8KVCacheDataTypeE0ELb0ELi512EEEvPfS2_PT_PKS3_PKT0_S9_ifPKiSB_iPKfiiiSD_SD_iiiii
	.globl	_ZN4vllm25paged_attention_v2_kernelIffLi112ELi32ELi128ELNS_18Fp8KVCacheDataTypeE0ELb0ELi512EEEvPfS2_PT_PKS3_PKT0_S9_ifPKiSB_iPKfiiiSD_SD_iiiii
	.p2align	8
	.type	_ZN4vllm25paged_attention_v2_kernelIffLi112ELi32ELi128ELNS_18Fp8KVCacheDataTypeE0ELb0ELi512EEEvPfS2_PT_PKS3_PKT0_S9_ifPKiSB_iPKfiiiSD_SD_iiiii,@function
_ZN4vllm25paged_attention_v2_kernelIffLi112ELi32ELi128ELNS_18Fp8KVCacheDataTypeE0ELb0ELi512EEEvPfS2_PT_PKS3_PKT0_S9_ifPKiSB_iPKfiiiSD_SD_iiiii: ; @_ZN4vllm25paged_attention_v2_kernelIffLi112ELi32ELi128ELNS_18Fp8KVCacheDataTypeE0ELb0ELi512EEEvPfS2_PT_PKS3_PKT0_S9_ifPKiSB_iPKfiiiSD_SD_iiiii
; %bb.0:
	s_load_dwordx2 s[6:7], s[0:1], 0x40
	s_mov_b32 s24, s3
	s_ashr_i32 s25, s3, 31
	s_lshl_b64 s[8:9], s[24:25], 2
	s_waitcnt lgkmcnt(0)
	s_add_u32 s6, s6, s8
	s_addc_u32 s7, s7, s9
	s_load_dword s25, s[6:7], 0x0
	s_lshl_b32 s40, s4, 9
	s_waitcnt lgkmcnt(0)
	s_cmp_ge_i32 s40, s25
	s_cbranch_scc1 .LBB58_95
; %bb.1:
	s_load_dword s5, s[0:1], 0x90
	s_load_dwordx2 s[10:11], s[0:1], 0x30
	s_waitcnt lgkmcnt(0)
	s_abs_i32 s7, s5
	s_abs_i32 s3, s10
	v_cvt_f32_u32_e32 v1, s3
	s_sub_i32 s8, 0, s3
	s_xor_b32 s6, s5, s10
	s_ashr_i32 s6, s6, 31
	v_rcp_iflag_f32_e32 v1, v1
	s_nop 0
	v_mul_f32_e32 v1, 0x4f7ffffe, v1
	v_cvt_u32_f32_e32 v1, v1
	s_nop 0
	v_readfirstlane_b32 s9, v1
	s_mul_i32 s8, s8, s9
	s_mul_hi_u32 s8, s9, s8
	s_add_i32 s9, s9, s8
	s_mul_hi_u32 s8, s7, s9
	s_mul_i32 s9, s8, s3
	s_sub_i32 s7, s7, s9
	s_add_i32 s10, s8, 1
	s_sub_i32 s9, s7, s3
	s_cmp_ge_u32 s7, s3
	s_cselect_b32 s8, s10, s8
	s_cselect_b32 s7, s9, s7
	s_add_i32 s9, s8, 1
	s_cmp_ge_u32 s7, s3
	s_cselect_b32 s3, s9, s8
	s_xor_b32 s3, s3, s6
	s_sub_i32 s12, s3, s6
	s_abs_i32 s8, s12
	v_cvt_f32_u32_e32 v1, s8
	s_load_dwordx2 s[6:7], s[0:1], 0x50
	s_sub_i32 s3, 0, s8
	s_abs_i32 s9, s2
	v_rcp_iflag_f32_e32 v1, v1
	s_mov_b32 s10, 0
	v_mul_f32_e32 v1, 0x4f7ffffe, v1
	v_cvt_u32_f32_e32 v1, v1
	s_nop 0
	v_readfirstlane_b32 s13, v1
	s_mul_i32 s3, s3, s13
	s_mul_hi_u32 s3, s13, s3
	s_add_i32 s13, s13, s3
	s_waitcnt lgkmcnt(0)
	s_cmp_eq_u64 s[6:7], 0
	s_mul_hi_u32 s16, s9, s13
	s_cbranch_scc1 .LBB58_3
; %bb.2:
	s_ashr_i32 s3, s2, 31
	s_lshl_b64 s[14:15], s[2:3], 2
	s_add_u32 s6, s6, s14
	s_addc_u32 s7, s7, s15
	s_load_dword s10, s[6:7], 0x0
.LBB58_3:
	s_ashr_i32 s18, s12, 31
	s_load_dwordx4 s[12:15], s[0:1], 0x58
	s_ashr_i32 s17, s2, 31
	v_and_b32_e32 v42, 1, v0
	s_mul_i32 s20, s2, 0x70
	v_cmp_gt_u32_e32 vcc, 56, v0
	v_lshlrev_b32_e32 v2, 3, v0
	v_lshlrev_b32_e32 v78, 2, v0
	s_and_saveexec_b64 s[6:7], vcc
	s_cbranch_execz .LBB58_5
; %bb.4:
	s_load_dwordx2 s[22:23], s[0:1], 0x18
	s_waitcnt lgkmcnt(0)
	s_mul_i32 s26, s24, s12
	s_ashr_i32 s27, s26, 31
	s_lshl_b64 s[26:27], s[26:27], 2
	v_and_b32_e32 v1, 0xff8, v78
	s_add_u32 s3, s22, s26
	s_addc_u32 s12, s23, s27
	s_ashr_i32 s21, s20, 31
	s_lshl_b64 s[22:23], s[20:21], 2
	s_add_u32 s22, s3, s22
	s_addc_u32 s23, s12, s23
	global_load_dwordx2 v[4:5], v2, s[22:23]
	s_movk_i32 s3, 0xe0
	v_mad_u32_u24 v1, v42, s3, v1
	s_waitcnt vmcnt(0)
	ds_write_b64 v1, v[4:5]
.LBB58_5:
	s_or_b64 exec, exec, s[6:7]
	s_add_i32 s3, s25, 31
	s_ashr_i32 s6, s3, 31
	s_lshr_b32 s6, s6, 27
	s_add_i32 s3, s3, s6
	s_waitcnt lgkmcnt(0)
	s_ashr_i32 s12, s3, 5
	s_lshl_b32 s3, s4, 4
	s_mul_i32 s7, s16, s8
	s_add_i32 s6, s3, 16
	s_sub_i32 s7, s9, s7
	s_min_i32 s33, s6, s12
	s_xor_b32 s6, s17, s18
	s_add_i32 s9, s16, 1
	s_sub_i32 s15, s7, s8
	s_cmp_ge_u32 s7, s8
	s_cselect_b32 s9, s9, s16
	s_cselect_b32 s7, s15, s7
	s_add_i32 s15, s9, 1
	s_cmp_ge_u32 s7, s8
	s_load_dwordx2 s[26:27], s[0:1], 0x38
	s_load_dword s8, s[0:1], 0x48
	v_lshrrev_b32_e32 v80, 6, v0
	s_cselect_b32 s7, s15, s9
	s_xor_b32 s7, s7, s6
	v_or_b32_e32 v62, s3, v80
	s_waitcnt lgkmcnt(0)
	s_mul_i32 s28, s24, s8
	s_sub_i32 s15, s7, s6
	s_ashr_i32 s29, s28, 31
	v_cmp_gt_i32_e64 s[8:9], s33, v62
	v_cmp_le_i32_e32 vcc, s33, v62
	v_mbcnt_lo_u32_b32 v43, -1, 0
	s_barrier
	s_waitcnt lgkmcnt(0)
                                        ; implicit-def: $sgpr36
                                        ; implicit-def: $vgpr72
                                        ; implicit-def: $vgpr73
	s_and_saveexec_b64 s[6:7], vcc
	s_xor_b64 s[6:7], exec, s[6:7]
; %bb.6:
	v_mbcnt_hi_u32_b32 v72, -1, v43
	v_and_b32_e32 v1, 64, v72
	v_add_u32_e32 v73, 64, v1
	s_mov_b32 s36, 0xff7fffff
                                        ; implicit-def: $vgpr2
                                        ; implicit-def: $vgpr42
                                        ; implicit-def: $vgpr43
; %bb.7:
	s_or_saveexec_b64 s[34:35], s[6:7]
	s_load_dwordx4 s[16:19], s[0:1], 0x0
	s_load_dwordx2 s[22:23], s[0:1], 0x10
	s_load_dwordx2 s[30:31], s[0:1], 0x28
	s_load_dword s21, s[0:1], 0x98
	v_mov_b32_e32 v1, s36
	s_mul_i32 s14, s15, s14
	v_ashrrev_i32_e32 v63, 31, v62
	s_xor_b64 exec, exec, s[34:35]
	s_cbranch_execz .LBB58_13
; %bb.8:
	s_load_dwordx2 s[0:1], s[0:1], 0x20
	s_ashr_i32 s15, s14, 31
	s_lshl_b64 s[6:7], s[14:15], 2
	v_bfe_u32 v1, v0, 1, 5
	v_lshlrev_b32_e32 v4, 4, v1
	s_waitcnt lgkmcnt(0)
	s_add_u32 s0, s0, s6
	s_addc_u32 s1, s1, s7
	v_mov_b32_e32 v5, 0
	v_lshl_add_u64 v[6:7], s[0:1], 0, v[4:5]
	v_and_b32_e32 v4, 8, v2
	v_mul_u32_u24_e32 v54, 0xe0, v42
	v_lshl_add_u64 v[58:59], v[6:7], 0, v[4:5]
	ds_read_b128 v[2:5], v54
	ds_read_b128 v[6:9], v54 offset:16
	ds_read_b128 v[10:13], v54 offset:32
	;; [unrolled: 1-line block ×9, first 2 shown]
	v_mbcnt_hi_u32_b32 v72, -1, v43
	v_and_b32_e32 v45, 64, v72
	v_xor_b32_e32 v43, 1, v72
	v_add_u32_e32 v73, 64, v45
	v_cmp_lt_i32_e32 vcc, v43, v73
	v_lshlrev_b32_e32 v44, 2, v1
	s_sub_i32 s15, 1, s25
	v_cndmask_b32_e32 v43, v72, v43, vcc
	v_cmp_eq_u32_e32 vcc, 0, v42
	v_lshlrev_b32_e32 v42, 5, v80
	v_lshlrev_b32_e32 v74, 2, v43
	v_add3_u32 v75, s40, v42, v1
	v_lshl_or_b32 v1, v80, 7, v44
	ds_read_b128 v[42:45], v54 offset:160
	ds_read_b128 v[46:49], v54 offset:176
	;; [unrolled: 1-line block ×4, first 2 shown]
	s_lshl_b64 s[0:1], s[28:29], 2
	s_add_u32 s0, s26, s0
	s_addc_u32 s1, s27, s1
	s_mov_b32 s41, s13
	v_cmp_neq_f32_e64 s[6:7], s10, 0
	v_add_u32_e32 v76, 0x1d0, v1
	v_lshl_add_u64 v[60:61], v[62:63], 2, s[0:1]
	s_mov_b64 s[36:37], 0
	v_mov_b32_e32 v1, 0xff7fffff
	s_movk_i32 s42, 0x1000
	s_movk_i32 s43, 0x2000
	;; [unrolled: 1-line block ×3, first 2 shown]
	v_mov_b32_e32 v77, v62
	s_branch .LBB58_10
.LBB58_9:                               ;   in Loop: Header=BB58_10 Depth=1
	s_or_b64 exec, exec, s[38:39]
	v_add_u32_e32 v77, 2, v77
	v_cmp_le_i32_e64 s[0:1], s33, v77
	v_add_u32_e32 v75, 64, v75
	v_add_u32_e32 v76, 0x100, v76
	s_or_b64 s[36:37], s[0:1], s[36:37]
	v_lshl_add_u64 v[60:61], v[60:61], 0, 8
	s_andn2_b64 exec, exec, s[36:37]
	s_cbranch_execz .LBB58_12
.LBB58_10:                              ; =>This Inner Loop Header: Depth=1
	global_load_dword v64, v[60:61], off
	s_waitcnt vmcnt(0) lgkmcnt(0)
	v_mad_i64_i32 v[64:65], s[0:1], v64, s41, 0
	v_lshl_add_u64 v[64:65], v[64:65], 2, v[58:59]
	global_load_dwordx2 v[66:67], v[64:65], off offset:512
	global_load_dwordx2 v[68:69], v[64:65], off
	global_load_dwordx2 v[70:71], v[64:65], off offset:1024
	global_load_dwordx2 v[82:83], v[64:65], off offset:1536
	;; [unrolled: 1-line block ×4, first 2 shown]
	s_waitcnt vmcnt(5) lgkmcnt(13)
	v_mul_f32_e32 v79, v4, v66
	v_mul_f32_e32 v81, v5, v67
	s_waitcnt vmcnt(4)
	v_fmac_f32_e32 v79, v2, v68
	v_fmac_f32_e32 v81, v3, v69
	s_waitcnt vmcnt(3) lgkmcnt(12)
	v_fmac_f32_e32 v79, v6, v70
	v_fmac_f32_e32 v81, v7, v71
	v_add_co_u32_e64 v68, s[0:1], s42, v64
	s_waitcnt vmcnt(2)
	v_fmac_f32_e32 v79, v8, v82
	v_fmac_f32_e32 v81, v9, v83
	global_load_dwordx2 v[82:83], v[64:65], off offset:3072
	global_load_dwordx2 v[88:89], v[64:65], off offset:3584
	v_addc_co_u32_e64 v69, s[0:1], 0, v65, s[0:1]
	v_add_co_u32_e64 v70, s[0:1], s43, v64
	s_waitcnt vmcnt(3) lgkmcnt(11)
	v_fmac_f32_e32 v79, v10, v84
	v_addc_co_u32_e64 v71, s[0:1], 0, v65, s[0:1]
	v_fmac_f32_e32 v81, v11, v85
	global_load_dwordx2 v[84:85], v[70:71], off offset:-4096
	v_add_co_u32_e64 v66, s[0:1], s44, v64
	s_waitcnt vmcnt(3)
	v_fmac_f32_e32 v79, v12, v86
	v_addc_co_u32_e64 v67, s[0:1], 0, v65, s[0:1]
	v_fmac_f32_e32 v81, v13, v87
	global_load_dwordx2 v[64:65], v[66:67], off offset:1536
	s_waitcnt vmcnt(3) lgkmcnt(10)
	v_fmac_f32_e32 v79, v14, v82
	v_fmac_f32_e32 v81, v15, v83
	global_load_dwordx2 v[82:83], v[68:69], off offset:512
	s_waitcnt vmcnt(3)
	v_fmac_f32_e32 v79, v16, v88
	v_fmac_f32_e32 v81, v17, v89
	s_waitcnt vmcnt(2) lgkmcnt(9)
	v_fmac_f32_e32 v79, v18, v84
	v_fmac_f32_e32 v81, v19, v85
	global_load_dwordx2 v[84:85], v[68:69], off offset:1024
	global_load_dwordx2 v[86:87], v[68:69], off offset:1536
	;; [unrolled: 1-line block ×3, first 2 shown]
	s_waitcnt vmcnt(3)
	v_fmac_f32_e32 v79, v20, v82
	v_fmac_f32_e32 v81, v21, v83
	global_load_dwordx2 v[82:83], v[68:69], off offset:2560
	s_waitcnt vmcnt(3) lgkmcnt(8)
	v_fmac_f32_e32 v79, v22, v84
	v_fmac_f32_e32 v81, v23, v85
	s_waitcnt vmcnt(2)
	v_fmac_f32_e32 v79, v24, v86
	v_fmac_f32_e32 v81, v25, v87
	global_load_dwordx2 v[84:85], v[68:69], off offset:3072
	s_nop 0
	global_load_dwordx2 v[68:69], v[68:69], off offset:3584
	s_nop 0
	global_load_dwordx2 v[86:87], v[66:67], off
	s_waitcnt vmcnt(4) lgkmcnt(7)
	v_fmac_f32_e32 v79, v26, v88
	v_fmac_f32_e32 v81, v27, v89
	s_waitcnt vmcnt(3)
	v_fmac_f32_e32 v79, v28, v82
	v_fmac_f32_e32 v81, v29, v83
	global_load_dwordx2 v[82:83], v[70:71], off
	s_waitcnt vmcnt(3) lgkmcnt(6)
	v_fmac_f32_e32 v79, v30, v84
	v_fmac_f32_e32 v81, v31, v85
	s_waitcnt vmcnt(2)
	v_fmac_f32_e32 v79, v32, v68
	v_fmac_f32_e32 v81, v33, v69
	global_load_dwordx2 v[68:69], v[70:71], off offset:512
	global_load_dwordx2 v[84:85], v[70:71], off offset:1024
	;; [unrolled: 1-line block ×3, first 2 shown]
	s_waitcnt vmcnt(3) lgkmcnt(5)
	v_fmac_f32_e32 v79, v34, v82
	v_fmac_f32_e32 v81, v35, v83
	s_waitcnt vmcnt(2)
	v_fmac_f32_e32 v79, v36, v68
	v_fmac_f32_e32 v81, v37, v69
	global_load_dwordx2 v[68:69], v[70:71], off offset:2048
	s_waitcnt vmcnt(2) lgkmcnt(4)
	v_fmac_f32_e32 v79, v38, v84
	v_fmac_f32_e32 v81, v39, v85
	global_load_dwordx2 v[82:83], v[70:71], off offset:2560
	global_load_dwordx2 v[84:85], v[70:71], off offset:3072
	s_nop 0
	global_load_dwordx2 v[70:71], v[70:71], off offset:3584
	s_waitcnt vmcnt(4)
	v_fmac_f32_e32 v79, v40, v88
	v_fmac_f32_e32 v81, v41, v89
	s_waitcnt vmcnt(3) lgkmcnt(3)
	v_fmac_f32_e32 v79, v42, v68
	v_fmac_f32_e32 v81, v43, v69
	global_load_dwordx2 v[68:69], v[66:67], off offset:512
	s_nop 0
	global_load_dwordx2 v[66:67], v[66:67], off offset:1024
	s_waitcnt vmcnt(4)
	v_fmac_f32_e32 v79, v44, v82
	v_fmac_f32_e32 v81, v45, v83
	s_waitcnt vmcnt(3) lgkmcnt(2)
	v_fmac_f32_e32 v79, v46, v84
	v_fmac_f32_e32 v81, v47, v85
	s_waitcnt vmcnt(2)
	v_fmac_f32_e32 v79, v48, v70
	v_fmac_f32_e32 v81, v49, v71
	s_waitcnt lgkmcnt(1)
	v_fmac_f32_e32 v79, v50, v86
	v_fmac_f32_e32 v81, v51, v87
	s_waitcnt vmcnt(1)
	v_fmac_f32_e32 v79, v52, v68
	v_fmac_f32_e32 v81, v53, v69
	s_waitcnt vmcnt(0) lgkmcnt(0)
	v_fmac_f32_e32 v79, v54, v66
	v_fmac_f32_e32 v81, v55, v67
	v_fmac_f32_e32 v79, v56, v64
	v_fmac_f32_e32 v81, v57, v65
	v_add_f32_e32 v64, v79, v81
	ds_bpermute_b32 v65, v74, v64
	s_and_saveexec_b64 s[38:39], vcc
	s_cbranch_execz .LBB58_9
; %bb.11:                               ;   in Loop: Header=BB58_10 Depth=1
	v_add_u32_e32 v66, s15, v75
	v_cvt_f32_i32_e32 v66, v66
	s_waitcnt lgkmcnt(0)
	v_add_f32_e32 v64, v64, v65
	v_cmp_gt_i32_e64 s[0:1], s25, v75
	v_max_f32_e32 v65, v1, v1
	v_mul_f32_e32 v66, s10, v66
	v_cndmask_b32_e64 v66, 0, v66, s[6:7]
	v_fmac_f32_e32 v66, s11, v64
	v_cndmask_b32_e64 v64, 0, v66, s[0:1]
	ds_write_b32 v76, v64
	v_max_f32_e32 v64, v65, v66
	v_cndmask_b32_e64 v1, v1, v64, s[0:1]
	s_branch .LBB58_9
.LBB58_12:
	s_or_b64 exec, exec, s[36:37]
.LBB58_13:
	s_or_b64 exec, exec, s[34:35]
	v_xor_b32_e32 v2, 32, v72
	v_cmp_lt_i32_e32 vcc, v2, v73
	v_xor_b32_e32 v4, 16, v72
	v_xor_b32_e32 v5, 8, v72
	v_cndmask_b32_e32 v2, v72, v2, vcc
	v_lshlrev_b32_e32 v2, 2, v2
	ds_bpermute_b32 v3, v2, v1
	v_max_f32_e32 v1, v1, v1
	v_cmp_lt_i32_e32 vcc, v4, v73
	v_xor_b32_e32 v6, 4, v72
	s_waitcnt lgkmcnt(0)
	v_max_f32_e32 v3, v3, v3
	v_max_f32_e32 v1, v1, v3
	v_cndmask_b32_e32 v3, v72, v4, vcc
	v_lshlrev_b32_e32 v3, 2, v3
	ds_bpermute_b32 v4, v3, v1
	v_cmp_lt_i32_e32 vcc, v5, v73
	s_waitcnt lgkmcnt(0)
	v_max_f32_e32 v4, v4, v4
	v_max_f32_e32 v1, v1, v4
	v_cndmask_b32_e32 v4, v72, v5, vcc
	v_lshlrev_b32_e32 v5, 2, v4
	ds_bpermute_b32 v4, v5, v1
	v_cmp_lt_i32_e32 vcc, v6, v73
	s_waitcnt lgkmcnt(0)
	v_max_f32_e32 v4, v4, v4
	v_max_f32_e32 v1, v1, v4
	v_cndmask_b32_e32 v4, v72, v6, vcc
	v_lshlrev_b32_e32 v103, 2, v4
	ds_bpermute_b32 v4, v103, v1
	v_xor_b32_e32 v6, 2, v72
	v_cmp_lt_i32_e32 vcc, v6, v73
	s_waitcnt lgkmcnt(0)
	v_max_f32_e32 v4, v4, v4
	v_max_f32_e32 v4, v1, v4
	v_cndmask_b32_e32 v1, v72, v6, vcc
	v_lshlrev_b32_e32 v102, 2, v1
	ds_bpermute_b32 v7, v102, v4
	v_and_b32_e32 v1, 63, v0
	v_cmp_eq_u32_e32 vcc, 0, v1
	v_lshlrev_b32_e32 v6, 2, v80
	s_and_saveexec_b64 s[0:1], vcc
	s_cbranch_execz .LBB58_15
; %bb.14:
	s_waitcnt lgkmcnt(0)
	v_max_f32_e32 v7, v7, v7
	v_max_f32_e32 v4, v4, v4
	;; [unrolled: 1-line block ×3, first 2 shown]
	ds_write_b32 v6, v4 offset:448
.LBB58_15:
	s_or_b64 exec, exec, s[0:1]
	v_cmp_gt_u32_e64 s[0:1], 2, v1
	v_mov_b32_e32 v4, 0xff7fffff
	s_waitcnt lgkmcnt(0)
	v_lshlrev_b32_e32 v7, 2, v1
	s_barrier
	s_and_saveexec_b64 s[6:7], s[0:1]
	s_cbranch_execz .LBB58_17
; %bb.16:
	ds_read_b32 v4, v7 offset:448
.LBB58_17:
	s_or_b64 exec, exec, s[6:7]
	v_xor_b32_e32 v8, 1, v72
	v_cmp_lt_i32_e64 s[6:7], v8, v73
	s_sub_i32 s3, s33, s3
	s_lshl_b32 s3, s3, 5
	v_cndmask_b32_e64 v8, v72, v8, s[6:7]
	v_lshlrev_b32_e32 v104, 2, v8
	s_waitcnt lgkmcnt(0)
	ds_bpermute_b32 v8, v104, v4
	v_max_f32_e32 v4, v4, v4
	s_add_i32 s3, s3, s40
	s_min_i32 s15, s3, s25
	s_sub_i32 s3, s15, s40
	s_waitcnt lgkmcnt(0)
	v_max_f32_e32 v8, v8, v8
	v_max_f32_e32 v4, v4, v8
	v_lshlrev_b32_e32 v8, 2, v72
	v_and_b32_e32 v8, 0xffffff00, v8
	ds_bpermute_b32 v4, v8, v4
	v_cmp_gt_i32_e64 s[6:7], s3, v0
	v_mov_b32_e32 v9, 0
	s_and_saveexec_b64 s[34:35], s[6:7]
	s_cbranch_execz .LBB58_21
; %bb.18:
	v_mov_b32_e32 v9, 0x1d0
	v_lshl_add_u32 v10, v0, 2, v9
	s_mov_b64 s[36:37], 0
	v_mov_b32_e32 v9, 0
	v_mov_b32_e32 v11, v0
.LBB58_19:                              ; =>This Inner Loop Header: Depth=1
	ds_read_b32 v12, v10
	v_add_u32_e32 v11, 0x80, v11
	v_cmp_le_i32_e64 s[10:11], s3, v11
	s_or_b64 s[36:37], s[10:11], s[36:37]
	s_waitcnt lgkmcnt(0)
	v_sub_f32_e32 v12, v12, v4
	v_mul_f32_e32 v12, 0x3fb8aa3b, v12
	v_exp_f32_e32 v12, v12
	ds_write_b32 v10, v12
	v_add_f32_e32 v9, v9, v12
	v_add_u32_e32 v10, 0x200, v10
	s_andn2_b64 exec, exec, s[36:37]
	s_cbranch_execnz .LBB58_19
; %bb.20:
	s_or_b64 exec, exec, s[36:37]
.LBB58_21:
	s_or_b64 exec, exec, s[34:35]
	ds_bpermute_b32 v2, v2, v9
	s_waitcnt lgkmcnt(0)
	v_add_f32_e32 v2, v9, v2
	ds_bpermute_b32 v3, v3, v2
	s_waitcnt lgkmcnt(0)
	v_add_f32_e32 v2, v2, v3
	;; [unrolled: 3-line block ×6, first 2 shown]
	s_and_saveexec_b64 s[10:11], vcc
	s_cbranch_execz .LBB58_23
; %bb.22:
	ds_write_b32 v6, v2 offset:456
.LBB58_23:
	s_or_b64 exec, exec, s[10:11]
	s_waitcnt lgkmcnt(0)
	s_barrier
	s_and_saveexec_b64 s[10:11], s[0:1]
	s_cbranch_execz .LBB58_25
; %bb.24:
	ds_read_b32 v2, v7 offset:456
.LBB58_25:
	s_or_b64 exec, exec, s[10:11]
	s_waitcnt lgkmcnt(0)
	ds_bpermute_b32 v3, v104, v2
	s_waitcnt lgkmcnt(0)
	v_add_f32_e32 v2, v2, v3
	ds_bpermute_b32 v5, v8, v2
	s_and_saveexec_b64 s[0:1], s[6:7]
	s_cbranch_execz .LBB58_38
; %bb.26:
	s_waitcnt lgkmcnt(0)
	v_add_f32_e32 v2, 0x358637bd, v5
	v_div_scale_f32 v3, s[6:7], v2, v2, 1.0
	v_rcp_f32_e32 v6, v3
	v_div_scale_f32 v7, vcc, 1.0, v2, 1.0
	s_movk_i32 s6, 0x7f
	v_fma_f32 v8, -v3, v6, 1.0
	v_fmac_f32_e32 v6, v8, v6
	v_mul_f32_e32 v8, v7, v6
	v_fma_f32 v9, -v3, v8, v7
	v_fmac_f32_e32 v8, v9, v6
	v_fma_f32 v3, -v3, v8, v7
	v_div_fmas_f32 v3, v3, v6, v8
	v_div_fixup_f32 v2, v3, v2, 1.0
	v_xad_u32 v3, v0, -1, s15
	v_subrev_u32_e32 v6, s40, v3
	v_cmp_lt_u32_e32 vcc, s6, v6
	s_mov_b64 s[10:11], -1
	v_mov_b32_e32 v3, v0
	s_and_saveexec_b64 s[6:7], vcc
	s_cbranch_execz .LBB58_35
; %bb.27:
	v_lshrrev_b32_e32 v6, 7, v6
	v_add_u32_e32 v8, -1, v6
	v_lshrrev_b32_e32 v7, 1, v8
	v_mov_b32_e32 v3, v2
	v_add_u32_e32 v7, 1, v7
	v_cmp_lt_u32_e32 vcc, 13, v8
	v_mov_b32_e32 v10, 0
	s_and_saveexec_b64 s[10:11], vcc
	s_cbranch_execz .LBB58_31
; %bb.28:
	v_mov_b32_e32 v9, 0x1d0
	v_and_b32_e32 v8, -8, v7
	v_lshl_add_u32 v9, v0, 2, v9
	s_mov_b32 s15, 0
	s_mov_b64 s[34:35], 0
.LBB58_29:                              ; =>This Inner Loop Header: Depth=1
	ds_read2st64_b32 v[10:11], v9 offset1:2
	ds_read2st64_b32 v[12:13], v9 offset0:4 offset1:6
	ds_read2st64_b32 v[14:15], v9 offset0:8 offset1:10
	;; [unrolled: 1-line block ×3, first 2 shown]
	v_add_u32_e32 v8, -8, v8
	s_waitcnt lgkmcnt(3)
	v_pk_mul_f32 v[10:11], v[2:3], v[10:11]
	s_waitcnt lgkmcnt(2)
	v_pk_mul_f32 v[12:13], v[2:3], v[12:13]
	ds_write2st64_b32 v9, v10, v11 offset1:2
	ds_write2st64_b32 v9, v12, v13 offset0:4 offset1:6
	ds_read2st64_b32 v[12:13], v9 offset0:16 offset1:18
	s_waitcnt lgkmcnt(4)
	v_pk_mul_f32 v[10:11], v[2:3], v[14:15]
	ds_write2st64_b32 v9, v10, v11 offset0:8 offset1:10
	s_waitcnt lgkmcnt(4)
	v_pk_mul_f32 v[10:11], v[2:3], v[16:17]
	ds_write2st64_b32 v9, v10, v11 offset0:12 offset1:14
	ds_read2st64_b32 v[10:11], v9 offset0:20 offset1:22
	s_waitcnt lgkmcnt(3)
	v_pk_mul_f32 v[12:13], v[2:3], v[12:13]
	ds_read2st64_b32 v[14:15], v9 offset0:24 offset1:26
	ds_write2st64_b32 v9, v12, v13 offset0:16 offset1:18
	ds_read2st64_b32 v[12:13], v9 offset0:28 offset1:30
	s_waitcnt lgkmcnt(3)
	v_pk_mul_f32 v[10:11], v[2:3], v[10:11]
	ds_write2st64_b32 v9, v10, v11 offset0:20 offset1:22
	s_waitcnt lgkmcnt(3)
	v_pk_mul_f32 v[10:11], v[2:3], v[14:15]
	ds_write2st64_b32 v9, v10, v11 offset0:24 offset1:26
	s_waitcnt lgkmcnt(2)
	v_pk_mul_f32 v[10:11], v[2:3], v[12:13]
	s_add_i32 s15, s15, 16
	v_cmp_eq_u32_e32 vcc, 0, v8
	ds_write2st64_b32 v9, v10, v11 offset0:28 offset1:30
	v_add_u32_e32 v9, 0x2000, v9
	s_or_b64 s[34:35], vcc, s[34:35]
	v_mov_b32_e32 v10, s15
	s_andn2_b64 exec, exec, s[34:35]
	s_cbranch_execnz .LBB58_29
; %bb.30:
	s_or_b64 exec, exec, s[34:35]
.LBB58_31:
	s_or_b64 exec, exec, s[10:11]
	v_and_b32_e32 v7, 7, v7
	v_cmp_ne_u32_e32 vcc, 0, v7
	s_and_saveexec_b64 s[10:11], vcc
	s_cbranch_execz .LBB58_34
; %bb.32:
	v_lshlrev_b32_e32 v8, 9, v10
	s_movk_i32 s15, 0x1d0
	v_add3_u32 v8, v8, v78, s15
	s_mov_b64 s[34:35], 0
.LBB58_33:                              ; =>This Inner Loop Header: Depth=1
	ds_read2st64_b32 v[10:11], v8 offset1:2
	v_add_u32_e32 v7, -1, v7
	v_cmp_eq_u32_e32 vcc, 0, v7
	s_or_b64 s[34:35], vcc, s[34:35]
	s_waitcnt lgkmcnt(0)
	v_pk_mul_f32 v[10:11], v[2:3], v[10:11]
	ds_write2st64_b32 v8, v10, v11 offset1:2
	v_add_u32_e32 v8, 0x400, v8
	s_andn2_b64 exec, exec, s[34:35]
	s_cbranch_execnz .LBB58_33
.LBB58_34:
	s_or_b64 exec, exec, s[10:11]
	v_add_u32_e32 v6, 1, v6
	v_and_b32_e32 v7, 0x3fffffe, v6
	v_cmp_ne_u32_e32 vcc, v6, v7
	v_lshl_add_u32 v3, v7, 7, v0
	s_orn2_b64 s[10:11], vcc, exec
.LBB58_35:
	s_or_b64 exec, exec, s[6:7]
	s_and_b64 exec, exec, s[10:11]
	s_cbranch_execz .LBB58_38
; %bb.36:
	v_mov_b32_e32 v6, 0x1d0
	v_lshl_add_u32 v6, v3, 2, v6
	s_mov_b64 s[6:7], 0
.LBB58_37:                              ; =>This Inner Loop Header: Depth=1
	ds_read_b32 v7, v6
	v_add_u32_e32 v3, 0x80, v3
	v_cmp_le_i32_e32 vcc, s3, v3
	s_or_b64 s[6:7], vcc, s[6:7]
	s_waitcnt lgkmcnt(0)
	v_mul_f32_e32 v7, v2, v7
	ds_write_b32 v6, v7
	v_add_u32_e32 v6, 0x200, v6
	s_andn2_b64 exec, exec, s[6:7]
	s_cbranch_execnz .LBB58_37
.LBB58_38:
	s_or_b64 exec, exec, s[0:1]
	s_mul_i32 s0, s21, s24
	v_cmp_eq_u32_e32 vcc, 0, v0
	s_mul_i32 s6, s0, s5
	s_waitcnt lgkmcnt(0)
	s_barrier
	s_and_saveexec_b64 s[0:1], vcc
	s_cbranch_execz .LBB58_40
; %bb.39:
	s_ashr_i32 s7, s6, 31
	s_lshl_b64 s[10:11], s[6:7], 2
	s_add_u32 s5, s18, s10
	s_mul_i32 s2, s21, s2
	s_addc_u32 s7, s19, s11
	s_ashr_i32 s3, s2, 31
	s_lshl_b64 s[2:3], s[2:3], 2
	s_add_u32 s15, s5, s2
	s_addc_u32 s7, s7, s3
	s_ashr_i32 s5, s4, 31
	s_lshl_b64 s[18:19], s[4:5], 2
	s_add_u32 s34, s15, s18
	s_addc_u32 s35, s7, s19
	s_add_u32 s5, s16, s10
	s_addc_u32 s7, s17, s11
	;; [unrolled: 2-line block ×3, first 2 shown]
	s_add_u32 s2, s2, s18
	v_mov_b32_e32 v2, 0
	s_addc_u32 s3, s3, s19
	global_store_dword v2, v4, s[34:35]
	global_store_dword v2, v5, s[2:3]
.LBB58_40:
	s_or_b64 exec, exec, s[0:1]
	v_mov_b32_e32 v76, 0
	v_and_b32_e32 v105, 7, v0
	v_mov_b32_e32 v77, 0
	v_mov_b32_e32 v74, 0
	;; [unrolled: 1-line block ×13, first 2 shown]
	s_and_saveexec_b64 s[2:3], s[8:9]
	s_cbranch_execz .LBB58_72
; %bb.41:
	s_ashr_i32 s15, s14, 31
	s_lshl_b64 s[0:1], s[14:15], 2
	s_add_u32 s8, s30, s0
	v_and_b32_e32 v3, 28, v78
	s_addc_u32 s9, s31, s1
	s_add_i32 s7, s12, -1
	v_lshl_add_u32 v5, v80, 5, s40
	s_lshl_b64 s[0:1], s[28:29], 2
	v_and_b32_e32 v2, 0xfc, v78
	v_add3_u32 v106, v5, v3, 3
	v_lshlrev_b32_e32 v3, 4, v105
	s_add_u32 s0, s26, s0
	v_mov_b32_e32 v79, 0
	v_or_b32_e32 v4, 0x400, v2
	v_or_b32_e32 v6, 0x500, v2
	;; [unrolled: 1-line block ×10, first 2 shown]
	v_lshl_or_b32 v3, v80, 7, v3
	s_addc_u32 s1, s27, s1
	s_mov_b32 s5, s13
	v_add_u32_e32 v107, 0x1d0, v3
	v_lshl_add_u64 v[80:81], v[62:63], 2, s[0:1]
	s_mov_b64 s[10:11], 0
	v_lshlrev_b32_e32 v82, 2, v2
	v_lshlrev_b32_e32 v78, 2, v4
	;; [unrolled: 1-line block ×11, first 2 shown]
	v_mov_b32_e32 v83, v79
	v_mov_b32_e32 v65, v79
	;; [unrolled: 1-line block ×15, first 2 shown]
	s_branch .LBB58_43
.LBB58_42:                              ;   in Loop: Header=BB58_43 Depth=1
	s_or_b64 exec, exec, s[0:1]
	s_waitcnt vmcnt(1) lgkmcnt(0)
	v_mul_f32_e32 v59, v3, v59
	v_mul_f32_e32 v55, v3, v55
	;; [unrolled: 1-line block ×13, first 2 shown]
	s_waitcnt vmcnt(0)
	v_mul_f32_e32 v3, v3, v51
	v_fmac_f32_e32 v59, v2, v58
	v_fmac_f32_e32 v55, v2, v54
	;; [unrolled: 1-line block ×28, first 2 shown]
	v_add_u32_e32 v62, 2, v62
	v_fmac_f32_e32 v59, v5, v61
	v_fmac_f32_e32 v55, v5, v57
	;; [unrolled: 1-line block ×14, first 2 shown]
	v_cmp_le_i32_e32 vcc, s33, v62
	v_add_f32_e32 v64, v64, v59
	v_add_f32_e32 v67, v67, v55
	;; [unrolled: 1-line block ×14, first 2 shown]
	v_add_u32_e32 v106, 64, v106
	v_add_u32_e32 v107, 0x100, v107
	s_or_b64 s[10:11], vcc, s[10:11]
	v_lshl_add_u64 v[80:81], v[80:81], 0, 8
	s_andn2_b64 exec, exec, s[10:11]
	s_cbranch_execz .LBB58_71
.LBB58_43:                              ; =>This Inner Loop Header: Depth=1
	global_load_dword v2, v[80:81], off
	v_add_u32_e32 v63, -3, v106
	v_cmp_eq_u32_e32 vcc, s7, v62
	v_add_u32_e32 v109, -2, v106
	v_add_u32_e32 v108, -1, v106
	s_waitcnt vmcnt(0)
	v_mad_i64_i32 v[2:3], s[0:1], v2, s5, 0
	v_lshl_add_u64 v[50:51], v[2:3], 2, s[8:9]
	v_lshl_add_u64 v[18:19], v[50:51], 0, v[82:83]
	global_load_dwordx4 v[6:9], v[18:19], off
	ds_read_b128 v[2:5], v107
	s_and_saveexec_b64 s[12:13], vcc
	s_cbranch_execnz .LBB58_68
; %bb.44:                               ;   in Loop: Header=BB58_43 Depth=1
	s_or_b64 exec, exec, s[12:13]
	global_load_dwordx4 v[10:13], v[18:19], off offset:1024
	s_and_saveexec_b64 s[12:13], vcc
	s_cbranch_execnz .LBB58_69
.LBB58_45:                              ;   in Loop: Header=BB58_43 Depth=1
	s_or_b64 exec, exec, s[12:13]
	global_load_dwordx4 v[14:17], v[18:19], off offset:2048
	s_and_saveexec_b64 s[12:13], vcc
	s_cbranch_execnz .LBB58_70
.LBB58_46:                              ;   in Loop: Header=BB58_43 Depth=1
	s_or_b64 exec, exec, s[12:13]
	global_load_dwordx4 v[18:21], v[18:19], off offset:3072
	s_and_saveexec_b64 s[12:13], vcc
	s_cbranch_execz .LBB58_48
.LBB58_47:                              ;   in Loop: Header=BB58_43 Depth=1
	v_cmp_gt_i32_e64 s[0:1], s25, v63
	s_waitcnt vmcnt(0)
	s_nop 0
	v_cndmask_b32_e64 v18, 0, v18, s[0:1]
	v_cmp_gt_i32_e64 s[0:1], s25, v109
	s_nop 1
	v_cndmask_b32_e64 v19, 0, v19, s[0:1]
	v_cmp_gt_i32_e64 s[0:1], s25, v108
	;; [unrolled: 3-line block ×3, first 2 shown]
	s_nop 1
	v_cndmask_b32_e64 v21, 0, v21, s[0:1]
.LBB58_48:                              ;   in Loop: Header=BB58_43 Depth=1
	s_or_b64 exec, exec, s[12:13]
	v_lshl_add_u64 v[22:23], v[50:51], 0, v[78:79]
	global_load_dwordx4 v[22:25], v[22:23], off
	s_and_saveexec_b64 s[12:13], vcc
	s_cbranch_execz .LBB58_50
; %bb.49:                               ;   in Loop: Header=BB58_43 Depth=1
	v_cmp_gt_i32_e64 s[0:1], s25, v63
	s_waitcnt vmcnt(0)
	s_nop 0
	v_cndmask_b32_e64 v22, 0, v22, s[0:1]
	v_cmp_gt_i32_e64 s[0:1], s25, v109
	s_nop 1
	v_cndmask_b32_e64 v23, 0, v23, s[0:1]
	v_cmp_gt_i32_e64 s[0:1], s25, v108
	s_nop 1
	v_cndmask_b32_e64 v24, 0, v24, s[0:1]
	v_cmp_gt_i32_e64 s[0:1], s25, v106
	s_nop 1
	v_cndmask_b32_e64 v25, 0, v25, s[0:1]
.LBB58_50:                              ;   in Loop: Header=BB58_43 Depth=1
	s_or_b64 exec, exec, s[12:13]
	v_mov_b32_e32 v85, v79
	v_lshl_add_u64 v[26:27], v[50:51], 0, v[84:85]
	global_load_dwordx4 v[26:29], v[26:27], off
	s_and_saveexec_b64 s[12:13], vcc
	s_cbranch_execz .LBB58_52
; %bb.51:                               ;   in Loop: Header=BB58_43 Depth=1
	v_cmp_gt_i32_e64 s[0:1], s25, v63
	s_waitcnt vmcnt(0)
	s_nop 0
	v_cndmask_b32_e64 v26, 0, v26, s[0:1]
	v_cmp_gt_i32_e64 s[0:1], s25, v109
	s_nop 1
	v_cndmask_b32_e64 v27, 0, v27, s[0:1]
	v_cmp_gt_i32_e64 s[0:1], s25, v108
	s_nop 1
	v_cndmask_b32_e64 v28, 0, v28, s[0:1]
	v_cmp_gt_i32_e64 s[0:1], s25, v106
	s_nop 1
	v_cndmask_b32_e64 v29, 0, v29, s[0:1]
.LBB58_52:                              ;   in Loop: Header=BB58_43 Depth=1
	s_or_b64 exec, exec, s[12:13]
	v_mov_b32_e32 v87, v79
	;; [unrolled: 21-line block ×9, first 2 shown]
	v_lshl_add_u64 v[50:51], v[50:51], 0, v[100:101]
	global_load_dwordx4 v[50:53], v[50:51], off
	s_and_saveexec_b64 s[0:1], vcc
	s_cbranch_execz .LBB58_42
; %bb.67:                               ;   in Loop: Header=BB58_43 Depth=1
	v_cmp_gt_i32_e32 vcc, s25, v63
	s_waitcnt vmcnt(0)
	s_nop 0
	v_cndmask_b32_e32 v50, 0, v50, vcc
	v_cmp_gt_i32_e32 vcc, s25, v109
	s_nop 1
	v_cndmask_b32_e32 v51, 0, v51, vcc
	v_cmp_gt_i32_e32 vcc, s25, v108
	;; [unrolled: 3-line block ×3, first 2 shown]
	s_nop 1
	v_cndmask_b32_e32 v53, 0, v53, vcc
	s_branch .LBB58_42
.LBB58_68:                              ;   in Loop: Header=BB58_43 Depth=1
	v_cmp_gt_i32_e64 s[0:1], s25, v63
	s_waitcnt vmcnt(0)
	s_nop 0
	v_cndmask_b32_e64 v6, 0, v6, s[0:1]
	v_cmp_gt_i32_e64 s[0:1], s25, v109
	s_nop 1
	v_cndmask_b32_e64 v7, 0, v7, s[0:1]
	v_cmp_gt_i32_e64 s[0:1], s25, v108
	;; [unrolled: 3-line block ×3, first 2 shown]
	s_nop 1
	v_cndmask_b32_e64 v9, 0, v9, s[0:1]
	s_or_b64 exec, exec, s[12:13]
	global_load_dwordx4 v[10:13], v[18:19], off offset:1024
	s_and_saveexec_b64 s[12:13], vcc
	s_cbranch_execz .LBB58_45
.LBB58_69:                              ;   in Loop: Header=BB58_43 Depth=1
	v_cmp_gt_i32_e64 s[0:1], s25, v63
	s_waitcnt vmcnt(0)
	s_nop 0
	v_cndmask_b32_e64 v10, 0, v10, s[0:1]
	v_cmp_gt_i32_e64 s[0:1], s25, v109
	s_nop 1
	v_cndmask_b32_e64 v11, 0, v11, s[0:1]
	v_cmp_gt_i32_e64 s[0:1], s25, v108
	;; [unrolled: 3-line block ×3, first 2 shown]
	s_nop 1
	v_cndmask_b32_e64 v13, 0, v13, s[0:1]
	s_or_b64 exec, exec, s[12:13]
	global_load_dwordx4 v[14:17], v[18:19], off offset:2048
	s_and_saveexec_b64 s[12:13], vcc
	s_cbranch_execz .LBB58_46
.LBB58_70:                              ;   in Loop: Header=BB58_43 Depth=1
	v_cmp_gt_i32_e64 s[0:1], s25, v63
	s_waitcnt vmcnt(0)
	s_nop 0
	v_cndmask_b32_e64 v14, 0, v14, s[0:1]
	v_cmp_gt_i32_e64 s[0:1], s25, v109
	s_nop 1
	v_cndmask_b32_e64 v15, 0, v15, s[0:1]
	v_cmp_gt_i32_e64 s[0:1], s25, v108
	;; [unrolled: 3-line block ×3, first 2 shown]
	s_nop 1
	v_cndmask_b32_e64 v17, 0, v17, s[0:1]
	s_or_b64 exec, exec, s[12:13]
	global_load_dwordx4 v[18:21], v[18:19], off offset:3072
	s_and_saveexec_b64 s[12:13], vcc
	s_cbranch_execnz .LBB58_47
	s_branch .LBB58_48
.LBB58_71:
	s_or_b64 exec, exec, s[10:11]
.LBB58_72:
	s_or_b64 exec, exec, s[2:3]
	ds_bpermute_b32 v2, v103, v76
	ds_bpermute_b32 v3, v103, v77
	;; [unrolled: 1-line block ×6, first 2 shown]
	s_waitcnt lgkmcnt(4)
	v_pk_add_f32 v[2:3], v[76:77], v[2:3]
	ds_bpermute_b32 v6, v102, v2
	s_waitcnt lgkmcnt(3)
	v_pk_add_f32 v[4:5], v[74:75], v[4:5]
	ds_bpermute_b32 v7, v102, v3
	ds_bpermute_b32 v10, v102, v4
	;; [unrolled: 1-line block ×3, first 2 shown]
	s_waitcnt lgkmcnt(4)
	v_pk_add_f32 v[8:9], v[72:73], v[8:9]
	ds_bpermute_b32 v14, v102, v8
	s_waitcnt lgkmcnt(3)
	v_pk_add_f32 v[2:3], v[2:3], v[6:7]
	ds_bpermute_b32 v6, v104, v2
	;; [unrolled: 3-line block ×3, first 2 shown]
	ds_bpermute_b32 v12, v104, v10
	ds_bpermute_b32 v13, v104, v11
	;; [unrolled: 1-line block ×4, first 2 shown]
	s_waitcnt lgkmcnt(4)
	v_pk_add_f32 v[4:5], v[2:3], v[6:7]
	ds_bpermute_b32 v19, v103, v67
	s_waitcnt lgkmcnt(3)
	v_pk_add_f32 v[2:3], v[10:11], v[12:13]
	ds_bpermute_b32 v12, v103, v68
	ds_bpermute_b32 v13, v103, v69
	s_waitcnt lgkmcnt(4)
	v_pk_add_f32 v[6:7], v[8:9], v[14:15]
	ds_bpermute_b32 v8, v103, v70
	ds_bpermute_b32 v9, v103, v71
	;; [unrolled: 1-line block ×3, first 2 shown]
	s_waitcnt lgkmcnt(3)
	v_pk_add_f32 v[12:13], v[68:69], v[12:13]
	ds_bpermute_b32 v16, v102, v12
	ds_bpermute_b32 v17, v102, v13
	s_waitcnt lgkmcnt(3)
	v_pk_add_f32 v[8:9], v[70:71], v[8:9]
	ds_bpermute_b32 v14, v102, v8
	ds_bpermute_b32 v15, v102, v9
	;; [unrolled: 1-line block ×3, first 2 shown]
	s_waitcnt lgkmcnt(3)
	v_pk_add_f32 v[16:17], v[12:13], v[16:17]
	v_pk_add_f32 v[12:13], v[66:67], v[18:19]
	ds_bpermute_b32 v18, v102, v12
	ds_bpermute_b32 v19, v102, v13
	s_waitcnt lgkmcnt(3)
	v_pk_add_f32 v[8:9], v[8:9], v[14:15]
	s_waitcnt lgkmcnt(2)
	v_pk_add_f32 v[22:23], v[64:65], v[22:23]
	ds_bpermute_b32 v10, v104, v6
	ds_bpermute_b32 v11, v104, v7
	;; [unrolled: 1-line block ×8, first 2 shown]
	s_waitcnt lgkmcnt(8)
	v_pk_add_f32 v[18:19], v[12:13], v[18:19]
	ds_bpermute_b32 v24, v104, v18
	ds_bpermute_b32 v25, v104, v19
	s_waitcnt lgkmcnt(8)
	v_pk_add_f32 v[12:13], v[6:7], v[10:11]
	s_waitcnt lgkmcnt(6)
	v_pk_add_f32 v[10:11], v[8:9], v[14:15]
	;; [unrolled: 2-line block ×4, first 2 shown]
	ds_bpermute_b32 v16, v104, v14
	ds_bpermute_b32 v17, v104, v15
	s_waitcnt lgkmcnt(2)
	v_pk_add_f32 v[6:7], v[18:19], v[24:25]
	v_and_b32_e32 v18, 0x3c7, v0
	v_cmp_ne_u32_e32 vcc, 64, v18
	s_waitcnt lgkmcnt(0)
	s_barrier
	s_and_saveexec_b64 s[0:1], vcc
	s_xor_b64 s[0:1], exec, s[0:1]
; %bb.73:
                                        ; implicit-def: $vgpr1
; %bb.74:
	s_or_saveexec_b64 s[0:1], s[0:1]
	v_pk_add_f32 v[14:15], v[14:15], v[16:17]
	s_xor_b64 exec, exec, s[0:1]
	s_cbranch_execz .LBB58_76
; %bb.75:
	v_lshrrev_b32_e32 v1, 1, v1
	v_add_u32_e32 v1, 0x1d0, v1
	ds_write2_b32 v1, v4, v5 offset1:8
	ds_write2_b32 v1, v2, v3 offset0:16 offset1:24
	ds_write2_b32 v1, v12, v13 offset0:32 offset1:40
	;; [unrolled: 1-line block ×6, first 2 shown]
.LBB58_76:
	s_or_b64 exec, exec, s[0:1]
	v_cmp_gt_u32_e32 vcc, 64, v0
	s_waitcnt lgkmcnt(0)
	s_barrier
	s_and_saveexec_b64 s[0:1], vcc
	s_cbranch_execz .LBB58_93
; %bb.77:
	v_cmp_eq_u32_e32 vcc, 0, v105
	v_lshrrev_b32_e32 v1, 3, v0
	s_and_saveexec_b64 s[2:3], vcc
	s_cbranch_execnz .LBB58_96
; %bb.78:
	s_or_b64 exec, exec, s[2:3]
	s_and_saveexec_b64 s[2:3], vcc
	s_cbranch_execnz .LBB58_97
.LBB58_79:
	s_or_b64 exec, exec, s[2:3]
	s_and_saveexec_b64 s[2:3], vcc
	s_cbranch_execnz .LBB58_98
.LBB58_80:
	s_or_b64 exec, exec, s[2:3]
	s_and_saveexec_b64 s[2:3], vcc
	s_cbranch_execnz .LBB58_99
.LBB58_81:
	s_or_b64 exec, exec, s[2:3]
	s_and_saveexec_b64 s[2:3], vcc
	s_cbranch_execnz .LBB58_100
.LBB58_82:
	s_or_b64 exec, exec, s[2:3]
	s_and_saveexec_b64 s[2:3], vcc
	s_cbranch_execnz .LBB58_101
.LBB58_83:
	s_or_b64 exec, exec, s[2:3]
	s_and_saveexec_b64 s[2:3], vcc
	s_cbranch_execnz .LBB58_102
.LBB58_84:
	s_or_b64 exec, exec, s[2:3]
	s_and_saveexec_b64 s[2:3], vcc
	s_cbranch_execnz .LBB58_103
.LBB58_85:
	s_or_b64 exec, exec, s[2:3]
	s_and_saveexec_b64 s[2:3], vcc
	s_cbranch_execnz .LBB58_104
.LBB58_86:
	s_or_b64 exec, exec, s[2:3]
	s_and_saveexec_b64 s[2:3], vcc
	s_cbranch_execnz .LBB58_105
.LBB58_87:
	s_or_b64 exec, exec, s[2:3]
	s_and_saveexec_b64 s[2:3], vcc
	s_cbranch_execnz .LBB58_106
.LBB58_88:
	s_or_b64 exec, exec, s[2:3]
	s_and_saveexec_b64 s[2:3], vcc
	s_cbranch_execnz .LBB58_107
.LBB58_89:
	s_or_b64 exec, exec, s[2:3]
	s_and_saveexec_b64 s[2:3], vcc
	s_cbranch_execnz .LBB58_108
.LBB58_90:
	s_or_b64 exec, exec, s[2:3]
	s_and_saveexec_b64 s[2:3], vcc
	s_cbranch_execz .LBB58_92
.LBB58_91:
	v_mov_b32_e32 v16, 0x1d0
	v_lshl_add_u32 v1, v1, 2, v16
	ds_read_b32 v1, v1 offset:416
	s_waitcnt lgkmcnt(0)
	v_add_f32_e32 v15, v15, v1
.LBB58_92:
	s_or_b64 exec, exec, s[2:3]
.LBB58_93:
	s_or_b64 exec, exec, s[0:1]
	v_cmp_eq_u32_e32 vcc, 0, v18
	s_barrier
	s_and_saveexec_b64 s[0:1], vcc
	s_cbranch_execz .LBB58_95
; %bb.94:
	s_mul_i32 s0, s6, 0x70
	s_ashr_i32 s1, s0, 31
	s_lshl_b64 s[0:1], s[0:1], 2
	s_add_u32 s2, s22, s0
	s_mul_i32 s0, s21, s20
	s_addc_u32 s3, s23, s1
	s_ashr_i32 s1, s0, 31
	s_lshl_b64 s[0:1], s[0:1], 2
	s_add_u32 s2, s2, s0
	s_mul_i32 s0, s4, 0x70
	s_addc_u32 s3, s3, s1
	s_ashr_i32 s1, s0, 31
	s_lshl_b64 s[0:1], s[0:1], 2
	s_add_u32 s0, s2, s0
	s_addc_u32 s1, s3, s1
	v_lshrrev_b32_e32 v0, 1, v0
	global_store_dword v0, v4, s[0:1]
	global_store_dword v0, v5, s[0:1] offset:32
	global_store_dword v0, v2, s[0:1] offset:64
	;; [unrolled: 1-line block ×13, first 2 shown]
.LBB58_95:
	s_endpgm
.LBB58_96:
	v_mov_b32_e32 v16, 0x1d0
	v_lshl_add_u32 v16, v1, 2, v16
	ds_read_b32 v16, v16
	s_waitcnt lgkmcnt(0)
	v_add_f32_e32 v4, v4, v16
	s_or_b64 exec, exec, s[2:3]
	s_and_saveexec_b64 s[2:3], vcc
	s_cbranch_execz .LBB58_79
.LBB58_97:
	v_mov_b32_e32 v16, 0x1d0
	v_lshl_add_u32 v16, v1, 2, v16
	ds_read_b32 v16, v16 offset:32
	s_waitcnt lgkmcnt(0)
	v_add_f32_e32 v5, v5, v16
	s_or_b64 exec, exec, s[2:3]
	s_and_saveexec_b64 s[2:3], vcc
	s_cbranch_execz .LBB58_80
.LBB58_98:
	v_mov_b32_e32 v16, 0x1d0
	v_lshl_add_u32 v16, v1, 2, v16
	ds_read_b32 v16, v16 offset:64
	s_waitcnt lgkmcnt(0)
	v_add_f32_e32 v2, v2, v16
	s_or_b64 exec, exec, s[2:3]
	s_and_saveexec_b64 s[2:3], vcc
	s_cbranch_execz .LBB58_81
.LBB58_99:
	v_mov_b32_e32 v16, 0x1d0
	v_lshl_add_u32 v16, v1, 2, v16
	ds_read_b32 v16, v16 offset:96
	s_waitcnt lgkmcnt(0)
	v_add_f32_e32 v3, v3, v16
	s_or_b64 exec, exec, s[2:3]
	s_and_saveexec_b64 s[2:3], vcc
	s_cbranch_execz .LBB58_82
.LBB58_100:
	v_mov_b32_e32 v16, 0x1d0
	v_lshl_add_u32 v16, v1, 2, v16
	ds_read_b32 v16, v16 offset:128
	s_waitcnt lgkmcnt(0)
	v_add_f32_e32 v12, v12, v16
	s_or_b64 exec, exec, s[2:3]
	s_and_saveexec_b64 s[2:3], vcc
	s_cbranch_execz .LBB58_83
.LBB58_101:
	v_mov_b32_e32 v16, 0x1d0
	v_lshl_add_u32 v16, v1, 2, v16
	ds_read_b32 v16, v16 offset:160
	s_waitcnt lgkmcnt(0)
	v_add_f32_e32 v13, v13, v16
	s_or_b64 exec, exec, s[2:3]
	s_and_saveexec_b64 s[2:3], vcc
	s_cbranch_execz .LBB58_84
.LBB58_102:
	v_mov_b32_e32 v16, 0x1d0
	v_lshl_add_u32 v16, v1, 2, v16
	ds_read_b32 v16, v16 offset:192
	s_waitcnt lgkmcnt(0)
	v_add_f32_e32 v10, v10, v16
	s_or_b64 exec, exec, s[2:3]
	s_and_saveexec_b64 s[2:3], vcc
	s_cbranch_execz .LBB58_85
.LBB58_103:
	v_mov_b32_e32 v16, 0x1d0
	v_lshl_add_u32 v16, v1, 2, v16
	ds_read_b32 v16, v16 offset:224
	s_waitcnt lgkmcnt(0)
	v_add_f32_e32 v11, v11, v16
	s_or_b64 exec, exec, s[2:3]
	s_and_saveexec_b64 s[2:3], vcc
	s_cbranch_execz .LBB58_86
.LBB58_104:
	v_mov_b32_e32 v16, 0x1d0
	v_lshl_add_u32 v16, v1, 2, v16
	ds_read_b32 v16, v16 offset:256
	s_waitcnt lgkmcnt(0)
	v_add_f32_e32 v8, v8, v16
	s_or_b64 exec, exec, s[2:3]
	s_and_saveexec_b64 s[2:3], vcc
	s_cbranch_execz .LBB58_87
.LBB58_105:
	v_mov_b32_e32 v16, 0x1d0
	v_lshl_add_u32 v16, v1, 2, v16
	ds_read_b32 v16, v16 offset:288
	s_waitcnt lgkmcnt(0)
	v_add_f32_e32 v9, v9, v16
	s_or_b64 exec, exec, s[2:3]
	s_and_saveexec_b64 s[2:3], vcc
	s_cbranch_execz .LBB58_88
.LBB58_106:
	v_mov_b32_e32 v16, 0x1d0
	v_lshl_add_u32 v16, v1, 2, v16
	ds_read_b32 v16, v16 offset:320
	s_waitcnt lgkmcnt(0)
	v_add_f32_e32 v6, v6, v16
	s_or_b64 exec, exec, s[2:3]
	s_and_saveexec_b64 s[2:3], vcc
	s_cbranch_execz .LBB58_89
.LBB58_107:
	v_mov_b32_e32 v16, 0x1d0
	v_lshl_add_u32 v16, v1, 2, v16
	ds_read_b32 v16, v16 offset:352
	s_waitcnt lgkmcnt(0)
	v_add_f32_e32 v7, v7, v16
	s_or_b64 exec, exec, s[2:3]
	s_and_saveexec_b64 s[2:3], vcc
	s_cbranch_execz .LBB58_90
.LBB58_108:
	v_mov_b32_e32 v16, 0x1d0
	v_lshl_add_u32 v16, v1, 2, v16
	ds_read_b32 v16, v16 offset:384
	s_waitcnt lgkmcnt(0)
	v_add_f32_e32 v14, v14, v16
	s_or_b64 exec, exec, s[2:3]
	s_and_saveexec_b64 s[2:3], vcc
	s_cbranch_execnz .LBB58_91
	s_branch .LBB58_92
	.section	.rodata,"a",@progbits
	.p2align	6, 0x0
	.amdhsa_kernel _ZN4vllm25paged_attention_v2_kernelIffLi112ELi32ELi128ELNS_18Fp8KVCacheDataTypeE0ELb0ELi512EEEvPfS2_PT_PKS3_PKT0_S9_ifPKiSB_iPKfiiiSD_SD_iiiii
		.amdhsa_group_segment_fixed_size 464
		.amdhsa_private_segment_fixed_size 0
		.amdhsa_kernarg_size 400
		.amdhsa_user_sgpr_count 2
		.amdhsa_user_sgpr_dispatch_ptr 0
		.amdhsa_user_sgpr_queue_ptr 0
		.amdhsa_user_sgpr_kernarg_segment_ptr 1
		.amdhsa_user_sgpr_dispatch_id 0
		.amdhsa_user_sgpr_kernarg_preload_length 0
		.amdhsa_user_sgpr_kernarg_preload_offset 0
		.amdhsa_user_sgpr_private_segment_size 0
		.amdhsa_uses_dynamic_stack 0
		.amdhsa_enable_private_segment 0
		.amdhsa_system_sgpr_workgroup_id_x 1
		.amdhsa_system_sgpr_workgroup_id_y 1
		.amdhsa_system_sgpr_workgroup_id_z 1
		.amdhsa_system_sgpr_workgroup_info 0
		.amdhsa_system_vgpr_workitem_id 0
		.amdhsa_next_free_vgpr 110
		.amdhsa_next_free_sgpr 45
		.amdhsa_accum_offset 112
		.amdhsa_reserve_vcc 1
		.amdhsa_float_round_mode_32 0
		.amdhsa_float_round_mode_16_64 0
		.amdhsa_float_denorm_mode_32 3
		.amdhsa_float_denorm_mode_16_64 3
		.amdhsa_dx10_clamp 1
		.amdhsa_ieee_mode 1
		.amdhsa_fp16_overflow 0
		.amdhsa_tg_split 0
		.amdhsa_exception_fp_ieee_invalid_op 0
		.amdhsa_exception_fp_denorm_src 0
		.amdhsa_exception_fp_ieee_div_zero 0
		.amdhsa_exception_fp_ieee_overflow 0
		.amdhsa_exception_fp_ieee_underflow 0
		.amdhsa_exception_fp_ieee_inexact 0
		.amdhsa_exception_int_div_zero 0
	.end_amdhsa_kernel
	.section	.text._ZN4vllm25paged_attention_v2_kernelIffLi112ELi32ELi128ELNS_18Fp8KVCacheDataTypeE0ELb0ELi512EEEvPfS2_PT_PKS3_PKT0_S9_ifPKiSB_iPKfiiiSD_SD_iiiii,"axG",@progbits,_ZN4vllm25paged_attention_v2_kernelIffLi112ELi32ELi128ELNS_18Fp8KVCacheDataTypeE0ELb0ELi512EEEvPfS2_PT_PKS3_PKT0_S9_ifPKiSB_iPKfiiiSD_SD_iiiii,comdat
.Lfunc_end58:
	.size	_ZN4vllm25paged_attention_v2_kernelIffLi112ELi32ELi128ELNS_18Fp8KVCacheDataTypeE0ELb0ELi512EEEvPfS2_PT_PKS3_PKT0_S9_ifPKiSB_iPKfiiiSD_SD_iiiii, .Lfunc_end58-_ZN4vllm25paged_attention_v2_kernelIffLi112ELi32ELi128ELNS_18Fp8KVCacheDataTypeE0ELb0ELi512EEEvPfS2_PT_PKS3_PKT0_S9_ifPKiSB_iPKfiiiSD_SD_iiiii
                                        ; -- End function
	.section	.AMDGPU.csdata,"",@progbits
; Kernel info:
; codeLenInByte = 7328
; NumSgprs: 51
; NumVgprs: 110
; NumAgprs: 0
; TotalNumVgprs: 110
; ScratchSize: 0
; MemoryBound: 0
; FloatMode: 240
; IeeeMode: 1
; LDSByteSize: 464 bytes/workgroup (compile time only)
; SGPRBlocks: 6
; VGPRBlocks: 13
; NumSGPRsForWavesPerEU: 51
; NumVGPRsForWavesPerEU: 110
; AccumOffset: 112
; Occupancy: 4
; WaveLimiterHint : 1
; COMPUTE_PGM_RSRC2:SCRATCH_EN: 0
; COMPUTE_PGM_RSRC2:USER_SGPR: 2
; COMPUTE_PGM_RSRC2:TRAP_HANDLER: 0
; COMPUTE_PGM_RSRC2:TGID_X_EN: 1
; COMPUTE_PGM_RSRC2:TGID_Y_EN: 1
; COMPUTE_PGM_RSRC2:TGID_Z_EN: 1
; COMPUTE_PGM_RSRC2:TIDIG_COMP_CNT: 0
; COMPUTE_PGM_RSRC3_GFX90A:ACCUM_OFFSET: 27
; COMPUTE_PGM_RSRC3_GFX90A:TG_SPLIT: 0
	.section	.text._ZN4vllm25paged_attention_v2_kernelIffLi120ELi32ELi128ELNS_18Fp8KVCacheDataTypeE0ELb0ELi512EEEvPfS2_PT_PKS3_PKT0_S9_ifPKiSB_iPKfiiiSD_SD_iiiii,"axG",@progbits,_ZN4vllm25paged_attention_v2_kernelIffLi120ELi32ELi128ELNS_18Fp8KVCacheDataTypeE0ELb0ELi512EEEvPfS2_PT_PKS3_PKT0_S9_ifPKiSB_iPKfiiiSD_SD_iiiii,comdat
	.protected	_ZN4vllm25paged_attention_v2_kernelIffLi120ELi32ELi128ELNS_18Fp8KVCacheDataTypeE0ELb0ELi512EEEvPfS2_PT_PKS3_PKT0_S9_ifPKiSB_iPKfiiiSD_SD_iiiii ; -- Begin function _ZN4vllm25paged_attention_v2_kernelIffLi120ELi32ELi128ELNS_18Fp8KVCacheDataTypeE0ELb0ELi512EEEvPfS2_PT_PKS3_PKT0_S9_ifPKiSB_iPKfiiiSD_SD_iiiii
	.globl	_ZN4vllm25paged_attention_v2_kernelIffLi120ELi32ELi128ELNS_18Fp8KVCacheDataTypeE0ELb0ELi512EEEvPfS2_PT_PKS3_PKT0_S9_ifPKiSB_iPKfiiiSD_SD_iiiii
	.p2align	8
	.type	_ZN4vllm25paged_attention_v2_kernelIffLi120ELi32ELi128ELNS_18Fp8KVCacheDataTypeE0ELb0ELi512EEEvPfS2_PT_PKS3_PKT0_S9_ifPKiSB_iPKfiiiSD_SD_iiiii,@function
_ZN4vllm25paged_attention_v2_kernelIffLi120ELi32ELi128ELNS_18Fp8KVCacheDataTypeE0ELb0ELi512EEEvPfS2_PT_PKS3_PKT0_S9_ifPKiSB_iPKfiiiSD_SD_iiiii: ; @_ZN4vllm25paged_attention_v2_kernelIffLi120ELi32ELi128ELNS_18Fp8KVCacheDataTypeE0ELb0ELi512EEEvPfS2_PT_PKS3_PKT0_S9_ifPKiSB_iPKfiiiSD_SD_iiiii
; %bb.0:
	s_load_dwordx2 s[6:7], s[0:1], 0x40
	s_mov_b32 s26, s3
	s_ashr_i32 s27, s3, 31
	s_lshl_b64 s[8:9], s[26:27], 2
	s_waitcnt lgkmcnt(0)
	s_add_u32 s6, s6, s8
	s_addc_u32 s7, s7, s9
	s_load_dword s27, s[6:7], 0x0
	s_lshl_b32 s33, s4, 9
	s_waitcnt lgkmcnt(0)
	s_cmp_ge_i32 s33, s27
	s_cbranch_scc1 .LBB59_98
; %bb.1:
	s_load_dword s5, s[0:1], 0x90
	s_load_dwordx2 s[36:37], s[0:1], 0x30
	s_waitcnt lgkmcnt(0)
	s_abs_i32 s7, s5
	s_abs_i32 s3, s36
	v_cvt_f32_u32_e32 v1, s3
	s_sub_i32 s8, 0, s3
	s_xor_b32 s6, s5, s36
	s_ashr_i32 s6, s6, 31
	v_rcp_iflag_f32_e32 v1, v1
	s_mov_b32 s36, 0
	v_mul_f32_e32 v1, 0x4f7ffffe, v1
	v_cvt_u32_f32_e32 v1, v1
	s_nop 0
	v_readfirstlane_b32 s9, v1
	s_mul_i32 s8, s8, s9
	s_mul_hi_u32 s8, s9, s8
	s_add_i32 s9, s9, s8
	s_mul_hi_u32 s8, s7, s9
	s_mul_i32 s9, s8, s3
	s_sub_i32 s7, s7, s9
	s_add_i32 s10, s8, 1
	s_sub_i32 s9, s7, s3
	s_cmp_ge_u32 s7, s3
	s_cselect_b32 s8, s10, s8
	s_cselect_b32 s7, s9, s7
	s_add_i32 s9, s8, 1
	s_cmp_ge_u32 s7, s3
	s_cselect_b32 s3, s9, s8
	s_xor_b32 s3, s3, s6
	s_sub_i32 s12, s3, s6
	s_abs_i32 s8, s12
	v_cvt_f32_u32_e32 v1, s8
	s_load_dwordx2 s[6:7], s[0:1], 0x50
	s_sub_i32 s3, 0, s8
	s_abs_i32 s9, s2
	v_rcp_iflag_f32_e32 v1, v1
	s_nop 0
	v_mul_f32_e32 v1, 0x4f7ffffe, v1
	v_cvt_u32_f32_e32 v1, v1
	s_nop 0
	v_readfirstlane_b32 s10, v1
	s_mul_i32 s3, s3, s10
	s_mul_hi_u32 s3, s10, s3
	s_add_i32 s10, s10, s3
	s_waitcnt lgkmcnt(0)
	s_cmp_eq_u64 s[6:7], 0
	s_mul_hi_u32 s10, s9, s10
	s_cbranch_scc1 .LBB59_3
; %bb.2:
	s_ashr_i32 s3, s2, 31
	s_lshl_b64 s[14:15], s[2:3], 2
	s_add_u32 s6, s6, s14
	s_addc_u32 s7, s7, s15
	s_load_dword s36, s[6:7], 0x0
.LBB59_3:
	s_load_dwordx4 s[16:19], s[0:1], 0x58
	s_ashr_i32 s11, s2, 31
	s_ashr_i32 s12, s12, 31
	v_and_b32_e32 v42, 1, v0
	s_mul_i32 s14, s2, 0x78
	v_cmp_gt_u32_e32 vcc, 60, v0
	v_lshlrev_b32_e32 v2, 3, v0
	v_lshlrev_b32_e32 v82, 2, v0
	s_and_saveexec_b64 s[6:7], vcc
	s_cbranch_execz .LBB59_5
; %bb.4:
	s_load_dwordx2 s[20:21], s[0:1], 0x18
	s_waitcnt lgkmcnt(0)
	s_mul_i32 s22, s26, s16
	s_ashr_i32 s23, s22, 31
	s_lshl_b64 s[22:23], s[22:23], 2
	v_and_b32_e32 v1, 0xff8, v82
	s_add_u32 s3, s20, s22
	s_addc_u32 s13, s21, s23
	s_ashr_i32 s15, s14, 31
	s_lshl_b64 s[20:21], s[14:15], 2
	s_add_u32 s20, s3, s20
	s_addc_u32 s21, s13, s21
	global_load_dwordx2 v[4:5], v2, s[20:21]
	s_movk_i32 s3, 0xf0
	v_mad_u32_u24 v1, v42, s3, v1
	s_waitcnt vmcnt(0)
	ds_write_b64 v1, v[4:5]
.LBB59_5:
	s_or_b64 exec, exec, s[6:7]
	s_add_i32 s3, s27, 31
	s_ashr_i32 s6, s3, 31
	s_lshr_b32 s6, s6, 27
	s_add_i32 s3, s3, s6
	s_ashr_i32 s42, s3, 5
	s_lshl_b32 s3, s4, 4
	s_mul_i32 s7, s10, s8
	s_add_i32 s6, s3, 16
	s_sub_i32 s7, s9, s7
	s_waitcnt lgkmcnt(0)
	s_min_i32 s16, s6, s42
	s_xor_b32 s6, s11, s12
	s_add_i32 s9, s10, 1
	s_sub_i32 s11, s7, s8
	s_cmp_ge_u32 s7, s8
	s_cselect_b32 s9, s9, s10
	s_cselect_b32 s7, s11, s7
	s_add_i32 s10, s9, 1
	s_cmp_ge_u32 s7, s8
	s_load_dwordx2 s[28:29], s[0:1], 0x38
	s_load_dword s8, s[0:1], 0x48
	v_lshrrev_b32_e32 v84, 6, v0
	s_cselect_b32 s7, s10, s9
	s_xor_b32 s7, s7, s6
	v_or_b32_e32 v66, s3, v84
	s_waitcnt lgkmcnt(0)
	s_mul_i32 s30, s26, s8
	s_sub_i32 s10, s7, s6
	s_ashr_i32 s31, s30, 31
	v_cmp_gt_i32_e64 s[8:9], s16, v66
	v_cmp_le_i32_e32 vcc, s16, v66
	v_mbcnt_lo_u32_b32 v43, -1, 0
	s_barrier
	s_waitcnt lgkmcnt(0)
                                        ; implicit-def: $sgpr11
                                        ; implicit-def: $vgpr74
                                        ; implicit-def: $vgpr75
	s_and_saveexec_b64 s[6:7], vcc
	s_xor_b64 s[6:7], exec, s[6:7]
; %bb.6:
	v_mbcnt_hi_u32_b32 v74, -1, v43
	v_and_b32_e32 v1, 64, v74
	v_add_u32_e32 v75, 64, v1
	s_mov_b32 s11, 0xff7fffff
                                        ; implicit-def: $vgpr2
                                        ; implicit-def: $vgpr42
                                        ; implicit-def: $vgpr43
; %bb.7:
	s_or_saveexec_b64 s[38:39], s[6:7]
	s_load_dwordx4 s[20:23], s[0:1], 0x0
	s_load_dwordx2 s[24:25], s[0:1], 0x10
	s_load_dwordx2 s[34:35], s[0:1], 0x28
	s_load_dword s15, s[0:1], 0x98
	v_mov_b32_e32 v1, s11
	s_mul_i32 s18, s10, s18
	v_ashrrev_i32_e32 v67, 31, v66
	s_xor_b64 exec, exec, s[38:39]
	s_cbranch_execz .LBB59_13
; %bb.8:
	s_load_dwordx2 s[0:1], s[0:1], 0x20
	s_ashr_i32 s19, s18, 31
	s_lshl_b64 s[6:7], s[18:19], 2
	v_bfe_u32 v1, v0, 1, 5
	v_lshlrev_b32_e32 v4, 4, v1
	s_waitcnt lgkmcnt(0)
	s_add_u32 s0, s0, s6
	s_addc_u32 s1, s1, s7
	v_mov_b32_e32 v5, 0
	v_lshl_add_u64 v[6:7], s[0:1], 0, v[4:5]
	v_and_b32_e32 v4, 8, v2
	v_mul_u32_u24_e32 v58, 0xf0, v42
	v_lshl_add_u64 v[62:63], v[6:7], 0, v[4:5]
	ds_read_b128 v[2:5], v58
	ds_read_b128 v[6:9], v58 offset:16
	ds_read_b128 v[10:13], v58 offset:32
	;; [unrolled: 1-line block ×9, first 2 shown]
	v_mbcnt_hi_u32_b32 v74, -1, v43
	v_and_b32_e32 v45, 64, v74
	v_xor_b32_e32 v43, 1, v74
	v_add_u32_e32 v75, 64, v45
	v_cmp_lt_i32_e32 vcc, v43, v75
	v_lshlrev_b32_e32 v44, 2, v1
	s_sub_i32 s19, 1, s27
	v_cndmask_b32_e32 v43, v74, v43, vcc
	v_cmp_eq_u32_e32 vcc, 0, v42
	v_lshlrev_b32_e32 v42, 5, v84
	v_lshlrev_b32_e32 v76, 2, v43
	v_add3_u32 v77, s33, v42, v1
	v_lshl_or_b32 v1, v84, 7, v44
	ds_read_b128 v[42:45], v58 offset:160
	ds_read_b128 v[46:49], v58 offset:176
	;; [unrolled: 1-line block ×5, first 2 shown]
	s_lshl_b64 s[0:1], s[30:31], 2
	s_add_u32 s0, s28, s0
	s_addc_u32 s1, s29, s1
	s_mov_b32 s43, s17
	v_cmp_neq_f32_e64 s[6:7], s36, 0
	v_add_u32_e32 v78, 0x1f0, v1
	v_lshl_add_u64 v[64:65], v[66:67], 2, s[0:1]
	s_mov_b64 s[40:41], 0
	v_mov_b32_e32 v1, 0xff7fffff
	s_movk_i32 s44, 0x1000
	s_movk_i32 s45, 0x2000
	;; [unrolled: 1-line block ×3, first 2 shown]
	v_mov_b32_e32 v79, v66
	s_branch .LBB59_10
.LBB59_9:                               ;   in Loop: Header=BB59_10 Depth=1
	s_or_b64 exec, exec, s[10:11]
	v_add_u32_e32 v79, 2, v79
	v_cmp_le_i32_e64 s[0:1], s16, v79
	v_add_u32_e32 v77, 64, v77
	v_add_u32_e32 v78, 0x100, v78
	s_or_b64 s[40:41], s[0:1], s[40:41]
	v_lshl_add_u64 v[64:65], v[64:65], 0, 8
	s_andn2_b64 exec, exec, s[40:41]
	s_cbranch_execz .LBB59_12
.LBB59_10:                              ; =>This Inner Loop Header: Depth=1
	global_load_dword v68, v[64:65], off
	s_waitcnt vmcnt(0) lgkmcnt(0)
	v_mad_i64_i32 v[68:69], s[0:1], v68, s43, 0
	v_lshl_add_u64 v[86:87], v[68:69], 2, v[62:63]
	global_load_dwordx2 v[80:81], v[86:87], off offset:512
	global_load_dwordx2 v[88:89], v[86:87], off
	global_load_dwordx2 v[90:91], v[86:87], off offset:1024
	global_load_dwordx2 v[92:93], v[86:87], off offset:1536
	;; [unrolled: 1-line block ×4, first 2 shown]
	v_add_co_u32_e64 v72, s[0:1], s44, v86
	v_add_co_u32_e64 v70, s[10:11], s45, v86
	;; [unrolled: 1-line block ×3, first 2 shown]
	v_addc_co_u32_e64 v73, s[0:1], 0, v87, s[0:1]
	v_addc_co_u32_e64 v71, s[0:1], 0, v87, s[10:11]
	;; [unrolled: 1-line block ×3, first 2 shown]
	s_waitcnt vmcnt(5) lgkmcnt(14)
	v_mul_f32_e32 v80, v4, v80
	v_mul_f32_e32 v81, v5, v81
	s_waitcnt vmcnt(4)
	v_fmac_f32_e32 v80, v2, v88
	v_fmac_f32_e32 v81, v3, v89
	global_load_dwordx2 v[88:89], v[86:87], off offset:3072
	s_waitcnt vmcnt(4) lgkmcnt(13)
	v_fmac_f32_e32 v80, v6, v90
	global_load_dwordx2 v[86:87], v[86:87], off offset:3584
	v_fmac_f32_e32 v81, v7, v91
	global_load_dwordx2 v[90:91], v[70:71], off offset:-4096
	s_waitcnt vmcnt(5)
	v_fmac_f32_e32 v80, v8, v92
	v_fmac_f32_e32 v81, v9, v93
	global_load_dwordx2 v[92:93], v[72:73], off offset:512
	s_waitcnt vmcnt(5) lgkmcnt(12)
	v_fmac_f32_e32 v80, v10, v94
	v_fmac_f32_e32 v81, v11, v95
	global_load_dwordx2 v[94:95], v[72:73], off offset:1024
	s_waitcnt vmcnt(5)
	v_fmac_f32_e32 v80, v12, v96
	v_fmac_f32_e32 v81, v13, v97
	global_load_dwordx2 v[96:97], v[72:73], off offset:1536
	s_waitcnt vmcnt(5) lgkmcnt(11)
	v_fmac_f32_e32 v80, v14, v88
	v_fmac_f32_e32 v81, v15, v89
	global_load_dwordx2 v[88:89], v[72:73], off offset:2048
	;; [unrolled: 8-line block ×3, first 2 shown]
	s_nop 0
	global_load_dwordx2 v[72:73], v[72:73], off offset:3584
	s_waitcnt vmcnt(6)
	v_fmac_f32_e32 v80, v20, v92
	v_fmac_f32_e32 v81, v21, v93
	global_load_dwordx2 v[92:93], v[70:71], off
	s_waitcnt vmcnt(6) lgkmcnt(9)
	v_fmac_f32_e32 v80, v22, v94
	v_fmac_f32_e32 v81, v23, v95
	global_load_dwordx2 v[94:95], v[70:71], off offset:512
	s_waitcnt vmcnt(6)
	v_fmac_f32_e32 v80, v24, v96
	v_fmac_f32_e32 v81, v25, v97
	global_load_dwordx2 v[96:97], v[70:71], off offset:1024
	s_waitcnt vmcnt(6) lgkmcnt(8)
	v_fmac_f32_e32 v80, v26, v88
	v_fmac_f32_e32 v81, v27, v89
	global_load_dwordx2 v[88:89], v[70:71], off offset:1536
	s_waitcnt vmcnt(6)
	v_fmac_f32_e32 v80, v28, v86
	v_fmac_f32_e32 v81, v29, v87
	global_load_dwordx2 v[86:87], v[70:71], off offset:2048
	s_waitcnt vmcnt(6) lgkmcnt(7)
	v_fmac_f32_e32 v80, v30, v90
	v_fmac_f32_e32 v81, v31, v91
	s_waitcnt vmcnt(5)
	v_fmac_f32_e32 v80, v32, v72
	v_fmac_f32_e32 v81, v33, v73
	global_load_dwordx2 v[72:73], v[70:71], off offset:2560
	global_load_dwordx2 v[90:91], v[68:69], off
	s_waitcnt vmcnt(6) lgkmcnt(6)
	v_fmac_f32_e32 v80, v34, v92
	v_fmac_f32_e32 v81, v35, v93
	global_load_dwordx2 v[92:93], v[70:71], off offset:3072
	s_nop 0
	global_load_dwordx2 v[70:71], v[70:71], off offset:3584
	s_waitcnt vmcnt(7)
	v_fmac_f32_e32 v80, v36, v94
	v_fmac_f32_e32 v81, v37, v95
	global_load_dwordx2 v[94:95], v[68:69], off offset:512
	s_waitcnt vmcnt(7) lgkmcnt(5)
	v_fmac_f32_e32 v80, v38, v96
	v_fmac_f32_e32 v81, v39, v97
	global_load_dwordx2 v[96:97], v[68:69], off offset:1024
	s_waitcnt vmcnt(7)
	v_fmac_f32_e32 v80, v40, v88
	v_fmac_f32_e32 v81, v41, v89
	global_load_dwordx2 v[88:89], v[68:69], off offset:1536
	s_waitcnt vmcnt(7) lgkmcnt(4)
	v_fmac_f32_e32 v80, v42, v86
	v_fmac_f32_e32 v81, v43, v87
	global_load_dwordx2 v[86:87], v[68:69], off offset:2048
	s_nop 0
	global_load_dwordx2 v[68:69], v[68:69], off offset:2560
	s_waitcnt vmcnt(8)
	v_fmac_f32_e32 v80, v44, v72
	v_fmac_f32_e32 v81, v45, v73
	s_waitcnt vmcnt(6) lgkmcnt(3)
	v_fmac_f32_e32 v80, v46, v92
	v_fmac_f32_e32 v81, v47, v93
	s_waitcnt vmcnt(5)
	v_fmac_f32_e32 v80, v48, v70
	v_fmac_f32_e32 v81, v49, v71
	s_waitcnt lgkmcnt(2)
	v_fmac_f32_e32 v80, v50, v90
	v_fmac_f32_e32 v81, v51, v91
	s_waitcnt vmcnt(4)
	v_fmac_f32_e32 v80, v52, v94
	v_fmac_f32_e32 v81, v53, v95
	s_waitcnt vmcnt(3) lgkmcnt(1)
	v_fmac_f32_e32 v80, v54, v96
	v_fmac_f32_e32 v81, v55, v97
	s_waitcnt vmcnt(2)
	v_fmac_f32_e32 v80, v56, v88
	v_fmac_f32_e32 v81, v57, v89
	s_waitcnt vmcnt(1) lgkmcnt(0)
	v_fmac_f32_e32 v80, v58, v86
	v_fmac_f32_e32 v81, v59, v87
	s_waitcnt vmcnt(0)
	v_fmac_f32_e32 v80, v60, v68
	v_fmac_f32_e32 v81, v61, v69
	v_add_f32_e32 v68, v80, v81
	ds_bpermute_b32 v69, v76, v68
	s_and_saveexec_b64 s[10:11], vcc
	s_cbranch_execz .LBB59_9
; %bb.11:                               ;   in Loop: Header=BB59_10 Depth=1
	v_add_u32_e32 v70, s19, v77
	v_cvt_f32_i32_e32 v70, v70
	s_waitcnt lgkmcnt(0)
	v_add_f32_e32 v68, v68, v69
	v_cmp_gt_i32_e64 s[0:1], s27, v77
	v_max_f32_e32 v69, v1, v1
	v_mul_f32_e32 v70, s36, v70
	v_cndmask_b32_e64 v70, 0, v70, s[6:7]
	v_fmac_f32_e32 v70, s37, v68
	v_cndmask_b32_e64 v68, 0, v70, s[0:1]
	ds_write_b32 v78, v68
	v_max_f32_e32 v68, v69, v70
	v_cndmask_b32_e64 v1, v1, v68, s[0:1]
	s_branch .LBB59_9
.LBB59_12:
	s_or_b64 exec, exec, s[40:41]
.LBB59_13:
	s_or_b64 exec, exec, s[38:39]
	v_xor_b32_e32 v2, 32, v74
	v_cmp_lt_i32_e32 vcc, v2, v75
	v_xor_b32_e32 v4, 16, v74
	v_xor_b32_e32 v5, 8, v74
	v_cndmask_b32_e32 v2, v74, v2, vcc
	v_lshlrev_b32_e32 v2, 2, v2
	ds_bpermute_b32 v3, v2, v1
	v_max_f32_e32 v1, v1, v1
	v_cmp_lt_i32_e32 vcc, v4, v75
	v_xor_b32_e32 v6, 4, v74
	s_waitcnt lgkmcnt(0)
	v_max_f32_e32 v3, v3, v3
	v_max_f32_e32 v1, v1, v3
	v_cndmask_b32_e32 v3, v74, v4, vcc
	v_lshlrev_b32_e32 v3, 2, v3
	ds_bpermute_b32 v4, v3, v1
	v_cmp_lt_i32_e32 vcc, v5, v75
	s_waitcnt lgkmcnt(0)
	v_max_f32_e32 v4, v4, v4
	v_max_f32_e32 v1, v1, v4
	v_cndmask_b32_e32 v4, v74, v5, vcc
	v_lshlrev_b32_e32 v5, 2, v4
	ds_bpermute_b32 v4, v5, v1
	v_cmp_lt_i32_e32 vcc, v6, v75
	s_waitcnt lgkmcnt(0)
	v_max_f32_e32 v4, v4, v4
	v_max_f32_e32 v1, v1, v4
	v_cndmask_b32_e32 v4, v74, v6, vcc
	v_lshlrev_b32_e32 v108, 2, v4
	ds_bpermute_b32 v4, v108, v1
	v_xor_b32_e32 v6, 2, v74
	v_cmp_lt_i32_e32 vcc, v6, v75
	s_waitcnt lgkmcnt(0)
	v_max_f32_e32 v4, v4, v4
	v_max_f32_e32 v4, v1, v4
	v_cndmask_b32_e32 v1, v74, v6, vcc
	v_lshlrev_b32_e32 v109, 2, v1
	ds_bpermute_b32 v7, v109, v4
	v_and_b32_e32 v1, 63, v0
	v_cmp_eq_u32_e32 vcc, 0, v1
	v_lshlrev_b32_e32 v6, 2, v84
	s_and_saveexec_b64 s[0:1], vcc
	s_cbranch_execz .LBB59_15
; %bb.14:
	s_waitcnt lgkmcnt(0)
	v_max_f32_e32 v7, v7, v7
	v_max_f32_e32 v4, v4, v4
	;; [unrolled: 1-line block ×3, first 2 shown]
	ds_write_b32 v6, v4 offset:480
.LBB59_15:
	s_or_b64 exec, exec, s[0:1]
	v_cmp_gt_u32_e64 s[0:1], 2, v1
	v_mov_b32_e32 v4, 0xff7fffff
	s_waitcnt lgkmcnt(0)
	v_lshlrev_b32_e32 v7, 2, v1
	s_barrier
	s_and_saveexec_b64 s[6:7], s[0:1]
	s_cbranch_execz .LBB59_17
; %bb.16:
	ds_read_b32 v4, v7 offset:480
.LBB59_17:
	s_or_b64 exec, exec, s[6:7]
	v_xor_b32_e32 v8, 1, v74
	v_cmp_lt_i32_e64 s[6:7], v8, v75
	s_sub_i32 s3, s16, s3
	s_lshl_b32 s3, s3, 5
	v_cndmask_b32_e64 v8, v74, v8, s[6:7]
	v_lshlrev_b32_e32 v110, 2, v8
	s_waitcnt lgkmcnt(0)
	ds_bpermute_b32 v8, v110, v4
	v_max_f32_e32 v4, v4, v4
	s_add_i32 s3, s3, s33
	s_min_i32 s19, s3, s27
	s_sub_i32 s3, s19, s33
	s_waitcnt lgkmcnt(0)
	v_max_f32_e32 v8, v8, v8
	v_max_f32_e32 v4, v4, v8
	v_lshlrev_b32_e32 v8, 2, v74
	v_and_b32_e32 v8, 0xffffff00, v8
	ds_bpermute_b32 v4, v8, v4
	v_cmp_gt_i32_e64 s[6:7], s3, v0
	v_mov_b32_e32 v9, 0
	s_and_saveexec_b64 s[12:13], s[6:7]
	s_cbranch_execz .LBB59_21
; %bb.18:
	v_mov_b32_e32 v9, 0x1f0
	v_lshl_add_u32 v10, v0, 2, v9
	s_mov_b64 s[36:37], 0
	v_mov_b32_e32 v9, 0
	v_mov_b32_e32 v11, v0
.LBB59_19:                              ; =>This Inner Loop Header: Depth=1
	ds_read_b32 v12, v10
	v_add_u32_e32 v11, 0x80, v11
	v_cmp_le_i32_e64 s[10:11], s3, v11
	s_or_b64 s[36:37], s[10:11], s[36:37]
	s_waitcnt lgkmcnt(0)
	v_sub_f32_e32 v12, v12, v4
	v_mul_f32_e32 v12, 0x3fb8aa3b, v12
	v_exp_f32_e32 v12, v12
	ds_write_b32 v10, v12
	v_add_f32_e32 v9, v9, v12
	v_add_u32_e32 v10, 0x200, v10
	s_andn2_b64 exec, exec, s[36:37]
	s_cbranch_execnz .LBB59_19
; %bb.20:
	s_or_b64 exec, exec, s[36:37]
.LBB59_21:
	s_or_b64 exec, exec, s[12:13]
	ds_bpermute_b32 v2, v2, v9
	s_waitcnt lgkmcnt(0)
	v_add_f32_e32 v2, v9, v2
	ds_bpermute_b32 v3, v3, v2
	s_waitcnt lgkmcnt(0)
	v_add_f32_e32 v2, v2, v3
	;; [unrolled: 3-line block ×6, first 2 shown]
	s_and_saveexec_b64 s[10:11], vcc
	s_cbranch_execz .LBB59_23
; %bb.22:
	ds_write_b32 v6, v2 offset:488
.LBB59_23:
	s_or_b64 exec, exec, s[10:11]
	s_waitcnt lgkmcnt(0)
	s_barrier
	s_and_saveexec_b64 s[10:11], s[0:1]
	s_cbranch_execz .LBB59_25
; %bb.24:
	ds_read_b32 v2, v7 offset:488
.LBB59_25:
	s_or_b64 exec, exec, s[10:11]
	s_waitcnt lgkmcnt(0)
	ds_bpermute_b32 v3, v110, v2
	s_waitcnt lgkmcnt(0)
	v_add_f32_e32 v2, v2, v3
	ds_bpermute_b32 v5, v8, v2
	s_and_saveexec_b64 s[0:1], s[6:7]
	s_cbranch_execz .LBB59_38
; %bb.26:
	s_waitcnt lgkmcnt(0)
	v_add_f32_e32 v2, 0x358637bd, v5
	v_div_scale_f32 v3, s[6:7], v2, v2, 1.0
	v_rcp_f32_e32 v6, v3
	v_div_scale_f32 v7, vcc, 1.0, v2, 1.0
	s_movk_i32 s6, 0x7f
	v_fma_f32 v8, -v3, v6, 1.0
	v_fmac_f32_e32 v6, v8, v6
	v_mul_f32_e32 v8, v7, v6
	v_fma_f32 v9, -v3, v8, v7
	v_fmac_f32_e32 v8, v9, v6
	v_fma_f32 v3, -v3, v8, v7
	v_div_fmas_f32 v3, v3, v6, v8
	v_div_fixup_f32 v2, v3, v2, 1.0
	v_xad_u32 v3, v0, -1, s19
	v_subrev_u32_e32 v6, s33, v3
	v_cmp_lt_u32_e32 vcc, s6, v6
	s_mov_b64 s[10:11], -1
	v_mov_b32_e32 v3, v0
	s_and_saveexec_b64 s[6:7], vcc
	s_cbranch_execz .LBB59_35
; %bb.27:
	v_lshrrev_b32_e32 v6, 7, v6
	v_add_u32_e32 v8, -1, v6
	v_lshrrev_b32_e32 v7, 1, v8
	v_mov_b32_e32 v3, v2
	v_add_u32_e32 v7, 1, v7
	v_cmp_lt_u32_e32 vcc, 13, v8
	v_mov_b32_e32 v10, 0
	s_and_saveexec_b64 s[10:11], vcc
	s_cbranch_execz .LBB59_31
; %bb.28:
	v_mov_b32_e32 v9, 0x1f0
	v_and_b32_e32 v8, -8, v7
	v_lshl_add_u32 v9, v0, 2, v9
	s_mov_b32 s19, 0
	s_mov_b64 s[12:13], 0
.LBB59_29:                              ; =>This Inner Loop Header: Depth=1
	ds_read2st64_b32 v[10:11], v9 offset1:2
	ds_read2st64_b32 v[12:13], v9 offset0:4 offset1:6
	ds_read2st64_b32 v[14:15], v9 offset0:8 offset1:10
	;; [unrolled: 1-line block ×3, first 2 shown]
	v_add_u32_e32 v8, -8, v8
	s_waitcnt lgkmcnt(3)
	v_pk_mul_f32 v[10:11], v[2:3], v[10:11]
	s_waitcnt lgkmcnt(2)
	v_pk_mul_f32 v[12:13], v[2:3], v[12:13]
	ds_write2st64_b32 v9, v10, v11 offset1:2
	ds_write2st64_b32 v9, v12, v13 offset0:4 offset1:6
	ds_read2st64_b32 v[12:13], v9 offset0:16 offset1:18
	s_waitcnt lgkmcnt(4)
	v_pk_mul_f32 v[10:11], v[2:3], v[14:15]
	ds_write2st64_b32 v9, v10, v11 offset0:8 offset1:10
	s_waitcnt lgkmcnt(4)
	v_pk_mul_f32 v[10:11], v[2:3], v[16:17]
	ds_write2st64_b32 v9, v10, v11 offset0:12 offset1:14
	ds_read2st64_b32 v[10:11], v9 offset0:20 offset1:22
	s_waitcnt lgkmcnt(3)
	v_pk_mul_f32 v[12:13], v[2:3], v[12:13]
	ds_read2st64_b32 v[14:15], v9 offset0:24 offset1:26
	ds_write2st64_b32 v9, v12, v13 offset0:16 offset1:18
	ds_read2st64_b32 v[12:13], v9 offset0:28 offset1:30
	s_waitcnt lgkmcnt(3)
	v_pk_mul_f32 v[10:11], v[2:3], v[10:11]
	ds_write2st64_b32 v9, v10, v11 offset0:20 offset1:22
	s_waitcnt lgkmcnt(3)
	v_pk_mul_f32 v[10:11], v[2:3], v[14:15]
	ds_write2st64_b32 v9, v10, v11 offset0:24 offset1:26
	s_waitcnt lgkmcnt(2)
	v_pk_mul_f32 v[10:11], v[2:3], v[12:13]
	s_add_i32 s19, s19, 16
	v_cmp_eq_u32_e32 vcc, 0, v8
	ds_write2st64_b32 v9, v10, v11 offset0:28 offset1:30
	v_add_u32_e32 v9, 0x2000, v9
	s_or_b64 s[12:13], vcc, s[12:13]
	v_mov_b32_e32 v10, s19
	s_andn2_b64 exec, exec, s[12:13]
	s_cbranch_execnz .LBB59_29
; %bb.30:
	s_or_b64 exec, exec, s[12:13]
.LBB59_31:
	s_or_b64 exec, exec, s[10:11]
	v_and_b32_e32 v7, 7, v7
	v_cmp_ne_u32_e32 vcc, 0, v7
	s_and_saveexec_b64 s[10:11], vcc
	s_cbranch_execz .LBB59_34
; %bb.32:
	v_lshlrev_b32_e32 v8, 9, v10
	s_movk_i32 s12, 0x1f0
	v_add3_u32 v8, v8, v82, s12
	s_mov_b64 s[12:13], 0
.LBB59_33:                              ; =>This Inner Loop Header: Depth=1
	ds_read2st64_b32 v[10:11], v8 offset1:2
	v_add_u32_e32 v7, -1, v7
	v_cmp_eq_u32_e32 vcc, 0, v7
	s_or_b64 s[12:13], vcc, s[12:13]
	s_waitcnt lgkmcnt(0)
	v_pk_mul_f32 v[10:11], v[2:3], v[10:11]
	ds_write2st64_b32 v8, v10, v11 offset1:2
	v_add_u32_e32 v8, 0x400, v8
	s_andn2_b64 exec, exec, s[12:13]
	s_cbranch_execnz .LBB59_33
.LBB59_34:
	s_or_b64 exec, exec, s[10:11]
	v_add_u32_e32 v6, 1, v6
	v_and_b32_e32 v7, 0x3fffffe, v6
	v_cmp_ne_u32_e32 vcc, v6, v7
	v_lshl_add_u32 v3, v7, 7, v0
	s_orn2_b64 s[10:11], vcc, exec
.LBB59_35:
	s_or_b64 exec, exec, s[6:7]
	s_and_b64 exec, exec, s[10:11]
	s_cbranch_execz .LBB59_38
; %bb.36:
	v_mov_b32_e32 v6, 0x1f0
	v_lshl_add_u32 v6, v3, 2, v6
	s_mov_b64 s[6:7], 0
.LBB59_37:                              ; =>This Inner Loop Header: Depth=1
	ds_read_b32 v7, v6
	v_add_u32_e32 v3, 0x80, v3
	v_cmp_le_i32_e32 vcc, s3, v3
	s_or_b64 s[6:7], vcc, s[6:7]
	s_waitcnt lgkmcnt(0)
	v_mul_f32_e32 v7, v2, v7
	ds_write_b32 v6, v7
	v_add_u32_e32 v6, 0x200, v6
	s_andn2_b64 exec, exec, s[6:7]
	s_cbranch_execnz .LBB59_37
.LBB59_38:
	s_or_b64 exec, exec, s[0:1]
	s_mul_i32 s0, s15, s26
	v_cmp_eq_u32_e32 vcc, 0, v0
	s_mul_i32 s6, s0, s5
	s_waitcnt lgkmcnt(0)
	s_barrier
	s_and_saveexec_b64 s[0:1], vcc
	s_cbranch_execz .LBB59_40
; %bb.39:
	s_ashr_i32 s7, s6, 31
	s_lshl_b64 s[10:11], s[6:7], 2
	s_add_u32 s5, s22, s10
	s_mul_i32 s2, s15, s2
	s_addc_u32 s7, s23, s11
	s_ashr_i32 s3, s2, 31
	s_lshl_b64 s[2:3], s[2:3], 2
	s_add_u32 s19, s5, s2
	s_addc_u32 s7, s7, s3
	s_ashr_i32 s5, s4, 31
	s_lshl_b64 s[12:13], s[4:5], 2
	s_add_u32 s22, s19, s12
	s_addc_u32 s23, s7, s13
	s_add_u32 s5, s20, s10
	s_addc_u32 s7, s21, s11
	;; [unrolled: 2-line block ×3, first 2 shown]
	s_add_u32 s2, s2, s12
	v_mov_b32_e32 v2, 0
	s_addc_u32 s3, s3, s13
	global_store_dword v2, v4, s[22:23]
	global_store_dword v2, v5, s[2:3]
.LBB59_40:
	s_or_b64 exec, exec, s[0:1]
	v_mov_b32_e32 v80, 0
	v_and_b32_e32 v111, 7, v0
	v_mov_b32_e32 v81, 0
	v_mov_b32_e32 v78, 0
	;; [unrolled: 1-line block ×14, first 2 shown]
	s_and_saveexec_b64 s[2:3], s[8:9]
	s_cbranch_execz .LBB59_74
; %bb.41:
	s_ashr_i32 s19, s18, 31
	s_lshl_b64 s[0:1], s[18:19], 2
	s_add_u32 s8, s34, s0
	v_and_b32_e32 v3, 28, v82
	s_addc_u32 s9, s35, s1
	s_add_i32 s42, s42, -1
	v_lshl_add_u32 v5, v84, 5, s33
	s_lshl_b64 s[0:1], s[30:31], 2
	v_and_b32_e32 v2, 0xfc, v82
	v_add3_u32 v113, v5, v3, 3
	v_lshlrev_b32_e32 v3, 4, v111
	s_add_u32 s0, s28, s0
	v_mov_b32_e32 v83, 0
	v_or_b32_e32 v4, 0x400, v2
	v_or_b32_e32 v6, 0x500, v2
	;; [unrolled: 1-line block ×11, first 2 shown]
	v_lshl_or_b32 v3, v84, 7, v3
	s_addc_u32 s1, s29, s1
	s_mov_b32 s5, s17
	v_add_u32_e32 v114, 0x1f0, v3
	v_lshl_add_u64 v[84:85], v[66:67], 2, s[0:1]
	s_mov_b64 s[10:11], 0
	v_lshlrev_b32_e32 v86, 2, v2
	v_lshlrev_b32_e32 v82, 2, v4
	;; [unrolled: 1-line block ×12, first 2 shown]
	v_mov_b32_e32 v87, v83
	v_mov_b32_e32 v112, v83
	;; [unrolled: 1-line block ×16, first 2 shown]
	s_branch .LBB59_43
.LBB59_42:                              ;   in Loop: Header=BB59_43 Depth=1
	s_or_b64 exec, exec, s[0:1]
	s_waitcnt vmcnt(1) lgkmcnt(0)
	v_mul_f32_e32 v63, v3, v63
	v_mul_f32_e32 v59, v3, v59
	;; [unrolled: 1-line block ×14, first 2 shown]
	s_waitcnt vmcnt(0)
	v_mul_f32_e32 v3, v3, v55
	v_fmac_f32_e32 v63, v2, v62
	v_fmac_f32_e32 v59, v2, v58
	;; [unrolled: 1-line block ×30, first 2 shown]
	v_add_u32_e32 v66, 2, v66
	v_fmac_f32_e32 v63, v5, v65
	v_fmac_f32_e32 v59, v5, v61
	;; [unrolled: 1-line block ×15, first 2 shown]
	v_cmp_le_i32_e32 vcc, s16, v66
	v_add_f32_e32 v69, v69, v63
	v_add_f32_e32 v68, v68, v59
	;; [unrolled: 1-line block ×15, first 2 shown]
	v_add_u32_e32 v113, 64, v113
	v_add_u32_e32 v114, 0x100, v114
	s_or_b64 s[10:11], vcc, s[10:11]
	v_lshl_add_u64 v[84:85], v[84:85], 0, 8
	s_andn2_b64 exec, exec, s[10:11]
	s_cbranch_execz .LBB59_73
.LBB59_43:                              ; =>This Inner Loop Header: Depth=1
	global_load_dword v2, v[84:85], off
	v_add_u32_e32 v67, -3, v113
	v_cmp_eq_u32_e32 vcc, s42, v66
	v_add_u32_e32 v116, -2, v113
	v_add_u32_e32 v115, -1, v113
	s_waitcnt vmcnt(0)
	v_mad_i64_i32 v[2:3], s[0:1], v2, s5, 0
	v_lshl_add_u64 v[54:55], v[2:3], 2, s[8:9]
	v_lshl_add_u64 v[18:19], v[54:55], 0, v[86:87]
	global_load_dwordx4 v[6:9], v[18:19], off
	ds_read_b128 v[2:5], v114
	s_and_saveexec_b64 s[12:13], vcc
	s_cbranch_execnz .LBB59_70
; %bb.44:                               ;   in Loop: Header=BB59_43 Depth=1
	s_or_b64 exec, exec, s[12:13]
	global_load_dwordx4 v[10:13], v[18:19], off offset:1024
	s_and_saveexec_b64 s[12:13], vcc
	s_cbranch_execnz .LBB59_71
.LBB59_45:                              ;   in Loop: Header=BB59_43 Depth=1
	s_or_b64 exec, exec, s[12:13]
	global_load_dwordx4 v[14:17], v[18:19], off offset:2048
	s_and_saveexec_b64 s[12:13], vcc
	s_cbranch_execnz .LBB59_72
.LBB59_46:                              ;   in Loop: Header=BB59_43 Depth=1
	s_or_b64 exec, exec, s[12:13]
	global_load_dwordx4 v[18:21], v[18:19], off offset:3072
	s_and_saveexec_b64 s[12:13], vcc
	s_cbranch_execz .LBB59_48
.LBB59_47:                              ;   in Loop: Header=BB59_43 Depth=1
	v_cmp_gt_i32_e64 s[0:1], s27, v67
	s_waitcnt vmcnt(0)
	s_nop 0
	v_cndmask_b32_e64 v18, 0, v18, s[0:1]
	v_cmp_gt_i32_e64 s[0:1], s27, v116
	s_nop 1
	v_cndmask_b32_e64 v19, 0, v19, s[0:1]
	v_cmp_gt_i32_e64 s[0:1], s27, v115
	;; [unrolled: 3-line block ×3, first 2 shown]
	s_nop 1
	v_cndmask_b32_e64 v21, 0, v21, s[0:1]
.LBB59_48:                              ;   in Loop: Header=BB59_43 Depth=1
	s_or_b64 exec, exec, s[12:13]
	v_lshl_add_u64 v[22:23], v[54:55], 0, v[82:83]
	global_load_dwordx4 v[22:25], v[22:23], off
	s_and_saveexec_b64 s[12:13], vcc
	s_cbranch_execz .LBB59_50
; %bb.49:                               ;   in Loop: Header=BB59_43 Depth=1
	v_cmp_gt_i32_e64 s[0:1], s27, v67
	s_waitcnt vmcnt(0)
	s_nop 0
	v_cndmask_b32_e64 v22, 0, v22, s[0:1]
	v_cmp_gt_i32_e64 s[0:1], s27, v116
	s_nop 1
	v_cndmask_b32_e64 v23, 0, v23, s[0:1]
	v_cmp_gt_i32_e64 s[0:1], s27, v115
	s_nop 1
	v_cndmask_b32_e64 v24, 0, v24, s[0:1]
	v_cmp_gt_i32_e64 s[0:1], s27, v113
	s_nop 1
	v_cndmask_b32_e64 v25, 0, v25, s[0:1]
.LBB59_50:                              ;   in Loop: Header=BB59_43 Depth=1
	s_or_b64 exec, exec, s[12:13]
	v_mov_b32_e32 v89, v83
	v_lshl_add_u64 v[26:27], v[54:55], 0, v[88:89]
	global_load_dwordx4 v[26:29], v[26:27], off
	s_and_saveexec_b64 s[12:13], vcc
	s_cbranch_execz .LBB59_52
; %bb.51:                               ;   in Loop: Header=BB59_43 Depth=1
	v_cmp_gt_i32_e64 s[0:1], s27, v67
	s_waitcnt vmcnt(0)
	s_nop 0
	v_cndmask_b32_e64 v26, 0, v26, s[0:1]
	v_cmp_gt_i32_e64 s[0:1], s27, v116
	s_nop 1
	v_cndmask_b32_e64 v27, 0, v27, s[0:1]
	v_cmp_gt_i32_e64 s[0:1], s27, v115
	s_nop 1
	v_cndmask_b32_e64 v28, 0, v28, s[0:1]
	v_cmp_gt_i32_e64 s[0:1], s27, v113
	s_nop 1
	v_cndmask_b32_e64 v29, 0, v29, s[0:1]
.LBB59_52:                              ;   in Loop: Header=BB59_43 Depth=1
	s_or_b64 exec, exec, s[12:13]
	v_mov_b32_e32 v91, v83
	;; [unrolled: 21-line block ×10, first 2 shown]
	v_lshl_add_u64 v[54:55], v[54:55], 0, v[106:107]
	global_load_dwordx4 v[54:57], v[54:55], off
	s_and_saveexec_b64 s[0:1], vcc
	s_cbranch_execz .LBB59_42
; %bb.69:                               ;   in Loop: Header=BB59_43 Depth=1
	v_cmp_gt_i32_e32 vcc, s27, v67
	s_waitcnt vmcnt(0)
	s_nop 0
	v_cndmask_b32_e32 v54, 0, v54, vcc
	v_cmp_gt_i32_e32 vcc, s27, v116
	s_nop 1
	v_cndmask_b32_e32 v55, 0, v55, vcc
	v_cmp_gt_i32_e32 vcc, s27, v115
	;; [unrolled: 3-line block ×3, first 2 shown]
	s_nop 1
	v_cndmask_b32_e32 v57, 0, v57, vcc
	s_branch .LBB59_42
.LBB59_70:                              ;   in Loop: Header=BB59_43 Depth=1
	v_cmp_gt_i32_e64 s[0:1], s27, v67
	s_waitcnt vmcnt(0)
	s_nop 0
	v_cndmask_b32_e64 v6, 0, v6, s[0:1]
	v_cmp_gt_i32_e64 s[0:1], s27, v116
	s_nop 1
	v_cndmask_b32_e64 v7, 0, v7, s[0:1]
	v_cmp_gt_i32_e64 s[0:1], s27, v115
	;; [unrolled: 3-line block ×3, first 2 shown]
	s_nop 1
	v_cndmask_b32_e64 v9, 0, v9, s[0:1]
	s_or_b64 exec, exec, s[12:13]
	global_load_dwordx4 v[10:13], v[18:19], off offset:1024
	s_and_saveexec_b64 s[12:13], vcc
	s_cbranch_execz .LBB59_45
.LBB59_71:                              ;   in Loop: Header=BB59_43 Depth=1
	v_cmp_gt_i32_e64 s[0:1], s27, v67
	s_waitcnt vmcnt(0)
	s_nop 0
	v_cndmask_b32_e64 v10, 0, v10, s[0:1]
	v_cmp_gt_i32_e64 s[0:1], s27, v116
	s_nop 1
	v_cndmask_b32_e64 v11, 0, v11, s[0:1]
	v_cmp_gt_i32_e64 s[0:1], s27, v115
	;; [unrolled: 3-line block ×3, first 2 shown]
	s_nop 1
	v_cndmask_b32_e64 v13, 0, v13, s[0:1]
	s_or_b64 exec, exec, s[12:13]
	global_load_dwordx4 v[14:17], v[18:19], off offset:2048
	s_and_saveexec_b64 s[12:13], vcc
	s_cbranch_execz .LBB59_46
.LBB59_72:                              ;   in Loop: Header=BB59_43 Depth=1
	v_cmp_gt_i32_e64 s[0:1], s27, v67
	s_waitcnt vmcnt(0)
	s_nop 0
	v_cndmask_b32_e64 v14, 0, v14, s[0:1]
	v_cmp_gt_i32_e64 s[0:1], s27, v116
	s_nop 1
	v_cndmask_b32_e64 v15, 0, v15, s[0:1]
	v_cmp_gt_i32_e64 s[0:1], s27, v115
	;; [unrolled: 3-line block ×3, first 2 shown]
	s_nop 1
	v_cndmask_b32_e64 v17, 0, v17, s[0:1]
	s_or_b64 exec, exec, s[12:13]
	global_load_dwordx4 v[18:21], v[18:19], off offset:3072
	s_and_saveexec_b64 s[12:13], vcc
	s_cbranch_execnz .LBB59_47
	s_branch .LBB59_48
.LBB59_73:
	s_or_b64 exec, exec, s[10:11]
.LBB59_74:
	s_or_b64 exec, exec, s[2:3]
	ds_bpermute_b32 v4, v108, v78
	ds_bpermute_b32 v5, v108, v79
	;; [unrolled: 1-line block ×6, first 2 shown]
	s_waitcnt lgkmcnt(4)
	v_pk_add_f32 v[4:5], v[78:79], v[4:5]
	ds_bpermute_b32 v8, v109, v4
	ds_bpermute_b32 v9, v109, v5
	s_waitcnt lgkmcnt(4)
	v_pk_add_f32 v[2:3], v[80:81], v[2:3]
	ds_bpermute_b32 v6, v109, v2
	ds_bpermute_b32 v7, v109, v3
	;; [unrolled: 1-line block ×3, first 2 shown]
	s_waitcnt lgkmcnt(3)
	v_pk_add_f32 v[4:5], v[4:5], v[8:9]
	v_pk_add_f32 v[8:9], v[76:77], v[10:11]
	ds_bpermute_b32 v10, v109, v8
	ds_bpermute_b32 v11, v109, v9
	;; [unrolled: 1-line block ×3, first 2 shown]
	s_waitcnt lgkmcnt(4)
	v_pk_add_f32 v[2:3], v[2:3], v[6:7]
	ds_bpermute_b32 v6, v110, v2
	ds_bpermute_b32 v7, v110, v3
	s_waitcnt lgkmcnt(3)
	v_pk_add_f32 v[8:9], v[8:9], v[10:11]
	s_waitcnt lgkmcnt(2)
	v_pk_add_f32 v[14:15], v[74:75], v[14:15]
	ds_bpermute_b32 v10, v110, v8
	ds_bpermute_b32 v11, v110, v9
	;; [unrolled: 1-line block ×6, first 2 shown]
	s_waitcnt lgkmcnt(6)
	v_pk_add_f32 v[6:7], v[2:3], v[6:7]
	s_waitcnt lgkmcnt(4)
	v_pk_add_f32 v[2:3], v[8:9], v[10:11]
	;; [unrolled: 2-line block ×3, first 2 shown]
	ds_bpermute_b32 v16, v108, v70
	ds_bpermute_b32 v17, v108, v71
	;; [unrolled: 1-line block ×4, first 2 shown]
	s_waitcnt lgkmcnt(4)
	v_pk_add_f32 v[10:11], v[72:73], v[18:19]
	ds_bpermute_b32 v18, v108, v68
	ds_bpermute_b32 v19, v108, v69
	s_waitcnt lgkmcnt(4)
	v_pk_add_f32 v[16:17], v[70:71], v[16:17]
	s_waitcnt lgkmcnt(2)
	v_pk_add_f32 v[4:5], v[4:5], v[12:13]
	ds_bpermute_b32 v12, v109, v10
	ds_bpermute_b32 v13, v109, v11
	;; [unrolled: 1-line block ×4, first 2 shown]
	s_waitcnt lgkmcnt(4)
	v_pk_add_f32 v[18:19], v[68:69], v[18:19]
	ds_bpermute_b32 v24, v108, v112
	ds_bpermute_b32 v22, v109, v18
	ds_bpermute_b32 v23, v109, v19
	s_waitcnt lgkmcnt(5)
	v_pk_add_f32 v[10:11], v[10:11], v[12:13]
	s_waitcnt lgkmcnt(3)
	v_pk_add_f32 v[16:17], v[16:17], v[20:21]
	s_waitcnt lgkmcnt(2)
	v_add_f32_e32 v24, v112, v24
	ds_bpermute_b32 v12, v110, v10
	ds_bpermute_b32 v13, v110, v11
	;; [unrolled: 1-line block ×4, first 2 shown]
	s_waitcnt lgkmcnt(4)
	v_pk_add_f32 v[18:19], v[18:19], v[22:23]
	ds_bpermute_b32 v25, v109, v24
	ds_bpermute_b32 v14, v110, v8
	;; [unrolled: 1-line block ×5, first 2 shown]
	s_waitcnt lgkmcnt(7)
	v_pk_add_f32 v[12:13], v[10:11], v[12:13]
	s_waitcnt lgkmcnt(5)
	v_pk_add_f32 v[10:11], v[16:17], v[20:21]
	s_waitcnt lgkmcnt(4)
	v_add_f32_e32 v17, v24, v25
	s_waitcnt lgkmcnt(2)
	v_pk_add_f32 v[14:15], v[8:9], v[14:15]
	s_waitcnt lgkmcnt(0)
	v_pk_add_f32 v[8:9], v[18:19], v[22:23]
	ds_bpermute_b32 v18, v110, v17
	v_and_b32_e32 v16, 0x3c7, v0
	v_cmp_ne_u32_e32 vcc, 64, v16
	s_waitcnt lgkmcnt(0)
	s_barrier
	s_and_saveexec_b64 s[0:1], vcc
	s_xor_b64 s[0:1], exec, s[0:1]
; %bb.75:
                                        ; implicit-def: $vgpr1
; %bb.76:
	s_or_saveexec_b64 s[0:1], s[0:1]
	v_add_f32_e32 v17, v17, v18
	s_xor_b64 exec, exec, s[0:1]
	s_cbranch_execz .LBB59_78
; %bb.77:
	v_lshrrev_b32_e32 v1, 1, v1
	v_add_u32_e32 v1, 0x1f0, v1
	ds_write2_b32 v1, v6, v7 offset1:8
	ds_write2_b32 v1, v4, v5 offset0:16 offset1:24
	ds_write2_b32 v1, v2, v3 offset0:32 offset1:40
	;; [unrolled: 1-line block ×6, first 2 shown]
	ds_write_b32 v1, v17 offset:448
.LBB59_78:
	s_or_b64 exec, exec, s[0:1]
	v_cmp_gt_u32_e32 vcc, 64, v0
	s_waitcnt lgkmcnt(0)
	s_barrier
	s_and_saveexec_b64 s[0:1], vcc
	s_cbranch_execz .LBB59_96
; %bb.79:
	v_cmp_eq_u32_e32 vcc, 0, v111
	v_lshrrev_b32_e32 v1, 3, v0
	s_and_saveexec_b64 s[2:3], vcc
	s_cbranch_execnz .LBB59_99
; %bb.80:
	s_or_b64 exec, exec, s[2:3]
	s_and_saveexec_b64 s[2:3], vcc
	s_cbranch_execnz .LBB59_100
.LBB59_81:
	s_or_b64 exec, exec, s[2:3]
	s_and_saveexec_b64 s[2:3], vcc
	s_cbranch_execnz .LBB59_101
.LBB59_82:
	s_or_b64 exec, exec, s[2:3]
	s_and_saveexec_b64 s[2:3], vcc
	s_cbranch_execnz .LBB59_102
.LBB59_83:
	s_or_b64 exec, exec, s[2:3]
	s_and_saveexec_b64 s[2:3], vcc
	s_cbranch_execnz .LBB59_103
.LBB59_84:
	s_or_b64 exec, exec, s[2:3]
	s_and_saveexec_b64 s[2:3], vcc
	s_cbranch_execnz .LBB59_104
.LBB59_85:
	s_or_b64 exec, exec, s[2:3]
	s_and_saveexec_b64 s[2:3], vcc
	s_cbranch_execnz .LBB59_105
.LBB59_86:
	s_or_b64 exec, exec, s[2:3]
	s_and_saveexec_b64 s[2:3], vcc
	s_cbranch_execnz .LBB59_106
.LBB59_87:
	s_or_b64 exec, exec, s[2:3]
	s_and_saveexec_b64 s[2:3], vcc
	s_cbranch_execnz .LBB59_107
.LBB59_88:
	s_or_b64 exec, exec, s[2:3]
	s_and_saveexec_b64 s[2:3], vcc
	s_cbranch_execnz .LBB59_108
.LBB59_89:
	s_or_b64 exec, exec, s[2:3]
	s_and_saveexec_b64 s[2:3], vcc
	s_cbranch_execnz .LBB59_109
.LBB59_90:
	s_or_b64 exec, exec, s[2:3]
	s_and_saveexec_b64 s[2:3], vcc
	s_cbranch_execnz .LBB59_110
.LBB59_91:
	s_or_b64 exec, exec, s[2:3]
	s_and_saveexec_b64 s[2:3], vcc
	s_cbranch_execnz .LBB59_111
.LBB59_92:
	s_or_b64 exec, exec, s[2:3]
	s_and_saveexec_b64 s[2:3], vcc
	s_cbranch_execnz .LBB59_112
.LBB59_93:
	s_or_b64 exec, exec, s[2:3]
	s_and_saveexec_b64 s[2:3], vcc
	s_cbranch_execz .LBB59_95
.LBB59_94:
	v_mov_b32_e32 v18, 0x1f0
	v_lshl_add_u32 v1, v1, 2, v18
	ds_read_b32 v1, v1 offset:448
	s_waitcnt lgkmcnt(0)
	v_add_f32_e32 v17, v17, v1
.LBB59_95:
	s_or_b64 exec, exec, s[2:3]
.LBB59_96:
	s_or_b64 exec, exec, s[0:1]
	v_cmp_eq_u32_e32 vcc, 0, v16
	s_barrier
	s_and_saveexec_b64 s[0:1], vcc
	s_cbranch_execz .LBB59_98
; %bb.97:
	s_mul_i32 s0, s6, 0x78
	s_ashr_i32 s1, s0, 31
	s_lshl_b64 s[0:1], s[0:1], 2
	s_add_u32 s2, s24, s0
	s_mul_i32 s0, s15, s14
	s_addc_u32 s3, s25, s1
	s_ashr_i32 s1, s0, 31
	s_lshl_b64 s[0:1], s[0:1], 2
	s_add_u32 s2, s2, s0
	s_mul_i32 s0, s4, 0x78
	s_addc_u32 s3, s3, s1
	s_ashr_i32 s1, s0, 31
	s_lshl_b64 s[0:1], s[0:1], 2
	s_add_u32 s0, s2, s0
	s_addc_u32 s1, s3, s1
	v_lshrrev_b32_e32 v0, 1, v0
	global_store_dword v0, v6, s[0:1]
	global_store_dword v0, v7, s[0:1] offset:32
	global_store_dword v0, v4, s[0:1] offset:64
	;; [unrolled: 1-line block ×14, first 2 shown]
.LBB59_98:
	s_endpgm
.LBB59_99:
	v_mov_b32_e32 v18, 0x1f0
	v_lshl_add_u32 v18, v1, 2, v18
	ds_read_b32 v18, v18
	s_waitcnt lgkmcnt(0)
	v_add_f32_e32 v6, v6, v18
	s_or_b64 exec, exec, s[2:3]
	s_and_saveexec_b64 s[2:3], vcc
	s_cbranch_execz .LBB59_81
.LBB59_100:
	v_mov_b32_e32 v18, 0x1f0
	v_lshl_add_u32 v18, v1, 2, v18
	ds_read_b32 v18, v18 offset:32
	s_waitcnt lgkmcnt(0)
	v_add_f32_e32 v7, v7, v18
	s_or_b64 exec, exec, s[2:3]
	s_and_saveexec_b64 s[2:3], vcc
	s_cbranch_execz .LBB59_82
.LBB59_101:
	v_mov_b32_e32 v18, 0x1f0
	v_lshl_add_u32 v18, v1, 2, v18
	ds_read_b32 v18, v18 offset:64
	s_waitcnt lgkmcnt(0)
	v_add_f32_e32 v4, v4, v18
	s_or_b64 exec, exec, s[2:3]
	s_and_saveexec_b64 s[2:3], vcc
	s_cbranch_execz .LBB59_83
.LBB59_102:
	v_mov_b32_e32 v18, 0x1f0
	v_lshl_add_u32 v18, v1, 2, v18
	ds_read_b32 v18, v18 offset:96
	s_waitcnt lgkmcnt(0)
	v_add_f32_e32 v5, v5, v18
	s_or_b64 exec, exec, s[2:3]
	s_and_saveexec_b64 s[2:3], vcc
	s_cbranch_execz .LBB59_84
.LBB59_103:
	v_mov_b32_e32 v18, 0x1f0
	v_lshl_add_u32 v18, v1, 2, v18
	ds_read_b32 v18, v18 offset:128
	s_waitcnt lgkmcnt(0)
	v_add_f32_e32 v2, v2, v18
	s_or_b64 exec, exec, s[2:3]
	s_and_saveexec_b64 s[2:3], vcc
	s_cbranch_execz .LBB59_85
.LBB59_104:
	v_mov_b32_e32 v18, 0x1f0
	v_lshl_add_u32 v18, v1, 2, v18
	ds_read_b32 v18, v18 offset:160
	s_waitcnt lgkmcnt(0)
	v_add_f32_e32 v3, v3, v18
	s_or_b64 exec, exec, s[2:3]
	s_and_saveexec_b64 s[2:3], vcc
	s_cbranch_execz .LBB59_86
.LBB59_105:
	v_mov_b32_e32 v18, 0x1f0
	v_lshl_add_u32 v18, v1, 2, v18
	ds_read_b32 v18, v18 offset:192
	s_waitcnt lgkmcnt(0)
	v_add_f32_e32 v14, v14, v18
	s_or_b64 exec, exec, s[2:3]
	s_and_saveexec_b64 s[2:3], vcc
	s_cbranch_execz .LBB59_87
.LBB59_106:
	v_mov_b32_e32 v18, 0x1f0
	v_lshl_add_u32 v18, v1, 2, v18
	ds_read_b32 v18, v18 offset:224
	s_waitcnt lgkmcnt(0)
	v_add_f32_e32 v15, v15, v18
	s_or_b64 exec, exec, s[2:3]
	s_and_saveexec_b64 s[2:3], vcc
	s_cbranch_execz .LBB59_88
.LBB59_107:
	v_mov_b32_e32 v18, 0x1f0
	v_lshl_add_u32 v18, v1, 2, v18
	ds_read_b32 v18, v18 offset:256
	s_waitcnt lgkmcnt(0)
	v_add_f32_e32 v12, v12, v18
	s_or_b64 exec, exec, s[2:3]
	s_and_saveexec_b64 s[2:3], vcc
	s_cbranch_execz .LBB59_89
.LBB59_108:
	v_mov_b32_e32 v18, 0x1f0
	v_lshl_add_u32 v18, v1, 2, v18
	ds_read_b32 v18, v18 offset:288
	s_waitcnt lgkmcnt(0)
	v_add_f32_e32 v13, v13, v18
	s_or_b64 exec, exec, s[2:3]
	s_and_saveexec_b64 s[2:3], vcc
	s_cbranch_execz .LBB59_90
.LBB59_109:
	v_mov_b32_e32 v18, 0x1f0
	v_lshl_add_u32 v18, v1, 2, v18
	ds_read_b32 v18, v18 offset:320
	s_waitcnt lgkmcnt(0)
	v_add_f32_e32 v10, v10, v18
	s_or_b64 exec, exec, s[2:3]
	s_and_saveexec_b64 s[2:3], vcc
	s_cbranch_execz .LBB59_91
.LBB59_110:
	v_mov_b32_e32 v18, 0x1f0
	v_lshl_add_u32 v18, v1, 2, v18
	ds_read_b32 v18, v18 offset:352
	s_waitcnt lgkmcnt(0)
	v_add_f32_e32 v11, v11, v18
	s_or_b64 exec, exec, s[2:3]
	s_and_saveexec_b64 s[2:3], vcc
	s_cbranch_execz .LBB59_92
.LBB59_111:
	v_mov_b32_e32 v18, 0x1f0
	v_lshl_add_u32 v18, v1, 2, v18
	ds_read_b32 v18, v18 offset:384
	s_waitcnt lgkmcnt(0)
	v_add_f32_e32 v8, v8, v18
	s_or_b64 exec, exec, s[2:3]
	s_and_saveexec_b64 s[2:3], vcc
	s_cbranch_execz .LBB59_93
.LBB59_112:
	v_mov_b32_e32 v18, 0x1f0
	v_lshl_add_u32 v18, v1, 2, v18
	ds_read_b32 v18, v18 offset:416
	s_waitcnt lgkmcnt(0)
	v_add_f32_e32 v9, v9, v18
	s_or_b64 exec, exec, s[2:3]
	s_and_saveexec_b64 s[2:3], vcc
	s_cbranch_execnz .LBB59_94
	s_branch .LBB59_95
	.section	.rodata,"a",@progbits
	.p2align	6, 0x0
	.amdhsa_kernel _ZN4vllm25paged_attention_v2_kernelIffLi120ELi32ELi128ELNS_18Fp8KVCacheDataTypeE0ELb0ELi512EEEvPfS2_PT_PKS3_PKT0_S9_ifPKiSB_iPKfiiiSD_SD_iiiii
		.amdhsa_group_segment_fixed_size 496
		.amdhsa_private_segment_fixed_size 0
		.amdhsa_kernarg_size 400
		.amdhsa_user_sgpr_count 2
		.amdhsa_user_sgpr_dispatch_ptr 0
		.amdhsa_user_sgpr_queue_ptr 0
		.amdhsa_user_sgpr_kernarg_segment_ptr 1
		.amdhsa_user_sgpr_dispatch_id 0
		.amdhsa_user_sgpr_kernarg_preload_length 0
		.amdhsa_user_sgpr_kernarg_preload_offset 0
		.amdhsa_user_sgpr_private_segment_size 0
		.amdhsa_uses_dynamic_stack 0
		.amdhsa_enable_private_segment 0
		.amdhsa_system_sgpr_workgroup_id_x 1
		.amdhsa_system_sgpr_workgroup_id_y 1
		.amdhsa_system_sgpr_workgroup_id_z 1
		.amdhsa_system_sgpr_workgroup_info 0
		.amdhsa_system_vgpr_workitem_id 0
		.amdhsa_next_free_vgpr 117
		.amdhsa_next_free_sgpr 47
		.amdhsa_accum_offset 120
		.amdhsa_reserve_vcc 1
		.amdhsa_float_round_mode_32 0
		.amdhsa_float_round_mode_16_64 0
		.amdhsa_float_denorm_mode_32 3
		.amdhsa_float_denorm_mode_16_64 3
		.amdhsa_dx10_clamp 1
		.amdhsa_ieee_mode 1
		.amdhsa_fp16_overflow 0
		.amdhsa_tg_split 0
		.amdhsa_exception_fp_ieee_invalid_op 0
		.amdhsa_exception_fp_denorm_src 0
		.amdhsa_exception_fp_ieee_div_zero 0
		.amdhsa_exception_fp_ieee_overflow 0
		.amdhsa_exception_fp_ieee_underflow 0
		.amdhsa_exception_fp_ieee_inexact 0
		.amdhsa_exception_int_div_zero 0
	.end_amdhsa_kernel
	.section	.text._ZN4vllm25paged_attention_v2_kernelIffLi120ELi32ELi128ELNS_18Fp8KVCacheDataTypeE0ELb0ELi512EEEvPfS2_PT_PKS3_PKT0_S9_ifPKiSB_iPKfiiiSD_SD_iiiii,"axG",@progbits,_ZN4vllm25paged_attention_v2_kernelIffLi120ELi32ELi128ELNS_18Fp8KVCacheDataTypeE0ELb0ELi512EEEvPfS2_PT_PKS3_PKT0_S9_ifPKiSB_iPKfiiiSD_SD_iiiii,comdat
.Lfunc_end59:
	.size	_ZN4vllm25paged_attention_v2_kernelIffLi120ELi32ELi128ELNS_18Fp8KVCacheDataTypeE0ELb0ELi512EEEvPfS2_PT_PKS3_PKT0_S9_ifPKiSB_iPKfiiiSD_SD_iiiii, .Lfunc_end59-_ZN4vllm25paged_attention_v2_kernelIffLi120ELi32ELi128ELNS_18Fp8KVCacheDataTypeE0ELb0ELi512EEEvPfS2_PT_PKS3_PKT0_S9_ifPKiSB_iPKfiiiSD_SD_iiiii
                                        ; -- End function
	.section	.AMDGPU.csdata,"",@progbits
; Kernel info:
; codeLenInByte = 7652
; NumSgprs: 53
; NumVgprs: 117
; NumAgprs: 0
; TotalNumVgprs: 117
; ScratchSize: 0
; MemoryBound: 0
; FloatMode: 240
; IeeeMode: 1
; LDSByteSize: 496 bytes/workgroup (compile time only)
; SGPRBlocks: 6
; VGPRBlocks: 14
; NumSGPRsForWavesPerEU: 53
; NumVGPRsForWavesPerEU: 117
; AccumOffset: 120
; Occupancy: 4
; WaveLimiterHint : 1
; COMPUTE_PGM_RSRC2:SCRATCH_EN: 0
; COMPUTE_PGM_RSRC2:USER_SGPR: 2
; COMPUTE_PGM_RSRC2:TRAP_HANDLER: 0
; COMPUTE_PGM_RSRC2:TGID_X_EN: 1
; COMPUTE_PGM_RSRC2:TGID_Y_EN: 1
; COMPUTE_PGM_RSRC2:TGID_Z_EN: 1
; COMPUTE_PGM_RSRC2:TIDIG_COMP_CNT: 0
; COMPUTE_PGM_RSRC3_GFX90A:ACCUM_OFFSET: 29
; COMPUTE_PGM_RSRC3_GFX90A:TG_SPLIT: 0
	.section	.text._ZN4vllm25paged_attention_v2_kernelIffLi128ELi32ELi128ELNS_18Fp8KVCacheDataTypeE0ELb0ELi512EEEvPfS2_PT_PKS3_PKT0_S9_ifPKiSB_iPKfiiiSD_SD_iiiii,"axG",@progbits,_ZN4vllm25paged_attention_v2_kernelIffLi128ELi32ELi128ELNS_18Fp8KVCacheDataTypeE0ELb0ELi512EEEvPfS2_PT_PKS3_PKT0_S9_ifPKiSB_iPKfiiiSD_SD_iiiii,comdat
	.protected	_ZN4vllm25paged_attention_v2_kernelIffLi128ELi32ELi128ELNS_18Fp8KVCacheDataTypeE0ELb0ELi512EEEvPfS2_PT_PKS3_PKT0_S9_ifPKiSB_iPKfiiiSD_SD_iiiii ; -- Begin function _ZN4vllm25paged_attention_v2_kernelIffLi128ELi32ELi128ELNS_18Fp8KVCacheDataTypeE0ELb0ELi512EEEvPfS2_PT_PKS3_PKT0_S9_ifPKiSB_iPKfiiiSD_SD_iiiii
	.globl	_ZN4vllm25paged_attention_v2_kernelIffLi128ELi32ELi128ELNS_18Fp8KVCacheDataTypeE0ELb0ELi512EEEvPfS2_PT_PKS3_PKT0_S9_ifPKiSB_iPKfiiiSD_SD_iiiii
	.p2align	8
	.type	_ZN4vllm25paged_attention_v2_kernelIffLi128ELi32ELi128ELNS_18Fp8KVCacheDataTypeE0ELb0ELi512EEEvPfS2_PT_PKS3_PKT0_S9_ifPKiSB_iPKfiiiSD_SD_iiiii,@function
_ZN4vllm25paged_attention_v2_kernelIffLi128ELi32ELi128ELNS_18Fp8KVCacheDataTypeE0ELb0ELi512EEEvPfS2_PT_PKS3_PKT0_S9_ifPKiSB_iPKfiiiSD_SD_iiiii: ; @_ZN4vllm25paged_attention_v2_kernelIffLi128ELi32ELi128ELNS_18Fp8KVCacheDataTypeE0ELb0ELi512EEEvPfS2_PT_PKS3_PKT0_S9_ifPKiSB_iPKfiiiSD_SD_iiiii
; %bb.0:
	s_load_dwordx2 s[6:7], s[0:1], 0x40
	s_mov_b32 s28, s3
	s_ashr_i32 s29, s3, 31
	s_lshl_b64 s[8:9], s[28:29], 2
	s_waitcnt lgkmcnt(0)
	s_add_u32 s6, s6, s8
	s_addc_u32 s7, s7, s9
	s_load_dword s29, s[6:7], 0x0
	s_lshl_b32 s33, s4, 9
	s_waitcnt lgkmcnt(0)
	s_cmp_ge_i32 s33, s29
	s_cbranch_scc1 .LBB60_101
; %bb.1:
	s_load_dword s5, s[0:1], 0x90
	s_load_dwordx2 s[38:39], s[0:1], 0x30
	s_waitcnt lgkmcnt(0)
	s_abs_i32 s7, s5
	s_abs_i32 s3, s38
	v_cvt_f32_u32_e32 v1, s3
	s_sub_i32 s8, 0, s3
	s_xor_b32 s6, s5, s38
	s_ashr_i32 s6, s6, 31
	v_rcp_iflag_f32_e32 v1, v1
	s_mov_b32 s38, 0
	v_mul_f32_e32 v1, 0x4f7ffffe, v1
	v_cvt_u32_f32_e32 v1, v1
	s_nop 0
	v_readfirstlane_b32 s9, v1
	s_mul_i32 s8, s8, s9
	s_mul_hi_u32 s8, s9, s8
	s_add_i32 s9, s9, s8
	s_mul_hi_u32 s8, s7, s9
	s_mul_i32 s9, s8, s3
	s_sub_i32 s7, s7, s9
	s_add_i32 s10, s8, 1
	s_sub_i32 s9, s7, s3
	s_cmp_ge_u32 s7, s3
	s_cselect_b32 s8, s10, s8
	s_cselect_b32 s7, s9, s7
	s_add_i32 s9, s8, 1
	s_cmp_ge_u32 s7, s3
	s_cselect_b32 s3, s9, s8
	s_xor_b32 s3, s3, s6
	s_sub_i32 s10, s3, s6
	s_abs_i32 s8, s10
	v_cvt_f32_u32_e32 v1, s8
	s_load_dwordx2 s[6:7], s[0:1], 0x50
	s_sub_i32 s3, 0, s8
	s_abs_i32 s9, s2
	v_rcp_iflag_f32_e32 v1, v1
	s_nop 0
	v_mul_f32_e32 v1, 0x4f7ffffe, v1
	v_cvt_u32_f32_e32 v1, v1
	s_nop 0
	v_readfirstlane_b32 s11, v1
	s_mul_i32 s3, s3, s11
	s_mul_hi_u32 s3, s11, s3
	s_add_i32 s11, s11, s3
	s_waitcnt lgkmcnt(0)
	s_cmp_eq_u64 s[6:7], 0
	s_mul_hi_u32 s12, s9, s11
	s_cbranch_scc1 .LBB60_3
; %bb.2:
	s_ashr_i32 s3, s2, 31
	s_lshl_b64 s[14:15], s[2:3], 2
	s_add_u32 s6, s6, s14
	s_addc_u32 s7, s7, s15
	s_load_dword s38, s[6:7], 0x0
.LBB60_3:
	s_load_dwordx4 s[16:19], s[0:1], 0x58
	s_ashr_i32 s13, s2, 31
	s_ashr_i32 s14, s10, 31
	v_and_b32_e32 v42, 1, v0
	s_lshl_b32 s24, s2, 7
	v_cmp_gt_u32_e64 s[10:11], 64, v0
	v_lshlrev_b32_e32 v2, 3, v0
	v_lshlrev_b32_e32 v88, 2, v0
	s_and_saveexec_b64 s[6:7], s[10:11]
	s_cbranch_execz .LBB60_5
; %bb.4:
	s_load_dwordx2 s[20:21], s[0:1], 0x18
	s_waitcnt lgkmcnt(0)
	s_mul_i32 s22, s28, s16
	s_ashr_i32 s23, s22, 31
	s_lshl_b64 s[22:23], s[22:23], 2
	v_and_b32_e32 v1, 0xff8, v88
	s_add_u32 s3, s20, s22
	s_addc_u32 s15, s21, s23
	s_ashr_i32 s25, s24, 31
	s_lshl_b64 s[20:21], s[24:25], 2
	s_add_u32 s20, s3, s20
	s_addc_u32 s21, s15, s21
	global_load_dwordx2 v[4:5], v2, s[20:21]
	v_lshl_add_u32 v1, v42, 8, v1
	s_waitcnt vmcnt(0)
	ds_write_b64 v1, v[4:5]
.LBB60_5:
	s_or_b64 exec, exec, s[6:7]
	s_add_i32 s3, s29, 31
	s_ashr_i32 s6, s3, 31
	s_lshr_b32 s6, s6, 27
	s_add_i32 s3, s3, s6
	s_ashr_i32 s44, s3, 5
	s_lshl_b32 s3, s4, 4
	s_mul_i32 s7, s12, s8
	s_add_i32 s6, s3, 16
	s_sub_i32 s7, s9, s7
	s_min_i32 s25, s6, s44
	s_xor_b32 s6, s13, s14
	s_add_i32 s9, s12, 1
	s_sub_i32 s13, s7, s8
	s_cmp_ge_u32 s7, s8
	s_cselect_b32 s9, s9, s12
	s_cselect_b32 s7, s13, s7
	s_add_i32 s12, s9, 1
	s_cmp_ge_u32 s7, s8
	s_load_dwordx2 s[30:31], s[0:1], 0x38
	s_load_dword s8, s[0:1], 0x48
	v_lshrrev_b32_e32 v90, 6, v0
	s_cselect_b32 s7, s12, s9
	s_xor_b32 s7, s7, s6
	v_or_b32_e32 v70, s3, v90
	s_waitcnt lgkmcnt(0)
	s_mul_i32 s34, s28, s8
	s_sub_i32 s12, s7, s6
	s_ashr_i32 s35, s34, 31
	v_cmp_gt_i32_e64 s[6:7], s25, v70
	v_cmp_le_i32_e32 vcc, s25, v70
	v_mbcnt_lo_u32_b32 v43, -1, 0
	s_barrier
	s_waitcnt lgkmcnt(0)
                                        ; implicit-def: $sgpr13
                                        ; implicit-def: $vgpr78
                                        ; implicit-def: $vgpr79
	s_and_saveexec_b64 s[8:9], vcc
	s_xor_b64 s[8:9], exec, s[8:9]
; %bb.6:
	v_mbcnt_hi_u32_b32 v78, -1, v43
	v_and_b32_e32 v1, 64, v78
	v_add_u32_e32 v79, 64, v1
	s_mov_b32 s13, 0xff7fffff
                                        ; implicit-def: $vgpr2
                                        ; implicit-def: $vgpr42
                                        ; implicit-def: $vgpr43
; %bb.7:
	s_or_saveexec_b64 s[40:41], s[8:9]
	s_load_dwordx4 s[20:23], s[0:1], 0x0
	s_load_dwordx2 s[26:27], s[0:1], 0x10
	s_load_dwordx2 s[36:37], s[0:1], 0x28
	s_load_dword s16, s[0:1], 0x98
	v_mov_b32_e32 v1, s13
	s_mul_i32 s18, s12, s18
	v_ashrrev_i32_e32 v71, 31, v70
	s_xor_b64 exec, exec, s[40:41]
	s_cbranch_execz .LBB60_13
; %bb.8:
	s_load_dwordx2 s[0:1], s[0:1], 0x20
	s_ashr_i32 s19, s18, 31
	s_lshl_b64 s[8:9], s[18:19], 2
	v_bfe_u32 v1, v0, 1, 5
	v_lshlrev_b32_e32 v4, 4, v1
	s_waitcnt lgkmcnt(0)
	s_add_u32 s0, s0, s8
	s_addc_u32 s1, s1, s9
	v_mov_b32_e32 v5, 0
	v_lshl_add_u64 v[6:7], s[0:1], 0, v[4:5]
	v_and_b32_e32 v4, 8, v2
	v_lshlrev_b32_e32 v62, 8, v42
	v_mbcnt_hi_u32_b32 v78, -1, v43
	v_lshl_add_u64 v[66:67], v[6:7], 0, v[4:5]
	ds_read_b128 v[2:5], v62
	ds_read_b128 v[6:9], v62 offset:16
	ds_read_b128 v[10:13], v62 offset:32
	;; [unrolled: 1-line block ×9, first 2 shown]
	v_and_b32_e32 v45, 64, v78
	v_xor_b32_e32 v43, 1, v78
	v_add_u32_e32 v79, 64, v45
	v_cmp_lt_i32_e32 vcc, v43, v79
	v_lshlrev_b32_e32 v44, 2, v1
	s_sub_i32 s19, 1, s29
	v_cndmask_b32_e32 v43, v78, v43, vcc
	v_cmp_eq_u32_e32 vcc, 0, v42
	v_lshlrev_b32_e32 v42, 5, v90
	v_lshlrev_b32_e32 v80, 2, v43
	v_add3_u32 v81, s33, v42, v1
	v_lshl_or_b32 v1, v90, 7, v44
	ds_read_b128 v[42:45], v62 offset:160
	ds_read_b128 v[46:49], v62 offset:176
	;; [unrolled: 1-line block ×6, first 2 shown]
	s_lshl_b64 s[0:1], s[34:35], 2
	s_add_u32 s0, s30, s0
	s_addc_u32 s1, s31, s1
	s_mov_b32 s45, s17
	v_cmp_neq_f32_e64 s[8:9], s38, 0
	v_add_u32_e32 v82, 0x210, v1
	v_lshl_add_u64 v[68:69], v[70:71], 2, s[0:1]
	s_mov_b64 s[42:43], 0
	v_mov_b32_e32 v1, 0xff7fffff
	s_movk_i32 s46, 0x1000
	s_movk_i32 s47, 0x2000
	;; [unrolled: 1-line block ×3, first 2 shown]
	v_mov_b32_e32 v83, v70
	s_branch .LBB60_10
.LBB60_9:                               ;   in Loop: Header=BB60_10 Depth=1
	s_or_b64 exec, exec, s[12:13]
	v_add_u32_e32 v83, 2, v83
	v_cmp_le_i32_e64 s[0:1], s25, v83
	v_add_u32_e32 v81, 64, v81
	v_add_u32_e32 v82, 0x100, v82
	s_or_b64 s[42:43], s[0:1], s[42:43]
	v_lshl_add_u64 v[68:69], v[68:69], 0, 8
	s_andn2_b64 exec, exec, s[42:43]
	s_cbranch_execz .LBB60_12
.LBB60_10:                              ; =>This Inner Loop Header: Depth=1
	global_load_dword v72, v[68:69], off
	s_waitcnt vmcnt(0) lgkmcnt(0)
	v_mad_i64_i32 v[72:73], s[0:1], v72, s45, 0
	v_lshl_add_u64 v[86:87], v[72:73], 2, v[66:67]
	global_load_dwordx2 v[72:73], v[86:87], off offset:512
	global_load_dwordx2 v[74:75], v[86:87], off
	global_load_dwordx2 v[92:93], v[86:87], off offset:1024
	global_load_dwordx2 v[94:95], v[86:87], off offset:1536
	;; [unrolled: 1-line block ×4, first 2 shown]
	v_add_co_u32_e64 v76, s[0:1], s46, v86
	s_waitcnt vmcnt(5) lgkmcnt(14)
	v_mul_f32_e32 v84, v4, v72
	v_mul_f32_e32 v85, v5, v73
	s_waitcnt vmcnt(4)
	v_fmac_f32_e32 v84, v2, v74
	v_fmac_f32_e32 v85, v3, v75
	v_add_co_u32_e64 v74, s[12:13], s47, v86
	s_waitcnt vmcnt(3)
	v_fmac_f32_e32 v84, v6, v92
	v_fmac_f32_e32 v85, v7, v93
	v_add_co_u32_e64 v72, s[14:15], s48, v86
	global_load_dwordx2 v[92:93], v[86:87], off offset:3072
	v_addc_co_u32_e64 v77, s[0:1], 0, v87, s[0:1]
	v_addc_co_u32_e64 v75, s[0:1], 0, v87, s[12:13]
	;; [unrolled: 1-line block ×3, first 2 shown]
	global_load_dwordx2 v[86:87], v[86:87], off offset:3584
	s_waitcnt vmcnt(4)
	v_fmac_f32_e32 v84, v8, v94
	v_fmac_f32_e32 v85, v9, v95
	global_load_dwordx2 v[94:95], v[74:75], off offset:-4096
	s_waitcnt vmcnt(4) lgkmcnt(13)
	v_fmac_f32_e32 v84, v10, v96
	v_fmac_f32_e32 v85, v11, v97
	global_load_dwordx2 v[96:97], v[76:77], off offset:512
	s_waitcnt vmcnt(4)
	v_fmac_f32_e32 v84, v12, v98
	v_fmac_f32_e32 v85, v13, v99
	s_waitcnt vmcnt(3) lgkmcnt(12)
	v_fmac_f32_e32 v84, v14, v92
	v_fmac_f32_e32 v85, v15, v93
	global_load_dwordx2 v[92:93], v[76:77], off offset:1024
	s_waitcnt vmcnt(3)
	v_fmac_f32_e32 v84, v16, v86
	v_fmac_f32_e32 v85, v17, v87
	global_load_dwordx2 v[86:87], v[76:77], off offset:1536
	s_waitcnt vmcnt(3) lgkmcnt(11)
	v_fmac_f32_e32 v84, v18, v94
	v_fmac_f32_e32 v85, v19, v95
	global_load_dwordx2 v[94:95], v[76:77], off offset:2048
	s_waitcnt vmcnt(3)
	v_fmac_f32_e32 v84, v20, v96
	v_fmac_f32_e32 v85, v21, v97
	global_load_dwordx2 v[96:97], v[76:77], off offset:2560
	s_waitcnt vmcnt(3) lgkmcnt(10)
	v_fmac_f32_e32 v84, v22, v92
	v_fmac_f32_e32 v85, v23, v93
	global_load_dwordx2 v[92:93], v[76:77], off offset:3072
	s_nop 0
	global_load_dwordx2 v[76:77], v[76:77], off offset:3584
	s_waitcnt vmcnt(4)
	v_fmac_f32_e32 v84, v24, v86
	v_fmac_f32_e32 v85, v25, v87
	global_load_dwordx2 v[86:87], v[74:75], off
	s_waitcnt vmcnt(4) lgkmcnt(9)
	v_fmac_f32_e32 v84, v26, v94
	v_fmac_f32_e32 v85, v27, v95
	global_load_dwordx2 v[94:95], v[74:75], off offset:512
	s_waitcnt vmcnt(4)
	v_fmac_f32_e32 v84, v28, v96
	v_fmac_f32_e32 v85, v29, v97
	global_load_dwordx2 v[96:97], v[74:75], off offset:1024
	s_waitcnt vmcnt(4) lgkmcnt(8)
	v_fmac_f32_e32 v84, v30, v92
	v_fmac_f32_e32 v85, v31, v93
	global_load_dwordx2 v[92:93], v[74:75], off offset:1536
	s_waitcnt vmcnt(4)
	v_fmac_f32_e32 v84, v32, v76
	v_fmac_f32_e32 v85, v33, v77
	global_load_dwordx2 v[76:77], v[74:75], off offset:2048
	;; [unrolled: 8-line block ×3, first 2 shown]
	s_nop 0
	global_load_dwordx2 v[74:75], v[74:75], off offset:3584
	s_waitcnt vmcnt(5) lgkmcnt(6)
	v_fmac_f32_e32 v84, v38, v96
	v_fmac_f32_e32 v85, v39, v97
	global_load_dwordx2 v[96:97], v[72:73], off
	s_waitcnt vmcnt(5)
	v_fmac_f32_e32 v84, v40, v92
	v_fmac_f32_e32 v85, v41, v93
	global_load_dwordx2 v[92:93], v[72:73], off offset:512
	s_waitcnt vmcnt(5) lgkmcnt(5)
	v_fmac_f32_e32 v84, v42, v76
	v_fmac_f32_e32 v85, v43, v77
	global_load_dwordx2 v[76:77], v[72:73], off offset:1024
	s_waitcnt vmcnt(5)
	v_fmac_f32_e32 v84, v44, v86
	v_fmac_f32_e32 v85, v45, v87
	global_load_dwordx2 v[86:87], v[72:73], off offset:1536
	s_waitcnt vmcnt(5) lgkmcnt(4)
	v_fmac_f32_e32 v84, v46, v94
	v_fmac_f32_e32 v85, v47, v95
	global_load_dwordx2 v[94:95], v[72:73], off offset:2048
	;; [unrolled: 8-line block ×3, first 2 shown]
	s_nop 0
	global_load_dwordx2 v[72:73], v[72:73], off offset:3584
	s_waitcnt vmcnt(6)
	v_fmac_f32_e32 v84, v52, v92
	v_fmac_f32_e32 v85, v53, v93
	s_waitcnt vmcnt(5) lgkmcnt(2)
	v_fmac_f32_e32 v84, v54, v76
	v_fmac_f32_e32 v85, v55, v77
	s_waitcnt vmcnt(4)
	v_fmac_f32_e32 v84, v56, v86
	v_fmac_f32_e32 v85, v57, v87
	s_waitcnt vmcnt(3) lgkmcnt(1)
	v_fmac_f32_e32 v84, v58, v94
	v_fmac_f32_e32 v85, v59, v95
	;; [unrolled: 6-line block ×3, first 2 shown]
	s_waitcnt vmcnt(0)
	v_fmac_f32_e32 v84, v64, v72
	v_fmac_f32_e32 v85, v65, v73
	v_add_f32_e32 v72, v84, v85
	ds_bpermute_b32 v73, v80, v72
	s_and_saveexec_b64 s[12:13], vcc
	s_cbranch_execz .LBB60_9
; %bb.11:                               ;   in Loop: Header=BB60_10 Depth=1
	v_add_u32_e32 v74, s19, v81
	v_cvt_f32_i32_e32 v74, v74
	s_waitcnt lgkmcnt(0)
	v_add_f32_e32 v72, v72, v73
	v_cmp_gt_i32_e64 s[0:1], s29, v81
	v_max_f32_e32 v73, v1, v1
	v_mul_f32_e32 v74, s38, v74
	v_cndmask_b32_e64 v74, 0, v74, s[8:9]
	v_fmac_f32_e32 v74, s39, v72
	v_cndmask_b32_e64 v72, 0, v74, s[0:1]
	ds_write_b32 v82, v72
	v_max_f32_e32 v72, v73, v74
	v_cndmask_b32_e64 v1, v1, v72, s[0:1]
	s_branch .LBB60_9
.LBB60_12:
	s_or_b64 exec, exec, s[42:43]
.LBB60_13:
	s_or_b64 exec, exec, s[40:41]
	v_xor_b32_e32 v2, 32, v78
	v_cmp_lt_i32_e32 vcc, v2, v79
	v_xor_b32_e32 v4, 16, v78
	v_xor_b32_e32 v5, 8, v78
	v_cndmask_b32_e32 v2, v78, v2, vcc
	v_lshlrev_b32_e32 v2, 2, v2
	ds_bpermute_b32 v3, v2, v1
	v_max_f32_e32 v1, v1, v1
	v_cmp_lt_i32_e32 vcc, v4, v79
	v_xor_b32_e32 v6, 4, v78
	s_waitcnt lgkmcnt(0)
	v_max_f32_e32 v3, v3, v3
	v_max_f32_e32 v1, v1, v3
	v_cndmask_b32_e32 v3, v78, v4, vcc
	v_lshlrev_b32_e32 v3, 2, v3
	ds_bpermute_b32 v4, v3, v1
	v_cmp_lt_i32_e32 vcc, v5, v79
	s_waitcnt lgkmcnt(0)
	v_max_f32_e32 v4, v4, v4
	v_max_f32_e32 v1, v1, v4
	v_cndmask_b32_e32 v4, v78, v5, vcc
	v_lshlrev_b32_e32 v5, 2, v4
	ds_bpermute_b32 v4, v5, v1
	v_cmp_lt_i32_e32 vcc, v6, v79
	s_waitcnt lgkmcnt(0)
	v_max_f32_e32 v4, v4, v4
	v_max_f32_e32 v1, v1, v4
	v_cndmask_b32_e32 v4, v78, v6, vcc
	v_lshlrev_b32_e32 v117, 2, v4
	ds_bpermute_b32 v4, v117, v1
	v_xor_b32_e32 v6, 2, v78
	v_cmp_lt_i32_e32 vcc, v6, v79
	s_waitcnt lgkmcnt(0)
	v_max_f32_e32 v4, v4, v4
	v_max_f32_e32 v4, v1, v4
	v_cndmask_b32_e32 v1, v78, v6, vcc
	v_lshlrev_b32_e32 v116, 2, v1
	ds_bpermute_b32 v7, v116, v4
	v_and_b32_e32 v1, 63, v0
	v_cmp_eq_u32_e32 vcc, 0, v1
	v_lshlrev_b32_e32 v6, 2, v90
	s_and_saveexec_b64 s[0:1], vcc
	s_cbranch_execz .LBB60_15
; %bb.14:
	s_waitcnt lgkmcnt(0)
	v_max_f32_e32 v7, v7, v7
	v_max_f32_e32 v4, v4, v4
	;; [unrolled: 1-line block ×3, first 2 shown]
	ds_write_b32 v6, v4 offset:512
.LBB60_15:
	s_or_b64 exec, exec, s[0:1]
	v_cmp_gt_u32_e64 s[0:1], 2, v1
	v_mov_b32_e32 v4, 0xff7fffff
	s_waitcnt lgkmcnt(0)
	v_lshlrev_b32_e32 v7, 2, v1
	s_barrier
	s_and_saveexec_b64 s[8:9], s[0:1]
	s_cbranch_execz .LBB60_17
; %bb.16:
	ds_read_b32 v4, v7 offset:512
.LBB60_17:
	s_or_b64 exec, exec, s[8:9]
	v_xor_b32_e32 v8, 1, v78
	v_cmp_lt_i32_e64 s[8:9], v8, v79
	s_sub_i32 s3, s25, s3
	s_lshl_b32 s3, s3, 5
	v_cndmask_b32_e64 v8, v78, v8, s[8:9]
	v_lshlrev_b32_e32 v118, 2, v8
	s_waitcnt lgkmcnt(0)
	ds_bpermute_b32 v8, v118, v4
	v_max_f32_e32 v4, v4, v4
	s_add_i32 s3, s3, s33
	s_min_i32 s19, s3, s29
	s_sub_i32 s3, s19, s33
	s_waitcnt lgkmcnt(0)
	v_max_f32_e32 v8, v8, v8
	v_max_f32_e32 v4, v4, v8
	v_lshlrev_b32_e32 v8, 2, v78
	v_and_b32_e32 v8, 0xffffff00, v8
	ds_bpermute_b32 v4, v8, v4
	v_cmp_gt_i32_e64 s[8:9], s3, v0
	v_mov_b32_e32 v9, 0
	s_and_saveexec_b64 s[14:15], s[8:9]
	s_cbranch_execz .LBB60_21
; %bb.18:
	v_mov_b32_e32 v9, 0x210
	v_lshl_add_u32 v10, v0, 2, v9
	s_mov_b64 s[38:39], 0
	v_mov_b32_e32 v9, 0
	v_mov_b32_e32 v11, v0
.LBB60_19:                              ; =>This Inner Loop Header: Depth=1
	ds_read_b32 v12, v10
	v_add_u32_e32 v11, 0x80, v11
	v_cmp_le_i32_e64 s[12:13], s3, v11
	s_or_b64 s[38:39], s[12:13], s[38:39]
	s_waitcnt lgkmcnt(0)
	v_sub_f32_e32 v12, v12, v4
	v_mul_f32_e32 v12, 0x3fb8aa3b, v12
	v_exp_f32_e32 v12, v12
	ds_write_b32 v10, v12
	v_add_f32_e32 v9, v9, v12
	v_add_u32_e32 v10, 0x200, v10
	s_andn2_b64 exec, exec, s[38:39]
	s_cbranch_execnz .LBB60_19
; %bb.20:
	s_or_b64 exec, exec, s[38:39]
.LBB60_21:
	s_or_b64 exec, exec, s[14:15]
	ds_bpermute_b32 v2, v2, v9
	s_waitcnt lgkmcnt(0)
	v_add_f32_e32 v2, v9, v2
	ds_bpermute_b32 v3, v3, v2
	s_waitcnt lgkmcnt(0)
	v_add_f32_e32 v2, v2, v3
	;; [unrolled: 3-line block ×6, first 2 shown]
	s_and_saveexec_b64 s[12:13], vcc
	s_cbranch_execz .LBB60_23
; %bb.22:
	ds_write_b32 v6, v2 offset:520
.LBB60_23:
	s_or_b64 exec, exec, s[12:13]
	s_waitcnt lgkmcnt(0)
	s_barrier
	s_and_saveexec_b64 s[12:13], s[0:1]
	s_cbranch_execz .LBB60_25
; %bb.24:
	ds_read_b32 v2, v7 offset:520
.LBB60_25:
	s_or_b64 exec, exec, s[12:13]
	s_waitcnt lgkmcnt(0)
	ds_bpermute_b32 v3, v118, v2
	s_waitcnt lgkmcnt(0)
	v_add_f32_e32 v2, v2, v3
	ds_bpermute_b32 v5, v8, v2
	s_and_saveexec_b64 s[0:1], s[8:9]
	s_cbranch_execz .LBB60_38
; %bb.26:
	s_waitcnt lgkmcnt(0)
	v_add_f32_e32 v2, 0x358637bd, v5
	v_div_scale_f32 v3, s[8:9], v2, v2, 1.0
	v_rcp_f32_e32 v6, v3
	v_div_scale_f32 v7, vcc, 1.0, v2, 1.0
	s_movk_i32 s8, 0x7f
	v_fma_f32 v8, -v3, v6, 1.0
	v_fmac_f32_e32 v6, v8, v6
	v_mul_f32_e32 v8, v7, v6
	v_fma_f32 v9, -v3, v8, v7
	v_fmac_f32_e32 v8, v9, v6
	v_fma_f32 v3, -v3, v8, v7
	v_div_fmas_f32 v3, v3, v6, v8
	v_div_fixup_f32 v2, v3, v2, 1.0
	v_xad_u32 v3, v0, -1, s19
	v_subrev_u32_e32 v6, s33, v3
	v_cmp_lt_u32_e32 vcc, s8, v6
	s_mov_b64 s[12:13], -1
	v_mov_b32_e32 v3, v0
	s_and_saveexec_b64 s[8:9], vcc
	s_cbranch_execz .LBB60_35
; %bb.27:
	v_lshrrev_b32_e32 v6, 7, v6
	v_add_u32_e32 v8, -1, v6
	v_lshrrev_b32_e32 v7, 1, v8
	v_mov_b32_e32 v3, v2
	v_add_u32_e32 v7, 1, v7
	v_cmp_lt_u32_e32 vcc, 13, v8
	v_mov_b32_e32 v10, 0
	s_and_saveexec_b64 s[12:13], vcc
	s_cbranch_execz .LBB60_31
; %bb.28:
	v_mov_b32_e32 v9, 0x210
	v_and_b32_e32 v8, -8, v7
	v_lshl_add_u32 v9, v0, 2, v9
	s_mov_b32 s19, 0
	s_mov_b64 s[14:15], 0
.LBB60_29:                              ; =>This Inner Loop Header: Depth=1
	ds_read2st64_b32 v[10:11], v9 offset1:2
	ds_read2st64_b32 v[12:13], v9 offset0:4 offset1:6
	ds_read2st64_b32 v[14:15], v9 offset0:8 offset1:10
	;; [unrolled: 1-line block ×3, first 2 shown]
	v_add_u32_e32 v8, -8, v8
	s_waitcnt lgkmcnt(3)
	v_pk_mul_f32 v[10:11], v[2:3], v[10:11]
	s_waitcnt lgkmcnt(2)
	v_pk_mul_f32 v[12:13], v[2:3], v[12:13]
	ds_write2st64_b32 v9, v10, v11 offset1:2
	ds_write2st64_b32 v9, v12, v13 offset0:4 offset1:6
	ds_read2st64_b32 v[12:13], v9 offset0:16 offset1:18
	s_waitcnt lgkmcnt(4)
	v_pk_mul_f32 v[10:11], v[2:3], v[14:15]
	ds_write2st64_b32 v9, v10, v11 offset0:8 offset1:10
	s_waitcnt lgkmcnt(4)
	v_pk_mul_f32 v[10:11], v[2:3], v[16:17]
	ds_write2st64_b32 v9, v10, v11 offset0:12 offset1:14
	ds_read2st64_b32 v[10:11], v9 offset0:20 offset1:22
	s_waitcnt lgkmcnt(3)
	v_pk_mul_f32 v[12:13], v[2:3], v[12:13]
	ds_read2st64_b32 v[14:15], v9 offset0:24 offset1:26
	ds_write2st64_b32 v9, v12, v13 offset0:16 offset1:18
	ds_read2st64_b32 v[12:13], v9 offset0:28 offset1:30
	s_waitcnt lgkmcnt(3)
	v_pk_mul_f32 v[10:11], v[2:3], v[10:11]
	ds_write2st64_b32 v9, v10, v11 offset0:20 offset1:22
	s_waitcnt lgkmcnt(3)
	v_pk_mul_f32 v[10:11], v[2:3], v[14:15]
	ds_write2st64_b32 v9, v10, v11 offset0:24 offset1:26
	s_waitcnt lgkmcnt(2)
	v_pk_mul_f32 v[10:11], v[2:3], v[12:13]
	s_add_i32 s19, s19, 16
	v_cmp_eq_u32_e32 vcc, 0, v8
	ds_write2st64_b32 v9, v10, v11 offset0:28 offset1:30
	v_add_u32_e32 v9, 0x2000, v9
	s_or_b64 s[14:15], vcc, s[14:15]
	v_mov_b32_e32 v10, s19
	s_andn2_b64 exec, exec, s[14:15]
	s_cbranch_execnz .LBB60_29
; %bb.30:
	s_or_b64 exec, exec, s[14:15]
.LBB60_31:
	s_or_b64 exec, exec, s[12:13]
	v_and_b32_e32 v7, 7, v7
	v_cmp_ne_u32_e32 vcc, 0, v7
	s_and_saveexec_b64 s[12:13], vcc
	s_cbranch_execz .LBB60_34
; %bb.32:
	v_lshlrev_b32_e32 v8, 9, v10
	s_movk_i32 s14, 0x210
	v_add3_u32 v8, v8, v88, s14
	s_mov_b64 s[14:15], 0
.LBB60_33:                              ; =>This Inner Loop Header: Depth=1
	ds_read2st64_b32 v[10:11], v8 offset1:2
	v_add_u32_e32 v7, -1, v7
	v_cmp_eq_u32_e32 vcc, 0, v7
	s_or_b64 s[14:15], vcc, s[14:15]
	s_waitcnt lgkmcnt(0)
	v_pk_mul_f32 v[10:11], v[2:3], v[10:11]
	ds_write2st64_b32 v8, v10, v11 offset1:2
	v_add_u32_e32 v8, 0x400, v8
	s_andn2_b64 exec, exec, s[14:15]
	s_cbranch_execnz .LBB60_33
.LBB60_34:
	s_or_b64 exec, exec, s[12:13]
	v_add_u32_e32 v6, 1, v6
	v_and_b32_e32 v7, 0x3fffffe, v6
	v_cmp_ne_u32_e32 vcc, v6, v7
	v_lshl_add_u32 v3, v7, 7, v0
	s_orn2_b64 s[12:13], vcc, exec
.LBB60_35:
	s_or_b64 exec, exec, s[8:9]
	s_and_b64 exec, exec, s[12:13]
	s_cbranch_execz .LBB60_38
; %bb.36:
	v_mov_b32_e32 v6, 0x210
	v_lshl_add_u32 v6, v3, 2, v6
	s_mov_b64 s[8:9], 0
.LBB60_37:                              ; =>This Inner Loop Header: Depth=1
	ds_read_b32 v7, v6
	v_add_u32_e32 v3, 0x80, v3
	v_cmp_le_i32_e32 vcc, s3, v3
	s_or_b64 s[8:9], vcc, s[8:9]
	s_waitcnt lgkmcnt(0)
	v_mul_f32_e32 v7, v2, v7
	ds_write_b32 v6, v7
	v_add_u32_e32 v6, 0x200, v6
	s_andn2_b64 exec, exec, s[8:9]
	s_cbranch_execnz .LBB60_37
.LBB60_38:
	s_or_b64 exec, exec, s[0:1]
	s_mul_i32 s0, s16, s28
	v_cmp_eq_u32_e32 vcc, 0, v0
	s_mul_i32 s8, s0, s5
	s_waitcnt lgkmcnt(0)
	s_barrier
	s_and_saveexec_b64 s[0:1], vcc
	s_cbranch_execz .LBB60_40
; %bb.39:
	s_ashr_i32 s9, s8, 31
	s_lshl_b64 s[12:13], s[8:9], 2
	s_add_u32 s5, s22, s12
	s_mul_i32 s2, s16, s2
	s_addc_u32 s9, s23, s13
	s_ashr_i32 s3, s2, 31
	s_lshl_b64 s[2:3], s[2:3], 2
	s_add_u32 s19, s5, s2
	s_addc_u32 s9, s9, s3
	s_ashr_i32 s5, s4, 31
	s_lshl_b64 s[14:15], s[4:5], 2
	s_add_u32 s22, s19, s14
	s_addc_u32 s23, s9, s15
	s_add_u32 s5, s20, s12
	s_addc_u32 s9, s21, s13
	;; [unrolled: 2-line block ×3, first 2 shown]
	s_add_u32 s2, s2, s14
	v_mov_b32_e32 v2, 0
	s_addc_u32 s3, s3, s15
	global_store_dword v2, v4, s[22:23]
	global_store_dword v2, v5, s[2:3]
.LBB60_40:
	s_or_b64 exec, exec, s[0:1]
	v_mov_b32_e32 v86, 0
	v_and_b32_e32 v119, 7, v0
	v_mov_b32_e32 v87, 0
	v_mov_b32_e32 v84, 0
	;; [unrolled: 1-line block ×15, first 2 shown]
	s_and_saveexec_b64 s[2:3], s[6:7]
	s_cbranch_execz .LBB60_76
; %bb.41:
	s_ashr_i32 s19, s18, 31
	s_lshl_b64 s[0:1], s[18:19], 2
	s_add_u32 s6, s36, s0
	v_and_b32_e32 v3, 28, v88
	s_addc_u32 s7, s37, s1
	s_add_i32 s44, s44, -1
	v_lshl_add_u32 v5, v90, 5, s33
	s_lshl_b64 s[0:1], s[34:35], 2
	v_and_b32_e32 v2, 0xfc, v88
	v_add3_u32 v120, v5, v3, 3
	v_lshlrev_b32_e32 v3, 4, v119
	s_add_u32 s0, s30, s0
	v_mov_b32_e32 v89, 0
	v_or_b32_e32 v4, 0x400, v2
	v_or_b32_e32 v6, 0x500, v2
	;; [unrolled: 1-line block ×12, first 2 shown]
	v_lshl_or_b32 v3, v90, 7, v3
	s_addc_u32 s1, s31, s1
	s_mov_b32 s5, s17
	v_add_u32_e32 v121, 0x210, v3
	v_lshl_add_u64 v[90:91], v[70:71], 2, s[0:1]
	s_mov_b64 s[12:13], 0
	v_lshlrev_b32_e32 v92, 2, v2
	v_lshlrev_b32_e32 v88, 2, v4
	;; [unrolled: 1-line block ×13, first 2 shown]
	v_mov_b32_e32 v93, v89
	v_mov_b32_e32 v73, v89
	;; [unrolled: 1-line block ×17, first 2 shown]
	s_branch .LBB60_43
.LBB60_42:                              ;   in Loop: Header=BB60_43 Depth=1
	s_or_b64 exec, exec, s[0:1]
	s_waitcnt vmcnt(1) lgkmcnt(0)
	v_mul_f32_e32 v67, v3, v67
	v_mul_f32_e32 v63, v3, v63
	;; [unrolled: 1-line block ×15, first 2 shown]
	s_waitcnt vmcnt(0)
	v_mul_f32_e32 v3, v3, v59
	v_fmac_f32_e32 v67, v2, v66
	v_fmac_f32_e32 v63, v2, v62
	;; [unrolled: 1-line block ×32, first 2 shown]
	v_add_u32_e32 v70, 2, v70
	v_fmac_f32_e32 v67, v5, v69
	v_fmac_f32_e32 v63, v5, v65
	;; [unrolled: 1-line block ×16, first 2 shown]
	v_cmp_le_i32_e32 vcc, s25, v70
	v_add_f32_e32 v72, v72, v67
	v_add_f32_e32 v75, v75, v63
	;; [unrolled: 1-line block ×16, first 2 shown]
	v_add_u32_e32 v120, 64, v120
	v_add_u32_e32 v121, 0x100, v121
	s_or_b64 s[12:13], vcc, s[12:13]
	v_lshl_add_u64 v[90:91], v[90:91], 0, 8
	s_andn2_b64 exec, exec, s[12:13]
	s_cbranch_execz .LBB60_75
.LBB60_43:                              ; =>This Inner Loop Header: Depth=1
	global_load_dword v2, v[90:91], off
	v_add_u32_e32 v71, -3, v120
	v_cmp_eq_u32_e32 vcc, s44, v70
	v_add_u32_e32 v123, -2, v120
	v_add_u32_e32 v122, -1, v120
	s_waitcnt vmcnt(0)
	v_mad_i64_i32 v[2:3], s[0:1], v2, s5, 0
	v_lshl_add_u64 v[58:59], v[2:3], 2, s[6:7]
	v_lshl_add_u64 v[18:19], v[58:59], 0, v[92:93]
	global_load_dwordx4 v[6:9], v[18:19], off
	ds_read_b128 v[2:5], v121
	s_and_saveexec_b64 s[14:15], vcc
	s_cbranch_execnz .LBB60_72
; %bb.44:                               ;   in Loop: Header=BB60_43 Depth=1
	s_or_b64 exec, exec, s[14:15]
	global_load_dwordx4 v[10:13], v[18:19], off offset:1024
	s_and_saveexec_b64 s[14:15], vcc
	s_cbranch_execnz .LBB60_73
.LBB60_45:                              ;   in Loop: Header=BB60_43 Depth=1
	s_or_b64 exec, exec, s[14:15]
	global_load_dwordx4 v[14:17], v[18:19], off offset:2048
	s_and_saveexec_b64 s[14:15], vcc
	s_cbranch_execnz .LBB60_74
.LBB60_46:                              ;   in Loop: Header=BB60_43 Depth=1
	s_or_b64 exec, exec, s[14:15]
	global_load_dwordx4 v[18:21], v[18:19], off offset:3072
	s_and_saveexec_b64 s[14:15], vcc
	s_cbranch_execz .LBB60_48
.LBB60_47:                              ;   in Loop: Header=BB60_43 Depth=1
	v_cmp_gt_i32_e64 s[0:1], s29, v71
	s_waitcnt vmcnt(0)
	s_nop 0
	v_cndmask_b32_e64 v18, 0, v18, s[0:1]
	v_cmp_gt_i32_e64 s[0:1], s29, v123
	s_nop 1
	v_cndmask_b32_e64 v19, 0, v19, s[0:1]
	v_cmp_gt_i32_e64 s[0:1], s29, v122
	;; [unrolled: 3-line block ×3, first 2 shown]
	s_nop 1
	v_cndmask_b32_e64 v21, 0, v21, s[0:1]
.LBB60_48:                              ;   in Loop: Header=BB60_43 Depth=1
	s_or_b64 exec, exec, s[14:15]
	v_lshl_add_u64 v[22:23], v[58:59], 0, v[88:89]
	global_load_dwordx4 v[22:25], v[22:23], off
	s_and_saveexec_b64 s[14:15], vcc
	s_cbranch_execz .LBB60_50
; %bb.49:                               ;   in Loop: Header=BB60_43 Depth=1
	v_cmp_gt_i32_e64 s[0:1], s29, v71
	s_waitcnt vmcnt(0)
	s_nop 0
	v_cndmask_b32_e64 v22, 0, v22, s[0:1]
	v_cmp_gt_i32_e64 s[0:1], s29, v123
	s_nop 1
	v_cndmask_b32_e64 v23, 0, v23, s[0:1]
	v_cmp_gt_i32_e64 s[0:1], s29, v122
	s_nop 1
	v_cndmask_b32_e64 v24, 0, v24, s[0:1]
	v_cmp_gt_i32_e64 s[0:1], s29, v120
	s_nop 1
	v_cndmask_b32_e64 v25, 0, v25, s[0:1]
.LBB60_50:                              ;   in Loop: Header=BB60_43 Depth=1
	s_or_b64 exec, exec, s[14:15]
	v_mov_b32_e32 v95, v89
	v_lshl_add_u64 v[26:27], v[58:59], 0, v[94:95]
	global_load_dwordx4 v[26:29], v[26:27], off
	s_and_saveexec_b64 s[14:15], vcc
	s_cbranch_execz .LBB60_52
; %bb.51:                               ;   in Loop: Header=BB60_43 Depth=1
	v_cmp_gt_i32_e64 s[0:1], s29, v71
	s_waitcnt vmcnt(0)
	s_nop 0
	v_cndmask_b32_e64 v26, 0, v26, s[0:1]
	v_cmp_gt_i32_e64 s[0:1], s29, v123
	s_nop 1
	v_cndmask_b32_e64 v27, 0, v27, s[0:1]
	v_cmp_gt_i32_e64 s[0:1], s29, v122
	s_nop 1
	v_cndmask_b32_e64 v28, 0, v28, s[0:1]
	v_cmp_gt_i32_e64 s[0:1], s29, v120
	s_nop 1
	v_cndmask_b32_e64 v29, 0, v29, s[0:1]
.LBB60_52:                              ;   in Loop: Header=BB60_43 Depth=1
	s_or_b64 exec, exec, s[14:15]
	v_mov_b32_e32 v97, v89
	;; [unrolled: 21-line block ×11, first 2 shown]
	v_lshl_add_u64 v[58:59], v[58:59], 0, v[114:115]
	global_load_dwordx4 v[58:61], v[58:59], off
	s_and_saveexec_b64 s[0:1], vcc
	s_cbranch_execz .LBB60_42
; %bb.71:                               ;   in Loop: Header=BB60_43 Depth=1
	v_cmp_gt_i32_e32 vcc, s29, v71
	s_waitcnt vmcnt(0)
	s_nop 0
	v_cndmask_b32_e32 v58, 0, v58, vcc
	v_cmp_gt_i32_e32 vcc, s29, v123
	s_nop 1
	v_cndmask_b32_e32 v59, 0, v59, vcc
	v_cmp_gt_i32_e32 vcc, s29, v122
	;; [unrolled: 3-line block ×3, first 2 shown]
	s_nop 1
	v_cndmask_b32_e32 v61, 0, v61, vcc
	s_branch .LBB60_42
.LBB60_72:                              ;   in Loop: Header=BB60_43 Depth=1
	v_cmp_gt_i32_e64 s[0:1], s29, v71
	s_waitcnt vmcnt(0)
	s_nop 0
	v_cndmask_b32_e64 v6, 0, v6, s[0:1]
	v_cmp_gt_i32_e64 s[0:1], s29, v123
	s_nop 1
	v_cndmask_b32_e64 v7, 0, v7, s[0:1]
	v_cmp_gt_i32_e64 s[0:1], s29, v122
	s_nop 1
	v_cndmask_b32_e64 v8, 0, v8, s[0:1]
	v_cmp_gt_i32_e64 s[0:1], s29, v120
	s_nop 1
	v_cndmask_b32_e64 v9, 0, v9, s[0:1]
	s_or_b64 exec, exec, s[14:15]
	global_load_dwordx4 v[10:13], v[18:19], off offset:1024
	s_and_saveexec_b64 s[14:15], vcc
	s_cbranch_execz .LBB60_45
.LBB60_73:                              ;   in Loop: Header=BB60_43 Depth=1
	v_cmp_gt_i32_e64 s[0:1], s29, v71
	s_waitcnt vmcnt(0)
	s_nop 0
	v_cndmask_b32_e64 v10, 0, v10, s[0:1]
	v_cmp_gt_i32_e64 s[0:1], s29, v123
	s_nop 1
	v_cndmask_b32_e64 v11, 0, v11, s[0:1]
	v_cmp_gt_i32_e64 s[0:1], s29, v122
	;; [unrolled: 3-line block ×3, first 2 shown]
	s_nop 1
	v_cndmask_b32_e64 v13, 0, v13, s[0:1]
	s_or_b64 exec, exec, s[14:15]
	global_load_dwordx4 v[14:17], v[18:19], off offset:2048
	s_and_saveexec_b64 s[14:15], vcc
	s_cbranch_execz .LBB60_46
.LBB60_74:                              ;   in Loop: Header=BB60_43 Depth=1
	v_cmp_gt_i32_e64 s[0:1], s29, v71
	s_waitcnt vmcnt(0)
	s_nop 0
	v_cndmask_b32_e64 v14, 0, v14, s[0:1]
	v_cmp_gt_i32_e64 s[0:1], s29, v123
	s_nop 1
	v_cndmask_b32_e64 v15, 0, v15, s[0:1]
	v_cmp_gt_i32_e64 s[0:1], s29, v122
	;; [unrolled: 3-line block ×3, first 2 shown]
	s_nop 1
	v_cndmask_b32_e64 v17, 0, v17, s[0:1]
	s_or_b64 exec, exec, s[14:15]
	global_load_dwordx4 v[18:21], v[18:19], off offset:3072
	s_and_saveexec_b64 s[14:15], vcc
	s_cbranch_execnz .LBB60_47
	s_branch .LBB60_48
.LBB60_75:
	s_or_b64 exec, exec, s[12:13]
.LBB60_76:
	s_or_b64 exec, exec, s[2:3]
	ds_bpermute_b32 v4, v117, v84
	ds_bpermute_b32 v5, v117, v85
	;; [unrolled: 1-line block ×6, first 2 shown]
	s_waitcnt lgkmcnt(4)
	v_pk_add_f32 v[4:5], v[84:85], v[4:5]
	ds_bpermute_b32 v8, v116, v4
	ds_bpermute_b32 v9, v116, v5
	s_waitcnt lgkmcnt(4)
	v_pk_add_f32 v[2:3], v[86:87], v[2:3]
	ds_bpermute_b32 v6, v116, v2
	ds_bpermute_b32 v7, v116, v3
	;; [unrolled: 1-line block ×3, first 2 shown]
	s_waitcnt lgkmcnt(3)
	v_pk_add_f32 v[4:5], v[4:5], v[8:9]
	v_pk_add_f32 v[8:9], v[82:83], v[10:11]
	ds_bpermute_b32 v10, v116, v8
	ds_bpermute_b32 v11, v116, v9
	ds_bpermute_b32 v15, v117, v81
	s_waitcnt lgkmcnt(4)
	v_pk_add_f32 v[2:3], v[2:3], v[6:7]
	ds_bpermute_b32 v6, v118, v2
	ds_bpermute_b32 v7, v118, v3
	s_waitcnt lgkmcnt(3)
	v_pk_add_f32 v[8:9], v[8:9], v[10:11]
	s_waitcnt lgkmcnt(2)
	v_pk_add_f32 v[14:15], v[80:81], v[14:15]
	ds_bpermute_b32 v10, v118, v8
	ds_bpermute_b32 v11, v118, v9
	;; [unrolled: 1-line block ×4, first 2 shown]
	s_waitcnt lgkmcnt(4)
	v_pk_add_f32 v[6:7], v[2:3], v[6:7]
	ds_bpermute_b32 v20, v117, v74
	s_waitcnt lgkmcnt(3)
	v_pk_add_f32 v[2:3], v[8:9], v[10:11]
	ds_bpermute_b32 v10, v117, v78
	;; [unrolled: 3-line block ×3, first 2 shown]
	ds_bpermute_b32 v15, v117, v77
	ds_bpermute_b32 v11, v117, v79
	;; [unrolled: 1-line block ×5, first 2 shown]
	s_waitcnt lgkmcnt(4)
	v_pk_add_f32 v[14:15], v[76:77], v[14:15]
	ds_bpermute_b32 v18, v116, v14
	ds_bpermute_b32 v19, v116, v15
	s_waitcnt lgkmcnt(5)
	v_pk_add_f32 v[10:11], v[78:79], v[10:11]
	ds_bpermute_b32 v16, v116, v10
	ds_bpermute_b32 v17, v116, v11
	ds_bpermute_b32 v12, v118, v4
	ds_bpermute_b32 v13, v118, v5
	s_waitcnt lgkmcnt(4)
	v_pk_add_f32 v[18:19], v[14:15], v[18:19]
	v_pk_add_f32 v[14:15], v[74:75], v[20:21]
	ds_bpermute_b32 v20, v116, v14
	ds_bpermute_b32 v21, v116, v15
	s_waitcnt lgkmcnt(4)
	v_pk_add_f32 v[10:11], v[10:11], v[16:17]
	v_pk_add_f32 v[24:25], v[72:73], v[24:25]
	s_waitcnt lgkmcnt(2)
	v_pk_add_f32 v[4:5], v[4:5], v[12:13]
	ds_bpermute_b32 v12, v118, v8
	ds_bpermute_b32 v13, v118, v9
	;; [unrolled: 1-line block ×8, first 2 shown]
	s_waitcnt lgkmcnt(8)
	v_pk_add_f32 v[20:21], v[14:15], v[20:21]
	ds_bpermute_b32 v26, v118, v20
	ds_bpermute_b32 v27, v118, v21
	s_waitcnt lgkmcnt(8)
	v_pk_add_f32 v[14:15], v[8:9], v[12:13]
	s_waitcnt lgkmcnt(6)
	v_pk_add_f32 v[12:13], v[10:11], v[16:17]
	;; [unrolled: 2-line block ×4, first 2 shown]
	ds_bpermute_b32 v18, v118, v16
	ds_bpermute_b32 v19, v118, v17
	s_waitcnt lgkmcnt(2)
	v_pk_add_f32 v[8:9], v[20:21], v[26:27]
	v_and_b32_e32 v20, 0x3c7, v0
	v_cmp_ne_u32_e32 vcc, 64, v20
	s_waitcnt lgkmcnt(0)
	s_barrier
	s_and_saveexec_b64 s[0:1], vcc
	s_xor_b64 s[0:1], exec, s[0:1]
; %bb.77:
                                        ; implicit-def: $vgpr1
; %bb.78:
	s_or_saveexec_b64 s[0:1], s[0:1]
	v_pk_add_f32 v[16:17], v[16:17], v[18:19]
	s_xor_b64 exec, exec, s[0:1]
	s_cbranch_execz .LBB60_80
; %bb.79:
	v_lshrrev_b32_e32 v1, 1, v1
	v_add_u32_e32 v1, 0x210, v1
	ds_write2_b32 v1, v6, v7 offset1:8
	ds_write2_b32 v1, v4, v5 offset0:16 offset1:24
	ds_write2_b32 v1, v2, v3 offset0:32 offset1:40
	;; [unrolled: 1-line block ×7, first 2 shown]
.LBB60_80:
	s_or_b64 exec, exec, s[0:1]
	s_waitcnt lgkmcnt(0)
	s_barrier
	s_and_saveexec_b64 s[0:1], s[10:11]
	s_cbranch_execz .LBB60_99
; %bb.81:
	v_cmp_eq_u32_e32 vcc, 0, v119
	v_lshrrev_b32_e32 v1, 3, v0
	s_and_saveexec_b64 s[2:3], vcc
	s_cbranch_execnz .LBB60_102
; %bb.82:
	s_or_b64 exec, exec, s[2:3]
	s_and_saveexec_b64 s[2:3], vcc
	s_cbranch_execnz .LBB60_103
.LBB60_83:
	s_or_b64 exec, exec, s[2:3]
	s_and_saveexec_b64 s[2:3], vcc
	s_cbranch_execnz .LBB60_104
.LBB60_84:
	s_or_b64 exec, exec, s[2:3]
	s_and_saveexec_b64 s[2:3], vcc
	s_cbranch_execnz .LBB60_105
.LBB60_85:
	s_or_b64 exec, exec, s[2:3]
	s_and_saveexec_b64 s[2:3], vcc
	s_cbranch_execnz .LBB60_106
.LBB60_86:
	s_or_b64 exec, exec, s[2:3]
	s_and_saveexec_b64 s[2:3], vcc
	s_cbranch_execnz .LBB60_107
.LBB60_87:
	s_or_b64 exec, exec, s[2:3]
	s_and_saveexec_b64 s[2:3], vcc
	s_cbranch_execnz .LBB60_108
.LBB60_88:
	s_or_b64 exec, exec, s[2:3]
	s_and_saveexec_b64 s[2:3], vcc
	s_cbranch_execnz .LBB60_109
.LBB60_89:
	s_or_b64 exec, exec, s[2:3]
	s_and_saveexec_b64 s[2:3], vcc
	s_cbranch_execnz .LBB60_110
.LBB60_90:
	s_or_b64 exec, exec, s[2:3]
	s_and_saveexec_b64 s[2:3], vcc
	s_cbranch_execnz .LBB60_111
.LBB60_91:
	s_or_b64 exec, exec, s[2:3]
	s_and_saveexec_b64 s[2:3], vcc
	s_cbranch_execnz .LBB60_112
.LBB60_92:
	s_or_b64 exec, exec, s[2:3]
	s_and_saveexec_b64 s[2:3], vcc
	s_cbranch_execnz .LBB60_113
.LBB60_93:
	s_or_b64 exec, exec, s[2:3]
	s_and_saveexec_b64 s[2:3], vcc
	s_cbranch_execnz .LBB60_114
.LBB60_94:
	s_or_b64 exec, exec, s[2:3]
	s_and_saveexec_b64 s[2:3], vcc
	s_cbranch_execnz .LBB60_115
.LBB60_95:
	s_or_b64 exec, exec, s[2:3]
	s_and_saveexec_b64 s[2:3], vcc
	s_cbranch_execnz .LBB60_116
.LBB60_96:
	s_or_b64 exec, exec, s[2:3]
	s_and_saveexec_b64 s[2:3], vcc
	s_cbranch_execz .LBB60_98
.LBB60_97:
	v_mov_b32_e32 v18, 0x210
	v_lshl_add_u32 v1, v1, 2, v18
	ds_read_b32 v1, v1 offset:480
	s_waitcnt lgkmcnt(0)
	v_add_f32_e32 v17, v17, v1
.LBB60_98:
	s_or_b64 exec, exec, s[2:3]
.LBB60_99:
	s_or_b64 exec, exec, s[0:1]
	v_cmp_eq_u32_e32 vcc, 0, v20
	s_barrier
	s_and_saveexec_b64 s[0:1], vcc
	s_cbranch_execz .LBB60_101
; %bb.100:
	s_lshl_b32 s0, s8, 7
	s_ashr_i32 s1, s0, 31
	s_lshl_b64 s[0:1], s[0:1], 2
	s_add_u32 s2, s26, s0
	s_mul_i32 s0, s16, s24
	s_addc_u32 s3, s27, s1
	s_ashr_i32 s1, s0, 31
	s_lshl_b64 s[0:1], s[0:1], 2
	s_add_u32 s2, s2, s0
	s_addc_u32 s3, s3, s1
	s_lshl_b32 s0, s4, 7
	s_ashr_i32 s1, s0, 31
	s_lshl_b64 s[0:1], s[0:1], 2
	s_add_u32 s0, s2, s0
	s_addc_u32 s1, s3, s1
	v_lshrrev_b32_e32 v0, 1, v0
	global_store_dword v0, v6, s[0:1]
	global_store_dword v0, v7, s[0:1] offset:32
	global_store_dword v0, v4, s[0:1] offset:64
	;; [unrolled: 1-line block ×15, first 2 shown]
.LBB60_101:
	s_endpgm
.LBB60_102:
	v_mov_b32_e32 v18, 0x210
	v_lshl_add_u32 v18, v1, 2, v18
	ds_read_b32 v18, v18
	s_waitcnt lgkmcnt(0)
	v_add_f32_e32 v6, v6, v18
	s_or_b64 exec, exec, s[2:3]
	s_and_saveexec_b64 s[2:3], vcc
	s_cbranch_execz .LBB60_83
.LBB60_103:
	v_mov_b32_e32 v18, 0x210
	v_lshl_add_u32 v18, v1, 2, v18
	ds_read_b32 v18, v18 offset:32
	s_waitcnt lgkmcnt(0)
	v_add_f32_e32 v7, v7, v18
	s_or_b64 exec, exec, s[2:3]
	s_and_saveexec_b64 s[2:3], vcc
	s_cbranch_execz .LBB60_84
.LBB60_104:
	v_mov_b32_e32 v18, 0x210
	v_lshl_add_u32 v18, v1, 2, v18
	ds_read_b32 v18, v18 offset:64
	s_waitcnt lgkmcnt(0)
	v_add_f32_e32 v4, v4, v18
	s_or_b64 exec, exec, s[2:3]
	s_and_saveexec_b64 s[2:3], vcc
	s_cbranch_execz .LBB60_85
.LBB60_105:
	v_mov_b32_e32 v18, 0x210
	v_lshl_add_u32 v18, v1, 2, v18
	ds_read_b32 v18, v18 offset:96
	s_waitcnt lgkmcnt(0)
	v_add_f32_e32 v5, v5, v18
	s_or_b64 exec, exec, s[2:3]
	s_and_saveexec_b64 s[2:3], vcc
	s_cbranch_execz .LBB60_86
.LBB60_106:
	v_mov_b32_e32 v18, 0x210
	v_lshl_add_u32 v18, v1, 2, v18
	ds_read_b32 v18, v18 offset:128
	s_waitcnt lgkmcnt(0)
	v_add_f32_e32 v2, v2, v18
	s_or_b64 exec, exec, s[2:3]
	s_and_saveexec_b64 s[2:3], vcc
	s_cbranch_execz .LBB60_87
.LBB60_107:
	v_mov_b32_e32 v18, 0x210
	v_lshl_add_u32 v18, v1, 2, v18
	ds_read_b32 v18, v18 offset:160
	s_waitcnt lgkmcnt(0)
	v_add_f32_e32 v3, v3, v18
	s_or_b64 exec, exec, s[2:3]
	s_and_saveexec_b64 s[2:3], vcc
	s_cbranch_execz .LBB60_88
.LBB60_108:
	v_mov_b32_e32 v18, 0x210
	v_lshl_add_u32 v18, v1, 2, v18
	ds_read_b32 v18, v18 offset:192
	s_waitcnt lgkmcnt(0)
	v_add_f32_e32 v14, v14, v18
	s_or_b64 exec, exec, s[2:3]
	s_and_saveexec_b64 s[2:3], vcc
	s_cbranch_execz .LBB60_89
.LBB60_109:
	v_mov_b32_e32 v18, 0x210
	v_lshl_add_u32 v18, v1, 2, v18
	ds_read_b32 v18, v18 offset:224
	s_waitcnt lgkmcnt(0)
	v_add_f32_e32 v15, v15, v18
	s_or_b64 exec, exec, s[2:3]
	s_and_saveexec_b64 s[2:3], vcc
	s_cbranch_execz .LBB60_90
.LBB60_110:
	v_mov_b32_e32 v18, 0x210
	v_lshl_add_u32 v18, v1, 2, v18
	ds_read_b32 v18, v18 offset:256
	s_waitcnt lgkmcnt(0)
	v_add_f32_e32 v12, v12, v18
	s_or_b64 exec, exec, s[2:3]
	s_and_saveexec_b64 s[2:3], vcc
	s_cbranch_execz .LBB60_91
.LBB60_111:
	v_mov_b32_e32 v18, 0x210
	v_lshl_add_u32 v18, v1, 2, v18
	ds_read_b32 v18, v18 offset:288
	s_waitcnt lgkmcnt(0)
	v_add_f32_e32 v13, v13, v18
	s_or_b64 exec, exec, s[2:3]
	s_and_saveexec_b64 s[2:3], vcc
	s_cbranch_execz .LBB60_92
.LBB60_112:
	v_mov_b32_e32 v18, 0x210
	v_lshl_add_u32 v18, v1, 2, v18
	ds_read_b32 v18, v18 offset:320
	s_waitcnt lgkmcnt(0)
	v_add_f32_e32 v10, v10, v18
	s_or_b64 exec, exec, s[2:3]
	s_and_saveexec_b64 s[2:3], vcc
	s_cbranch_execz .LBB60_93
.LBB60_113:
	v_mov_b32_e32 v18, 0x210
	v_lshl_add_u32 v18, v1, 2, v18
	ds_read_b32 v18, v18 offset:352
	s_waitcnt lgkmcnt(0)
	v_add_f32_e32 v11, v11, v18
	s_or_b64 exec, exec, s[2:3]
	s_and_saveexec_b64 s[2:3], vcc
	s_cbranch_execz .LBB60_94
.LBB60_114:
	v_mov_b32_e32 v18, 0x210
	v_lshl_add_u32 v18, v1, 2, v18
	ds_read_b32 v18, v18 offset:384
	s_waitcnt lgkmcnt(0)
	v_add_f32_e32 v8, v8, v18
	s_or_b64 exec, exec, s[2:3]
	s_and_saveexec_b64 s[2:3], vcc
	s_cbranch_execz .LBB60_95
.LBB60_115:
	v_mov_b32_e32 v18, 0x210
	v_lshl_add_u32 v18, v1, 2, v18
	ds_read_b32 v18, v18 offset:416
	s_waitcnt lgkmcnt(0)
	v_add_f32_e32 v9, v9, v18
	s_or_b64 exec, exec, s[2:3]
	s_and_saveexec_b64 s[2:3], vcc
	s_cbranch_execz .LBB60_96
.LBB60_116:
	v_mov_b32_e32 v18, 0x210
	v_lshl_add_u32 v18, v1, 2, v18
	ds_read_b32 v18, v18 offset:448
	s_waitcnt lgkmcnt(0)
	v_add_f32_e32 v16, v16, v18
	s_or_b64 exec, exec, s[2:3]
	s_and_saveexec_b64 s[2:3], vcc
	s_cbranch_execnz .LBB60_97
	s_branch .LBB60_98
	.section	.rodata,"a",@progbits
	.p2align	6, 0x0
	.amdhsa_kernel _ZN4vllm25paged_attention_v2_kernelIffLi128ELi32ELi128ELNS_18Fp8KVCacheDataTypeE0ELb0ELi512EEEvPfS2_PT_PKS3_PKT0_S9_ifPKiSB_iPKfiiiSD_SD_iiiii
		.amdhsa_group_segment_fixed_size 528
		.amdhsa_private_segment_fixed_size 0
		.amdhsa_kernarg_size 400
		.amdhsa_user_sgpr_count 2
		.amdhsa_user_sgpr_dispatch_ptr 0
		.amdhsa_user_sgpr_queue_ptr 0
		.amdhsa_user_sgpr_kernarg_segment_ptr 1
		.amdhsa_user_sgpr_dispatch_id 0
		.amdhsa_user_sgpr_kernarg_preload_length 0
		.amdhsa_user_sgpr_kernarg_preload_offset 0
		.amdhsa_user_sgpr_private_segment_size 0
		.amdhsa_uses_dynamic_stack 0
		.amdhsa_enable_private_segment 0
		.amdhsa_system_sgpr_workgroup_id_x 1
		.amdhsa_system_sgpr_workgroup_id_y 1
		.amdhsa_system_sgpr_workgroup_id_z 1
		.amdhsa_system_sgpr_workgroup_info 0
		.amdhsa_system_vgpr_workitem_id 0
		.amdhsa_next_free_vgpr 124
		.amdhsa_next_free_sgpr 49
		.amdhsa_accum_offset 124
		.amdhsa_reserve_vcc 1
		.amdhsa_float_round_mode_32 0
		.amdhsa_float_round_mode_16_64 0
		.amdhsa_float_denorm_mode_32 3
		.amdhsa_float_denorm_mode_16_64 3
		.amdhsa_dx10_clamp 1
		.amdhsa_ieee_mode 1
		.amdhsa_fp16_overflow 0
		.amdhsa_tg_split 0
		.amdhsa_exception_fp_ieee_invalid_op 0
		.amdhsa_exception_fp_denorm_src 0
		.amdhsa_exception_fp_ieee_div_zero 0
		.amdhsa_exception_fp_ieee_overflow 0
		.amdhsa_exception_fp_ieee_underflow 0
		.amdhsa_exception_fp_ieee_inexact 0
		.amdhsa_exception_int_div_zero 0
	.end_amdhsa_kernel
	.section	.text._ZN4vllm25paged_attention_v2_kernelIffLi128ELi32ELi128ELNS_18Fp8KVCacheDataTypeE0ELb0ELi512EEEvPfS2_PT_PKS3_PKT0_S9_ifPKiSB_iPKfiiiSD_SD_iiiii,"axG",@progbits,_ZN4vllm25paged_attention_v2_kernelIffLi128ELi32ELi128ELNS_18Fp8KVCacheDataTypeE0ELb0ELi512EEEvPfS2_PT_PKS3_PKT0_S9_ifPKiSB_iPKfiiiSD_SD_iiiii,comdat
.Lfunc_end60:
	.size	_ZN4vllm25paged_attention_v2_kernelIffLi128ELi32ELi128ELNS_18Fp8KVCacheDataTypeE0ELb0ELi512EEEvPfS2_PT_PKS3_PKT0_S9_ifPKiSB_iPKfiiiSD_SD_iiiii, .Lfunc_end60-_ZN4vllm25paged_attention_v2_kernelIffLi128ELi32ELi128ELNS_18Fp8KVCacheDataTypeE0ELb0ELi512EEEvPfS2_PT_PKS3_PKT0_S9_ifPKiSB_iPKfiiiSD_SD_iiiii
                                        ; -- End function
	.section	.AMDGPU.csdata,"",@progbits
; Kernel info:
; codeLenInByte = 7924
; NumSgprs: 55
; NumVgprs: 124
; NumAgprs: 0
; TotalNumVgprs: 124
; ScratchSize: 0
; MemoryBound: 0
; FloatMode: 240
; IeeeMode: 1
; LDSByteSize: 528 bytes/workgroup (compile time only)
; SGPRBlocks: 6
; VGPRBlocks: 15
; NumSGPRsForWavesPerEU: 55
; NumVGPRsForWavesPerEU: 124
; AccumOffset: 124
; Occupancy: 4
; WaveLimiterHint : 1
; COMPUTE_PGM_RSRC2:SCRATCH_EN: 0
; COMPUTE_PGM_RSRC2:USER_SGPR: 2
; COMPUTE_PGM_RSRC2:TRAP_HANDLER: 0
; COMPUTE_PGM_RSRC2:TGID_X_EN: 1
; COMPUTE_PGM_RSRC2:TGID_Y_EN: 1
; COMPUTE_PGM_RSRC2:TGID_Z_EN: 1
; COMPUTE_PGM_RSRC2:TIDIG_COMP_CNT: 0
; COMPUTE_PGM_RSRC3_GFX90A:ACCUM_OFFSET: 30
; COMPUTE_PGM_RSRC3_GFX90A:TG_SPLIT: 0
	.section	.text._ZN4vllm25paged_attention_v2_kernelIffLi192ELi32ELi128ELNS_18Fp8KVCacheDataTypeE0ELb0ELi512EEEvPfS2_PT_PKS3_PKT0_S9_ifPKiSB_iPKfiiiSD_SD_iiiii,"axG",@progbits,_ZN4vllm25paged_attention_v2_kernelIffLi192ELi32ELi128ELNS_18Fp8KVCacheDataTypeE0ELb0ELi512EEEvPfS2_PT_PKS3_PKT0_S9_ifPKiSB_iPKfiiiSD_SD_iiiii,comdat
	.protected	_ZN4vllm25paged_attention_v2_kernelIffLi192ELi32ELi128ELNS_18Fp8KVCacheDataTypeE0ELb0ELi512EEEvPfS2_PT_PKS3_PKT0_S9_ifPKiSB_iPKfiiiSD_SD_iiiii ; -- Begin function _ZN4vllm25paged_attention_v2_kernelIffLi192ELi32ELi128ELNS_18Fp8KVCacheDataTypeE0ELb0ELi512EEEvPfS2_PT_PKS3_PKT0_S9_ifPKiSB_iPKfiiiSD_SD_iiiii
	.globl	_ZN4vllm25paged_attention_v2_kernelIffLi192ELi32ELi128ELNS_18Fp8KVCacheDataTypeE0ELb0ELi512EEEvPfS2_PT_PKS3_PKT0_S9_ifPKiSB_iPKfiiiSD_SD_iiiii
	.p2align	8
	.type	_ZN4vllm25paged_attention_v2_kernelIffLi192ELi32ELi128ELNS_18Fp8KVCacheDataTypeE0ELb0ELi512EEEvPfS2_PT_PKS3_PKT0_S9_ifPKiSB_iPKfiiiSD_SD_iiiii,@function
_ZN4vllm25paged_attention_v2_kernelIffLi192ELi32ELi128ELNS_18Fp8KVCacheDataTypeE0ELb0ELi512EEEvPfS2_PT_PKS3_PKT0_S9_ifPKiSB_iPKfiiiSD_SD_iiiii: ; @_ZN4vllm25paged_attention_v2_kernelIffLi192ELi32ELi128ELNS_18Fp8KVCacheDataTypeE0ELb0ELi512EEEvPfS2_PT_PKS3_PKT0_S9_ifPKiSB_iPKfiiiSD_SD_iiiii
; %bb.0:
	s_load_dwordx2 s[6:7], s[0:1], 0x40
	s_mov_b32 s30, s3
	s_ashr_i32 s31, s3, 31
	s_lshl_b64 s[8:9], s[30:31], 2
	s_waitcnt lgkmcnt(0)
	s_add_u32 s6, s6, s8
	s_addc_u32 s7, s7, s9
	s_load_dword s31, s[6:7], 0x0
	s_lshl_b32 s33, s4, 9
	s_waitcnt lgkmcnt(0)
	s_cmp_ge_i32 s33, s31
	s_cbranch_scc1 .LBB61_125
; %bb.1:
	s_load_dword s5, s[0:1], 0x90
	s_load_dwordx2 s[40:41], s[0:1], 0x30
	v_mov_b32_e32 v36, v0
	s_mov_b32 s46, 0
	s_waitcnt lgkmcnt(0)
	s_abs_i32 s7, s5
	s_abs_i32 s3, s40
	v_cvt_f32_u32_e32 v0, s3
	s_sub_i32 s8, 0, s3
	s_xor_b32 s6, s5, s40
	s_ashr_i32 s6, s6, 31
	v_rcp_iflag_f32_e32 v0, v0
	s_nop 0
	v_mul_f32_e32 v0, 0x4f7ffffe, v0
	v_cvt_u32_f32_e32 v0, v0
	s_nop 0
	v_readfirstlane_b32 s9, v0
	s_mul_i32 s8, s8, s9
	s_mul_hi_u32 s8, s9, s8
	s_add_i32 s9, s9, s8
	s_mul_hi_u32 s8, s7, s9
	s_mul_i32 s9, s8, s3
	s_sub_i32 s7, s7, s9
	s_add_i32 s10, s8, 1
	s_sub_i32 s9, s7, s3
	s_cmp_ge_u32 s7, s3
	s_cselect_b32 s8, s10, s8
	s_cselect_b32 s7, s9, s7
	s_add_i32 s9, s8, 1
	s_cmp_ge_u32 s7, s3
	s_cselect_b32 s3, s9, s8
	s_xor_b32 s3, s3, s6
	s_sub_i32 s12, s3, s6
	s_abs_i32 s8, s12
	v_cvt_f32_u32_e32 v0, s8
	s_load_dwordx2 s[6:7], s[0:1], 0x50
	s_sub_i32 s3, 0, s8
	s_abs_i32 s9, s2
	v_rcp_iflag_f32_e32 v0, v0
	s_nop 0
	v_mul_f32_e32 v0, 0x4f7ffffe, v0
	v_cvt_u32_f32_e32 v0, v0
	s_nop 0
	v_readfirstlane_b32 s10, v0
	s_mul_i32 s3, s3, s10
	s_mul_hi_u32 s3, s10, s3
	s_add_i32 s10, s10, s3
	s_waitcnt lgkmcnt(0)
	s_cmp_eq_u64 s[6:7], 0
	s_mul_hi_u32 s10, s9, s10
	s_cbranch_scc1 .LBB61_3
; %bb.2:
	s_ashr_i32 s3, s2, 31
	s_lshl_b64 s[14:15], s[2:3], 2
	s_add_u32 s6, s6, s14
	s_addc_u32 s7, s7, s15
	s_load_dword s46, s[6:7], 0x0
.LBB61_3:
	s_load_dwordx4 s[20:23], s[0:1], 0x58
	s_movk_i32 s3, 0x60
	s_ashr_i32 s11, s2, 31
	s_ashr_i32 s12, s12, 31
	v_and_b32_e32 v42, 1, v36
	s_mul_i32 s18, s2, 0xc0
	v_cmp_gt_u32_e32 vcc, s3, v36
	v_lshlrev_b32_e32 v0, 3, v36
	v_lshlrev_b32_e32 v17, 2, v36
	s_and_saveexec_b64 s[6:7], vcc
	s_cbranch_execz .LBB61_5
; %bb.4:
	s_load_dwordx2 s[14:15], s[0:1], 0x18
	s_waitcnt lgkmcnt(0)
	s_mul_i32 s16, s30, s20
	s_ashr_i32 s17, s16, 31
	s_lshl_b64 s[16:17], s[16:17], 2
	v_and_b32_e32 v1, 0xff8, v17
	s_add_u32 s3, s14, s16
	s_addc_u32 s13, s15, s17
	s_ashr_i32 s19, s18, 31
	s_lshl_b64 s[14:15], s[18:19], 2
	s_add_u32 s14, s3, s14
	s_addc_u32 s15, s13, s15
	global_load_dwordx2 v[2:3], v0, s[14:15]
	s_movk_i32 s3, 0x180
	v_mad_u32_u24 v1, v42, s3, v1
	s_waitcnt vmcnt(0)
	ds_write_b64 v1, v[2:3]
.LBB61_5:
	s_or_b64 exec, exec, s[6:7]
	s_add_i32 s3, s31, 31
	s_ashr_i32 s6, s3, 31
	s_lshr_b32 s6, s6, 27
	s_add_i32 s3, s3, s6
	s_ashr_i32 s40, s3, 5
	s_lshl_b32 s3, s4, 4
	s_mul_i32 s7, s10, s8
	s_add_i32 s6, s3, 16
	s_sub_i32 s7, s9, s7
	s_waitcnt lgkmcnt(0)
	s_min_i32 s20, s6, s40
	s_xor_b32 s6, s11, s12
	s_add_i32 s9, s10, 1
	s_sub_i32 s11, s7, s8
	s_cmp_ge_u32 s7, s8
	s_cselect_b32 s9, s9, s10
	s_cselect_b32 s7, s11, s7
	s_add_i32 s10, s9, 1
	s_cmp_ge_u32 s7, s8
	s_load_dwordx2 s[34:35], s[0:1], 0x38
	s_load_dword s8, s[0:1], 0x48
	v_lshrrev_b32_e32 v47, 6, v36
	s_cselect_b32 s7, s10, s9
	s_xor_b32 s7, s7, s6
	v_or_b32_e32 v82, s3, v47
	s_waitcnt lgkmcnt(0)
	s_mul_i32 s36, s30, s8
	s_sub_i32 s10, s7, s6
	s_ashr_i32 s37, s36, 31
	v_cmp_gt_i32_e64 s[8:9], s20, v82
	v_cmp_le_i32_e32 vcc, s20, v82
	v_mbcnt_lo_u32_b32 v43, -1, 0
	s_barrier
	s_waitcnt lgkmcnt(0)
                                        ; implicit-def: $sgpr11
                                        ; implicit-def: $vgpr123
                                        ; implicit-def: $vgpr7
	s_and_saveexec_b64 s[6:7], vcc
	s_xor_b64 s[6:7], exec, s[6:7]
; %bb.6:
	v_mbcnt_hi_u32_b32 v123, -1, v43
	v_and_b32_e32 v0, 64, v123
	v_add_u32_e32 v7, 64, v0
	s_mov_b32 s11, 0xff7fffff
                                        ; implicit-def: $vgpr0
                                        ; implicit-def: $vgpr42
                                        ; implicit-def: $vgpr43
; %bb.7:
	s_or_saveexec_b64 s[42:43], s[6:7]
	s_load_dwordx4 s[24:27], s[0:1], 0x0
	s_load_dwordx2 s[28:29], s[0:1], 0x10
	s_load_dwordx2 s[38:39], s[0:1], 0x28
	s_load_dword s19, s[0:1], 0x98
	v_mov_b32_e32 v116, s11
	s_mul_i32 s22, s10, s22
	v_ashrrev_i32_e32 v83, 31, v82
	scratch_store_dword off, v36, off offset:196 ; 4-byte Folded Spill
	s_xor_b64 exec, exec, s[42:43]
	s_cbranch_execz .LBB61_13
; %bb.8:
	s_load_dwordx2 s[0:1], s[0:1], 0x20
	s_ashr_i32 s23, s22, 31
	v_mbcnt_hi_u32_b32 v123, -1, v43
	s_lshl_b64 s[6:7], s[22:23], 2
	v_and_b32_e32 v46, 64, v123
	v_bfe_u32 v44, v36, 1, 5
	s_waitcnt lgkmcnt(0)
	s_add_u32 s0, s0, s6
	v_xor_b32_e32 v43, 1, v123
	v_add_u32_e32 v46, 64, v46
	s_addc_u32 s1, s1, s7
	v_lshlrev_b32_e32 v2, 4, v44
	v_mov_b32_e32 v3, 0
	v_cmp_lt_i32_e32 vcc, v43, v46
	scratch_store_dword off, v17, off       ; 4-byte Folded Spill
	v_lshlrev_b32_e32 v45, 2, v44
	v_lshl_add_u64 v[4:5], s[0:1], 0, v[2:3]
	v_and_b32_e32 v2, 8, v0
	v_mul_u32_u24_e32 v94, 0x180, v42
	v_cndmask_b32_e32 v43, v123, v43, vcc
	v_cmp_eq_u32_e32 vcc, 0, v42
	v_lshlrev_b32_e32 v42, 5, v47
	v_lshl_add_u64 v[0:1], v[4:5], 0, v[2:3]
	ds_read_b128 v[2:5], v94
	ds_read_b128 v[6:9], v94 offset:16
	ds_read_b128 v[10:13], v94 offset:32
	;; [unrolled: 1-line block ×9, first 2 shown]
	scratch_store_dword off, v46, off offset:32 ; 4-byte Folded Spill
	v_add3_u32 v118, s33, v42, v44
	scratch_store_dword off, v47, off offset:24 ; 4-byte Folded Spill
	v_lshl_or_b32 v42, v47, 7, v45
	v_lshlrev_b32_e32 v117, 2, v43
	v_add_u32_e32 v119, 0x310, v42
	ds_read_b128 v[42:45], v94 offset:160
	ds_read_b128 v[46:49], v94 offset:176
	;; [unrolled: 1-line block ×10, first 2 shown]
	s_sub_i32 s23, 1, s31
	s_lshl_b64 s[0:1], s[36:37], 2
	s_add_u32 s0, s34, s0
	s_addc_u32 s1, s35, s1
	v_lshl_add_u64 v[98:99], v[82:83], 2, s[0:1]
	v_mov_b64_e32 v[100:101], v[82:83]
	ds_read_b128 v[82:85], v94 offset:320
	ds_read_b128 v[86:89], v94 offset:336
	;; [unrolled: 1-line block ×4, first 2 shown]
	s_mov_b32 s47, s21
	v_cmp_neq_f32_e64 s[6:7], s46, 0
	s_mov_b64 s[44:45], 0
	v_mov_b32_e32 v116, 0xff7fffff
	s_movk_i32 s48, 0x1000
	s_movk_i32 s49, 0x2000
	;; [unrolled: 1-line block ×5, first 2 shown]
	v_mov_b32_e32 v120, v100
	scratch_store_dwordx2 off, v[100:101], off offset:16 ; 8-byte Folded Spill
	s_branch .LBB61_10
.LBB61_9:                               ;   in Loop: Header=BB61_10 Depth=1
	s_or_b64 exec, exec, s[10:11]
	v_add_u32_e32 v120, 2, v120
	v_cmp_le_i32_e64 s[0:1], s20, v120
	v_add_u32_e32 v118, 64, v118
	v_add_u32_e32 v119, 0x100, v119
	s_or_b64 s[44:45], s[0:1], s[44:45]
	v_lshl_add_u64 v[98:99], v[98:99], 0, 8
	s_andn2_b64 exec, exec, s[44:45]
	s_cbranch_execz .LBB61_12
.LBB61_10:                              ; =>This Inner Loop Header: Depth=1
	global_load_dword v100, v[98:99], off
	s_waitcnt vmcnt(0) lgkmcnt(0)
	v_mad_i64_i32 v[100:101], s[0:1], v100, s47, 0
	v_lshl_add_u64 v[108:109], v[100:101], 2, v[0:1]
	global_load_dwordx2 v[100:101], v[108:109], off offset:512
	global_load_dwordx2 v[102:103], v[108:109], off
	global_load_dwordx2 v[104:105], v[108:109], off offset:1024
	global_load_dwordx2 v[110:111], v[108:109], off offset:1536
	;; [unrolled: 1-line block ×4, first 2 shown]
	v_add_co_u32_e64 v114, s[0:1], s48, v108
	v_add_co_u32_e64 v106, s[10:11], s49, v108
	global_load_dwordx2 v[126:127], v[108:109], off offset:3072
	v_addc_co_u32_e64 v115, s[0:1], 0, v109, s[0:1]
	v_addc_co_u32_e64 v107, s[0:1], 0, v109, s[10:11]
	s_waitcnt vmcnt(6) lgkmcnt(14)
	v_mul_f32_e32 v121, v4, v100
	v_mul_f32_e32 v122, v5, v101
	s_waitcnt vmcnt(5)
	v_fmac_f32_e32 v121, v2, v102
	v_fmac_f32_e32 v122, v3, v103
	s_waitcnt vmcnt(4)
	v_fmac_f32_e32 v121, v6, v104
	v_fmac_f32_e32 v122, v7, v105
	v_add_co_u32_e64 v104, s[12:13], s50, v108
	v_add_co_u32_e64 v102, s[14:15], s51, v108
	v_add_co_u32_e64 v100, s[16:17], s52, v108
	s_waitcnt vmcnt(3)
	v_fmac_f32_e32 v121, v8, v110
	v_fmac_f32_e32 v122, v9, v111
	global_load_dwordx2 v[110:111], v[106:107], off offset:-4096
	v_addc_co_u32_e64 v105, s[0:1], 0, v109, s[12:13]
	v_addc_co_u32_e64 v103, s[0:1], 0, v109, s[14:15]
	;; [unrolled: 1-line block ×3, first 2 shown]
	global_load_dwordx2 v[108:109], v[108:109], off offset:3584
	s_waitcnt vmcnt(4)
	v_fmac_f32_e32 v121, v10, v112
	v_fmac_f32_e32 v122, v11, v113
	s_waitcnt vmcnt(3)
	v_fmac_f32_e32 v121, v12, v124
	v_fmac_f32_e32 v122, v13, v125
	;; [unrolled: 3-line block ×4, first 2 shown]
	global_load_dwordx2 v[108:109], v[114:115], off offset:512
	v_fmac_f32_e32 v121, v18, v110
	v_fmac_f32_e32 v122, v19, v111
	global_load_dwordx2 v[110:111], v[114:115], off offset:1024
	s_waitcnt vmcnt(1)
	v_fmac_f32_e32 v121, v20, v108
	v_fmac_f32_e32 v122, v21, v109
	global_load_dwordx2 v[108:109], v[114:115], off offset:1536
	s_waitcnt vmcnt(1)
	;; [unrolled: 4-line block ×4, first 2 shown]
	v_fmac_f32_e32 v121, v26, v110
	v_fmac_f32_e32 v122, v27, v111
	global_load_dwordx2 v[110:111], v[114:115], off offset:3072
	global_load_dwordx2 v[112:113], v[114:115], off offset:3584
	s_waitcnt vmcnt(2)
	v_fmac_f32_e32 v121, v28, v108
	v_fmac_f32_e32 v122, v29, v109
	global_load_dwordx2 v[108:109], v[106:107], off
	s_waitcnt vmcnt(2)
	v_fmac_f32_e32 v121, v30, v110
	v_fmac_f32_e32 v122, v31, v111
	global_load_dwordx2 v[110:111], v[106:107], off offset:512
	s_waitcnt vmcnt(2)
	v_fmac_f32_e32 v121, v32, v112
	v_fmac_f32_e32 v122, v33, v113
	global_load_dwordx2 v[112:113], v[106:107], off offset:1024
	;; [unrolled: 4-line block ×6, first 2 shown]
	s_nop 0
	global_load_dwordx2 v[106:107], v[106:107], off offset:3584
	s_waitcnt vmcnt(3) lgkmcnt(13)
	v_fmac_f32_e32 v121, v42, v110
	v_fmac_f32_e32 v122, v43, v111
	global_load_dwordx2 v[110:111], v[102:103], off offset:-4096
	s_waitcnt vmcnt(3)
	v_fmac_f32_e32 v121, v44, v112
	v_fmac_f32_e32 v122, v45, v113
	global_load_dwordx2 v[112:113], v[104:105], off offset:512
	s_waitcnt vmcnt(3) lgkmcnt(12)
	v_fmac_f32_e32 v121, v46, v108
	v_fmac_f32_e32 v122, v47, v109
	global_load_dwordx2 v[108:109], v[104:105], off offset:1024
	s_waitcnt vmcnt(3)
	v_fmac_f32_e32 v121, v48, v106
	v_fmac_f32_e32 v122, v49, v107
	global_load_dwordx2 v[106:107], v[104:105], off offset:1536
	s_waitcnt vmcnt(3) lgkmcnt(11)
	v_fmac_f32_e32 v121, v50, v110
	v_fmac_f32_e32 v122, v51, v111
	global_load_dwordx2 v[110:111], v[104:105], off offset:2048
	;; [unrolled: 8-line block ×3, first 2 shown]
	s_nop 0
	global_load_dwordx2 v[104:105], v[104:105], off offset:3584
	s_waitcnt vmcnt(4)
	v_fmac_f32_e32 v121, v56, v106
	v_fmac_f32_e32 v122, v57, v107
	global_load_dwordx2 v[106:107], v[102:103], off
	s_waitcnt vmcnt(4) lgkmcnt(9)
	v_fmac_f32_e32 v121, v58, v110
	v_fmac_f32_e32 v122, v59, v111
	global_load_dwordx2 v[110:111], v[102:103], off offset:512
	s_waitcnt vmcnt(4)
	v_fmac_f32_e32 v121, v60, v112
	v_fmac_f32_e32 v122, v61, v113
	global_load_dwordx2 v[112:113], v[102:103], off offset:1024
	s_waitcnt vmcnt(4) lgkmcnt(8)
	v_fmac_f32_e32 v121, v62, v108
	v_fmac_f32_e32 v122, v63, v109
	global_load_dwordx2 v[108:109], v[102:103], off offset:1536
	s_waitcnt vmcnt(4)
	v_fmac_f32_e32 v121, v64, v104
	v_fmac_f32_e32 v122, v65, v105
	global_load_dwordx2 v[104:105], v[102:103], off offset:2048
	s_waitcnt vmcnt(4) lgkmcnt(7)
	v_fmac_f32_e32 v121, v66, v106
	v_fmac_f32_e32 v122, v67, v107
	global_load_dwordx2 v[106:107], v[102:103], off offset:2560
	global_load_dwordx2 v[114:115], v[102:103], off offset:3072
	s_nop 0
	global_load_dwordx2 v[102:103], v[102:103], off offset:3584
	s_waitcnt vmcnt(6)
	v_fmac_f32_e32 v121, v68, v110
	v_fmac_f32_e32 v122, v69, v111
	global_load_dwordx2 v[124:125], v[100:101], off
	s_waitcnt vmcnt(6) lgkmcnt(6)
	v_fmac_f32_e32 v121, v70, v112
	v_fmac_f32_e32 v122, v71, v113
	global_load_dwordx2 v[112:113], v[100:101], off offset:512
	global_load_dwordx2 v[110:111], v[100:101], off offset:1024
	s_waitcnt vmcnt(7)
	v_fmac_f32_e32 v121, v72, v108
	v_fmac_f32_e32 v122, v73, v109
	global_load_dwordx2 v[108:109], v[100:101], off offset:1536
	s_waitcnt vmcnt(7) lgkmcnt(5)
	v_fmac_f32_e32 v121, v74, v104
	v_fmac_f32_e32 v122, v75, v105
	global_load_dwordx2 v[104:105], v[100:101], off offset:2560
	s_waitcnt vmcnt(7)
	v_fmac_f32_e32 v121, v76, v106
	v_fmac_f32_e32 v122, v77, v107
	global_load_dwordx2 v[106:107], v[100:101], off offset:2048
	s_waitcnt vmcnt(7) lgkmcnt(4)
	v_fmac_f32_e32 v121, v78, v114
	v_fmac_f32_e32 v122, v79, v115
	s_waitcnt vmcnt(6)
	v_fmac_f32_e32 v121, v80, v102
	v_fmac_f32_e32 v122, v81, v103
	global_load_dwordx2 v[102:103], v[100:101], off offset:3072
	s_nop 0
	global_load_dwordx2 v[100:101], v[100:101], off offset:3584
	s_waitcnt vmcnt(7) lgkmcnt(3)
	v_fmac_f32_e32 v121, v82, v124
	v_fmac_f32_e32 v122, v83, v125
	s_waitcnt vmcnt(6)
	v_fmac_f32_e32 v121, v84, v112
	v_fmac_f32_e32 v122, v85, v113
	s_waitcnt vmcnt(5) lgkmcnt(2)
	v_fmac_f32_e32 v121, v86, v110
	v_fmac_f32_e32 v122, v87, v111
	s_waitcnt vmcnt(4)
	v_fmac_f32_e32 v121, v88, v108
	v_fmac_f32_e32 v122, v89, v109
	s_waitcnt vmcnt(2) lgkmcnt(1)
	v_fmac_f32_e32 v121, v90, v106
	v_fmac_f32_e32 v122, v91, v107
	;; [unrolled: 1-line block ×4, first 2 shown]
	s_waitcnt vmcnt(1) lgkmcnt(0)
	v_fmac_f32_e32 v121, v94, v102
	v_fmac_f32_e32 v122, v95, v103
	s_waitcnt vmcnt(0)
	v_fmac_f32_e32 v121, v96, v100
	v_fmac_f32_e32 v122, v97, v101
	v_add_f32_e32 v100, v121, v122
	ds_bpermute_b32 v101, v117, v100
	s_and_saveexec_b64 s[10:11], vcc
	s_cbranch_execz .LBB61_9
; %bb.11:                               ;   in Loop: Header=BB61_10 Depth=1
	v_add_u32_e32 v102, s23, v118
	v_cvt_f32_i32_e32 v102, v102
	s_waitcnt lgkmcnt(0)
	v_add_f32_e32 v100, v100, v101
	v_cmp_gt_i32_e64 s[0:1], s31, v118
	v_max_f32_e32 v101, v116, v116
	v_mul_f32_e32 v102, s46, v102
	v_cndmask_b32_e64 v102, 0, v102, s[6:7]
	v_fmac_f32_e32 v102, s41, v100
	v_cndmask_b32_e64 v100, 0, v102, s[0:1]
	ds_write_b32 v119, v100
	v_max_f32_e32 v100, v101, v102
	v_cndmask_b32_e64 v116, v116, v100, s[0:1]
	s_branch .LBB61_9
.LBB61_12:
	s_or_b64 exec, exec, s[44:45]
	scratch_load_dword v36, off, off offset:196 ; 4-byte Folded Reload
	scratch_load_dwordx2 v[82:83], off, off offset:16 ; 8-byte Folded Reload
	scratch_load_dword v17, off, off        ; 4-byte Folded Reload
	scratch_load_dword v47, off, off offset:24 ; 4-byte Folded Reload
	scratch_load_dword v7, off, off offset:32 ; 4-byte Folded Reload
.LBB61_13:
	s_or_b64 exec, exec, s[42:43]
	v_xor_b32_e32 v0, 32, v123
	s_waitcnt vmcnt(0)
	v_cmp_lt_i32_e32 vcc, v0, v7
	v_xor_b32_e32 v3, 16, v123
	v_max_f32_e32 v2, v116, v116
	v_cndmask_b32_e32 v0, v123, v0, vcc
	v_lshlrev_b32_e32 v0, 2, v0
	ds_bpermute_b32 v1, v0, v116
	v_cmp_lt_i32_e32 vcc, v3, v7
	v_xor_b32_e32 v4, 8, v123
	v_xor_b32_e32 v5, 4, v123
	v_and_b32_e32 v37, 63, v36
	s_waitcnt lgkmcnt(0)
	v_max_f32_e32 v1, v1, v1
	v_max_f32_e32 v2, v2, v1
	v_cndmask_b32_e32 v1, v123, v3, vcc
	v_lshlrev_b32_e32 v1, 2, v1
	ds_bpermute_b32 v3, v1, v2
	v_cmp_lt_i32_e32 vcc, v4, v7
	s_waitcnt lgkmcnt(0)
	v_max_f32_e32 v3, v3, v3
	v_max_f32_e32 v2, v2, v3
	v_cndmask_b32_e32 v3, v123, v4, vcc
	v_lshlrev_b32_e32 v3, 2, v3
	ds_bpermute_b32 v4, v3, v2
	v_cmp_lt_i32_e32 vcc, v5, v7
	s_waitcnt lgkmcnt(0)
	v_max_f32_e32 v4, v4, v4
	v_max_f32_e32 v2, v2, v4
	v_cndmask_b32_e32 v4, v123, v5, vcc
	v_lshlrev_b32_e32 v29, 2, v4
	ds_bpermute_b32 v4, v29, v2
	v_xor_b32_e32 v5, 2, v123
	v_cmp_lt_i32_e32 vcc, v5, v7
	s_waitcnt lgkmcnt(0)
	v_max_f32_e32 v4, v4, v4
	v_max_f32_e32 v2, v2, v4
	v_cndmask_b32_e32 v4, v123, v5, vcc
	v_lshlrev_b32_e32 v35, 2, v4
	ds_bpermute_b32 v5, v35, v2
	v_cmp_eq_u32_e32 vcc, 0, v37
	v_lshlrev_b32_e32 v4, 2, v47
	s_and_saveexec_b64 s[0:1], vcc
	s_cbranch_execz .LBB61_15
; %bb.14:
	s_waitcnt lgkmcnt(0)
	v_max_f32_e32 v5, v5, v5
	v_max_f32_e32 v2, v2, v2
	;; [unrolled: 1-line block ×3, first 2 shown]
	ds_write_b32 v4, v2 offset:768
.LBB61_15:
	s_or_b64 exec, exec, s[0:1]
	v_cmp_gt_u32_e64 s[0:1], 2, v37
	v_mov_b32_e32 v2, 0xff7fffff
	s_waitcnt lgkmcnt(0)
	v_lshlrev_b32_e32 v5, 2, v37
	s_barrier
	s_and_saveexec_b64 s[6:7], s[0:1]
	s_cbranch_execz .LBB61_17
; %bb.16:
	ds_read_b32 v2, v5 offset:768
.LBB61_17:
	s_or_b64 exec, exec, s[6:7]
	v_xor_b32_e32 v6, 1, v123
	v_cmp_lt_i32_e64 s[6:7], v6, v7
	s_sub_i32 s3, s20, s3
	s_lshl_b32 s3, s3, 5
	v_cndmask_b32_e64 v6, v123, v6, s[6:7]
	v_lshlrev_b32_e32 v38, 2, v6
	s_waitcnt lgkmcnt(0)
	ds_bpermute_b32 v6, v38, v2
	v_max_f32_e32 v2, v2, v2
	s_add_i32 s3, s3, s33
	s_min_i32 s16, s3, s31
	s_sub_i32 s3, s16, s33
	s_waitcnt lgkmcnt(0)
	v_max_f32_e32 v6, v6, v6
	v_max_f32_e32 v2, v2, v6
	v_lshlrev_b32_e32 v6, 2, v123
	v_and_b32_e32 v6, 0xffffff00, v6
	ds_bpermute_b32 v2, v6, v2
	v_cmp_gt_i32_e64 s[6:7], s3, v36
	v_mov_b32_e32 v7, 0
	s_and_saveexec_b64 s[12:13], s[6:7]
	s_cbranch_execz .LBB61_21
; %bb.18:
	v_mov_b32_e32 v7, 0x310
	v_lshl_add_u32 v8, v36, 2, v7
	s_mov_b64 s[14:15], 0
	v_mov_b32_e32 v7, 0
	v_mov_b32_e32 v9, v36
.LBB61_19:                              ; =>This Inner Loop Header: Depth=1
	ds_read_b32 v10, v8
	v_add_u32_e32 v9, 0x80, v9
	v_cmp_le_i32_e64 s[10:11], s3, v9
	s_or_b64 s[14:15], s[10:11], s[14:15]
	s_waitcnt lgkmcnt(0)
	v_sub_f32_e32 v10, v10, v2
	v_mul_f32_e32 v10, 0x3fb8aa3b, v10
	v_exp_f32_e32 v10, v10
	ds_write_b32 v8, v10
	v_add_f32_e32 v7, v7, v10
	v_add_u32_e32 v8, 0x200, v8
	s_andn2_b64 exec, exec, s[14:15]
	s_cbranch_execnz .LBB61_19
; %bb.20:
	s_or_b64 exec, exec, s[14:15]
.LBB61_21:
	s_or_b64 exec, exec, s[12:13]
	ds_bpermute_b32 v0, v0, v7
	s_waitcnt lgkmcnt(0)
	v_add_f32_e32 v0, v7, v0
	ds_bpermute_b32 v1, v1, v0
	s_waitcnt lgkmcnt(0)
	v_add_f32_e32 v0, v0, v1
	;; [unrolled: 3-line block ×6, first 2 shown]
	s_and_saveexec_b64 s[10:11], vcc
	s_cbranch_execz .LBB61_23
; %bb.22:
	ds_write_b32 v4, v0 offset:776
.LBB61_23:
	s_or_b64 exec, exec, s[10:11]
	s_waitcnt lgkmcnt(0)
	s_barrier
	s_and_saveexec_b64 s[10:11], s[0:1]
	s_cbranch_execz .LBB61_25
; %bb.24:
	ds_read_b32 v0, v5 offset:776
.LBB61_25:
	s_or_b64 exec, exec, s[10:11]
	s_waitcnt lgkmcnt(0)
	ds_bpermute_b32 v1, v38, v0
	s_waitcnt lgkmcnt(0)
	v_add_f32_e32 v0, v0, v1
	ds_bpermute_b32 v3, v6, v0
	s_and_saveexec_b64 s[0:1], s[6:7]
	s_cbranch_execz .LBB61_38
; %bb.26:
	s_waitcnt lgkmcnt(0)
	v_add_f32_e32 v0, 0x358637bd, v3
	v_div_scale_f32 v1, s[6:7], v0, v0, 1.0
	v_rcp_f32_e32 v4, v1
	v_div_scale_f32 v5, vcc, 1.0, v0, 1.0
	s_movk_i32 s6, 0x7f
	v_fma_f32 v6, -v1, v4, 1.0
	v_fmac_f32_e32 v4, v6, v4
	v_mul_f32_e32 v6, v5, v4
	v_fma_f32 v7, -v1, v6, v5
	v_fmac_f32_e32 v6, v7, v4
	v_fma_f32 v1, -v1, v6, v5
	v_div_fmas_f32 v1, v1, v4, v6
	v_div_fixup_f32 v0, v1, v0, 1.0
	v_xad_u32 v1, v36, -1, s16
	v_subrev_u32_e32 v4, s33, v1
	v_cmp_lt_u32_e32 vcc, s6, v4
	s_mov_b64 s[10:11], -1
	v_mov_b32_e32 v1, v36
	s_and_saveexec_b64 s[6:7], vcc
	s_cbranch_execz .LBB61_35
; %bb.27:
	v_lshrrev_b32_e32 v4, 7, v4
	v_add_u32_e32 v6, -1, v4
	v_lshrrev_b32_e32 v5, 1, v6
	v_mov_b32_e32 v1, v0
	v_add_u32_e32 v5, 1, v5
	v_cmp_lt_u32_e32 vcc, 13, v6
	v_mov_b32_e32 v8, 0
	s_and_saveexec_b64 s[10:11], vcc
	s_cbranch_execz .LBB61_31
; %bb.28:
	v_mov_b32_e32 v7, 0x310
	v_and_b32_e32 v6, -8, v5
	v_lshl_add_u32 v7, v36, 2, v7
	s_mov_b32 s14, 0
	s_mov_b64 s[12:13], 0
.LBB61_29:                              ; =>This Inner Loop Header: Depth=1
	ds_read2st64_b32 v[8:9], v7 offset1:2
	ds_read2st64_b32 v[10:11], v7 offset0:4 offset1:6
	ds_read2st64_b32 v[12:13], v7 offset0:8 offset1:10
	ds_read2st64_b32 v[14:15], v7 offset0:12 offset1:14
	v_add_u32_e32 v6, -8, v6
	s_waitcnt lgkmcnt(3)
	v_pk_mul_f32 v[8:9], v[0:1], v[8:9]
	s_waitcnt lgkmcnt(2)
	v_pk_mul_f32 v[10:11], v[0:1], v[10:11]
	ds_write2st64_b32 v7, v8, v9 offset1:2
	ds_write2st64_b32 v7, v10, v11 offset0:4 offset1:6
	ds_read2st64_b32 v[10:11], v7 offset0:16 offset1:18
	s_waitcnt lgkmcnt(4)
	v_pk_mul_f32 v[8:9], v[0:1], v[12:13]
	ds_write2st64_b32 v7, v8, v9 offset0:8 offset1:10
	s_waitcnt lgkmcnt(4)
	v_pk_mul_f32 v[8:9], v[0:1], v[14:15]
	ds_write2st64_b32 v7, v8, v9 offset0:12 offset1:14
	ds_read2st64_b32 v[8:9], v7 offset0:20 offset1:22
	s_waitcnt lgkmcnt(3)
	v_pk_mul_f32 v[10:11], v[0:1], v[10:11]
	ds_read2st64_b32 v[12:13], v7 offset0:24 offset1:26
	ds_write2st64_b32 v7, v10, v11 offset0:16 offset1:18
	ds_read2st64_b32 v[10:11], v7 offset0:28 offset1:30
	s_waitcnt lgkmcnt(3)
	v_pk_mul_f32 v[8:9], v[0:1], v[8:9]
	ds_write2st64_b32 v7, v8, v9 offset0:20 offset1:22
	s_waitcnt lgkmcnt(3)
	v_pk_mul_f32 v[8:9], v[0:1], v[12:13]
	ds_write2st64_b32 v7, v8, v9 offset0:24 offset1:26
	s_waitcnt lgkmcnt(2)
	v_pk_mul_f32 v[8:9], v[0:1], v[10:11]
	s_add_i32 s14, s14, 16
	v_cmp_eq_u32_e32 vcc, 0, v6
	ds_write2st64_b32 v7, v8, v9 offset0:28 offset1:30
	v_add_u32_e32 v7, 0x2000, v7
	s_or_b64 s[12:13], vcc, s[12:13]
	v_mov_b32_e32 v8, s14
	s_andn2_b64 exec, exec, s[12:13]
	s_cbranch_execnz .LBB61_29
; %bb.30:
	s_or_b64 exec, exec, s[12:13]
.LBB61_31:
	s_or_b64 exec, exec, s[10:11]
	v_and_b32_e32 v5, 7, v5
	v_cmp_ne_u32_e32 vcc, 0, v5
	s_and_saveexec_b64 s[10:11], vcc
	s_cbranch_execz .LBB61_34
; %bb.32:
	v_lshlrev_b32_e32 v6, 9, v8
	s_movk_i32 s12, 0x310
	v_add3_u32 v6, v6, v17, s12
	s_mov_b64 s[12:13], 0
.LBB61_33:                              ; =>This Inner Loop Header: Depth=1
	ds_read2st64_b32 v[8:9], v6 offset1:2
	v_add_u32_e32 v5, -1, v5
	v_cmp_eq_u32_e32 vcc, 0, v5
	s_or_b64 s[12:13], vcc, s[12:13]
	s_waitcnt lgkmcnt(0)
	v_pk_mul_f32 v[8:9], v[0:1], v[8:9]
	ds_write2st64_b32 v6, v8, v9 offset1:2
	v_add_u32_e32 v6, 0x400, v6
	s_andn2_b64 exec, exec, s[12:13]
	s_cbranch_execnz .LBB61_33
.LBB61_34:
	s_or_b64 exec, exec, s[10:11]
	v_add_u32_e32 v4, 1, v4
	v_and_b32_e32 v5, 0x3fffffe, v4
	v_cmp_ne_u32_e32 vcc, v4, v5
	v_lshl_add_u32 v1, v5, 7, v36
	s_orn2_b64 s[10:11], vcc, exec
.LBB61_35:
	s_or_b64 exec, exec, s[6:7]
	s_and_b64 exec, exec, s[10:11]
	s_cbranch_execz .LBB61_38
; %bb.36:
	v_mov_b32_e32 v4, 0x310
	v_lshl_add_u32 v4, v1, 2, v4
	s_mov_b64 s[6:7], 0
.LBB61_37:                              ; =>This Inner Loop Header: Depth=1
	ds_read_b32 v5, v4
	v_add_u32_e32 v1, 0x80, v1
	v_cmp_le_i32_e32 vcc, s3, v1
	s_or_b64 s[6:7], vcc, s[6:7]
	s_waitcnt lgkmcnt(0)
	v_mul_f32_e32 v5, v0, v5
	ds_write_b32 v4, v5
	v_add_u32_e32 v4, 0x200, v4
	s_andn2_b64 exec, exec, s[6:7]
	s_cbranch_execnz .LBB61_37
.LBB61_38:
	s_or_b64 exec, exec, s[0:1]
	s_mul_i32 s0, s19, s30
	v_cmp_eq_u32_e32 vcc, 0, v36
	s_mul_i32 s6, s0, s5
	s_waitcnt lgkmcnt(0)
	s_barrier
	s_and_saveexec_b64 s[0:1], vcc
	s_cbranch_execz .LBB61_40
; %bb.39:
	s_ashr_i32 s7, s6, 31
	s_lshl_b64 s[10:11], s[6:7], 2
	s_add_u32 s5, s26, s10
	s_mul_i32 s2, s19, s2
	s_addc_u32 s7, s27, s11
	s_ashr_i32 s3, s2, 31
	s_lshl_b64 s[2:3], s[2:3], 2
	s_add_u32 s14, s5, s2
	s_addc_u32 s7, s7, s3
	s_ashr_i32 s5, s4, 31
	s_lshl_b64 s[12:13], s[4:5], 2
	s_add_u32 s14, s14, s12
	s_addc_u32 s15, s7, s13
	s_add_u32 s5, s24, s10
	s_addc_u32 s7, s25, s11
	;; [unrolled: 2-line block ×3, first 2 shown]
	s_add_u32 s2, s2, s12
	v_mov_b32_e32 v0, 0
	s_addc_u32 s3, s3, s13
	global_store_dword v0, v2, s[14:15]
	global_store_dword v0, v3, s[2:3]
.LBB61_40:
	s_or_b64 exec, exec, s[0:1]
	v_mov_b32_e32 v102, 0
	v_and_b32_e32 v39, 7, v36
	v_mov_b32_e32 v103, 0
	v_mov_b32_e32 v124, 0
	;; [unrolled: 1-line block ×23, first 2 shown]
	s_and_saveexec_b64 s[2:3], s[8:9]
	s_cbranch_execz .LBB61_92
; %bb.41:
	v_and_b32_e32 v0, 28, v17
	v_lshl_add_u32 v1, v47, 5, s33
	v_and_b32_e32 v2, 0xfc, v17
	v_add3_u32 v0, v1, v0, 3
	v_lshlrev_b32_e32 v1, 4, v39
	v_or_b32_e32 v4, 0x400, v2
	v_or_b32_e32 v6, 0x500, v2
	v_lshl_or_b32 v1, v47, 7, v1
	v_or_b32_e32 v8, 0x600, v2
	v_add_u32_e32 v5, 0x310, v1
	v_lshlrev_b32_e32 v104, 2, v4
	v_lshlrev_b32_e32 v4, 2, v6
	scratch_store_dword off, v38, off offset:212 ; 4-byte Folded Spill
	scratch_store_dword off, v29, off offset:208 ; 4-byte Folded Spill
	;; [unrolled: 1-line block ×4, first 2 shown]
	v_or_b32_e32 v10, 0x700, v2
	scratch_store_dwordx2 off, v[4:5], off offset:24 ; 8-byte Folded Spill
	v_lshlrev_b32_e32 v4, 2, v8
	v_or_b32_e32 v12, 0x800, v2
	scratch_store_dwordx2 off, v[4:5], off offset:32 ; 8-byte Folded Spill
	v_lshlrev_b32_e32 v4, 2, v10
	;; [unrolled: 3-line block ×10, first 2 shown]
	s_ashr_i32 s23, s22, 31
	v_or_b32_e32 v30, 0x1100, v2
	scratch_store_dwordx2 off, v[4:5], off offset:104 ; 8-byte Folded Spill
	v_lshlrev_b32_e32 v4, 2, v28
	s_lshl_b64 s[0:1], s[22:23], 2
	v_or_b32_e32 v32, 0x1200, v2
	scratch_store_dwordx2 off, v[4:5], off offset:112 ; 8-byte Folded Spill
	v_lshlrev_b32_e32 v4, 2, v30
	s_add_u32 s8, s38, s0
	v_or_b32_e32 v34, 0x1300, v2
	scratch_store_dwordx2 off, v[4:5], off offset:120 ; 8-byte Folded Spill
	v_lshlrev_b32_e32 v4, 2, v32
	s_addc_u32 s9, s39, s1
	s_add_i32 s40, s40, -1
	v_or_b32_e32 v36, 0x1400, v2
	s_lshl_b64 s[0:1], s[36:37], 2
	scratch_store_dwordx2 off, v[4:5], off offset:128 ; 8-byte Folded Spill
	v_lshlrev_b32_e32 v4, 2, v34
	v_or_b32_e32 v38, 0x1500, v2
	s_add_u32 s0, s34, s0
	scratch_store_dwordx2 off, v[4:5], off offset:136 ; 8-byte Folded Spill
	v_lshlrev_b32_e32 v4, 2, v36
	v_or_b32_e32 v40, 0x1600, v2
	s_addc_u32 s1, s35, s1
	scratch_store_dwordx2 off, v[4:5], off offset:144 ; 8-byte Folded Spill
	v_lshlrev_b32_e32 v4, 2, v38
	v_mov_b32_e32 v105, 0
	v_or_b32_e32 v42, 0x1700, v2
	v_lshl_add_u64 v[44:45], v[82:83], 2, s[0:1]
	scratch_store_dwordx2 off, v[4:5], off offset:152 ; 8-byte Folded Spill
	v_lshlrev_b32_e32 v4, 2, v40
	s_mov_b32 s5, s21
	s_mov_b64 s[10:11], 0
	v_lshlrev_b32_e32 v46, 2, v2
	v_mov_b64_e32 v[2:3], v[44:45]
	scratch_store_dwordx2 off, v[4:5], off offset:160 ; 8-byte Folded Spill
	v_lshlrev_b32_e32 v4, 2, v42
	v_mov_b32_e32 v47, v105
	v_mov_b32_e32 v7, v105
	;; [unrolled: 1-line block ×25, first 2 shown]
	scratch_store_dword off, v39, off offset:216 ; 4-byte Folded Spill
	scratch_store_dwordx2 off, v[4:5], off offset:168 ; 8-byte Folded Spill
	scratch_store_dwordx2 off, v[46:47], off offset:188 ; 8-byte Folded Spill
	s_branch .LBB61_43
.LBB61_42:                              ;   in Loop: Header=BB61_43 Depth=1
	s_or_b64 exec, exec, s[0:1]
	s_waitcnt lgkmcnt(0)
	v_mul_f32_e32 v1, v3, v99
	v_fmac_f32_e32 v1, v2, v98
	v_fmac_f32_e32 v1, v4, v100
	v_fmac_f32_e32 v1, v5, v101
	v_add_f32_e32 v6, v6, v1
	v_mul_f32_e32 v1, v3, v91
	v_fmac_f32_e32 v1, v2, v90
	v_fmac_f32_e32 v1, v4, v92
	v_fmac_f32_e32 v1, v5, v93
	v_add_f32_e32 v106, v106, v1
	;; [unrolled: 5-line block ×20, first 2 shown]
	v_mul_f32_e32 v1, v3, v11
	v_fmac_f32_e32 v1, v2, v10
	scratch_load_dwordx4 v[8:11], off, off  ; 16-byte Folded Reload
	v_fmac_f32_e32 v1, v4, v12
	v_fmac_f32_e32 v1, v5, v13
	v_add_f32_e32 v103, v103, v1
	v_mul_f32_e32 v95, v3, v95
	v_fmac_f32_e32 v95, v2, v94
	v_fmac_f32_e32 v95, v4, v96
	;; [unrolled: 1-line block ×3, first 2 shown]
	v_add_f32_e32 v107, v107, v95
	v_add_u32_e32 v0, 64, v0
	s_waitcnt vmcnt(0)
	v_mul_f32_e32 v1, v3, v9
	v_fmac_f32_e32 v1, v2, v8
	v_fmac_f32_e32 v1, v4, v10
	;; [unrolled: 1-line block ×3, first 2 shown]
	v_add_f32_e32 v102, v102, v1
	v_mul_f32_e32 v1, v3, v83
	v_fmac_f32_e32 v1, v2, v82
	scratch_load_dwordx2 v[82:83], off, off offset:16 ; 8-byte Folded Reload
	v_fmac_f32_e32 v1, v4, v84
	v_fmac_f32_e32 v1, v5, v85
	scratch_load_dword v5, off, off offset:176 ; 4-byte Folded Reload
	scratch_load_dwordx2 v[2:3], off, off offset:180 ; 8-byte Folded Reload
	v_add_f32_e32 v7, v7, v1
	s_waitcnt vmcnt(2)
	v_add_u32_e32 v82, 2, v82
	v_cmp_le_i32_e32 vcc, s20, v82
	s_or_b64 s[10:11], vcc, s[10:11]
	s_waitcnt vmcnt(1)
	v_add_u32_e32 v5, 0x100, v5
	s_waitcnt vmcnt(0)
	v_lshl_add_u64 v[2:3], v[2:3], 0, 8
	s_andn2_b64 exec, exec, s[10:11]
	s_cbranch_execz .LBB61_91
.LBB61_43:                              ; =>This Inner Loop Header: Depth=1
	global_load_dword v1, v[2:3], off
	v_mov_b32_e32 v12, v82
	scratch_store_dwordx2 off, v[2:3], off offset:180 ; 8-byte Folded Spill
	v_cmp_eq_u32_e32 vcc, s40, v12
	s_waitcnt vmcnt(1)
	v_mad_i64_i32 v[2:3], s[0:1], v1, s5, 0
	v_lshl_add_u64 v[82:83], v[2:3], 2, s[8:9]
	scratch_load_dwordx2 v[2:3], off, off offset:188 ; 8-byte Folded Reload
	v_add_u32_e32 v1, -2, v0
	s_waitcnt vmcnt(0)
	v_lshl_add_u64 v[18:19], v[82:83], 0, v[2:3]
	global_load_dwordx4 v[8:11], v[18:19], off
	s_waitcnt vmcnt(0)
	scratch_store_dwordx4 off, v[8:11], off ; 16-byte Folded Spill
	scratch_store_dword off, v5, off offset:176 ; 4-byte Folded Spill
	ds_read_b128 v[2:5], v5
	v_add_u32_e32 v8, -3, v0
	v_mov_b32_e32 v10, v12
	v_add_u32_e32 v9, -1, v0
	scratch_store_dwordx2 off, v[10:11], off offset:16 ; 8-byte Folded Spill
	s_and_saveexec_b64 s[12:13], vcc
	s_cbranch_execnz .LBB61_88
; %bb.44:                               ;   in Loop: Header=BB61_43 Depth=1
	s_or_b64 exec, exec, s[12:13]
	global_load_dwordx4 v[10:13], v[18:19], off offset:1024
	s_and_saveexec_b64 s[12:13], vcc
	s_cbranch_execnz .LBB61_89
.LBB61_45:                              ;   in Loop: Header=BB61_43 Depth=1
	s_or_b64 exec, exec, s[12:13]
	global_load_dwordx4 v[14:17], v[18:19], off offset:2048
	s_and_saveexec_b64 s[12:13], vcc
	s_cbranch_execnz .LBB61_90
.LBB61_46:                              ;   in Loop: Header=BB61_43 Depth=1
	s_or_b64 exec, exec, s[12:13]
	global_load_dwordx4 v[18:21], v[18:19], off offset:3072
	s_and_saveexec_b64 s[12:13], vcc
	s_cbranch_execz .LBB61_48
.LBB61_47:                              ;   in Loop: Header=BB61_43 Depth=1
	v_cmp_gt_i32_e64 s[0:1], s31, v8
	s_waitcnt vmcnt(0)
	s_nop 0
	v_cndmask_b32_e64 v18, 0, v18, s[0:1]
	v_cmp_gt_i32_e64 s[0:1], s31, v1
	s_nop 1
	v_cndmask_b32_e64 v19, 0, v19, s[0:1]
	v_cmp_gt_i32_e64 s[0:1], s31, v9
	;; [unrolled: 3-line block ×3, first 2 shown]
	s_nop 1
	v_cndmask_b32_e64 v21, 0, v21, s[0:1]
.LBB61_48:                              ;   in Loop: Header=BB61_43 Depth=1
	s_or_b64 exec, exec, s[12:13]
	v_lshl_add_u64 v[22:23], v[82:83], 0, v[104:105]
	global_load_dwordx4 v[22:25], v[22:23], off
	s_and_saveexec_b64 s[12:13], vcc
	s_cbranch_execz .LBB61_50
; %bb.49:                               ;   in Loop: Header=BB61_43 Depth=1
	v_cmp_gt_i32_e64 s[0:1], s31, v8
	s_waitcnt vmcnt(0)
	s_nop 0
	v_cndmask_b32_e64 v22, 0, v22, s[0:1]
	v_cmp_gt_i32_e64 s[0:1], s31, v1
	s_nop 1
	v_cndmask_b32_e64 v23, 0, v23, s[0:1]
	v_cmp_gt_i32_e64 s[0:1], s31, v9
	s_nop 1
	v_cndmask_b32_e64 v24, 0, v24, s[0:1]
	v_cmp_gt_i32_e64 s[0:1], s31, v0
	s_nop 1
	v_cndmask_b32_e64 v25, 0, v25, s[0:1]
.LBB61_50:                              ;   in Loop: Header=BB61_43 Depth=1
	s_or_b64 exec, exec, s[12:13]
	scratch_load_dwordx2 v[26:27], off, off offset:24 ; 8-byte Folded Reload
	s_waitcnt vmcnt(0)
	v_mov_b32_e32 v27, v105
	v_mov_b32_e32 v28, v26
	v_lshl_add_u64 v[26:27], v[82:83], 0, v[26:27]
	scratch_store_dwordx2 off, v[28:29], off offset:24 ; 8-byte Folded Spill
	global_load_dwordx4 v[26:29], v[26:27], off
	s_and_saveexec_b64 s[12:13], vcc
	s_cbranch_execz .LBB61_52
; %bb.51:                               ;   in Loop: Header=BB61_43 Depth=1
	v_cmp_gt_i32_e64 s[0:1], s31, v8
	s_waitcnt vmcnt(0)
	s_nop 0
	v_cndmask_b32_e64 v26, 0, v26, s[0:1]
	v_cmp_gt_i32_e64 s[0:1], s31, v1
	s_nop 1
	v_cndmask_b32_e64 v27, 0, v27, s[0:1]
	v_cmp_gt_i32_e64 s[0:1], s31, v9
	s_nop 1
	v_cndmask_b32_e64 v28, 0, v28, s[0:1]
	v_cmp_gt_i32_e64 s[0:1], s31, v0
	s_nop 1
	v_cndmask_b32_e64 v29, 0, v29, s[0:1]
.LBB61_52:                              ;   in Loop: Header=BB61_43 Depth=1
	s_or_b64 exec, exec, s[12:13]
	scratch_load_dwordx2 v[30:31], off, off offset:32 ; 8-byte Folded Reload
	s_waitcnt vmcnt(0)
	v_mov_b32_e32 v31, v105
	v_mov_b32_e32 v32, v30
	v_lshl_add_u64 v[30:31], v[82:83], 0, v[30:31]
	scratch_store_dwordx2 off, v[32:33], off offset:32 ; 8-byte Folded Spill
	;; [unrolled: 25-line block ×18, first 2 shown]
	global_load_dwordx4 v[98:101], v[84:85], off
	s_and_saveexec_b64 s[12:13], vcc
	s_cbranch_execz .LBB61_86
; %bb.85:                               ;   in Loop: Header=BB61_43 Depth=1
	v_cmp_gt_i32_e64 s[0:1], s31, v8
	s_waitcnt vmcnt(0)
	s_nop 0
	v_cndmask_b32_e64 v98, 0, v98, s[0:1]
	v_cmp_gt_i32_e64 s[0:1], s31, v1
	s_nop 1
	v_cndmask_b32_e64 v99, 0, v99, s[0:1]
	v_cmp_gt_i32_e64 s[0:1], s31, v9
	;; [unrolled: 3-line block ×3, first 2 shown]
	s_nop 1
	v_cndmask_b32_e64 v101, 0, v101, s[0:1]
.LBB61_86:                              ;   in Loop: Header=BB61_43 Depth=1
	s_or_b64 exec, exec, s[12:13]
	scratch_load_dwordx2 v[84:85], off, off offset:168 ; 8-byte Folded Reload
	v_mov_b32_e32 v127, v105
	s_waitcnt vmcnt(0)
	v_mov_b32_e32 v126, v84
	v_lshl_add_u64 v[82:83], v[82:83], 0, v[126:127]
	scratch_store_dwordx2 off, v[84:85], off offset:168 ; 8-byte Folded Spill
	global_load_dwordx4 v[82:85], v[82:83], off
	s_and_saveexec_b64 s[0:1], vcc
	s_cbranch_execz .LBB61_42
; %bb.87:                               ;   in Loop: Header=BB61_43 Depth=1
	v_cmp_gt_i32_e32 vcc, s31, v8
	s_waitcnt vmcnt(0)
	s_nop 0
	v_cndmask_b32_e32 v82, 0, v82, vcc
	v_cmp_gt_i32_e32 vcc, s31, v1
	s_nop 1
	v_cndmask_b32_e32 v83, 0, v83, vcc
	v_cmp_gt_i32_e32 vcc, s31, v9
	;; [unrolled: 3-line block ×3, first 2 shown]
	s_nop 1
	v_cndmask_b32_e32 v85, 0, v85, vcc
	s_branch .LBB61_42
.LBB61_88:                              ;   in Loop: Header=BB61_43 Depth=1
	v_cmp_gt_i32_e64 s[0:1], s31, v8
	v_mov_b32_e32 v12, v8
	v_mov_b32_e32 v13, v9
	scratch_load_dwordx4 v[8:11], off, off  ; 16-byte Folded Reload
	s_waitcnt vmcnt(0)
	v_cndmask_b32_e64 v8, 0, v8, s[0:1]
	v_cmp_gt_i32_e64 s[0:1], s31, v1
	s_nop 1
	v_cndmask_b32_e64 v9, 0, v9, s[0:1]
	v_cmp_gt_i32_e64 s[0:1], s31, v13
	s_nop 1
	;; [unrolled: 3-line block ×3, first 2 shown]
	v_cndmask_b32_e64 v11, 0, v11, s[0:1]
	scratch_store_dwordx4 off, v[8:11], off ; 16-byte Folded Spill
	s_nop 1
	v_mov_b32_e32 v9, v13
	v_mov_b32_e32 v8, v12
	s_or_b64 exec, exec, s[12:13]
	global_load_dwordx4 v[10:13], v[18:19], off offset:1024
	s_and_saveexec_b64 s[12:13], vcc
	s_cbranch_execz .LBB61_45
.LBB61_89:                              ;   in Loop: Header=BB61_43 Depth=1
	v_cmp_gt_i32_e64 s[0:1], s31, v8
	s_waitcnt vmcnt(0)
	s_nop 0
	v_cndmask_b32_e64 v10, 0, v10, s[0:1]
	v_cmp_gt_i32_e64 s[0:1], s31, v1
	s_nop 1
	v_cndmask_b32_e64 v11, 0, v11, s[0:1]
	v_cmp_gt_i32_e64 s[0:1], s31, v9
	;; [unrolled: 3-line block ×3, first 2 shown]
	s_nop 1
	v_cndmask_b32_e64 v13, 0, v13, s[0:1]
	s_or_b64 exec, exec, s[12:13]
	global_load_dwordx4 v[14:17], v[18:19], off offset:2048
	s_and_saveexec_b64 s[12:13], vcc
	s_cbranch_execz .LBB61_46
.LBB61_90:                              ;   in Loop: Header=BB61_43 Depth=1
	v_cmp_gt_i32_e64 s[0:1], s31, v8
	s_waitcnt vmcnt(0)
	s_nop 0
	v_cndmask_b32_e64 v14, 0, v14, s[0:1]
	v_cmp_gt_i32_e64 s[0:1], s31, v1
	s_nop 1
	v_cndmask_b32_e64 v15, 0, v15, s[0:1]
	v_cmp_gt_i32_e64 s[0:1], s31, v9
	;; [unrolled: 3-line block ×3, first 2 shown]
	s_nop 1
	v_cndmask_b32_e64 v17, 0, v17, s[0:1]
	s_or_b64 exec, exec, s[12:13]
	global_load_dwordx4 v[18:21], v[18:19], off offset:3072
	s_and_saveexec_b64 s[12:13], vcc
	s_cbranch_execnz .LBB61_47
	s_branch .LBB61_48
.LBB61_91:
	s_or_b64 exec, exec, s[10:11]
	scratch_load_dword v36, off, off offset:196 ; 4-byte Folded Reload
	scratch_load_dword v37, off, off offset:200 ; 4-byte Folded Reload
	;; [unrolled: 1-line block ×6, first 2 shown]
.LBB61_92:
	s_or_b64 exec, exec, s[2:3]
	s_waitcnt vmcnt(2)
	ds_bpermute_b32 v0, v29, v102
	ds_bpermute_b32 v1, v29, v103
	;; [unrolled: 1-line block ×6, first 2 shown]
	s_waitcnt lgkmcnt(4)
	v_pk_add_f32 v[0:1], v[102:103], v[0:1]
	ds_bpermute_b32 v4, v35, v0
	s_waitcnt lgkmcnt(3)
	v_pk_add_f32 v[14:15], v[122:123], v[8:9]
	ds_bpermute_b32 v5, v35, v1
	ds_bpermute_b32 v8, v35, v14
	;; [unrolled: 1-line block ×3, first 2 shown]
	s_waitcnt lgkmcnt(4)
	v_pk_add_f32 v[12:13], v[120:121], v[12:13]
	ds_bpermute_b32 v2, v29, v124
	s_waitcnt lgkmcnt(3)
	v_pk_add_f32 v[0:1], v[0:1], v[4:5]
	ds_bpermute_b32 v3, v29, v125
	s_waitcnt lgkmcnt(2)
	v_pk_add_f32 v[16:17], v[14:15], v[8:9]
	s_waitcnt vmcnt(1)
	ds_bpermute_b32 v4, v38, v0
	ds_bpermute_b32 v5, v38, v1
	;; [unrolled: 1-line block ×6, first 2 shown]
	s_waitcnt lgkmcnt(6)
	v_pk_add_f32 v[2:3], v[124:125], v[2:3]
	s_waitcnt lgkmcnt(4)
	v_pk_add_f32 v[4:5], v[0:1], v[4:5]
	;; [unrolled: 2-line block ×3, first 2 shown]
	ds_bpermute_b32 v8, v29, v118
	s_waitcnt lgkmcnt(1)
	v_pk_add_f32 v[30:31], v[12:13], v[14:15]
	ds_bpermute_b32 v9, v29, v119
	ds_bpermute_b32 v12, v29, v116
	;; [unrolled: 1-line block ×5, first 2 shown]
	s_waitcnt lgkmcnt(4)
	v_pk_add_f32 v[8:9], v[118:119], v[8:9]
	ds_bpermute_b32 v14, v35, v8
	s_waitcnt lgkmcnt(3)
	v_pk_add_f32 v[12:13], v[116:117], v[12:13]
	ds_bpermute_b32 v15, v35, v9
	;; [unrolled: 3-line block ×3, first 2 shown]
	ds_bpermute_b32 v17, v35, v13
	ds_bpermute_b32 v18, v29, v114
	;; [unrolled: 1-line block ×5, first 2 shown]
	s_waitcnt lgkmcnt(6)
	v_pk_add_f32 v[8:9], v[8:9], v[14:15]
	s_waitcnt lgkmcnt(4)
	v_pk_add_f32 v[16:17], v[12:13], v[16:17]
	;; [unrolled: 2-line block ×3, first 2 shown]
	ds_bpermute_b32 v14, v38, v8
	s_waitcnt lgkmcnt(1)
	v_pk_add_f32 v[2:3], v[2:3], v[10:11]
	ds_bpermute_b32 v10, v38, v30
	ds_bpermute_b32 v11, v38, v31
	;; [unrolled: 1-line block ×9, first 2 shown]
	s_waitcnt lgkmcnt(4)
	v_pk_add_f32 v[18:19], v[12:13], v[18:19]
	v_pk_add_f32 v[12:13], v[30:31], v[10:11]
	;; [unrolled: 1-line block ×3, first 2 shown]
	s_waitcnt lgkmcnt(1)
	v_pk_add_f32 v[22:23], v[112:113], v[22:23]
	s_waitcnt lgkmcnt(0)
	v_pk_add_f32 v[8:9], v[16:17], v[20:21]
	ds_bpermute_b32 v20, v29, v108
	ds_bpermute_b32 v21, v29, v109
	;; [unrolled: 1-line block ×8, first 2 shown]
	s_waitcnt lgkmcnt(6)
	v_pk_add_f32 v[20:21], v[108:109], v[20:21]
	s_waitcnt lgkmcnt(4)
	v_pk_add_f32 v[40:41], v[18:19], v[24:25]
	;; [unrolled: 2-line block ×3, first 2 shown]
	ds_bpermute_b32 v24, v35, v20
	ds_bpermute_b32 v25, v35, v21
	;; [unrolled: 1-line block ×4, first 2 shown]
	s_waitcnt lgkmcnt(4)
	v_pk_add_f32 v[16:17], v[110:111], v[16:17]
	ds_bpermute_b32 v22, v35, v16
	ds_bpermute_b32 v23, v35, v17
	;; [unrolled: 1-line block ×4, first 2 shown]
	s_waitcnt lgkmcnt(6)
	v_pk_add_f32 v[24:25], v[20:21], v[24:25]
	s_waitcnt lgkmcnt(4)
	v_pk_add_f32 v[20:21], v[106:107], v[26:27]
	ds_bpermute_b32 v26, v35, v20
	ds_bpermute_b32 v27, v35, v21
	s_waitcnt lgkmcnt(4)
	v_pk_add_f32 v[16:17], v[16:17], v[22:23]
	s_waitcnt lgkmcnt(2)
	v_pk_add_f32 v[30:31], v[6:7], v[30:31]
	ds_bpermute_b32 v18, v38, v14
	ds_bpermute_b32 v19, v38, v15
	;; [unrolled: 1-line block ×8, first 2 shown]
	s_waitcnt lgkmcnt(8)
	v_pk_add_f32 v[26:27], v[20:21], v[26:27]
	ds_bpermute_b32 v32, v38, v26
	ds_bpermute_b32 v33, v38, v27
	s_waitcnt lgkmcnt(8)
	v_pk_add_f32 v[20:21], v[14:15], v[18:19]
	s_waitcnt lgkmcnt(6)
	v_pk_add_f32 v[18:19], v[16:17], v[22:23]
	;; [unrolled: 2-line block ×4, first 2 shown]
	ds_bpermute_b32 v24, v38, v22
	ds_bpermute_b32 v25, v38, v23
	s_waitcnt lgkmcnt(2)
	v_pk_add_f32 v[14:15], v[26:27], v[32:33]
	v_and_b32_e32 v26, 0x3c7, v36
	v_cmp_ne_u32_e32 vcc, 64, v26
	s_waitcnt lgkmcnt(0)
	s_barrier
	s_and_saveexec_b64 s[0:1], vcc
	s_xor_b64 s[0:1], exec, s[0:1]
; %bb.93:
                                        ; implicit-def: $vgpr37
; %bb.94:
	s_or_saveexec_b64 s[0:1], s[0:1]
	v_pk_add_f32 v[22:23], v[22:23], v[24:25]
	s_xor_b64 exec, exec, s[0:1]
	s_cbranch_execz .LBB61_96
; %bb.95:
	v_lshrrev_b32_e32 v24, 1, v37
	v_add_u32_e32 v24, 0x310, v24
	ds_write2_b32 v24, v4, v5 offset1:8
	ds_write2_b32 v24, v2, v3 offset0:16 offset1:24
	ds_write2_b32 v24, v0, v1 offset0:32 offset1:40
	;; [unrolled: 1-line block ×11, first 2 shown]
.LBB61_96:
	s_or_b64 exec, exec, s[0:1]
	v_cmp_gt_u32_e32 vcc, 64, v36
	s_waitcnt lgkmcnt(0)
	s_barrier
	s_and_saveexec_b64 s[0:1], vcc
	s_cbranch_execz .LBB61_123
; %bb.97:
	s_waitcnt vmcnt(0)
	v_cmp_eq_u32_e32 vcc, 0, v39
	v_lshrrev_b32_e32 v24, 3, v36
	s_and_saveexec_b64 s[2:3], vcc
	s_cbranch_execnz .LBB61_126
; %bb.98:
	s_or_b64 exec, exec, s[2:3]
	s_and_saveexec_b64 s[2:3], vcc
	s_cbranch_execnz .LBB61_127
.LBB61_99:
	s_or_b64 exec, exec, s[2:3]
	s_and_saveexec_b64 s[2:3], vcc
	s_cbranch_execnz .LBB61_128
.LBB61_100:
	s_or_b64 exec, exec, s[2:3]
	s_and_saveexec_b64 s[2:3], vcc
	s_cbranch_execnz .LBB61_129
.LBB61_101:
	s_or_b64 exec, exec, s[2:3]
	s_and_saveexec_b64 s[2:3], vcc
	s_cbranch_execnz .LBB61_130
.LBB61_102:
	s_or_b64 exec, exec, s[2:3]
	s_and_saveexec_b64 s[2:3], vcc
	s_cbranch_execnz .LBB61_131
.LBB61_103:
	s_or_b64 exec, exec, s[2:3]
	s_and_saveexec_b64 s[2:3], vcc
	s_cbranch_execnz .LBB61_132
.LBB61_104:
	s_or_b64 exec, exec, s[2:3]
	s_and_saveexec_b64 s[2:3], vcc
	s_cbranch_execnz .LBB61_133
.LBB61_105:
	s_or_b64 exec, exec, s[2:3]
	s_and_saveexec_b64 s[2:3], vcc
	s_cbranch_execnz .LBB61_134
.LBB61_106:
	s_or_b64 exec, exec, s[2:3]
	s_and_saveexec_b64 s[2:3], vcc
	s_cbranch_execnz .LBB61_135
.LBB61_107:
	s_or_b64 exec, exec, s[2:3]
	s_and_saveexec_b64 s[2:3], vcc
	s_cbranch_execnz .LBB61_136
.LBB61_108:
	s_or_b64 exec, exec, s[2:3]
	s_and_saveexec_b64 s[2:3], vcc
	s_cbranch_execnz .LBB61_137
.LBB61_109:
	s_or_b64 exec, exec, s[2:3]
	s_and_saveexec_b64 s[2:3], vcc
	s_cbranch_execnz .LBB61_138
.LBB61_110:
	s_or_b64 exec, exec, s[2:3]
	s_and_saveexec_b64 s[2:3], vcc
	s_cbranch_execnz .LBB61_139
.LBB61_111:
	s_or_b64 exec, exec, s[2:3]
	s_and_saveexec_b64 s[2:3], vcc
	s_cbranch_execnz .LBB61_140
.LBB61_112:
	s_or_b64 exec, exec, s[2:3]
	s_and_saveexec_b64 s[2:3], vcc
	s_cbranch_execnz .LBB61_141
.LBB61_113:
	s_or_b64 exec, exec, s[2:3]
	s_and_saveexec_b64 s[2:3], vcc
	s_cbranch_execnz .LBB61_142
.LBB61_114:
	s_or_b64 exec, exec, s[2:3]
	s_and_saveexec_b64 s[2:3], vcc
	s_cbranch_execnz .LBB61_143
.LBB61_115:
	s_or_b64 exec, exec, s[2:3]
	s_and_saveexec_b64 s[2:3], vcc
	s_cbranch_execnz .LBB61_144
.LBB61_116:
	s_or_b64 exec, exec, s[2:3]
	s_and_saveexec_b64 s[2:3], vcc
	s_cbranch_execnz .LBB61_145
.LBB61_117:
	s_or_b64 exec, exec, s[2:3]
	s_and_saveexec_b64 s[2:3], vcc
	s_cbranch_execnz .LBB61_146
.LBB61_118:
	s_or_b64 exec, exec, s[2:3]
	s_and_saveexec_b64 s[2:3], vcc
	s_cbranch_execnz .LBB61_147
.LBB61_119:
	s_or_b64 exec, exec, s[2:3]
	s_and_saveexec_b64 s[2:3], vcc
	s_cbranch_execnz .LBB61_148
.LBB61_120:
	s_or_b64 exec, exec, s[2:3]
	s_and_saveexec_b64 s[2:3], vcc
	s_cbranch_execz .LBB61_122
.LBB61_121:
	v_mov_b32_e32 v25, 0x310
	v_lshl_add_u32 v24, v24, 2, v25
	ds_read_b32 v24, v24 offset:736
	s_waitcnt lgkmcnt(0)
	v_add_f32_e32 v23, v23, v24
.LBB61_122:
	s_or_b64 exec, exec, s[2:3]
.LBB61_123:
	s_or_b64 exec, exec, s[0:1]
	v_cmp_eq_u32_e32 vcc, 0, v26
	s_barrier
	s_and_saveexec_b64 s[0:1], vcc
	s_cbranch_execz .LBB61_125
; %bb.124:
	s_mul_i32 s0, s6, 0xc0
	s_ashr_i32 s1, s0, 31
	s_lshl_b64 s[0:1], s[0:1], 2
	s_add_u32 s2, s28, s0
	s_mul_i32 s0, s19, s18
	s_addc_u32 s3, s29, s1
	s_ashr_i32 s1, s0, 31
	s_lshl_b64 s[0:1], s[0:1], 2
	s_add_u32 s2, s2, s0
	s_mul_i32 s0, s4, 0xc0
	s_addc_u32 s3, s3, s1
	s_ashr_i32 s1, s0, 31
	s_lshl_b64 s[0:1], s[0:1], 2
	s_add_u32 s0, s2, s0
	s_addc_u32 s1, s3, s1
	v_lshrrev_b32_e32 v24, 1, v36
	global_store_dword v24, v4, s[0:1]
	global_store_dword v24, v5, s[0:1] offset:32
	global_store_dword v24, v2, s[0:1] offset:64
	;; [unrolled: 1-line block ×23, first 2 shown]
.LBB61_125:
	s_endpgm
.LBB61_126:
	v_mov_b32_e32 v25, 0x310
	v_lshl_add_u32 v25, v24, 2, v25
	ds_read_b32 v25, v25
	s_waitcnt lgkmcnt(0)
	v_add_f32_e32 v4, v4, v25
	s_or_b64 exec, exec, s[2:3]
	s_and_saveexec_b64 s[2:3], vcc
	s_cbranch_execz .LBB61_99
.LBB61_127:
	v_mov_b32_e32 v25, 0x310
	v_lshl_add_u32 v25, v24, 2, v25
	ds_read_b32 v25, v25 offset:32
	s_waitcnt lgkmcnt(0)
	v_add_f32_e32 v5, v5, v25
	s_or_b64 exec, exec, s[2:3]
	s_and_saveexec_b64 s[2:3], vcc
	s_cbranch_execz .LBB61_100
.LBB61_128:
	v_mov_b32_e32 v25, 0x310
	v_lshl_add_u32 v25, v24, 2, v25
	ds_read_b32 v25, v25 offset:64
	s_waitcnt lgkmcnt(0)
	v_add_f32_e32 v2, v2, v25
	s_or_b64 exec, exec, s[2:3]
	s_and_saveexec_b64 s[2:3], vcc
	s_cbranch_execz .LBB61_101
.LBB61_129:
	v_mov_b32_e32 v25, 0x310
	v_lshl_add_u32 v25, v24, 2, v25
	ds_read_b32 v25, v25 offset:96
	s_waitcnt lgkmcnt(0)
	v_add_f32_e32 v3, v3, v25
	s_or_b64 exec, exec, s[2:3]
	s_and_saveexec_b64 s[2:3], vcc
	s_cbranch_execz .LBB61_102
.LBB61_130:
	v_mov_b32_e32 v25, 0x310
	v_lshl_add_u32 v25, v24, 2, v25
	ds_read_b32 v25, v25 offset:128
	s_waitcnt lgkmcnt(0)
	v_add_f32_e32 v0, v0, v25
	s_or_b64 exec, exec, s[2:3]
	s_and_saveexec_b64 s[2:3], vcc
	s_cbranch_execz .LBB61_103
.LBB61_131:
	v_mov_b32_e32 v25, 0x310
	v_lshl_add_u32 v25, v24, 2, v25
	ds_read_b32 v25, v25 offset:160
	s_waitcnt lgkmcnt(0)
	v_add_f32_e32 v1, v1, v25
	s_or_b64 exec, exec, s[2:3]
	s_and_saveexec_b64 s[2:3], vcc
	s_cbranch_execz .LBB61_104
.LBB61_132:
	v_mov_b32_e32 v25, 0x310
	v_lshl_add_u32 v25, v24, 2, v25
	ds_read_b32 v25, v25 offset:192
	s_waitcnt lgkmcnt(0)
	v_add_f32_e32 v12, v12, v25
	s_or_b64 exec, exec, s[2:3]
	s_and_saveexec_b64 s[2:3], vcc
	s_cbranch_execz .LBB61_105
.LBB61_133:
	v_mov_b32_e32 v25, 0x310
	v_lshl_add_u32 v25, v24, 2, v25
	ds_read_b32 v25, v25 offset:224
	s_waitcnt lgkmcnt(0)
	v_add_f32_e32 v13, v13, v25
	s_or_b64 exec, exec, s[2:3]
	s_and_saveexec_b64 s[2:3], vcc
	s_cbranch_execz .LBB61_106
.LBB61_134:
	v_mov_b32_e32 v25, 0x310
	v_lshl_add_u32 v25, v24, 2, v25
	ds_read_b32 v25, v25 offset:256
	s_waitcnt lgkmcnt(0)
	v_add_f32_e32 v10, v10, v25
	s_or_b64 exec, exec, s[2:3]
	s_and_saveexec_b64 s[2:3], vcc
	s_cbranch_execz .LBB61_107
.LBB61_135:
	v_mov_b32_e32 v25, 0x310
	v_lshl_add_u32 v25, v24, 2, v25
	ds_read_b32 v25, v25 offset:288
	s_waitcnt lgkmcnt(0)
	v_add_f32_e32 v11, v11, v25
	s_or_b64 exec, exec, s[2:3]
	s_and_saveexec_b64 s[2:3], vcc
	s_cbranch_execz .LBB61_108
.LBB61_136:
	v_mov_b32_e32 v25, 0x310
	v_lshl_add_u32 v25, v24, 2, v25
	ds_read_b32 v25, v25 offset:320
	s_waitcnt lgkmcnt(0)
	v_add_f32_e32 v8, v8, v25
	s_or_b64 exec, exec, s[2:3]
	s_and_saveexec_b64 s[2:3], vcc
	s_cbranch_execz .LBB61_109
.LBB61_137:
	v_mov_b32_e32 v25, 0x310
	v_lshl_add_u32 v25, v24, 2, v25
	ds_read_b32 v25, v25 offset:352
	s_waitcnt lgkmcnt(0)
	v_add_f32_e32 v9, v9, v25
	s_or_b64 exec, exec, s[2:3]
	s_and_saveexec_b64 s[2:3], vcc
	s_cbranch_execz .LBB61_110
.LBB61_138:
	v_mov_b32_e32 v25, 0x310
	v_lshl_add_u32 v25, v24, 2, v25
	ds_read_b32 v25, v25 offset:384
	s_waitcnt lgkmcnt(0)
	v_add_f32_e32 v40, v40, v25
	s_or_b64 exec, exec, s[2:3]
	s_and_saveexec_b64 s[2:3], vcc
	s_cbranch_execz .LBB61_111
.LBB61_139:
	v_mov_b32_e32 v25, 0x310
	v_lshl_add_u32 v25, v24, 2, v25
	ds_read_b32 v25, v25 offset:416
	s_waitcnt lgkmcnt(0)
	v_add_f32_e32 v41, v41, v25
	s_or_b64 exec, exec, s[2:3]
	s_and_saveexec_b64 s[2:3], vcc
	s_cbranch_execz .LBB61_112
.LBB61_140:
	v_mov_b32_e32 v25, 0x310
	v_lshl_add_u32 v25, v24, 2, v25
	ds_read_b32 v25, v25 offset:448
	s_waitcnt lgkmcnt(0)
	v_add_f32_e32 v20, v20, v25
	s_or_b64 exec, exec, s[2:3]
	s_and_saveexec_b64 s[2:3], vcc
	s_cbranch_execz .LBB61_113
.LBB61_141:
	v_mov_b32_e32 v25, 0x310
	v_lshl_add_u32 v25, v24, 2, v25
	ds_read_b32 v25, v25 offset:480
	s_waitcnt lgkmcnt(0)
	v_add_f32_e32 v21, v21, v25
	s_or_b64 exec, exec, s[2:3]
	s_and_saveexec_b64 s[2:3], vcc
	s_cbranch_execz .LBB61_114
.LBB61_142:
	v_mov_b32_e32 v25, 0x310
	v_lshl_add_u32 v25, v24, 2, v25
	ds_read_b32 v25, v25 offset:512
	s_waitcnt lgkmcnt(0)
	v_add_f32_e32 v18, v18, v25
	s_or_b64 exec, exec, s[2:3]
	s_and_saveexec_b64 s[2:3], vcc
	s_cbranch_execz .LBB61_115
.LBB61_143:
	v_mov_b32_e32 v25, 0x310
	v_lshl_add_u32 v25, v24, 2, v25
	ds_read_b32 v25, v25 offset:544
	s_waitcnt lgkmcnt(0)
	v_add_f32_e32 v19, v19, v25
	s_or_b64 exec, exec, s[2:3]
	s_and_saveexec_b64 s[2:3], vcc
	s_cbranch_execz .LBB61_116
.LBB61_144:
	v_mov_b32_e32 v25, 0x310
	v_lshl_add_u32 v25, v24, 2, v25
	ds_read_b32 v25, v25 offset:576
	s_waitcnt lgkmcnt(0)
	v_add_f32_e32 v16, v16, v25
	s_or_b64 exec, exec, s[2:3]
	s_and_saveexec_b64 s[2:3], vcc
	s_cbranch_execz .LBB61_117
.LBB61_145:
	v_mov_b32_e32 v25, 0x310
	v_lshl_add_u32 v25, v24, 2, v25
	ds_read_b32 v25, v25 offset:608
	s_waitcnt lgkmcnt(0)
	v_add_f32_e32 v17, v17, v25
	s_or_b64 exec, exec, s[2:3]
	s_and_saveexec_b64 s[2:3], vcc
	s_cbranch_execz .LBB61_118
.LBB61_146:
	v_mov_b32_e32 v25, 0x310
	v_lshl_add_u32 v25, v24, 2, v25
	ds_read_b32 v25, v25 offset:640
	s_waitcnt lgkmcnt(0)
	v_add_f32_e32 v14, v14, v25
	s_or_b64 exec, exec, s[2:3]
	s_and_saveexec_b64 s[2:3], vcc
	s_cbranch_execz .LBB61_119
.LBB61_147:
	v_mov_b32_e32 v25, 0x310
	v_lshl_add_u32 v25, v24, 2, v25
	ds_read_b32 v25, v25 offset:672
	s_waitcnt lgkmcnt(0)
	v_add_f32_e32 v15, v15, v25
	s_or_b64 exec, exec, s[2:3]
	s_and_saveexec_b64 s[2:3], vcc
	s_cbranch_execz .LBB61_120
.LBB61_148:
	v_mov_b32_e32 v25, 0x310
	v_lshl_add_u32 v25, v24, 2, v25
	ds_read_b32 v25, v25 offset:704
	s_waitcnt lgkmcnt(0)
	v_add_f32_e32 v22, v22, v25
	s_or_b64 exec, exec, s[2:3]
	s_and_saveexec_b64 s[2:3], vcc
	s_cbranch_execnz .LBB61_121
	s_branch .LBB61_122
	.section	.rodata,"a",@progbits
	.p2align	6, 0x0
	.amdhsa_kernel _ZN4vllm25paged_attention_v2_kernelIffLi192ELi32ELi128ELNS_18Fp8KVCacheDataTypeE0ELb0ELi512EEEvPfS2_PT_PKS3_PKT0_S9_ifPKiSB_iPKfiiiSD_SD_iiiii
		.amdhsa_group_segment_fixed_size 784
		.amdhsa_private_segment_fixed_size 224
		.amdhsa_kernarg_size 400
		.amdhsa_user_sgpr_count 2
		.amdhsa_user_sgpr_dispatch_ptr 0
		.amdhsa_user_sgpr_queue_ptr 0
		.amdhsa_user_sgpr_kernarg_segment_ptr 1
		.amdhsa_user_sgpr_dispatch_id 0
		.amdhsa_user_sgpr_kernarg_preload_length 0
		.amdhsa_user_sgpr_kernarg_preload_offset 0
		.amdhsa_user_sgpr_private_segment_size 0
		.amdhsa_uses_dynamic_stack 0
		.amdhsa_enable_private_segment 1
		.amdhsa_system_sgpr_workgroup_id_x 1
		.amdhsa_system_sgpr_workgroup_id_y 1
		.amdhsa_system_sgpr_workgroup_id_z 1
		.amdhsa_system_sgpr_workgroup_info 0
		.amdhsa_system_vgpr_workitem_id 0
		.amdhsa_next_free_vgpr 128
		.amdhsa_next_free_sgpr 53
		.amdhsa_accum_offset 128
		.amdhsa_reserve_vcc 1
		.amdhsa_float_round_mode_32 0
		.amdhsa_float_round_mode_16_64 0
		.amdhsa_float_denorm_mode_32 3
		.amdhsa_float_denorm_mode_16_64 3
		.amdhsa_dx10_clamp 1
		.amdhsa_ieee_mode 1
		.amdhsa_fp16_overflow 0
		.amdhsa_tg_split 0
		.amdhsa_exception_fp_ieee_invalid_op 0
		.amdhsa_exception_fp_denorm_src 0
		.amdhsa_exception_fp_ieee_div_zero 0
		.amdhsa_exception_fp_ieee_overflow 0
		.amdhsa_exception_fp_ieee_underflow 0
		.amdhsa_exception_fp_ieee_inexact 0
		.amdhsa_exception_int_div_zero 0
	.end_amdhsa_kernel
	.section	.text._ZN4vllm25paged_attention_v2_kernelIffLi192ELi32ELi128ELNS_18Fp8KVCacheDataTypeE0ELb0ELi512EEEvPfS2_PT_PKS3_PKT0_S9_ifPKiSB_iPKfiiiSD_SD_iiiii,"axG",@progbits,_ZN4vllm25paged_attention_v2_kernelIffLi192ELi32ELi128ELNS_18Fp8KVCacheDataTypeE0ELb0ELi512EEEvPfS2_PT_PKS3_PKT0_S9_ifPKiSB_iPKfiiiSD_SD_iiiii,comdat
.Lfunc_end61:
	.size	_ZN4vllm25paged_attention_v2_kernelIffLi192ELi32ELi128ELNS_18Fp8KVCacheDataTypeE0ELb0ELi512EEEvPfS2_PT_PKS3_PKT0_S9_ifPKiSB_iPKfiiiSD_SD_iiiii, .Lfunc_end61-_ZN4vllm25paged_attention_v2_kernelIffLi192ELi32ELi128ELNS_18Fp8KVCacheDataTypeE0ELb0ELi512EEEvPfS2_PT_PKS3_PKT0_S9_ifPKiSB_iPKfiiiSD_SD_iiiii
                                        ; -- End function
	.section	.AMDGPU.csdata,"",@progbits
; Kernel info:
; codeLenInByte = 11452
; NumSgprs: 59
; NumVgprs: 128
; NumAgprs: 0
; TotalNumVgprs: 128
; ScratchSize: 224
; MemoryBound: 0
; FloatMode: 240
; IeeeMode: 1
; LDSByteSize: 784 bytes/workgroup (compile time only)
; SGPRBlocks: 7
; VGPRBlocks: 15
; NumSGPRsForWavesPerEU: 59
; NumVGPRsForWavesPerEU: 128
; AccumOffset: 128
; Occupancy: 4
; WaveLimiterHint : 1
; COMPUTE_PGM_RSRC2:SCRATCH_EN: 1
; COMPUTE_PGM_RSRC2:USER_SGPR: 2
; COMPUTE_PGM_RSRC2:TRAP_HANDLER: 0
; COMPUTE_PGM_RSRC2:TGID_X_EN: 1
; COMPUTE_PGM_RSRC2:TGID_Y_EN: 1
; COMPUTE_PGM_RSRC2:TGID_Z_EN: 1
; COMPUTE_PGM_RSRC2:TIDIG_COMP_CNT: 0
; COMPUTE_PGM_RSRC3_GFX90A:ACCUM_OFFSET: 31
; COMPUTE_PGM_RSRC3_GFX90A:TG_SPLIT: 0
	.section	.text._ZN4vllm25paged_attention_v2_kernelIffLi256ELi32ELi128ELNS_18Fp8KVCacheDataTypeE0ELb0ELi512EEEvPfS2_PT_PKS3_PKT0_S9_ifPKiSB_iPKfiiiSD_SD_iiiii,"axG",@progbits,_ZN4vllm25paged_attention_v2_kernelIffLi256ELi32ELi128ELNS_18Fp8KVCacheDataTypeE0ELb0ELi512EEEvPfS2_PT_PKS3_PKT0_S9_ifPKiSB_iPKfiiiSD_SD_iiiii,comdat
	.protected	_ZN4vllm25paged_attention_v2_kernelIffLi256ELi32ELi128ELNS_18Fp8KVCacheDataTypeE0ELb0ELi512EEEvPfS2_PT_PKS3_PKT0_S9_ifPKiSB_iPKfiiiSD_SD_iiiii ; -- Begin function _ZN4vllm25paged_attention_v2_kernelIffLi256ELi32ELi128ELNS_18Fp8KVCacheDataTypeE0ELb0ELi512EEEvPfS2_PT_PKS3_PKT0_S9_ifPKiSB_iPKfiiiSD_SD_iiiii
	.globl	_ZN4vllm25paged_attention_v2_kernelIffLi256ELi32ELi128ELNS_18Fp8KVCacheDataTypeE0ELb0ELi512EEEvPfS2_PT_PKS3_PKT0_S9_ifPKiSB_iPKfiiiSD_SD_iiiii
	.p2align	8
	.type	_ZN4vllm25paged_attention_v2_kernelIffLi256ELi32ELi128ELNS_18Fp8KVCacheDataTypeE0ELb0ELi512EEEvPfS2_PT_PKS3_PKT0_S9_ifPKiSB_iPKfiiiSD_SD_iiiii,@function
_ZN4vllm25paged_attention_v2_kernelIffLi256ELi32ELi128ELNS_18Fp8KVCacheDataTypeE0ELb0ELi512EEEvPfS2_PT_PKS3_PKT0_S9_ifPKiSB_iPKfiiiSD_SD_iiiii: ; @_ZN4vllm25paged_attention_v2_kernelIffLi256ELi32ELi128ELNS_18Fp8KVCacheDataTypeE0ELb0ELi512EEEvPfS2_PT_PKS3_PKT0_S9_ifPKiSB_iPKfiiiSD_SD_iiiii
; %bb.0:
	s_load_dwordx2 s[6:7], s[0:1], 0x40
	s_mov_b32 s28, s3
	s_ashr_i32 s29, s3, 31
	s_lshl_b64 s[8:9], s[28:29], 2
	s_waitcnt lgkmcnt(0)
	s_add_u32 s6, s6, s8
	s_addc_u32 s7, s7, s9
	s_load_dword s29, s[6:7], 0x0
	s_lshl_b32 s40, s4, 9
	s_waitcnt lgkmcnt(0)
	s_cmp_ge_i32 s40, s29
	s_cbranch_scc1 .LBB62_149
; %bb.1:
	s_load_dword s5, s[0:1], 0x90
	s_load_dwordx2 s[10:11], s[0:1], 0x30
	v_mov_b32_e32 v44, v0
	s_waitcnt lgkmcnt(0)
	s_abs_i32 s7, s5
	s_abs_i32 s3, s10
	v_cvt_f32_u32_e32 v0, s3
	s_sub_i32 s8, 0, s3
	s_xor_b32 s6, s5, s10
	s_ashr_i32 s6, s6, 31
	v_rcp_iflag_f32_e32 v0, v0
	s_nop 0
	v_mul_f32_e32 v0, 0x4f7ffffe, v0
	v_cvt_u32_f32_e32 v0, v0
	s_nop 0
	v_readfirstlane_b32 s9, v0
	s_mul_i32 s8, s8, s9
	s_mul_hi_u32 s8, s9, s8
	s_add_i32 s9, s9, s8
	s_mul_hi_u32 s8, s7, s9
	s_mul_i32 s9, s8, s3
	s_sub_i32 s7, s7, s9
	s_add_i32 s10, s8, 1
	s_sub_i32 s9, s7, s3
	s_cmp_ge_u32 s7, s3
	s_cselect_b32 s8, s10, s8
	s_cselect_b32 s7, s9, s7
	s_add_i32 s9, s8, 1
	s_cmp_ge_u32 s7, s3
	s_cselect_b32 s3, s9, s8
	s_xor_b32 s3, s3, s6
	s_sub_i32 s12, s3, s6
	s_abs_i32 s8, s12
	v_cvt_f32_u32_e32 v0, s8
	s_load_dwordx2 s[6:7], s[0:1], 0x50
	s_sub_i32 s3, 0, s8
	s_abs_i32 s9, s2
	v_rcp_iflag_f32_e32 v0, v0
	s_mov_b32 s10, 0
	v_mul_f32_e32 v0, 0x4f7ffffe, v0
	v_cvt_u32_f32_e32 v0, v0
	s_nop 0
	v_readfirstlane_b32 s13, v0
	s_mul_i32 s3, s3, s13
	s_mul_hi_u32 s3, s13, s3
	s_add_i32 s13, s13, s3
	s_waitcnt lgkmcnt(0)
	s_cmp_eq_u64 s[6:7], 0
	s_mul_hi_u32 s16, s9, s13
	s_cbranch_scc1 .LBB62_3
; %bb.2:
	s_ashr_i32 s3, s2, 31
	s_lshl_b64 s[14:15], s[2:3], 2
	s_add_u32 s6, s6, s14
	s_addc_u32 s7, s7, s15
	s_load_dword s10, s[6:7], 0x0
.LBB62_3:
	s_ashr_i32 s18, s12, 31
	s_load_dwordx4 s[12:15], s[0:1], 0x58
	s_movk_i32 s3, 0x80
	s_ashr_i32 s17, s2, 31
	v_and_b32_e32 v0, 1, v44
	s_lshl_b32 s20, s2, 8
	v_cmp_gt_u32_e32 vcc, s3, v44
	v_lshlrev_b32_e32 v1, 3, v44
	v_lshlrev_b32_e32 v24, 2, v44
	s_and_saveexec_b64 s[6:7], vcc
	s_cbranch_execz .LBB62_5
; %bb.4:
	s_load_dwordx2 s[22:23], s[0:1], 0x18
	s_waitcnt lgkmcnt(0)
	s_mul_i32 s24, s28, s12
	s_ashr_i32 s25, s24, 31
	s_lshl_b64 s[24:25], s[24:25], 2
	v_and_b32_e32 v4, 0xff8, v24
	s_add_u32 s3, s22, s24
	s_addc_u32 s12, s23, s25
	s_ashr_i32 s21, s20, 31
	s_lshl_b64 s[22:23], s[20:21], 2
	s_add_u32 s22, s3, s22
	s_addc_u32 s23, s12, s23
	global_load_dwordx2 v[2:3], v1, s[22:23]
	v_lshl_add_u32 v4, v0, 9, v4
	s_waitcnt vmcnt(0)
	ds_write_b64 v4, v[2:3]
.LBB62_5:
	s_or_b64 exec, exec, s[6:7]
	s_add_i32 s3, s29, 31
	s_ashr_i32 s6, s3, 31
	s_lshr_b32 s6, s6, 27
	s_add_i32 s3, s3, s6
	s_waitcnt lgkmcnt(0)
	s_ashr_i32 s12, s3, 5
	s_lshl_b32 s3, s4, 4
	s_mul_i32 s7, s16, s8
	s_add_i32 s6, s3, 16
	s_sub_i32 s7, s9, s7
	s_min_i32 s33, s6, s12
	s_xor_b32 s6, s17, s18
	s_add_i32 s9, s16, 1
	s_sub_i32 s15, s7, s8
	s_cmp_ge_u32 s7, s8
	s_cselect_b32 s9, s9, s16
	s_cselect_b32 s7, s15, s7
	s_add_i32 s15, s9, 1
	s_cmp_ge_u32 s7, s8
	s_load_dwordx2 s[24:25], s[0:1], 0x38
	s_load_dword s8, s[0:1], 0x48
	v_lshrrev_b32_e32 v25, 6, v44
	s_cselect_b32 s7, s15, s9
	s_xor_b32 s7, s7, s6
	v_or_b32_e32 v14, s3, v25
	s_waitcnt lgkmcnt(0)
	s_mul_i32 s26, s28, s8
	s_sub_i32 s15, s7, s6
	s_ashr_i32 s27, s26, 31
	v_cmp_gt_i32_e64 s[8:9], s33, v14
	v_cmp_le_i32_e32 vcc, s33, v14
	v_mbcnt_lo_u32_b32 v2, -1, 0
	s_barrier
	s_waitcnt lgkmcnt(0)
                                        ; implicit-def: $sgpr36
                                        ; implicit-def: $vgpr7
                                        ; implicit-def: $vgpr8
	s_and_saveexec_b64 s[6:7], vcc
	s_xor_b64 s[6:7], exec, s[6:7]
; %bb.6:
	v_mbcnt_hi_u32_b32 v7, -1, v2
	v_and_b32_e32 v0, 64, v7
	v_add_u32_e32 v8, 64, v0
	s_mov_b32 s36, 0xff7fffff
                                        ; implicit-def: $vgpr1
                                        ; implicit-def: $vgpr0
                                        ; implicit-def: $vgpr2
; %bb.7:
	s_or_saveexec_b64 s[34:35], s[6:7]
	s_load_dwordx4 s[16:19], s[0:1], 0x0
	s_load_dwordx2 s[22:23], s[0:1], 0x10
	s_load_dwordx2 s[30:31], s[0:1], 0x28
	s_load_dword s21, s[0:1], 0x98
	v_mov_b32_e32 v21, s36
	s_mul_i32 s14, s15, s14
	v_ashrrev_i32_e32 v15, 31, v14
	scratch_store_dword off, v44, off offset:444 ; 4-byte Folded Spill
	s_xor_b64 exec, exec, s[34:35]
	s_cbranch_execz .LBB62_13
; %bb.8:
	s_load_dwordx2 s[0:1], s[0:1], 0x20
	s_ashr_i32 s15, s14, 31
	s_lshl_b64 s[6:7], s[14:15], 2
	v_bfe_u32 v8, v44, 1, 5
	v_lshlrev_b32_e32 v4, 4, v8
	s_waitcnt lgkmcnt(0)
	s_add_u32 s0, s0, s6
	s_addc_u32 s1, s1, s7
	v_mov_b32_e32 v5, 0
	v_lshl_add_u64 v[6:7], s[0:1], 0, v[4:5]
	v_and_b32_e32 v4, 8, v1
	v_lshl_add_u64 v[4:5], v[6:7], 0, v[4:5]
	v_lshlrev_b32_e32 v1, 9, v0
	scratch_store_dwordx2 off, v[4:5], off  ; 8-byte Folded Spill
	ds_read_b128 v[4:7], v1
	scratch_store_dword off, v24, off offset:144 ; 4-byte Folded Spill
	s_sub_i32 s15, 1, s29
	s_lshl_b64 s[0:1], s[26:27], 2
	v_lshlrev_b32_e32 v9, 2, v8
	s_waitcnt lgkmcnt(0)
	scratch_store_dwordx4 off, v[4:7], off offset:16 ; 16-byte Folded Spill
	ds_read_b128 v[4:7], v1 offset:16
	s_add_u32 s0, s24, s0
	s_addc_u32 s1, s25, s1
	s_mov_b32 s41, s13
	v_cmp_neq_f32_e64 s[6:7], s10, 0
	s_waitcnt lgkmcnt(0)
	scratch_store_dwordx4 off, v[4:7], off offset:32 ; 16-byte Folded Spill
	ds_read_b128 v[4:7], v1 offset:32
	v_lshl_add_u64 v[126:127], v[14:15], 2, s[0:1]
	s_mov_b64 s[36:37], 0
	v_mov_b32_e32 v21, 0xff7fffff
	s_movk_i32 s42, 0x1000
	s_waitcnt lgkmcnt(0)
	scratch_store_dwordx4 off, v[4:7], off offset:48 ; 16-byte Folded Spill
	ds_read_b128 v[4:7], v1 offset:48
	s_movk_i32 s43, 0x2000
	s_movk_i32 s44, 0x3000
	;; [unrolled: 1-line block ×4, first 2 shown]
	s_waitcnt lgkmcnt(0)
	scratch_store_dwordx4 off, v[4:7], off offset:64 ; 16-byte Folded Spill
	ds_read_b128 v[4:7], v1 offset:64
	s_movk_i32 s47, 0x6000
	s_movk_i32 s48, 0x7000
	v_mov_b32_e32 v18, v14
	s_waitcnt lgkmcnt(0)
	scratch_store_dwordx4 off, v[4:7], off offset:88 ; 16-byte Folded Spill
	ds_read_b128 v[4:7], v1 offset:80
	s_waitcnt lgkmcnt(0)
	scratch_store_dwordx4 off, v[4:7], off offset:104 ; 16-byte Folded Spill
	ds_read_b128 v[4:7], v1 offset:96
	s_waitcnt lgkmcnt(0)
	scratch_store_dwordx4 off, v[4:7], off offset:120 ; 16-byte Folded Spill
	s_nop 1
	v_mbcnt_hi_u32_b32 v4, -1, v2
	v_and_b32_e32 v3, 64, v4
	v_xor_b32_e32 v2, 1, v4
	v_add_u32_e32 v3, 64, v3
	v_cmp_lt_i32_e32 vcc, v2, v3
	ds_read_b128 v[30:33], v1 offset:112
	ds_read_b128 v[34:37], v1 offset:128
	;; [unrolled: 1-line block ×6, first 2 shown]
	v_cndmask_b32_e32 v2, v4, v2, vcc
	v_lshlrev_b32_e32 v2, 2, v2
	scratch_store_dword off, v3, off offset:168 ; 4-byte Folded Spill
	scratch_store_dword off, v4, off offset:160 ; 4-byte Folded Spill
	;; [unrolled: 1-line block ×3, first 2 shown]
	ds_read_b128 v[54:57], v1 offset:208
	ds_read_b128 v[58:61], v1 offset:224
	;; [unrolled: 1-line block ×19, first 2 shown]
	v_cmp_eq_u32_e32 vcc, 0, v0
	v_lshlrev_b32_e32 v0, 5, v25
	v_add3_u32 v16, s40, v0, v8
	v_lshl_or_b32 v0, v25, 7, v9
	v_add_u32_e32 v17, 0x410, v0
	scratch_store_dword off, v25, off offset:152 ; 4-byte Folded Spill
	scratch_store_dwordx2 off, v[14:15], off offset:80 ; 8-byte Folded Spill
	s_branch .LBB62_10
.LBB62_9:                               ;   in Loop: Header=BB62_10 Depth=1
	s_or_b64 exec, exec, s[38:39]
	v_add_u32_e32 v18, 2, v18
	v_cmp_le_i32_e64 s[0:1], s33, v18
	v_add_u32_e32 v16, 64, v16
	v_add_u32_e32 v17, 0x100, v17
	s_or_b64 s[36:37], s[0:1], s[36:37]
	v_lshl_add_u64 v[126:127], v[126:127], 0, 8
	s_andn2_b64 exec, exec, s[36:37]
	s_cbranch_execz .LBB62_12
.LBB62_10:                              ; =>This Inner Loop Header: Depth=1
	global_load_dword v0, v[126:127], off
	scratch_load_dwordx2 v[6:7], off, off   ; 8-byte Folded Reload
	s_waitcnt vmcnt(1) lgkmcnt(0)
	v_mad_i64_i32 v[0:1], s[0:1], v0, s41, 0
	s_waitcnt vmcnt(0)
	v_lshl_add_u64 v[10:11], v[0:1], 2, v[6:7]
	global_load_dwordx2 v[0:1], v[10:11], off offset:512
	scratch_load_dwordx4 v[6:9], off, off offset:16 ; 16-byte Folded Reload
	v_add_co_u32_e64 v22, s[0:1], s42, v10
	s_waitcnt vmcnt(0)
	v_mul_f32_e32 v19, v8, v0
	v_mul_f32_e32 v20, v9, v1
	global_load_dwordx2 v[0:1], v[10:11], off
	v_addc_co_u32_e64 v23, s[0:1], 0, v11, s[0:1]
	v_add_co_u32_e64 v24, s[0:1], s43, v10
	s_waitcnt vmcnt(0)
	v_fmac_f32_e32 v19, v6, v0
	v_fmac_f32_e32 v20, v7, v1
	global_load_dwordx2 v[0:1], v[10:11], off offset:1024
	scratch_load_dwordx4 v[6:9], off, off offset:32 ; 16-byte Folded Reload
	v_addc_co_u32_e64 v25, s[0:1], 0, v11, s[0:1]
	v_add_co_u32_e64 v14, s[0:1], s44, v10
	s_waitcnt vmcnt(0)
	v_fmac_f32_e32 v19, v6, v0
	v_fmac_f32_e32 v20, v7, v1
	global_load_dwordx2 v[0:1], v[10:11], off offset:1536
	v_addc_co_u32_e64 v15, s[0:1], 0, v11, s[0:1]
	v_add_co_u32_e64 v12, s[0:1], s45, v10
	s_waitcnt vmcnt(0)
	v_fmac_f32_e32 v19, v8, v0
	v_fmac_f32_e32 v20, v9, v1
	global_load_dwordx2 v[0:1], v[10:11], off offset:2048
	scratch_load_dwordx4 v[6:9], off, off offset:48 ; 16-byte Folded Reload
	v_addc_co_u32_e64 v13, s[0:1], 0, v11, s[0:1]
	s_waitcnt vmcnt(0)
	v_fmac_f32_e32 v19, v6, v0
	v_fmac_f32_e32 v20, v7, v1
	global_load_dwordx2 v[0:1], v[10:11], off offset:2560
	s_waitcnt vmcnt(0)
	v_fmac_f32_e32 v19, v8, v0
	v_fmac_f32_e32 v20, v9, v1
	global_load_dwordx2 v[0:1], v[10:11], off offset:3072
	scratch_load_dwordx4 v[26:29], off, off offset:64 ; 16-byte Folded Reload
	v_add_co_u32_e64 v8, s[0:1], s46, v10
	s_waitcnt vmcnt(0)
	v_fmac_f32_e32 v19, v26, v0
	v_addc_co_u32_e64 v9, s[0:1], 0, v11, s[0:1]
	v_add_co_u32_e64 v6, s[0:1], s47, v10
	v_fmac_f32_e32 v20, v27, v1
	s_nop 0
	v_addc_co_u32_e64 v7, s[0:1], 0, v11, s[0:1]
	v_add_co_u32_e64 v0, s[0:1], s48, v10
	s_nop 1
	v_addc_co_u32_e64 v1, s[0:1], 0, v11, s[0:1]
	global_load_dwordx2 v[10:11], v[10:11], off offset:3584
	s_waitcnt vmcnt(0)
	v_fmac_f32_e32 v19, v28, v10
	v_fmac_f32_e32 v20, v29, v11
	global_load_dwordx2 v[10:11], v[24:25], off offset:-4096
	scratch_load_dwordx4 v[26:29], off, off offset:88 ; 16-byte Folded Reload
	s_waitcnt vmcnt(0)
	v_fmac_f32_e32 v19, v26, v10
	v_fmac_f32_e32 v20, v27, v11
	global_load_dwordx2 v[10:11], v[22:23], off offset:512
	s_waitcnt vmcnt(0)
	v_fmac_f32_e32 v19, v28, v10
	v_fmac_f32_e32 v20, v29, v11
	global_load_dwordx2 v[10:11], v[22:23], off offset:1024
	scratch_load_dwordx4 v[26:29], off, off offset:104 ; 16-byte Folded Reload
	s_waitcnt vmcnt(0)
	v_fmac_f32_e32 v19, v26, v10
	v_fmac_f32_e32 v20, v27, v11
	global_load_dwordx2 v[10:11], v[22:23], off offset:1536
	s_waitcnt vmcnt(0)
	v_fmac_f32_e32 v19, v28, v10
	v_fmac_f32_e32 v20, v29, v11
	global_load_dwordx2 v[10:11], v[22:23], off offset:2048
	;; [unrolled: 9-line block ×3, first 2 shown]
	s_waitcnt vmcnt(0) lgkmcnt(14)
	v_fmac_f32_e32 v19, v30, v10
	v_fmac_f32_e32 v20, v31, v11
	global_load_dwordx2 v[10:11], v[22:23], off offset:3584
	s_waitcnt vmcnt(0)
	v_fmac_f32_e32 v19, v32, v10
	v_fmac_f32_e32 v20, v33, v11
	global_load_dwordx2 v[10:11], v[24:25], off
	s_waitcnt vmcnt(0)
	v_fmac_f32_e32 v19, v34, v10
	v_fmac_f32_e32 v20, v35, v11
	global_load_dwordx2 v[10:11], v[24:25], off offset:512
	s_waitcnt vmcnt(0)
	v_fmac_f32_e32 v19, v36, v10
	v_fmac_f32_e32 v20, v37, v11
	global_load_dwordx2 v[10:11], v[24:25], off offset:1024
	;; [unrolled: 4-line block ×7, first 2 shown]
	s_waitcnt vmcnt(0)
	v_fmac_f32_e32 v19, v48, v10
	v_fmac_f32_e32 v20, v49, v11
	global_load_dwordx2 v[10:11], v[12:13], off offset:-4096
	s_waitcnt vmcnt(0)
	v_fmac_f32_e32 v19, v50, v10
	v_fmac_f32_e32 v20, v51, v11
	global_load_dwordx2 v[10:11], v[14:15], off offset:512
	s_waitcnt vmcnt(0)
	v_fmac_f32_e32 v19, v52, v10
	v_fmac_f32_e32 v20, v53, v11
	global_load_dwordx2 v[10:11], v[14:15], off offset:1024
	;; [unrolled: 4-line block ×7, first 2 shown]
	s_waitcnt vmcnt(0)
	v_fmac_f32_e32 v19, v64, v10
	v_fmac_f32_e32 v20, v65, v11
	global_load_dwordx2 v[10:11], v[12:13], off
	s_waitcnt vmcnt(0)
	v_fmac_f32_e32 v19, v66, v10
	v_fmac_f32_e32 v20, v67, v11
	global_load_dwordx2 v[10:11], v[12:13], off offset:512
	s_waitcnt vmcnt(0)
	v_fmac_f32_e32 v19, v68, v10
	v_fmac_f32_e32 v20, v69, v11
	global_load_dwordx2 v[10:11], v[12:13], off offset:1024
	;; [unrolled: 4-line block ×4, first 2 shown]
	s_waitcnt vmcnt(0) lgkmcnt(13)
	v_fmac_f32_e32 v19, v74, v10
	v_fmac_f32_e32 v20, v75, v11
	global_load_dwordx2 v[10:11], v[12:13], off offset:2560
	s_waitcnt vmcnt(0)
	v_fmac_f32_e32 v19, v76, v10
	v_fmac_f32_e32 v20, v77, v11
	global_load_dwordx2 v[10:11], v[12:13], off offset:3072
	s_waitcnt vmcnt(0) lgkmcnt(12)
	v_fmac_f32_e32 v19, v78, v10
	v_fmac_f32_e32 v20, v79, v11
	global_load_dwordx2 v[10:11], v[12:13], off offset:3584
	s_waitcnt vmcnt(0)
	v_fmac_f32_e32 v19, v80, v10
	v_fmac_f32_e32 v20, v81, v11
	global_load_dwordx2 v[10:11], v[6:7], off offset:-4096
	s_waitcnt vmcnt(0) lgkmcnt(11)
	v_fmac_f32_e32 v19, v82, v10
	v_fmac_f32_e32 v20, v83, v11
	global_load_dwordx2 v[10:11], v[8:9], off offset:512
	s_waitcnt vmcnt(0)
	v_fmac_f32_e32 v19, v84, v10
	v_fmac_f32_e32 v20, v85, v11
	global_load_dwordx2 v[10:11], v[8:9], off offset:1024
	s_waitcnt vmcnt(0) lgkmcnt(10)
	v_fmac_f32_e32 v19, v86, v10
	v_fmac_f32_e32 v20, v87, v11
	global_load_dwordx2 v[10:11], v[8:9], off offset:1536
	s_waitcnt vmcnt(0)
	v_fmac_f32_e32 v19, v88, v10
	v_fmac_f32_e32 v20, v89, v11
	global_load_dwordx2 v[10:11], v[8:9], off offset:2048
	;; [unrolled: 8-line block ×3, first 2 shown]
	s_waitcnt vmcnt(0) lgkmcnt(8)
	v_fmac_f32_e32 v19, v94, v10
	global_load_dwordx2 v[8:9], v[8:9], off offset:3584
	v_fmac_f32_e32 v20, v95, v11
	s_waitcnt vmcnt(0)
	v_fmac_f32_e32 v19, v96, v8
	v_fmac_f32_e32 v20, v97, v9
	global_load_dwordx2 v[8:9], v[6:7], off
	s_waitcnt vmcnt(0) lgkmcnt(7)
	v_fmac_f32_e32 v19, v98, v8
	v_fmac_f32_e32 v20, v99, v9
	global_load_dwordx2 v[8:9], v[6:7], off offset:512
	s_waitcnt vmcnt(0)
	v_fmac_f32_e32 v19, v100, v8
	v_fmac_f32_e32 v20, v101, v9
	global_load_dwordx2 v[8:9], v[6:7], off offset:1024
	s_waitcnt vmcnt(0) lgkmcnt(6)
	v_fmac_f32_e32 v19, v102, v8
	v_fmac_f32_e32 v20, v103, v9
	global_load_dwordx2 v[8:9], v[6:7], off offset:1536
	s_waitcnt vmcnt(0)
	v_fmac_f32_e32 v19, v104, v8
	v_fmac_f32_e32 v20, v105, v9
	global_load_dwordx2 v[8:9], v[6:7], off offset:2048
	;; [unrolled: 8-line block ×3, first 2 shown]
	s_waitcnt vmcnt(0) lgkmcnt(4)
	v_fmac_f32_e32 v19, v110, v8
	global_load_dwordx2 v[6:7], v[6:7], off offset:3584
	v_fmac_f32_e32 v20, v111, v9
	s_waitcnt vmcnt(0)
	v_fmac_f32_e32 v19, v112, v6
	v_fmac_f32_e32 v20, v113, v7
	global_load_dwordx2 v[6:7], v[0:1], off
	s_waitcnt vmcnt(0) lgkmcnt(3)
	v_fmac_f32_e32 v19, v114, v6
	v_fmac_f32_e32 v20, v115, v7
	global_load_dwordx2 v[6:7], v[0:1], off offset:512
	s_waitcnt vmcnt(0)
	v_fmac_f32_e32 v19, v116, v6
	v_fmac_f32_e32 v20, v117, v7
	global_load_dwordx2 v[6:7], v[0:1], off offset:1024
	s_waitcnt vmcnt(0) lgkmcnt(2)
	v_fmac_f32_e32 v19, v118, v6
	v_fmac_f32_e32 v20, v119, v7
	global_load_dwordx2 v[6:7], v[0:1], off offset:1536
	s_waitcnt vmcnt(0)
	v_fmac_f32_e32 v19, v120, v6
	v_fmac_f32_e32 v20, v121, v7
	global_load_dwordx2 v[6:7], v[0:1], off offset:2048
	;; [unrolled: 8-line block ×3, first 2 shown]
	s_waitcnt vmcnt(0) lgkmcnt(0)
	v_fmac_f32_e32 v20, v3, v7
	global_load_dwordx2 v[0:1], v[0:1], off offset:3584
	v_fmac_f32_e32 v19, v2, v6
	s_waitcnt vmcnt(0)
	v_fmac_f32_e32 v20, v5, v1
	scratch_load_dword v1, off, off offset:136 ; 4-byte Folded Reload
	v_fmac_f32_e32 v19, v4, v0
	v_add_f32_e32 v0, v19, v20
	s_waitcnt vmcnt(0)
	ds_bpermute_b32 v1, v1, v0
	s_and_saveexec_b64 s[38:39], vcc
	s_cbranch_execz .LBB62_9
; %bb.11:                               ;   in Loop: Header=BB62_10 Depth=1
	v_add_u32_e32 v6, s15, v16
	v_cvt_f32_i32_e32 v6, v6
	s_waitcnt lgkmcnt(0)
	v_add_f32_e32 v0, v0, v1
	v_cmp_gt_i32_e64 s[0:1], s29, v16
	v_max_f32_e32 v1, v21, v21
	v_mul_f32_e32 v6, s10, v6
	v_cndmask_b32_e64 v6, 0, v6, s[6:7]
	v_fmac_f32_e32 v6, s11, v0
	v_cndmask_b32_e64 v0, 0, v6, s[0:1]
	ds_write_b32 v17, v0
	v_max_f32_e32 v0, v1, v6
	v_cndmask_b32_e64 v21, v21, v0, s[0:1]
	s_branch .LBB62_9
.LBB62_12:
	s_or_b64 exec, exec, s[36:37]
	scratch_load_dword v44, off, off offset:444 ; 4-byte Folded Reload
	scratch_load_dwordx2 v[14:15], off, off offset:80 ; 8-byte Folded Reload
	scratch_load_dword v24, off, off offset:144 ; 4-byte Folded Reload
	scratch_load_dword v25, off, off offset:152 ; 4-byte Folded Reload
	scratch_load_dword v7, off, off offset:160 ; 4-byte Folded Reload
	scratch_load_dword v8, off, off offset:168 ; 4-byte Folded Reload
.LBB62_13:
	s_or_b64 exec, exec, s[34:35]
	s_waitcnt vmcnt(1)
	v_xor_b32_e32 v0, 32, v7
	s_waitcnt vmcnt(0)
	v_cmp_lt_i32_e32 vcc, v0, v8
	v_xor_b32_e32 v3, 16, v7
	v_max_f32_e32 v2, v21, v21
	v_cndmask_b32_e32 v0, v7, v0, vcc
	v_lshlrev_b32_e32 v0, 2, v0
	s_waitcnt lgkmcnt(0)
	ds_bpermute_b32 v1, v0, v21
	v_cmp_lt_i32_e32 vcc, v3, v8
	v_xor_b32_e32 v4, 8, v7
	v_xor_b32_e32 v5, 4, v7
	v_and_b32_e32 v45, 63, v44
	s_waitcnt lgkmcnt(0)
	v_max_f32_e32 v1, v1, v1
	v_max_f32_e32 v2, v2, v1
	v_cndmask_b32_e32 v1, v7, v3, vcc
	v_lshlrev_b32_e32 v1, 2, v1
	ds_bpermute_b32 v3, v1, v2
	v_cmp_lt_i32_e32 vcc, v4, v8
	s_waitcnt lgkmcnt(0)
	v_max_f32_e32 v3, v3, v3
	v_max_f32_e32 v2, v2, v3
	v_cndmask_b32_e32 v3, v7, v4, vcc
	v_lshlrev_b32_e32 v3, 2, v3
	ds_bpermute_b32 v4, v3, v2
	v_cmp_lt_i32_e32 vcc, v5, v8
	s_waitcnt lgkmcnt(0)
	v_max_f32_e32 v4, v4, v4
	v_max_f32_e32 v2, v2, v4
	v_cndmask_b32_e32 v4, v7, v5, vcc
	v_lshlrev_b32_e32 v37, 2, v4
	ds_bpermute_b32 v4, v37, v2
	v_xor_b32_e32 v5, 2, v7
	v_cmp_lt_i32_e32 vcc, v5, v8
	s_waitcnt lgkmcnt(0)
	v_max_f32_e32 v4, v4, v4
	v_max_f32_e32 v2, v2, v4
	v_cndmask_b32_e32 v4, v7, v5, vcc
	v_lshlrev_b32_e32 v43, 2, v4
	ds_bpermute_b32 v5, v43, v2
	v_cmp_eq_u32_e32 vcc, 0, v45
	v_lshlrev_b32_e32 v4, 2, v25
	s_and_saveexec_b64 s[0:1], vcc
	s_cbranch_execz .LBB62_15
; %bb.14:
	s_waitcnt lgkmcnt(0)
	v_max_f32_e32 v5, v5, v5
	v_max_f32_e32 v2, v2, v2
	;; [unrolled: 1-line block ×3, first 2 shown]
	ds_write_b32 v4, v2 offset:1024
.LBB62_15:
	s_or_b64 exec, exec, s[0:1]
	v_cmp_gt_u32_e64 s[0:1], 2, v45
	v_mov_b32_e32 v2, 0xff7fffff
	s_waitcnt lgkmcnt(0)
	v_lshlrev_b32_e32 v5, 2, v45
	s_barrier
	s_and_saveexec_b64 s[6:7], s[0:1]
	s_cbranch_execz .LBB62_17
; %bb.16:
	ds_read_b32 v2, v5 offset:1024
.LBB62_17:
	s_or_b64 exec, exec, s[6:7]
	v_xor_b32_e32 v6, 1, v7
	v_cmp_lt_i32_e64 s[6:7], v6, v8
	s_sub_i32 s3, s33, s3
	s_lshl_b32 s3, s3, 5
	v_cndmask_b32_e64 v6, v7, v6, s[6:7]
	v_lshlrev_b32_e32 v46, 2, v6
	s_waitcnt lgkmcnt(0)
	ds_bpermute_b32 v6, v46, v2
	v_max_f32_e32 v2, v2, v2
	s_add_i32 s3, s3, s40
	s_min_i32 s15, s3, s29
	s_sub_i32 s3, s15, s40
	s_waitcnt lgkmcnt(0)
	v_max_f32_e32 v6, v6, v6
	v_max_f32_e32 v2, v2, v6
	v_lshlrev_b32_e32 v6, 2, v7
	v_and_b32_e32 v6, 0xffffff00, v6
	ds_bpermute_b32 v2, v6, v2
	v_cmp_gt_i32_e64 s[6:7], s3, v44
	v_mov_b32_e32 v7, 0
	s_and_saveexec_b64 s[34:35], s[6:7]
	s_cbranch_execz .LBB62_21
; %bb.18:
	v_mov_b32_e32 v7, 0x410
	v_lshl_add_u32 v8, v44, 2, v7
	s_mov_b64 s[36:37], 0
	v_mov_b32_e32 v7, 0
	v_mov_b32_e32 v9, v44
.LBB62_19:                              ; =>This Inner Loop Header: Depth=1
	ds_read_b32 v10, v8
	v_add_u32_e32 v9, 0x80, v9
	v_cmp_le_i32_e64 s[10:11], s3, v9
	s_or_b64 s[36:37], s[10:11], s[36:37]
	s_waitcnt lgkmcnt(0)
	v_sub_f32_e32 v10, v10, v2
	v_mul_f32_e32 v10, 0x3fb8aa3b, v10
	v_exp_f32_e32 v10, v10
	ds_write_b32 v8, v10
	v_add_f32_e32 v7, v7, v10
	v_add_u32_e32 v8, 0x200, v8
	s_andn2_b64 exec, exec, s[36:37]
	s_cbranch_execnz .LBB62_19
; %bb.20:
	s_or_b64 exec, exec, s[36:37]
.LBB62_21:
	s_or_b64 exec, exec, s[34:35]
	ds_bpermute_b32 v0, v0, v7
	s_waitcnt lgkmcnt(0)
	v_add_f32_e32 v0, v7, v0
	ds_bpermute_b32 v1, v1, v0
	s_waitcnt lgkmcnt(0)
	v_add_f32_e32 v0, v0, v1
	;; [unrolled: 3-line block ×6, first 2 shown]
	s_and_saveexec_b64 s[10:11], vcc
	s_cbranch_execz .LBB62_23
; %bb.22:
	ds_write_b32 v4, v0 offset:1032
.LBB62_23:
	s_or_b64 exec, exec, s[10:11]
	s_waitcnt lgkmcnt(0)
	s_barrier
	s_and_saveexec_b64 s[10:11], s[0:1]
	s_cbranch_execz .LBB62_25
; %bb.24:
	ds_read_b32 v0, v5 offset:1032
.LBB62_25:
	s_or_b64 exec, exec, s[10:11]
	s_waitcnt lgkmcnt(0)
	ds_bpermute_b32 v1, v46, v0
	s_waitcnt lgkmcnt(0)
	v_add_f32_e32 v0, v0, v1
	ds_bpermute_b32 v3, v6, v0
	s_and_saveexec_b64 s[0:1], s[6:7]
	s_cbranch_execz .LBB62_38
; %bb.26:
	s_waitcnt lgkmcnt(0)
	v_add_f32_e32 v0, 0x358637bd, v3
	v_div_scale_f32 v1, s[6:7], v0, v0, 1.0
	v_rcp_f32_e32 v4, v1
	v_div_scale_f32 v5, vcc, 1.0, v0, 1.0
	s_movk_i32 s6, 0x7f
	v_fma_f32 v6, -v1, v4, 1.0
	v_fmac_f32_e32 v4, v6, v4
	v_mul_f32_e32 v6, v5, v4
	v_fma_f32 v7, -v1, v6, v5
	v_fmac_f32_e32 v6, v7, v4
	v_fma_f32 v1, -v1, v6, v5
	v_div_fmas_f32 v1, v1, v4, v6
	v_div_fixup_f32 v0, v1, v0, 1.0
	v_xad_u32 v1, v44, -1, s15
	v_subrev_u32_e32 v4, s40, v1
	v_cmp_lt_u32_e32 vcc, s6, v4
	s_mov_b64 s[10:11], -1
	v_mov_b32_e32 v1, v44
	s_and_saveexec_b64 s[6:7], vcc
	s_cbranch_execz .LBB62_35
; %bb.27:
	v_lshrrev_b32_e32 v4, 7, v4
	v_add_u32_e32 v6, -1, v4
	v_lshrrev_b32_e32 v5, 1, v6
	v_mov_b32_e32 v1, v0
	v_add_u32_e32 v5, 1, v5
	v_cmp_lt_u32_e32 vcc, 13, v6
	v_mov_b32_e32 v8, 0
	s_and_saveexec_b64 s[10:11], vcc
	s_cbranch_execz .LBB62_31
; %bb.28:
	v_mov_b32_e32 v7, 0x410
	v_mov_b64_e32 v[16:17], v[14:15]
	v_and_b32_e32 v6, -8, v5
	v_lshl_add_u32 v7, v44, 2, v7
	s_mov_b32 s15, 0
	s_mov_b64 s[34:35], 0
.LBB62_29:                              ; =>This Inner Loop Header: Depth=1
	ds_read2st64_b32 v[8:9], v7 offset1:2
	ds_read2st64_b32 v[10:11], v7 offset0:4 offset1:6
	ds_read2st64_b32 v[12:13], v7 offset0:8 offset1:10
	;; [unrolled: 1-line block ×3, first 2 shown]
	v_add_u32_e32 v6, -8, v6
	s_waitcnt lgkmcnt(3)
	v_pk_mul_f32 v[8:9], v[0:1], v[8:9]
	s_waitcnt lgkmcnt(2)
	v_pk_mul_f32 v[10:11], v[0:1], v[10:11]
	ds_write2st64_b32 v7, v8, v9 offset1:2
	ds_write2st64_b32 v7, v10, v11 offset0:4 offset1:6
	ds_read2st64_b32 v[10:11], v7 offset0:16 offset1:18
	s_waitcnt lgkmcnt(4)
	v_pk_mul_f32 v[8:9], v[0:1], v[12:13]
	ds_write2st64_b32 v7, v8, v9 offset0:8 offset1:10
	s_waitcnt lgkmcnt(4)
	v_pk_mul_f32 v[8:9], v[0:1], v[14:15]
	ds_write2st64_b32 v7, v8, v9 offset0:12 offset1:14
	ds_read2st64_b32 v[8:9], v7 offset0:20 offset1:22
	s_waitcnt lgkmcnt(3)
	v_pk_mul_f32 v[10:11], v[0:1], v[10:11]
	ds_read2st64_b32 v[12:13], v7 offset0:24 offset1:26
	ds_write2st64_b32 v7, v10, v11 offset0:16 offset1:18
	ds_read2st64_b32 v[10:11], v7 offset0:28 offset1:30
	s_waitcnt lgkmcnt(3)
	v_pk_mul_f32 v[8:9], v[0:1], v[8:9]
	ds_write2st64_b32 v7, v8, v9 offset0:20 offset1:22
	s_waitcnt lgkmcnt(3)
	v_pk_mul_f32 v[8:9], v[0:1], v[12:13]
	ds_write2st64_b32 v7, v8, v9 offset0:24 offset1:26
	s_waitcnt lgkmcnt(2)
	v_pk_mul_f32 v[8:9], v[0:1], v[10:11]
	s_add_i32 s15, s15, 16
	v_cmp_eq_u32_e32 vcc, 0, v6
	ds_write2st64_b32 v7, v8, v9 offset0:28 offset1:30
	v_add_u32_e32 v7, 0x2000, v7
	s_or_b64 s[34:35], vcc, s[34:35]
	v_mov_b32_e32 v8, s15
	s_andn2_b64 exec, exec, s[34:35]
	s_cbranch_execnz .LBB62_29
; %bb.30:
	s_or_b64 exec, exec, s[34:35]
	v_mov_b64_e32 v[14:15], v[16:17]
.LBB62_31:
	s_or_b64 exec, exec, s[10:11]
	v_and_b32_e32 v5, 7, v5
	v_cmp_ne_u32_e32 vcc, 0, v5
	s_and_saveexec_b64 s[10:11], vcc
	s_cbranch_execz .LBB62_34
; %bb.32:
	v_lshlrev_b32_e32 v6, 9, v8
	s_movk_i32 s15, 0x410
	v_add3_u32 v6, v6, v24, s15
	s_mov_b64 s[34:35], 0
.LBB62_33:                              ; =>This Inner Loop Header: Depth=1
	ds_read2st64_b32 v[8:9], v6 offset1:2
	v_add_u32_e32 v5, -1, v5
	v_cmp_eq_u32_e32 vcc, 0, v5
	s_or_b64 s[34:35], vcc, s[34:35]
	s_waitcnt lgkmcnt(0)
	v_pk_mul_f32 v[8:9], v[0:1], v[8:9]
	ds_write2st64_b32 v6, v8, v9 offset1:2
	v_add_u32_e32 v6, 0x400, v6
	s_andn2_b64 exec, exec, s[34:35]
	s_cbranch_execnz .LBB62_33
.LBB62_34:
	s_or_b64 exec, exec, s[10:11]
	v_add_u32_e32 v4, 1, v4
	v_and_b32_e32 v5, 0x3fffffe, v4
	v_cmp_ne_u32_e32 vcc, v4, v5
	v_lshl_add_u32 v1, v5, 7, v44
	s_orn2_b64 s[10:11], vcc, exec
.LBB62_35:
	s_or_b64 exec, exec, s[6:7]
	s_and_b64 exec, exec, s[10:11]
	s_cbranch_execz .LBB62_38
; %bb.36:
	v_mov_b32_e32 v4, 0x410
	v_lshl_add_u32 v4, v1, 2, v4
	s_mov_b64 s[6:7], 0
.LBB62_37:                              ; =>This Inner Loop Header: Depth=1
	ds_read_b32 v5, v4
	v_add_u32_e32 v1, 0x80, v1
	v_cmp_le_i32_e32 vcc, s3, v1
	s_or_b64 s[6:7], vcc, s[6:7]
	s_waitcnt lgkmcnt(0)
	v_mul_f32_e32 v5, v0, v5
	ds_write_b32 v4, v5
	v_add_u32_e32 v4, 0x200, v4
	s_andn2_b64 exec, exec, s[6:7]
	s_cbranch_execnz .LBB62_37
.LBB62_38:
	s_or_b64 exec, exec, s[0:1]
	s_mul_i32 s0, s21, s28
	v_cmp_eq_u32_e32 vcc, 0, v44
	s_mul_i32 s6, s0, s5
	s_waitcnt lgkmcnt(0)
	s_barrier
	s_and_saveexec_b64 s[0:1], vcc
	s_cbranch_execz .LBB62_40
; %bb.39:
	s_ashr_i32 s7, s6, 31
	s_lshl_b64 s[10:11], s[6:7], 2
	s_add_u32 s5, s18, s10
	s_mul_i32 s2, s21, s2
	s_addc_u32 s7, s19, s11
	s_ashr_i32 s3, s2, 31
	s_lshl_b64 s[2:3], s[2:3], 2
	s_add_u32 s15, s5, s2
	s_addc_u32 s7, s7, s3
	s_ashr_i32 s5, s4, 31
	s_lshl_b64 s[18:19], s[4:5], 2
	s_add_u32 s34, s15, s18
	s_addc_u32 s35, s7, s19
	s_add_u32 s5, s16, s10
	s_addc_u32 s7, s17, s11
	;; [unrolled: 2-line block ×3, first 2 shown]
	s_add_u32 s2, s2, s18
	v_mov_b32_e32 v0, 0
	s_addc_u32 s3, s3, s19
	global_store_dword v0, v2, s[34:35]
	global_store_dword v0, v3, s[2:3]
.LBB62_40:
	s_or_b64 exec, exec, s[0:1]
	v_mov_b32_e32 v22, 0
	v_and_b32_e32 v47, 7, v44
	v_mov_b32_e32 v23, 0
	v_mov_b32_e32 v0, 0
	;; [unrolled: 1-line block ×31, first 2 shown]
	s_and_saveexec_b64 s[2:3], s[8:9]
	s_cbranch_execz .LBB62_108
; %bb.41:
	v_and_b32_e32 v0, 0xfc, v24
	v_or_b32_e32 v2, 0x400, v0
	v_or_b32_e32 v4, 0x500, v0
	;; [unrolled: 1-line block ×3, first 2 shown]
	v_lshl_add_u32 v3, v25, 5, s40
	v_lshlrev_b32_e32 v16, 2, v2
	v_lshlrev_b32_e32 v2, 2, v4
	scratch_store_dword off, v46, off offset:460 ; 4-byte Folded Spill
	scratch_store_dword off, v37, off offset:456 ; 4-byte Folded Spill
	;; [unrolled: 1-line block ×4, first 2 shown]
	v_or_b32_e32 v8, 0x700, v0
	scratch_store_dwordx2 off, v[2:3], off offset:208 ; 8-byte Folded Spill
	v_lshlrev_b32_e32 v2, 2, v6
	v_or_b32_e32 v10, 0x800, v0
	scratch_store_dwordx2 off, v[2:3], off offset:216 ; 8-byte Folded Spill
	v_lshlrev_b32_e32 v2, 2, v8
	;; [unrolled: 3-line block ×3, first 2 shown]
	v_mov_b64_e32 v[60:61], v[14:15]
	v_or_b32_e32 v14, 0xa00, v0
	scratch_store_dwordx2 off, v[2:3], off offset:232 ; 8-byte Folded Spill
	v_lshlrev_b32_e32 v2, 2, v12
	v_or_b32_e32 v64, 0xb00, v0
	scratch_store_dwordx2 off, v[2:3], off offset:240 ; 8-byte Folded Spill
	v_lshlrev_b32_e32 v2, 2, v14
	;; [unrolled: 3-line block ×16, first 2 shown]
	s_ashr_i32 s15, s14, 31
	v_or_b32_e32 v48, 0x1a00, v0
	scratch_store_dwordx2 off, v[2:3], off offset:360 ; 8-byte Folded Spill
	v_lshlrev_b32_e32 v2, 2, v46
	s_lshl_b64 s[0:1], s[14:15], 2
	v_or_b32_e32 v50, 0x1b00, v0
	scratch_store_dwordx2 off, v[2:3], off offset:368 ; 8-byte Folded Spill
	v_lshlrev_b32_e32 v2, 2, v48
	v_and_b32_e32 v1, 28, v24
	s_add_u32 s8, s30, s0
	v_or_b32_e32 v52, 0x1c00, v0
	scratch_store_dwordx2 off, v[2:3], off offset:376 ; 8-byte Folded Spill
	v_lshlrev_b32_e32 v2, 2, v50
	s_addc_u32 s9, s31, s1
	s_add_i32 s7, s12, -1
	v_or_b32_e32 v54, 0x1d00, v0
	v_or_b32_e32 v58, 0x1f00, v24
	v_add3_u32 v24, v3, v1, 3
	v_lshlrev_b32_e32 v1, 4, v47
	s_lshl_b64 s[0:1], s[26:27], 2
	scratch_store_dwordx2 off, v[2:3], off offset:384 ; 8-byte Folded Spill
	v_lshlrev_b32_e32 v2, 2, v52
	v_mov_b32_e32 v17, 0
	v_or_b32_e32 v56, 0x1e00, v0
	v_lshl_or_b32 v1, v25, 7, v1
	s_add_u32 s0, s24, s0
	scratch_store_dwordx2 off, v[2:3], off offset:392 ; 8-byte Folded Spill
	v_lshlrev_b32_e32 v2, 2, v54
	v_add_u32_e32 v5, 0x410, v1
	s_addc_u32 s1, s25, s1
	v_lshlrev_b32_e32 v0, 2, v0
	scratch_store_dwordx2 off, v[2:3], off offset:400 ; 8-byte Folded Spill
	v_lshlrev_b32_e32 v2, 2, v56
	v_mov_b32_e32 v1, v17
	s_mov_b32 s5, s13
	v_lshl_add_u64 v[62:63], v[60:61], 2, s[0:1]
	s_mov_b64 s[10:11], 0
	v_mov_b32_e32 v8, v60
	scratch_store_dwordx2 off, v[2:3], off offset:408 ; 8-byte Folded Spill
	v_lshlrev_b32_e32 v2, 2, v58
	scratch_store_dwordx2 off, v[0:1], off offset:436 ; 8-byte Folded Spill
	v_mov_b32_e32 v0, v17
	v_mov_b32_e32 v19, v17
	v_mov_b32_e32 v18, v17
	v_mov_b32_e32 v21, v17
	v_mov_b32_e32 v20, v17
	v_mov_b32_e32 v23, v17
	v_mov_b32_e32 v22, v17
	scratch_store_dword off, v47, off offset:464 ; 4-byte Folded Spill
	scratch_store_dwordx2 off, v[2:3], off offset:416 ; 8-byte Folded Spill
	scratch_store_dwordx2 off, v[0:1], off offset:88 ; 8-byte Folded Spill
	;; [unrolled: 1-line block ×13, first 2 shown]
	s_branch .LBB62_43
.LBB62_42:                              ;   in Loop: Header=BB62_43 Depth=1
	s_or_b64 exec, exec, s[0:1]
	s_waitcnt lgkmcnt(0)
	v_mul_f32_e32 v83, v3, v83
	v_fmac_f32_e32 v83, v2, v82
	v_mul_f32_e32 v25, v3, v87
	v_fmac_f32_e32 v83, v4, v84
	v_fmac_f32_e32 v25, v2, v86
	;; [unrolled: 1-line block ×3, first 2 shown]
	scratch_load_dwordx2 v[84:85], off, off offset:88 ; 8-byte Folded Reload
	scratch_load_dwordx2 v[86:87], off, off offset:104 ; 8-byte Folded Reload
	v_mul_f32_e32 v7, v3, v7
	v_fmac_f32_e32 v7, v2, v6
	v_mul_f32_e32 v6, v3, v123
	v_fmac_f32_e32 v6, v2, v122
	v_fmac_f32_e32 v7, v4, v8
	;; [unrolled: 1-line block ×5, first 2 shown]
	v_mul_f32_e32 v8, v3, v119
	v_mul_f32_e32 v9, v3, v115
	v_fmac_f32_e32 v8, v2, v118
	v_fmac_f32_e32 v9, v2, v114
	;; [unrolled: 1-line block ×6, first 2 shown]
	v_mul_f32_e32 v11, v3, v11
	v_fmac_f32_e32 v11, v2, v10
	v_fmac_f32_e32 v11, v4, v12
	v_mul_f32_e32 v10, v3, v111
	v_mul_f32_e32 v12, v3, v103
	v_fmac_f32_e32 v10, v2, v110
	v_fmac_f32_e32 v12, v2, v102
	;; [unrolled: 1-line block ×7, first 2 shown]
	v_mul_f32_e32 v13, v3, v99
	v_mul_f32_e32 v14, v3, v95
	v_fmac_f32_e32 v13, v2, v98
	v_fmac_f32_e32 v14, v2, v94
	;; [unrolled: 1-line block ×6, first 2 shown]
	v_mul_f32_e32 v15, v3, v91
	v_fmac_f32_e32 v15, v2, v90
	v_fmac_f32_e32 v15, v4, v92
	;; [unrolled: 1-line block ×5, first 2 shown]
	v_add_u32_e32 v24, 64, v24
	s_waitcnt vmcnt(1)
	v_add_f32_e32 v84, v84, v11
	s_waitcnt vmcnt(0)
	v_add_f32_e32 v87, v87, v7
	v_add_f32_e32 v86, v86, v6
	scratch_load_dwordx2 v[6:7], off, off offset:120 ; 8-byte Folded Reload
	s_waitcnt vmcnt(0)
	v_add_f32_e32 v7, v7, v8
	v_add_f32_e32 v6, v6, v9
	scratch_store_dwordx2 off, v[6:7], off offset:120 ; 8-byte Folded Spill
	scratch_load_dwordx2 v[6:7], off, off offset:136 ; 8-byte Folded Reload
	s_nop 0
	scratch_load_dwordx2 v[8:9], off, off offset:160 ; 8-byte Folded Reload
	s_waitcnt vmcnt(1)
	v_add_f32_e32 v7, v7, v10
	v_add_f32_e32 v6, v6, v12
	scratch_store_dwordx2 off, v[6:7], off offset:136 ; 8-byte Folded Spill
	scratch_load_dwordx2 v[6:7], off, off offset:144 ; 8-byte Folded Reload
	s_waitcnt vmcnt(2)
	v_add_f32_e32 v9, v9, v83
	scratch_store_dwordx2 off, v[86:87], off offset:104 ; 8-byte Folded Spill
	s_waitcnt vmcnt(1)
	v_add_f32_e32 v7, v7, v13
	v_add_f32_e32 v6, v6, v14
	scratch_store_dwordx2 off, v[6:7], off offset:144 ; 8-byte Folded Spill
	scratch_load_dwordx2 v[6:7], off, off offset:152 ; 8-byte Folded Reload
	s_waitcnt vmcnt(0)
	v_add_f32_e32 v7, v7, v15
	v_add_f32_e32 v6, v6, v25
	scratch_store_dwordx2 off, v[6:7], off offset:152 ; 8-byte Folded Spill
	v_mul_f32_e32 v6, v3, v79
	v_fmac_f32_e32 v6, v2, v78
	v_fmac_f32_e32 v6, v4, v80
	;; [unrolled: 1-line block ×3, first 2 shown]
	v_add_f32_e32 v8, v8, v6
	scratch_store_dwordx2 off, v[8:9], off offset:160 ; 8-byte Folded Spill
	scratch_load_dwordx2 v[8:9], off, off offset:168 ; 8-byte Folded Reload
	v_mul_f32_e32 v6, v3, v75
	v_fmac_f32_e32 v6, v2, v74
	v_fmac_f32_e32 v6, v4, v76
	;; [unrolled: 1-line block ×3, first 2 shown]
	s_waitcnt vmcnt(0)
	v_add_f32_e32 v9, v9, v6
	v_mul_f32_e32 v6, v3, v71
	v_fmac_f32_e32 v6, v2, v70
	v_fmac_f32_e32 v6, v4, v72
	;; [unrolled: 1-line block ×3, first 2 shown]
	v_add_f32_e32 v8, v8, v6
	scratch_store_dwordx2 off, v[8:9], off offset:168 ; 8-byte Folded Spill
	scratch_load_dwordx2 v[8:9], off, off offset:176 ; 8-byte Folded Reload
	v_mul_f32_e32 v6, v3, v67
	v_fmac_f32_e32 v6, v2, v66
	v_fmac_f32_e32 v6, v4, v68
	;; [unrolled: 1-line block ×3, first 2 shown]
	s_waitcnt vmcnt(0)
	v_add_f32_e32 v9, v9, v6
	v_mul_f32_e32 v6, v3, v63
	v_fmac_f32_e32 v6, v2, v62
	v_fmac_f32_e32 v6, v4, v64
	v_fmac_f32_e32 v6, v5, v65
	v_add_f32_e32 v8, v8, v6
	scratch_store_dwordx2 off, v[8:9], off offset:176 ; 8-byte Folded Spill
	scratch_load_dwordx2 v[8:9], off, off offset:184 ; 8-byte Folded Reload
	v_mul_f32_e32 v6, v3, v59
	v_fmac_f32_e32 v6, v2, v58
	v_fmac_f32_e32 v6, v4, v60
	;; [unrolled: 1-line block ×3, first 2 shown]
	scratch_load_dwordx2 v[62:63], off, off offset:428 ; 8-byte Folded Reload
	s_waitcnt vmcnt(1)
	v_add_f32_e32 v9, v9, v6
	v_mul_f32_e32 v6, v3, v55
	v_fmac_f32_e32 v6, v2, v54
	v_fmac_f32_e32 v6, v4, v56
	;; [unrolled: 1-line block ×3, first 2 shown]
	v_add_f32_e32 v8, v8, v6
	scratch_store_dwordx2 off, v[8:9], off offset:184 ; 8-byte Folded Spill
	scratch_load_dwordx2 v[8:9], off, off offset:192 ; 8-byte Folded Reload
	v_mul_f32_e32 v6, v3, v51
	v_fmac_f32_e32 v6, v2, v50
	v_fmac_f32_e32 v6, v4, v52
	;; [unrolled: 1-line block ×3, first 2 shown]
	s_waitcnt vmcnt(2)
	v_lshl_add_u64 v[62:63], v[62:63], 0, 8
	s_waitcnt vmcnt(0)
	v_add_f32_e32 v9, v9, v6
	v_mul_f32_e32 v6, v3, v47
	v_fmac_f32_e32 v6, v2, v46
	v_fmac_f32_e32 v6, v4, v48
	;; [unrolled: 1-line block ×3, first 2 shown]
	v_add_f32_e32 v8, v8, v6
	scratch_store_dwordx2 off, v[8:9], off offset:192 ; 8-byte Folded Spill
	scratch_load_dwordx2 v[8:9], off, off offset:200 ; 8-byte Folded Reload
	v_mul_f32_e32 v6, v3, v43
	v_fmac_f32_e32 v6, v2, v42
	v_fmac_f32_e32 v6, v4, v44
	;; [unrolled: 1-line block ×3, first 2 shown]
	s_waitcnt vmcnt(0)
	v_add_f32_e32 v9, v9, v6
	v_mul_f32_e32 v6, v3, v39
	v_fmac_f32_e32 v6, v2, v38
	v_fmac_f32_e32 v6, v4, v40
	v_fmac_f32_e32 v6, v5, v41
	v_add_f32_e32 v8, v8, v6
	scratch_store_dwordx2 off, v[8:9], off offset:200 ; 8-byte Folded Spill
	scratch_load_dwordx4 v[8:11], off, off offset:64 ; 16-byte Folded Reload
	v_mul_f32_e32 v6, v3, v35
	v_fmac_f32_e32 v6, v2, v34
	v_fmac_f32_e32 v6, v4, v36
	v_fmac_f32_e32 v6, v5, v37
	v_add_f32_e32 v19, v19, v6
	v_mul_f32_e32 v6, v3, v31
	v_fmac_f32_e32 v6, v2, v30
	v_fmac_f32_e32 v6, v4, v32
	v_fmac_f32_e32 v6, v5, v33
	v_add_f32_e32 v18, v18, v6
	;; [unrolled: 5-line block ×3, first 2 shown]
	s_waitcnt vmcnt(0)
	v_mul_f32_e32 v6, v3, v9
	v_fmac_f32_e32 v6, v2, v8
	v_fmac_f32_e32 v6, v4, v10
	v_fmac_f32_e32 v6, v5, v11
	scratch_load_dwordx4 v[8:11], off, off offset:48 ; 16-byte Folded Reload
	v_add_f32_e32 v20, v20, v6
	s_waitcnt vmcnt(0)
	v_mul_f32_e32 v6, v3, v9
	v_fmac_f32_e32 v6, v2, v8
	v_fmac_f32_e32 v6, v4, v10
	v_fmac_f32_e32 v6, v5, v11
	scratch_load_dwordx4 v[8:11], off, off offset:32 ; 16-byte Folded Reload
	v_add_f32_e32 v1, v1, v6
	s_waitcnt vmcnt(0)
	v_mul_f32_e32 v6, v3, v9
	v_fmac_f32_e32 v6, v2, v8
	v_fmac_f32_e32 v6, v4, v10
	v_fmac_f32_e32 v6, v5, v11
	scratch_load_dwordx4 v[8:11], off, off offset:16 ; 16-byte Folded Reload
	v_add_f32_e32 v0, v0, v6
	s_waitcnt vmcnt(0)
	v_mul_f32_e32 v6, v3, v9
	v_fmac_f32_e32 v6, v2, v8
	v_fmac_f32_e32 v6, v4, v10
	v_fmac_f32_e32 v6, v5, v11
	scratch_load_dwordx4 v[8:11], off, off  ; 16-byte Folded Reload
	v_add_f32_e32 v23, v23, v6
	s_waitcnt vmcnt(0)
	v_mul_f32_e32 v6, v3, v9
	v_mul_f32_e32 v3, v3, v107
	v_fmac_f32_e32 v6, v2, v8
	v_fmac_f32_e32 v3, v2, v106
	scratch_load_dwordx2 v[8:9], off, off offset:80 ; 8-byte Folded Reload
	v_fmac_f32_e32 v6, v4, v10
	v_fmac_f32_e32 v3, v4, v108
	;; [unrolled: 1-line block ×4, first 2 shown]
	scratch_load_dword v5, off, off offset:424 ; 4-byte Folded Reload
	v_add_f32_e32 v22, v22, v6
	v_add_f32_e32 v85, v85, v3
	scratch_store_dwordx2 off, v[84:85], off offset:88 ; 8-byte Folded Spill
	s_waitcnt vmcnt(2)
	v_add_u32_e32 v8, 2, v8
	v_cmp_le_i32_e32 vcc, s33, v8
	s_or_b64 s[10:11], vcc, s[10:11]
	s_waitcnt vmcnt(1)
	v_add_u32_e32 v5, 0x100, v5
	s_andn2_b64 exec, exec, s[10:11]
	s_cbranch_execz .LBB62_107
.LBB62_43:                              ; =>This Inner Loop Header: Depth=1
	global_load_dword v2, v[62:63], off
	v_add_u32_e32 v25, -3, v24
	scratch_store_dwordx2 off, v[62:63], off offset:428 ; 8-byte Folded Spill
	v_cmp_eq_u32_e32 vcc, s7, v8
	v_add_u32_e32 v15, -2, v24
	v_add_u32_e32 v14, -1, v24
	s_waitcnt vmcnt(1)
	v_mad_i64_i32 v[2:3], s[0:1], v2, s5, 0
	v_lshl_add_u64 v[106:107], v[2:3], 2, s[8:9]
	scratch_load_dwordx2 v[2:3], off, off offset:436 ; 8-byte Folded Reload
	s_waitcnt vmcnt(0)
	v_lshl_add_u64 v[6:7], v[106:107], 0, v[2:3]
	global_load_dwordx4 v[10:13], v[6:7], off
	s_waitcnt vmcnt(0)
	scratch_store_dwordx4 off, v[10:13], off ; 16-byte Folded Spill
	scratch_store_dword off, v5, off offset:424 ; 4-byte Folded Spill
	ds_read_b128 v[2:5], v5
	v_mov_b32_e32 v10, v8
	scratch_store_dwordx2 off, v[10:11], off offset:80 ; 8-byte Folded Spill
	s_and_saveexec_b64 s[12:13], vcc
	s_cbranch_execz .LBB62_45
; %bb.44:                               ;   in Loop: Header=BB62_43 Depth=1
	scratch_load_dwordx4 v[8:11], off, off  ; 16-byte Folded Reload
	v_cmp_gt_i32_e64 s[0:1], s29, v25
	s_waitcnt vmcnt(0)
	s_nop 0
	v_cndmask_b32_e64 v8, 0, v8, s[0:1]
	v_cmp_gt_i32_e64 s[0:1], s29, v15
	s_nop 1
	v_cndmask_b32_e64 v9, 0, v9, s[0:1]
	v_cmp_gt_i32_e64 s[0:1], s29, v14
	;; [unrolled: 3-line block ×3, first 2 shown]
	s_nop 1
	v_cndmask_b32_e64 v11, 0, v11, s[0:1]
	scratch_store_dwordx4 off, v[8:11], off ; 16-byte Folded Spill
.LBB62_45:                              ;   in Loop: Header=BB62_43 Depth=1
	s_or_b64 exec, exec, s[12:13]
	global_load_dwordx4 v[8:11], v[6:7], off offset:1024
	s_waitcnt vmcnt(0)
	scratch_store_dwordx4 off, v[8:11], off offset:16 ; 16-byte Folded Spill
	s_and_saveexec_b64 s[12:13], vcc
	s_cbranch_execz .LBB62_47
; %bb.46:                               ;   in Loop: Header=BB62_43 Depth=1
	scratch_load_dwordx4 v[8:11], off, off offset:16 ; 16-byte Folded Reload
	v_cmp_gt_i32_e64 s[0:1], s29, v25
	s_waitcnt vmcnt(0)
	s_nop 0
	v_cndmask_b32_e64 v8, 0, v8, s[0:1]
	v_cmp_gt_i32_e64 s[0:1], s29, v15
	s_nop 1
	v_cndmask_b32_e64 v9, 0, v9, s[0:1]
	v_cmp_gt_i32_e64 s[0:1], s29, v14
	s_nop 1
	v_cndmask_b32_e64 v10, 0, v10, s[0:1]
	v_cmp_gt_i32_e64 s[0:1], s29, v24
	s_nop 1
	v_cndmask_b32_e64 v11, 0, v11, s[0:1]
	scratch_store_dwordx4 off, v[8:11], off offset:16 ; 16-byte Folded Spill
.LBB62_47:                              ;   in Loop: Header=BB62_43 Depth=1
	s_or_b64 exec, exec, s[12:13]
	global_load_dwordx4 v[8:11], v[6:7], off offset:2048
	s_waitcnt vmcnt(0)
	scratch_store_dwordx4 off, v[8:11], off offset:32 ; 16-byte Folded Spill
	s_and_saveexec_b64 s[12:13], vcc
	s_cbranch_execz .LBB62_49
; %bb.48:                               ;   in Loop: Header=BB62_43 Depth=1
	scratch_load_dwordx4 v[8:11], off, off offset:32 ; 16-byte Folded Reload
	v_cmp_gt_i32_e64 s[0:1], s29, v25
	s_waitcnt vmcnt(0)
	s_nop 0
	v_cndmask_b32_e64 v8, 0, v8, s[0:1]
	v_cmp_gt_i32_e64 s[0:1], s29, v15
	s_nop 1
	v_cndmask_b32_e64 v9, 0, v9, s[0:1]
	v_cmp_gt_i32_e64 s[0:1], s29, v14
	s_nop 1
	v_cndmask_b32_e64 v10, 0, v10, s[0:1]
	v_cmp_gt_i32_e64 s[0:1], s29, v24
	s_nop 1
	v_cndmask_b32_e64 v11, 0, v11, s[0:1]
	scratch_store_dwordx4 off, v[8:11], off offset:32 ; 16-byte Folded Spill
.LBB62_49:                              ;   in Loop: Header=BB62_43 Depth=1
	;; [unrolled: 23-line block ×3, first 2 shown]
	s_or_b64 exec, exec, s[12:13]
	s_nop 0
	v_lshl_add_u64 v[6:7], v[106:107], 0, v[16:17]
	global_load_dwordx4 v[6:9], v[6:7], off
	s_waitcnt vmcnt(0)
	scratch_store_dwordx4 off, v[6:9], off offset:64 ; 16-byte Folded Spill
	s_and_saveexec_b64 s[12:13], vcc
	s_cbranch_execz .LBB62_53
; %bb.52:                               ;   in Loop: Header=BB62_43 Depth=1
	scratch_load_dwordx4 v[6:9], off, off offset:64 ; 16-byte Folded Reload
	v_cmp_gt_i32_e64 s[0:1], s29, v25
	s_waitcnt vmcnt(0)
	s_nop 0
	v_cndmask_b32_e64 v6, 0, v6, s[0:1]
	v_cmp_gt_i32_e64 s[0:1], s29, v15
	s_nop 1
	v_cndmask_b32_e64 v7, 0, v7, s[0:1]
	v_cmp_gt_i32_e64 s[0:1], s29, v14
	s_nop 1
	v_cndmask_b32_e64 v8, 0, v8, s[0:1]
	v_cmp_gt_i32_e64 s[0:1], s29, v24
	s_nop 1
	v_cndmask_b32_e64 v9, 0, v9, s[0:1]
	scratch_store_dwordx4 off, v[6:9], off offset:64 ; 16-byte Folded Spill
.LBB62_53:                              ;   in Loop: Header=BB62_43 Depth=1
	s_or_b64 exec, exec, s[12:13]
	scratch_load_dwordx2 v[6:7], off, off offset:208 ; 8-byte Folded Reload
	s_waitcnt vmcnt(0)
	v_mov_b32_e32 v7, v17
	v_mov_b32_e32 v8, v6
	v_lshl_add_u64 v[6:7], v[106:107], 0, v[6:7]
	global_load_dwordx4 v[26:29], v[6:7], off
	s_nop 0
	scratch_store_dwordx2 off, v[8:9], off offset:208 ; 8-byte Folded Spill
	s_and_saveexec_b64 s[12:13], vcc
	s_cbranch_execz .LBB62_55
; %bb.54:                               ;   in Loop: Header=BB62_43 Depth=1
	v_cmp_gt_i32_e64 s[0:1], s29, v25
	s_waitcnt vmcnt(1)
	s_nop 0
	v_cndmask_b32_e64 v26, 0, v26, s[0:1]
	v_cmp_gt_i32_e64 s[0:1], s29, v15
	s_nop 1
	v_cndmask_b32_e64 v27, 0, v27, s[0:1]
	v_cmp_gt_i32_e64 s[0:1], s29, v14
	s_nop 1
	v_cndmask_b32_e64 v28, 0, v28, s[0:1]
	v_cmp_gt_i32_e64 s[0:1], s29, v24
	s_nop 1
	v_cndmask_b32_e64 v29, 0, v29, s[0:1]
.LBB62_55:                              ;   in Loop: Header=BB62_43 Depth=1
	s_or_b64 exec, exec, s[12:13]
	scratch_load_dwordx2 v[6:7], off, off offset:216 ; 8-byte Folded Reload
	s_waitcnt vmcnt(0)
	v_mov_b32_e32 v7, v17
	v_mov_b32_e32 v8, v6
	v_lshl_add_u64 v[6:7], v[106:107], 0, v[6:7]
	global_load_dwordx4 v[30:33], v[6:7], off
	s_nop 0
	scratch_store_dwordx2 off, v[8:9], off offset:216 ; 8-byte Folded Spill
	s_and_saveexec_b64 s[12:13], vcc
	s_cbranch_execz .LBB62_57
; %bb.56:                               ;   in Loop: Header=BB62_43 Depth=1
	v_cmp_gt_i32_e64 s[0:1], s29, v25
	s_waitcnt vmcnt(1)
	s_nop 0
	v_cndmask_b32_e64 v30, 0, v30, s[0:1]
	v_cmp_gt_i32_e64 s[0:1], s29, v15
	s_nop 1
	v_cndmask_b32_e64 v31, 0, v31, s[0:1]
	v_cmp_gt_i32_e64 s[0:1], s29, v14
	s_nop 1
	v_cndmask_b32_e64 v32, 0, v32, s[0:1]
	v_cmp_gt_i32_e64 s[0:1], s29, v24
	s_nop 1
	v_cndmask_b32_e64 v33, 0, v33, s[0:1]
.LBB62_57:                              ;   in Loop: Header=BB62_43 Depth=1
	;; [unrolled: 26-line block ×23, first 2 shown]
	s_or_b64 exec, exec, s[12:13]
	scratch_load_dwordx2 v[6:7], off, off offset:392 ; 8-byte Folded Reload
	s_waitcnt vmcnt(0)
	v_mov_b32_e32 v7, v17
	v_mov_b32_e32 v8, v6
	v_lshl_add_u64 v[6:7], v[106:107], 0, v[6:7]
	global_load_dwordx4 v[122:125], v[6:7], off
	s_nop 0
	scratch_store_dwordx2 off, v[8:9], off offset:392 ; 8-byte Folded Spill
	s_and_saveexec_b64 s[12:13], vcc
	s_cbranch_execz .LBB62_101
; %bb.100:                              ;   in Loop: Header=BB62_43 Depth=1
	v_cmp_gt_i32_e64 s[0:1], s29, v25
	s_waitcnt vmcnt(1)
	s_nop 0
	v_cndmask_b32_e64 v122, 0, v122, s[0:1]
	v_cmp_gt_i32_e64 s[0:1], s29, v15
	s_nop 1
	v_cndmask_b32_e64 v123, 0, v123, s[0:1]
	v_cmp_gt_i32_e64 s[0:1], s29, v14
	;; [unrolled: 3-line block ×3, first 2 shown]
	s_nop 1
	v_cndmask_b32_e64 v125, 0, v125, s[0:1]
.LBB62_101:                             ;   in Loop: Header=BB62_43 Depth=1
	s_or_b64 exec, exec, s[12:13]
	scratch_load_dwordx2 v[6:7], off, off offset:400 ; 8-byte Folded Reload
	s_waitcnt vmcnt(0)
	v_mov_b32_e32 v7, v17
	v_mov_b32_e32 v8, v6
	v_lshl_add_u64 v[6:7], v[106:107], 0, v[6:7]
	scratch_store_dwordx2 off, v[8:9], off offset:400 ; 8-byte Folded Spill
	global_load_dwordx4 v[6:9], v[6:7], off
	s_and_saveexec_b64 s[12:13], vcc
	s_cbranch_execz .LBB62_103
; %bb.102:                              ;   in Loop: Header=BB62_43 Depth=1
	v_cmp_gt_i32_e64 s[0:1], s29, v25
	s_waitcnt vmcnt(0)
	s_nop 0
	v_cndmask_b32_e64 v6, 0, v6, s[0:1]
	v_cmp_gt_i32_e64 s[0:1], s29, v15
	s_nop 1
	v_cndmask_b32_e64 v7, 0, v7, s[0:1]
	v_cmp_gt_i32_e64 s[0:1], s29, v14
	s_nop 1
	v_cndmask_b32_e64 v8, 0, v8, s[0:1]
	v_cmp_gt_i32_e64 s[0:1], s29, v24
	s_nop 1
	v_cndmask_b32_e64 v9, 0, v9, s[0:1]
.LBB62_103:                             ;   in Loop: Header=BB62_43 Depth=1
	s_or_b64 exec, exec, s[12:13]
	scratch_load_dwordx2 v[10:11], off, off offset:408 ; 8-byte Folded Reload
	s_waitcnt vmcnt(0)
	v_mov_b32_e32 v11, v17
	v_mov_b32_e32 v12, v10
	v_lshl_add_u64 v[10:11], v[106:107], 0, v[10:11]
	scratch_store_dwordx2 off, v[12:13], off offset:408 ; 8-byte Folded Spill
	global_load_dwordx4 v[10:13], v[10:11], off
	s_and_saveexec_b64 s[12:13], vcc
	s_cbranch_execz .LBB62_105
; %bb.104:                              ;   in Loop: Header=BB62_43 Depth=1
	v_cmp_gt_i32_e64 s[0:1], s29, v25
	s_waitcnt vmcnt(0)
	s_nop 0
	v_cndmask_b32_e64 v10, 0, v10, s[0:1]
	v_cmp_gt_i32_e64 s[0:1], s29, v15
	s_nop 1
	v_cndmask_b32_e64 v11, 0, v11, s[0:1]
	v_cmp_gt_i32_e64 s[0:1], s29, v14
	s_nop 1
	v_cndmask_b32_e64 v12, 0, v12, s[0:1]
	v_cmp_gt_i32_e64 s[0:1], s29, v24
	s_nop 1
	v_cndmask_b32_e64 v13, 0, v13, s[0:1]
.LBB62_105:                             ;   in Loop: Header=BB62_43 Depth=1
	s_or_b64 exec, exec, s[12:13]
	scratch_load_dwordx2 v[108:109], off, off offset:416 ; 8-byte Folded Reload
	v_mov_b32_e32 v127, v17
	s_waitcnt vmcnt(0)
	v_mov_b32_e32 v126, v108
	v_lshl_add_u64 v[106:107], v[106:107], 0, v[126:127]
	scratch_store_dwordx2 off, v[108:109], off offset:416 ; 8-byte Folded Spill
	global_load_dwordx4 v[106:109], v[106:107], off
	s_and_saveexec_b64 s[0:1], vcc
	s_cbranch_execz .LBB62_42
; %bb.106:                              ;   in Loop: Header=BB62_43 Depth=1
	v_cmp_gt_i32_e32 vcc, s29, v25
	s_waitcnt vmcnt(0)
	s_nop 0
	v_cndmask_b32_e32 v106, 0, v106, vcc
	v_cmp_gt_i32_e32 vcc, s29, v15
	s_nop 1
	v_cndmask_b32_e32 v107, 0, v107, vcc
	v_cmp_gt_i32_e32 vcc, s29, v14
	;; [unrolled: 3-line block ×3, first 2 shown]
	s_nop 1
	v_cndmask_b32_e32 v109, 0, v109, vcc
	s_branch .LBB62_42
.LBB62_107:
	s_or_b64 exec, exec, s[10:11]
	scratch_load_dword v44, off, off offset:444 ; 4-byte Folded Reload
	scratch_load_dword v45, off, off offset:448 ; 4-byte Folded Reload
	;; [unrolled: 1-line block ×6, first 2 shown]
	scratch_load_dwordx2 v[48:49], off, off offset:88 ; 8-byte Folded Reload
	scratch_load_dwordx2 v[38:39], off, off offset:104 ; 8-byte Folded Reload
	scratch_load_dwordx2 v[40:41], off, off offset:120 ; 8-byte Folded Reload
	scratch_load_dwordx2 v[50:51], off, off offset:136 ; 8-byte Folded Reload
	scratch_load_dwordx2 v[34:35], off, off offset:144 ; 8-byte Folded Reload
	scratch_load_dwordx2 v[28:29], off, off offset:152 ; 8-byte Folded Reload
	scratch_load_dwordx2 v[30:31], off, off offset:160 ; 8-byte Folded Reload
	scratch_load_dwordx2 v[32:33], off, off offset:168 ; 8-byte Folded Reload
	scratch_load_dwordx2 v[26:27], off, off offset:176 ; 8-byte Folded Reload
	scratch_load_dwordx2 v[52:53], off, off offset:184 ; 8-byte Folded Reload
	scratch_load_dwordx2 v[54:55], off, off offset:192 ; 8-byte Folded Reload
	scratch_load_dwordx2 v[16:17], off, off offset:200 ; 8-byte Folded Reload
.LBB62_108:
	s_or_b64 exec, exec, s[2:3]
	s_waitcnt vmcnt(14)
	ds_bpermute_b32 v4, v37, v0
	ds_bpermute_b32 v5, v37, v1
	;; [unrolled: 1-line block ×6, first 2 shown]
	s_waitcnt lgkmcnt(4)
	v_pk_add_f32 v[0:1], v[0:1], v[4:5]
	ds_bpermute_b32 v4, v43, v0
	ds_bpermute_b32 v5, v43, v1
	s_waitcnt lgkmcnt(4)
	v_pk_add_f32 v[2:3], v[22:23], v[2:3]
	ds_bpermute_b32 v6, v43, v2
	ds_bpermute_b32 v7, v43, v3
	;; [unrolled: 1-line block ×3, first 2 shown]
	s_waitcnt lgkmcnt(3)
	v_pk_add_f32 v[0:1], v[0:1], v[4:5]
	v_pk_add_f32 v[4:5], v[20:21], v[8:9]
	ds_bpermute_b32 v8, v43, v4
	ds_bpermute_b32 v9, v43, v5
	;; [unrolled: 1-line block ×3, first 2 shown]
	s_waitcnt lgkmcnt(4)
	v_pk_add_f32 v[2:3], v[2:3], v[6:7]
	s_waitcnt vmcnt(13)
	ds_bpermute_b32 v6, v46, v2
	ds_bpermute_b32 v7, v46, v3
	s_waitcnt lgkmcnt(3)
	v_pk_add_f32 v[8:9], v[4:5], v[8:9]
	s_waitcnt lgkmcnt(2)
	v_pk_add_f32 v[12:13], v[18:19], v[12:13]
	ds_bpermute_b32 v10, v46, v0
	ds_bpermute_b32 v11, v46, v1
	;; [unrolled: 1-line block ×6, first 2 shown]
	s_waitcnt lgkmcnt(6)
	v_pk_add_f32 v[4:5], v[2:3], v[6:7]
	s_waitcnt lgkmcnt(4)
	v_pk_add_f32 v[2:3], v[0:1], v[10:11]
	;; [unrolled: 2-line block ×3, first 2 shown]
	s_waitcnt vmcnt(0)
	ds_bpermute_b32 v8, v37, v16
	s_waitcnt lgkmcnt(1)
	v_pk_add_f32 v[6:7], v[12:13], v[18:19]
	ds_bpermute_b32 v9, v37, v17
	ds_bpermute_b32 v12, v37, v54
	;; [unrolled: 1-line block ×5, first 2 shown]
	s_waitcnt lgkmcnt(4)
	v_pk_add_f32 v[8:9], v[16:17], v[8:9]
	ds_bpermute_b32 v14, v43, v8
	s_waitcnt lgkmcnt(3)
	v_pk_add_f32 v[12:13], v[54:55], v[12:13]
	ds_bpermute_b32 v15, v43, v9
	ds_bpermute_b32 v16, v43, v12
	;; [unrolled: 1-line block ×5, first 2 shown]
	s_waitcnt lgkmcnt(4)
	v_pk_add_f32 v[8:9], v[8:9], v[14:15]
	ds_bpermute_b32 v14, v46, v8
	s_waitcnt lgkmcnt(3)
	v_pk_add_f32 v[16:17], v[12:13], v[16:17]
	v_pk_add_f32 v[12:13], v[52:53], v[18:19]
	ds_bpermute_b32 v15, v46, v9
	ds_bpermute_b32 v18, v43, v12
	;; [unrolled: 1-line block ×7, first 2 shown]
	s_waitcnt lgkmcnt(4)
	v_pk_add_f32 v[18:19], v[12:13], v[18:19]
	v_pk_add_f32 v[12:13], v[6:7], v[10:11]
	;; [unrolled: 1-line block ×3, first 2 shown]
	s_waitcnt lgkmcnt(1)
	v_pk_add_f32 v[22:23], v[26:27], v[22:23]
	s_waitcnt lgkmcnt(0)
	v_pk_add_f32 v[8:9], v[16:17], v[20:21]
	ds_bpermute_b32 v16, v37, v32
	ds_bpermute_b32 v17, v37, v33
	;; [unrolled: 1-line block ×8, first 2 shown]
	s_waitcnt lgkmcnt(6)
	v_pk_add_f32 v[16:17], v[32:33], v[16:17]
	s_waitcnt lgkmcnt(4)
	v_pk_add_f32 v[20:21], v[30:31], v[20:21]
	;; [unrolled: 2-line block ×3, first 2 shown]
	ds_bpermute_b32 v24, v43, v20
	s_waitcnt lgkmcnt(1)
	v_pk_add_f32 v[14:15], v[22:23], v[26:27]
	ds_bpermute_b32 v22, v43, v16
	ds_bpermute_b32 v23, v43, v17
	ds_bpermute_b32 v25, v43, v21
	ds_bpermute_b32 v26, v37, v28
	ds_bpermute_b32 v27, v37, v29
	ds_bpermute_b32 v18, v46, v14
	s_waitcnt lgkmcnt(4)
	v_pk_add_f32 v[16:17], v[16:17], v[22:23]
	s_waitcnt lgkmcnt(3)
	v_pk_add_f32 v[24:25], v[20:21], v[24:25]
	ds_bpermute_b32 v19, v46, v15
	s_waitcnt lgkmcnt(2)
	v_pk_add_f32 v[20:21], v[28:29], v[26:27]
	ds_bpermute_b32 v22, v46, v16
	ds_bpermute_b32 v23, v46, v17
	;; [unrolled: 1-line block ×8, first 2 shown]
	s_waitcnt lgkmcnt(4)
	v_pk_add_f32 v[26:27], v[20:21], v[26:27]
	v_pk_add_f32 v[20:21], v[14:15], v[18:19]
	;; [unrolled: 1-line block ×3, first 2 shown]
	s_waitcnt lgkmcnt(1)
	v_pk_add_f32 v[30:31], v[34:35], v[30:31]
	s_waitcnt lgkmcnt(0)
	v_pk_add_f32 v[16:17], v[24:25], v[28:29]
	ds_bpermute_b32 v28, v37, v40
	ds_bpermute_b32 v29, v37, v41
	;; [unrolled: 1-line block ×8, first 2 shown]
	s_waitcnt lgkmcnt(6)
	v_pk_add_f32 v[28:29], v[40:41], v[28:29]
	s_waitcnt lgkmcnt(4)
	v_pk_add_f32 v[14:15], v[26:27], v[32:33]
	;; [unrolled: 2-line block ×3, first 2 shown]
	ds_bpermute_b32 v32, v43, v28
	ds_bpermute_b32 v33, v43, v29
	;; [unrolled: 1-line block ×4, first 2 shown]
	s_waitcnt lgkmcnt(4)
	v_pk_add_f32 v[24:25], v[50:51], v[24:25]
	ds_bpermute_b32 v30, v43, v24
	ds_bpermute_b32 v31, v43, v25
	s_waitcnt lgkmcnt(4)
	v_pk_add_f32 v[32:33], v[28:29], v[32:33]
	s_waitcnt lgkmcnt(2)
	v_pk_add_f32 v[28:29], v[38:39], v[34:35]
	ds_bpermute_b32 v38, v37, v48
	ds_bpermute_b32 v39, v37, v49
	;; [unrolled: 1-line block ×4, first 2 shown]
	s_waitcnt lgkmcnt(4)
	v_pk_add_f32 v[24:25], v[24:25], v[30:31]
	ds_bpermute_b32 v26, v46, v22
	s_waitcnt lgkmcnt(3)
	v_pk_add_f32 v[38:39], v[48:49], v[38:39]
	ds_bpermute_b32 v27, v46, v23
	ds_bpermute_b32 v30, v46, v24
	ds_bpermute_b32 v31, v46, v25
	ds_bpermute_b32 v42, v43, v38
	ds_bpermute_b32 v43, v43, v39
	ds_bpermute_b32 v36, v46, v32
	ds_bpermute_b32 v37, v46, v33
	s_waitcnt lgkmcnt(8)
	v_pk_add_f32 v[34:35], v[28:29], v[34:35]
	ds_bpermute_b32 v40, v46, v34
	ds_bpermute_b32 v41, v46, v35
	s_waitcnt lgkmcnt(8)
	v_pk_add_f32 v[28:29], v[22:23], v[26:27]
	s_waitcnt lgkmcnt(6)
	v_pk_add_f32 v[26:27], v[24:25], v[30:31]
	;; [unrolled: 2-line block ×4, first 2 shown]
	ds_bpermute_b32 v32, v46, v30
	ds_bpermute_b32 v33, v46, v31
	s_waitcnt lgkmcnt(2)
	v_pk_add_f32 v[22:23], v[34:35], v[40:41]
	v_and_b32_e32 v34, 0x3c7, v44
	v_cmp_ne_u32_e32 vcc, 64, v34
	s_waitcnt lgkmcnt(0)
	s_barrier
	s_and_saveexec_b64 s[0:1], vcc
	s_xor_b64 s[0:1], exec, s[0:1]
; %bb.109:
                                        ; implicit-def: $vgpr45
; %bb.110:
	s_or_saveexec_b64 s[0:1], s[0:1]
	v_pk_add_f32 v[30:31], v[30:31], v[32:33]
	s_xor_b64 exec, exec, s[0:1]
	s_cbranch_execz .LBB62_112
; %bb.111:
	v_lshrrev_b32_e32 v32, 1, v45
	v_add_u32_e32 v32, 0x410, v32
	ds_write2_b32 v32, v4, v5 offset1:8
	ds_write2_b32 v32, v2, v3 offset0:16 offset1:24
	ds_write2_b32 v32, v0, v1 offset0:32 offset1:40
	;; [unrolled: 1-line block ×15, first 2 shown]
.LBB62_112:
	s_or_b64 exec, exec, s[0:1]
	v_cmp_gt_u32_e32 vcc, 64, v44
	s_waitcnt lgkmcnt(0)
	s_barrier
	s_and_saveexec_b64 s[0:1], vcc
	s_cbranch_execz .LBB62_147
; %bb.113:
	v_cmp_eq_u32_e32 vcc, 0, v47
	v_lshrrev_b32_e32 v32, 3, v44
	s_and_saveexec_b64 s[2:3], vcc
	s_cbranch_execnz .LBB62_150
; %bb.114:
	s_or_b64 exec, exec, s[2:3]
	s_and_saveexec_b64 s[2:3], vcc
	s_cbranch_execnz .LBB62_151
.LBB62_115:
	s_or_b64 exec, exec, s[2:3]
	s_and_saveexec_b64 s[2:3], vcc
	s_cbranch_execnz .LBB62_152
.LBB62_116:
	s_or_b64 exec, exec, s[2:3]
	s_and_saveexec_b64 s[2:3], vcc
	s_cbranch_execnz .LBB62_153
.LBB62_117:
	s_or_b64 exec, exec, s[2:3]
	s_and_saveexec_b64 s[2:3], vcc
	s_cbranch_execnz .LBB62_154
.LBB62_118:
	s_or_b64 exec, exec, s[2:3]
	s_and_saveexec_b64 s[2:3], vcc
	s_cbranch_execnz .LBB62_155
.LBB62_119:
	s_or_b64 exec, exec, s[2:3]
	s_and_saveexec_b64 s[2:3], vcc
	s_cbranch_execnz .LBB62_156
.LBB62_120:
	s_or_b64 exec, exec, s[2:3]
	s_and_saveexec_b64 s[2:3], vcc
	s_cbranch_execnz .LBB62_157
.LBB62_121:
	s_or_b64 exec, exec, s[2:3]
	s_and_saveexec_b64 s[2:3], vcc
	s_cbranch_execnz .LBB62_158
.LBB62_122:
	s_or_b64 exec, exec, s[2:3]
	s_and_saveexec_b64 s[2:3], vcc
	s_cbranch_execnz .LBB62_159
.LBB62_123:
	s_or_b64 exec, exec, s[2:3]
	s_and_saveexec_b64 s[2:3], vcc
	s_cbranch_execnz .LBB62_160
.LBB62_124:
	s_or_b64 exec, exec, s[2:3]
	s_and_saveexec_b64 s[2:3], vcc
	s_cbranch_execnz .LBB62_161
.LBB62_125:
	s_or_b64 exec, exec, s[2:3]
	s_and_saveexec_b64 s[2:3], vcc
	s_cbranch_execnz .LBB62_162
.LBB62_126:
	s_or_b64 exec, exec, s[2:3]
	s_and_saveexec_b64 s[2:3], vcc
	s_cbranch_execnz .LBB62_163
.LBB62_127:
	s_or_b64 exec, exec, s[2:3]
	s_and_saveexec_b64 s[2:3], vcc
	s_cbranch_execnz .LBB62_164
.LBB62_128:
	s_or_b64 exec, exec, s[2:3]
	s_and_saveexec_b64 s[2:3], vcc
	s_cbranch_execnz .LBB62_165
.LBB62_129:
	s_or_b64 exec, exec, s[2:3]
	s_and_saveexec_b64 s[2:3], vcc
	s_cbranch_execnz .LBB62_166
.LBB62_130:
	s_or_b64 exec, exec, s[2:3]
	s_and_saveexec_b64 s[2:3], vcc
	s_cbranch_execnz .LBB62_167
.LBB62_131:
	s_or_b64 exec, exec, s[2:3]
	s_and_saveexec_b64 s[2:3], vcc
	s_cbranch_execnz .LBB62_168
.LBB62_132:
	s_or_b64 exec, exec, s[2:3]
	s_and_saveexec_b64 s[2:3], vcc
	s_cbranch_execnz .LBB62_169
.LBB62_133:
	s_or_b64 exec, exec, s[2:3]
	s_and_saveexec_b64 s[2:3], vcc
	s_cbranch_execnz .LBB62_170
.LBB62_134:
	s_or_b64 exec, exec, s[2:3]
	s_and_saveexec_b64 s[2:3], vcc
	s_cbranch_execnz .LBB62_171
.LBB62_135:
	s_or_b64 exec, exec, s[2:3]
	s_and_saveexec_b64 s[2:3], vcc
	s_cbranch_execnz .LBB62_172
.LBB62_136:
	s_or_b64 exec, exec, s[2:3]
	s_and_saveexec_b64 s[2:3], vcc
	s_cbranch_execnz .LBB62_173
.LBB62_137:
	s_or_b64 exec, exec, s[2:3]
	s_and_saveexec_b64 s[2:3], vcc
	s_cbranch_execnz .LBB62_174
.LBB62_138:
	s_or_b64 exec, exec, s[2:3]
	s_and_saveexec_b64 s[2:3], vcc
	s_cbranch_execnz .LBB62_175
.LBB62_139:
	s_or_b64 exec, exec, s[2:3]
	s_and_saveexec_b64 s[2:3], vcc
	s_cbranch_execnz .LBB62_176
.LBB62_140:
	s_or_b64 exec, exec, s[2:3]
	s_and_saveexec_b64 s[2:3], vcc
	s_cbranch_execnz .LBB62_177
.LBB62_141:
	s_or_b64 exec, exec, s[2:3]
	s_and_saveexec_b64 s[2:3], vcc
	s_cbranch_execnz .LBB62_178
.LBB62_142:
	s_or_b64 exec, exec, s[2:3]
	s_and_saveexec_b64 s[2:3], vcc
	s_cbranch_execnz .LBB62_179
.LBB62_143:
	s_or_b64 exec, exec, s[2:3]
	s_and_saveexec_b64 s[2:3], vcc
	s_cbranch_execnz .LBB62_180
.LBB62_144:
	s_or_b64 exec, exec, s[2:3]
	s_and_saveexec_b64 s[2:3], vcc
	s_cbranch_execz .LBB62_146
.LBB62_145:
	v_mov_b32_e32 v33, 0x410
	v_lshl_add_u32 v32, v32, 2, v33
	ds_read_b32 v32, v32 offset:992
	s_waitcnt lgkmcnt(0)
	v_add_f32_e32 v31, v31, v32
.LBB62_146:
	s_or_b64 exec, exec, s[2:3]
.LBB62_147:
	s_or_b64 exec, exec, s[0:1]
	v_cmp_eq_u32_e32 vcc, 0, v34
	s_barrier
	s_and_saveexec_b64 s[0:1], vcc
	s_cbranch_execz .LBB62_149
; %bb.148:
	s_lshl_b32 s0, s6, 8
	s_ashr_i32 s1, s0, 31
	s_lshl_b64 s[0:1], s[0:1], 2
	s_add_u32 s2, s22, s0
	s_mul_i32 s0, s21, s20
	s_addc_u32 s3, s23, s1
	s_ashr_i32 s1, s0, 31
	s_lshl_b64 s[0:1], s[0:1], 2
	s_add_u32 s2, s2, s0
	s_addc_u32 s3, s3, s1
	s_lshl_b32 s0, s4, 8
	s_ashr_i32 s1, s0, 31
	s_lshl_b64 s[0:1], s[0:1], 2
	s_add_u32 s0, s2, s0
	s_addc_u32 s1, s3, s1
	v_lshrrev_b32_e32 v32, 1, v44
	global_store_dword v32, v4, s[0:1]
	global_store_dword v32, v5, s[0:1] offset:32
	global_store_dword v32, v2, s[0:1] offset:64
	;; [unrolled: 1-line block ×31, first 2 shown]
.LBB62_149:
	s_endpgm
.LBB62_150:
	v_mov_b32_e32 v33, 0x410
	v_lshl_add_u32 v33, v32, 2, v33
	ds_read_b32 v33, v33
	s_waitcnt lgkmcnt(0)
	v_add_f32_e32 v4, v4, v33
	s_or_b64 exec, exec, s[2:3]
	s_and_saveexec_b64 s[2:3], vcc
	s_cbranch_execz .LBB62_115
.LBB62_151:
	v_mov_b32_e32 v33, 0x410
	v_lshl_add_u32 v33, v32, 2, v33
	ds_read_b32 v33, v33 offset:32
	s_waitcnt lgkmcnt(0)
	v_add_f32_e32 v5, v5, v33
	s_or_b64 exec, exec, s[2:3]
	s_and_saveexec_b64 s[2:3], vcc
	s_cbranch_execz .LBB62_116
.LBB62_152:
	v_mov_b32_e32 v33, 0x410
	v_lshl_add_u32 v33, v32, 2, v33
	ds_read_b32 v33, v33 offset:64
	s_waitcnt lgkmcnt(0)
	v_add_f32_e32 v2, v2, v33
	s_or_b64 exec, exec, s[2:3]
	s_and_saveexec_b64 s[2:3], vcc
	s_cbranch_execz .LBB62_117
.LBB62_153:
	v_mov_b32_e32 v33, 0x410
	v_lshl_add_u32 v33, v32, 2, v33
	ds_read_b32 v33, v33 offset:96
	s_waitcnt lgkmcnt(0)
	v_add_f32_e32 v3, v3, v33
	s_or_b64 exec, exec, s[2:3]
	s_and_saveexec_b64 s[2:3], vcc
	s_cbranch_execz .LBB62_118
.LBB62_154:
	v_mov_b32_e32 v33, 0x410
	v_lshl_add_u32 v33, v32, 2, v33
	ds_read_b32 v33, v33 offset:128
	s_waitcnt lgkmcnt(0)
	v_add_f32_e32 v0, v0, v33
	s_or_b64 exec, exec, s[2:3]
	s_and_saveexec_b64 s[2:3], vcc
	s_cbranch_execz .LBB62_119
.LBB62_155:
	v_mov_b32_e32 v33, 0x410
	v_lshl_add_u32 v33, v32, 2, v33
	ds_read_b32 v33, v33 offset:160
	s_waitcnt lgkmcnt(0)
	v_add_f32_e32 v1, v1, v33
	s_or_b64 exec, exec, s[2:3]
	s_and_saveexec_b64 s[2:3], vcc
	s_cbranch_execz .LBB62_120
.LBB62_156:
	v_mov_b32_e32 v33, 0x410
	v_lshl_add_u32 v33, v32, 2, v33
	ds_read_b32 v33, v33 offset:192
	s_waitcnt lgkmcnt(0)
	v_add_f32_e32 v12, v12, v33
	s_or_b64 exec, exec, s[2:3]
	s_and_saveexec_b64 s[2:3], vcc
	s_cbranch_execz .LBB62_121
.LBB62_157:
	v_mov_b32_e32 v33, 0x410
	v_lshl_add_u32 v33, v32, 2, v33
	ds_read_b32 v33, v33 offset:224
	s_waitcnt lgkmcnt(0)
	v_add_f32_e32 v13, v13, v33
	s_or_b64 exec, exec, s[2:3]
	s_and_saveexec_b64 s[2:3], vcc
	s_cbranch_execz .LBB62_122
.LBB62_158:
	v_mov_b32_e32 v33, 0x410
	v_lshl_add_u32 v33, v32, 2, v33
	ds_read_b32 v33, v33 offset:256
	s_waitcnt lgkmcnt(0)
	v_add_f32_e32 v10, v10, v33
	s_or_b64 exec, exec, s[2:3]
	s_and_saveexec_b64 s[2:3], vcc
	s_cbranch_execz .LBB62_123
.LBB62_159:
	v_mov_b32_e32 v33, 0x410
	v_lshl_add_u32 v33, v32, 2, v33
	ds_read_b32 v33, v33 offset:288
	s_waitcnt lgkmcnt(0)
	v_add_f32_e32 v11, v11, v33
	s_or_b64 exec, exec, s[2:3]
	s_and_saveexec_b64 s[2:3], vcc
	s_cbranch_execz .LBB62_124
.LBB62_160:
	v_mov_b32_e32 v33, 0x410
	v_lshl_add_u32 v33, v32, 2, v33
	ds_read_b32 v33, v33 offset:320
	s_waitcnt lgkmcnt(0)
	v_add_f32_e32 v8, v8, v33
	s_or_b64 exec, exec, s[2:3]
	s_and_saveexec_b64 s[2:3], vcc
	s_cbranch_execz .LBB62_125
.LBB62_161:
	v_mov_b32_e32 v33, 0x410
	v_lshl_add_u32 v33, v32, 2, v33
	ds_read_b32 v33, v33 offset:352
	s_waitcnt lgkmcnt(0)
	v_add_f32_e32 v9, v9, v33
	s_or_b64 exec, exec, s[2:3]
	s_and_saveexec_b64 s[2:3], vcc
	s_cbranch_execz .LBB62_126
.LBB62_162:
	v_mov_b32_e32 v33, 0x410
	v_lshl_add_u32 v33, v32, 2, v33
	ds_read_b32 v33, v33 offset:384
	s_waitcnt lgkmcnt(0)
	v_add_f32_e32 v6, v6, v33
	s_or_b64 exec, exec, s[2:3]
	s_and_saveexec_b64 s[2:3], vcc
	s_cbranch_execz .LBB62_127
.LBB62_163:
	v_mov_b32_e32 v33, 0x410
	v_lshl_add_u32 v33, v32, 2, v33
	ds_read_b32 v33, v33 offset:416
	s_waitcnt lgkmcnt(0)
	v_add_f32_e32 v7, v7, v33
	s_or_b64 exec, exec, s[2:3]
	s_and_saveexec_b64 s[2:3], vcc
	s_cbranch_execz .LBB62_128
.LBB62_164:
	v_mov_b32_e32 v33, 0x410
	v_lshl_add_u32 v33, v32, 2, v33
	ds_read_b32 v33, v33 offset:448
	s_waitcnt lgkmcnt(0)
	v_add_f32_e32 v20, v20, v33
	s_or_b64 exec, exec, s[2:3]
	s_and_saveexec_b64 s[2:3], vcc
	s_cbranch_execz .LBB62_129
.LBB62_165:
	v_mov_b32_e32 v33, 0x410
	v_lshl_add_u32 v33, v32, 2, v33
	ds_read_b32 v33, v33 offset:480
	s_waitcnt lgkmcnt(0)
	v_add_f32_e32 v21, v21, v33
	s_or_b64 exec, exec, s[2:3]
	s_and_saveexec_b64 s[2:3], vcc
	s_cbranch_execz .LBB62_130
.LBB62_166:
	v_mov_b32_e32 v33, 0x410
	v_lshl_add_u32 v33, v32, 2, v33
	ds_read_b32 v33, v33 offset:512
	s_waitcnt lgkmcnt(0)
	v_add_f32_e32 v18, v18, v33
	s_or_b64 exec, exec, s[2:3]
	s_and_saveexec_b64 s[2:3], vcc
	s_cbranch_execz .LBB62_131
.LBB62_167:
	v_mov_b32_e32 v33, 0x410
	v_lshl_add_u32 v33, v32, 2, v33
	ds_read_b32 v33, v33 offset:544
	s_waitcnt lgkmcnt(0)
	v_add_f32_e32 v19, v19, v33
	s_or_b64 exec, exec, s[2:3]
	s_and_saveexec_b64 s[2:3], vcc
	s_cbranch_execz .LBB62_132
.LBB62_168:
	v_mov_b32_e32 v33, 0x410
	v_lshl_add_u32 v33, v32, 2, v33
	ds_read_b32 v33, v33 offset:576
	s_waitcnt lgkmcnt(0)
	v_add_f32_e32 v16, v16, v33
	s_or_b64 exec, exec, s[2:3]
	s_and_saveexec_b64 s[2:3], vcc
	s_cbranch_execz .LBB62_133
.LBB62_169:
	v_mov_b32_e32 v33, 0x410
	v_lshl_add_u32 v33, v32, 2, v33
	ds_read_b32 v33, v33 offset:608
	s_waitcnt lgkmcnt(0)
	v_add_f32_e32 v17, v17, v33
	s_or_b64 exec, exec, s[2:3]
	s_and_saveexec_b64 s[2:3], vcc
	s_cbranch_execz .LBB62_134
.LBB62_170:
	v_mov_b32_e32 v33, 0x410
	v_lshl_add_u32 v33, v32, 2, v33
	ds_read_b32 v33, v33 offset:640
	s_waitcnt lgkmcnt(0)
	v_add_f32_e32 v14, v14, v33
	s_or_b64 exec, exec, s[2:3]
	s_and_saveexec_b64 s[2:3], vcc
	s_cbranch_execz .LBB62_135
.LBB62_171:
	v_mov_b32_e32 v33, 0x410
	v_lshl_add_u32 v33, v32, 2, v33
	ds_read_b32 v33, v33 offset:672
	s_waitcnt lgkmcnt(0)
	v_add_f32_e32 v15, v15, v33
	s_or_b64 exec, exec, s[2:3]
	s_and_saveexec_b64 s[2:3], vcc
	s_cbranch_execz .LBB62_136
.LBB62_172:
	v_mov_b32_e32 v33, 0x410
	v_lshl_add_u32 v33, v32, 2, v33
	ds_read_b32 v33, v33 offset:704
	s_waitcnt lgkmcnt(0)
	v_add_f32_e32 v28, v28, v33
	s_or_b64 exec, exec, s[2:3]
	s_and_saveexec_b64 s[2:3], vcc
	s_cbranch_execz .LBB62_137
.LBB62_173:
	v_mov_b32_e32 v33, 0x410
	v_lshl_add_u32 v33, v32, 2, v33
	ds_read_b32 v33, v33 offset:736
	s_waitcnt lgkmcnt(0)
	v_add_f32_e32 v29, v29, v33
	s_or_b64 exec, exec, s[2:3]
	s_and_saveexec_b64 s[2:3], vcc
	s_cbranch_execz .LBB62_138
.LBB62_174:
	v_mov_b32_e32 v33, 0x410
	v_lshl_add_u32 v33, v32, 2, v33
	ds_read_b32 v33, v33 offset:768
	s_waitcnt lgkmcnt(0)
	v_add_f32_e32 v26, v26, v33
	s_or_b64 exec, exec, s[2:3]
	s_and_saveexec_b64 s[2:3], vcc
	s_cbranch_execz .LBB62_139
.LBB62_175:
	v_mov_b32_e32 v33, 0x410
	v_lshl_add_u32 v33, v32, 2, v33
	ds_read_b32 v33, v33 offset:800
	s_waitcnt lgkmcnt(0)
	v_add_f32_e32 v27, v27, v33
	s_or_b64 exec, exec, s[2:3]
	s_and_saveexec_b64 s[2:3], vcc
	s_cbranch_execz .LBB62_140
.LBB62_176:
	v_mov_b32_e32 v33, 0x410
	v_lshl_add_u32 v33, v32, 2, v33
	ds_read_b32 v33, v33 offset:832
	s_waitcnt lgkmcnt(0)
	v_add_f32_e32 v24, v24, v33
	s_or_b64 exec, exec, s[2:3]
	s_and_saveexec_b64 s[2:3], vcc
	s_cbranch_execz .LBB62_141
.LBB62_177:
	v_mov_b32_e32 v33, 0x410
	v_lshl_add_u32 v33, v32, 2, v33
	ds_read_b32 v33, v33 offset:864
	s_waitcnt lgkmcnt(0)
	v_add_f32_e32 v25, v25, v33
	s_or_b64 exec, exec, s[2:3]
	s_and_saveexec_b64 s[2:3], vcc
	s_cbranch_execz .LBB62_142
.LBB62_178:
	v_mov_b32_e32 v33, 0x410
	v_lshl_add_u32 v33, v32, 2, v33
	ds_read_b32 v33, v33 offset:896
	s_waitcnt lgkmcnt(0)
	v_add_f32_e32 v22, v22, v33
	s_or_b64 exec, exec, s[2:3]
	s_and_saveexec_b64 s[2:3], vcc
	s_cbranch_execz .LBB62_143
.LBB62_179:
	v_mov_b32_e32 v33, 0x410
	v_lshl_add_u32 v33, v32, 2, v33
	ds_read_b32 v33, v33 offset:928
	s_waitcnt lgkmcnt(0)
	v_add_f32_e32 v23, v23, v33
	s_or_b64 exec, exec, s[2:3]
	s_and_saveexec_b64 s[2:3], vcc
	s_cbranch_execz .LBB62_144
.LBB62_180:
	v_mov_b32_e32 v33, 0x410
	v_lshl_add_u32 v33, v32, 2, v33
	ds_read_b32 v33, v33 offset:960
	s_waitcnt lgkmcnt(0)
	v_add_f32_e32 v30, v30, v33
	s_or_b64 exec, exec, s[2:3]
	s_and_saveexec_b64 s[2:3], vcc
	s_cbranch_execnz .LBB62_145
	s_branch .LBB62_146
	.section	.rodata,"a",@progbits
	.p2align	6, 0x0
	.amdhsa_kernel _ZN4vllm25paged_attention_v2_kernelIffLi256ELi32ELi128ELNS_18Fp8KVCacheDataTypeE0ELb0ELi512EEEvPfS2_PT_PKS3_PKT0_S9_ifPKiSB_iPKfiiiSD_SD_iiiii
		.amdhsa_group_segment_fixed_size 1040
		.amdhsa_private_segment_fixed_size 472
		.amdhsa_kernarg_size 400
		.amdhsa_user_sgpr_count 2
		.amdhsa_user_sgpr_dispatch_ptr 0
		.amdhsa_user_sgpr_queue_ptr 0
		.amdhsa_user_sgpr_kernarg_segment_ptr 1
		.amdhsa_user_sgpr_dispatch_id 0
		.amdhsa_user_sgpr_kernarg_preload_length 0
		.amdhsa_user_sgpr_kernarg_preload_offset 0
		.amdhsa_user_sgpr_private_segment_size 0
		.amdhsa_uses_dynamic_stack 0
		.amdhsa_enable_private_segment 1
		.amdhsa_system_sgpr_workgroup_id_x 1
		.amdhsa_system_sgpr_workgroup_id_y 1
		.amdhsa_system_sgpr_workgroup_id_z 1
		.amdhsa_system_sgpr_workgroup_info 0
		.amdhsa_system_vgpr_workitem_id 0
		.amdhsa_next_free_vgpr 128
		.amdhsa_next_free_sgpr 49
		.amdhsa_accum_offset 128
		.amdhsa_reserve_vcc 1
		.amdhsa_float_round_mode_32 0
		.amdhsa_float_round_mode_16_64 0
		.amdhsa_float_denorm_mode_32 3
		.amdhsa_float_denorm_mode_16_64 3
		.amdhsa_dx10_clamp 1
		.amdhsa_ieee_mode 1
		.amdhsa_fp16_overflow 0
		.amdhsa_tg_split 0
		.amdhsa_exception_fp_ieee_invalid_op 0
		.amdhsa_exception_fp_denorm_src 0
		.amdhsa_exception_fp_ieee_div_zero 0
		.amdhsa_exception_fp_ieee_overflow 0
		.amdhsa_exception_fp_ieee_underflow 0
		.amdhsa_exception_fp_ieee_inexact 0
		.amdhsa_exception_int_div_zero 0
	.end_amdhsa_kernel
	.section	.text._ZN4vllm25paged_attention_v2_kernelIffLi256ELi32ELi128ELNS_18Fp8KVCacheDataTypeE0ELb0ELi512EEEvPfS2_PT_PKS3_PKT0_S9_ifPKiSB_iPKfiiiSD_SD_iiiii,"axG",@progbits,_ZN4vllm25paged_attention_v2_kernelIffLi256ELi32ELi128ELNS_18Fp8KVCacheDataTypeE0ELb0ELi512EEEvPfS2_PT_PKS3_PKT0_S9_ifPKiSB_iPKfiiiSD_SD_iiiii,comdat
.Lfunc_end62:
	.size	_ZN4vllm25paged_attention_v2_kernelIffLi256ELi32ELi128ELNS_18Fp8KVCacheDataTypeE0ELb0ELi512EEEvPfS2_PT_PKS3_PKT0_S9_ifPKiSB_iPKfiiiSD_SD_iiiii, .Lfunc_end62-_ZN4vllm25paged_attention_v2_kernelIffLi256ELi32ELi128ELNS_18Fp8KVCacheDataTypeE0ELb0ELi512EEEvPfS2_PT_PKS3_PKT0_S9_ifPKiSB_iPKfiiiSD_SD_iiiii
                                        ; -- End function
	.section	.AMDGPU.csdata,"",@progbits
; Kernel info:
; codeLenInByte = 14948
; NumSgprs: 55
; NumVgprs: 128
; NumAgprs: 0
; TotalNumVgprs: 128
; ScratchSize: 472
; MemoryBound: 0
; FloatMode: 240
; IeeeMode: 1
; LDSByteSize: 1040 bytes/workgroup (compile time only)
; SGPRBlocks: 6
; VGPRBlocks: 15
; NumSGPRsForWavesPerEU: 55
; NumVGPRsForWavesPerEU: 128
; AccumOffset: 128
; Occupancy: 4
; WaveLimiterHint : 1
; COMPUTE_PGM_RSRC2:SCRATCH_EN: 1
; COMPUTE_PGM_RSRC2:USER_SGPR: 2
; COMPUTE_PGM_RSRC2:TRAP_HANDLER: 0
; COMPUTE_PGM_RSRC2:TGID_X_EN: 1
; COMPUTE_PGM_RSRC2:TGID_Y_EN: 1
; COMPUTE_PGM_RSRC2:TGID_Z_EN: 1
; COMPUTE_PGM_RSRC2:TIDIG_COMP_CNT: 0
; COMPUTE_PGM_RSRC3_GFX90A:ACCUM_OFFSET: 31
; COMPUTE_PGM_RSRC3_GFX90A:TG_SPLIT: 0
	.section	.text._ZN4vllm25paged_attention_v2_kernelIttLi32ELi8ELi128ELNS_18Fp8KVCacheDataTypeE0ELb1ELi512EEEvPfS2_PT_PKS3_PKT0_S9_ifPKiSB_iPKfiiiSD_SD_iiiii,"axG",@progbits,_ZN4vllm25paged_attention_v2_kernelIttLi32ELi8ELi128ELNS_18Fp8KVCacheDataTypeE0ELb1ELi512EEEvPfS2_PT_PKS3_PKT0_S9_ifPKiSB_iPKfiiiSD_SD_iiiii,comdat
	.protected	_ZN4vllm25paged_attention_v2_kernelIttLi32ELi8ELi128ELNS_18Fp8KVCacheDataTypeE0ELb1ELi512EEEvPfS2_PT_PKS3_PKT0_S9_ifPKiSB_iPKfiiiSD_SD_iiiii ; -- Begin function _ZN4vllm25paged_attention_v2_kernelIttLi32ELi8ELi128ELNS_18Fp8KVCacheDataTypeE0ELb1ELi512EEEvPfS2_PT_PKS3_PKT0_S9_ifPKiSB_iPKfiiiSD_SD_iiiii
	.globl	_ZN4vllm25paged_attention_v2_kernelIttLi32ELi8ELi128ELNS_18Fp8KVCacheDataTypeE0ELb1ELi512EEEvPfS2_PT_PKS3_PKT0_S9_ifPKiSB_iPKfiiiSD_SD_iiiii
	.p2align	8
	.type	_ZN4vllm25paged_attention_v2_kernelIttLi32ELi8ELi128ELNS_18Fp8KVCacheDataTypeE0ELb1ELi512EEEvPfS2_PT_PKS3_PKT0_S9_ifPKiSB_iPKfiiiSD_SD_iiiii,@function
_ZN4vllm25paged_attention_v2_kernelIttLi32ELi8ELi128ELNS_18Fp8KVCacheDataTypeE0ELb1ELi512EEEvPfS2_PT_PKS3_PKT0_S9_ifPKiSB_iPKfiiiSD_SD_iiiii: ; @_ZN4vllm25paged_attention_v2_kernelIttLi32ELi8ELi128ELNS_18Fp8KVCacheDataTypeE0ELb1ELi512EEEvPfS2_PT_PKS3_PKT0_S9_ifPKiSB_iPKfiiiSD_SD_iiiii
; %bb.0:
	s_load_dwordx2 s[6:7], s[0:1], 0x40
	s_mov_b32 s28, s3
	s_ashr_i32 s29, s3, 31
	s_lshl_b64 s[8:9], s[28:29], 2
	s_waitcnt lgkmcnt(0)
	s_add_u32 s6, s6, s8
	s_addc_u32 s7, s7, s9
	s_load_dword s29, s[6:7], 0x0
	s_lshl_b32 s48, s4, 9
	s_waitcnt lgkmcnt(0)
	s_cmp_ge_i32 s48, s29
	s_cbranch_scc1 .LBB63_63
; %bb.1:
	s_load_dword s5, s[0:1], 0x90
	s_load_dwordx2 s[38:39], s[0:1], 0x30
	s_mov_b32 s49, 0
	s_waitcnt lgkmcnt(0)
	s_abs_i32 s7, s5
	s_abs_i32 s3, s38
	v_cvt_f32_u32_e32 v1, s3
	s_sub_i32 s8, 0, s3
	s_xor_b32 s6, s5, s38
	s_ashr_i32 s6, s6, 31
	v_rcp_iflag_f32_e32 v1, v1
	s_nop 0
	v_mul_f32_e32 v1, 0x4f7ffffe, v1
	v_cvt_u32_f32_e32 v1, v1
	s_nop 0
	v_readfirstlane_b32 s9, v1
	s_mul_i32 s8, s8, s9
	s_mul_hi_u32 s8, s9, s8
	s_add_i32 s9, s9, s8
	s_mul_hi_u32 s8, s7, s9
	s_mul_i32 s9, s8, s3
	s_sub_i32 s7, s7, s9
	s_add_i32 s10, s8, 1
	s_sub_i32 s9, s7, s3
	s_cmp_ge_u32 s7, s3
	s_cselect_b32 s8, s10, s8
	s_cselect_b32 s7, s9, s7
	s_add_i32 s9, s8, 1
	s_cmp_ge_u32 s7, s3
	s_cselect_b32 s3, s9, s8
	s_xor_b32 s3, s3, s6
	s_sub_i32 s11, s3, s6
	s_abs_i32 s8, s11
	v_cvt_f32_u32_e32 v1, s8
	s_load_dwordx2 s[6:7], s[0:1], 0x50
	s_sub_i32 s3, 0, s8
	s_abs_i32 s9, s2
	v_rcp_iflag_f32_e32 v1, v1
	s_nop 0
	v_mul_f32_e32 v1, 0x4f7ffffe, v1
	v_cvt_u32_f32_e32 v1, v1
	s_nop 0
	v_readfirstlane_b32 s10, v1
	s_mul_i32 s3, s3, s10
	s_mul_hi_u32 s3, s10, s3
	s_add_i32 s10, s10, s3
	s_waitcnt lgkmcnt(0)
	s_cmp_eq_u64 s[6:7], 0
	s_mul_hi_u32 s10, s9, s10
	s_cbranch_scc1 .LBB63_3
; %bb.2:
	s_ashr_i32 s3, s2, 31
	s_lshl_b64 s[12:13], s[2:3], 2
	s_add_u32 s6, s6, s12
	s_addc_u32 s7, s7, s13
	s_load_dword s49, s[6:7], 0x0
.LBB63_3:
	s_load_dwordx4 s[12:15], s[0:1], 0x58
	s_ashr_i32 s3, s2, 31
	s_ashr_i32 s11, s11, 31
	v_and_b32_e32 v4, 7, v0
	s_lshl_b32 s24, s2, 5
	v_cmp_gt_u32_e32 vcc, 32, v0
	s_and_saveexec_b64 s[6:7], vcc
	s_cbranch_execz .LBB63_5
; %bb.4:
	s_load_dwordx2 s[16:17], s[0:1], 0x18
	s_waitcnt lgkmcnt(0)
	s_mul_i32 s18, s28, s12
	s_ashr_i32 s19, s18, 31
	s_lshl_b64 s[18:19], s[18:19], 1
	v_lshlrev_b32_e32 v1, 1, v0
	s_add_u32 s12, s16, s18
	s_addc_u32 s15, s17, s19
	s_ashr_i32 s25, s24, 31
	s_lshl_b64 s[16:17], s[24:25], 1
	s_add_u32 s16, s12, s16
	s_addc_u32 s17, s15, s17
	global_load_ushort v1, v1, s[16:17]
	v_lshrrev_b32_e32 v2, 2, v0
	v_and_b32_e32 v2, 0xfe, v2
	v_lshl_add_u32 v2, v4, 3, v2
	s_waitcnt vmcnt(0)
	ds_write_b16 v2, v1
.LBB63_5:
	s_or_b64 exec, exec, s[6:7]
	s_mul_i32 s6, s10, s8
	s_sub_i32 s6, s9, s6
	s_xor_b32 s3, s3, s11
	s_add_i32 s7, s10, 1
	s_sub_i32 s9, s6, s8
	s_load_dwordx4 s[16:19], s[0:1], 0x78
	s_cmp_ge_u32 s6, s8
	s_cselect_b32 s7, s7, s10
	s_load_dword s10, s[0:1], 0x88
	s_cselect_b32 s6, s9, s6
	s_add_i32 s9, s7, 1
	s_cmp_ge_u32 s6, s8
	s_cselect_b32 s6, s9, s7
	s_waitcnt lgkmcnt(0)
	s_abs_i32 s25, s19
	v_cvt_f32_u32_e32 v1, s25
	s_xor_b32 s6, s6, s3
	s_sub_i32 s8, s6, s3
	s_sub_i32 s6, 0, s25
	v_rcp_iflag_f32_e32 v1, v1
	s_add_i32 s11, s29, -1
	s_abs_i32 s3, s11
	v_mul_f32_e32 v1, 0x4f7ffffe, v1
	v_cvt_u32_f32_e32 v1, v1
	s_barrier
	v_readfirstlane_b32 s33, v1
	s_mul_i32 s6, s6, s33
	s_mul_hi_u32 s6, s33, s6
	s_add_i32 s33, s33, s6
	s_cmp_lt_i32 s10, 0
	s_mul_hi_u32 s9, s3, s33
	s_cbranch_scc0 .LBB63_7
; %bb.6:
	s_mul_i32 s6, s16, s38
	s_add_i32 s6, s8, s6
	s_mul_i32 s6, s6, s10
	s_sub_i32 s46, 1, s6
	s_mov_b64 s[6:7], 0
	s_branch .LBB63_8
.LBB63_7:
	s_mov_b64 s[6:7], -1
                                        ; implicit-def: $sgpr46
.LBB63_8:
	s_load_dwordx2 s[30:31], s[0:1], 0x38
	s_ashr_i32 s11, s11, 31
	s_andn2_b64 vcc, exec, s[6:7]
	s_ashr_i32 s19, s19, 31
	s_cbranch_vccnz .LBB63_10
; %bb.9:
	s_mul_i32 s6, s5, s16
	s_add_i32 s6, s6, s2
	s_mul_i32 s6, s6, s10
	s_add_i32 s46, s6, 1
.LBB63_10:
	s_load_dword s6, s[0:1], 0x48
	s_load_dwordx2 s[36:37], s[0:1], 0x28
	s_load_dword s16, s[0:1], 0x98
	s_load_dwordx4 s[20:23], s[0:1], 0x0
	s_load_dwordx2 s[26:27], s[0:1], 0x10
	s_mul_i32 s7, s9, s25
	s_waitcnt lgkmcnt(0)
	s_mul_i32 s34, s28, s6
	s_sub_i32 s3, s3, s7
	s_ashr_i32 s35, s34, 31
	s_xor_b32 s6, s11, s19
	s_add_i32 s7, s9, 1
	s_sub_i32 s10, s3, s25
	s_cmp_ge_u32 s3, s25
	s_cselect_b32 s7, s7, s9
	s_cselect_b32 s3, s10, s3
	s_add_i32 s9, s7, 1
	s_cmp_ge_u32 s3, s25
	s_cselect_b32 s3, s9, s7
	s_xor_b32 s3, s3, s6
	s_sub_i32 s12, s3, s6
	s_add_i32 s3, s29, 7
	s_ashr_i32 s6, s3, 31
	s_lshr_b32 s6, s6, 29
	s_add_i32 s3, s3, s6
	s_lshl_b32 s38, s4, 6
	s_ashr_i32 s3, s3, 3
	s_add_i32 s6, s38, 64
	v_lshrrev_b32_e32 v14, 6, v0
	s_min_i32 s47, s6, s3
	v_or_b32_e32 v6, s38, v14
	v_cmp_gt_i32_e64 s[6:7], s47, v6
	v_mov_b32_e32 v11, 0xff7fffff
	s_mul_i32 s14, s8, s14
	v_ashrrev_i32_e32 v7, 31, v6
	v_lshl_add_u32 v1, v14, 3, s48
	v_mbcnt_lo_u32_b32 v8, -1, 0
	s_and_saveexec_b64 s[40:41], s[6:7]
	s_cbranch_execz .LBB63_20
; %bb.11:
	s_load_dwordx2 s[0:1], s[0:1], 0x20
	s_ashr_i32 s15, s14, 31
	s_sub_i32 s50, s12, s17
	s_lshl_b64 s[8:9], s[14:15], 1
	v_bfe_u32 v9, v0, 3, 3
	s_waitcnt lgkmcnt(0)
	s_add_u32 s0, s0, s8
	s_addc_u32 s1, s1, s9
	s_abs_i32 s15, s18
	v_cvt_f32_u32_e32 v5, s15
	v_lshlrev_b32_e32 v2, 4, v9
	v_mov_b32_e32 v3, 0
	v_lshl_add_u64 v[10:11], s[0:1], 0, v[2:3]
	v_rcp_iflag_f32_e32 v5, v5
	v_lshlrev_b32_e32 v2, 1, v4
	v_lshl_add_u64 v[2:3], v[10:11], 0, v[2:3]
	s_sub_i32 s8, 0, s15
	v_mul_f32_e32 v5, 0x4f7ffffe, v5
	v_cvt_u32_f32_e32 v5, v5
	v_lshlrev_b32_e32 v11, 2, v9
	v_cmp_eq_u32_e32 vcc, 0, v4
	v_lshlrev_b32_e32 v10, 3, v4
	v_mul_lo_u32 v4, s8, v5
	s_lshl_b64 s[8:9], s[34:35], 2
	v_lshl_or_b32 v11, v14, 5, v11
	s_add_u32 s8, s30, s8
	v_add_u32_e32 v15, 0x50, v11
	v_subrev_u32_e32 v11, s29, v9
	v_mbcnt_hi_u32_b32 v18, -1, v8
	v_mul_hi_u32 v4, v5, v4
	s_addc_u32 s9, s31, s9
	v_add_u32_e32 v16, 1, v11
	v_and_b32_e32 v11, 64, v18
	s_mov_b32 s51, s13
	v_cmp_neq_f32_e64 s[0:1], s49, 0
	v_add_u32_e32 v12, v5, v4
	v_lshl_add_u64 v[4:5], v[6:7], 2, s[8:9]
	v_lshl_add_u32 v13, v14, 3, s48
	s_mov_b64 s[42:43], 0
	v_mov_b32_e32 v17, 0xff7fffff
	v_add_u32_e32 v19, 64, v11
	v_xor_b32_e32 v20, 4, v18
	v_xor_b32_e32 v21, 2, v18
	;; [unrolled: 1-line block ×3, first 2 shown]
	v_mov_b32_e32 v11, 0xff7fffff
	v_mov_b32_e32 v23, v6
	s_branch .LBB63_14
.LBB63_12:                              ;   in Loop: Header=BB63_14 Depth=1
	s_or_b64 exec, exec, s[44:45]
.LBB63_13:                              ;   in Loop: Header=BB63_14 Depth=1
	s_or_b64 exec, exec, s[10:11]
	v_add_u32_e32 v23, 2, v23
	v_cmp_le_i32_e64 s[8:9], s47, v23
	v_lshl_add_u64 v[4:5], v[4:5], 0, 8
	v_add_u32_e32 v13, 16, v13
	s_or_b64 s[42:43], s[8:9], s[42:43]
	v_add_u32_e32 v15, 64, v15
	s_andn2_b64 exec, exec, s[42:43]
	s_cbranch_execz .LBB63_19
.LBB63_14:                              ; =>This Inner Loop Header: Depth=1
	s_waitcnt lgkmcnt(0)
	v_sub_u32_e32 v25, 0, v13
	v_max_i32_e32 v25, v13, v25
	v_mul_hi_u32 v26, v25, s33
	v_mul_lo_u32 v27, v26, s25
	v_sub_u32_e32 v25, v25, v27
	v_add_u32_e32 v27, 1, v26
	v_cmp_le_u32_e64 s[8:9], s25, v25
	v_ashrrev_i32_e32 v24, 31, v13
	v_xor_b32_e32 v24, s19, v24
	v_cndmask_b32_e64 v26, v26, v27, s[8:9]
	v_subrev_u32_e32 v27, s25, v25
	v_cndmask_b32_e64 v25, v25, v27, s[8:9]
	v_add_u32_e32 v27, 1, v26
	v_cmp_le_u32_e64 s[8:9], s25, v25
	s_nop 1
	v_cndmask_b32_e64 v25, v26, v27, s[8:9]
	v_xor_b32_e32 v25, v25, v24
	v_sub_u32_e32 v24, v25, v24
	v_add_u32_e32 v25, s46, v24
	v_sub_u32_e32 v27, 0, v25
	v_ashrrev_i32_e32 v26, 31, v25
	v_max_i32_e32 v25, v25, v27
	v_mul_hi_u32 v27, v25, v12
	v_mul_lo_u32 v27, v27, s15
	v_sub_u32_e32 v25, v25, v27
	v_subrev_u32_e32 v27, s15, v25
	v_cmp_le_u32_e64 s[8:9], s15, v25
	v_cmp_ge_i32_e64 s[10:11], s50, v24
	s_nop 0
	v_cndmask_b32_e64 v25, v25, v27, s[8:9]
	v_subrev_u32_e32 v27, s15, v25
	v_cmp_le_u32_e64 s[8:9], s15, v25
	s_nop 1
	v_cndmask_b32_e64 v25, v25, v27, s[8:9]
	v_xor_b32_e32 v25, v25, v26
	v_sub_u32_e32 v25, v25, v26
	v_cmp_ne_u32_e64 s[8:9], 0, v25
	s_and_b64 s[8:9], s[8:9], s[10:11]
	s_and_b64 s[44:45], vcc, s[8:9]
	s_and_saveexec_b64 s[10:11], s[44:45]
	s_cbranch_execz .LBB63_16
; %bb.15:                               ;   in Loop: Header=BB63_14 Depth=1
	ds_write_b32 v15, v17
.LBB63_16:                              ;   in Loop: Header=BB63_14 Depth=1
	s_or_b64 exec, exec, s[10:11]
	s_xor_b64 s[8:9], s[8:9], -1
	s_and_saveexec_b64 s[10:11], s[8:9]
	s_cbranch_execz .LBB63_13
; %bb.17:                               ;   in Loop: Header=BB63_14 Depth=1
	global_load_dword v24, v[4:5], off
	s_waitcnt vmcnt(0)
	v_mad_i64_i32 v[24:25], s[8:9], v24, s51, 0
	v_lshl_add_u64 v[24:25], v[24:25], 1, v[2:3]
	global_load_ushort v26, v[24:25], off
	global_load_ushort v27, v[24:25], off offset:128
	global_load_ushort v28, v[24:25], off offset:256
	;; [unrolled: 1-line block ×3, first 2 shown]
	ds_read_u16 v24, v10
	s_waitcnt lgkmcnt(0)
	;;#ASMSTART
	v_cvt_f32_f16 v24, v24;
	;;#ASMEND
	v_cmp_lt_i32_e64 s[8:9], v20, v19
	s_waitcnt vmcnt(3)
	;;#ASMSTART
	v_cvt_f32_f16 v25, v26;
	;;#ASMEND
	ds_read_u16 v26, v10 offset:2
	s_waitcnt lgkmcnt(0)
	;;#ASMSTART
	v_cvt_f32_f16 v26, v26;
	;;#ASMEND
	s_waitcnt vmcnt(2)
	;;#ASMSTART
	v_cvt_f32_f16 v27, v27;
	;;#ASMEND
	ds_read_u16 v30, v10 offset:4
	v_mul_f32_e32 v26, v26, v27
	v_fmac_f32_e32 v26, v24, v25
	v_cndmask_b32_e64 v31, v18, v20, s[8:9]
	s_waitcnt lgkmcnt(0)
	;;#ASMSTART
	v_cvt_f32_f16 v30, v30;
	;;#ASMEND
	s_waitcnt vmcnt(1)
	;;#ASMSTART
	v_cvt_f32_f16 v28, v28;
	;;#ASMEND
	ds_read_u16 v32, v10 offset:6
	v_fmac_f32_e32 v26, v30, v28
	v_lshlrev_b32_e32 v31, 2, v31
	s_waitcnt lgkmcnt(0)
	;;#ASMSTART
	v_cvt_f32_f16 v24, v32;
	;;#ASMEND
	s_waitcnt vmcnt(0)
	;;#ASMSTART
	v_cvt_f32_f16 v25, v29;
	;;#ASMEND
	v_cmp_lt_i32_e64 s[8:9], v21, v19
	v_fmac_f32_e32 v26, v24, v25
	ds_bpermute_b32 v24, v31, v26
	v_cndmask_b32_e64 v25, v18, v21, s[8:9]
	v_lshlrev_b32_e32 v25, 2, v25
	v_cmp_lt_i32_e64 s[8:9], v22, v19
	s_waitcnt lgkmcnt(0)
	v_add_f32_e32 v24, v26, v24
	ds_bpermute_b32 v25, v25, v24
	v_cndmask_b32_e64 v26, v18, v22, s[8:9]
	s_waitcnt lgkmcnt(0)
	v_add_f32_e32 v24, v24, v25
	v_lshlrev_b32_e32 v25, 2, v26
	ds_bpermute_b32 v25, v25, v24
	s_and_saveexec_b64 s[44:45], vcc
	s_cbranch_execz .LBB63_12
; %bb.18:                               ;   in Loop: Header=BB63_14 Depth=1
	v_add_u32_e32 v26, v16, v13
	v_cvt_f32_i32_e32 v26, v26
	s_waitcnt lgkmcnt(0)
	v_add_f32_e32 v24, v24, v25
	v_add_u32_e32 v27, v9, v13
	v_cmp_gt_i32_e64 s[8:9], s29, v27
	v_mul_f32_e32 v25, s49, v26
	v_cndmask_b32_e64 v25, 0, v25, s[0:1]
	v_fmac_f32_e32 v25, s39, v24
	v_cndmask_b32_e64 v24, 0, v25, s[8:9]
	ds_write_b32 v15, v24
	v_max_f32_e32 v24, v11, v11
	v_max_f32_e32 v24, v24, v25
	v_cndmask_b32_e64 v11, v11, v24, s[8:9]
	s_branch .LBB63_12
.LBB63_19:
	s_or_b64 exec, exec, s[42:43]
.LBB63_20:
	s_or_b64 exec, exec, s[40:41]
	v_mbcnt_hi_u32_b32 v2, -1, v8
	v_and_b32_e32 v3, 64, v2
	v_add_u32_e32 v3, 64, v3
	v_xor_b32_e32 v4, 32, v2
	v_cmp_lt_i32_e32 vcc, v4, v3
	v_xor_b32_e32 v9, 16, v2
	v_max_f32_e32 v5, v11, v11
	v_cndmask_b32_e32 v4, v2, v4, vcc
	v_lshlrev_b32_e32 v8, 2, v4
	ds_bpermute_b32 v4, v8, v11
	v_cmp_lt_i32_e32 vcc, v9, v3
	v_and_b32_e32 v15, 63, v0
	s_waitcnt lgkmcnt(0)
	v_max_f32_e32 v4, v4, v4
	v_max_f32_e32 v4, v5, v4
	v_cndmask_b32_e32 v5, v2, v9, vcc
	v_lshlrev_b32_e32 v10, 2, v5
	ds_bpermute_b32 v5, v10, v4
	v_xor_b32_e32 v9, 8, v2
	v_cmp_lt_i32_e32 vcc, v9, v3
	s_waitcnt lgkmcnt(0)
	v_max_f32_e32 v5, v5, v5
	v_max_f32_e32 v4, v4, v5
	v_cndmask_b32_e32 v5, v2, v9, vcc
	v_lshlrev_b32_e32 v11, 2, v5
	ds_bpermute_b32 v9, v11, v4
	v_cmp_eq_u32_e32 vcc, 0, v15
	v_lshlrev_b32_e32 v5, 2, v14
	s_and_saveexec_b64 s[0:1], vcc
	s_cbranch_execz .LBB63_22
; %bb.21:
	s_waitcnt lgkmcnt(0)
	v_max_f32_e32 v9, v9, v9
	v_max_f32_e32 v4, v4, v4
	;; [unrolled: 1-line block ×3, first 2 shown]
	ds_write_b32 v5, v4 offset:64
.LBB63_22:
	s_or_b64 exec, exec, s[0:1]
	v_cmp_gt_u32_e64 s[0:1], 2, v15
	v_mov_b32_e32 v4, 0xff7fffff
	s_waitcnt lgkmcnt(0)
	v_lshlrev_b32_e32 v9, 2, v15
	s_barrier
	s_and_saveexec_b64 s[8:9], s[0:1]
	s_cbranch_execz .LBB63_24
; %bb.23:
	ds_read_b32 v4, v9 offset:64
.LBB63_24:
	s_or_b64 exec, exec, s[8:9]
	v_xor_b32_e32 v12, 1, v2
	v_cmp_lt_i32_e64 s[8:9], v12, v3
	v_mov_b32_e32 v16, 0
	s_nop 0
	v_cndmask_b32_e64 v12, v2, v12, s[8:9]
	v_lshlrev_b32_e32 v12, 2, v12
	s_waitcnt lgkmcnt(0)
	ds_bpermute_b32 v13, v12, v4
	v_max_f32_e32 v4, v4, v4
	s_sub_i32 s8, s47, s38
	s_lshl_b32 s8, s8, 3
	s_add_i32 s8, s8, s48
	s_waitcnt lgkmcnt(0)
	v_max_f32_e32 v13, v13, v13
	v_max_f32_e32 v4, v4, v13
	v_lshlrev_b32_e32 v13, 2, v2
	v_and_b32_e32 v13, 0x100, v13
	ds_bpermute_b32 v4, v13, v4
	s_min_i32 s42, s8, s29
	s_sub_i32 s15, s42, s48
	v_cmp_gt_i32_e64 s[8:9], s15, v0
	s_and_saveexec_b64 s[38:39], s[8:9]
	s_cbranch_execz .LBB63_28
; %bb.25:
	v_mov_b32_e32 v16, 0x50
	v_lshl_add_u32 v17, v0, 2, v16
	s_mov_b64 s[40:41], 0
	v_mov_b32_e32 v16, 0
	v_mov_b32_e32 v18, v0
.LBB63_26:                              ; =>This Inner Loop Header: Depth=1
	ds_read_b32 v19, v17
	v_add_u32_e32 v18, 0x80, v18
	v_cmp_le_i32_e64 s[10:11], s15, v18
	s_or_b64 s[40:41], s[10:11], s[40:41]
	s_waitcnt lgkmcnt(0)
	v_sub_f32_e32 v19, v19, v4
	v_mul_f32_e32 v19, 0x3fb8aa3b, v19
	v_exp_f32_e32 v19, v19
	ds_write_b32 v17, v19
	v_add_f32_e32 v16, v16, v19
	v_add_u32_e32 v17, 0x200, v17
	s_andn2_b64 exec, exec, s[40:41]
	s_cbranch_execnz .LBB63_26
; %bb.27:
	s_or_b64 exec, exec, s[40:41]
.LBB63_28:
	s_or_b64 exec, exec, s[38:39]
	ds_bpermute_b32 v8, v8, v16
	s_waitcnt lgkmcnt(0)
	v_add_f32_e32 v8, v16, v8
	ds_bpermute_b32 v10, v10, v8
	s_waitcnt lgkmcnt(0)
	v_add_f32_e32 v8, v8, v10
	ds_bpermute_b32 v10, v11, v8
	v_xor_b32_e32 v11, 4, v2
	v_cmp_lt_i32_e64 s[10:11], v11, v3
	s_waitcnt lgkmcnt(0)
	v_add_f32_e32 v8, v8, v10
	v_cndmask_b32_e64 v11, v2, v11, s[10:11]
	v_lshlrev_b32_e32 v11, 2, v11
	ds_bpermute_b32 v10, v11, v8
	v_xor_b32_e32 v11, 2, v2
	v_cmp_lt_i32_e64 s[10:11], v11, v3
	s_waitcnt lgkmcnt(0)
	v_add_f32_e32 v3, v8, v10
	v_cndmask_b32_e64 v2, v2, v11, s[10:11]
	v_lshlrev_b32_e32 v2, 2, v2
	ds_bpermute_b32 v2, v2, v3
	s_waitcnt lgkmcnt(0)
	v_add_f32_e32 v2, v3, v2
	ds_bpermute_b32 v3, v12, v2
	s_waitcnt lgkmcnt(0)
	v_add_f32_e32 v2, v2, v3
	s_and_saveexec_b64 s[10:11], vcc
	s_cbranch_execz .LBB63_30
; %bb.29:
	ds_write_b32 v5, v2 offset:72
.LBB63_30:
	s_or_b64 exec, exec, s[10:11]
	s_waitcnt lgkmcnt(0)
	s_barrier
	s_and_saveexec_b64 s[10:11], s[0:1]
	s_cbranch_execz .LBB63_32
; %bb.31:
	ds_read_b32 v2, v9 offset:72
.LBB63_32:
	s_or_b64 exec, exec, s[10:11]
	s_waitcnt lgkmcnt(0)
	ds_bpermute_b32 v3, v12, v2
	s_waitcnt lgkmcnt(0)
	v_add_f32_e32 v2, v2, v3
	ds_bpermute_b32 v5, v13, v2
	s_and_saveexec_b64 s[0:1], s[8:9]
	s_cbranch_execz .LBB63_45
; %bb.33:
	s_waitcnt lgkmcnt(0)
	v_add_f32_e32 v2, 0x358637bd, v5
	v_div_scale_f32 v3, s[8:9], v2, v2, 1.0
	v_rcp_f32_e32 v8, v3
	v_div_scale_f32 v9, vcc, 1.0, v2, 1.0
	s_movk_i32 s8, 0x7f
	v_fma_f32 v10, -v3, v8, 1.0
	v_fmac_f32_e32 v8, v10, v8
	v_mul_f32_e32 v10, v9, v8
	v_fma_f32 v11, -v3, v10, v9
	v_fmac_f32_e32 v10, v11, v8
	v_fma_f32 v3, -v3, v10, v9
	v_div_fmas_f32 v3, v3, v8, v10
	v_div_fixup_f32 v2, v3, v2, 1.0
	v_xad_u32 v3, v0, -1, s42
	v_subrev_u32_e32 v8, s48, v3
	v_cmp_lt_u32_e32 vcc, s8, v8
	s_mov_b64 s[10:11], -1
	v_mov_b32_e32 v3, v0
	s_and_saveexec_b64 s[8:9], vcc
	s_cbranch_execz .LBB63_42
; %bb.34:
	v_lshrrev_b32_e32 v8, 7, v8
	v_add_u32_e32 v10, -1, v8
	v_lshrrev_b32_e32 v9, 1, v10
	v_mov_b32_e32 v3, v2
	v_add_u32_e32 v9, 1, v9
	v_cmp_lt_u32_e32 vcc, 13, v10
	v_mov_b32_e32 v12, 0
	s_and_saveexec_b64 s[10:11], vcc
	s_cbranch_execz .LBB63_38
; %bb.35:
	v_mov_b32_e32 v11, 0x50
	v_and_b32_e32 v10, -8, v9
	v_lshl_add_u32 v11, v0, 2, v11
	s_mov_b32 s40, 0
	s_mov_b64 s[38:39], 0
.LBB63_36:                              ; =>This Inner Loop Header: Depth=1
	ds_read2st64_b32 v[12:13], v11 offset1:2
	ds_read2st64_b32 v[16:17], v11 offset0:4 offset1:6
	ds_read2st64_b32 v[18:19], v11 offset0:8 offset1:10
	ds_read2st64_b32 v[20:21], v11 offset0:12 offset1:14
	v_add_u32_e32 v10, -8, v10
	s_waitcnt lgkmcnt(3)
	v_pk_mul_f32 v[12:13], v[2:3], v[12:13]
	s_waitcnt lgkmcnt(2)
	v_pk_mul_f32 v[16:17], v[2:3], v[16:17]
	ds_write2st64_b32 v11, v12, v13 offset1:2
	ds_write2st64_b32 v11, v16, v17 offset0:4 offset1:6
	ds_read2st64_b32 v[16:17], v11 offset0:16 offset1:18
	s_waitcnt lgkmcnt(4)
	v_pk_mul_f32 v[12:13], v[2:3], v[18:19]
	ds_write2st64_b32 v11, v12, v13 offset0:8 offset1:10
	s_waitcnt lgkmcnt(4)
	v_pk_mul_f32 v[12:13], v[2:3], v[20:21]
	ds_write2st64_b32 v11, v12, v13 offset0:12 offset1:14
	ds_read2st64_b32 v[12:13], v11 offset0:20 offset1:22
	s_waitcnt lgkmcnt(3)
	v_pk_mul_f32 v[16:17], v[2:3], v[16:17]
	ds_read2st64_b32 v[18:19], v11 offset0:24 offset1:26
	ds_write2st64_b32 v11, v16, v17 offset0:16 offset1:18
	ds_read2st64_b32 v[16:17], v11 offset0:28 offset1:30
	s_waitcnt lgkmcnt(3)
	v_pk_mul_f32 v[12:13], v[2:3], v[12:13]
	ds_write2st64_b32 v11, v12, v13 offset0:20 offset1:22
	s_waitcnt lgkmcnt(3)
	v_pk_mul_f32 v[12:13], v[2:3], v[18:19]
	ds_write2st64_b32 v11, v12, v13 offset0:24 offset1:26
	s_waitcnt lgkmcnt(2)
	v_pk_mul_f32 v[12:13], v[2:3], v[16:17]
	s_add_i32 s40, s40, 16
	v_cmp_eq_u32_e32 vcc, 0, v10
	ds_write2st64_b32 v11, v12, v13 offset0:28 offset1:30
	v_add_u32_e32 v11, 0x2000, v11
	s_or_b64 s[38:39], vcc, s[38:39]
	v_mov_b32_e32 v12, s40
	s_andn2_b64 exec, exec, s[38:39]
	s_cbranch_execnz .LBB63_36
; %bb.37:
	s_or_b64 exec, exec, s[38:39]
.LBB63_38:
	s_or_b64 exec, exec, s[10:11]
	v_and_b32_e32 v9, 7, v9
	v_cmp_ne_u32_e32 vcc, 0, v9
	s_and_saveexec_b64 s[10:11], vcc
	s_cbranch_execz .LBB63_41
; %bb.39:
	v_lshlrev_b32_e32 v10, 9, v12
	v_lshlrev_b32_e32 v11, 2, v0
	s_movk_i32 s38, 0x50
	v_add3_u32 v10, v10, v11, s38
	s_mov_b64 s[38:39], 0
.LBB63_40:                              ; =>This Inner Loop Header: Depth=1
	ds_read2st64_b32 v[12:13], v10 offset1:2
	v_add_u32_e32 v9, -1, v9
	v_cmp_eq_u32_e32 vcc, 0, v9
	s_or_b64 s[38:39], vcc, s[38:39]
	s_waitcnt lgkmcnt(0)
	v_pk_mul_f32 v[12:13], v[2:3], v[12:13]
	ds_write2st64_b32 v10, v12, v13 offset1:2
	v_add_u32_e32 v10, 0x400, v10
	s_andn2_b64 exec, exec, s[38:39]
	s_cbranch_execnz .LBB63_40
.LBB63_41:
	s_or_b64 exec, exec, s[10:11]
	v_add_u32_e32 v8, 1, v8
	v_and_b32_e32 v9, 0x3fffffe, v8
	v_cmp_ne_u32_e32 vcc, v8, v9
	v_lshl_add_u32 v3, v9, 7, v0
	s_orn2_b64 s[10:11], vcc, exec
.LBB63_42:
	s_or_b64 exec, exec, s[8:9]
	s_and_b64 exec, exec, s[10:11]
	s_cbranch_execz .LBB63_45
; %bb.43:
	v_mov_b32_e32 v8, 0x50
	v_lshl_add_u32 v8, v3, 2, v8
	s_mov_b64 s[8:9], 0
.LBB63_44:                              ; =>This Inner Loop Header: Depth=1
	ds_read_b32 v9, v8
	v_add_u32_e32 v3, 0x80, v3
	v_cmp_le_i32_e32 vcc, s15, v3
	s_or_b64 s[8:9], vcc, s[8:9]
	s_waitcnt lgkmcnt(0)
	v_mul_f32_e32 v9, v2, v9
	ds_write_b32 v8, v9
	v_add_u32_e32 v8, 0x200, v8
	s_andn2_b64 exec, exec, s[8:9]
	s_cbranch_execnz .LBB63_44
.LBB63_45:
	s_or_b64 exec, exec, s[0:1]
	s_mul_i32 s0, s16, s28
	v_cmp_eq_u32_e32 vcc, 0, v0
	s_mul_i32 s8, s0, s5
	s_waitcnt lgkmcnt(0)
	s_barrier
	s_and_saveexec_b64 s[0:1], vcc
	s_cbranch_execz .LBB63_47
; %bb.46:
	s_ashr_i32 s9, s8, 31
	s_lshl_b64 s[10:11], s[8:9], 2
	s_add_u32 s5, s22, s10
	s_mul_i32 s22, s16, s2
	s_addc_u32 s9, s23, s11
	s_ashr_i32 s23, s22, 31
	s_lshl_b64 s[22:23], s[22:23], 2
	s_add_u32 s2, s5, s22
	s_addc_u32 s9, s9, s23
	s_ashr_i32 s5, s4, 31
	s_lshl_b64 s[38:39], s[4:5], 2
	s_add_u32 s40, s2, s38
	s_addc_u32 s41, s9, s39
	s_add_u32 s2, s20, s10
	s_addc_u32 s5, s21, s11
	;; [unrolled: 2-line block ×3, first 2 shown]
	s_add_u32 s10, s2, s38
	v_mov_b32_e32 v2, 0
	s_addc_u32 s11, s5, s39
	global_store_dword v2, v4, s[40:41]
	global_store_dword v2, v5, s[10:11]
.LBB63_47:
	s_or_b64 exec, exec, s[0:1]
	v_mov_b32_e32 v9, 0
	s_and_saveexec_b64 s[10:11], s[6:7]
	s_cbranch_execz .LBB63_57
; %bb.48:
	s_ashr_i32 s15, s14, 31
	s_sub_i32 s5, s12, s17
	s_lshl_b64 s[0:1], s[14:15], 1
	s_add_u32 s0, s36, s0
	s_addc_u32 s1, s37, s1
	s_abs_i32 s17, s18
	v_cvt_f32_u32_e32 v2, s17
	v_lshlrev_b32_e32 v8, 4, v15
	v_mov_b32_e32 v9, 0
	v_lshl_add_u64 v[10:11], s[0:1], 0, v[8:9]
	v_rcp_iflag_f32_e32 v2, v2
	s_sub_i32 s0, 0, s17
	s_add_i32 s18, s3, -1
	v_cmp_gt_u32_e32 vcc, 32, v15
	v_mul_f32_e32 v2, 0x4f7ffffe, v2
	v_cvt_u32_f32_e32 v2, v2
	s_mov_b32 s9, s13
	s_mov_b32 s20, s29
	s_mov_b32 s21, s29
	v_mul_lo_u32 v3, s0, v2
	s_lshl_b64 s[0:1], s[34:35], 2
	v_mul_hi_u32 v3, v2, v3
	s_add_u32 s0, s30, s0
	v_add_u32_e32 v8, v2, v3
	s_addc_u32 s1, s31, s1
	v_mov_b32_e32 v2, 0x50
	s_mov_b32 s22, s29
	s_mov_b32 s23, s29
	;; [unrolled: 1-line block ×5, first 2 shown]
	v_lshl_add_u64 v[12:13], v[6:7], 2, s[0:1]
	v_lshl_add_u32 v7, v14, 5, v2
	s_mov_b64 s[6:7], 0
	s_mov_b32 s30, 0x5040100
	s_branch .LBB63_52
.LBB63_49:                              ;   in Loop: Header=BB63_52 Depth=1
	s_or_b64 exec, exec, s[14:15]
	v_and_b32_e32 v14, 0xffff, v14
	v_lshl_or_b32 v14, v16, 16, v14
	v_and_b32_e32 v16, 0xffff, v17
	v_lshl_or_b32 v16, v18, 16, v16
	v_and_b32_e32 v17, 0xffff, v19
	v_and_b32_e32 v18, 0xffff, v21
	s_waitcnt vmcnt(0)
	;;#ASMSTART
	v_pk_mul_f16 v2, v14, v2;

	;;#ASMEND
	v_lshl_or_b32 v17, v20, 16, v17
	v_lshl_or_b32 v18, v22, 16, v18
	;;#ASMSTART
	v_pk_mul_f16 v3, v16, v3;

	;;#ASMEND
	;;#ASMSTART
	v_pk_mul_f16 v4, v17, v4;

	;;#ASMEND
	;; [unrolled: 4-line block ×3, first 2 shown]
	s_nop 0
	;;#ASMSTART
	v_pk_add_f16 v2, v2, v3;

	;;#ASMEND
	s_nop 0
	;;#ASMSTART
	v_pk_add_f16 v2, v2, v4;

	;;#ASMEND
	;; [unrolled: 5-line block ×3, first 2 shown]
	s_nop 0
	v_lshrrev_b32_e32 v3, 16, v2
	v_and_b32_e32 v2, 0xffff, v2
	;;#ASMSTART
	v_cvt_f32_f16 v2, v2;
	;;#ASMEND
	;;#ASMSTART
	v_cvt_f32_f16 v3, v3;
	;;#ASMEND
	s_nop 0
	v_add_f32_e32 v2, v2, v3
	v_add_f32_e32 v9, v9, v2
.LBB63_50:                              ;   in Loop: Header=BB63_52 Depth=1
	s_or_b64 exec, exec, s[12:13]
.LBB63_51:                              ;   in Loop: Header=BB63_52 Depth=1
	s_or_b64 exec, exec, s[2:3]
	v_add_u32_e32 v6, 2, v6
	v_cmp_le_i32_e64 s[0:1], s47, v6
	v_lshl_add_u64 v[12:13], v[12:13], 0, 8
	v_add_u32_e32 v1, 16, v1
	s_or_b64 s[6:7], s[0:1], s[6:7]
	v_add_u32_e32 v7, 64, v7
	s_andn2_b64 exec, exec, s[6:7]
	s_cbranch_execz .LBB63_56
.LBB63_52:                              ; =>This Inner Loop Header: Depth=1
	v_sub_u32_e32 v3, 0, v1
	v_max_i32_e32 v3, v1, v3
	v_mul_hi_u32 v4, v3, s33
	v_mul_lo_u32 v5, v4, s25
	v_sub_u32_e32 v3, v3, v5
	v_add_u32_e32 v5, 1, v4
	v_cmp_le_u32_e64 s[0:1], s25, v3
	v_ashrrev_i32_e32 v2, 31, v1
	v_xor_b32_e32 v2, s19, v2
	v_cndmask_b32_e64 v4, v4, v5, s[0:1]
	v_subrev_u32_e32 v5, s25, v3
	v_cndmask_b32_e64 v3, v3, v5, s[0:1]
	v_add_u32_e32 v5, 1, v4
	v_cmp_le_u32_e64 s[0:1], s25, v3
	s_nop 1
	v_cndmask_b32_e64 v3, v4, v5, s[0:1]
	v_xor_b32_e32 v3, v3, v2
	v_sub_u32_e32 v2, v3, v2
	v_add_u32_e32 v3, s46, v2
	v_sub_u32_e32 v5, 0, v3
	v_ashrrev_i32_e32 v4, 31, v3
	v_max_i32_e32 v3, v3, v5
	v_mul_hi_u32 v5, v3, v8
	v_mul_lo_u32 v5, v5, s17
	v_sub_u32_e32 v3, v3, v5
	v_subrev_u32_e32 v5, s17, v3
	v_cmp_le_u32_e64 s[0:1], s17, v3
	v_cmp_lt_i32_e64 s[2:3], s5, v2
	s_nop 0
	v_cndmask_b32_e64 v3, v3, v5, s[0:1]
	v_subrev_u32_e32 v5, s17, v3
	v_cmp_le_u32_e64 s[0:1], s17, v3
	s_nop 1
	v_cndmask_b32_e64 v3, v3, v5, s[0:1]
	v_xor_b32_e32 v3, v3, v4
	v_sub_u32_e32 v3, v3, v4
	v_cmp_eq_u32_e64 s[0:1], 0, v3
	s_or_b64 s[0:1], s[0:1], s[2:3]
	s_and_saveexec_b64 s[2:3], s[0:1]
	s_cbranch_execz .LBB63_51
; %bb.53:                               ;   in Loop: Header=BB63_52 Depth=1
	ds_read2_b64 v[2:5], v7 offset1:1
	ds_read2_b64 v[20:23], v7 offset0:2 offset1:3
	s_waitcnt lgkmcnt(1)
	;;#ASMSTART
	v_cvt_f16_f32 v14, v2;

	;;#ASMEND
	;;#ASMSTART
	v_cvt_f16_f32 v16, v3;

	;;#ASMEND
	;; [unrolled: 4-line block ×4, first 2 shown]
	s_waitcnt lgkmcnt(0)
	;;#ASMSTART
	v_cvt_f16_f32 v19, v20;

	;;#ASMEND
	;;#ASMSTART
	v_cvt_f16_f32 v20, v21;

	;;#ASMEND
	;; [unrolled: 4-line block ×4, first 2 shown]
	s_and_saveexec_b64 s[12:13], vcc
	s_cbranch_execz .LBB63_50
; %bb.54:                               ;   in Loop: Header=BB63_52 Depth=1
	global_load_dword v2, v[12:13], off
	s_waitcnt vmcnt(0)
	v_mad_i64_i32 v[2:3], s[0:1], v2, s9, 0
	v_lshl_add_u64 v[2:3], v[2:3], 1, v[10:11]
	global_load_dwordx4 v[2:5], v[2:3], off
	v_cmp_eq_u32_e64 s[0:1], s18, v6
	s_and_saveexec_b64 s[14:15], s[0:1]
	s_cbranch_execz .LBB63_49
; %bb.55:                               ;   in Loop: Header=BB63_52 Depth=1
	v_or_b32_e32 v28, 7, v1
	v_or_b32_e32 v29, 6, v1
	s_waitcnt vmcnt(0)
	v_lshrrev_b32_e32 v30, 16, v5
	v_cmp_gt_i32_e64 s[0:1], s37, v28
	v_or_b32_e32 v26, 5, v1
	v_or_b32_e32 v27, 4, v1
	v_cndmask_b32_e64 v28, 0, v30, s[0:1]
	v_cmp_gt_i32_e64 s[0:1], s36, v29
	v_or_b32_e32 v24, 3, v1
	v_or_b32_e32 v25, 2, v1
	v_cndmask_b32_e64 v5, 0, v5, s[0:1]
	v_perm_b32 v5, v28, v5, s30
	v_lshrrev_b32_e32 v28, 16, v4
	v_cmp_gt_i32_e64 s[0:1], s28, v26
	v_add_u32_e32 v23, 1, v1
	s_nop 0
	v_cndmask_b32_e64 v26, 0, v28, s[0:1]
	v_cmp_gt_i32_e64 s[0:1], s23, v27
	s_nop 1
	v_cndmask_b32_e64 v4, 0, v4, s[0:1]
	v_perm_b32 v4, v26, v4, s30
	v_lshrrev_b32_e32 v26, 16, v3
	v_cmp_gt_i32_e64 s[0:1], s22, v24
	s_nop 1
	v_cndmask_b32_e64 v24, 0, v26, s[0:1]
	v_cmp_gt_i32_e64 s[0:1], s21, v25
	s_nop 1
	v_cndmask_b32_e64 v3, 0, v3, s[0:1]
	v_perm_b32 v3, v24, v3, s30
	v_lshrrev_b32_e32 v24, 16, v2
	v_cmp_gt_i32_e64 s[0:1], s20, v23
	s_nop 1
	v_cndmask_b32_e64 v23, 0, v24, s[0:1]
	v_cmp_gt_i32_e64 s[0:1], s29, v1
	s_nop 1
	v_cndmask_b32_e64 v2, 0, v2, s[0:1]
	v_perm_b32 v2, v23, v2, s30
	s_branch .LBB63_49
.LBB63_56:
	s_or_b64 exec, exec, s[6:7]
.LBB63_57:
	s_or_b64 exec, exec, s[10:11]
	v_and_b32_e32 v1, 0x3c0, v0
	v_cmp_eq_u32_e64 s[0:1], 64, v1
	v_cmp_gt_u32_e32 vcc, 32, v15
	s_and_b64 s[2:3], s[0:1], vcc
	s_barrier
	s_and_saveexec_b64 s[0:1], s[2:3]
	s_cbranch_execz .LBB63_59
; %bb.58:
	v_mov_b32_e32 v1, 0x50
	v_lshl_add_u32 v1, v15, 2, v1
	ds_write_b32 v1, v9
.LBB63_59:
	s_or_b64 exec, exec, s[0:1]
	v_cmp_gt_u32_e64 s[0:1], 64, v0
	s_and_b64 s[0:1], s[0:1], vcc
	s_waitcnt lgkmcnt(0)
	s_barrier
	s_and_saveexec_b64 s[2:3], s[0:1]
	s_cbranch_execz .LBB63_61
; %bb.60:
	v_mov_b32_e32 v0, 0x50
	v_lshl_add_u32 v0, v15, 2, v0
	ds_read_b32 v0, v0
	s_waitcnt lgkmcnt(0)
	v_add_f32_e32 v9, v9, v0
.LBB63_61:
	s_or_b64 exec, exec, s[2:3]
	s_barrier
	s_and_saveexec_b64 s[2:3], s[0:1]
	s_cbranch_execz .LBB63_63
; %bb.62:
	s_lshl_b32 s0, s8, 5
	s_ashr_i32 s1, s0, 31
	s_lshl_b64 s[0:1], s[0:1], 1
	s_add_u32 s2, s26, s0
	s_mul_i32 s0, s16, s24
	s_addc_u32 s3, s27, s1
	s_ashr_i32 s1, s0, 31
	s_lshl_b64 s[0:1], s[0:1], 1
	s_add_u32 s2, s2, s0
	s_addc_u32 s3, s3, s1
	s_lshl_b32 s0, s4, 5
	s_ashr_i32 s1, s0, 31
	s_lshl_b64 s[0:1], s[0:1], 1
	s_add_u32 s0, s2, s0
	s_addc_u32 s1, s3, s1
	v_lshlrev_b32_e32 v0, 1, v15
	;;#ASMSTART
	v_cvt_f16_f32 v1, v9;

	;;#ASMEND
	global_store_short v0, v1, s[0:1]
.LBB63_63:
	s_endpgm
	.section	.rodata,"a",@progbits
	.p2align	6, 0x0
	.amdhsa_kernel _ZN4vllm25paged_attention_v2_kernelIttLi32ELi8ELi128ELNS_18Fp8KVCacheDataTypeE0ELb1ELi512EEEvPfS2_PT_PKS3_PKT0_S9_ifPKiSB_iPKfiiiSD_SD_iiiii
		.amdhsa_group_segment_fixed_size 80
		.amdhsa_private_segment_fixed_size 0
		.amdhsa_kernarg_size 400
		.amdhsa_user_sgpr_count 2
		.amdhsa_user_sgpr_dispatch_ptr 0
		.amdhsa_user_sgpr_queue_ptr 0
		.amdhsa_user_sgpr_kernarg_segment_ptr 1
		.amdhsa_user_sgpr_dispatch_id 0
		.amdhsa_user_sgpr_kernarg_preload_length 0
		.amdhsa_user_sgpr_kernarg_preload_offset 0
		.amdhsa_user_sgpr_private_segment_size 0
		.amdhsa_uses_dynamic_stack 0
		.amdhsa_enable_private_segment 0
		.amdhsa_system_sgpr_workgroup_id_x 1
		.amdhsa_system_sgpr_workgroup_id_y 1
		.amdhsa_system_sgpr_workgroup_id_z 1
		.amdhsa_system_sgpr_workgroup_info 0
		.amdhsa_system_vgpr_workitem_id 0
		.amdhsa_next_free_vgpr 33
		.amdhsa_next_free_sgpr 52
		.amdhsa_accum_offset 36
		.amdhsa_reserve_vcc 1
		.amdhsa_float_round_mode_32 0
		.amdhsa_float_round_mode_16_64 0
		.amdhsa_float_denorm_mode_32 3
		.amdhsa_float_denorm_mode_16_64 3
		.amdhsa_dx10_clamp 1
		.amdhsa_ieee_mode 1
		.amdhsa_fp16_overflow 0
		.amdhsa_tg_split 0
		.amdhsa_exception_fp_ieee_invalid_op 0
		.amdhsa_exception_fp_denorm_src 0
		.amdhsa_exception_fp_ieee_div_zero 0
		.amdhsa_exception_fp_ieee_overflow 0
		.amdhsa_exception_fp_ieee_underflow 0
		.amdhsa_exception_fp_ieee_inexact 0
		.amdhsa_exception_int_div_zero 0
	.end_amdhsa_kernel
	.section	.text._ZN4vllm25paged_attention_v2_kernelIttLi32ELi8ELi128ELNS_18Fp8KVCacheDataTypeE0ELb1ELi512EEEvPfS2_PT_PKS3_PKT0_S9_ifPKiSB_iPKfiiiSD_SD_iiiii,"axG",@progbits,_ZN4vllm25paged_attention_v2_kernelIttLi32ELi8ELi128ELNS_18Fp8KVCacheDataTypeE0ELb1ELi512EEEvPfS2_PT_PKS3_PKT0_S9_ifPKiSB_iPKfiiiSD_SD_iiiii,comdat
.Lfunc_end63:
	.size	_ZN4vllm25paged_attention_v2_kernelIttLi32ELi8ELi128ELNS_18Fp8KVCacheDataTypeE0ELb1ELi512EEEvPfS2_PT_PKS3_PKT0_S9_ifPKiSB_iPKfiiiSD_SD_iiiii, .Lfunc_end63-_ZN4vllm25paged_attention_v2_kernelIttLi32ELi8ELi128ELNS_18Fp8KVCacheDataTypeE0ELb1ELi512EEEvPfS2_PT_PKS3_PKT0_S9_ifPKiSB_iPKfiiiSD_SD_iiiii
                                        ; -- End function
	.section	.AMDGPU.csdata,"",@progbits
; Kernel info:
; codeLenInByte = 4504
; NumSgprs: 58
; NumVgprs: 33
; NumAgprs: 0
; TotalNumVgprs: 33
; ScratchSize: 0
; MemoryBound: 0
; FloatMode: 240
; IeeeMode: 1
; LDSByteSize: 80 bytes/workgroup (compile time only)
; SGPRBlocks: 7
; VGPRBlocks: 4
; NumSGPRsForWavesPerEU: 58
; NumVGPRsForWavesPerEU: 33
; AccumOffset: 36
; Occupancy: 8
; WaveLimiterHint : 1
; COMPUTE_PGM_RSRC2:SCRATCH_EN: 0
; COMPUTE_PGM_RSRC2:USER_SGPR: 2
; COMPUTE_PGM_RSRC2:TRAP_HANDLER: 0
; COMPUTE_PGM_RSRC2:TGID_X_EN: 1
; COMPUTE_PGM_RSRC2:TGID_Y_EN: 1
; COMPUTE_PGM_RSRC2:TGID_Z_EN: 1
; COMPUTE_PGM_RSRC2:TIDIG_COMP_CNT: 0
; COMPUTE_PGM_RSRC3_GFX90A:ACCUM_OFFSET: 8
; COMPUTE_PGM_RSRC3_GFX90A:TG_SPLIT: 0
	.section	.text._ZN4vllm32paged_attention_v2_reduce_kernelItLi32ELi128ELi512EEEvPT_PKfS4_PKS1_PKii,"axG",@progbits,_ZN4vllm32paged_attention_v2_reduce_kernelItLi32ELi128ELi512EEEvPT_PKfS4_PKS1_PKii,comdat
	.protected	_ZN4vllm32paged_attention_v2_reduce_kernelItLi32ELi128ELi512EEEvPT_PKfS4_PKS1_PKii ; -- Begin function _ZN4vllm32paged_attention_v2_reduce_kernelItLi32ELi128ELi512EEEvPT_PKfS4_PKS1_PKii
	.globl	_ZN4vllm32paged_attention_v2_reduce_kernelItLi32ELi128ELi512EEEvPT_PKfS4_PKS1_PKii
	.p2align	8
	.type	_ZN4vllm32paged_attention_v2_reduce_kernelItLi32ELi128ELi512EEEvPT_PKfS4_PKS1_PKii,@function
_ZN4vllm32paged_attention_v2_reduce_kernelItLi32ELi128ELi512EEEvPT_PKfS4_PKS1_PKii: ; @_ZN4vllm32paged_attention_v2_reduce_kernelItLi32ELi128ELi512EEEvPT_PKfS4_PKS1_PKii
; %bb.0:
	s_load_dwordx4 s[8:11], s[0:1], 0x18
	s_add_u32 s6, s0, 48
	s_mov_b32 s12, s3
	s_addc_u32 s7, s1, 0
	s_ashr_i32 s13, s3, 31
	s_lshl_b64 s[4:5], s[12:13], 2
	s_waitcnt lgkmcnt(0)
	s_add_u32 s4, s10, s4
	s_addc_u32 s5, s11, s5
	s_load_dword s26, s[4:5], 0x0
	s_load_dwordx2 s[10:11], s[0:1], 0x0
	s_load_dword s3, s[0:1], 0x28
	s_load_dword s13, s[0:1], 0x30
	s_waitcnt lgkmcnt(0)
	s_add_i32 s4, s26, -1
	s_cmpk_gt_u32 s4, 0x1ff
	s_mov_b64 s[4:5], -1
	s_cbranch_scc0 .LBB64_25
; %bb.1:
	s_add_i32 s4, s26, 0x1ff
	s_load_dwordx2 s[18:19], s[0:1], 0x8
	s_ashr_i32 s5, s4, 31
	s_lshr_b32 s5, s5, 23
	s_add_i32 s4, s4, s5
	s_mul_i32 s24, s13, s12
	s_ashr_i32 s25, s4, 9
	s_mul_i32 s14, s24, s3
	s_mul_i32 s16, s2, s3
	s_ashr_i32 s15, s14, 31
	s_ashr_i32 s17, s16, 31
	v_cmp_gt_i32_e32 vcc, s25, v0
	v_mov_b32_e32 v6, 0xff7fffff
	v_lshlrev_b32_e32 v2, 2, v0
	s_and_saveexec_b64 s[4:5], vcc
	s_cbranch_execz .LBB64_5
; %bb.2:
	s_load_dword s20, s[6:7], 0xc
	s_load_dwordx2 s[22:23], s[0:1], 0x10
	s_lshl_b64 s[0:1], s[14:15], 2
	s_lshl_b64 s[28:29], s[16:17], 2
	v_mov_b32_e32 v3, 0
	s_waitcnt lgkmcnt(0)
	s_and_b32 s27, s20, 0xffff
	s_add_u32 s0, s0, s28
	s_addc_u32 s1, s1, s29
	s_add_u32 s0, s22, s0
	s_addc_u32 s1, s23, s1
	s_mov_b32 s21, 0
	v_lshl_add_u64 v[4:5], s[0:1], 0, v[2:3]
	s_lshl_b32 s20, s27, 2
	v_add_u32_e32 v1, 16, v2
	s_mov_b64 s[22:23], 0
	v_mov_b32_e32 v6, 0xff7fffff
	v_mov_b32_e32 v3, v0
.LBB64_3:                               ; =>This Inner Loop Header: Depth=1
	global_load_dword v7, v[4:5], off
	v_add_u32_e32 v3, s27, v3
	v_max_f32_e32 v6, v6, v6
	v_cmp_le_i32_e64 s[0:1], s25, v3
	v_lshl_add_u64 v[4:5], v[4:5], 0, s[20:21]
	s_or_b64 s[22:23], s[0:1], s[22:23]
	s_waitcnt vmcnt(0)
	ds_write_b32 v1, v7
	v_max_f32_e32 v7, v7, v7
	v_add_u32_e32 v1, s20, v1
	v_max_f32_e32 v6, v6, v7
	s_andn2_b64 exec, exec, s[22:23]
	s_cbranch_execnz .LBB64_3
; %bb.4:
	s_or_b64 exec, exec, s[22:23]
.LBB64_5:
	s_or_b64 exec, exec, s[4:5]
	v_mbcnt_lo_u32_b32 v1, -1, 0
	v_mbcnt_hi_u32_b32 v3, -1, v1
	v_and_b32_e32 v1, 64, v3
	v_add_u32_e32 v7, 64, v1
	v_xor_b32_e32 v1, 32, v3
	v_cmp_lt_i32_e64 s[0:1], v1, v7
	v_max_f32_e32 v5, v6, v6
	v_xor_b32_e32 v8, 8, v3
	v_cndmask_b32_e64 v1, v3, v1, s[0:1]
	v_lshlrev_b32_e32 v1, 2, v1
	ds_bpermute_b32 v4, v1, v6
	v_xor_b32_e32 v6, 16, v3
	v_cmp_lt_i32_e64 s[0:1], v6, v7
	v_xor_b32_e32 v9, 4, v3
	v_xor_b32_e32 v10, 2, v3
	s_waitcnt lgkmcnt(0)
	v_max_f32_e32 v4, v4, v4
	v_max_f32_e32 v4, v5, v4
	v_cndmask_b32_e64 v5, v3, v6, s[0:1]
	v_lshlrev_b32_e32 v6, 2, v5
	ds_bpermute_b32 v5, v6, v4
	v_cmp_lt_i32_e64 s[0:1], v8, v7
	v_lshrrev_b32_e32 v13, 6, v0
	s_waitcnt lgkmcnt(0)
	s_barrier
	v_max_f32_e32 v5, v5, v5
	v_max_f32_e32 v4, v4, v5
	v_cndmask_b32_e64 v5, v3, v8, s[0:1]
	v_lshlrev_b32_e32 v8, 2, v5
	ds_bpermute_b32 v5, v8, v4
	v_cmp_lt_i32_e64 s[0:1], v9, v7
	s_waitcnt lgkmcnt(0)
	v_max_f32_e32 v5, v5, v5
	v_max_f32_e32 v4, v4, v5
	v_cndmask_b32_e64 v5, v3, v9, s[0:1]
	v_lshlrev_b32_e32 v9, 2, v5
	ds_bpermute_b32 v5, v9, v4
	v_cmp_lt_i32_e64 s[0:1], v10, v7
	s_waitcnt lgkmcnt(0)
	v_max_f32_e32 v5, v5, v5
	v_max_f32_e32 v5, v4, v5
	v_cndmask_b32_e64 v4, v3, v10, s[0:1]
	v_lshlrev_b32_e32 v10, 2, v4
	ds_bpermute_b32 v11, v10, v5
	v_and_b32_e32 v4, 63, v0
	s_waitcnt lgkmcnt(0)
	v_max_f32_e32 v11, v11, v11
	v_max_f32_e32 v5, v5, v11
	v_xor_b32_e32 v11, 1, v3
	v_cmp_lt_i32_e64 s[0:1], v11, v7
	s_nop 1
	v_cndmask_b32_e64 v7, v3, v11, s[0:1]
	v_lshlrev_b32_e32 v7, 2, v7
	ds_bpermute_b32 v12, v7, v5
	v_cmp_eq_u32_e64 s[0:1], 0, v4
	v_lshlrev_b32_e32 v11, 2, v13
	s_and_saveexec_b64 s[4:5], s[0:1]
	s_cbranch_execz .LBB64_7
; %bb.6:
	s_waitcnt lgkmcnt(0)
	v_max_f32_e32 v12, v12, v12
	v_max_f32_e32 v5, v5, v5
	;; [unrolled: 1-line block ×3, first 2 shown]
	ds_write_b32 v11, v5
.LBB64_7:
	s_or_b64 exec, exec, s[4:5]
	v_cmp_gt_u32_e64 s[4:5], 2, v4
	v_mov_b32_e32 v5, 0xff7fffff
	s_waitcnt lgkmcnt(0)
	v_lshlrev_b32_e32 v12, 2, v4
	s_barrier
	s_and_saveexec_b64 s[20:21], s[4:5]
	s_cbranch_execz .LBB64_9
; %bb.8:
	ds_read_b32 v5, v12
.LBB64_9:
	s_or_b64 exec, exec, s[20:21]
	s_waitcnt lgkmcnt(0)
	ds_bpermute_b32 v4, v7, v5
	v_max_f32_e32 v5, v5, v5
	v_lshlrev_b32_e32 v3, 2, v3
	v_and_b32_e32 v13, 0x100, v3
	s_lshl_b32 s27, s25, 2
	s_waitcnt lgkmcnt(0)
	v_max_f32_e32 v4, v4, v4
	v_max_f32_e32 v4, v5, v4
	ds_bpermute_b32 v14, v13, v4
	v_mov_b32_e32 v3, 0
	s_and_saveexec_b64 s[20:21], vcc
	s_cbranch_execz .LBB64_13
; %bb.10:
	s_load_dword s22, s[6:7], 0xc
	s_lshl_b64 s[28:29], s[14:15], 2
	s_lshl_b64 s[30:31], s[16:17], 2
	v_mov_b32_e32 v3, 0
	s_mov_b32 s23, 0
	s_waitcnt lgkmcnt(0)
	s_and_b32 s15, s22, 0xffff
	s_add_u32 s17, s28, s30
	s_addc_u32 s22, s29, s31
	s_add_u32 s18, s18, s17
	s_addc_u32 s19, s19, s22
	v_lshl_add_u64 v[4:5], s[18:19], 0, v[2:3]
	s_lshl_b32 s22, s15, 2
	v_add_u32_e32 v2, 16, v2
	s_mov_b64 s[18:19], 0
	s_mov_b32 s17, 0x3fb8aa3b
	s_mov_b32 s28, 0xc2ce8ed0
	;; [unrolled: 1-line block ×3, first 2 shown]
	v_mov_b32_e32 v15, 0x7f800000
	v_mov_b32_e32 v16, v0
.LBB64_11:                              ; =>This Inner Loop Header: Depth=1
	global_load_dword v17, v[4:5], off
	ds_read_b32 v18, v2
	v_add_u32_e32 v16, s15, v16
	v_cmp_le_i32_e32 vcc, s25, v16
	s_or_b64 s[18:19], vcc, s[18:19]
	v_add_u32_e32 v19, s27, v2
	s_waitcnt lgkmcnt(0)
	v_sub_f32_e32 v18, v18, v14
	v_mul_f32_e32 v20, 0x3fb8aa3b, v18
	v_fma_f32 v21, v18, s17, -v20
	v_rndne_f32_e32 v22, v20
	v_fmac_f32_e32 v21, 0x32a5705f, v18
	v_sub_f32_e32 v20, v20, v22
	v_add_f32_e32 v20, v20, v21
	v_cvt_i32_f32_e32 v22, v22
	v_exp_f32_e32 v20, v20
	v_cmp_ngt_f32_e32 vcc, s28, v18
	v_lshl_add_u64 v[4:5], v[4:5], 0, s[22:23]
	v_add_u32_e32 v2, s22, v2
	v_ldexp_f32 v20, v20, v22
	v_cndmask_b32_e32 v20, 0, v20, vcc
	v_cmp_nlt_f32_e32 vcc, s29, v18
	s_nop 1
	v_cndmask_b32_e32 v18, v15, v20, vcc
	s_waitcnt vmcnt(0)
	v_mul_f32_e32 v20, v17, v18
	v_fmac_f32_e32 v3, v17, v18
	ds_write_b32 v19, v20
	s_andn2_b64 exec, exec, s[18:19]
	s_cbranch_execnz .LBB64_11
; %bb.12:
	s_or_b64 exec, exec, s[18:19]
.LBB64_13:
	s_or_b64 exec, exec, s[20:21]
	ds_bpermute_b32 v1, v1, v3
	s_waitcnt lgkmcnt(0)
	s_barrier
	v_add_f32_e32 v1, v3, v1
	ds_bpermute_b32 v2, v6, v1
	s_waitcnt lgkmcnt(0)
	v_add_f32_e32 v1, v1, v2
	ds_bpermute_b32 v2, v8, v1
	s_waitcnt lgkmcnt(0)
	v_add_f32_e32 v1, v1, v2
	ds_bpermute_b32 v2, v9, v1
	s_waitcnt lgkmcnt(0)
	v_add_f32_e32 v1, v1, v2
	ds_bpermute_b32 v2, v10, v1
	s_waitcnt lgkmcnt(0)
	v_add_f32_e32 v1, v1, v2
	ds_bpermute_b32 v2, v7, v1
	s_waitcnt lgkmcnt(0)
	v_add_f32_e32 v1, v1, v2
	s_and_saveexec_b64 s[18:19], s[0:1]
	s_cbranch_execz .LBB64_15
; %bb.14:
	ds_write_b32 v11, v1 offset:8
.LBB64_15:
	s_or_b64 exec, exec, s[18:19]
	s_waitcnt lgkmcnt(0)
	s_barrier
	s_and_saveexec_b64 s[0:1], s[4:5]
	s_cbranch_execz .LBB64_17
; %bb.16:
	ds_read_b32 v1, v12 offset:8
.LBB64_17:
	s_or_b64 exec, exec, s[0:1]
	s_waitcnt lgkmcnt(0)
	ds_bpermute_b32 v2, v7, v1
	v_cmp_gt_u32_e32 vcc, 32, v0
	s_waitcnt lgkmcnt(0)
	v_add_f32_e32 v1, v1, v2
	ds_bpermute_b32 v2, v13, v1
	s_and_saveexec_b64 s[0:1], vcc
	s_cbranch_execz .LBB64_24
; %bb.18:
	s_cmp_gt_i32 s26, 0
	s_mov_b32 s15, 0
	s_cbranch_scc1 .LBB64_20
; %bb.19:
	v_mov_b32_e32 v1, 0
	v_mov_b32_e32 v4, s15
	s_cbranch_execz .LBB64_21
	s_branch .LBB64_23
.LBB64_20:
                                        ; implicit-def: $sgpr15
	v_mov_b32_e32 v4, s15
.LBB64_21:
	s_waitcnt lgkmcnt(0)
	v_add_f32_e32 v1, 0x358637bd, v2
	v_div_scale_f32 v2, s[4:5], v1, v1, 1.0
	v_rcp_f32_e32 v3, v2
	s_lshl_b32 s14, s14, 5
	s_lshl_b32 s16, s16, 5
	s_ashr_i32 s15, s14, 31
	v_fma_f32 v4, -v2, v3, 1.0
	v_fmac_f32_e32 v3, v4, v3
	v_div_scale_f32 v4, vcc, 1.0, v1, 1.0
	v_mul_f32_e32 v5, v4, v3
	v_fma_f32 v6, -v2, v5, v4
	s_ashr_i32 s17, s16, 31
	s_max_i32 s4, s25, 1
	v_fmac_f32_e32 v5, v6, v3
	s_add_i32 s5, s27, 16
	s_lshl_b64 s[14:15], s[14:15], 1
	s_lshl_b64 s[16:17], s[16:17], 1
	v_fma_f32 v2, -v2, v5, v4
	s_add_u32 s14, s14, s16
	v_div_fmas_f32 v2, v2, v3, v5
	s_addc_u32 s15, s15, s17
	v_div_fixup_f32 v5, v2, v1, 1.0
	v_mov_b32_e32 v1, 0
	s_add_u32 s14, s8, s14
	v_lshlrev_b32_e32 v2, 1, v0
	v_mov_b32_e32 v3, v1
	s_addc_u32 s15, s9, s15
	v_lshl_add_u64 v[2:3], s[14:15], 0, v[2:3]
	v_mov_b32_e32 v4, v1
.LBB64_22:                              ; =>This Inner Loop Header: Depth=1
	global_load_ushort v6, v[2:3], off
	v_mov_b32_e32 v7, s5
	s_waitcnt vmcnt(0)
	;;#ASMSTART
	v_cvt_f32_f16 v6, v6;
	;;#ASMEND
	ds_read_b32 v7, v7
	s_add_i32 s4, s4, -1
	s_add_i32 s5, s5, 4
	v_lshl_add_u64 v[2:3], v[2:3], 0, 64
	s_cmp_eq_u32 s4, 0
	s_waitcnt lgkmcnt(0)
	v_mul_f32_e32 v6, v6, v7
	v_fmac_f32_e32 v4, v5, v6
	s_cbranch_scc0 .LBB64_22
.LBB64_23:
	s_lshl_b32 s4, s24, 5
	s_ashr_i32 s5, s4, 31
	s_lshl_b64 s[4:5], s[4:5], 1
	s_add_u32 s14, s10, s4
	s_addc_u32 s15, s11, s5
	s_lshl_b32 s4, s2, 5
	s_ashr_i32 s5, s4, 31
	s_lshl_b64 s[4:5], s[4:5], 1
	s_add_u32 s4, s14, s4
	s_addc_u32 s5, s15, s5
	s_waitcnt lgkmcnt(0)
	v_lshl_add_u64 v[2:3], v[0:1], 1, s[4:5]
	;;#ASMSTART
	v_cvt_f16_f32 v1, v4;

	;;#ASMEND
	global_store_short v[2:3], v1, off
.LBB64_24:
	s_or_b64 exec, exec, s[0:1]
	s_mov_b64 s[4:5], 0
.LBB64_25:
	s_and_b64 vcc, exec, s[4:5]
	s_cbranch_vccz .LBB64_34
; %bb.26:
	v_cmp_gt_u32_e32 vcc, 32, v0
	s_and_saveexec_b64 s[0:1], vcc
	s_cbranch_execz .LBB64_34
; %bb.27:
	s_mul_i32 s13, s13, s12
	s_lshl_b32 s0, s13, 5
	s_ashr_i32 s1, s0, 31
	s_lshl_b64 s[0:1], s[0:1], 1
	s_add_u32 s4, s10, s0
	s_addc_u32 s5, s11, s1
	s_lshl_b32 s0, s2, 5
	s_ashr_i32 s1, s0, 31
	s_lshl_b64 s[0:1], s[0:1], 1
	s_add_u32 s4, s4, s0
	s_mul_i32 s0, s3, s13
	s_addc_u32 s5, s5, s1
	s_lshl_b32 s0, s0, 5
	s_ashr_i32 s1, s0, 31
	s_lshl_b64 s[0:1], s[0:1], 1
	s_add_u32 s8, s8, s0
	s_mul_i32 s2, s2, s3
	s_load_dword s6, s[6:7], 0xc
	s_addc_u32 s9, s9, s1
	s_lshl_b32 s0, s2, 5
	s_ashr_i32 s1, s0, 31
	s_lshl_b64 s[0:1], s[0:1], 1
	s_add_u32 s2, s8, s0
	s_addc_u32 s3, s9, s1
	s_waitcnt lgkmcnt(0)
	s_and_b32 s8, s6, 0xffff
	v_cvt_f32_u32_e32 v1, s8
	v_add_u32_e32 v2, s8, v0
	v_mov_b32_e32 v4, s8
	v_cmp_gt_u32_e32 vcc, 32, v2
	v_rcp_iflag_f32_e32 v1, v1
	s_cmp_eq_u32 s8, 1
	v_max_u32_e32 v3, 32, v2
	v_addc_co_u32_e64 v2, s[0:1], v0, v4, vcc
	v_mul_f32_e32 v1, 0x4f7ffffe, v1
	v_cvt_u32_f32_e32 v1, v1
	s_cselect_b64 s[6:7], -1, 0
	s_sub_i32 s0, 0, s8
	v_sub_u32_e32 v2, v3, v2
	v_mul_lo_u32 v3, s0, v1
	v_mul_hi_u32 v3, v1, v3
	v_add_u32_e32 v1, v1, v3
	v_mul_hi_u32 v1, v2, v1
	v_mul_lo_u32 v3, v1, s8
	v_sub_u32_e32 v2, v2, v3
	v_add_u32_e32 v3, 1, v1
	v_cmp_le_u32_e64 s[0:1], s8, v2
	s_nop 1
	v_cndmask_b32_e64 v1, v1, v3, s[0:1]
	v_subrev_u32_e32 v3, s8, v2
	v_cndmask_b32_e64 v2, v2, v3, s[0:1]
	v_add_u32_e32 v3, 1, v1
	v_cmp_le_u32_e64 s[0:1], s8, v2
	s_nop 1
	v_cndmask_b32_e64 v1, v1, v3, s[0:1]
	v_addc_co_u32_e32 v1, vcc, 1, v1, vcc
	v_cmp_lt_u32_e32 vcc, 7, v1
	s_and_b64 s[10:11], vcc, s[6:7]
	s_mov_b64 s[6:7], -1
	s_and_saveexec_b64 s[0:1], s[10:11]
	s_cbranch_execz .LBB64_31
; %bb.28:
	v_and_b32_e32 v4, -8, v1
	s_mov_b64 s[6:7], 0
	v_mov_b32_e32 v3, 0
	v_mov_b32_e32 v2, v0
	;; [unrolled: 1-line block ×3, first 2 shown]
.LBB64_29:                              ; =>This Inner Loop Header: Depth=1
	v_lshlrev_b64 v[10:11], 1, v[2:3]
	v_lshl_add_u64 v[6:7], s[2:3], 0, v[10:11]
	global_load_dwordx4 v[6:9], v[6:7], off
	v_add_u32_e32 v5, -8, v5
	v_cmp_eq_u32_e32 vcc, 0, v5
	v_add_u32_e32 v2, 8, v2
	v_lshl_add_u64 v[10:11], s[4:5], 0, v[10:11]
	s_or_b64 s[6:7], vcc, s[6:7]
	s_waitcnt vmcnt(0)
	global_store_dwordx4 v[10:11], v[6:9], off
	s_andn2_b64 exec, exec, s[6:7]
	s_cbranch_execnz .LBB64_29
; %bb.30:
	s_or_b64 exec, exec, s[6:7]
	v_cmp_ne_u32_e32 vcc, v1, v4
	v_add_u32_e32 v0, v0, v4
	s_orn2_b64 s[6:7], vcc, exec
.LBB64_31:
	s_or_b64 exec, exec, s[0:1]
	s_and_b64 exec, exec, s[6:7]
	s_cbranch_execz .LBB64_34
; %bb.32:
	v_mov_b32_e32 v1, 0
	s_mov_b32 s1, 0
	v_lshlrev_b64 v[2:3], 1, v[0:1]
	s_lshl_b32 s0, s8, 1
	s_mov_b64 s[6:7], 0
.LBB64_33:                              ; =>This Inner Loop Header: Depth=1
	v_lshl_add_u64 v[4:5], s[2:3], 0, v[2:3]
	global_load_ushort v1, v[4:5], off
	v_add_u32_e32 v0, s8, v0
	v_cmp_lt_u32_e32 vcc, 31, v0
	v_lshl_add_u64 v[4:5], s[4:5], 0, v[2:3]
	v_lshl_add_u64 v[2:3], v[2:3], 0, s[0:1]
	s_or_b64 s[6:7], vcc, s[6:7]
	s_waitcnt vmcnt(0)
	global_store_short v[4:5], v1, off
	s_andn2_b64 exec, exec, s[6:7]
	s_cbranch_execnz .LBB64_33
.LBB64_34:
	s_endpgm
	.section	.rodata,"a",@progbits
	.p2align	6, 0x0
	.amdhsa_kernel _ZN4vllm32paged_attention_v2_reduce_kernelItLi32ELi128ELi512EEEvPT_PKfS4_PKS1_PKii
		.amdhsa_group_segment_fixed_size 16
		.amdhsa_private_segment_fixed_size 0
		.amdhsa_kernarg_size 304
		.amdhsa_user_sgpr_count 2
		.amdhsa_user_sgpr_dispatch_ptr 0
		.amdhsa_user_sgpr_queue_ptr 0
		.amdhsa_user_sgpr_kernarg_segment_ptr 1
		.amdhsa_user_sgpr_dispatch_id 0
		.amdhsa_user_sgpr_kernarg_preload_length 0
		.amdhsa_user_sgpr_kernarg_preload_offset 0
		.amdhsa_user_sgpr_private_segment_size 0
		.amdhsa_uses_dynamic_stack 0
		.amdhsa_enable_private_segment 0
		.amdhsa_system_sgpr_workgroup_id_x 1
		.amdhsa_system_sgpr_workgroup_id_y 1
		.amdhsa_system_sgpr_workgroup_id_z 0
		.amdhsa_system_sgpr_workgroup_info 0
		.amdhsa_system_vgpr_workitem_id 0
		.amdhsa_next_free_vgpr 23
		.amdhsa_next_free_sgpr 32
		.amdhsa_accum_offset 24
		.amdhsa_reserve_vcc 1
		.amdhsa_float_round_mode_32 0
		.amdhsa_float_round_mode_16_64 0
		.amdhsa_float_denorm_mode_32 3
		.amdhsa_float_denorm_mode_16_64 3
		.amdhsa_dx10_clamp 1
		.amdhsa_ieee_mode 1
		.amdhsa_fp16_overflow 0
		.amdhsa_tg_split 0
		.amdhsa_exception_fp_ieee_invalid_op 0
		.amdhsa_exception_fp_denorm_src 0
		.amdhsa_exception_fp_ieee_div_zero 0
		.amdhsa_exception_fp_ieee_overflow 0
		.amdhsa_exception_fp_ieee_underflow 0
		.amdhsa_exception_fp_ieee_inexact 0
		.amdhsa_exception_int_div_zero 0
	.end_amdhsa_kernel
	.section	.text._ZN4vllm32paged_attention_v2_reduce_kernelItLi32ELi128ELi512EEEvPT_PKfS4_PKS1_PKii,"axG",@progbits,_ZN4vllm32paged_attention_v2_reduce_kernelItLi32ELi128ELi512EEEvPT_PKfS4_PKS1_PKii,comdat
.Lfunc_end64:
	.size	_ZN4vllm32paged_attention_v2_reduce_kernelItLi32ELi128ELi512EEEvPT_PKfS4_PKS1_PKii, .Lfunc_end64-_ZN4vllm32paged_attention_v2_reduce_kernelItLi32ELi128ELi512EEEvPT_PKfS4_PKS1_PKii
                                        ; -- End function
	.section	.AMDGPU.csdata,"",@progbits
; Kernel info:
; codeLenInByte = 2104
; NumSgprs: 38
; NumVgprs: 23
; NumAgprs: 0
; TotalNumVgprs: 23
; ScratchSize: 0
; MemoryBound: 0
; FloatMode: 240
; IeeeMode: 1
; LDSByteSize: 16 bytes/workgroup (compile time only)
; SGPRBlocks: 4
; VGPRBlocks: 2
; NumSGPRsForWavesPerEU: 38
; NumVGPRsForWavesPerEU: 23
; AccumOffset: 24
; Occupancy: 8
; WaveLimiterHint : 0
; COMPUTE_PGM_RSRC2:SCRATCH_EN: 0
; COMPUTE_PGM_RSRC2:USER_SGPR: 2
; COMPUTE_PGM_RSRC2:TRAP_HANDLER: 0
; COMPUTE_PGM_RSRC2:TGID_X_EN: 1
; COMPUTE_PGM_RSRC2:TGID_Y_EN: 1
; COMPUTE_PGM_RSRC2:TGID_Z_EN: 0
; COMPUTE_PGM_RSRC2:TIDIG_COMP_CNT: 0
; COMPUTE_PGM_RSRC3_GFX90A:ACCUM_OFFSET: 5
; COMPUTE_PGM_RSRC3_GFX90A:TG_SPLIT: 0
	.section	.text._ZN4vllm25paged_attention_v2_kernelIttLi64ELi8ELi128ELNS_18Fp8KVCacheDataTypeE0ELb1ELi512EEEvPfS2_PT_PKS3_PKT0_S9_ifPKiSB_iPKfiiiSD_SD_iiiii,"axG",@progbits,_ZN4vllm25paged_attention_v2_kernelIttLi64ELi8ELi128ELNS_18Fp8KVCacheDataTypeE0ELb1ELi512EEEvPfS2_PT_PKS3_PKT0_S9_ifPKiSB_iPKfiiiSD_SD_iiiii,comdat
	.protected	_ZN4vllm25paged_attention_v2_kernelIttLi64ELi8ELi128ELNS_18Fp8KVCacheDataTypeE0ELb1ELi512EEEvPfS2_PT_PKS3_PKT0_S9_ifPKiSB_iPKfiiiSD_SD_iiiii ; -- Begin function _ZN4vllm25paged_attention_v2_kernelIttLi64ELi8ELi128ELNS_18Fp8KVCacheDataTypeE0ELb1ELi512EEEvPfS2_PT_PKS3_PKT0_S9_ifPKiSB_iPKfiiiSD_SD_iiiii
	.globl	_ZN4vllm25paged_attention_v2_kernelIttLi64ELi8ELi128ELNS_18Fp8KVCacheDataTypeE0ELb1ELi512EEEvPfS2_PT_PKS3_PKT0_S9_ifPKiSB_iPKfiiiSD_SD_iiiii
	.p2align	8
	.type	_ZN4vllm25paged_attention_v2_kernelIttLi64ELi8ELi128ELNS_18Fp8KVCacheDataTypeE0ELb1ELi512EEEvPfS2_PT_PKS3_PKT0_S9_ifPKiSB_iPKfiiiSD_SD_iiiii,@function
_ZN4vllm25paged_attention_v2_kernelIttLi64ELi8ELi128ELNS_18Fp8KVCacheDataTypeE0ELb1ELi512EEEvPfS2_PT_PKS3_PKT0_S9_ifPKiSB_iPKfiiiSD_SD_iiiii: ; @_ZN4vllm25paged_attention_v2_kernelIttLi64ELi8ELi128ELNS_18Fp8KVCacheDataTypeE0ELb1ELi512EEEvPfS2_PT_PKS3_PKT0_S9_ifPKiSB_iPKfiiiSD_SD_iiiii
; %bb.0:
	s_load_dwordx2 s[6:7], s[0:1], 0x40
	s_mov_b32 s30, s3
	s_ashr_i32 s31, s3, 31
	s_lshl_b64 s[8:9], s[30:31], 2
	s_waitcnt lgkmcnt(0)
	s_add_u32 s6, s6, s8
	s_addc_u32 s7, s7, s9
	s_load_dword s31, s[6:7], 0x0
	s_lshl_b32 s52, s4, 9
	s_waitcnt lgkmcnt(0)
	s_cmp_ge_i32 s52, s31
	s_cbranch_scc1 .LBB65_61
; %bb.1:
	s_load_dword s5, s[0:1], 0x90
	s_load_dwordx2 s[40:41], s[0:1], 0x30
	s_waitcnt lgkmcnt(0)
	s_abs_i32 s7, s5
	s_abs_i32 s3, s40
	v_cvt_f32_u32_e32 v1, s3
	s_sub_i32 s8, 0, s3
	s_xor_b32 s6, s5, s40
	s_ashr_i32 s6, s6, 31
	v_rcp_iflag_f32_e32 v1, v1
	s_nop 0
	v_mul_f32_e32 v1, 0x4f7ffffe, v1
	v_cvt_u32_f32_e32 v1, v1
	s_nop 0
	v_readfirstlane_b32 s9, v1
	s_mul_i32 s8, s8, s9
	s_mul_hi_u32 s8, s9, s8
	s_add_i32 s9, s9, s8
	s_mul_hi_u32 s8, s7, s9
	s_mul_i32 s9, s8, s3
	s_sub_i32 s7, s7, s9
	s_add_i32 s10, s8, 1
	s_sub_i32 s9, s7, s3
	s_cmp_ge_u32 s7, s3
	s_cselect_b32 s8, s10, s8
	s_cselect_b32 s7, s9, s7
	s_add_i32 s9, s8, 1
	s_cmp_ge_u32 s7, s3
	s_cselect_b32 s3, s9, s8
	s_xor_b32 s3, s3, s6
	s_sub_i32 s8, s3, s6
	s_abs_i32 s10, s8
	v_cvt_f32_u32_e32 v1, s10
	s_load_dwordx2 s[6:7], s[0:1], 0x50
	s_sub_i32 s9, 0, s10
	s_abs_i32 s11, s2
	v_rcp_iflag_f32_e32 v1, v1
	s_mov_b32 s3, 0
	v_mul_f32_e32 v1, 0x4f7ffffe, v1
	v_cvt_u32_f32_e32 v1, v1
	s_nop 0
	v_readfirstlane_b32 s12, v1
	s_mul_i32 s9, s9, s12
	s_mul_hi_u32 s9, s12, s9
	s_add_i32 s12, s12, s9
	s_waitcnt lgkmcnt(0)
	s_cmp_eq_u64 s[6:7], 0
	s_mul_hi_u32 s12, s11, s12
	s_cbranch_scc1 .LBB65_3
; %bb.2:
	s_ashr_i32 s3, s2, 31
	s_lshl_b64 s[14:15], s[2:3], 2
	s_add_u32 s6, s6, s14
	s_addc_u32 s7, s7, s15
	s_load_dword s3, s[6:7], 0x0
.LBB65_3:
	s_load_dwordx4 s[16:19], s[0:1], 0x58
	s_ashr_i32 s13, s2, 31
	s_waitcnt lgkmcnt(0)
	s_ashr_i32 s19, s8, 31
	v_and_b32_e32 v4, 7, v0
	s_lshl_b32 s14, s2, 6
	v_cmp_gt_u32_e64 s[8:9], 64, v0
	s_and_saveexec_b64 s[6:7], s[8:9]
	s_cbranch_execz .LBB65_5
; %bb.4:
	s_load_dwordx2 s[20:21], s[0:1], 0x18
	s_mul_i32 s22, s30, s16
	s_ashr_i32 s23, s22, 31
	s_lshl_b64 s[22:23], s[22:23], 1
	v_lshlrev_b32_e32 v1, 1, v0
	s_waitcnt lgkmcnt(0)
	s_add_u32 s16, s20, s22
	s_addc_u32 s22, s21, s23
	s_ashr_i32 s15, s14, 31
	s_lshl_b64 s[20:21], s[14:15], 1
	s_add_u32 s20, s16, s20
	s_addc_u32 s21, s22, s21
	global_load_ushort v1, v1, s[20:21]
	v_lshrrev_b32_e32 v2, 2, v0
	v_and_b32_e32 v2, 0xfe, v2
	v_lshl_add_u32 v2, v4, 4, v2
	s_waitcnt vmcnt(0)
	ds_write_b16 v2, v1
.LBB65_5:
	s_or_b64 exec, exec, s[6:7]
	s_mul_i32 s7, s12, s10
	s_sub_i32 s7, s11, s7
	s_xor_b32 s6, s13, s19
	s_add_i32 s11, s12, 1
	s_sub_i32 s13, s7, s10
	s_load_dwordx4 s[20:23], s[0:1], 0x78
	s_cmp_ge_u32 s7, s10
	s_cselect_b32 s11, s11, s12
	s_cselect_b32 s7, s13, s7
	s_load_dword s13, s[0:1], 0x88
	s_add_i32 s12, s11, 1
	s_cmp_ge_u32 s7, s10
	s_cselect_b32 s7, s12, s11
	s_waitcnt lgkmcnt(0)
	s_abs_i32 s15, s23
	v_cvt_f32_u32_e32 v1, s15
	s_xor_b32 s7, s7, s6
	s_sub_i32 s10, s7, s6
	s_sub_i32 s6, 0, s15
	v_rcp_iflag_f32_e32 v1, v1
	s_add_i32 s16, s31, -1
	s_abs_i32 s11, s16
	v_mul_f32_e32 v1, 0x4f7ffffe, v1
	v_cvt_u32_f32_e32 v1, v1
	s_barrier
	v_readfirstlane_b32 s33, v1
	s_mul_i32 s6, s6, s33
	s_mul_hi_u32 s6, s33, s6
	s_add_i32 s33, s33, s6
	s_cmp_lt_i32 s13, 0
	s_mul_hi_u32 s12, s11, s33
	s_cbranch_scc0 .LBB65_7
; %bb.6:
	s_mul_i32 s6, s20, s40
	s_add_i32 s6, s10, s6
	s_mul_i32 s6, s6, s13
	s_sub_i32 s48, 1, s6
	s_mov_b64 s[6:7], 0
	s_branch .LBB65_8
.LBB65_7:
	s_mov_b64 s[6:7], -1
                                        ; implicit-def: $sgpr48
.LBB65_8:
	s_load_dwordx2 s[34:35], s[0:1], 0x38
	s_ashr_i32 s16, s16, 31
	s_andn2_b64 vcc, exec, s[6:7]
	s_ashr_i32 s23, s23, 31
	s_cbranch_vccnz .LBB65_10
; %bb.9:
	s_mul_i32 s6, s5, s20
	s_add_i32 s6, s6, s2
	s_mul_i32 s6, s6, s13
	s_add_i32 s48, s6, 1
.LBB65_10:
	s_load_dword s6, s[0:1], 0x48
	s_load_dwordx2 s[38:39], s[0:1], 0x28
	s_load_dword s20, s[0:1], 0x98
	s_load_dwordx4 s[24:27], s[0:1], 0x0
	s_load_dwordx2 s[28:29], s[0:1], 0x10
	s_mul_i32 s7, s12, s15
	s_waitcnt lgkmcnt(0)
	s_mul_i32 s36, s30, s6
	s_sub_i32 s7, s11, s7
	s_ashr_i32 s37, s36, 31
	s_xor_b32 s6, s16, s23
	s_add_i32 s11, s12, 1
	s_sub_i32 s13, s7, s15
	s_cmp_ge_u32 s7, s15
	s_cselect_b32 s11, s11, s12
	s_cselect_b32 s7, s13, s7
	s_add_i32 s12, s11, 1
	s_cmp_ge_u32 s7, s15
	s_cselect_b32 s7, s12, s11
	s_xor_b32 s7, s7, s6
	s_sub_i32 s51, s7, s6
	s_add_i32 s6, s31, 7
	s_ashr_i32 s7, s6, 31
	s_lshr_b32 s7, s7, 29
	s_add_i32 s6, s6, s7
	s_lshl_b32 s16, s4, 6
	s_ashr_i32 s50, s6, 3
	s_add_i32 s6, s16, 64
	v_lshrrev_b32_e32 v14, 6, v0
	s_min_i32 s49, s6, s50
	v_or_b32_e32 v6, s16, v14
	v_cmp_gt_i32_e64 s[6:7], s49, v6
	v_mov_b32_e32 v11, 0xff7fffff
	s_mul_i32 s18, s10, s18
	v_ashrrev_i32_e32 v7, 31, v6
	v_lshl_add_u32 v1, v14, 3, s52
	v_mbcnt_lo_u32_b32 v8, -1, 0
	s_and_saveexec_b64 s[42:43], s[6:7]
	s_cbranch_execz .LBB65_20
; %bb.11:
	s_load_dwordx2 s[0:1], s[0:1], 0x20
	s_ashr_i32 s19, s18, 31
	s_sub_i32 s40, s51, s21
	s_lshl_b64 s[10:11], s[18:19], 1
	v_bfe_u32 v9, v0, 3, 3
	s_waitcnt lgkmcnt(0)
	s_add_u32 s0, s0, s10
	s_addc_u32 s1, s1, s11
	s_abs_i32 s19, s22
	v_cvt_f32_u32_e32 v5, s19
	v_lshlrev_b32_e32 v2, 4, v9
	v_mov_b32_e32 v3, 0
	v_lshl_add_u64 v[10:11], s[0:1], 0, v[2:3]
	v_rcp_iflag_f32_e32 v5, v5
	v_lshlrev_b32_e32 v2, 1, v4
	v_lshl_add_u64 v[2:3], v[10:11], 0, v[2:3]
	s_sub_i32 s10, 0, s19
	v_mul_f32_e32 v5, 0x4f7ffffe, v5
	v_cvt_u32_f32_e32 v5, v5
	v_lshlrev_b32_e32 v11, 2, v9
	v_cmp_eq_u32_e32 vcc, 0, v4
	v_lshlrev_b32_e32 v10, 4, v4
	v_mul_lo_u32 v4, s10, v5
	s_lshl_b64 s[10:11], s[36:37], 2
	v_lshl_or_b32 v11, v14, 5, v11
	s_add_u32 s10, s34, s10
	v_add_u32_e32 v15, 0x90, v11
	v_subrev_u32_e32 v11, s31, v9
	v_mbcnt_hi_u32_b32 v18, -1, v8
	v_mul_hi_u32 v4, v5, v4
	s_addc_u32 s11, s35, s11
	v_add_u32_e32 v16, 1, v11
	v_and_b32_e32 v11, 64, v18
	s_mov_b32 s53, s17
	v_cmp_neq_f32_e64 s[0:1], s3, 0
	v_add_u32_e32 v12, v5, v4
	v_lshl_add_u64 v[4:5], v[6:7], 2, s[10:11]
	v_lshl_add_u32 v13, v14, 3, s52
	s_mov_b64 s[44:45], 0
	v_mov_b32_e32 v17, 0xff7fffff
	v_add_u32_e32 v19, 64, v11
	v_xor_b32_e32 v20, 4, v18
	v_xor_b32_e32 v21, 2, v18
	;; [unrolled: 1-line block ×3, first 2 shown]
	v_mov_b32_e32 v11, 0xff7fffff
	v_mov_b32_e32 v23, v6
	s_branch .LBB65_14
.LBB65_12:                              ;   in Loop: Header=BB65_14 Depth=1
	s_or_b64 exec, exec, s[46:47]
.LBB65_13:                              ;   in Loop: Header=BB65_14 Depth=1
	s_or_b64 exec, exec, s[12:13]
	v_add_u32_e32 v23, 2, v23
	v_cmp_le_i32_e64 s[10:11], s49, v23
	v_lshl_add_u64 v[4:5], v[4:5], 0, 8
	v_add_u32_e32 v13, 16, v13
	s_or_b64 s[44:45], s[10:11], s[44:45]
	v_add_u32_e32 v15, 64, v15
	s_andn2_b64 exec, exec, s[44:45]
	s_cbranch_execz .LBB65_19
.LBB65_14:                              ; =>This Inner Loop Header: Depth=1
	s_waitcnt lgkmcnt(0)
	v_sub_u32_e32 v25, 0, v13
	v_max_i32_e32 v25, v13, v25
	v_mul_hi_u32 v26, v25, s33
	v_mul_lo_u32 v27, v26, s15
	v_sub_u32_e32 v25, v25, v27
	v_add_u32_e32 v27, 1, v26
	v_cmp_le_u32_e64 s[10:11], s15, v25
	v_ashrrev_i32_e32 v24, 31, v13
	v_xor_b32_e32 v24, s23, v24
	v_cndmask_b32_e64 v26, v26, v27, s[10:11]
	v_subrev_u32_e32 v27, s15, v25
	v_cndmask_b32_e64 v25, v25, v27, s[10:11]
	v_add_u32_e32 v27, 1, v26
	v_cmp_le_u32_e64 s[10:11], s15, v25
	s_nop 1
	v_cndmask_b32_e64 v25, v26, v27, s[10:11]
	v_xor_b32_e32 v25, v25, v24
	v_sub_u32_e32 v24, v25, v24
	v_add_u32_e32 v25, s48, v24
	v_sub_u32_e32 v27, 0, v25
	v_ashrrev_i32_e32 v26, 31, v25
	v_max_i32_e32 v25, v25, v27
	v_mul_hi_u32 v27, v25, v12
	v_mul_lo_u32 v27, v27, s19
	v_sub_u32_e32 v25, v25, v27
	v_subrev_u32_e32 v27, s19, v25
	v_cmp_le_u32_e64 s[10:11], s19, v25
	v_cmp_ge_i32_e64 s[12:13], s40, v24
	s_nop 0
	v_cndmask_b32_e64 v25, v25, v27, s[10:11]
	v_subrev_u32_e32 v27, s19, v25
	v_cmp_le_u32_e64 s[10:11], s19, v25
	s_nop 1
	v_cndmask_b32_e64 v25, v25, v27, s[10:11]
	v_xor_b32_e32 v25, v25, v26
	v_sub_u32_e32 v25, v25, v26
	v_cmp_ne_u32_e64 s[10:11], 0, v25
	s_and_b64 s[10:11], s[10:11], s[12:13]
	s_and_b64 s[46:47], vcc, s[10:11]
	s_and_saveexec_b64 s[12:13], s[46:47]
	s_cbranch_execz .LBB65_16
; %bb.15:                               ;   in Loop: Header=BB65_14 Depth=1
	ds_write_b32 v15, v17
.LBB65_16:                              ;   in Loop: Header=BB65_14 Depth=1
	s_or_b64 exec, exec, s[12:13]
	s_xor_b64 s[10:11], s[10:11], -1
	s_and_saveexec_b64 s[12:13], s[10:11]
	s_cbranch_execz .LBB65_13
; %bb.17:                               ;   in Loop: Header=BB65_14 Depth=1
	global_load_dword v24, v[4:5], off
	s_waitcnt vmcnt(0)
	v_mad_i64_i32 v[24:25], s[10:11], v24, s53, 0
	v_lshl_add_u64 v[24:25], v[24:25], 1, v[2:3]
	global_load_ushort v26, v[24:25], off
	global_load_ushort v27, v[24:25], off offset:128
	global_load_ushort v28, v[24:25], off offset:256
	;; [unrolled: 1-line block ×6, first 2 shown]
	s_nop 0
	global_load_ushort v24, v[24:25], off offset:896
	ds_read_u16 v25, v10
	s_waitcnt lgkmcnt(0)
	;;#ASMSTART
	v_cvt_f32_f16 v25, v25;
	;;#ASMEND
	v_cmp_lt_i32_e64 s[10:11], v20, v19
	s_waitcnt vmcnt(7)
	;;#ASMSTART
	v_cvt_f32_f16 v26, v26;
	;;#ASMEND
	ds_read_u16 v33, v10 offset:2
	s_waitcnt lgkmcnt(0)
	;;#ASMSTART
	v_cvt_f32_f16 v33, v33;
	;;#ASMEND
	s_waitcnt vmcnt(6)
	;;#ASMSTART
	v_cvt_f32_f16 v27, v27;
	;;#ASMEND
	ds_read_u16 v34, v10 offset:4
	v_mul_f32_e32 v27, v33, v27
	v_fmac_f32_e32 v27, v25, v26
	s_waitcnt lgkmcnt(0)
	;;#ASMSTART
	v_cvt_f32_f16 v34, v34;
	;;#ASMEND
	s_waitcnt vmcnt(5)
	;;#ASMSTART
	v_cvt_f32_f16 v28, v28;
	;;#ASMEND
	ds_read_u16 v35, v10 offset:6
	v_fmac_f32_e32 v27, v34, v28
	s_waitcnt lgkmcnt(0)
	;;#ASMSTART
	v_cvt_f32_f16 v35, v35;
	;;#ASMEND
	s_waitcnt vmcnt(4)
	;;#ASMSTART
	v_cvt_f32_f16 v29, v29;
	;;#ASMEND
	ds_read_u16 v36, v10 offset:8
	;; [unrolled: 10-line block ×3, first 2 shown]
	v_fmac_f32_e32 v27, v36, v30
	s_waitcnt lgkmcnt(0)
	;;#ASMSTART
	v_cvt_f32_f16 v37, v37;
	;;#ASMEND
	s_waitcnt vmcnt(2)
	;;#ASMSTART
	v_cvt_f32_f16 v31, v31;
	;;#ASMEND
	v_cndmask_b32_e64 v38, v18, v20, s[10:11]
	v_fmac_f32_e32 v27, v37, v31
	ds_read_u16 v39, v10 offset:12
	s_waitcnt lgkmcnt(0)
	;;#ASMSTART
	v_cvt_f32_f16 v25, v39;
	;;#ASMEND
	s_waitcnt vmcnt(1)
	;;#ASMSTART
	v_cvt_f32_f16 v26, v32;
	;;#ASMEND
	v_lshlrev_b32_e32 v38, 2, v38
	v_fmac_f32_e32 v27, v25, v26
	ds_read_u16 v28, v10 offset:14
	s_waitcnt lgkmcnt(0)
	;;#ASMSTART
	v_cvt_f32_f16 v25, v28;
	;;#ASMEND
	s_waitcnt vmcnt(0)
	;;#ASMSTART
	v_cvt_f32_f16 v24, v24;
	;;#ASMEND
	v_cmp_lt_i32_e64 s[10:11], v21, v19
	v_fmac_f32_e32 v27, v25, v24
	ds_bpermute_b32 v24, v38, v27
	v_cndmask_b32_e64 v25, v18, v21, s[10:11]
	v_lshlrev_b32_e32 v25, 2, v25
	v_cmp_lt_i32_e64 s[10:11], v22, v19
	s_waitcnt lgkmcnt(0)
	v_add_f32_e32 v24, v27, v24
	ds_bpermute_b32 v25, v25, v24
	v_cndmask_b32_e64 v26, v18, v22, s[10:11]
	s_waitcnt lgkmcnt(0)
	v_add_f32_e32 v24, v24, v25
	v_lshlrev_b32_e32 v25, 2, v26
	ds_bpermute_b32 v25, v25, v24
	s_and_saveexec_b64 s[46:47], vcc
	s_cbranch_execz .LBB65_12
; %bb.18:                               ;   in Loop: Header=BB65_14 Depth=1
	v_add_u32_e32 v26, v16, v13
	v_cvt_f32_i32_e32 v26, v26
	s_waitcnt lgkmcnt(0)
	v_add_f32_e32 v24, v24, v25
	v_add_u32_e32 v27, v9, v13
	v_cmp_gt_i32_e64 s[10:11], s31, v27
	v_mul_f32_e32 v25, s3, v26
	v_cndmask_b32_e64 v25, 0, v25, s[0:1]
	v_fmac_f32_e32 v25, s41, v24
	v_cndmask_b32_e64 v24, 0, v25, s[10:11]
	ds_write_b32 v15, v24
	v_max_f32_e32 v24, v11, v11
	v_max_f32_e32 v24, v24, v25
	v_cndmask_b32_e64 v11, v11, v24, s[10:11]
	s_branch .LBB65_12
.LBB65_19:
	s_or_b64 exec, exec, s[44:45]
.LBB65_20:
	s_or_b64 exec, exec, s[42:43]
	v_mbcnt_hi_u32_b32 v2, -1, v8
	v_and_b32_e32 v3, 64, v2
	v_add_u32_e32 v3, 64, v3
	v_xor_b32_e32 v4, 32, v2
	v_cmp_lt_i32_e32 vcc, v4, v3
	v_xor_b32_e32 v9, 16, v2
	v_max_f32_e32 v5, v11, v11
	v_cndmask_b32_e32 v4, v2, v4, vcc
	v_lshlrev_b32_e32 v8, 2, v4
	ds_bpermute_b32 v4, v8, v11
	v_cmp_lt_i32_e32 vcc, v9, v3
	v_and_b32_e32 v15, 63, v0
	s_waitcnt lgkmcnt(0)
	v_max_f32_e32 v4, v4, v4
	v_max_f32_e32 v4, v5, v4
	v_cndmask_b32_e32 v5, v2, v9, vcc
	v_lshlrev_b32_e32 v10, 2, v5
	ds_bpermute_b32 v5, v10, v4
	v_xor_b32_e32 v9, 8, v2
	v_cmp_lt_i32_e32 vcc, v9, v3
	s_waitcnt lgkmcnt(0)
	v_max_f32_e32 v5, v5, v5
	v_max_f32_e32 v4, v4, v5
	v_cndmask_b32_e32 v5, v2, v9, vcc
	v_lshlrev_b32_e32 v11, 2, v5
	ds_bpermute_b32 v9, v11, v4
	v_cmp_eq_u32_e32 vcc, 0, v15
	v_lshlrev_b32_e32 v5, 2, v14
	s_and_saveexec_b64 s[0:1], vcc
	s_cbranch_execz .LBB65_22
; %bb.21:
	s_waitcnt lgkmcnt(0)
	v_max_f32_e32 v9, v9, v9
	v_max_f32_e32 v4, v4, v4
	;; [unrolled: 1-line block ×3, first 2 shown]
	ds_write_b32 v5, v4 offset:128
.LBB65_22:
	s_or_b64 exec, exec, s[0:1]
	v_cmp_gt_u32_e64 s[0:1], 2, v15
	v_mov_b32_e32 v4, 0xff7fffff
	s_waitcnt lgkmcnt(0)
	v_lshlrev_b32_e32 v9, 2, v15
	s_barrier
	s_and_saveexec_b64 s[10:11], s[0:1]
	s_cbranch_execz .LBB65_24
; %bb.23:
	ds_read_b32 v4, v9 offset:128
.LBB65_24:
	s_or_b64 exec, exec, s[10:11]
	v_xor_b32_e32 v12, 1, v2
	v_cmp_lt_i32_e64 s[10:11], v12, v3
	s_sub_i32 s3, s49, s16
	s_lshl_b32 s3, s3, 3
	v_cndmask_b32_e64 v12, v2, v12, s[10:11]
	v_lshlrev_b32_e32 v12, 2, v12
	s_waitcnt lgkmcnt(0)
	ds_bpermute_b32 v13, v12, v4
	v_max_f32_e32 v4, v4, v4
	s_add_i32 s3, s3, s52
	s_min_i32 s19, s3, s31
	s_sub_i32 s3, s19, s52
	s_waitcnt lgkmcnt(0)
	v_max_f32_e32 v13, v13, v13
	v_max_f32_e32 v4, v4, v13
	v_lshlrev_b32_e32 v13, 2, v2
	v_and_b32_e32 v13, 0x100, v13
	ds_bpermute_b32 v4, v13, v4
	v_cmp_gt_i32_e64 s[10:11], s3, v0
	v_mov_b32_e32 v16, 0
	s_and_saveexec_b64 s[40:41], s[10:11]
	s_cbranch_execz .LBB65_28
; %bb.25:
	v_mov_b32_e32 v16, 0x90
	v_lshl_add_u32 v17, v0, 2, v16
	s_mov_b64 s[42:43], 0
	v_mov_b32_e32 v16, 0
	v_mov_b32_e32 v18, v0
.LBB65_26:                              ; =>This Inner Loop Header: Depth=1
	ds_read_b32 v19, v17
	v_add_u32_e32 v18, 0x80, v18
	v_cmp_le_i32_e64 s[12:13], s3, v18
	s_or_b64 s[42:43], s[12:13], s[42:43]
	s_waitcnt lgkmcnt(0)
	v_sub_f32_e32 v19, v19, v4
	v_mul_f32_e32 v19, 0x3fb8aa3b, v19
	v_exp_f32_e32 v19, v19
	ds_write_b32 v17, v19
	v_add_f32_e32 v16, v16, v19
	v_add_u32_e32 v17, 0x200, v17
	s_andn2_b64 exec, exec, s[42:43]
	s_cbranch_execnz .LBB65_26
; %bb.27:
	s_or_b64 exec, exec, s[42:43]
.LBB65_28:
	s_or_b64 exec, exec, s[40:41]
	ds_bpermute_b32 v8, v8, v16
	s_waitcnt lgkmcnt(0)
	v_add_f32_e32 v8, v16, v8
	ds_bpermute_b32 v10, v10, v8
	s_waitcnt lgkmcnt(0)
	v_add_f32_e32 v8, v8, v10
	ds_bpermute_b32 v10, v11, v8
	v_xor_b32_e32 v11, 4, v2
	v_cmp_lt_i32_e64 s[12:13], v11, v3
	s_waitcnt lgkmcnt(0)
	v_add_f32_e32 v8, v8, v10
	v_cndmask_b32_e64 v11, v2, v11, s[12:13]
	v_lshlrev_b32_e32 v11, 2, v11
	ds_bpermute_b32 v10, v11, v8
	v_xor_b32_e32 v11, 2, v2
	v_cmp_lt_i32_e64 s[12:13], v11, v3
	s_waitcnt lgkmcnt(0)
	v_add_f32_e32 v3, v8, v10
	v_cndmask_b32_e64 v2, v2, v11, s[12:13]
	v_lshlrev_b32_e32 v2, 2, v2
	ds_bpermute_b32 v2, v2, v3
	s_waitcnt lgkmcnt(0)
	v_add_f32_e32 v2, v3, v2
	ds_bpermute_b32 v3, v12, v2
	s_waitcnt lgkmcnt(0)
	v_add_f32_e32 v2, v2, v3
	s_and_saveexec_b64 s[12:13], vcc
	s_cbranch_execz .LBB65_30
; %bb.29:
	ds_write_b32 v5, v2 offset:136
.LBB65_30:
	s_or_b64 exec, exec, s[12:13]
	s_waitcnt lgkmcnt(0)
	s_barrier
	s_and_saveexec_b64 s[12:13], s[0:1]
	s_cbranch_execz .LBB65_32
; %bb.31:
	ds_read_b32 v2, v9 offset:136
.LBB65_32:
	s_or_b64 exec, exec, s[12:13]
	s_waitcnt lgkmcnt(0)
	ds_bpermute_b32 v3, v12, v2
	s_waitcnt lgkmcnt(0)
	v_add_f32_e32 v2, v2, v3
	ds_bpermute_b32 v5, v13, v2
	s_and_saveexec_b64 s[0:1], s[10:11]
	s_cbranch_execz .LBB65_45
; %bb.33:
	s_waitcnt lgkmcnt(0)
	v_add_f32_e32 v2, 0x358637bd, v5
	v_div_scale_f32 v3, s[10:11], v2, v2, 1.0
	v_rcp_f32_e32 v8, v3
	v_div_scale_f32 v9, vcc, 1.0, v2, 1.0
	s_movk_i32 s10, 0x7f
	v_fma_f32 v10, -v3, v8, 1.0
	v_fmac_f32_e32 v8, v10, v8
	v_mul_f32_e32 v10, v9, v8
	v_fma_f32 v11, -v3, v10, v9
	v_fmac_f32_e32 v10, v11, v8
	v_fma_f32 v3, -v3, v10, v9
	v_div_fmas_f32 v3, v3, v8, v10
	v_div_fixup_f32 v2, v3, v2, 1.0
	v_xad_u32 v3, v0, -1, s19
	v_subrev_u32_e32 v8, s52, v3
	v_cmp_lt_u32_e32 vcc, s10, v8
	s_mov_b64 s[12:13], -1
	v_mov_b32_e32 v3, v0
	s_and_saveexec_b64 s[10:11], vcc
	s_cbranch_execz .LBB65_42
; %bb.34:
	v_lshrrev_b32_e32 v8, 7, v8
	v_add_u32_e32 v10, -1, v8
	v_lshrrev_b32_e32 v9, 1, v10
	v_mov_b32_e32 v3, v2
	v_add_u32_e32 v9, 1, v9
	v_cmp_lt_u32_e32 vcc, 13, v10
	v_mov_b32_e32 v12, 0
	s_and_saveexec_b64 s[12:13], vcc
	s_cbranch_execz .LBB65_38
; %bb.35:
	v_mov_b32_e32 v11, 0x90
	v_and_b32_e32 v10, -8, v9
	v_lshl_add_u32 v11, v0, 2, v11
	s_mov_b32 s19, 0
	s_mov_b64 s[40:41], 0
.LBB65_36:                              ; =>This Inner Loop Header: Depth=1
	ds_read2st64_b32 v[12:13], v11 offset1:2
	ds_read2st64_b32 v[16:17], v11 offset0:4 offset1:6
	ds_read2st64_b32 v[18:19], v11 offset0:8 offset1:10
	;; [unrolled: 1-line block ×3, first 2 shown]
	v_add_u32_e32 v10, -8, v10
	s_waitcnt lgkmcnt(3)
	v_pk_mul_f32 v[12:13], v[2:3], v[12:13]
	s_waitcnt lgkmcnt(2)
	v_pk_mul_f32 v[16:17], v[2:3], v[16:17]
	ds_write2st64_b32 v11, v12, v13 offset1:2
	ds_write2st64_b32 v11, v16, v17 offset0:4 offset1:6
	ds_read2st64_b32 v[16:17], v11 offset0:16 offset1:18
	s_waitcnt lgkmcnt(4)
	v_pk_mul_f32 v[12:13], v[2:3], v[18:19]
	ds_write2st64_b32 v11, v12, v13 offset0:8 offset1:10
	s_waitcnt lgkmcnt(4)
	v_pk_mul_f32 v[12:13], v[2:3], v[20:21]
	ds_write2st64_b32 v11, v12, v13 offset0:12 offset1:14
	ds_read2st64_b32 v[12:13], v11 offset0:20 offset1:22
	s_waitcnt lgkmcnt(3)
	v_pk_mul_f32 v[16:17], v[2:3], v[16:17]
	ds_read2st64_b32 v[18:19], v11 offset0:24 offset1:26
	ds_write2st64_b32 v11, v16, v17 offset0:16 offset1:18
	ds_read2st64_b32 v[16:17], v11 offset0:28 offset1:30
	s_waitcnt lgkmcnt(3)
	v_pk_mul_f32 v[12:13], v[2:3], v[12:13]
	ds_write2st64_b32 v11, v12, v13 offset0:20 offset1:22
	s_waitcnt lgkmcnt(3)
	v_pk_mul_f32 v[12:13], v[2:3], v[18:19]
	ds_write2st64_b32 v11, v12, v13 offset0:24 offset1:26
	s_waitcnt lgkmcnt(2)
	v_pk_mul_f32 v[12:13], v[2:3], v[16:17]
	s_add_i32 s19, s19, 16
	v_cmp_eq_u32_e32 vcc, 0, v10
	ds_write2st64_b32 v11, v12, v13 offset0:28 offset1:30
	v_add_u32_e32 v11, 0x2000, v11
	s_or_b64 s[40:41], vcc, s[40:41]
	v_mov_b32_e32 v12, s19
	s_andn2_b64 exec, exec, s[40:41]
	s_cbranch_execnz .LBB65_36
; %bb.37:
	s_or_b64 exec, exec, s[40:41]
.LBB65_38:
	s_or_b64 exec, exec, s[12:13]
	v_and_b32_e32 v9, 7, v9
	v_cmp_ne_u32_e32 vcc, 0, v9
	s_and_saveexec_b64 s[12:13], vcc
	s_cbranch_execz .LBB65_41
; %bb.39:
	v_lshlrev_b32_e32 v10, 9, v12
	v_lshlrev_b32_e32 v11, 2, v0
	s_movk_i32 s19, 0x90
	v_add3_u32 v10, v10, v11, s19
	s_mov_b64 s[40:41], 0
.LBB65_40:                              ; =>This Inner Loop Header: Depth=1
	ds_read2st64_b32 v[12:13], v10 offset1:2
	v_add_u32_e32 v9, -1, v9
	v_cmp_eq_u32_e32 vcc, 0, v9
	s_or_b64 s[40:41], vcc, s[40:41]
	s_waitcnt lgkmcnt(0)
	v_pk_mul_f32 v[12:13], v[2:3], v[12:13]
	ds_write2st64_b32 v10, v12, v13 offset1:2
	v_add_u32_e32 v10, 0x400, v10
	s_andn2_b64 exec, exec, s[40:41]
	s_cbranch_execnz .LBB65_40
.LBB65_41:
	s_or_b64 exec, exec, s[12:13]
	v_add_u32_e32 v8, 1, v8
	v_and_b32_e32 v9, 0x3fffffe, v8
	v_cmp_ne_u32_e32 vcc, v8, v9
	v_lshl_add_u32 v3, v9, 7, v0
	s_orn2_b64 s[12:13], vcc, exec
.LBB65_42:
	s_or_b64 exec, exec, s[10:11]
	s_and_b64 exec, exec, s[12:13]
	s_cbranch_execz .LBB65_45
; %bb.43:
	v_mov_b32_e32 v8, 0x90
	v_lshl_add_u32 v8, v3, 2, v8
	s_mov_b64 s[10:11], 0
.LBB65_44:                              ; =>This Inner Loop Header: Depth=1
	ds_read_b32 v9, v8
	v_add_u32_e32 v3, 0x80, v3
	v_cmp_le_i32_e32 vcc, s3, v3
	s_or_b64 s[10:11], vcc, s[10:11]
	s_waitcnt lgkmcnt(0)
	v_mul_f32_e32 v9, v2, v9
	ds_write_b32 v8, v9
	v_add_u32_e32 v8, 0x200, v8
	s_andn2_b64 exec, exec, s[10:11]
	s_cbranch_execnz .LBB65_44
.LBB65_45:
	s_or_b64 exec, exec, s[0:1]
	s_mul_i32 s0, s20, s30
	v_cmp_eq_u32_e32 vcc, 0, v0
	s_mul_i32 s10, s0, s5
	s_waitcnt lgkmcnt(0)
	s_barrier
	s_and_saveexec_b64 s[0:1], vcc
	s_cbranch_execz .LBB65_47
; %bb.46:
	s_ashr_i32 s11, s10, 31
	s_lshl_b64 s[12:13], s[10:11], 2
	s_add_u32 s5, s26, s12
	s_mul_i32 s2, s20, s2
	s_addc_u32 s11, s27, s13
	s_ashr_i32 s3, s2, 31
	s_lshl_b64 s[2:3], s[2:3], 2
	s_add_u32 s19, s5, s2
	s_addc_u32 s11, s11, s3
	s_ashr_i32 s5, s4, 31
	s_lshl_b64 s[4:5], s[4:5], 2
	s_add_u32 s26, s19, s4
	s_addc_u32 s27, s11, s5
	s_add_u32 s11, s24, s12
	s_addc_u32 s12, s25, s13
	;; [unrolled: 2-line block ×3, first 2 shown]
	s_add_u32 s2, s2, s4
	v_mov_b32_e32 v2, 0
	s_addc_u32 s3, s3, s5
	global_store_dword v2, v4, s[26:27]
	global_store_dword v2, v5, s[2:3]
.LBB65_47:
	s_or_b64 exec, exec, s[0:1]
	v_mov_b32_e32 v9, 0
	s_and_saveexec_b64 s[2:3], s[6:7]
	s_cbranch_execz .LBB65_55
; %bb.48:
	s_ashr_i32 s19, s18, 31
	s_sub_i32 s11, s51, s21
	s_lshl_b64 s[0:1], s[18:19], 1
	s_add_u32 s0, s38, s0
	s_addc_u32 s1, s39, s1
	s_abs_i32 s13, s22
	v_cvt_f32_u32_e32 v2, s13
	v_lshlrev_b32_e32 v8, 4, v15
	v_mov_b32_e32 v9, 0
	v_lshl_add_u64 v[10:11], s[0:1], 0, v[8:9]
	v_rcp_iflag_f32_e32 v2, v2
	s_sub_i32 s0, 0, s13
	s_add_i32 s50, s50, -1
	s_mov_b32 s12, s17
	v_mul_f32_e32 v2, 0x4f7ffffe, v2
	v_cvt_u32_f32_e32 v2, v2
	s_mov_b32 s17, s31
	s_mov_b32 s18, s31
	;; [unrolled: 1-line block ×3, first 2 shown]
	v_mul_lo_u32 v3, s0, v2
	s_lshl_b64 s[0:1], s[36:37], 2
	v_mul_hi_u32 v3, v2, v3
	s_add_u32 s0, s34, s0
	v_add_u32_e32 v8, v2, v3
	s_addc_u32 s1, s35, s1
	v_mov_b32_e32 v2, 0x90
	s_mov_b32 s21, s31
	s_mov_b32 s22, s31
	;; [unrolled: 1-line block ×4, first 2 shown]
	v_lshl_add_u64 v[12:13], v[6:7], 2, s[0:1]
	v_lshl_add_u32 v7, v14, 5, v2
	s_mov_b64 s[4:5], 0
	s_mov_b32 s26, 0x5040100
	s_branch .LBB65_51
.LBB65_49:                              ;   in Loop: Header=BB65_51 Depth=1
	s_or_b64 exec, exec, s[6:7]
	v_and_b32_e32 v14, 0xffff, v14
	v_lshl_or_b32 v14, v16, 16, v14
	v_and_b32_e32 v16, 0xffff, v17
	v_lshl_or_b32 v16, v18, 16, v16
	v_and_b32_e32 v17, 0xffff, v19
	v_and_b32_e32 v18, 0xffff, v21
	s_waitcnt vmcnt(0)
	;;#ASMSTART
	v_pk_mul_f16 v2, v14, v2;

	;;#ASMEND
	v_lshl_or_b32 v17, v20, 16, v17
	v_lshl_or_b32 v18, v22, 16, v18
	;;#ASMSTART
	v_pk_mul_f16 v3, v16, v3;

	;;#ASMEND
	;;#ASMSTART
	v_pk_mul_f16 v4, v17, v4;

	;;#ASMEND
	;;#ASMSTART
	v_pk_mul_f16 v5, v18, v5;

	;;#ASMEND
	s_nop 0
	;;#ASMSTART
	v_pk_add_f16 v2, v2, v3;

	;;#ASMEND
	s_nop 0
	;;#ASMSTART
	v_pk_add_f16 v2, v2, v4;

	;;#ASMEND
	;; [unrolled: 5-line block ×3, first 2 shown]
	s_nop 0
	v_lshrrev_b32_e32 v3, 16, v2
	v_and_b32_e32 v2, 0xffff, v2
	;;#ASMSTART
	v_cvt_f32_f16 v2, v2;
	;;#ASMEND
	;;#ASMSTART
	v_cvt_f32_f16 v3, v3;
	;;#ASMEND
	s_nop 0
	v_add_f32_e32 v2, v2, v3
	v_add_f32_e32 v9, v9, v2
.LBB65_50:                              ;   in Loop: Header=BB65_51 Depth=1
	s_or_b64 exec, exec, s[0:1]
	v_add_u32_e32 v6, 2, v6
	v_cmp_le_i32_e32 vcc, s49, v6
	v_lshl_add_u64 v[12:13], v[12:13], 0, 8
	v_add_u32_e32 v1, 16, v1
	s_or_b64 s[4:5], vcc, s[4:5]
	v_add_u32_e32 v7, 64, v7
	s_andn2_b64 exec, exec, s[4:5]
	s_cbranch_execz .LBB65_54
.LBB65_51:                              ; =>This Inner Loop Header: Depth=1
	v_sub_u32_e32 v3, 0, v1
	v_max_i32_e32 v3, v1, v3
	v_mul_hi_u32 v4, v3, s33
	v_mul_lo_u32 v5, v4, s15
	v_sub_u32_e32 v3, v3, v5
	v_add_u32_e32 v5, 1, v4
	v_cmp_le_u32_e32 vcc, s15, v3
	v_ashrrev_i32_e32 v2, 31, v1
	v_xor_b32_e32 v2, s23, v2
	v_cndmask_b32_e32 v4, v4, v5, vcc
	v_subrev_u32_e32 v5, s15, v3
	v_cndmask_b32_e32 v3, v3, v5, vcc
	v_add_u32_e32 v5, 1, v4
	v_cmp_le_u32_e32 vcc, s15, v3
	s_nop 1
	v_cndmask_b32_e32 v3, v4, v5, vcc
	v_xor_b32_e32 v3, v3, v2
	v_sub_u32_e32 v2, v3, v2
	v_add_u32_e32 v3, s48, v2
	v_sub_u32_e32 v5, 0, v3
	v_ashrrev_i32_e32 v4, 31, v3
	v_max_i32_e32 v3, v3, v5
	v_mul_hi_u32 v5, v3, v8
	v_mul_lo_u32 v5, v5, s13
	v_sub_u32_e32 v3, v3, v5
	v_subrev_u32_e32 v5, s13, v3
	v_cmp_le_u32_e32 vcc, s13, v3
	v_cmp_lt_i32_e64 s[0:1], s11, v2
	s_nop 0
	v_cndmask_b32_e32 v3, v3, v5, vcc
	v_subrev_u32_e32 v5, s13, v3
	v_cmp_le_u32_e32 vcc, s13, v3
	s_nop 1
	v_cndmask_b32_e32 v3, v3, v5, vcc
	v_xor_b32_e32 v3, v3, v4
	v_sub_u32_e32 v3, v3, v4
	v_cmp_eq_u32_e32 vcc, 0, v3
	s_or_b64 s[6:7], vcc, s[0:1]
	s_and_saveexec_b64 s[0:1], s[6:7]
	s_cbranch_execz .LBB65_50
; %bb.52:                               ;   in Loop: Header=BB65_51 Depth=1
	global_load_dword v24, v[12:13], off
	ds_read2_b64 v[2:5], v7 offset1:1
	ds_read2_b64 v[20:23], v7 offset0:2 offset1:3
	v_cmp_eq_u32_e32 vcc, s50, v6
	s_waitcnt lgkmcnt(1)
	;;#ASMSTART
	v_cvt_f16_f32 v14, v2;

	;;#ASMEND
	;;#ASMSTART
	v_cvt_f16_f32 v16, v3;

	;;#ASMEND
	;;#ASMSTART
	v_cvt_f16_f32 v17, v4;

	;;#ASMEND
	;;#ASMSTART
	v_cvt_f16_f32 v18, v5;

	;;#ASMEND
	s_waitcnt lgkmcnt(0)
	;;#ASMSTART
	v_cvt_f16_f32 v19, v20;

	;;#ASMEND
	;;#ASMSTART
	v_cvt_f16_f32 v20, v21;

	;;#ASMEND
	;;#ASMSTART
	v_cvt_f16_f32 v21, v22;

	;;#ASMEND
	;;#ASMSTART
	v_cvt_f16_f32 v22, v23;

	;;#ASMEND
	s_waitcnt vmcnt(0)
	v_mad_i64_i32 v[2:3], s[6:7], v24, s12, 0
	v_lshl_add_u64 v[2:3], v[2:3], 1, v[10:11]
	global_load_dwordx4 v[2:5], v[2:3], off
	s_and_saveexec_b64 s[6:7], vcc
	s_cbranch_execz .LBB65_49
; %bb.53:                               ;   in Loop: Header=BB65_51 Depth=1
	v_or_b32_e32 v28, 7, v1
	v_or_b32_e32 v29, 6, v1
	s_waitcnt vmcnt(0)
	v_lshrrev_b32_e32 v30, 16, v5
	v_cmp_gt_i32_e32 vcc, s25, v28
	v_or_b32_e32 v26, 5, v1
	v_or_b32_e32 v27, 4, v1
	v_cndmask_b32_e32 v28, 0, v30, vcc
	v_cmp_gt_i32_e32 vcc, s24, v29
	v_or_b32_e32 v24, 3, v1
	v_or_b32_e32 v25, 2, v1
	v_cndmask_b32_e32 v5, 0, v5, vcc
	v_perm_b32 v5, v28, v5, s26
	v_lshrrev_b32_e32 v28, 16, v4
	v_cmp_gt_i32_e32 vcc, s22, v26
	v_add_u32_e32 v23, 1, v1
	s_nop 0
	v_cndmask_b32_e32 v26, 0, v28, vcc
	v_cmp_gt_i32_e32 vcc, s21, v27
	s_nop 1
	v_cndmask_b32_e32 v4, 0, v4, vcc
	v_perm_b32 v4, v26, v4, s26
	v_lshrrev_b32_e32 v26, 16, v3
	v_cmp_gt_i32_e32 vcc, s19, v24
	s_nop 1
	v_cndmask_b32_e32 v24, 0, v26, vcc
	v_cmp_gt_i32_e32 vcc, s18, v25
	s_nop 1
	v_cndmask_b32_e32 v3, 0, v3, vcc
	v_perm_b32 v3, v24, v3, s26
	v_lshrrev_b32_e32 v24, 16, v2
	v_cmp_gt_i32_e32 vcc, s17, v23
	s_nop 1
	v_cndmask_b32_e32 v23, 0, v24, vcc
	v_cmp_gt_i32_e32 vcc, s31, v1
	s_nop 1
	v_cndmask_b32_e32 v2, 0, v2, vcc
	v_perm_b32 v2, v23, v2, s26
	s_branch .LBB65_49
.LBB65_54:
	s_or_b64 exec, exec, s[4:5]
.LBB65_55:
	s_or_b64 exec, exec, s[2:3]
	v_and_b32_e32 v0, 0x3c0, v0
	v_cmp_eq_u32_e32 vcc, 64, v0
	s_barrier
	s_and_saveexec_b64 s[0:1], vcc
	s_cbranch_execz .LBB65_57
; %bb.56:
	v_mov_b32_e32 v0, 0x90
	v_lshl_add_u32 v0, v15, 2, v0
	ds_write_b32 v0, v9
.LBB65_57:
	s_or_b64 exec, exec, s[0:1]
	s_waitcnt lgkmcnt(0)
	s_barrier
	s_and_saveexec_b64 s[0:1], s[8:9]
	s_cbranch_execz .LBB65_59
; %bb.58:
	v_mov_b32_e32 v0, 0x90
	v_lshl_add_u32 v0, v15, 2, v0
	ds_read_b32 v0, v0
	s_waitcnt lgkmcnt(0)
	v_add_f32_e32 v9, v9, v0
.LBB65_59:
	s_or_b64 exec, exec, s[0:1]
	s_barrier
	s_and_saveexec_b64 s[0:1], s[8:9]
	s_cbranch_execz .LBB65_61
; %bb.60:
	s_lshl_b32 s0, s10, 6
	s_ashr_i32 s1, s0, 31
	s_lshl_b64 s[0:1], s[0:1], 1
	s_add_u32 s2, s28, s0
	s_mul_i32 s0, s20, s14
	s_addc_u32 s3, s29, s1
	s_ashr_i32 s1, s0, 31
	s_lshl_b64 s[0:1], s[0:1], 1
	s_add_u32 s2, s2, s0
	s_addc_u32 s3, s3, s1
	s_ashr_i32 s17, s16, 31
	s_lshl_b64 s[0:1], s[16:17], 1
	s_add_u32 s0, s2, s0
	s_addc_u32 s1, s3, s1
	v_lshlrev_b32_e32 v0, 1, v15
	;;#ASMSTART
	v_cvt_f16_f32 v1, v9;

	;;#ASMEND
	global_store_short v0, v1, s[0:1]
.LBB65_61:
	s_endpgm
	.section	.rodata,"a",@progbits
	.p2align	6, 0x0
	.amdhsa_kernel _ZN4vllm25paged_attention_v2_kernelIttLi64ELi8ELi128ELNS_18Fp8KVCacheDataTypeE0ELb1ELi512EEEvPfS2_PT_PKS3_PKT0_S9_ifPKiSB_iPKfiiiSD_SD_iiiii
		.amdhsa_group_segment_fixed_size 144
		.amdhsa_private_segment_fixed_size 0
		.amdhsa_kernarg_size 400
		.amdhsa_user_sgpr_count 2
		.amdhsa_user_sgpr_dispatch_ptr 0
		.amdhsa_user_sgpr_queue_ptr 0
		.amdhsa_user_sgpr_kernarg_segment_ptr 1
		.amdhsa_user_sgpr_dispatch_id 0
		.amdhsa_user_sgpr_kernarg_preload_length 0
		.amdhsa_user_sgpr_kernarg_preload_offset 0
		.amdhsa_user_sgpr_private_segment_size 0
		.amdhsa_uses_dynamic_stack 0
		.amdhsa_enable_private_segment 0
		.amdhsa_system_sgpr_workgroup_id_x 1
		.amdhsa_system_sgpr_workgroup_id_y 1
		.amdhsa_system_sgpr_workgroup_id_z 1
		.amdhsa_system_sgpr_workgroup_info 0
		.amdhsa_system_vgpr_workitem_id 0
		.amdhsa_next_free_vgpr 40
		.amdhsa_next_free_sgpr 54
		.amdhsa_accum_offset 40
		.amdhsa_reserve_vcc 1
		.amdhsa_float_round_mode_32 0
		.amdhsa_float_round_mode_16_64 0
		.amdhsa_float_denorm_mode_32 3
		.amdhsa_float_denorm_mode_16_64 3
		.amdhsa_dx10_clamp 1
		.amdhsa_ieee_mode 1
		.amdhsa_fp16_overflow 0
		.amdhsa_tg_split 0
		.amdhsa_exception_fp_ieee_invalid_op 0
		.amdhsa_exception_fp_denorm_src 0
		.amdhsa_exception_fp_ieee_div_zero 0
		.amdhsa_exception_fp_ieee_overflow 0
		.amdhsa_exception_fp_ieee_underflow 0
		.amdhsa_exception_fp_ieee_inexact 0
		.amdhsa_exception_int_div_zero 0
	.end_amdhsa_kernel
	.section	.text._ZN4vllm25paged_attention_v2_kernelIttLi64ELi8ELi128ELNS_18Fp8KVCacheDataTypeE0ELb1ELi512EEEvPfS2_PT_PKS3_PKT0_S9_ifPKiSB_iPKfiiiSD_SD_iiiii,"axG",@progbits,_ZN4vllm25paged_attention_v2_kernelIttLi64ELi8ELi128ELNS_18Fp8KVCacheDataTypeE0ELb1ELi512EEEvPfS2_PT_PKS3_PKT0_S9_ifPKiSB_iPKfiiiSD_SD_iiiii,comdat
.Lfunc_end65:
	.size	_ZN4vllm25paged_attention_v2_kernelIttLi64ELi8ELi128ELNS_18Fp8KVCacheDataTypeE0ELb1ELi512EEEvPfS2_PT_PKS3_PKT0_S9_ifPKiSB_iPKfiiiSD_SD_iiiii, .Lfunc_end65-_ZN4vllm25paged_attention_v2_kernelIttLi64ELi8ELi128ELNS_18Fp8KVCacheDataTypeE0ELb1ELi512EEEvPfS2_PT_PKS3_PKT0_S9_ifPKiSB_iPKfiiiSD_SD_iiiii
                                        ; -- End function
	.section	.AMDGPU.csdata,"",@progbits
; Kernel info:
; codeLenInByte = 4528
; NumSgprs: 60
; NumVgprs: 40
; NumAgprs: 0
; TotalNumVgprs: 40
; ScratchSize: 0
; MemoryBound: 0
; FloatMode: 240
; IeeeMode: 1
; LDSByteSize: 144 bytes/workgroup (compile time only)
; SGPRBlocks: 7
; VGPRBlocks: 4
; NumSGPRsForWavesPerEU: 60
; NumVGPRsForWavesPerEU: 40
; AccumOffset: 40
; Occupancy: 8
; WaveLimiterHint : 1
; COMPUTE_PGM_RSRC2:SCRATCH_EN: 0
; COMPUTE_PGM_RSRC2:USER_SGPR: 2
; COMPUTE_PGM_RSRC2:TRAP_HANDLER: 0
; COMPUTE_PGM_RSRC2:TGID_X_EN: 1
; COMPUTE_PGM_RSRC2:TGID_Y_EN: 1
; COMPUTE_PGM_RSRC2:TGID_Z_EN: 1
; COMPUTE_PGM_RSRC2:TIDIG_COMP_CNT: 0
; COMPUTE_PGM_RSRC3_GFX90A:ACCUM_OFFSET: 9
; COMPUTE_PGM_RSRC3_GFX90A:TG_SPLIT: 0
	.section	.text._ZN4vllm32paged_attention_v2_reduce_kernelItLi64ELi128ELi512EEEvPT_PKfS4_PKS1_PKii,"axG",@progbits,_ZN4vllm32paged_attention_v2_reduce_kernelItLi64ELi128ELi512EEEvPT_PKfS4_PKS1_PKii,comdat
	.protected	_ZN4vllm32paged_attention_v2_reduce_kernelItLi64ELi128ELi512EEEvPT_PKfS4_PKS1_PKii ; -- Begin function _ZN4vllm32paged_attention_v2_reduce_kernelItLi64ELi128ELi512EEEvPT_PKfS4_PKS1_PKii
	.globl	_ZN4vllm32paged_attention_v2_reduce_kernelItLi64ELi128ELi512EEEvPT_PKfS4_PKS1_PKii
	.p2align	8
	.type	_ZN4vllm32paged_attention_v2_reduce_kernelItLi64ELi128ELi512EEEvPT_PKfS4_PKS1_PKii,@function
_ZN4vllm32paged_attention_v2_reduce_kernelItLi64ELi128ELi512EEEvPT_PKfS4_PKS1_PKii: ; @_ZN4vllm32paged_attention_v2_reduce_kernelItLi64ELi128ELi512EEEvPT_PKfS4_PKS1_PKii
; %bb.0:
	s_load_dwordx4 s[8:11], s[0:1], 0x18
	s_add_u32 s6, s0, 48
	s_mov_b32 s12, s3
	s_addc_u32 s7, s1, 0
	s_ashr_i32 s13, s3, 31
	s_lshl_b64 s[4:5], s[12:13], 2
	s_waitcnt lgkmcnt(0)
	s_add_u32 s4, s10, s4
	s_addc_u32 s5, s11, s5
	s_load_dword s26, s[4:5], 0x0
	s_load_dwordx2 s[10:11], s[0:1], 0x0
	s_load_dword s3, s[0:1], 0x28
	s_load_dword s13, s[0:1], 0x30
	s_waitcnt lgkmcnt(0)
	s_add_i32 s4, s26, -1
	s_cmpk_gt_u32 s4, 0x1ff
	s_mov_b64 s[4:5], -1
	s_cbranch_scc0 .LBB66_25
; %bb.1:
	s_add_i32 s4, s26, 0x1ff
	s_load_dwordx2 s[18:19], s[0:1], 0x8
	s_ashr_i32 s5, s4, 31
	s_lshr_b32 s5, s5, 23
	s_add_i32 s4, s4, s5
	s_mul_i32 s24, s13, s12
	s_ashr_i32 s25, s4, 9
	s_mul_i32 s14, s24, s3
	s_mul_i32 s16, s2, s3
	s_ashr_i32 s15, s14, 31
	s_ashr_i32 s17, s16, 31
	v_cmp_gt_i32_e32 vcc, s25, v0
	v_mov_b32_e32 v6, 0xff7fffff
	v_lshlrev_b32_e32 v2, 2, v0
	s_and_saveexec_b64 s[4:5], vcc
	s_cbranch_execz .LBB66_5
; %bb.2:
	s_load_dword s20, s[6:7], 0xc
	s_load_dwordx2 s[22:23], s[0:1], 0x10
	s_lshl_b64 s[0:1], s[14:15], 2
	s_lshl_b64 s[28:29], s[16:17], 2
	v_mov_b32_e32 v3, 0
	s_waitcnt lgkmcnt(0)
	s_and_b32 s27, s20, 0xffff
	s_add_u32 s0, s0, s28
	s_addc_u32 s1, s1, s29
	s_add_u32 s0, s22, s0
	s_addc_u32 s1, s23, s1
	s_mov_b32 s21, 0
	v_lshl_add_u64 v[4:5], s[0:1], 0, v[2:3]
	s_lshl_b32 s20, s27, 2
	v_add_u32_e32 v1, 16, v2
	s_mov_b64 s[22:23], 0
	v_mov_b32_e32 v6, 0xff7fffff
	v_mov_b32_e32 v3, v0
.LBB66_3:                               ; =>This Inner Loop Header: Depth=1
	global_load_dword v7, v[4:5], off
	v_add_u32_e32 v3, s27, v3
	v_max_f32_e32 v6, v6, v6
	v_cmp_le_i32_e64 s[0:1], s25, v3
	v_lshl_add_u64 v[4:5], v[4:5], 0, s[20:21]
	s_or_b64 s[22:23], s[0:1], s[22:23]
	s_waitcnt vmcnt(0)
	ds_write_b32 v1, v7
	v_max_f32_e32 v7, v7, v7
	v_add_u32_e32 v1, s20, v1
	v_max_f32_e32 v6, v6, v7
	s_andn2_b64 exec, exec, s[22:23]
	s_cbranch_execnz .LBB66_3
; %bb.4:
	s_or_b64 exec, exec, s[22:23]
.LBB66_5:
	s_or_b64 exec, exec, s[4:5]
	v_mbcnt_lo_u32_b32 v1, -1, 0
	v_mbcnt_hi_u32_b32 v3, -1, v1
	v_and_b32_e32 v1, 64, v3
	v_add_u32_e32 v7, 64, v1
	v_xor_b32_e32 v1, 32, v3
	v_cmp_lt_i32_e64 s[0:1], v1, v7
	v_max_f32_e32 v5, v6, v6
	v_xor_b32_e32 v8, 8, v3
	v_cndmask_b32_e64 v1, v3, v1, s[0:1]
	v_lshlrev_b32_e32 v1, 2, v1
	ds_bpermute_b32 v4, v1, v6
	v_xor_b32_e32 v6, 16, v3
	v_cmp_lt_i32_e64 s[0:1], v6, v7
	v_xor_b32_e32 v9, 4, v3
	v_xor_b32_e32 v10, 2, v3
	s_waitcnt lgkmcnt(0)
	v_max_f32_e32 v4, v4, v4
	v_max_f32_e32 v4, v5, v4
	v_cndmask_b32_e64 v5, v3, v6, s[0:1]
	v_lshlrev_b32_e32 v6, 2, v5
	ds_bpermute_b32 v5, v6, v4
	v_cmp_lt_i32_e64 s[0:1], v8, v7
	v_lshrrev_b32_e32 v13, 6, v0
	s_waitcnt lgkmcnt(0)
	s_barrier
	v_max_f32_e32 v5, v5, v5
	v_max_f32_e32 v4, v4, v5
	v_cndmask_b32_e64 v5, v3, v8, s[0:1]
	v_lshlrev_b32_e32 v8, 2, v5
	ds_bpermute_b32 v5, v8, v4
	v_cmp_lt_i32_e64 s[0:1], v9, v7
	s_waitcnt lgkmcnt(0)
	v_max_f32_e32 v5, v5, v5
	v_max_f32_e32 v4, v4, v5
	v_cndmask_b32_e64 v5, v3, v9, s[0:1]
	v_lshlrev_b32_e32 v9, 2, v5
	ds_bpermute_b32 v5, v9, v4
	v_cmp_lt_i32_e64 s[0:1], v10, v7
	s_waitcnt lgkmcnt(0)
	v_max_f32_e32 v5, v5, v5
	v_max_f32_e32 v5, v4, v5
	v_cndmask_b32_e64 v4, v3, v10, s[0:1]
	v_lshlrev_b32_e32 v10, 2, v4
	ds_bpermute_b32 v11, v10, v5
	v_and_b32_e32 v4, 63, v0
	s_waitcnt lgkmcnt(0)
	v_max_f32_e32 v11, v11, v11
	v_max_f32_e32 v5, v5, v11
	v_xor_b32_e32 v11, 1, v3
	v_cmp_lt_i32_e64 s[0:1], v11, v7
	s_nop 1
	v_cndmask_b32_e64 v7, v3, v11, s[0:1]
	v_lshlrev_b32_e32 v7, 2, v7
	ds_bpermute_b32 v12, v7, v5
	v_cmp_eq_u32_e64 s[0:1], 0, v4
	v_lshlrev_b32_e32 v11, 2, v13
	s_and_saveexec_b64 s[4:5], s[0:1]
	s_cbranch_execz .LBB66_7
; %bb.6:
	s_waitcnt lgkmcnt(0)
	v_max_f32_e32 v12, v12, v12
	v_max_f32_e32 v5, v5, v5
	;; [unrolled: 1-line block ×3, first 2 shown]
	ds_write_b32 v11, v5
.LBB66_7:
	s_or_b64 exec, exec, s[4:5]
	v_cmp_gt_u32_e64 s[4:5], 2, v4
	v_mov_b32_e32 v5, 0xff7fffff
	s_waitcnt lgkmcnt(0)
	v_lshlrev_b32_e32 v12, 2, v4
	s_barrier
	s_and_saveexec_b64 s[20:21], s[4:5]
	s_cbranch_execz .LBB66_9
; %bb.8:
	ds_read_b32 v5, v12
.LBB66_9:
	s_or_b64 exec, exec, s[20:21]
	s_waitcnt lgkmcnt(0)
	ds_bpermute_b32 v4, v7, v5
	v_max_f32_e32 v5, v5, v5
	v_lshlrev_b32_e32 v3, 2, v3
	v_and_b32_e32 v13, 0x100, v3
	s_lshl_b32 s27, s25, 2
	s_waitcnt lgkmcnt(0)
	v_max_f32_e32 v4, v4, v4
	v_max_f32_e32 v4, v5, v4
	ds_bpermute_b32 v14, v13, v4
	v_mov_b32_e32 v3, 0
	s_and_saveexec_b64 s[20:21], vcc
	s_cbranch_execz .LBB66_13
; %bb.10:
	s_load_dword s22, s[6:7], 0xc
	s_lshl_b64 s[28:29], s[14:15], 2
	s_lshl_b64 s[30:31], s[16:17], 2
	v_mov_b32_e32 v3, 0
	s_mov_b32 s23, 0
	s_waitcnt lgkmcnt(0)
	s_and_b32 s15, s22, 0xffff
	s_add_u32 s17, s28, s30
	s_addc_u32 s22, s29, s31
	s_add_u32 s18, s18, s17
	s_addc_u32 s19, s19, s22
	v_lshl_add_u64 v[4:5], s[18:19], 0, v[2:3]
	s_lshl_b32 s22, s15, 2
	v_add_u32_e32 v2, 16, v2
	s_mov_b64 s[18:19], 0
	s_mov_b32 s17, 0x3fb8aa3b
	s_mov_b32 s28, 0xc2ce8ed0
	s_mov_b32 s29, 0x42b17218
	v_mov_b32_e32 v15, 0x7f800000
	v_mov_b32_e32 v16, v0
.LBB66_11:                              ; =>This Inner Loop Header: Depth=1
	global_load_dword v17, v[4:5], off
	ds_read_b32 v18, v2
	v_add_u32_e32 v16, s15, v16
	v_cmp_le_i32_e32 vcc, s25, v16
	s_or_b64 s[18:19], vcc, s[18:19]
	v_add_u32_e32 v19, s27, v2
	s_waitcnt lgkmcnt(0)
	v_sub_f32_e32 v18, v18, v14
	v_mul_f32_e32 v20, 0x3fb8aa3b, v18
	v_fma_f32 v21, v18, s17, -v20
	v_rndne_f32_e32 v22, v20
	v_fmac_f32_e32 v21, 0x32a5705f, v18
	v_sub_f32_e32 v20, v20, v22
	v_add_f32_e32 v20, v20, v21
	v_cvt_i32_f32_e32 v22, v22
	v_exp_f32_e32 v20, v20
	v_cmp_ngt_f32_e32 vcc, s28, v18
	v_lshl_add_u64 v[4:5], v[4:5], 0, s[22:23]
	v_add_u32_e32 v2, s22, v2
	v_ldexp_f32 v20, v20, v22
	v_cndmask_b32_e32 v20, 0, v20, vcc
	v_cmp_nlt_f32_e32 vcc, s29, v18
	s_nop 1
	v_cndmask_b32_e32 v18, v15, v20, vcc
	s_waitcnt vmcnt(0)
	v_mul_f32_e32 v20, v17, v18
	v_fmac_f32_e32 v3, v17, v18
	ds_write_b32 v19, v20
	s_andn2_b64 exec, exec, s[18:19]
	s_cbranch_execnz .LBB66_11
; %bb.12:
	s_or_b64 exec, exec, s[18:19]
.LBB66_13:
	s_or_b64 exec, exec, s[20:21]
	ds_bpermute_b32 v1, v1, v3
	s_waitcnt lgkmcnt(0)
	s_barrier
	v_add_f32_e32 v1, v3, v1
	ds_bpermute_b32 v2, v6, v1
	s_waitcnt lgkmcnt(0)
	v_add_f32_e32 v1, v1, v2
	ds_bpermute_b32 v2, v8, v1
	s_waitcnt lgkmcnt(0)
	;; [unrolled: 3-line block ×5, first 2 shown]
	v_add_f32_e32 v1, v1, v2
	s_and_saveexec_b64 s[18:19], s[0:1]
	s_cbranch_execz .LBB66_15
; %bb.14:
	ds_write_b32 v11, v1 offset:8
.LBB66_15:
	s_or_b64 exec, exec, s[18:19]
	s_waitcnt lgkmcnt(0)
	s_barrier
	s_and_saveexec_b64 s[0:1], s[4:5]
	s_cbranch_execz .LBB66_17
; %bb.16:
	ds_read_b32 v1, v12 offset:8
.LBB66_17:
	s_or_b64 exec, exec, s[0:1]
	s_waitcnt lgkmcnt(0)
	ds_bpermute_b32 v2, v7, v1
	v_cmp_gt_u32_e32 vcc, 64, v0
	s_waitcnt lgkmcnt(0)
	v_add_f32_e32 v1, v1, v2
	ds_bpermute_b32 v2, v13, v1
	s_and_saveexec_b64 s[0:1], vcc
	s_cbranch_execz .LBB66_24
; %bb.18:
	s_cmp_gt_i32 s26, 0
	s_mov_b32 s15, 0
	s_cbranch_scc1 .LBB66_20
; %bb.19:
	v_mov_b32_e32 v1, 0
	v_mov_b32_e32 v4, s15
	s_cbranch_execz .LBB66_21
	s_branch .LBB66_23
.LBB66_20:
                                        ; implicit-def: $sgpr15
	v_mov_b32_e32 v4, s15
.LBB66_21:
	s_waitcnt lgkmcnt(0)
	v_add_f32_e32 v1, 0x358637bd, v2
	v_div_scale_f32 v2, s[4:5], v1, v1, 1.0
	v_rcp_f32_e32 v3, v2
	s_lshl_b32 s4, s14, 6
	s_lshl_b32 s16, s16, 6
	s_ashr_i32 s5, s4, 31
	v_fma_f32 v4, -v2, v3, 1.0
	v_fmac_f32_e32 v3, v4, v3
	v_div_scale_f32 v4, vcc, 1.0, v1, 1.0
	v_mul_f32_e32 v5, v4, v3
	v_fma_f32 v6, -v2, v5, v4
	s_ashr_i32 s17, s16, 31
	s_max_i32 s15, s25, 1
	v_fmac_f32_e32 v5, v6, v3
	s_add_i32 s14, s27, 16
	s_lshl_b64 s[4:5], s[4:5], 1
	s_lshl_b64 s[16:17], s[16:17], 1
	v_fma_f32 v2, -v2, v5, v4
	s_add_u32 s4, s4, s16
	v_div_fmas_f32 v2, v2, v3, v5
	s_addc_u32 s5, s5, s17
	v_div_fixup_f32 v5, v2, v1, 1.0
	v_mov_b32_e32 v1, 0
	s_add_u32 s4, s8, s4
	v_lshlrev_b32_e32 v2, 1, v0
	v_mov_b32_e32 v3, v1
	s_addc_u32 s5, s9, s5
	v_lshl_add_u64 v[2:3], s[4:5], 0, v[2:3]
	s_mov_b64 s[4:5], 0x80
	v_mov_b32_e32 v4, v1
.LBB66_22:                              ; =>This Inner Loop Header: Depth=1
	global_load_ushort v6, v[2:3], off
	v_mov_b32_e32 v7, s14
	s_waitcnt vmcnt(0)
	;;#ASMSTART
	v_cvt_f32_f16 v6, v6;
	;;#ASMEND
	ds_read_b32 v7, v7
	s_add_i32 s15, s15, -1
	s_add_i32 s14, s14, 4
	v_lshl_add_u64 v[2:3], v[2:3], 0, s[4:5]
	s_cmp_eq_u32 s15, 0
	s_waitcnt lgkmcnt(0)
	v_mul_f32_e32 v6, v6, v7
	v_fmac_f32_e32 v4, v5, v6
	s_cbranch_scc0 .LBB66_22
.LBB66_23:
	s_lshl_b32 s4, s24, 6
	s_ashr_i32 s5, s4, 31
	s_lshl_b64 s[4:5], s[4:5], 1
	s_add_u32 s14, s10, s4
	s_addc_u32 s15, s11, s5
	s_lshl_b32 s4, s2, 6
	s_ashr_i32 s5, s4, 31
	s_lshl_b64 s[4:5], s[4:5], 1
	s_add_u32 s4, s14, s4
	s_addc_u32 s5, s15, s5
	s_waitcnt lgkmcnt(0)
	v_lshl_add_u64 v[2:3], v[0:1], 1, s[4:5]
	;;#ASMSTART
	v_cvt_f16_f32 v1, v4;

	;;#ASMEND
	global_store_short v[2:3], v1, off
.LBB66_24:
	s_or_b64 exec, exec, s[0:1]
	s_mov_b64 s[4:5], 0
.LBB66_25:
	s_and_b64 vcc, exec, s[4:5]
	s_cbranch_vccz .LBB66_34
; %bb.26:
	v_cmp_gt_u32_e32 vcc, 64, v0
	s_and_saveexec_b64 s[0:1], vcc
	s_cbranch_execz .LBB66_34
; %bb.27:
	s_mul_i32 s13, s13, s12
	s_lshl_b32 s0, s13, 6
	s_ashr_i32 s1, s0, 31
	s_lshl_b64 s[0:1], s[0:1], 1
	s_add_u32 s4, s10, s0
	s_addc_u32 s5, s11, s1
	s_lshl_b32 s0, s2, 6
	s_ashr_i32 s1, s0, 31
	s_lshl_b64 s[0:1], s[0:1], 1
	s_add_u32 s4, s4, s0
	s_mul_i32 s0, s3, s13
	s_addc_u32 s5, s5, s1
	s_lshl_b32 s0, s0, 6
	s_ashr_i32 s1, s0, 31
	s_lshl_b64 s[0:1], s[0:1], 1
	s_add_u32 s8, s8, s0
	s_mul_i32 s2, s2, s3
	s_load_dword s6, s[6:7], 0xc
	s_addc_u32 s9, s9, s1
	s_lshl_b32 s0, s2, 6
	s_ashr_i32 s1, s0, 31
	s_lshl_b64 s[0:1], s[0:1], 1
	s_add_u32 s2, s8, s0
	s_addc_u32 s3, s9, s1
	s_waitcnt lgkmcnt(0)
	s_and_b32 s8, s6, 0xffff
	v_cvt_f32_u32_e32 v1, s8
	v_add_u32_e32 v2, s8, v0
	v_mov_b32_e32 v4, s8
	v_cmp_gt_u32_e32 vcc, 64, v2
	v_rcp_iflag_f32_e32 v1, v1
	s_cmp_eq_u32 s8, 1
	v_max_u32_e32 v3, 64, v2
	v_addc_co_u32_e64 v2, s[0:1], v0, v4, vcc
	v_mul_f32_e32 v1, 0x4f7ffffe, v1
	v_cvt_u32_f32_e32 v1, v1
	s_cselect_b64 s[6:7], -1, 0
	s_sub_i32 s0, 0, s8
	v_sub_u32_e32 v2, v3, v2
	v_mul_lo_u32 v3, s0, v1
	v_mul_hi_u32 v3, v1, v3
	v_add_u32_e32 v1, v1, v3
	v_mul_hi_u32 v1, v2, v1
	v_mul_lo_u32 v3, v1, s8
	v_sub_u32_e32 v2, v2, v3
	v_add_u32_e32 v3, 1, v1
	v_cmp_le_u32_e64 s[0:1], s8, v2
	s_nop 1
	v_cndmask_b32_e64 v1, v1, v3, s[0:1]
	v_subrev_u32_e32 v3, s8, v2
	v_cndmask_b32_e64 v2, v2, v3, s[0:1]
	v_add_u32_e32 v3, 1, v1
	v_cmp_le_u32_e64 s[0:1], s8, v2
	s_nop 1
	v_cndmask_b32_e64 v1, v1, v3, s[0:1]
	v_addc_co_u32_e32 v1, vcc, 1, v1, vcc
	v_cmp_lt_u32_e32 vcc, 7, v1
	s_and_b64 s[10:11], vcc, s[6:7]
	s_mov_b64 s[6:7], -1
	s_and_saveexec_b64 s[0:1], s[10:11]
	s_cbranch_execz .LBB66_31
; %bb.28:
	v_and_b32_e32 v4, -8, v1
	s_mov_b64 s[6:7], 0
	v_mov_b32_e32 v3, 0
	v_mov_b32_e32 v2, v0
	;; [unrolled: 1-line block ×3, first 2 shown]
.LBB66_29:                              ; =>This Inner Loop Header: Depth=1
	v_lshlrev_b64 v[10:11], 1, v[2:3]
	v_lshl_add_u64 v[6:7], s[2:3], 0, v[10:11]
	global_load_dwordx4 v[6:9], v[6:7], off
	v_add_u32_e32 v5, -8, v5
	v_cmp_eq_u32_e32 vcc, 0, v5
	v_add_u32_e32 v2, 8, v2
	v_lshl_add_u64 v[10:11], s[4:5], 0, v[10:11]
	s_or_b64 s[6:7], vcc, s[6:7]
	s_waitcnt vmcnt(0)
	global_store_dwordx4 v[10:11], v[6:9], off
	s_andn2_b64 exec, exec, s[6:7]
	s_cbranch_execnz .LBB66_29
; %bb.30:
	s_or_b64 exec, exec, s[6:7]
	v_cmp_ne_u32_e32 vcc, v1, v4
	v_add_u32_e32 v0, v0, v4
	s_orn2_b64 s[6:7], vcc, exec
.LBB66_31:
	s_or_b64 exec, exec, s[0:1]
	s_and_b64 exec, exec, s[6:7]
	s_cbranch_execz .LBB66_34
; %bb.32:
	v_mov_b32_e32 v1, 0
	s_mov_b32 s1, 0
	v_lshlrev_b64 v[2:3], 1, v[0:1]
	s_lshl_b32 s0, s8, 1
	s_mov_b64 s[6:7], 0
.LBB66_33:                              ; =>This Inner Loop Header: Depth=1
	v_lshl_add_u64 v[4:5], s[2:3], 0, v[2:3]
	global_load_ushort v1, v[4:5], off
	v_add_u32_e32 v0, s8, v0
	v_cmp_lt_u32_e32 vcc, 63, v0
	v_lshl_add_u64 v[4:5], s[4:5], 0, v[2:3]
	v_lshl_add_u64 v[2:3], v[2:3], 0, s[0:1]
	s_or_b64 s[6:7], vcc, s[6:7]
	s_waitcnt vmcnt(0)
	global_store_short v[4:5], v1, off
	s_andn2_b64 exec, exec, s[6:7]
	s_cbranch_execnz .LBB66_33
.LBB66_34:
	s_endpgm
	.section	.rodata,"a",@progbits
	.p2align	6, 0x0
	.amdhsa_kernel _ZN4vllm32paged_attention_v2_reduce_kernelItLi64ELi128ELi512EEEvPT_PKfS4_PKS1_PKii
		.amdhsa_group_segment_fixed_size 16
		.amdhsa_private_segment_fixed_size 0
		.amdhsa_kernarg_size 304
		.amdhsa_user_sgpr_count 2
		.amdhsa_user_sgpr_dispatch_ptr 0
		.amdhsa_user_sgpr_queue_ptr 0
		.amdhsa_user_sgpr_kernarg_segment_ptr 1
		.amdhsa_user_sgpr_dispatch_id 0
		.amdhsa_user_sgpr_kernarg_preload_length 0
		.amdhsa_user_sgpr_kernarg_preload_offset 0
		.amdhsa_user_sgpr_private_segment_size 0
		.amdhsa_uses_dynamic_stack 0
		.amdhsa_enable_private_segment 0
		.amdhsa_system_sgpr_workgroup_id_x 1
		.amdhsa_system_sgpr_workgroup_id_y 1
		.amdhsa_system_sgpr_workgroup_id_z 0
		.amdhsa_system_sgpr_workgroup_info 0
		.amdhsa_system_vgpr_workitem_id 0
		.amdhsa_next_free_vgpr 23
		.amdhsa_next_free_sgpr 32
		.amdhsa_accum_offset 24
		.amdhsa_reserve_vcc 1
		.amdhsa_float_round_mode_32 0
		.amdhsa_float_round_mode_16_64 0
		.amdhsa_float_denorm_mode_32 3
		.amdhsa_float_denorm_mode_16_64 3
		.amdhsa_dx10_clamp 1
		.amdhsa_ieee_mode 1
		.amdhsa_fp16_overflow 0
		.amdhsa_tg_split 0
		.amdhsa_exception_fp_ieee_invalid_op 0
		.amdhsa_exception_fp_denorm_src 0
		.amdhsa_exception_fp_ieee_div_zero 0
		.amdhsa_exception_fp_ieee_overflow 0
		.amdhsa_exception_fp_ieee_underflow 0
		.amdhsa_exception_fp_ieee_inexact 0
		.amdhsa_exception_int_div_zero 0
	.end_amdhsa_kernel
	.section	.text._ZN4vllm32paged_attention_v2_reduce_kernelItLi64ELi128ELi512EEEvPT_PKfS4_PKS1_PKii,"axG",@progbits,_ZN4vllm32paged_attention_v2_reduce_kernelItLi64ELi128ELi512EEEvPT_PKfS4_PKS1_PKii,comdat
.Lfunc_end66:
	.size	_ZN4vllm32paged_attention_v2_reduce_kernelItLi64ELi128ELi512EEEvPT_PKfS4_PKS1_PKii, .Lfunc_end66-_ZN4vllm32paged_attention_v2_reduce_kernelItLi64ELi128ELi512EEEvPT_PKfS4_PKS1_PKii
                                        ; -- End function
	.section	.AMDGPU.csdata,"",@progbits
; Kernel info:
; codeLenInByte = 2112
; NumSgprs: 38
; NumVgprs: 23
; NumAgprs: 0
; TotalNumVgprs: 23
; ScratchSize: 0
; MemoryBound: 0
; FloatMode: 240
; IeeeMode: 1
; LDSByteSize: 16 bytes/workgroup (compile time only)
; SGPRBlocks: 4
; VGPRBlocks: 2
; NumSGPRsForWavesPerEU: 38
; NumVGPRsForWavesPerEU: 23
; AccumOffset: 24
; Occupancy: 8
; WaveLimiterHint : 0
; COMPUTE_PGM_RSRC2:SCRATCH_EN: 0
; COMPUTE_PGM_RSRC2:USER_SGPR: 2
; COMPUTE_PGM_RSRC2:TRAP_HANDLER: 0
; COMPUTE_PGM_RSRC2:TGID_X_EN: 1
; COMPUTE_PGM_RSRC2:TGID_Y_EN: 1
; COMPUTE_PGM_RSRC2:TGID_Z_EN: 0
; COMPUTE_PGM_RSRC2:TIDIG_COMP_CNT: 0
; COMPUTE_PGM_RSRC3_GFX90A:ACCUM_OFFSET: 5
; COMPUTE_PGM_RSRC3_GFX90A:TG_SPLIT: 0
	.section	.text._ZN4vllm25paged_attention_v2_kernelIttLi80ELi8ELi128ELNS_18Fp8KVCacheDataTypeE0ELb1ELi512EEEvPfS2_PT_PKS3_PKT0_S9_ifPKiSB_iPKfiiiSD_SD_iiiii,"axG",@progbits,_ZN4vllm25paged_attention_v2_kernelIttLi80ELi8ELi128ELNS_18Fp8KVCacheDataTypeE0ELb1ELi512EEEvPfS2_PT_PKS3_PKT0_S9_ifPKiSB_iPKfiiiSD_SD_iiiii,comdat
	.protected	_ZN4vllm25paged_attention_v2_kernelIttLi80ELi8ELi128ELNS_18Fp8KVCacheDataTypeE0ELb1ELi512EEEvPfS2_PT_PKS3_PKT0_S9_ifPKiSB_iPKfiiiSD_SD_iiiii ; -- Begin function _ZN4vllm25paged_attention_v2_kernelIttLi80ELi8ELi128ELNS_18Fp8KVCacheDataTypeE0ELb1ELi512EEEvPfS2_PT_PKS3_PKT0_S9_ifPKiSB_iPKfiiiSD_SD_iiiii
	.globl	_ZN4vllm25paged_attention_v2_kernelIttLi80ELi8ELi128ELNS_18Fp8KVCacheDataTypeE0ELb1ELi512EEEvPfS2_PT_PKS3_PKT0_S9_ifPKiSB_iPKfiiiSD_SD_iiiii
	.p2align	8
	.type	_ZN4vllm25paged_attention_v2_kernelIttLi80ELi8ELi128ELNS_18Fp8KVCacheDataTypeE0ELb1ELi512EEEvPfS2_PT_PKS3_PKT0_S9_ifPKiSB_iPKfiiiSD_SD_iiiii,@function
_ZN4vllm25paged_attention_v2_kernelIttLi80ELi8ELi128ELNS_18Fp8KVCacheDataTypeE0ELb1ELi512EEEvPfS2_PT_PKS3_PKT0_S9_ifPKiSB_iPKfiiiSD_SD_iiiii: ; @_ZN4vllm25paged_attention_v2_kernelIttLi80ELi8ELi128ELNS_18Fp8KVCacheDataTypeE0ELb1ELi512EEEvPfS2_PT_PKS3_PKT0_S9_ifPKiSB_iPKfiiiSD_SD_iiiii
; %bb.0:
	s_load_dwordx2 s[6:7], s[0:1], 0x40
	s_mov_b32 s30, s3
	s_ashr_i32 s31, s3, 31
	s_lshl_b64 s[8:9], s[30:31], 2
	s_waitcnt lgkmcnt(0)
	s_add_u32 s6, s6, s8
	s_addc_u32 s7, s7, s9
	s_load_dword s31, s[6:7], 0x0
	s_lshl_b32 s51, s4, 9
	s_waitcnt lgkmcnt(0)
	s_cmp_ge_i32 s51, s31
	s_cbranch_scc1 .LBB67_69
; %bb.1:
	s_load_dword s5, s[0:1], 0x90
	s_load_dwordx2 s[40:41], s[0:1], 0x30
	s_mov_b32 s52, 0
	s_waitcnt lgkmcnt(0)
	s_abs_i32 s7, s5
	s_abs_i32 s3, s40
	v_cvt_f32_u32_e32 v1, s3
	s_sub_i32 s8, 0, s3
	s_xor_b32 s6, s5, s40
	s_ashr_i32 s6, s6, 31
	v_rcp_iflag_f32_e32 v1, v1
	s_nop 0
	v_mul_f32_e32 v1, 0x4f7ffffe, v1
	v_cvt_u32_f32_e32 v1, v1
	s_nop 0
	v_readfirstlane_b32 s9, v1
	s_mul_i32 s8, s8, s9
	s_mul_hi_u32 s8, s9, s8
	s_add_i32 s9, s9, s8
	s_mul_hi_u32 s8, s7, s9
	s_mul_i32 s9, s8, s3
	s_sub_i32 s7, s7, s9
	s_add_i32 s10, s8, 1
	s_sub_i32 s9, s7, s3
	s_cmp_ge_u32 s7, s3
	s_cselect_b32 s8, s10, s8
	s_cselect_b32 s7, s9, s7
	s_add_i32 s9, s8, 1
	s_cmp_ge_u32 s7, s3
	s_cselect_b32 s3, s9, s8
	s_xor_b32 s3, s3, s6
	s_sub_i32 s8, s3, s6
	s_abs_i32 s10, s8
	v_cvt_f32_u32_e32 v1, s10
	s_load_dwordx2 s[6:7], s[0:1], 0x50
	s_sub_i32 s3, 0, s10
	s_abs_i32 s11, s2
	v_rcp_iflag_f32_e32 v1, v1
	s_nop 0
	v_mul_f32_e32 v1, 0x4f7ffffe, v1
	v_cvt_u32_f32_e32 v1, v1
	s_nop 0
	v_readfirstlane_b32 s9, v1
	s_mul_i32 s3, s3, s9
	s_mul_hi_u32 s3, s9, s3
	s_add_i32 s9, s9, s3
	s_waitcnt lgkmcnt(0)
	s_cmp_eq_u64 s[6:7], 0
	s_mul_hi_u32 s12, s11, s9
	s_cbranch_scc1 .LBB67_3
; %bb.2:
	s_ashr_i32 s3, s2, 31
	s_lshl_b64 s[14:15], s[2:3], 2
	s_add_u32 s6, s6, s14
	s_addc_u32 s7, s7, s15
	s_load_dword s52, s[6:7], 0x0
.LBB67_3:
	s_load_dwordx4 s[16:19], s[0:1], 0x58
	s_movk_i32 s6, 0x50
	s_ashr_i32 s3, s2, 31
	s_ashr_i32 s13, s8, 31
	v_and_b32_e32 v4, 7, v0
	s_mul_i32 s14, s2, 0x50
	v_cmp_gt_u32_e64 s[8:9], s6, v0
	v_lshlrev_b32_e32 v6, 1, v0
	s_and_saveexec_b64 s[6:7], s[8:9]
	s_cbranch_execz .LBB67_5
; %bb.4:
	s_load_dwordx2 s[20:21], s[0:1], 0x18
	s_waitcnt lgkmcnt(0)
	s_mul_i32 s22, s30, s16
	s_ashr_i32 s23, s22, 31
	s_lshl_b64 s[22:23], s[22:23], 1
	v_lshrrev_b32_e32 v2, 2, v0
	s_add_u32 s16, s20, s22
	s_addc_u32 s19, s21, s23
	s_ashr_i32 s15, s14, 31
	s_lshl_b64 s[20:21], s[14:15], 1
	s_add_u32 s20, s16, s20
	s_addc_u32 s21, s19, s21
	global_load_ushort v1, v6, s[20:21]
	v_and_b32_e32 v2, 0xfe, v2
	v_mad_u32_u24 v2, v4, 20, v2
	s_waitcnt vmcnt(0)
	ds_write_b16 v2, v1
.LBB67_5:
	s_or_b64 exec, exec, s[6:7]
	s_mul_i32 s6, s12, s10
	s_sub_i32 s6, s11, s6
	s_xor_b32 s3, s3, s13
	s_add_i32 s7, s12, 1
	s_sub_i32 s11, s6, s10
	s_load_dwordx4 s[20:23], s[0:1], 0x78
	s_cmp_ge_u32 s6, s10
	s_cselect_b32 s7, s7, s12
	s_load_dword s12, s[0:1], 0x88
	s_cselect_b32 s6, s11, s6
	s_add_i32 s11, s7, 1
	s_cmp_ge_u32 s6, s10
	s_cselect_b32 s6, s11, s7
	s_waitcnt lgkmcnt(0)
	s_abs_i32 s33, s23
	v_cvt_f32_u32_e32 v1, s33
	s_xor_b32 s6, s6, s3
	s_sub_i32 s10, s6, s3
	s_sub_i32 s6, 0, s33
	v_rcp_iflag_f32_e32 v1, v1
	s_add_i32 s13, s31, -1
	s_abs_i32 s3, s13
	v_mul_f32_e32 v1, 0x4f7ffffe, v1
	v_cvt_u32_f32_e32 v1, v1
	s_barrier
	v_readfirstlane_b32 s48, v1
	s_mul_i32 s6, s6, s48
	s_mul_hi_u32 s6, s48, s6
	s_add_i32 s48, s48, s6
	s_cmp_lt_i32 s12, 0
	s_mul_hi_u32 s11, s3, s48
	s_cbranch_scc0 .LBB67_7
; %bb.6:
	s_mul_i32 s6, s20, s40
	s_add_i32 s6, s10, s6
	s_mul_i32 s6, s6, s12
	s_sub_i32 s49, 1, s6
	s_mov_b64 s[6:7], 0
	s_branch .LBB67_8
.LBB67_7:
	s_mov_b64 s[6:7], -1
                                        ; implicit-def: $sgpr49
.LBB67_8:
	s_load_dwordx2 s[34:35], s[0:1], 0x38
	s_ashr_i32 s13, s13, 31
	s_andn2_b64 vcc, exec, s[6:7]
	s_ashr_i32 s23, s23, 31
	s_cbranch_vccnz .LBB67_10
; %bb.9:
	s_mul_i32 s6, s5, s20
	s_add_i32 s6, s6, s2
	s_mul_i32 s6, s6, s12
	s_add_i32 s49, s6, 1
.LBB67_10:
	s_load_dword s6, s[0:1], 0x48
	s_load_dwordx2 s[38:39], s[0:1], 0x28
	s_load_dword s15, s[0:1], 0x98
	s_load_dwordx4 s[24:27], s[0:1], 0x0
	s_load_dwordx2 s[28:29], s[0:1], 0x10
	s_mul_i32 s7, s11, s33
	s_waitcnt lgkmcnt(0)
	s_mul_i32 s36, s30, s6
	s_sub_i32 s3, s3, s7
	s_ashr_i32 s37, s36, 31
	s_xor_b32 s6, s13, s23
	s_add_i32 s7, s11, 1
	s_sub_i32 s12, s3, s33
	s_cmp_ge_u32 s3, s33
	s_cselect_b32 s7, s7, s11
	s_cselect_b32 s3, s12, s3
	s_add_i32 s11, s7, 1
	s_cmp_ge_u32 s3, s33
	s_cselect_b32 s3, s11, s7
	s_xor_b32 s3, s3, s6
	s_sub_i32 s16, s3, s6
	s_add_i32 s3, s31, 7
	s_ashr_i32 s6, s3, 31
	s_lshr_b32 s6, s6, 29
	s_add_i32 s3, s3, s6
	s_lshl_b32 s20, s4, 6
	s_ashr_i32 s3, s3, 3
	s_add_i32 s6, s20, 64
	v_lshrrev_b32_e32 v7, 6, v0
	s_min_i32 s50, s6, s3
	v_or_b32_e32 v8, s20, v7
	v_cmp_gt_i32_e64 s[6:7], s50, v8
	v_mov_b32_e32 v13, 0xff7fffff
	s_mul_i32 s18, s10, s18
	v_ashrrev_i32_e32 v9, 31, v8
	v_lshl_add_u32 v1, v7, 3, s51
	v_mbcnt_lo_u32_b32 v10, -1, 0
	s_and_saveexec_b64 s[42:43], s[6:7]
	s_cbranch_execz .LBB67_20
; %bb.11:
	s_load_dwordx2 s[0:1], s[0:1], 0x20
	s_ashr_i32 s19, s18, 31
	s_sub_i32 s40, s16, s21
	s_lshl_b64 s[10:11], s[18:19], 1
	v_bfe_u32 v11, v0, 3, 3
	s_waitcnt lgkmcnt(0)
	s_add_u32 s0, s0, s10
	s_addc_u32 s1, s1, s11
	s_abs_i32 s19, s22
	v_cvt_f32_u32_e32 v5, s19
	v_lshlrev_b32_e32 v2, 4, v11
	v_mov_b32_e32 v3, 0
	v_lshl_add_u64 v[12:13], s[0:1], 0, v[2:3]
	v_rcp_iflag_f32_e32 v5, v5
	v_lshlrev_b32_e32 v2, 1, v4
	v_lshl_add_u64 v[2:3], v[12:13], 0, v[2:3]
	s_sub_i32 s10, 0, s19
	v_mul_f32_e32 v5, 0x4f7ffffe, v5
	v_cvt_u32_f32_e32 v5, v5
	v_lshlrev_b32_e32 v13, 2, v11
	v_cmp_eq_u32_e32 vcc, 0, v4
	v_mul_u32_u24_e32 v12, 20, v4
	v_mul_lo_u32 v4, s10, v5
	s_lshl_b64 s[10:11], s[36:37], 2
	v_lshl_or_b32 v13, v7, 5, v13
	s_add_u32 s10, s34, s10
	v_add_u32_e32 v16, 0xb0, v13
	v_subrev_u32_e32 v13, s31, v11
	v_mbcnt_hi_u32_b32 v19, -1, v10
	v_mul_hi_u32 v4, v5, v4
	s_addc_u32 s11, s35, s11
	v_add_u32_e32 v17, 1, v13
	v_and_b32_e32 v13, 64, v19
	s_mov_b32 s53, s17
	v_cmp_neq_f32_e64 s[0:1], s52, 0
	v_add_u32_e32 v14, v5, v4
	v_lshl_add_u64 v[4:5], v[8:9], 2, s[10:11]
	v_lshl_add_u32 v15, v7, 3, s51
	s_mov_b64 s[44:45], 0
	v_mov_b32_e32 v18, 0xff7fffff
	v_add_u32_e32 v20, 64, v13
	v_xor_b32_e32 v21, 4, v19
	v_xor_b32_e32 v22, 2, v19
	;; [unrolled: 1-line block ×3, first 2 shown]
	v_mov_b32_e32 v13, 0xff7fffff
	v_mov_b32_e32 v24, v8
	s_branch .LBB67_14
.LBB67_12:                              ;   in Loop: Header=BB67_14 Depth=1
	s_or_b64 exec, exec, s[46:47]
.LBB67_13:                              ;   in Loop: Header=BB67_14 Depth=1
	s_or_b64 exec, exec, s[12:13]
	v_add_u32_e32 v24, 2, v24
	v_cmp_le_i32_e64 s[10:11], s50, v24
	v_lshl_add_u64 v[4:5], v[4:5], 0, 8
	v_add_u32_e32 v15, 16, v15
	s_or_b64 s[44:45], s[10:11], s[44:45]
	v_add_u32_e32 v16, 64, v16
	s_andn2_b64 exec, exec, s[44:45]
	s_cbranch_execz .LBB67_19
.LBB67_14:                              ; =>This Inner Loop Header: Depth=1
	s_waitcnt lgkmcnt(0)
	v_sub_u32_e32 v26, 0, v15
	v_max_i32_e32 v26, v15, v26
	v_mul_hi_u32 v27, v26, s48
	v_mul_lo_u32 v28, v27, s33
	v_sub_u32_e32 v26, v26, v28
	v_add_u32_e32 v28, 1, v27
	v_cmp_le_u32_e64 s[10:11], s33, v26
	v_ashrrev_i32_e32 v25, 31, v15
	v_xor_b32_e32 v25, s23, v25
	v_cndmask_b32_e64 v27, v27, v28, s[10:11]
	v_subrev_u32_e32 v28, s33, v26
	v_cndmask_b32_e64 v26, v26, v28, s[10:11]
	v_add_u32_e32 v28, 1, v27
	v_cmp_le_u32_e64 s[10:11], s33, v26
	s_nop 1
	v_cndmask_b32_e64 v26, v27, v28, s[10:11]
	v_xor_b32_e32 v26, v26, v25
	v_sub_u32_e32 v25, v26, v25
	v_add_u32_e32 v26, s49, v25
	v_sub_u32_e32 v28, 0, v26
	v_ashrrev_i32_e32 v27, 31, v26
	v_max_i32_e32 v26, v26, v28
	v_mul_hi_u32 v28, v26, v14
	v_mul_lo_u32 v28, v28, s19
	v_sub_u32_e32 v26, v26, v28
	v_subrev_u32_e32 v28, s19, v26
	v_cmp_le_u32_e64 s[10:11], s19, v26
	v_cmp_ge_i32_e64 s[12:13], s40, v25
	s_nop 0
	v_cndmask_b32_e64 v26, v26, v28, s[10:11]
	v_subrev_u32_e32 v28, s19, v26
	v_cmp_le_u32_e64 s[10:11], s19, v26
	s_nop 1
	v_cndmask_b32_e64 v26, v26, v28, s[10:11]
	v_xor_b32_e32 v26, v26, v27
	v_sub_u32_e32 v26, v26, v27
	v_cmp_ne_u32_e64 s[10:11], 0, v26
	s_and_b64 s[10:11], s[10:11], s[12:13]
	s_and_b64 s[46:47], vcc, s[10:11]
	s_and_saveexec_b64 s[12:13], s[46:47]
	s_cbranch_execz .LBB67_16
; %bb.15:                               ;   in Loop: Header=BB67_14 Depth=1
	ds_write_b32 v16, v18
.LBB67_16:                              ;   in Loop: Header=BB67_14 Depth=1
	s_or_b64 exec, exec, s[12:13]
	s_xor_b64 s[10:11], s[10:11], -1
	s_and_saveexec_b64 s[12:13], s[10:11]
	s_cbranch_execz .LBB67_13
; %bb.17:                               ;   in Loop: Header=BB67_14 Depth=1
	global_load_dword v25, v[4:5], off
	s_waitcnt vmcnt(0)
	v_mad_i64_i32 v[26:27], s[10:11], v25, s53, 0
	v_lshl_add_u64 v[26:27], v[26:27], 1, v[2:3]
	global_load_ushort v25, v[26:27], off
	global_load_ushort v28, v[26:27], off offset:128
	global_load_ushort v29, v[26:27], off offset:256
	global_load_ushort v30, v[26:27], off offset:384
	global_load_ushort v31, v[26:27], off offset:512
	global_load_ushort v32, v[26:27], off offset:640
	global_load_ushort v33, v[26:27], off offset:768
	global_load_ushort v34, v[26:27], off offset:896
	global_load_ushort v35, v[26:27], off offset:1024
	s_nop 0
	global_load_ushort v26, v[26:27], off offset:1152
	ds_read_u16 v27, v12
	s_waitcnt lgkmcnt(0)
	;;#ASMSTART
	v_cvt_f32_f16 v27, v27;
	;;#ASMEND
	v_cmp_lt_i32_e64 s[10:11], v21, v20
	s_waitcnt vmcnt(9)
	;;#ASMSTART
	v_cvt_f32_f16 v25, v25;
	;;#ASMEND
	ds_read_u16 v36, v12 offset:2
	s_waitcnt lgkmcnt(0)
	;;#ASMSTART
	v_cvt_f32_f16 v36, v36;
	;;#ASMEND
	s_waitcnt vmcnt(8)
	;;#ASMSTART
	v_cvt_f32_f16 v28, v28;
	;;#ASMEND
	ds_read_u16 v37, v12 offset:4
	v_mul_f32_e32 v28, v36, v28
	v_fmac_f32_e32 v28, v27, v25
	s_waitcnt lgkmcnt(0)
	;;#ASMSTART
	v_cvt_f32_f16 v37, v37;
	;;#ASMEND
	s_waitcnt vmcnt(7)
	;;#ASMSTART
	v_cvt_f32_f16 v29, v29;
	;;#ASMEND
	ds_read_u16 v38, v12 offset:6
	v_fmac_f32_e32 v28, v37, v29
	s_waitcnt lgkmcnt(0)
	;;#ASMSTART
	v_cvt_f32_f16 v38, v38;
	;;#ASMEND
	s_waitcnt vmcnt(6)
	;;#ASMSTART
	v_cvt_f32_f16 v30, v30;
	;;#ASMEND
	ds_read_u16 v39, v12 offset:8
	;; [unrolled: 10-line block ×5, first 2 shown]
	v_fmac_f32_e32 v28, v41, v33
	s_waitcnt lgkmcnt(0)
	;;#ASMSTART
	v_cvt_f32_f16 v36, v42;
	;;#ASMEND
	s_waitcnt vmcnt(2)
	;;#ASMSTART
	v_cvt_f32_f16 v34, v34;
	;;#ASMEND
	v_cndmask_b32_e64 v43, v19, v21, s[10:11]
	v_fmac_f32_e32 v28, v36, v34
	ds_read_u16 v42, v12 offset:16
	s_waitcnt lgkmcnt(0)
	;;#ASMSTART
	v_cvt_f32_f16 v25, v42;
	;;#ASMEND
	s_waitcnt vmcnt(1)
	;;#ASMSTART
	v_cvt_f32_f16 v27, v35;
	;;#ASMEND
	v_lshlrev_b32_e32 v43, 2, v43
	v_fmac_f32_e32 v28, v25, v27
	ds_read_u16 v29, v12 offset:18
	s_waitcnt lgkmcnt(0)
	;;#ASMSTART
	v_cvt_f32_f16 v25, v29;
	;;#ASMEND
	s_waitcnt vmcnt(0)
	;;#ASMSTART
	v_cvt_f32_f16 v26, v26;
	;;#ASMEND
	v_cmp_lt_i32_e64 s[10:11], v22, v20
	v_fmac_f32_e32 v28, v25, v26
	ds_bpermute_b32 v25, v43, v28
	v_cndmask_b32_e64 v26, v19, v22, s[10:11]
	v_lshlrev_b32_e32 v26, 2, v26
	v_cmp_lt_i32_e64 s[10:11], v23, v20
	s_waitcnt lgkmcnt(0)
	v_add_f32_e32 v25, v28, v25
	ds_bpermute_b32 v26, v26, v25
	v_cndmask_b32_e64 v27, v19, v23, s[10:11]
	s_waitcnt lgkmcnt(0)
	v_add_f32_e32 v25, v25, v26
	v_lshlrev_b32_e32 v26, 2, v27
	ds_bpermute_b32 v26, v26, v25
	s_and_saveexec_b64 s[46:47], vcc
	s_cbranch_execz .LBB67_12
; %bb.18:                               ;   in Loop: Header=BB67_14 Depth=1
	v_add_u32_e32 v27, v17, v15
	v_cvt_f32_i32_e32 v27, v27
	s_waitcnt lgkmcnt(0)
	v_add_f32_e32 v25, v25, v26
	v_add_u32_e32 v28, v11, v15
	v_cmp_gt_i32_e64 s[10:11], s31, v28
	v_mul_f32_e32 v26, s52, v27
	v_cndmask_b32_e64 v26, 0, v26, s[0:1]
	v_fmac_f32_e32 v26, s41, v25
	v_cndmask_b32_e64 v25, 0, v26, s[10:11]
	ds_write_b32 v16, v25
	v_max_f32_e32 v25, v13, v13
	v_max_f32_e32 v25, v25, v26
	v_cndmask_b32_e64 v13, v13, v25, s[10:11]
	s_branch .LBB67_12
.LBB67_19:
	s_or_b64 exec, exec, s[44:45]
.LBB67_20:
	s_or_b64 exec, exec, s[42:43]
	v_mbcnt_hi_u32_b32 v2, -1, v10
	v_and_b32_e32 v3, 64, v2
	v_add_u32_e32 v3, 64, v3
	v_xor_b32_e32 v4, 32, v2
	v_cmp_lt_i32_e32 vcc, v4, v3
	v_xor_b32_e32 v11, 16, v2
	v_max_f32_e32 v5, v13, v13
	v_cndmask_b32_e32 v4, v2, v4, vcc
	v_lshlrev_b32_e32 v10, 2, v4
	ds_bpermute_b32 v4, v10, v13
	v_cmp_lt_i32_e32 vcc, v11, v3
	v_and_b32_e32 v20, 63, v0
	s_waitcnt lgkmcnt(0)
	v_max_f32_e32 v4, v4, v4
	v_max_f32_e32 v4, v5, v4
	v_cndmask_b32_e32 v5, v2, v11, vcc
	v_lshlrev_b32_e32 v12, 2, v5
	ds_bpermute_b32 v5, v12, v4
	v_xor_b32_e32 v11, 8, v2
	v_cmp_lt_i32_e32 vcc, v11, v3
	s_waitcnt lgkmcnt(0)
	v_max_f32_e32 v5, v5, v5
	v_max_f32_e32 v4, v4, v5
	v_cndmask_b32_e32 v5, v2, v11, vcc
	v_lshlrev_b32_e32 v13, 2, v5
	ds_bpermute_b32 v11, v13, v4
	v_cmp_eq_u32_e32 vcc, 0, v20
	v_lshlrev_b32_e32 v5, 2, v7
	s_and_saveexec_b64 s[0:1], vcc
	s_cbranch_execz .LBB67_22
; %bb.21:
	s_waitcnt lgkmcnt(0)
	v_max_f32_e32 v11, v11, v11
	v_max_f32_e32 v4, v4, v4
	;; [unrolled: 1-line block ×3, first 2 shown]
	ds_write_b32 v5, v4 offset:160
.LBB67_22:
	s_or_b64 exec, exec, s[0:1]
	v_cmp_gt_u32_e64 s[0:1], 2, v20
	v_mov_b32_e32 v4, 0xff7fffff
	s_waitcnt lgkmcnt(0)
	v_lshlrev_b32_e32 v11, 2, v20
	s_barrier
	s_and_saveexec_b64 s[10:11], s[0:1]
	s_cbranch_execz .LBB67_24
; %bb.23:
	ds_read_b32 v4, v11 offset:160
.LBB67_24:
	s_or_b64 exec, exec, s[10:11]
	v_xor_b32_e32 v14, 1, v2
	v_cmp_lt_i32_e64 s[10:11], v14, v3
	v_mov_b32_e32 v16, 0
	s_nop 0
	v_cndmask_b32_e64 v14, v2, v14, s[10:11]
	v_lshlrev_b32_e32 v14, 2, v14
	s_waitcnt lgkmcnt(0)
	ds_bpermute_b32 v15, v14, v4
	v_max_f32_e32 v4, v4, v4
	s_sub_i32 s10, s50, s20
	s_lshl_b32 s10, s10, 3
	s_add_i32 s10, s10, s51
	s_waitcnt lgkmcnt(0)
	v_max_f32_e32 v15, v15, v15
	v_max_f32_e32 v4, v4, v15
	v_lshlrev_b32_e32 v15, 2, v2
	v_and_b32_e32 v15, 0x100, v15
	ds_bpermute_b32 v4, v15, v4
	s_min_i32 s20, s10, s31
	s_sub_i32 s19, s20, s51
	v_cmp_gt_i32_e64 s[10:11], s19, v0
	s_and_saveexec_b64 s[40:41], s[10:11]
	s_cbranch_execz .LBB67_28
; %bb.25:
	v_mov_b32_e32 v16, 0xb0
	v_lshl_add_u32 v17, v0, 2, v16
	s_mov_b64 s[42:43], 0
	v_mov_b32_e32 v16, 0
	v_mov_b32_e32 v18, v0
.LBB67_26:                              ; =>This Inner Loop Header: Depth=1
	ds_read_b32 v19, v17
	v_add_u32_e32 v18, 0x80, v18
	v_cmp_le_i32_e64 s[12:13], s19, v18
	s_or_b64 s[42:43], s[12:13], s[42:43]
	s_waitcnt lgkmcnt(0)
	v_sub_f32_e32 v19, v19, v4
	v_mul_f32_e32 v19, 0x3fb8aa3b, v19
	v_exp_f32_e32 v19, v19
	ds_write_b32 v17, v19
	v_add_f32_e32 v16, v16, v19
	v_add_u32_e32 v17, 0x200, v17
	s_andn2_b64 exec, exec, s[42:43]
	s_cbranch_execnz .LBB67_26
; %bb.27:
	s_or_b64 exec, exec, s[42:43]
.LBB67_28:
	s_or_b64 exec, exec, s[40:41]
	ds_bpermute_b32 v10, v10, v16
	s_waitcnt lgkmcnt(0)
	v_add_f32_e32 v10, v16, v10
	ds_bpermute_b32 v12, v12, v10
	s_waitcnt lgkmcnt(0)
	v_add_f32_e32 v10, v10, v12
	ds_bpermute_b32 v12, v13, v10
	v_xor_b32_e32 v13, 4, v2
	v_cmp_lt_i32_e64 s[12:13], v13, v3
	s_waitcnt lgkmcnt(0)
	v_add_f32_e32 v10, v10, v12
	v_cndmask_b32_e64 v13, v2, v13, s[12:13]
	v_lshlrev_b32_e32 v13, 2, v13
	ds_bpermute_b32 v12, v13, v10
	v_xor_b32_e32 v13, 2, v2
	v_cmp_lt_i32_e64 s[12:13], v13, v3
	s_waitcnt lgkmcnt(0)
	v_add_f32_e32 v3, v10, v12
	v_cndmask_b32_e64 v2, v2, v13, s[12:13]
	v_lshlrev_b32_e32 v2, 2, v2
	ds_bpermute_b32 v2, v2, v3
	s_waitcnt lgkmcnt(0)
	v_add_f32_e32 v2, v3, v2
	ds_bpermute_b32 v3, v14, v2
	s_waitcnt lgkmcnt(0)
	v_add_f32_e32 v2, v2, v3
	s_and_saveexec_b64 s[12:13], vcc
	s_cbranch_execz .LBB67_30
; %bb.29:
	ds_write_b32 v5, v2 offset:168
.LBB67_30:
	s_or_b64 exec, exec, s[12:13]
	s_waitcnt lgkmcnt(0)
	s_barrier
	s_and_saveexec_b64 s[12:13], s[0:1]
	s_cbranch_execz .LBB67_32
; %bb.31:
	ds_read_b32 v2, v11 offset:168
.LBB67_32:
	s_or_b64 exec, exec, s[12:13]
	s_waitcnt lgkmcnt(0)
	ds_bpermute_b32 v3, v14, v2
	s_waitcnt lgkmcnt(0)
	v_add_f32_e32 v2, v2, v3
	ds_bpermute_b32 v5, v15, v2
	s_and_saveexec_b64 s[0:1], s[10:11]
	s_cbranch_execz .LBB67_45
; %bb.33:
	s_waitcnt lgkmcnt(0)
	v_add_f32_e32 v2, 0x358637bd, v5
	v_div_scale_f32 v3, s[10:11], v2, v2, 1.0
	v_rcp_f32_e32 v10, v3
	v_div_scale_f32 v11, vcc, 1.0, v2, 1.0
	s_movk_i32 s10, 0x7f
	v_fma_f32 v12, -v3, v10, 1.0
	v_fmac_f32_e32 v10, v12, v10
	v_mul_f32_e32 v12, v11, v10
	v_fma_f32 v13, -v3, v12, v11
	v_fmac_f32_e32 v12, v13, v10
	v_fma_f32 v3, -v3, v12, v11
	v_div_fmas_f32 v3, v3, v10, v12
	v_div_fixup_f32 v2, v3, v2, 1.0
	v_xad_u32 v3, v0, -1, s20
	v_subrev_u32_e32 v10, s51, v3
	v_cmp_lt_u32_e32 vcc, s10, v10
	s_mov_b64 s[12:13], -1
	v_mov_b32_e32 v3, v0
	s_and_saveexec_b64 s[10:11], vcc
	s_cbranch_execz .LBB67_42
; %bb.34:
	v_lshrrev_b32_e32 v10, 7, v10
	v_add_u32_e32 v12, -1, v10
	v_lshrrev_b32_e32 v11, 1, v12
	v_mov_b32_e32 v3, v2
	v_add_u32_e32 v11, 1, v11
	v_cmp_lt_u32_e32 vcc, 13, v12
	v_mov_b32_e32 v14, 0
	s_and_saveexec_b64 s[12:13], vcc
	s_cbranch_execz .LBB67_38
; %bb.35:
	v_mov_b32_e32 v13, 0xb0
	v_and_b32_e32 v12, -8, v11
	v_lshl_add_u32 v13, v0, 2, v13
	s_mov_b32 s20, 0
	s_mov_b64 s[40:41], 0
.LBB67_36:                              ; =>This Inner Loop Header: Depth=1
	ds_read2st64_b32 v[14:15], v13 offset1:2
	ds_read2st64_b32 v[16:17], v13 offset0:4 offset1:6
	ds_read2st64_b32 v[18:19], v13 offset0:8 offset1:10
	ds_read2st64_b32 v[22:23], v13 offset0:12 offset1:14
	v_add_u32_e32 v12, -8, v12
	s_waitcnt lgkmcnt(3)
	v_pk_mul_f32 v[14:15], v[2:3], v[14:15]
	s_waitcnt lgkmcnt(2)
	v_pk_mul_f32 v[16:17], v[2:3], v[16:17]
	ds_write2st64_b32 v13, v14, v15 offset1:2
	ds_write2st64_b32 v13, v16, v17 offset0:4 offset1:6
	ds_read2st64_b32 v[16:17], v13 offset0:16 offset1:18
	s_waitcnt lgkmcnt(4)
	v_pk_mul_f32 v[14:15], v[2:3], v[18:19]
	ds_write2st64_b32 v13, v14, v15 offset0:8 offset1:10
	s_waitcnt lgkmcnt(4)
	v_pk_mul_f32 v[14:15], v[2:3], v[22:23]
	ds_write2st64_b32 v13, v14, v15 offset0:12 offset1:14
	ds_read2st64_b32 v[14:15], v13 offset0:20 offset1:22
	s_waitcnt lgkmcnt(3)
	v_pk_mul_f32 v[16:17], v[2:3], v[16:17]
	ds_read2st64_b32 v[18:19], v13 offset0:24 offset1:26
	ds_write2st64_b32 v13, v16, v17 offset0:16 offset1:18
	ds_read2st64_b32 v[16:17], v13 offset0:28 offset1:30
	s_waitcnt lgkmcnt(3)
	v_pk_mul_f32 v[14:15], v[2:3], v[14:15]
	ds_write2st64_b32 v13, v14, v15 offset0:20 offset1:22
	s_waitcnt lgkmcnt(3)
	v_pk_mul_f32 v[14:15], v[2:3], v[18:19]
	ds_write2st64_b32 v13, v14, v15 offset0:24 offset1:26
	s_waitcnt lgkmcnt(2)
	v_pk_mul_f32 v[14:15], v[2:3], v[16:17]
	s_add_i32 s20, s20, 16
	v_cmp_eq_u32_e32 vcc, 0, v12
	ds_write2st64_b32 v13, v14, v15 offset0:28 offset1:30
	v_add_u32_e32 v13, 0x2000, v13
	s_or_b64 s[40:41], vcc, s[40:41]
	v_mov_b32_e32 v14, s20
	s_andn2_b64 exec, exec, s[40:41]
	s_cbranch_execnz .LBB67_36
; %bb.37:
	s_or_b64 exec, exec, s[40:41]
.LBB67_38:
	s_or_b64 exec, exec, s[12:13]
	v_and_b32_e32 v11, 7, v11
	v_cmp_ne_u32_e32 vcc, 0, v11
	s_and_saveexec_b64 s[12:13], vcc
	s_cbranch_execz .LBB67_41
; %bb.39:
	v_lshlrev_b32_e32 v12, 9, v14
	v_lshlrev_b32_e32 v13, 2, v0
	s_movk_i32 s20, 0xb0
	v_add3_u32 v12, v12, v13, s20
	s_mov_b64 s[40:41], 0
.LBB67_40:                              ; =>This Inner Loop Header: Depth=1
	ds_read2st64_b32 v[14:15], v12 offset1:2
	v_add_u32_e32 v11, -1, v11
	v_cmp_eq_u32_e32 vcc, 0, v11
	s_or_b64 s[40:41], vcc, s[40:41]
	s_waitcnt lgkmcnt(0)
	v_pk_mul_f32 v[14:15], v[2:3], v[14:15]
	ds_write2st64_b32 v12, v14, v15 offset1:2
	v_add_u32_e32 v12, 0x400, v12
	s_andn2_b64 exec, exec, s[40:41]
	s_cbranch_execnz .LBB67_40
.LBB67_41:
	s_or_b64 exec, exec, s[12:13]
	v_add_u32_e32 v10, 1, v10
	v_and_b32_e32 v11, 0x3fffffe, v10
	v_cmp_ne_u32_e32 vcc, v10, v11
	v_lshl_add_u32 v3, v11, 7, v0
	s_orn2_b64 s[12:13], vcc, exec
.LBB67_42:
	s_or_b64 exec, exec, s[10:11]
	s_and_b64 exec, exec, s[12:13]
	s_cbranch_execz .LBB67_45
; %bb.43:
	v_mov_b32_e32 v10, 0xb0
	v_lshl_add_u32 v10, v3, 2, v10
	s_mov_b64 s[10:11], 0
.LBB67_44:                              ; =>This Inner Loop Header: Depth=1
	ds_read_b32 v11, v10
	v_add_u32_e32 v3, 0x80, v3
	v_cmp_le_i32_e32 vcc, s19, v3
	s_or_b64 s[10:11], vcc, s[10:11]
	s_waitcnt lgkmcnt(0)
	v_mul_f32_e32 v11, v2, v11
	ds_write_b32 v10, v11
	v_add_u32_e32 v10, 0x200, v10
	s_andn2_b64 exec, exec, s[10:11]
	s_cbranch_execnz .LBB67_44
.LBB67_45:
	s_or_b64 exec, exec, s[0:1]
	s_mul_i32 s1, s15, s30
	s_mov_b32 s0, 0
	v_cmp_eq_u32_e32 vcc, 0, v0
	s_mul_i32 s10, s1, s5
	s_waitcnt lgkmcnt(0)
	s_barrier
	s_and_saveexec_b64 s[12:13], vcc
	s_cbranch_execz .LBB67_47
; %bb.46:
	s_ashr_i32 s11, s10, 31
	s_lshl_b64 s[40:41], s[10:11], 2
	s_add_u32 s1, s26, s40
	s_mul_i32 s26, s15, s2
	s_addc_u32 s5, s27, s41
	s_ashr_i32 s27, s26, 31
	s_lshl_b64 s[26:27], s[26:27], 2
	s_add_u32 s1, s1, s26
	s_addc_u32 s2, s5, s27
	s_ashr_i32 s5, s4, 31
	s_lshl_b64 s[42:43], s[4:5], 2
	s_add_u32 s44, s1, s42
	s_addc_u32 s45, s2, s43
	s_add_u32 s1, s24, s40
	s_addc_u32 s2, s25, s41
	;; [unrolled: 2-line block ×3, first 2 shown]
	s_add_u32 s24, s1, s42
	v_mov_b32_e32 v2, 0
	s_addc_u32 s25, s2, s43
	global_store_dword v2, v4, s[44:45]
	global_store_dword v2, v5, s[24:25]
.LBB67_47:
	s_or_b64 exec, exec, s[12:13]
	s_mov_b32 s1, s0
	v_mov_b64_e32 v[10:11], s[0:1]
	s_and_saveexec_b64 s[12:13], s[6:7]
	s_cbranch_execz .LBB67_59
; %bb.48:
	s_ashr_i32 s19, s18, 31
	s_sub_i32 s5, s16, s21
	s_lshl_b64 s[0:1], s[18:19], 1
	s_add_u32 s6, s38, s0
	s_addc_u32 s7, s39, s1
	s_abs_i32 s22, s22
	v_cvt_f32_u32_e32 v5, s22
	v_or_b32_e32 v3, 64, v20
	s_movk_i32 s1, 0x50
	v_cmp_gt_u32_e32 vcc, s1, v3
	v_lshlrev_b32_e32 v4, 3, v3
	v_rcp_iflag_f32_e32 v3, v5
	s_sub_i32 s1, 0, s22
	s_add_i32 s24, s3, -1
	s_lshl_b64 s[2:3], s[36:37], 2
	v_mul_f32_e32 v3, 0x4f7ffffe, v3
	v_cvt_u32_f32_e32 v3, v3
	s_mov_b32 s0, 0
	s_add_u32 s2, s34, s2
	v_lshlrev_b32_e32 v2, 3, v20
	v_mul_lo_u32 v5, s1, v3
	v_mul_hi_u32 v5, v3, v5
	v_add_u32_e32 v21, v3, v5
	s_addc_u32 s3, s35, s3
	v_mov_b32_e32 v3, 0xb0
	s_mov_b32 s1, s0
	s_mov_b32 s11, s17
	v_mov_b32_e32 v13, 0
	s_mov_b32 s25, s31
	s_mov_b32 s26, s31
	;; [unrolled: 1-line block ×7, first 2 shown]
	v_lshl_add_u64 v[14:15], v[8:9], 2, s[2:3]
	v_lshl_add_u32 v7, v7, 5, v3
	s_mov_b64 s[16:17], 0
	v_mov_b64_e32 v[10:11], s[0:1]
	v_lshlrev_b32_e32 v12, 1, v2
	s_mov_b32 s34, 0x5040100
	v_lshlrev_b32_e32 v16, 1, v4
	s_branch .LBB67_52
.LBB67_49:                              ;   in Loop: Header=BB67_52 Depth=1
	s_or_b64 exec, exec, s[20:21]
	s_waitcnt vmcnt(0)
	;;#ASMSTART
	v_pk_mul_f16 v2, v24, v2;

	;;#ASMEND
	;;#ASMSTART
	v_pk_mul_f16 v3, v23, v3;

	;;#ASMEND
	;; [unrolled: 4-line block ×4, first 2 shown]
	s_nop 0
	;;#ASMSTART
	v_pk_add_f16 v2, v2, v3;

	;;#ASMEND
	s_nop 0
	;;#ASMSTART
	v_pk_add_f16 v2, v2, v4;

	;;#ASMEND
	;; [unrolled: 5-line block ×3, first 2 shown]
	s_nop 0
	v_lshrrev_b32_e32 v3, 16, v2
	v_and_b32_e32 v2, 0xffff, v2
	;;#ASMSTART
	v_cvt_f32_f16 v2, v2;
	;;#ASMEND
	;;#ASMSTART
	v_cvt_f32_f16 v3, v3;
	;;#ASMEND
	s_nop 0
	v_add_f32_e32 v2, v2, v3
	v_add_f32_e32 v11, v11, v2
.LBB67_50:                              ;   in Loop: Header=BB67_52 Depth=1
	s_or_b64 exec, exec, s[2:3]
.LBB67_51:                              ;   in Loop: Header=BB67_52 Depth=1
	s_or_b64 exec, exec, s[18:19]
	v_add_u32_e32 v8, 2, v8
	v_cmp_le_i32_e64 s[0:1], s50, v8
	v_lshl_add_u64 v[14:15], v[14:15], 0, 8
	v_add_u32_e32 v1, 16, v1
	s_or_b64 s[16:17], s[0:1], s[16:17]
	v_add_u32_e32 v7, 64, v7
	s_andn2_b64 exec, exec, s[16:17]
	s_cbranch_execz .LBB67_58
.LBB67_52:                              ; =>This Inner Loop Header: Depth=1
	v_sub_u32_e32 v3, 0, v1
	v_max_i32_e32 v3, v1, v3
	v_mul_hi_u32 v4, v3, s48
	v_mul_lo_u32 v5, v4, s33
	v_sub_u32_e32 v3, v3, v5
	v_add_u32_e32 v5, 1, v4
	v_cmp_le_u32_e64 s[0:1], s33, v3
	v_ashrrev_i32_e32 v2, 31, v1
	v_xor_b32_e32 v2, s23, v2
	v_cndmask_b32_e64 v4, v4, v5, s[0:1]
	v_subrev_u32_e32 v5, s33, v3
	v_cndmask_b32_e64 v3, v3, v5, s[0:1]
	v_add_u32_e32 v5, 1, v4
	v_cmp_le_u32_e64 s[0:1], s33, v3
	s_nop 1
	v_cndmask_b32_e64 v3, v4, v5, s[0:1]
	v_xor_b32_e32 v3, v3, v2
	v_sub_u32_e32 v2, v3, v2
	v_add_u32_e32 v3, s49, v2
	v_sub_u32_e32 v5, 0, v3
	v_ashrrev_i32_e32 v4, 31, v3
	v_max_i32_e32 v3, v3, v5
	v_mul_hi_u32 v5, v3, v21
	v_mul_lo_u32 v5, v5, s22
	v_sub_u32_e32 v3, v3, v5
	v_subrev_u32_e32 v5, s22, v3
	v_cmp_le_u32_e64 s[0:1], s22, v3
	v_cmp_lt_i32_e64 s[2:3], s5, v2
	s_nop 0
	v_cndmask_b32_e64 v3, v3, v5, s[0:1]
	v_subrev_u32_e32 v5, s22, v3
	v_cmp_le_u32_e64 s[0:1], s22, v3
	s_nop 1
	v_cndmask_b32_e64 v3, v3, v5, s[0:1]
	v_xor_b32_e32 v3, v3, v4
	v_sub_u32_e32 v3, v3, v4
	v_cmp_eq_u32_e64 s[0:1], 0, v3
	s_or_b64 s[0:1], s[0:1], s[2:3]
	s_and_saveexec_b64 s[18:19], s[0:1]
	s_cbranch_execz .LBB67_51
; %bb.53:                               ;   in Loop: Header=BB67_52 Depth=1
	global_load_dword v18, v[14:15], off
	ds_read2_b64 v[2:5], v7 offset1:1
	ds_read2_b64 v[26:29], v7 offset0:2 offset1:3
	s_waitcnt lgkmcnt(1)
	;;#ASMSTART
	v_cvt_f16_f32 v9, v2;

	;;#ASMEND
	;;#ASMSTART
	v_cvt_f16_f32 v17, v3;

	;;#ASMEND
	;; [unrolled: 4-line block ×4, first 2 shown]
	s_waitcnt lgkmcnt(0)
	;;#ASMSTART
	v_cvt_f16_f32 v25, v26;

	;;#ASMEND
	;;#ASMSTART
	v_cvt_f16_f32 v26, v27;

	;;#ASMEND
	;; [unrolled: 4-line block ×4, first 2 shown]
	s_waitcnt vmcnt(0)
	v_mad_i64_i32 v[2:3], s[0:1], v18, s11, 0
	v_lshl_add_u64 v[18:19], v[2:3], 1, s[6:7]
	v_lshl_add_u64 v[2:3], v[18:19], 0, v[12:13]
	global_load_dwordx4 v[2:5], v[2:3], off
	v_cmp_eq_u32_e64 s[0:1], s24, v8
	s_and_saveexec_b64 s[20:21], s[0:1]
	s_cbranch_execz .LBB67_55
; %bb.54:                               ;   in Loop: Header=BB67_52 Depth=1
	v_or_b32_e32 v33, 7, v1
	v_or_b32_e32 v34, 6, v1
	s_waitcnt vmcnt(0)
	v_lshrrev_b32_e32 v35, 16, v5
	v_cmp_gt_i32_e64 s[2:3], s40, v33
	v_or_b32_e32 v31, 5, v1
	v_or_b32_e32 v32, 4, v1
	v_cndmask_b32_e64 v33, 0, v35, s[2:3]
	v_cmp_gt_i32_e64 s[2:3], s39, v34
	v_or_b32_e32 v29, 3, v1
	v_or_b32_e32 v30, 2, v1
	v_cndmask_b32_e64 v5, 0, v5, s[2:3]
	v_perm_b32 v5, v33, v5, s34
	v_lshrrev_b32_e32 v33, 16, v4
	v_cmp_gt_i32_e64 s[2:3], s38, v31
	v_add_u32_e32 v24, 1, v1
	s_nop 0
	v_cndmask_b32_e64 v31, 0, v33, s[2:3]
	v_cmp_gt_i32_e64 s[2:3], s30, v32
	s_nop 1
	v_cndmask_b32_e64 v4, 0, v4, s[2:3]
	v_perm_b32 v4, v31, v4, s34
	v_lshrrev_b32_e32 v31, 16, v3
	v_cmp_gt_i32_e64 s[2:3], s27, v29
	s_nop 1
	v_cndmask_b32_e64 v29, 0, v31, s[2:3]
	v_cmp_gt_i32_e64 s[2:3], s26, v30
	s_nop 1
	v_cndmask_b32_e64 v3, 0, v3, s[2:3]
	v_perm_b32 v3, v29, v3, s34
	v_lshrrev_b32_e32 v29, 16, v2
	v_cmp_gt_i32_e64 s[2:3], s25, v24
	s_nop 1
	v_cndmask_b32_e64 v24, 0, v29, s[2:3]
	v_cmp_gt_i32_e64 s[2:3], s31, v1
	s_nop 1
	v_cndmask_b32_e64 v2, 0, v2, s[2:3]
	v_perm_b32 v2, v24, v2, s34
.LBB67_55:                              ;   in Loop: Header=BB67_52 Depth=1
	s_or_b64 exec, exec, s[20:21]
	v_and_b32_e32 v9, 0xffff, v9
	v_lshl_or_b32 v24, v17, 16, v9
	v_and_b32_e32 v9, 0xffff, v22
	v_lshl_or_b32 v23, v23, 16, v9
	;; [unrolled: 2-line block ×3, first 2 shown]
	v_and_b32_e32 v9, 0xffff, v27
	s_waitcnt vmcnt(0)
	;;#ASMSTART
	v_pk_mul_f16 v2, v24, v2;

	;;#ASMEND
	v_lshl_or_b32 v9, v28, 16, v9
	;;#ASMSTART
	v_pk_mul_f16 v3, v23, v3;

	;;#ASMEND
	;;#ASMSTART
	v_pk_mul_f16 v4, v22, v4;

	;;#ASMEND
	;; [unrolled: 4-line block ×3, first 2 shown]
	s_nop 0
	;;#ASMSTART
	v_pk_add_f16 v2, v2, v3;

	;;#ASMEND
	s_nop 0
	;;#ASMSTART
	v_pk_add_f16 v2, v2, v4;

	;;#ASMEND
	;; [unrolled: 5-line block ×3, first 2 shown]
	s_nop 0
	v_lshrrev_b32_e32 v3, 16, v2
	v_and_b32_e32 v2, 0xffff, v2
	;;#ASMSTART
	v_cvt_f32_f16 v2, v2;
	;;#ASMEND
	;;#ASMSTART
	v_cvt_f32_f16 v3, v3;
	;;#ASMEND
	s_nop 0
	v_add_f32_e32 v2, v2, v3
	v_add_f32_e32 v10, v10, v2
	s_and_saveexec_b64 s[2:3], vcc
	s_cbranch_execz .LBB67_50
; %bb.56:                               ;   in Loop: Header=BB67_52 Depth=1
	v_mov_b32_e32 v17, v13
	v_lshl_add_u64 v[2:3], v[18:19], 0, v[16:17]
	global_load_dwordx4 v[2:5], v[2:3], off
	s_and_saveexec_b64 s[20:21], s[0:1]
	s_cbranch_execz .LBB67_49
; %bb.57:                               ;   in Loop: Header=BB67_52 Depth=1
	v_or_b32_e32 v27, 7, v1
	v_or_b32_e32 v28, 6, v1
	s_waitcnt vmcnt(0)
	v_lshrrev_b32_e32 v29, 16, v5
	v_cmp_gt_i32_e64 s[0:1], s40, v27
	v_or_b32_e32 v25, 5, v1
	v_or_b32_e32 v26, 4, v1
	v_cndmask_b32_e64 v27, 0, v29, s[0:1]
	v_cmp_gt_i32_e64 s[0:1], s39, v28
	v_or_b32_e32 v18, 3, v1
	v_or_b32_e32 v19, 2, v1
	v_cndmask_b32_e64 v5, 0, v5, s[0:1]
	v_perm_b32 v5, v27, v5, s34
	v_lshrrev_b32_e32 v27, 16, v4
	v_cmp_gt_i32_e64 s[0:1], s38, v25
	v_add_u32_e32 v17, 1, v1
	s_nop 0
	v_cndmask_b32_e64 v25, 0, v27, s[0:1]
	v_cmp_gt_i32_e64 s[0:1], s30, v26
	s_nop 1
	v_cndmask_b32_e64 v4, 0, v4, s[0:1]
	v_perm_b32 v4, v25, v4, s34
	v_lshrrev_b32_e32 v25, 16, v3
	v_cmp_gt_i32_e64 s[0:1], s27, v18
	s_nop 1
	v_cndmask_b32_e64 v18, 0, v25, s[0:1]
	v_cmp_gt_i32_e64 s[0:1], s26, v19
	s_nop 1
	v_cndmask_b32_e64 v3, 0, v3, s[0:1]
	v_perm_b32 v3, v18, v3, s34
	v_lshrrev_b32_e32 v18, 16, v2
	v_cmp_gt_i32_e64 s[0:1], s25, v17
	s_nop 1
	v_cndmask_b32_e64 v17, 0, v18, s[0:1]
	v_cmp_gt_i32_e64 s[0:1], s31, v1
	s_nop 1
	v_cndmask_b32_e64 v2, 0, v2, s[0:1]
	v_perm_b32 v2, v17, v2, s34
	s_branch .LBB67_49
.LBB67_58:
	s_or_b64 exec, exec, s[16:17]
.LBB67_59:
	s_or_b64 exec, exec, s[12:13]
	v_and_b32_e32 v1, 0x3c0, v0
	v_cmp_eq_u32_e32 vcc, 64, v1
	s_barrier
	s_and_saveexec_b64 s[0:1], vcc
	s_cbranch_execz .LBB67_62
; %bb.60:
	v_mov_b32_e32 v1, 0xb0
	v_lshl_add_u32 v2, v20, 2, v1
	ds_write_b32 v2, v10
	s_and_b64 exec, exec, s[8:9]
	s_cbranch_execz .LBB67_62
; %bb.61:
	v_lshl_add_u32 v1, v0, 2, v1
	ds_write_b32 v1, v11
.LBB67_62:
	s_or_b64 exec, exec, s[0:1]
	v_cmp_gt_u32_e32 vcc, 64, v0
	v_or_b32_e32 v1, 64, v0
	s_waitcnt lgkmcnt(0)
	s_barrier
	s_and_saveexec_b64 s[2:3], vcc
	s_cbranch_execz .LBB67_66
; %bb.63:
	v_mov_b32_e32 v2, 0xb0
	v_lshl_add_u32 v0, v0, 2, v2
	ds_read_b32 v2, v0
	s_movk_i32 s0, 0x50
	v_cmp_gt_u32_e64 s[0:1], s0, v1
	s_waitcnt lgkmcnt(0)
	v_add_f32_e32 v10, v10, v2
	s_and_saveexec_b64 s[6:7], s[0:1]
	s_cbranch_execz .LBB67_65
; %bb.64:
	ds_read_b32 v0, v0 offset:256
	s_waitcnt lgkmcnt(0)
	v_add_f32_e32 v11, v11, v0
.LBB67_65:
	s_or_b64 exec, exec, s[6:7]
.LBB67_66:
	s_or_b64 exec, exec, s[2:3]
	s_barrier
	s_and_saveexec_b64 s[0:1], vcc
	s_cbranch_execz .LBB67_69
; %bb.67:
	s_mul_i32 s0, s10, 0x50
	s_ashr_i32 s1, s0, 31
	s_lshl_b64 s[0:1], s[0:1], 1
	s_add_u32 s3, s28, s0
	s_mul_i32 s0, s15, s14
	s_addc_u32 s5, s29, s1
	s_ashr_i32 s1, s0, 31
	s_lshl_b64 s[0:1], s[0:1], 1
	s_add_u32 s3, s3, s0
	s_mul_i32 s0, s4, 0x50
	s_addc_u32 s5, s5, s1
	s_ashr_i32 s1, s0, 31
	s_lshl_b64 s[0:1], s[0:1], 1
	s_movk_i32 s2, 0x50
	s_add_u32 s0, s3, s0
	s_addc_u32 s1, s5, s1
	v_cmp_gt_u32_e32 vcc, s2, v1
	;;#ASMSTART
	v_cvt_f16_f32 v0, v10;

	;;#ASMEND
	global_store_short v6, v0, s[0:1]
	s_and_b64 exec, exec, vcc
	s_cbranch_execz .LBB67_69
; %bb.68:
	v_mov_b32_e32 v7, 0
	v_lshl_add_u64 v[0:1], s[0:1], 0, v[6:7]
	;;#ASMSTART
	v_cvt_f16_f32 v2, v11;

	;;#ASMEND
	global_store_short v[0:1], v2, off offset:128
.LBB67_69:
	s_endpgm
	.section	.rodata,"a",@progbits
	.p2align	6, 0x0
	.amdhsa_kernel _ZN4vllm25paged_attention_v2_kernelIttLi80ELi8ELi128ELNS_18Fp8KVCacheDataTypeE0ELb1ELi512EEEvPfS2_PT_PKS3_PKT0_S9_ifPKiSB_iPKfiiiSD_SD_iiiii
		.amdhsa_group_segment_fixed_size 176
		.amdhsa_private_segment_fixed_size 0
		.amdhsa_kernarg_size 400
		.amdhsa_user_sgpr_count 2
		.amdhsa_user_sgpr_dispatch_ptr 0
		.amdhsa_user_sgpr_queue_ptr 0
		.amdhsa_user_sgpr_kernarg_segment_ptr 1
		.amdhsa_user_sgpr_dispatch_id 0
		.amdhsa_user_sgpr_kernarg_preload_length 0
		.amdhsa_user_sgpr_kernarg_preload_offset 0
		.amdhsa_user_sgpr_private_segment_size 0
		.amdhsa_uses_dynamic_stack 0
		.amdhsa_enable_private_segment 0
		.amdhsa_system_sgpr_workgroup_id_x 1
		.amdhsa_system_sgpr_workgroup_id_y 1
		.amdhsa_system_sgpr_workgroup_id_z 1
		.amdhsa_system_sgpr_workgroup_info 0
		.amdhsa_system_vgpr_workitem_id 0
		.amdhsa_next_free_vgpr 44
		.amdhsa_next_free_sgpr 54
		.amdhsa_accum_offset 44
		.amdhsa_reserve_vcc 1
		.amdhsa_float_round_mode_32 0
		.amdhsa_float_round_mode_16_64 0
		.amdhsa_float_denorm_mode_32 3
		.amdhsa_float_denorm_mode_16_64 3
		.amdhsa_dx10_clamp 1
		.amdhsa_ieee_mode 1
		.amdhsa_fp16_overflow 0
		.amdhsa_tg_split 0
		.amdhsa_exception_fp_ieee_invalid_op 0
		.amdhsa_exception_fp_denorm_src 0
		.amdhsa_exception_fp_ieee_div_zero 0
		.amdhsa_exception_fp_ieee_overflow 0
		.amdhsa_exception_fp_ieee_underflow 0
		.amdhsa_exception_fp_ieee_inexact 0
		.amdhsa_exception_int_div_zero 0
	.end_amdhsa_kernel
	.section	.text._ZN4vllm25paged_attention_v2_kernelIttLi80ELi8ELi128ELNS_18Fp8KVCacheDataTypeE0ELb1ELi512EEEvPfS2_PT_PKS3_PKT0_S9_ifPKiSB_iPKfiiiSD_SD_iiiii,"axG",@progbits,_ZN4vllm25paged_attention_v2_kernelIttLi80ELi8ELi128ELNS_18Fp8KVCacheDataTypeE0ELb1ELi512EEEvPfS2_PT_PKS3_PKT0_S9_ifPKiSB_iPKfiiiSD_SD_iiiii,comdat
.Lfunc_end67:
	.size	_ZN4vllm25paged_attention_v2_kernelIttLi80ELi8ELi128ELNS_18Fp8KVCacheDataTypeE0ELb1ELi512EEEvPfS2_PT_PKS3_PKT0_S9_ifPKiSB_iPKfiiiSD_SD_iiiii, .Lfunc_end67-_ZN4vllm25paged_attention_v2_kernelIttLi80ELi8ELi128ELNS_18Fp8KVCacheDataTypeE0ELb1ELi512EEEvPfS2_PT_PKS3_PKT0_S9_ifPKiSB_iPKfiiiSD_SD_iiiii
                                        ; -- End function
	.section	.AMDGPU.csdata,"",@progbits
; Kernel info:
; codeLenInByte = 5300
; NumSgprs: 60
; NumVgprs: 44
; NumAgprs: 0
; TotalNumVgprs: 44
; ScratchSize: 0
; MemoryBound: 0
; FloatMode: 240
; IeeeMode: 1
; LDSByteSize: 176 bytes/workgroup (compile time only)
; SGPRBlocks: 7
; VGPRBlocks: 5
; NumSGPRsForWavesPerEU: 60
; NumVGPRsForWavesPerEU: 44
; AccumOffset: 44
; Occupancy: 8
; WaveLimiterHint : 1
; COMPUTE_PGM_RSRC2:SCRATCH_EN: 0
; COMPUTE_PGM_RSRC2:USER_SGPR: 2
; COMPUTE_PGM_RSRC2:TRAP_HANDLER: 0
; COMPUTE_PGM_RSRC2:TGID_X_EN: 1
; COMPUTE_PGM_RSRC2:TGID_Y_EN: 1
; COMPUTE_PGM_RSRC2:TGID_Z_EN: 1
; COMPUTE_PGM_RSRC2:TIDIG_COMP_CNT: 0
; COMPUTE_PGM_RSRC3_GFX90A:ACCUM_OFFSET: 10
; COMPUTE_PGM_RSRC3_GFX90A:TG_SPLIT: 0
	.section	.text._ZN4vllm32paged_attention_v2_reduce_kernelItLi80ELi128ELi512EEEvPT_PKfS4_PKS1_PKii,"axG",@progbits,_ZN4vllm32paged_attention_v2_reduce_kernelItLi80ELi128ELi512EEEvPT_PKfS4_PKS1_PKii,comdat
	.protected	_ZN4vllm32paged_attention_v2_reduce_kernelItLi80ELi128ELi512EEEvPT_PKfS4_PKS1_PKii ; -- Begin function _ZN4vllm32paged_attention_v2_reduce_kernelItLi80ELi128ELi512EEEvPT_PKfS4_PKS1_PKii
	.globl	_ZN4vllm32paged_attention_v2_reduce_kernelItLi80ELi128ELi512EEEvPT_PKfS4_PKS1_PKii
	.p2align	8
	.type	_ZN4vllm32paged_attention_v2_reduce_kernelItLi80ELi128ELi512EEEvPT_PKfS4_PKS1_PKii,@function
_ZN4vllm32paged_attention_v2_reduce_kernelItLi80ELi128ELi512EEEvPT_PKfS4_PKS1_PKii: ; @_ZN4vllm32paged_attention_v2_reduce_kernelItLi80ELi128ELi512EEEvPT_PKfS4_PKS1_PKii
; %bb.0:
	s_load_dwordx4 s[8:11], s[0:1], 0x18
	s_add_u32 s6, s0, 48
	s_mov_b32 s12, s3
	s_addc_u32 s7, s1, 0
	s_ashr_i32 s13, s3, 31
	s_lshl_b64 s[4:5], s[12:13], 2
	s_waitcnt lgkmcnt(0)
	s_add_u32 s4, s10, s4
	s_addc_u32 s5, s11, s5
	s_load_dword s26, s[4:5], 0x0
	s_load_dwordx2 s[10:11], s[0:1], 0x0
	s_load_dword s13, s[0:1], 0x28
	s_load_dword s3, s[0:1], 0x30
	s_waitcnt lgkmcnt(0)
	s_add_i32 s4, s26, -1
	s_cmpk_gt_u32 s4, 0x1ff
	s_mov_b64 s[4:5], -1
	s_cbranch_scc0 .LBB68_25
; %bb.1:
	s_add_i32 s4, s26, 0x1ff
	s_load_dwordx2 s[18:19], s[0:1], 0x8
	s_ashr_i32 s5, s4, 31
	s_lshr_b32 s5, s5, 23
	s_add_i32 s4, s4, s5
	s_mul_i32 s24, s3, s12
	s_ashr_i32 s25, s4, 9
	s_mul_i32 s14, s24, s13
	s_mul_i32 s16, s2, s13
	s_ashr_i32 s15, s14, 31
	s_ashr_i32 s17, s16, 31
	v_cmp_gt_i32_e32 vcc, s25, v0
	v_mov_b32_e32 v6, 0xff7fffff
	v_lshlrev_b32_e32 v2, 2, v0
	s_and_saveexec_b64 s[4:5], vcc
	s_cbranch_execz .LBB68_5
; %bb.2:
	s_load_dword s20, s[6:7], 0xc
	s_load_dwordx2 s[22:23], s[0:1], 0x10
	s_lshl_b64 s[0:1], s[14:15], 2
	s_lshl_b64 s[28:29], s[16:17], 2
	v_mov_b32_e32 v3, 0
	s_waitcnt lgkmcnt(0)
	s_and_b32 s27, s20, 0xffff
	s_add_u32 s0, s0, s28
	s_addc_u32 s1, s1, s29
	s_add_u32 s0, s22, s0
	s_addc_u32 s1, s23, s1
	s_mov_b32 s21, 0
	v_lshl_add_u64 v[4:5], s[0:1], 0, v[2:3]
	s_lshl_b32 s20, s27, 2
	v_add_u32_e32 v1, 16, v2
	s_mov_b64 s[22:23], 0
	v_mov_b32_e32 v6, 0xff7fffff
	v_mov_b32_e32 v3, v0
.LBB68_3:                               ; =>This Inner Loop Header: Depth=1
	global_load_dword v7, v[4:5], off
	v_add_u32_e32 v3, s27, v3
	v_max_f32_e32 v6, v6, v6
	v_cmp_le_i32_e64 s[0:1], s25, v3
	v_lshl_add_u64 v[4:5], v[4:5], 0, s[20:21]
	s_or_b64 s[22:23], s[0:1], s[22:23]
	s_waitcnt vmcnt(0)
	ds_write_b32 v1, v7
	v_max_f32_e32 v7, v7, v7
	v_add_u32_e32 v1, s20, v1
	v_max_f32_e32 v6, v6, v7
	s_andn2_b64 exec, exec, s[22:23]
	s_cbranch_execnz .LBB68_3
; %bb.4:
	s_or_b64 exec, exec, s[22:23]
.LBB68_5:
	s_or_b64 exec, exec, s[4:5]
	v_mbcnt_lo_u32_b32 v1, -1, 0
	v_mbcnt_hi_u32_b32 v3, -1, v1
	v_and_b32_e32 v1, 64, v3
	v_add_u32_e32 v7, 64, v1
	v_xor_b32_e32 v1, 32, v3
	v_cmp_lt_i32_e64 s[0:1], v1, v7
	v_max_f32_e32 v5, v6, v6
	v_xor_b32_e32 v8, 8, v3
	v_cndmask_b32_e64 v1, v3, v1, s[0:1]
	v_lshlrev_b32_e32 v1, 2, v1
	ds_bpermute_b32 v4, v1, v6
	v_xor_b32_e32 v6, 16, v3
	v_cmp_lt_i32_e64 s[0:1], v6, v7
	v_xor_b32_e32 v9, 4, v3
	v_xor_b32_e32 v10, 2, v3
	s_waitcnt lgkmcnt(0)
	v_max_f32_e32 v4, v4, v4
	v_max_f32_e32 v4, v5, v4
	v_cndmask_b32_e64 v5, v3, v6, s[0:1]
	v_lshlrev_b32_e32 v6, 2, v5
	ds_bpermute_b32 v5, v6, v4
	v_cmp_lt_i32_e64 s[0:1], v8, v7
	v_lshrrev_b32_e32 v13, 6, v0
	s_waitcnt lgkmcnt(0)
	s_barrier
	v_max_f32_e32 v5, v5, v5
	v_max_f32_e32 v4, v4, v5
	v_cndmask_b32_e64 v5, v3, v8, s[0:1]
	v_lshlrev_b32_e32 v8, 2, v5
	ds_bpermute_b32 v5, v8, v4
	v_cmp_lt_i32_e64 s[0:1], v9, v7
	s_waitcnt lgkmcnt(0)
	v_max_f32_e32 v5, v5, v5
	v_max_f32_e32 v4, v4, v5
	v_cndmask_b32_e64 v5, v3, v9, s[0:1]
	v_lshlrev_b32_e32 v9, 2, v5
	ds_bpermute_b32 v5, v9, v4
	v_cmp_lt_i32_e64 s[0:1], v10, v7
	s_waitcnt lgkmcnt(0)
	v_max_f32_e32 v5, v5, v5
	v_max_f32_e32 v5, v4, v5
	v_cndmask_b32_e64 v4, v3, v10, s[0:1]
	v_lshlrev_b32_e32 v10, 2, v4
	ds_bpermute_b32 v11, v10, v5
	v_and_b32_e32 v4, 63, v0
	s_waitcnt lgkmcnt(0)
	v_max_f32_e32 v11, v11, v11
	v_max_f32_e32 v5, v5, v11
	v_xor_b32_e32 v11, 1, v3
	v_cmp_lt_i32_e64 s[0:1], v11, v7
	s_nop 1
	v_cndmask_b32_e64 v7, v3, v11, s[0:1]
	v_lshlrev_b32_e32 v7, 2, v7
	ds_bpermute_b32 v12, v7, v5
	v_cmp_eq_u32_e64 s[0:1], 0, v4
	v_lshlrev_b32_e32 v11, 2, v13
	s_and_saveexec_b64 s[4:5], s[0:1]
	s_cbranch_execz .LBB68_7
; %bb.6:
	s_waitcnt lgkmcnt(0)
	v_max_f32_e32 v12, v12, v12
	v_max_f32_e32 v5, v5, v5
	;; [unrolled: 1-line block ×3, first 2 shown]
	ds_write_b32 v11, v5
.LBB68_7:
	s_or_b64 exec, exec, s[4:5]
	v_cmp_gt_u32_e64 s[4:5], 2, v4
	v_mov_b32_e32 v5, 0xff7fffff
	s_waitcnt lgkmcnt(0)
	v_lshlrev_b32_e32 v12, 2, v4
	s_barrier
	s_and_saveexec_b64 s[20:21], s[4:5]
	s_cbranch_execz .LBB68_9
; %bb.8:
	ds_read_b32 v5, v12
.LBB68_9:
	s_or_b64 exec, exec, s[20:21]
	s_waitcnt lgkmcnt(0)
	ds_bpermute_b32 v4, v7, v5
	v_max_f32_e32 v5, v5, v5
	v_lshlrev_b32_e32 v3, 2, v3
	v_and_b32_e32 v13, 0x100, v3
	s_lshl_b32 s27, s25, 2
	s_waitcnt lgkmcnt(0)
	v_max_f32_e32 v4, v4, v4
	v_max_f32_e32 v4, v5, v4
	ds_bpermute_b32 v14, v13, v4
	v_mov_b32_e32 v3, 0
	s_and_saveexec_b64 s[20:21], vcc
	s_cbranch_execz .LBB68_13
; %bb.10:
	s_load_dword s22, s[6:7], 0xc
	s_lshl_b64 s[28:29], s[14:15], 2
	s_lshl_b64 s[30:31], s[16:17], 2
	v_mov_b32_e32 v3, 0
	s_mov_b32 s23, 0
	s_waitcnt lgkmcnt(0)
	s_and_b32 s15, s22, 0xffff
	s_add_u32 s17, s28, s30
	s_addc_u32 s22, s29, s31
	s_add_u32 s18, s18, s17
	s_addc_u32 s19, s19, s22
	v_lshl_add_u64 v[4:5], s[18:19], 0, v[2:3]
	s_lshl_b32 s22, s15, 2
	v_add_u32_e32 v2, 16, v2
	s_mov_b64 s[18:19], 0
	s_mov_b32 s17, 0x3fb8aa3b
	s_mov_b32 s28, 0xc2ce8ed0
	s_mov_b32 s29, 0x42b17218
	v_mov_b32_e32 v15, 0x7f800000
	v_mov_b32_e32 v16, v0
.LBB68_11:                              ; =>This Inner Loop Header: Depth=1
	global_load_dword v17, v[4:5], off
	ds_read_b32 v18, v2
	v_add_u32_e32 v16, s15, v16
	v_cmp_le_i32_e32 vcc, s25, v16
	s_or_b64 s[18:19], vcc, s[18:19]
	v_add_u32_e32 v19, s27, v2
	s_waitcnt lgkmcnt(0)
	v_sub_f32_e32 v18, v18, v14
	v_mul_f32_e32 v20, 0x3fb8aa3b, v18
	v_fma_f32 v21, v18, s17, -v20
	v_rndne_f32_e32 v22, v20
	v_fmac_f32_e32 v21, 0x32a5705f, v18
	v_sub_f32_e32 v20, v20, v22
	v_add_f32_e32 v20, v20, v21
	v_cvt_i32_f32_e32 v22, v22
	v_exp_f32_e32 v20, v20
	v_cmp_ngt_f32_e32 vcc, s28, v18
	v_lshl_add_u64 v[4:5], v[4:5], 0, s[22:23]
	v_add_u32_e32 v2, s22, v2
	v_ldexp_f32 v20, v20, v22
	v_cndmask_b32_e32 v20, 0, v20, vcc
	v_cmp_nlt_f32_e32 vcc, s29, v18
	s_nop 1
	v_cndmask_b32_e32 v18, v15, v20, vcc
	s_waitcnt vmcnt(0)
	v_mul_f32_e32 v20, v17, v18
	v_fmac_f32_e32 v3, v17, v18
	ds_write_b32 v19, v20
	s_andn2_b64 exec, exec, s[18:19]
	s_cbranch_execnz .LBB68_11
; %bb.12:
	s_or_b64 exec, exec, s[18:19]
.LBB68_13:
	s_or_b64 exec, exec, s[20:21]
	ds_bpermute_b32 v1, v1, v3
	s_waitcnt lgkmcnt(0)
	s_barrier
	v_add_f32_e32 v1, v3, v1
	ds_bpermute_b32 v2, v6, v1
	s_waitcnt lgkmcnt(0)
	v_add_f32_e32 v1, v1, v2
	ds_bpermute_b32 v2, v8, v1
	s_waitcnt lgkmcnt(0)
	;; [unrolled: 3-line block ×5, first 2 shown]
	v_add_f32_e32 v1, v1, v2
	s_and_saveexec_b64 s[18:19], s[0:1]
	s_cbranch_execz .LBB68_15
; %bb.14:
	ds_write_b32 v11, v1 offset:8
.LBB68_15:
	s_or_b64 exec, exec, s[18:19]
	s_waitcnt lgkmcnt(0)
	s_barrier
	s_and_saveexec_b64 s[0:1], s[4:5]
	s_cbranch_execz .LBB68_17
; %bb.16:
	ds_read_b32 v1, v12 offset:8
.LBB68_17:
	s_or_b64 exec, exec, s[0:1]
	s_waitcnt lgkmcnt(0)
	ds_bpermute_b32 v2, v7, v1
	s_movk_i32 s0, 0x50
	v_cmp_gt_u32_e32 vcc, s0, v0
	s_waitcnt lgkmcnt(0)
	v_add_f32_e32 v1, v1, v2
	ds_bpermute_b32 v2, v13, v1
	s_and_saveexec_b64 s[0:1], vcc
	s_cbranch_execz .LBB68_24
; %bb.18:
	s_cmp_gt_i32 s26, 0
	s_mov_b32 s15, 0
	s_cbranch_scc1 .LBB68_20
; %bb.19:
	v_mov_b32_e32 v1, 0
	v_mov_b32_e32 v4, s15
	s_cbranch_execz .LBB68_21
	s_branch .LBB68_23
.LBB68_20:
                                        ; implicit-def: $sgpr15
	v_mov_b32_e32 v4, s15
.LBB68_21:
	s_waitcnt lgkmcnt(0)
	v_add_f32_e32 v1, 0x358637bd, v2
	v_div_scale_f32 v2, s[4:5], v1, v1, 1.0
	v_rcp_f32_e32 v3, v2
	s_mul_i32 s4, s14, 0x50
	s_mulk_i32 s16, 0x50
	s_ashr_i32 s5, s4, 31
	v_fma_f32 v4, -v2, v3, 1.0
	v_fmac_f32_e32 v3, v4, v3
	v_div_scale_f32 v4, vcc, 1.0, v1, 1.0
	v_mul_f32_e32 v5, v4, v3
	v_fma_f32 v6, -v2, v5, v4
	s_ashr_i32 s17, s16, 31
	s_max_i32 s15, s25, 1
	v_fmac_f32_e32 v5, v6, v3
	s_add_i32 s14, s27, 16
	s_lshl_b64 s[4:5], s[4:5], 1
	s_lshl_b64 s[16:17], s[16:17], 1
	v_fma_f32 v2, -v2, v5, v4
	s_add_u32 s4, s4, s16
	v_div_fmas_f32 v2, v2, v3, v5
	s_addc_u32 s5, s5, s17
	v_div_fixup_f32 v5, v2, v1, 1.0
	v_mov_b32_e32 v1, 0
	s_add_u32 s4, s8, s4
	v_lshlrev_b32_e32 v2, 1, v0
	v_mov_b32_e32 v3, v1
	s_addc_u32 s5, s9, s5
	v_lshl_add_u64 v[2:3], s[4:5], 0, v[2:3]
	s_mov_b64 s[4:5], 0xa0
	v_mov_b32_e32 v4, v1
.LBB68_22:                              ; =>This Inner Loop Header: Depth=1
	global_load_ushort v6, v[2:3], off
	v_mov_b32_e32 v7, s14
	s_waitcnt vmcnt(0)
	;;#ASMSTART
	v_cvt_f32_f16 v6, v6;
	;;#ASMEND
	ds_read_b32 v7, v7
	s_add_i32 s15, s15, -1
	s_add_i32 s14, s14, 4
	v_lshl_add_u64 v[2:3], v[2:3], 0, s[4:5]
	s_cmp_eq_u32 s15, 0
	s_waitcnt lgkmcnt(0)
	v_mul_f32_e32 v6, v6, v7
	v_fmac_f32_e32 v4, v5, v6
	s_cbranch_scc0 .LBB68_22
.LBB68_23:
	s_mul_i32 s4, s24, 0x50
	s_ashr_i32 s5, s4, 31
	s_lshl_b64 s[4:5], s[4:5], 1
	s_add_u32 s14, s10, s4
	s_mul_i32 s4, s2, 0x50
	s_addc_u32 s15, s11, s5
	s_ashr_i32 s5, s4, 31
	s_lshl_b64 s[4:5], s[4:5], 1
	s_add_u32 s4, s14, s4
	s_addc_u32 s5, s15, s5
	s_waitcnt lgkmcnt(0)
	v_lshl_add_u64 v[2:3], v[0:1], 1, s[4:5]
	;;#ASMSTART
	v_cvt_f16_f32 v1, v4;

	;;#ASMEND
	global_store_short v[2:3], v1, off
.LBB68_24:
	s_or_b64 exec, exec, s[0:1]
	s_mov_b64 s[4:5], 0
.LBB68_25:
	s_and_b64 vcc, exec, s[4:5]
	s_cbranch_vccz .LBB68_34
; %bb.26:
	s_movk_i32 s0, 0x50
	v_cmp_gt_u32_e32 vcc, s0, v0
	s_and_saveexec_b64 s[4:5], vcc
	s_cbranch_execz .LBB68_34
; %bb.27:
	s_mul_i32 s1, s3, s12
	s_mul_i32 s4, s1, 0x50
	s_ashr_i32 s5, s4, 31
	s_lshl_b64 s[14:15], s[4:5], 1
	s_add_u32 s1, s10, s14
	s_mul_i32 s10, s2, 0x50
	s_addc_u32 s5, s11, s15
	s_ashr_i32 s11, s10, 31
	s_lshl_b64 s[2:3], s[10:11], 1
	s_add_u32 s2, s1, s2
	s_mul_i32 s4, s4, s13
	s_addc_u32 s3, s5, s3
	s_ashr_i32 s5, s4, 31
	s_lshl_b64 s[4:5], s[4:5], 1
	s_load_dword s6, s[6:7], 0xc
	s_add_u32 s1, s8, s4
	s_mul_i32 s4, s10, s13
	s_addc_u32 s8, s9, s5
	s_ashr_i32 s5, s4, 31
	s_lshl_b64 s[4:5], s[4:5], 1
	s_add_u32 s4, s1, s4
	s_addc_u32 s5, s8, s5
	s_waitcnt lgkmcnt(0)
	s_and_b32 s8, s6, 0xffff
	v_cvt_f32_u32_e32 v1, s8
	v_add_u32_e32 v2, s8, v0
	v_mov_b32_e32 v4, s8
	v_cmp_gt_u32_e32 vcc, s0, v2
	v_rcp_iflag_f32_e32 v1, v1
	s_cmp_eq_u32 s8, 1
	v_max_u32_e32 v3, 0x50, v2
	v_addc_co_u32_e64 v2, s[0:1], v0, v4, vcc
	v_mul_f32_e32 v1, 0x4f7ffffe, v1
	v_cvt_u32_f32_e32 v1, v1
	s_cselect_b64 s[6:7], -1, 0
	s_sub_i32 s0, 0, s8
	v_sub_u32_e32 v2, v3, v2
	v_mul_lo_u32 v3, s0, v1
	v_mul_hi_u32 v3, v1, v3
	v_add_u32_e32 v1, v1, v3
	v_mul_hi_u32 v1, v2, v1
	v_mul_lo_u32 v3, v1, s8
	v_sub_u32_e32 v2, v2, v3
	v_add_u32_e32 v3, 1, v1
	v_cmp_le_u32_e64 s[0:1], s8, v2
	s_nop 1
	v_cndmask_b32_e64 v1, v1, v3, s[0:1]
	v_subrev_u32_e32 v3, s8, v2
	v_cndmask_b32_e64 v2, v2, v3, s[0:1]
	v_add_u32_e32 v3, 1, v1
	v_cmp_le_u32_e64 s[0:1], s8, v2
	s_nop 1
	v_cndmask_b32_e64 v1, v1, v3, s[0:1]
	v_addc_co_u32_e32 v1, vcc, 1, v1, vcc
	v_cmp_lt_u32_e32 vcc, 7, v1
	s_and_b64 s[10:11], vcc, s[6:7]
	s_mov_b64 s[6:7], -1
	s_and_saveexec_b64 s[0:1], s[10:11]
	s_cbranch_execz .LBB68_31
; %bb.28:
	v_and_b32_e32 v4, -8, v1
	s_mov_b64 s[6:7], 0
	v_mov_b32_e32 v3, 0
	v_mov_b32_e32 v2, v0
	;; [unrolled: 1-line block ×3, first 2 shown]
.LBB68_29:                              ; =>This Inner Loop Header: Depth=1
	v_lshlrev_b64 v[10:11], 1, v[2:3]
	v_lshl_add_u64 v[6:7], s[4:5], 0, v[10:11]
	global_load_dwordx4 v[6:9], v[6:7], off
	v_add_u32_e32 v5, -8, v5
	v_cmp_eq_u32_e32 vcc, 0, v5
	v_add_u32_e32 v2, 8, v2
	v_lshl_add_u64 v[10:11], s[2:3], 0, v[10:11]
	s_or_b64 s[6:7], vcc, s[6:7]
	s_waitcnt vmcnt(0)
	global_store_dwordx4 v[10:11], v[6:9], off
	s_andn2_b64 exec, exec, s[6:7]
	s_cbranch_execnz .LBB68_29
; %bb.30:
	s_or_b64 exec, exec, s[6:7]
	v_cmp_ne_u32_e32 vcc, v1, v4
	v_add_u32_e32 v0, v0, v4
	s_orn2_b64 s[6:7], vcc, exec
.LBB68_31:
	s_or_b64 exec, exec, s[0:1]
	s_and_b64 exec, exec, s[6:7]
	s_cbranch_execz .LBB68_34
; %bb.32:
	v_mov_b32_e32 v1, 0
	s_mov_b32 s1, 0
	v_lshlrev_b64 v[2:3], 1, v[0:1]
	s_lshl_b32 s0, s8, 1
	s_mov_b64 s[6:7], 0
	s_movk_i32 s9, 0x4f
.LBB68_33:                              ; =>This Inner Loop Header: Depth=1
	v_lshl_add_u64 v[4:5], s[4:5], 0, v[2:3]
	global_load_ushort v1, v[4:5], off
	v_add_u32_e32 v0, s8, v0
	v_cmp_lt_u32_e32 vcc, s9, v0
	v_lshl_add_u64 v[4:5], s[2:3], 0, v[2:3]
	v_lshl_add_u64 v[2:3], v[2:3], 0, s[0:1]
	s_or_b64 s[6:7], vcc, s[6:7]
	s_waitcnt vmcnt(0)
	global_store_short v[4:5], v1, off
	s_andn2_b64 exec, exec, s[6:7]
	s_cbranch_execnz .LBB68_33
.LBB68_34:
	s_endpgm
	.section	.rodata,"a",@progbits
	.p2align	6, 0x0
	.amdhsa_kernel _ZN4vllm32paged_attention_v2_reduce_kernelItLi80ELi128ELi512EEEvPT_PKfS4_PKS1_PKii
		.amdhsa_group_segment_fixed_size 16
		.amdhsa_private_segment_fixed_size 0
		.amdhsa_kernarg_size 304
		.amdhsa_user_sgpr_count 2
		.amdhsa_user_sgpr_dispatch_ptr 0
		.amdhsa_user_sgpr_queue_ptr 0
		.amdhsa_user_sgpr_kernarg_segment_ptr 1
		.amdhsa_user_sgpr_dispatch_id 0
		.amdhsa_user_sgpr_kernarg_preload_length 0
		.amdhsa_user_sgpr_kernarg_preload_offset 0
		.amdhsa_user_sgpr_private_segment_size 0
		.amdhsa_uses_dynamic_stack 0
		.amdhsa_enable_private_segment 0
		.amdhsa_system_sgpr_workgroup_id_x 1
		.amdhsa_system_sgpr_workgroup_id_y 1
		.amdhsa_system_sgpr_workgroup_id_z 0
		.amdhsa_system_sgpr_workgroup_info 0
		.amdhsa_system_vgpr_workitem_id 0
		.amdhsa_next_free_vgpr 23
		.amdhsa_next_free_sgpr 32
		.amdhsa_accum_offset 24
		.amdhsa_reserve_vcc 1
		.amdhsa_float_round_mode_32 0
		.amdhsa_float_round_mode_16_64 0
		.amdhsa_float_denorm_mode_32 3
		.amdhsa_float_denorm_mode_16_64 3
		.amdhsa_dx10_clamp 1
		.amdhsa_ieee_mode 1
		.amdhsa_fp16_overflow 0
		.amdhsa_tg_split 0
		.amdhsa_exception_fp_ieee_invalid_op 0
		.amdhsa_exception_fp_denorm_src 0
		.amdhsa_exception_fp_ieee_div_zero 0
		.amdhsa_exception_fp_ieee_overflow 0
		.amdhsa_exception_fp_ieee_underflow 0
		.amdhsa_exception_fp_ieee_inexact 0
		.amdhsa_exception_int_div_zero 0
	.end_amdhsa_kernel
	.section	.text._ZN4vllm32paged_attention_v2_reduce_kernelItLi80ELi128ELi512EEEvPT_PKfS4_PKS1_PKii,"axG",@progbits,_ZN4vllm32paged_attention_v2_reduce_kernelItLi80ELi128ELi512EEEvPT_PKfS4_PKS1_PKii,comdat
.Lfunc_end68:
	.size	_ZN4vllm32paged_attention_v2_reduce_kernelItLi80ELi128ELi512EEEvPT_PKfS4_PKS1_PKii, .Lfunc_end68-_ZN4vllm32paged_attention_v2_reduce_kernelItLi80ELi128ELi512EEEvPT_PKfS4_PKS1_PKii
                                        ; -- End function
	.section	.AMDGPU.csdata,"",@progbits
; Kernel info:
; codeLenInByte = 2140
; NumSgprs: 38
; NumVgprs: 23
; NumAgprs: 0
; TotalNumVgprs: 23
; ScratchSize: 0
; MemoryBound: 0
; FloatMode: 240
; IeeeMode: 1
; LDSByteSize: 16 bytes/workgroup (compile time only)
; SGPRBlocks: 4
; VGPRBlocks: 2
; NumSGPRsForWavesPerEU: 38
; NumVGPRsForWavesPerEU: 23
; AccumOffset: 24
; Occupancy: 8
; WaveLimiterHint : 0
; COMPUTE_PGM_RSRC2:SCRATCH_EN: 0
; COMPUTE_PGM_RSRC2:USER_SGPR: 2
; COMPUTE_PGM_RSRC2:TRAP_HANDLER: 0
; COMPUTE_PGM_RSRC2:TGID_X_EN: 1
; COMPUTE_PGM_RSRC2:TGID_Y_EN: 1
; COMPUTE_PGM_RSRC2:TGID_Z_EN: 0
; COMPUTE_PGM_RSRC2:TIDIG_COMP_CNT: 0
; COMPUTE_PGM_RSRC3_GFX90A:ACCUM_OFFSET: 5
; COMPUTE_PGM_RSRC3_GFX90A:TG_SPLIT: 0
	.section	.text._ZN4vllm25paged_attention_v2_kernelIttLi96ELi8ELi128ELNS_18Fp8KVCacheDataTypeE0ELb1ELi512EEEvPfS2_PT_PKS3_PKT0_S9_ifPKiSB_iPKfiiiSD_SD_iiiii,"axG",@progbits,_ZN4vllm25paged_attention_v2_kernelIttLi96ELi8ELi128ELNS_18Fp8KVCacheDataTypeE0ELb1ELi512EEEvPfS2_PT_PKS3_PKT0_S9_ifPKiSB_iPKfiiiSD_SD_iiiii,comdat
	.protected	_ZN4vllm25paged_attention_v2_kernelIttLi96ELi8ELi128ELNS_18Fp8KVCacheDataTypeE0ELb1ELi512EEEvPfS2_PT_PKS3_PKT0_S9_ifPKiSB_iPKfiiiSD_SD_iiiii ; -- Begin function _ZN4vllm25paged_attention_v2_kernelIttLi96ELi8ELi128ELNS_18Fp8KVCacheDataTypeE0ELb1ELi512EEEvPfS2_PT_PKS3_PKT0_S9_ifPKiSB_iPKfiiiSD_SD_iiiii
	.globl	_ZN4vllm25paged_attention_v2_kernelIttLi96ELi8ELi128ELNS_18Fp8KVCacheDataTypeE0ELb1ELi512EEEvPfS2_PT_PKS3_PKT0_S9_ifPKiSB_iPKfiiiSD_SD_iiiii
	.p2align	8
	.type	_ZN4vllm25paged_attention_v2_kernelIttLi96ELi8ELi128ELNS_18Fp8KVCacheDataTypeE0ELb1ELi512EEEvPfS2_PT_PKS3_PKT0_S9_ifPKiSB_iPKfiiiSD_SD_iiiii,@function
_ZN4vllm25paged_attention_v2_kernelIttLi96ELi8ELi128ELNS_18Fp8KVCacheDataTypeE0ELb1ELi512EEEvPfS2_PT_PKS3_PKT0_S9_ifPKiSB_iPKfiiiSD_SD_iiiii: ; @_ZN4vllm25paged_attention_v2_kernelIttLi96ELi8ELi128ELNS_18Fp8KVCacheDataTypeE0ELb1ELi512EEEvPfS2_PT_PKS3_PKT0_S9_ifPKiSB_iPKfiiiSD_SD_iiiii
; %bb.0:
	s_load_dwordx2 s[6:7], s[0:1], 0x40
	s_mov_b32 s30, s3
	s_ashr_i32 s31, s3, 31
	s_lshl_b64 s[8:9], s[30:31], 2
	s_waitcnt lgkmcnt(0)
	s_add_u32 s6, s6, s8
	s_addc_u32 s7, s7, s9
	s_load_dword s31, s[6:7], 0x0
	s_lshl_b32 s51, s4, 9
	s_waitcnt lgkmcnt(0)
	s_cmp_ge_i32 s51, s31
	s_cbranch_scc1 .LBB69_69
; %bb.1:
	s_load_dword s5, s[0:1], 0x90
	s_load_dwordx2 s[40:41], s[0:1], 0x30
	s_mov_b32 s52, 0
	s_waitcnt lgkmcnt(0)
	s_abs_i32 s7, s5
	s_abs_i32 s3, s40
	v_cvt_f32_u32_e32 v1, s3
	s_sub_i32 s8, 0, s3
	s_xor_b32 s6, s5, s40
	s_ashr_i32 s6, s6, 31
	v_rcp_iflag_f32_e32 v1, v1
	s_nop 0
	v_mul_f32_e32 v1, 0x4f7ffffe, v1
	v_cvt_u32_f32_e32 v1, v1
	s_nop 0
	v_readfirstlane_b32 s9, v1
	s_mul_i32 s8, s8, s9
	s_mul_hi_u32 s8, s9, s8
	s_add_i32 s9, s9, s8
	s_mul_hi_u32 s8, s7, s9
	s_mul_i32 s9, s8, s3
	s_sub_i32 s7, s7, s9
	s_add_i32 s10, s8, 1
	s_sub_i32 s9, s7, s3
	s_cmp_ge_u32 s7, s3
	s_cselect_b32 s8, s10, s8
	s_cselect_b32 s7, s9, s7
	s_add_i32 s9, s8, 1
	s_cmp_ge_u32 s7, s3
	s_cselect_b32 s3, s9, s8
	s_xor_b32 s3, s3, s6
	s_sub_i32 s10, s3, s6
	s_abs_i32 s8, s10
	v_cvt_f32_u32_e32 v1, s8
	s_load_dwordx2 s[6:7], s[0:1], 0x50
	s_sub_i32 s3, 0, s8
	s_abs_i32 s9, s2
	v_rcp_iflag_f32_e32 v1, v1
	s_nop 0
	v_mul_f32_e32 v1, 0x4f7ffffe, v1
	v_cvt_u32_f32_e32 v1, v1
	s_nop 0
	v_readfirstlane_b32 s11, v1
	s_mul_i32 s3, s3, s11
	s_mul_hi_u32 s3, s11, s3
	s_add_i32 s11, s11, s3
	s_waitcnt lgkmcnt(0)
	s_cmp_eq_u64 s[6:7], 0
	s_mul_hi_u32 s12, s9, s11
	s_cbranch_scc1 .LBB69_3
; %bb.2:
	s_ashr_i32 s3, s2, 31
	s_lshl_b64 s[14:15], s[2:3], 2
	s_add_u32 s6, s6, s14
	s_addc_u32 s7, s7, s15
	s_load_dword s52, s[6:7], 0x0
.LBB69_3:
	s_load_dwordx4 s[16:19], s[0:1], 0x58
	s_movk_i32 s6, 0x60
	s_ashr_i32 s3, s2, 31
	s_ashr_i32 s13, s10, 31
	v_and_b32_e32 v4, 7, v0
	s_mul_i32 s14, s2, 0x60
	v_cmp_gt_u32_e64 s[10:11], s6, v0
	v_lshlrev_b32_e32 v6, 1, v0
	s_and_saveexec_b64 s[6:7], s[10:11]
	s_cbranch_execz .LBB69_5
; %bb.4:
	s_load_dwordx2 s[20:21], s[0:1], 0x18
	s_waitcnt lgkmcnt(0)
	s_mul_i32 s22, s30, s16
	s_ashr_i32 s23, s22, 31
	s_lshl_b64 s[22:23], s[22:23], 1
	v_lshrrev_b32_e32 v2, 2, v0
	s_add_u32 s16, s20, s22
	s_addc_u32 s19, s21, s23
	s_ashr_i32 s15, s14, 31
	s_lshl_b64 s[20:21], s[14:15], 1
	s_add_u32 s20, s16, s20
	s_addc_u32 s21, s19, s21
	global_load_ushort v1, v6, s[20:21]
	v_and_b32_e32 v2, 0xfe, v2
	v_mad_u32_u24 v2, v4, 24, v2
	s_waitcnt vmcnt(0)
	ds_write_b16 v2, v1
.LBB69_5:
	s_or_b64 exec, exec, s[6:7]
	s_mul_i32 s6, s12, s8
	s_sub_i32 s6, s9, s6
	s_xor_b32 s3, s3, s13
	s_add_i32 s7, s12, 1
	s_sub_i32 s9, s6, s8
	s_load_dwordx4 s[20:23], s[0:1], 0x78
	s_cmp_ge_u32 s6, s8
	s_cselect_b32 s7, s7, s12
	s_load_dword s12, s[0:1], 0x88
	s_cselect_b32 s6, s9, s6
	s_add_i32 s9, s7, 1
	s_cmp_ge_u32 s6, s8
	s_cselect_b32 s6, s9, s7
	s_waitcnt lgkmcnt(0)
	s_abs_i32 s33, s23
	v_cvt_f32_u32_e32 v1, s33
	s_xor_b32 s6, s6, s3
	s_sub_i32 s8, s6, s3
	s_sub_i32 s6, 0, s33
	v_rcp_iflag_f32_e32 v1, v1
	s_add_i32 s13, s31, -1
	s_abs_i32 s3, s13
	v_mul_f32_e32 v1, 0x4f7ffffe, v1
	v_cvt_u32_f32_e32 v1, v1
	s_barrier
	v_readfirstlane_b32 s48, v1
	s_mul_i32 s6, s6, s48
	s_mul_hi_u32 s6, s48, s6
	s_add_i32 s48, s48, s6
	s_cmp_lt_i32 s12, 0
	s_mul_hi_u32 s9, s3, s48
	s_cbranch_scc0 .LBB69_7
; %bb.6:
	s_mul_i32 s6, s20, s40
	s_add_i32 s6, s8, s6
	s_mul_i32 s6, s6, s12
	s_sub_i32 s49, 1, s6
	s_mov_b64 s[6:7], 0
	s_branch .LBB69_8
.LBB69_7:
	s_mov_b64 s[6:7], -1
                                        ; implicit-def: $sgpr49
.LBB69_8:
	s_load_dwordx2 s[34:35], s[0:1], 0x38
	s_ashr_i32 s13, s13, 31
	s_andn2_b64 vcc, exec, s[6:7]
	s_ashr_i32 s23, s23, 31
	s_cbranch_vccnz .LBB69_10
; %bb.9:
	s_mul_i32 s6, s5, s20
	s_add_i32 s6, s6, s2
	s_mul_i32 s6, s6, s12
	s_add_i32 s49, s6, 1
.LBB69_10:
	s_load_dword s6, s[0:1], 0x48
	s_load_dwordx2 s[38:39], s[0:1], 0x28
	s_load_dword s15, s[0:1], 0x98
	s_load_dwordx4 s[24:27], s[0:1], 0x0
	s_load_dwordx2 s[28:29], s[0:1], 0x10
	s_mul_i32 s7, s9, s33
	s_waitcnt lgkmcnt(0)
	s_mul_i32 s36, s30, s6
	s_sub_i32 s3, s3, s7
	s_ashr_i32 s37, s36, 31
	s_xor_b32 s6, s13, s23
	s_add_i32 s7, s9, 1
	s_sub_i32 s12, s3, s33
	s_cmp_ge_u32 s3, s33
	s_cselect_b32 s7, s7, s9
	s_cselect_b32 s3, s12, s3
	s_add_i32 s9, s7, 1
	s_cmp_ge_u32 s3, s33
	s_cselect_b32 s3, s9, s7
	s_xor_b32 s3, s3, s6
	s_sub_i32 s16, s3, s6
	s_add_i32 s3, s31, 7
	s_ashr_i32 s6, s3, 31
	s_lshr_b32 s6, s6, 29
	s_add_i32 s3, s3, s6
	s_lshl_b32 s20, s4, 6
	s_ashr_i32 s3, s3, 3
	s_add_i32 s6, s20, 64
	v_lshrrev_b32_e32 v7, 6, v0
	s_min_i32 s50, s6, s3
	v_or_b32_e32 v8, s20, v7
	v_cmp_gt_i32_e64 s[6:7], s50, v8
	v_mov_b32_e32 v13, 0xff7fffff
	s_mul_i32 s18, s8, s18
	v_ashrrev_i32_e32 v9, 31, v8
	v_lshl_add_u32 v1, v7, 3, s51
	v_mbcnt_lo_u32_b32 v10, -1, 0
	s_and_saveexec_b64 s[42:43], s[6:7]
	s_cbranch_execz .LBB69_20
; %bb.11:
	s_load_dwordx2 s[0:1], s[0:1], 0x20
	s_ashr_i32 s19, s18, 31
	s_sub_i32 s40, s16, s21
	s_lshl_b64 s[8:9], s[18:19], 1
	v_bfe_u32 v11, v0, 3, 3
	s_waitcnt lgkmcnt(0)
	s_add_u32 s0, s0, s8
	s_addc_u32 s1, s1, s9
	s_abs_i32 s19, s22
	v_cvt_f32_u32_e32 v5, s19
	v_lshlrev_b32_e32 v2, 4, v11
	v_mov_b32_e32 v3, 0
	v_lshl_add_u64 v[12:13], s[0:1], 0, v[2:3]
	v_rcp_iflag_f32_e32 v5, v5
	v_lshlrev_b32_e32 v2, 1, v4
	v_lshl_add_u64 v[2:3], v[12:13], 0, v[2:3]
	s_sub_i32 s0, 0, s19
	v_mul_f32_e32 v5, 0x4f7ffffe, v5
	v_cvt_u32_f32_e32 v5, v5
	v_lshlrev_b32_e32 v13, 2, v11
	v_cmp_eq_u32_e32 vcc, 0, v4
	v_mul_u32_u24_e32 v12, 24, v4
	v_mul_lo_u32 v4, s0, v5
	s_lshl_b64 s[0:1], s[36:37], 2
	v_lshl_or_b32 v13, v7, 5, v13
	s_add_u32 s0, s34, s0
	v_add_u32_e32 v16, 0xd0, v13
	v_subrev_u32_e32 v13, s31, v11
	v_mbcnt_hi_u32_b32 v19, -1, v10
	v_mul_hi_u32 v4, v5, v4
	s_addc_u32 s1, s35, s1
	v_add_u32_e32 v17, 1, v13
	v_and_b32_e32 v13, 64, v19
	s_mov_b32 s53, s17
	v_cmp_neq_f32_e64 s[8:9], s52, 0
	v_add_u32_e32 v14, v5, v4
	v_lshl_add_u64 v[4:5], v[8:9], 2, s[0:1]
	v_lshl_add_u32 v15, v7, 3, s51
	s_mov_b64 s[44:45], 0
	v_mov_b32_e32 v18, 0xff7fffff
	v_add_u32_e32 v20, 64, v13
	v_xor_b32_e32 v21, 4, v19
	v_xor_b32_e32 v22, 2, v19
	;; [unrolled: 1-line block ×3, first 2 shown]
	v_mov_b32_e32 v13, 0xff7fffff
	v_mov_b32_e32 v24, v8
	s_branch .LBB69_14
.LBB69_12:                              ;   in Loop: Header=BB69_14 Depth=1
	s_or_b64 exec, exec, s[46:47]
.LBB69_13:                              ;   in Loop: Header=BB69_14 Depth=1
	s_or_b64 exec, exec, s[12:13]
	v_add_u32_e32 v24, 2, v24
	v_cmp_le_i32_e64 s[0:1], s50, v24
	v_lshl_add_u64 v[4:5], v[4:5], 0, 8
	v_add_u32_e32 v15, 16, v15
	s_or_b64 s[44:45], s[0:1], s[44:45]
	v_add_u32_e32 v16, 64, v16
	s_andn2_b64 exec, exec, s[44:45]
	s_cbranch_execz .LBB69_19
.LBB69_14:                              ; =>This Inner Loop Header: Depth=1
	s_waitcnt lgkmcnt(0)
	v_sub_u32_e32 v26, 0, v15
	v_max_i32_e32 v26, v15, v26
	v_mul_hi_u32 v27, v26, s48
	v_mul_lo_u32 v28, v27, s33
	v_sub_u32_e32 v26, v26, v28
	v_add_u32_e32 v28, 1, v27
	v_cmp_le_u32_e64 s[0:1], s33, v26
	v_ashrrev_i32_e32 v25, 31, v15
	v_xor_b32_e32 v25, s23, v25
	v_cndmask_b32_e64 v27, v27, v28, s[0:1]
	v_subrev_u32_e32 v28, s33, v26
	v_cndmask_b32_e64 v26, v26, v28, s[0:1]
	v_add_u32_e32 v28, 1, v27
	v_cmp_le_u32_e64 s[0:1], s33, v26
	s_nop 1
	v_cndmask_b32_e64 v26, v27, v28, s[0:1]
	v_xor_b32_e32 v26, v26, v25
	v_sub_u32_e32 v25, v26, v25
	v_add_u32_e32 v26, s49, v25
	v_sub_u32_e32 v28, 0, v26
	v_ashrrev_i32_e32 v27, 31, v26
	v_max_i32_e32 v26, v26, v28
	v_mul_hi_u32 v28, v26, v14
	v_mul_lo_u32 v28, v28, s19
	v_sub_u32_e32 v26, v26, v28
	v_subrev_u32_e32 v28, s19, v26
	v_cmp_le_u32_e64 s[0:1], s19, v26
	v_cmp_ge_i32_e64 s[12:13], s40, v25
	s_nop 0
	v_cndmask_b32_e64 v26, v26, v28, s[0:1]
	v_subrev_u32_e32 v28, s19, v26
	v_cmp_le_u32_e64 s[0:1], s19, v26
	s_nop 1
	v_cndmask_b32_e64 v26, v26, v28, s[0:1]
	v_xor_b32_e32 v26, v26, v27
	v_sub_u32_e32 v26, v26, v27
	v_cmp_ne_u32_e64 s[0:1], 0, v26
	s_and_b64 s[0:1], s[0:1], s[12:13]
	s_and_b64 s[46:47], vcc, s[0:1]
	s_and_saveexec_b64 s[12:13], s[46:47]
	s_cbranch_execz .LBB69_16
; %bb.15:                               ;   in Loop: Header=BB69_14 Depth=1
	ds_write_b32 v16, v18
.LBB69_16:                              ;   in Loop: Header=BB69_14 Depth=1
	s_or_b64 exec, exec, s[12:13]
	s_xor_b64 s[0:1], s[0:1], -1
	s_and_saveexec_b64 s[12:13], s[0:1]
	s_cbranch_execz .LBB69_13
; %bb.17:                               ;   in Loop: Header=BB69_14 Depth=1
	global_load_dword v25, v[4:5], off
	s_waitcnt vmcnt(0)
	v_mad_i64_i32 v[26:27], s[0:1], v25, s53, 0
	v_lshl_add_u64 v[26:27], v[26:27], 1, v[2:3]
	global_load_ushort v25, v[26:27], off
	global_load_ushort v28, v[26:27], off offset:128
	global_load_ushort v29, v[26:27], off offset:256
	;; [unrolled: 1-line block ×10, first 2 shown]
	ds_read_u16 v38, v12
	global_load_ushort v26, v[26:27], off offset:1408
	s_waitcnt lgkmcnt(0)
	;;#ASMSTART
	v_cvt_f32_f16 v27, v38;
	;;#ASMEND
	v_cmp_lt_i32_e64 s[0:1], v21, v20
	s_waitcnt vmcnt(11)
	;;#ASMSTART
	v_cvt_f32_f16 v25, v25;
	;;#ASMEND
	ds_read_u16 v38, v12 offset:2
	s_waitcnt lgkmcnt(0)
	;;#ASMSTART
	v_cvt_f32_f16 v38, v38;
	;;#ASMEND
	s_waitcnt vmcnt(10)
	;;#ASMSTART
	v_cvt_f32_f16 v28, v28;
	;;#ASMEND
	ds_read_u16 v39, v12 offset:4
	v_mul_f32_e32 v28, v38, v28
	v_fmac_f32_e32 v28, v27, v25
	s_waitcnt lgkmcnt(0)
	;;#ASMSTART
	v_cvt_f32_f16 v39, v39;
	;;#ASMEND
	s_waitcnt vmcnt(9)
	;;#ASMSTART
	v_cvt_f32_f16 v29, v29;
	;;#ASMEND
	ds_read_u16 v40, v12 offset:6
	v_fmac_f32_e32 v28, v39, v29
	s_waitcnt lgkmcnt(0)
	;;#ASMSTART
	v_cvt_f32_f16 v40, v40;
	;;#ASMEND
	s_waitcnt vmcnt(8)
	;;#ASMSTART
	v_cvt_f32_f16 v30, v30;
	;;#ASMEND
	ds_read_u16 v41, v12 offset:8
	;; [unrolled: 10-line block ×8, first 2 shown]
	v_fmac_f32_e32 v28, v25, v27
	v_cndmask_b32_e64 v46, v19, v21, s[0:1]
	s_waitcnt lgkmcnt(0)
	;;#ASMSTART
	v_cvt_f32_f16 v29, v29;
	;;#ASMEND
	s_waitcnt vmcnt(1)
	;;#ASMSTART
	v_cvt_f32_f16 v30, v37;
	;;#ASMEND
	v_lshlrev_b32_e32 v46, 2, v46
	v_fmac_f32_e32 v28, v29, v30
	ds_read_u16 v31, v12 offset:22
	s_waitcnt lgkmcnt(0)
	;;#ASMSTART
	v_cvt_f32_f16 v25, v31;
	;;#ASMEND
	s_waitcnt vmcnt(0)
	;;#ASMSTART
	v_cvt_f32_f16 v26, v26;
	;;#ASMEND
	v_cmp_lt_i32_e64 s[0:1], v22, v20
	v_fmac_f32_e32 v28, v25, v26
	ds_bpermute_b32 v25, v46, v28
	v_cndmask_b32_e64 v26, v19, v22, s[0:1]
	v_lshlrev_b32_e32 v26, 2, v26
	v_cmp_lt_i32_e64 s[0:1], v23, v20
	s_waitcnt lgkmcnt(0)
	v_add_f32_e32 v25, v28, v25
	ds_bpermute_b32 v26, v26, v25
	v_cndmask_b32_e64 v27, v19, v23, s[0:1]
	s_waitcnt lgkmcnt(0)
	v_add_f32_e32 v25, v25, v26
	v_lshlrev_b32_e32 v26, 2, v27
	ds_bpermute_b32 v26, v26, v25
	s_and_saveexec_b64 s[46:47], vcc
	s_cbranch_execz .LBB69_12
; %bb.18:                               ;   in Loop: Header=BB69_14 Depth=1
	v_add_u32_e32 v27, v17, v15
	v_cvt_f32_i32_e32 v27, v27
	s_waitcnt lgkmcnt(0)
	v_add_f32_e32 v25, v25, v26
	v_add_u32_e32 v28, v11, v15
	v_cmp_gt_i32_e64 s[0:1], s31, v28
	v_mul_f32_e32 v26, s52, v27
	v_cndmask_b32_e64 v26, 0, v26, s[8:9]
	v_fmac_f32_e32 v26, s41, v25
	v_cndmask_b32_e64 v25, 0, v26, s[0:1]
	ds_write_b32 v16, v25
	v_max_f32_e32 v25, v13, v13
	v_max_f32_e32 v25, v25, v26
	v_cndmask_b32_e64 v13, v13, v25, s[0:1]
	s_branch .LBB69_12
.LBB69_19:
	s_or_b64 exec, exec, s[44:45]
.LBB69_20:
	s_or_b64 exec, exec, s[42:43]
	v_mbcnt_hi_u32_b32 v2, -1, v10
	v_and_b32_e32 v3, 64, v2
	v_add_u32_e32 v3, 64, v3
	v_xor_b32_e32 v4, 32, v2
	v_cmp_lt_i32_e32 vcc, v4, v3
	v_xor_b32_e32 v11, 16, v2
	v_max_f32_e32 v5, v13, v13
	v_cndmask_b32_e32 v4, v2, v4, vcc
	v_lshlrev_b32_e32 v10, 2, v4
	ds_bpermute_b32 v4, v10, v13
	v_cmp_lt_i32_e32 vcc, v11, v3
	v_and_b32_e32 v20, 63, v0
	s_waitcnt lgkmcnt(0)
	v_max_f32_e32 v4, v4, v4
	v_max_f32_e32 v4, v5, v4
	v_cndmask_b32_e32 v5, v2, v11, vcc
	v_lshlrev_b32_e32 v12, 2, v5
	ds_bpermute_b32 v5, v12, v4
	v_xor_b32_e32 v11, 8, v2
	v_cmp_lt_i32_e32 vcc, v11, v3
	s_waitcnt lgkmcnt(0)
	v_max_f32_e32 v5, v5, v5
	v_max_f32_e32 v4, v4, v5
	v_cndmask_b32_e32 v5, v2, v11, vcc
	v_lshlrev_b32_e32 v13, 2, v5
	ds_bpermute_b32 v11, v13, v4
	v_cmp_eq_u32_e32 vcc, 0, v20
	v_lshlrev_b32_e32 v5, 2, v7
	s_and_saveexec_b64 s[0:1], vcc
	s_cbranch_execz .LBB69_22
; %bb.21:
	s_waitcnt lgkmcnt(0)
	v_max_f32_e32 v11, v11, v11
	v_max_f32_e32 v4, v4, v4
	;; [unrolled: 1-line block ×3, first 2 shown]
	ds_write_b32 v5, v4 offset:192
.LBB69_22:
	s_or_b64 exec, exec, s[0:1]
	v_cmp_gt_u32_e64 s[0:1], 2, v20
	v_mov_b32_e32 v4, 0xff7fffff
	s_waitcnt lgkmcnt(0)
	v_lshlrev_b32_e32 v11, 2, v20
	s_barrier
	s_and_saveexec_b64 s[8:9], s[0:1]
	s_cbranch_execz .LBB69_24
; %bb.23:
	ds_read_b32 v4, v11 offset:192
.LBB69_24:
	s_or_b64 exec, exec, s[8:9]
	v_xor_b32_e32 v14, 1, v2
	v_cmp_lt_i32_e64 s[8:9], v14, v3
	v_mov_b32_e32 v16, 0
	s_nop 0
	v_cndmask_b32_e64 v14, v2, v14, s[8:9]
	v_lshlrev_b32_e32 v14, 2, v14
	s_waitcnt lgkmcnt(0)
	ds_bpermute_b32 v15, v14, v4
	v_max_f32_e32 v4, v4, v4
	s_sub_i32 s8, s50, s20
	s_lshl_b32 s8, s8, 3
	s_add_i32 s8, s8, s51
	s_waitcnt lgkmcnt(0)
	v_max_f32_e32 v15, v15, v15
	v_max_f32_e32 v4, v4, v15
	v_lshlrev_b32_e32 v15, 2, v2
	v_and_b32_e32 v15, 0x100, v15
	ds_bpermute_b32 v4, v15, v4
	s_min_i32 s20, s8, s31
	s_sub_i32 s19, s20, s51
	v_cmp_gt_i32_e64 s[8:9], s19, v0
	s_and_saveexec_b64 s[40:41], s[8:9]
	s_cbranch_execz .LBB69_28
; %bb.25:
	v_mov_b32_e32 v16, 0xd0
	v_lshl_add_u32 v17, v0, 2, v16
	s_mov_b64 s[42:43], 0
	v_mov_b32_e32 v16, 0
	v_mov_b32_e32 v18, v0
.LBB69_26:                              ; =>This Inner Loop Header: Depth=1
	ds_read_b32 v19, v17
	v_add_u32_e32 v18, 0x80, v18
	v_cmp_le_i32_e64 s[12:13], s19, v18
	s_or_b64 s[42:43], s[12:13], s[42:43]
	s_waitcnt lgkmcnt(0)
	v_sub_f32_e32 v19, v19, v4
	v_mul_f32_e32 v19, 0x3fb8aa3b, v19
	v_exp_f32_e32 v19, v19
	ds_write_b32 v17, v19
	v_add_f32_e32 v16, v16, v19
	v_add_u32_e32 v17, 0x200, v17
	s_andn2_b64 exec, exec, s[42:43]
	s_cbranch_execnz .LBB69_26
; %bb.27:
	s_or_b64 exec, exec, s[42:43]
.LBB69_28:
	s_or_b64 exec, exec, s[40:41]
	ds_bpermute_b32 v10, v10, v16
	s_waitcnt lgkmcnt(0)
	v_add_f32_e32 v10, v16, v10
	ds_bpermute_b32 v12, v12, v10
	s_waitcnt lgkmcnt(0)
	v_add_f32_e32 v10, v10, v12
	ds_bpermute_b32 v12, v13, v10
	v_xor_b32_e32 v13, 4, v2
	v_cmp_lt_i32_e64 s[12:13], v13, v3
	s_waitcnt lgkmcnt(0)
	v_add_f32_e32 v10, v10, v12
	v_cndmask_b32_e64 v13, v2, v13, s[12:13]
	v_lshlrev_b32_e32 v13, 2, v13
	ds_bpermute_b32 v12, v13, v10
	v_xor_b32_e32 v13, 2, v2
	v_cmp_lt_i32_e64 s[12:13], v13, v3
	s_waitcnt lgkmcnt(0)
	v_add_f32_e32 v3, v10, v12
	v_cndmask_b32_e64 v2, v2, v13, s[12:13]
	v_lshlrev_b32_e32 v2, 2, v2
	ds_bpermute_b32 v2, v2, v3
	s_waitcnt lgkmcnt(0)
	v_add_f32_e32 v2, v3, v2
	ds_bpermute_b32 v3, v14, v2
	s_waitcnt lgkmcnt(0)
	v_add_f32_e32 v2, v2, v3
	s_and_saveexec_b64 s[12:13], vcc
	s_cbranch_execz .LBB69_30
; %bb.29:
	ds_write_b32 v5, v2 offset:200
.LBB69_30:
	s_or_b64 exec, exec, s[12:13]
	s_waitcnt lgkmcnt(0)
	s_barrier
	s_and_saveexec_b64 s[12:13], s[0:1]
	s_cbranch_execz .LBB69_32
; %bb.31:
	ds_read_b32 v2, v11 offset:200
.LBB69_32:
	s_or_b64 exec, exec, s[12:13]
	s_waitcnt lgkmcnt(0)
	ds_bpermute_b32 v3, v14, v2
	s_waitcnt lgkmcnt(0)
	v_add_f32_e32 v2, v2, v3
	ds_bpermute_b32 v5, v15, v2
	s_and_saveexec_b64 s[0:1], s[8:9]
	s_cbranch_execz .LBB69_45
; %bb.33:
	s_waitcnt lgkmcnt(0)
	v_add_f32_e32 v2, 0x358637bd, v5
	v_div_scale_f32 v3, s[8:9], v2, v2, 1.0
	v_rcp_f32_e32 v10, v3
	v_div_scale_f32 v11, vcc, 1.0, v2, 1.0
	s_movk_i32 s8, 0x7f
	v_fma_f32 v12, -v3, v10, 1.0
	v_fmac_f32_e32 v10, v12, v10
	v_mul_f32_e32 v12, v11, v10
	v_fma_f32 v13, -v3, v12, v11
	v_fmac_f32_e32 v12, v13, v10
	v_fma_f32 v3, -v3, v12, v11
	v_div_fmas_f32 v3, v3, v10, v12
	v_div_fixup_f32 v2, v3, v2, 1.0
	v_xad_u32 v3, v0, -1, s20
	v_subrev_u32_e32 v10, s51, v3
	v_cmp_lt_u32_e32 vcc, s8, v10
	s_mov_b64 s[12:13], -1
	v_mov_b32_e32 v3, v0
	s_and_saveexec_b64 s[8:9], vcc
	s_cbranch_execz .LBB69_42
; %bb.34:
	v_lshrrev_b32_e32 v10, 7, v10
	v_add_u32_e32 v12, -1, v10
	v_lshrrev_b32_e32 v11, 1, v12
	v_mov_b32_e32 v3, v2
	v_add_u32_e32 v11, 1, v11
	v_cmp_lt_u32_e32 vcc, 13, v12
	v_mov_b32_e32 v14, 0
	s_and_saveexec_b64 s[12:13], vcc
	s_cbranch_execz .LBB69_38
; %bb.35:
	v_mov_b32_e32 v13, 0xd0
	v_and_b32_e32 v12, -8, v11
	v_lshl_add_u32 v13, v0, 2, v13
	s_mov_b32 s20, 0
	s_mov_b64 s[40:41], 0
.LBB69_36:                              ; =>This Inner Loop Header: Depth=1
	ds_read2st64_b32 v[14:15], v13 offset1:2
	ds_read2st64_b32 v[16:17], v13 offset0:4 offset1:6
	ds_read2st64_b32 v[18:19], v13 offset0:8 offset1:10
	;; [unrolled: 1-line block ×3, first 2 shown]
	v_add_u32_e32 v12, -8, v12
	s_waitcnt lgkmcnt(3)
	v_pk_mul_f32 v[14:15], v[2:3], v[14:15]
	s_waitcnt lgkmcnt(2)
	v_pk_mul_f32 v[16:17], v[2:3], v[16:17]
	ds_write2st64_b32 v13, v14, v15 offset1:2
	ds_write2st64_b32 v13, v16, v17 offset0:4 offset1:6
	ds_read2st64_b32 v[16:17], v13 offset0:16 offset1:18
	s_waitcnt lgkmcnt(4)
	v_pk_mul_f32 v[14:15], v[2:3], v[18:19]
	ds_write2st64_b32 v13, v14, v15 offset0:8 offset1:10
	s_waitcnt lgkmcnt(4)
	v_pk_mul_f32 v[14:15], v[2:3], v[22:23]
	ds_write2st64_b32 v13, v14, v15 offset0:12 offset1:14
	ds_read2st64_b32 v[14:15], v13 offset0:20 offset1:22
	s_waitcnt lgkmcnt(3)
	v_pk_mul_f32 v[16:17], v[2:3], v[16:17]
	ds_read2st64_b32 v[18:19], v13 offset0:24 offset1:26
	ds_write2st64_b32 v13, v16, v17 offset0:16 offset1:18
	ds_read2st64_b32 v[16:17], v13 offset0:28 offset1:30
	s_waitcnt lgkmcnt(3)
	v_pk_mul_f32 v[14:15], v[2:3], v[14:15]
	ds_write2st64_b32 v13, v14, v15 offset0:20 offset1:22
	s_waitcnt lgkmcnt(3)
	v_pk_mul_f32 v[14:15], v[2:3], v[18:19]
	ds_write2st64_b32 v13, v14, v15 offset0:24 offset1:26
	s_waitcnt lgkmcnt(2)
	v_pk_mul_f32 v[14:15], v[2:3], v[16:17]
	s_add_i32 s20, s20, 16
	v_cmp_eq_u32_e32 vcc, 0, v12
	ds_write2st64_b32 v13, v14, v15 offset0:28 offset1:30
	v_add_u32_e32 v13, 0x2000, v13
	s_or_b64 s[40:41], vcc, s[40:41]
	v_mov_b32_e32 v14, s20
	s_andn2_b64 exec, exec, s[40:41]
	s_cbranch_execnz .LBB69_36
; %bb.37:
	s_or_b64 exec, exec, s[40:41]
.LBB69_38:
	s_or_b64 exec, exec, s[12:13]
	v_and_b32_e32 v11, 7, v11
	v_cmp_ne_u32_e32 vcc, 0, v11
	s_and_saveexec_b64 s[12:13], vcc
	s_cbranch_execz .LBB69_41
; %bb.39:
	v_lshlrev_b32_e32 v12, 9, v14
	v_lshlrev_b32_e32 v13, 2, v0
	s_movk_i32 s20, 0xd0
	v_add3_u32 v12, v12, v13, s20
	s_mov_b64 s[40:41], 0
.LBB69_40:                              ; =>This Inner Loop Header: Depth=1
	ds_read2st64_b32 v[14:15], v12 offset1:2
	v_add_u32_e32 v11, -1, v11
	v_cmp_eq_u32_e32 vcc, 0, v11
	s_or_b64 s[40:41], vcc, s[40:41]
	s_waitcnt lgkmcnt(0)
	v_pk_mul_f32 v[14:15], v[2:3], v[14:15]
	ds_write2st64_b32 v12, v14, v15 offset1:2
	v_add_u32_e32 v12, 0x400, v12
	s_andn2_b64 exec, exec, s[40:41]
	s_cbranch_execnz .LBB69_40
.LBB69_41:
	s_or_b64 exec, exec, s[12:13]
	v_add_u32_e32 v10, 1, v10
	v_and_b32_e32 v11, 0x3fffffe, v10
	v_cmp_ne_u32_e32 vcc, v10, v11
	v_lshl_add_u32 v3, v11, 7, v0
	s_orn2_b64 s[12:13], vcc, exec
.LBB69_42:
	s_or_b64 exec, exec, s[8:9]
	s_and_b64 exec, exec, s[12:13]
	s_cbranch_execz .LBB69_45
; %bb.43:
	v_mov_b32_e32 v10, 0xd0
	v_lshl_add_u32 v10, v3, 2, v10
	s_mov_b64 s[8:9], 0
.LBB69_44:                              ; =>This Inner Loop Header: Depth=1
	ds_read_b32 v11, v10
	v_add_u32_e32 v3, 0x80, v3
	v_cmp_le_i32_e32 vcc, s19, v3
	s_or_b64 s[8:9], vcc, s[8:9]
	s_waitcnt lgkmcnt(0)
	v_mul_f32_e32 v11, v2, v11
	ds_write_b32 v10, v11
	v_add_u32_e32 v10, 0x200, v10
	s_andn2_b64 exec, exec, s[8:9]
	s_cbranch_execnz .LBB69_44
.LBB69_45:
	s_or_b64 exec, exec, s[0:1]
	s_mul_i32 s1, s15, s30
	s_mov_b32 s0, 0
	v_cmp_eq_u32_e32 vcc, 0, v0
	s_mul_i32 s8, s1, s5
	s_waitcnt lgkmcnt(0)
	s_barrier
	s_and_saveexec_b64 s[12:13], vcc
	s_cbranch_execz .LBB69_47
; %bb.46:
	s_ashr_i32 s9, s8, 31
	s_lshl_b64 s[40:41], s[8:9], 2
	s_add_u32 s1, s26, s40
	s_mul_i32 s26, s15, s2
	s_addc_u32 s5, s27, s41
	s_ashr_i32 s27, s26, 31
	s_lshl_b64 s[26:27], s[26:27], 2
	s_add_u32 s1, s1, s26
	s_addc_u32 s2, s5, s27
	s_ashr_i32 s5, s4, 31
	s_lshl_b64 s[42:43], s[4:5], 2
	s_add_u32 s44, s1, s42
	s_addc_u32 s45, s2, s43
	s_add_u32 s1, s24, s40
	s_addc_u32 s2, s25, s41
	;; [unrolled: 2-line block ×3, first 2 shown]
	s_add_u32 s24, s1, s42
	v_mov_b32_e32 v2, 0
	s_addc_u32 s25, s2, s43
	global_store_dword v2, v4, s[44:45]
	global_store_dword v2, v5, s[24:25]
.LBB69_47:
	s_or_b64 exec, exec, s[12:13]
	s_mov_b32 s1, s0
	v_mov_b64_e32 v[10:11], s[0:1]
	s_and_saveexec_b64 s[12:13], s[6:7]
	s_cbranch_execz .LBB69_59
; %bb.48:
	s_ashr_i32 s19, s18, 31
	s_sub_i32 s5, s16, s21
	s_lshl_b64 s[0:1], s[18:19], 1
	s_add_u32 s6, s38, s0
	s_addc_u32 s7, s39, s1
	s_abs_i32 s22, s22
	v_cvt_f32_u32_e32 v5, s22
	v_or_b32_e32 v3, 64, v20
	s_movk_i32 s1, 0x60
	v_cmp_gt_u32_e32 vcc, s1, v3
	v_lshlrev_b32_e32 v4, 3, v3
	v_rcp_iflag_f32_e32 v3, v5
	s_sub_i32 s1, 0, s22
	s_add_i32 s24, s3, -1
	s_lshl_b64 s[2:3], s[36:37], 2
	v_mul_f32_e32 v3, 0x4f7ffffe, v3
	v_cvt_u32_f32_e32 v3, v3
	s_mov_b32 s0, 0
	s_add_u32 s2, s34, s2
	v_lshlrev_b32_e32 v2, 3, v20
	v_mul_lo_u32 v5, s1, v3
	v_mul_hi_u32 v5, v3, v5
	v_add_u32_e32 v21, v3, v5
	s_addc_u32 s3, s35, s3
	v_mov_b32_e32 v3, 0xd0
	s_mov_b32 s1, s0
	s_mov_b32 s9, s17
	v_mov_b32_e32 v13, 0
	s_mov_b32 s25, s31
	s_mov_b32 s26, s31
	;; [unrolled: 1-line block ×7, first 2 shown]
	v_lshl_add_u64 v[14:15], v[8:9], 2, s[2:3]
	v_lshl_add_u32 v7, v7, 5, v3
	s_mov_b64 s[16:17], 0
	v_mov_b64_e32 v[10:11], s[0:1]
	v_lshlrev_b32_e32 v12, 1, v2
	s_mov_b32 s34, 0x5040100
	v_lshlrev_b32_e32 v16, 1, v4
	s_branch .LBB69_52
.LBB69_49:                              ;   in Loop: Header=BB69_52 Depth=1
	s_or_b64 exec, exec, s[20:21]
	s_waitcnt vmcnt(0)
	;;#ASMSTART
	v_pk_mul_f16 v2, v24, v2;

	;;#ASMEND
	;;#ASMSTART
	v_pk_mul_f16 v3, v23, v3;

	;;#ASMEND
	;; [unrolled: 4-line block ×4, first 2 shown]
	s_nop 0
	;;#ASMSTART
	v_pk_add_f16 v2, v2, v3;

	;;#ASMEND
	s_nop 0
	;;#ASMSTART
	v_pk_add_f16 v2, v2, v4;

	;;#ASMEND
	;; [unrolled: 5-line block ×3, first 2 shown]
	s_nop 0
	v_lshrrev_b32_e32 v3, 16, v2
	v_and_b32_e32 v2, 0xffff, v2
	;;#ASMSTART
	v_cvt_f32_f16 v2, v2;
	;;#ASMEND
	;;#ASMSTART
	v_cvt_f32_f16 v3, v3;
	;;#ASMEND
	s_nop 0
	v_add_f32_e32 v2, v2, v3
	v_add_f32_e32 v11, v11, v2
.LBB69_50:                              ;   in Loop: Header=BB69_52 Depth=1
	s_or_b64 exec, exec, s[2:3]
.LBB69_51:                              ;   in Loop: Header=BB69_52 Depth=1
	s_or_b64 exec, exec, s[18:19]
	v_add_u32_e32 v8, 2, v8
	v_cmp_le_i32_e64 s[0:1], s50, v8
	v_lshl_add_u64 v[14:15], v[14:15], 0, 8
	v_add_u32_e32 v1, 16, v1
	s_or_b64 s[16:17], s[0:1], s[16:17]
	v_add_u32_e32 v7, 64, v7
	s_andn2_b64 exec, exec, s[16:17]
	s_cbranch_execz .LBB69_58
.LBB69_52:                              ; =>This Inner Loop Header: Depth=1
	v_sub_u32_e32 v3, 0, v1
	v_max_i32_e32 v3, v1, v3
	v_mul_hi_u32 v4, v3, s48
	v_mul_lo_u32 v5, v4, s33
	v_sub_u32_e32 v3, v3, v5
	v_add_u32_e32 v5, 1, v4
	v_cmp_le_u32_e64 s[0:1], s33, v3
	v_ashrrev_i32_e32 v2, 31, v1
	v_xor_b32_e32 v2, s23, v2
	v_cndmask_b32_e64 v4, v4, v5, s[0:1]
	v_subrev_u32_e32 v5, s33, v3
	v_cndmask_b32_e64 v3, v3, v5, s[0:1]
	v_add_u32_e32 v5, 1, v4
	v_cmp_le_u32_e64 s[0:1], s33, v3
	s_nop 1
	v_cndmask_b32_e64 v3, v4, v5, s[0:1]
	v_xor_b32_e32 v3, v3, v2
	v_sub_u32_e32 v2, v3, v2
	v_add_u32_e32 v3, s49, v2
	v_sub_u32_e32 v5, 0, v3
	v_ashrrev_i32_e32 v4, 31, v3
	v_max_i32_e32 v3, v3, v5
	v_mul_hi_u32 v5, v3, v21
	v_mul_lo_u32 v5, v5, s22
	v_sub_u32_e32 v3, v3, v5
	v_subrev_u32_e32 v5, s22, v3
	v_cmp_le_u32_e64 s[0:1], s22, v3
	v_cmp_lt_i32_e64 s[2:3], s5, v2
	s_nop 0
	v_cndmask_b32_e64 v3, v3, v5, s[0:1]
	v_subrev_u32_e32 v5, s22, v3
	v_cmp_le_u32_e64 s[0:1], s22, v3
	s_nop 1
	v_cndmask_b32_e64 v3, v3, v5, s[0:1]
	v_xor_b32_e32 v3, v3, v4
	v_sub_u32_e32 v3, v3, v4
	v_cmp_eq_u32_e64 s[0:1], 0, v3
	s_or_b64 s[0:1], s[0:1], s[2:3]
	s_and_saveexec_b64 s[18:19], s[0:1]
	s_cbranch_execz .LBB69_51
; %bb.53:                               ;   in Loop: Header=BB69_52 Depth=1
	global_load_dword v18, v[14:15], off
	ds_read2_b64 v[2:5], v7 offset1:1
	ds_read2_b64 v[26:29], v7 offset0:2 offset1:3
	s_waitcnt lgkmcnt(1)
	;;#ASMSTART
	v_cvt_f16_f32 v9, v2;

	;;#ASMEND
	;;#ASMSTART
	v_cvt_f16_f32 v17, v3;

	;;#ASMEND
	;;#ASMSTART
	v_cvt_f16_f32 v22, v4;

	;;#ASMEND
	;;#ASMSTART
	v_cvt_f16_f32 v23, v5;

	;;#ASMEND
	s_waitcnt lgkmcnt(0)
	;;#ASMSTART
	v_cvt_f16_f32 v25, v26;

	;;#ASMEND
	;;#ASMSTART
	v_cvt_f16_f32 v26, v27;

	;;#ASMEND
	;; [unrolled: 4-line block ×4, first 2 shown]
	s_waitcnt vmcnt(0)
	v_mad_i64_i32 v[2:3], s[0:1], v18, s9, 0
	v_lshl_add_u64 v[18:19], v[2:3], 1, s[6:7]
	v_lshl_add_u64 v[2:3], v[18:19], 0, v[12:13]
	global_load_dwordx4 v[2:5], v[2:3], off
	v_cmp_eq_u32_e64 s[0:1], s24, v8
	s_and_saveexec_b64 s[20:21], s[0:1]
	s_cbranch_execz .LBB69_55
; %bb.54:                               ;   in Loop: Header=BB69_52 Depth=1
	v_or_b32_e32 v33, 7, v1
	v_or_b32_e32 v34, 6, v1
	s_waitcnt vmcnt(0)
	v_lshrrev_b32_e32 v35, 16, v5
	v_cmp_gt_i32_e64 s[2:3], s40, v33
	v_or_b32_e32 v31, 5, v1
	v_or_b32_e32 v32, 4, v1
	v_cndmask_b32_e64 v33, 0, v35, s[2:3]
	v_cmp_gt_i32_e64 s[2:3], s39, v34
	v_or_b32_e32 v29, 3, v1
	v_or_b32_e32 v30, 2, v1
	v_cndmask_b32_e64 v5, 0, v5, s[2:3]
	v_perm_b32 v5, v33, v5, s34
	v_lshrrev_b32_e32 v33, 16, v4
	v_cmp_gt_i32_e64 s[2:3], s38, v31
	v_add_u32_e32 v24, 1, v1
	s_nop 0
	v_cndmask_b32_e64 v31, 0, v33, s[2:3]
	v_cmp_gt_i32_e64 s[2:3], s30, v32
	s_nop 1
	v_cndmask_b32_e64 v4, 0, v4, s[2:3]
	v_perm_b32 v4, v31, v4, s34
	v_lshrrev_b32_e32 v31, 16, v3
	v_cmp_gt_i32_e64 s[2:3], s27, v29
	s_nop 1
	v_cndmask_b32_e64 v29, 0, v31, s[2:3]
	v_cmp_gt_i32_e64 s[2:3], s26, v30
	s_nop 1
	v_cndmask_b32_e64 v3, 0, v3, s[2:3]
	v_perm_b32 v3, v29, v3, s34
	v_lshrrev_b32_e32 v29, 16, v2
	v_cmp_gt_i32_e64 s[2:3], s25, v24
	s_nop 1
	v_cndmask_b32_e64 v24, 0, v29, s[2:3]
	v_cmp_gt_i32_e64 s[2:3], s31, v1
	s_nop 1
	v_cndmask_b32_e64 v2, 0, v2, s[2:3]
	v_perm_b32 v2, v24, v2, s34
.LBB69_55:                              ;   in Loop: Header=BB69_52 Depth=1
	s_or_b64 exec, exec, s[20:21]
	v_and_b32_e32 v9, 0xffff, v9
	v_lshl_or_b32 v24, v17, 16, v9
	v_and_b32_e32 v9, 0xffff, v22
	v_lshl_or_b32 v23, v23, 16, v9
	;; [unrolled: 2-line block ×3, first 2 shown]
	v_and_b32_e32 v9, 0xffff, v27
	s_waitcnt vmcnt(0)
	;;#ASMSTART
	v_pk_mul_f16 v2, v24, v2;

	;;#ASMEND
	v_lshl_or_b32 v9, v28, 16, v9
	;;#ASMSTART
	v_pk_mul_f16 v3, v23, v3;

	;;#ASMEND
	;;#ASMSTART
	v_pk_mul_f16 v4, v22, v4;

	;;#ASMEND
	;; [unrolled: 4-line block ×3, first 2 shown]
	s_nop 0
	;;#ASMSTART
	v_pk_add_f16 v2, v2, v3;

	;;#ASMEND
	s_nop 0
	;;#ASMSTART
	v_pk_add_f16 v2, v2, v4;

	;;#ASMEND
	;; [unrolled: 5-line block ×3, first 2 shown]
	s_nop 0
	v_lshrrev_b32_e32 v3, 16, v2
	v_and_b32_e32 v2, 0xffff, v2
	;;#ASMSTART
	v_cvt_f32_f16 v2, v2;
	;;#ASMEND
	;;#ASMSTART
	v_cvt_f32_f16 v3, v3;
	;;#ASMEND
	s_nop 0
	v_add_f32_e32 v2, v2, v3
	v_add_f32_e32 v10, v10, v2
	s_and_saveexec_b64 s[2:3], vcc
	s_cbranch_execz .LBB69_50
; %bb.56:                               ;   in Loop: Header=BB69_52 Depth=1
	v_mov_b32_e32 v17, v13
	v_lshl_add_u64 v[2:3], v[18:19], 0, v[16:17]
	global_load_dwordx4 v[2:5], v[2:3], off
	s_and_saveexec_b64 s[20:21], s[0:1]
	s_cbranch_execz .LBB69_49
; %bb.57:                               ;   in Loop: Header=BB69_52 Depth=1
	v_or_b32_e32 v27, 7, v1
	v_or_b32_e32 v28, 6, v1
	s_waitcnt vmcnt(0)
	v_lshrrev_b32_e32 v29, 16, v5
	v_cmp_gt_i32_e64 s[0:1], s40, v27
	v_or_b32_e32 v25, 5, v1
	v_or_b32_e32 v26, 4, v1
	v_cndmask_b32_e64 v27, 0, v29, s[0:1]
	v_cmp_gt_i32_e64 s[0:1], s39, v28
	v_or_b32_e32 v18, 3, v1
	v_or_b32_e32 v19, 2, v1
	v_cndmask_b32_e64 v5, 0, v5, s[0:1]
	v_perm_b32 v5, v27, v5, s34
	v_lshrrev_b32_e32 v27, 16, v4
	v_cmp_gt_i32_e64 s[0:1], s38, v25
	v_add_u32_e32 v17, 1, v1
	s_nop 0
	v_cndmask_b32_e64 v25, 0, v27, s[0:1]
	v_cmp_gt_i32_e64 s[0:1], s30, v26
	s_nop 1
	v_cndmask_b32_e64 v4, 0, v4, s[0:1]
	v_perm_b32 v4, v25, v4, s34
	v_lshrrev_b32_e32 v25, 16, v3
	v_cmp_gt_i32_e64 s[0:1], s27, v18
	s_nop 1
	v_cndmask_b32_e64 v18, 0, v25, s[0:1]
	v_cmp_gt_i32_e64 s[0:1], s26, v19
	s_nop 1
	v_cndmask_b32_e64 v3, 0, v3, s[0:1]
	v_perm_b32 v3, v18, v3, s34
	v_lshrrev_b32_e32 v18, 16, v2
	v_cmp_gt_i32_e64 s[0:1], s25, v17
	s_nop 1
	v_cndmask_b32_e64 v17, 0, v18, s[0:1]
	v_cmp_gt_i32_e64 s[0:1], s31, v1
	s_nop 1
	v_cndmask_b32_e64 v2, 0, v2, s[0:1]
	v_perm_b32 v2, v17, v2, s34
	s_branch .LBB69_49
.LBB69_58:
	s_or_b64 exec, exec, s[16:17]
.LBB69_59:
	s_or_b64 exec, exec, s[12:13]
	v_and_b32_e32 v1, 0x3c0, v0
	v_cmp_eq_u32_e32 vcc, 64, v1
	s_barrier
	s_and_saveexec_b64 s[0:1], vcc
	s_cbranch_execz .LBB69_62
; %bb.60:
	v_mov_b32_e32 v1, 0xd0
	v_lshl_add_u32 v2, v20, 2, v1
	ds_write_b32 v2, v10
	s_and_b64 exec, exec, s[10:11]
	s_cbranch_execz .LBB69_62
; %bb.61:
	v_lshl_add_u32 v1, v0, 2, v1
	ds_write_b32 v1, v11
.LBB69_62:
	s_or_b64 exec, exec, s[0:1]
	v_cmp_gt_u32_e32 vcc, 64, v0
	v_or_b32_e32 v1, 64, v0
	s_waitcnt lgkmcnt(0)
	s_barrier
	s_and_saveexec_b64 s[2:3], vcc
	s_cbranch_execz .LBB69_66
; %bb.63:
	v_mov_b32_e32 v2, 0xd0
	v_lshl_add_u32 v0, v0, 2, v2
	ds_read_b32 v2, v0
	s_movk_i32 s0, 0x60
	v_cmp_gt_u32_e64 s[0:1], s0, v1
	s_waitcnt lgkmcnt(0)
	v_add_f32_e32 v10, v10, v2
	s_and_saveexec_b64 s[6:7], s[0:1]
	s_cbranch_execz .LBB69_65
; %bb.64:
	ds_read_b32 v0, v0 offset:256
	s_waitcnt lgkmcnt(0)
	v_add_f32_e32 v11, v11, v0
.LBB69_65:
	s_or_b64 exec, exec, s[6:7]
.LBB69_66:
	s_or_b64 exec, exec, s[2:3]
	s_barrier
	s_and_saveexec_b64 s[0:1], vcc
	s_cbranch_execz .LBB69_69
; %bb.67:
	s_mul_i32 s0, s8, 0x60
	s_ashr_i32 s1, s0, 31
	s_lshl_b64 s[0:1], s[0:1], 1
	s_add_u32 s3, s28, s0
	s_mul_i32 s0, s15, s14
	s_addc_u32 s5, s29, s1
	s_ashr_i32 s1, s0, 31
	s_lshl_b64 s[0:1], s[0:1], 1
	s_add_u32 s3, s3, s0
	s_mul_i32 s0, s4, 0x60
	s_addc_u32 s5, s5, s1
	s_ashr_i32 s1, s0, 31
	s_lshl_b64 s[0:1], s[0:1], 1
	s_movk_i32 s2, 0x60
	s_add_u32 s0, s3, s0
	s_addc_u32 s1, s5, s1
	v_cmp_gt_u32_e32 vcc, s2, v1
	;;#ASMSTART
	v_cvt_f16_f32 v0, v10;

	;;#ASMEND
	global_store_short v6, v0, s[0:1]
	s_and_b64 exec, exec, vcc
	s_cbranch_execz .LBB69_69
; %bb.68:
	v_mov_b32_e32 v7, 0
	v_lshl_add_u64 v[0:1], s[0:1], 0, v[6:7]
	;;#ASMSTART
	v_cvt_f16_f32 v2, v11;

	;;#ASMEND
	global_store_short v[0:1], v2, off offset:128
.LBB69_69:
	s_endpgm
	.section	.rodata,"a",@progbits
	.p2align	6, 0x0
	.amdhsa_kernel _ZN4vllm25paged_attention_v2_kernelIttLi96ELi8ELi128ELNS_18Fp8KVCacheDataTypeE0ELb1ELi512EEEvPfS2_PT_PKS3_PKT0_S9_ifPKiSB_iPKfiiiSD_SD_iiiii
		.amdhsa_group_segment_fixed_size 208
		.amdhsa_private_segment_fixed_size 0
		.amdhsa_kernarg_size 400
		.amdhsa_user_sgpr_count 2
		.amdhsa_user_sgpr_dispatch_ptr 0
		.amdhsa_user_sgpr_queue_ptr 0
		.amdhsa_user_sgpr_kernarg_segment_ptr 1
		.amdhsa_user_sgpr_dispatch_id 0
		.amdhsa_user_sgpr_kernarg_preload_length 0
		.amdhsa_user_sgpr_kernarg_preload_offset 0
		.amdhsa_user_sgpr_private_segment_size 0
		.amdhsa_uses_dynamic_stack 0
		.amdhsa_enable_private_segment 0
		.amdhsa_system_sgpr_workgroup_id_x 1
		.amdhsa_system_sgpr_workgroup_id_y 1
		.amdhsa_system_sgpr_workgroup_id_z 1
		.amdhsa_system_sgpr_workgroup_info 0
		.amdhsa_system_vgpr_workitem_id 0
		.amdhsa_next_free_vgpr 48
		.amdhsa_next_free_sgpr 54
		.amdhsa_accum_offset 48
		.amdhsa_reserve_vcc 1
		.amdhsa_float_round_mode_32 0
		.amdhsa_float_round_mode_16_64 0
		.amdhsa_float_denorm_mode_32 3
		.amdhsa_float_denorm_mode_16_64 3
		.amdhsa_dx10_clamp 1
		.amdhsa_ieee_mode 1
		.amdhsa_fp16_overflow 0
		.amdhsa_tg_split 0
		.amdhsa_exception_fp_ieee_invalid_op 0
		.amdhsa_exception_fp_denorm_src 0
		.amdhsa_exception_fp_ieee_div_zero 0
		.amdhsa_exception_fp_ieee_overflow 0
		.amdhsa_exception_fp_ieee_underflow 0
		.amdhsa_exception_fp_ieee_inexact 0
		.amdhsa_exception_int_div_zero 0
	.end_amdhsa_kernel
	.section	.text._ZN4vllm25paged_attention_v2_kernelIttLi96ELi8ELi128ELNS_18Fp8KVCacheDataTypeE0ELb1ELi512EEEvPfS2_PT_PKS3_PKT0_S9_ifPKiSB_iPKfiiiSD_SD_iiiii,"axG",@progbits,_ZN4vllm25paged_attention_v2_kernelIttLi96ELi8ELi128ELNS_18Fp8KVCacheDataTypeE0ELb1ELi512EEEvPfS2_PT_PKS3_PKT0_S9_ifPKiSB_iPKfiiiSD_SD_iiiii,comdat
.Lfunc_end69:
	.size	_ZN4vllm25paged_attention_v2_kernelIttLi96ELi8ELi128ELNS_18Fp8KVCacheDataTypeE0ELb1ELi512EEEvPfS2_PT_PKS3_PKT0_S9_ifPKiSB_iPKfiiiSD_SD_iiiii, .Lfunc_end69-_ZN4vllm25paged_attention_v2_kernelIttLi96ELi8ELi128ELNS_18Fp8KVCacheDataTypeE0ELb1ELi512EEEvPfS2_PT_PKS3_PKT0_S9_ifPKiSB_iPKfiiiSD_SD_iiiii
                                        ; -- End function
	.section	.AMDGPU.csdata,"",@progbits
; Kernel info:
; codeLenInByte = 5384
; NumSgprs: 60
; NumVgprs: 48
; NumAgprs: 0
; TotalNumVgprs: 48
; ScratchSize: 0
; MemoryBound: 0
; FloatMode: 240
; IeeeMode: 1
; LDSByteSize: 208 bytes/workgroup (compile time only)
; SGPRBlocks: 7
; VGPRBlocks: 5
; NumSGPRsForWavesPerEU: 60
; NumVGPRsForWavesPerEU: 48
; AccumOffset: 48
; Occupancy: 8
; WaveLimiterHint : 1
; COMPUTE_PGM_RSRC2:SCRATCH_EN: 0
; COMPUTE_PGM_RSRC2:USER_SGPR: 2
; COMPUTE_PGM_RSRC2:TRAP_HANDLER: 0
; COMPUTE_PGM_RSRC2:TGID_X_EN: 1
; COMPUTE_PGM_RSRC2:TGID_Y_EN: 1
; COMPUTE_PGM_RSRC2:TGID_Z_EN: 1
; COMPUTE_PGM_RSRC2:TIDIG_COMP_CNT: 0
; COMPUTE_PGM_RSRC3_GFX90A:ACCUM_OFFSET: 11
; COMPUTE_PGM_RSRC3_GFX90A:TG_SPLIT: 0
	.section	.text._ZN4vllm32paged_attention_v2_reduce_kernelItLi96ELi128ELi512EEEvPT_PKfS4_PKS1_PKii,"axG",@progbits,_ZN4vllm32paged_attention_v2_reduce_kernelItLi96ELi128ELi512EEEvPT_PKfS4_PKS1_PKii,comdat
	.protected	_ZN4vllm32paged_attention_v2_reduce_kernelItLi96ELi128ELi512EEEvPT_PKfS4_PKS1_PKii ; -- Begin function _ZN4vllm32paged_attention_v2_reduce_kernelItLi96ELi128ELi512EEEvPT_PKfS4_PKS1_PKii
	.globl	_ZN4vllm32paged_attention_v2_reduce_kernelItLi96ELi128ELi512EEEvPT_PKfS4_PKS1_PKii
	.p2align	8
	.type	_ZN4vllm32paged_attention_v2_reduce_kernelItLi96ELi128ELi512EEEvPT_PKfS4_PKS1_PKii,@function
_ZN4vllm32paged_attention_v2_reduce_kernelItLi96ELi128ELi512EEEvPT_PKfS4_PKS1_PKii: ; @_ZN4vllm32paged_attention_v2_reduce_kernelItLi96ELi128ELi512EEEvPT_PKfS4_PKS1_PKii
; %bb.0:
	s_load_dwordx4 s[8:11], s[0:1], 0x18
	s_add_u32 s6, s0, 48
	s_mov_b32 s12, s3
	s_addc_u32 s7, s1, 0
	s_ashr_i32 s13, s3, 31
	s_lshl_b64 s[4:5], s[12:13], 2
	s_waitcnt lgkmcnt(0)
	s_add_u32 s4, s10, s4
	s_addc_u32 s5, s11, s5
	s_load_dword s26, s[4:5], 0x0
	s_load_dwordx2 s[10:11], s[0:1], 0x0
	s_load_dword s13, s[0:1], 0x28
	s_load_dword s3, s[0:1], 0x30
	s_waitcnt lgkmcnt(0)
	s_add_i32 s4, s26, -1
	s_cmpk_gt_u32 s4, 0x1ff
	s_mov_b64 s[4:5], -1
	s_cbranch_scc0 .LBB70_25
; %bb.1:
	s_add_i32 s4, s26, 0x1ff
	s_load_dwordx2 s[18:19], s[0:1], 0x8
	s_ashr_i32 s5, s4, 31
	s_lshr_b32 s5, s5, 23
	s_add_i32 s4, s4, s5
	s_mul_i32 s24, s3, s12
	s_ashr_i32 s25, s4, 9
	s_mul_i32 s14, s24, s13
	s_mul_i32 s16, s2, s13
	s_ashr_i32 s15, s14, 31
	s_ashr_i32 s17, s16, 31
	v_cmp_gt_i32_e32 vcc, s25, v0
	v_mov_b32_e32 v6, 0xff7fffff
	v_lshlrev_b32_e32 v2, 2, v0
	s_and_saveexec_b64 s[4:5], vcc
	s_cbranch_execz .LBB70_5
; %bb.2:
	s_load_dword s20, s[6:7], 0xc
	s_load_dwordx2 s[22:23], s[0:1], 0x10
	s_lshl_b64 s[0:1], s[14:15], 2
	s_lshl_b64 s[28:29], s[16:17], 2
	v_mov_b32_e32 v3, 0
	s_waitcnt lgkmcnt(0)
	s_and_b32 s27, s20, 0xffff
	s_add_u32 s0, s0, s28
	s_addc_u32 s1, s1, s29
	s_add_u32 s0, s22, s0
	s_addc_u32 s1, s23, s1
	s_mov_b32 s21, 0
	v_lshl_add_u64 v[4:5], s[0:1], 0, v[2:3]
	s_lshl_b32 s20, s27, 2
	v_add_u32_e32 v1, 16, v2
	s_mov_b64 s[22:23], 0
	v_mov_b32_e32 v6, 0xff7fffff
	v_mov_b32_e32 v3, v0
.LBB70_3:                               ; =>This Inner Loop Header: Depth=1
	global_load_dword v7, v[4:5], off
	v_add_u32_e32 v3, s27, v3
	v_max_f32_e32 v6, v6, v6
	v_cmp_le_i32_e64 s[0:1], s25, v3
	v_lshl_add_u64 v[4:5], v[4:5], 0, s[20:21]
	s_or_b64 s[22:23], s[0:1], s[22:23]
	s_waitcnt vmcnt(0)
	ds_write_b32 v1, v7
	v_max_f32_e32 v7, v7, v7
	v_add_u32_e32 v1, s20, v1
	v_max_f32_e32 v6, v6, v7
	s_andn2_b64 exec, exec, s[22:23]
	s_cbranch_execnz .LBB70_3
; %bb.4:
	s_or_b64 exec, exec, s[22:23]
.LBB70_5:
	s_or_b64 exec, exec, s[4:5]
	v_mbcnt_lo_u32_b32 v1, -1, 0
	v_mbcnt_hi_u32_b32 v3, -1, v1
	v_and_b32_e32 v1, 64, v3
	v_add_u32_e32 v7, 64, v1
	v_xor_b32_e32 v1, 32, v3
	v_cmp_lt_i32_e64 s[0:1], v1, v7
	v_max_f32_e32 v5, v6, v6
	v_xor_b32_e32 v8, 8, v3
	v_cndmask_b32_e64 v1, v3, v1, s[0:1]
	v_lshlrev_b32_e32 v1, 2, v1
	ds_bpermute_b32 v4, v1, v6
	v_xor_b32_e32 v6, 16, v3
	v_cmp_lt_i32_e64 s[0:1], v6, v7
	v_xor_b32_e32 v9, 4, v3
	v_xor_b32_e32 v10, 2, v3
	s_waitcnt lgkmcnt(0)
	v_max_f32_e32 v4, v4, v4
	v_max_f32_e32 v4, v5, v4
	v_cndmask_b32_e64 v5, v3, v6, s[0:1]
	v_lshlrev_b32_e32 v6, 2, v5
	ds_bpermute_b32 v5, v6, v4
	v_cmp_lt_i32_e64 s[0:1], v8, v7
	v_lshrrev_b32_e32 v13, 6, v0
	s_waitcnt lgkmcnt(0)
	s_barrier
	v_max_f32_e32 v5, v5, v5
	v_max_f32_e32 v4, v4, v5
	v_cndmask_b32_e64 v5, v3, v8, s[0:1]
	v_lshlrev_b32_e32 v8, 2, v5
	ds_bpermute_b32 v5, v8, v4
	v_cmp_lt_i32_e64 s[0:1], v9, v7
	s_waitcnt lgkmcnt(0)
	v_max_f32_e32 v5, v5, v5
	v_max_f32_e32 v4, v4, v5
	v_cndmask_b32_e64 v5, v3, v9, s[0:1]
	v_lshlrev_b32_e32 v9, 2, v5
	ds_bpermute_b32 v5, v9, v4
	v_cmp_lt_i32_e64 s[0:1], v10, v7
	s_waitcnt lgkmcnt(0)
	v_max_f32_e32 v5, v5, v5
	v_max_f32_e32 v5, v4, v5
	v_cndmask_b32_e64 v4, v3, v10, s[0:1]
	v_lshlrev_b32_e32 v10, 2, v4
	ds_bpermute_b32 v11, v10, v5
	v_and_b32_e32 v4, 63, v0
	s_waitcnt lgkmcnt(0)
	v_max_f32_e32 v11, v11, v11
	v_max_f32_e32 v5, v5, v11
	v_xor_b32_e32 v11, 1, v3
	v_cmp_lt_i32_e64 s[0:1], v11, v7
	s_nop 1
	v_cndmask_b32_e64 v7, v3, v11, s[0:1]
	v_lshlrev_b32_e32 v7, 2, v7
	ds_bpermute_b32 v12, v7, v5
	v_cmp_eq_u32_e64 s[0:1], 0, v4
	v_lshlrev_b32_e32 v11, 2, v13
	s_and_saveexec_b64 s[4:5], s[0:1]
	s_cbranch_execz .LBB70_7
; %bb.6:
	s_waitcnt lgkmcnt(0)
	v_max_f32_e32 v12, v12, v12
	v_max_f32_e32 v5, v5, v5
	;; [unrolled: 1-line block ×3, first 2 shown]
	ds_write_b32 v11, v5
.LBB70_7:
	s_or_b64 exec, exec, s[4:5]
	v_cmp_gt_u32_e64 s[4:5], 2, v4
	v_mov_b32_e32 v5, 0xff7fffff
	s_waitcnt lgkmcnt(0)
	v_lshlrev_b32_e32 v12, 2, v4
	s_barrier
	s_and_saveexec_b64 s[20:21], s[4:5]
	s_cbranch_execz .LBB70_9
; %bb.8:
	ds_read_b32 v5, v12
.LBB70_9:
	s_or_b64 exec, exec, s[20:21]
	s_waitcnt lgkmcnt(0)
	ds_bpermute_b32 v4, v7, v5
	v_max_f32_e32 v5, v5, v5
	v_lshlrev_b32_e32 v3, 2, v3
	v_and_b32_e32 v13, 0x100, v3
	s_lshl_b32 s27, s25, 2
	s_waitcnt lgkmcnt(0)
	v_max_f32_e32 v4, v4, v4
	v_max_f32_e32 v4, v5, v4
	ds_bpermute_b32 v14, v13, v4
	v_mov_b32_e32 v3, 0
	s_and_saveexec_b64 s[20:21], vcc
	s_cbranch_execz .LBB70_13
; %bb.10:
	s_load_dword s22, s[6:7], 0xc
	s_lshl_b64 s[28:29], s[14:15], 2
	s_lshl_b64 s[30:31], s[16:17], 2
	v_mov_b32_e32 v3, 0
	s_mov_b32 s23, 0
	s_waitcnt lgkmcnt(0)
	s_and_b32 s15, s22, 0xffff
	s_add_u32 s17, s28, s30
	s_addc_u32 s22, s29, s31
	s_add_u32 s18, s18, s17
	s_addc_u32 s19, s19, s22
	v_lshl_add_u64 v[4:5], s[18:19], 0, v[2:3]
	s_lshl_b32 s22, s15, 2
	v_add_u32_e32 v2, 16, v2
	s_mov_b64 s[18:19], 0
	s_mov_b32 s17, 0x3fb8aa3b
	s_mov_b32 s28, 0xc2ce8ed0
	;; [unrolled: 1-line block ×3, first 2 shown]
	v_mov_b32_e32 v15, 0x7f800000
	v_mov_b32_e32 v16, v0
.LBB70_11:                              ; =>This Inner Loop Header: Depth=1
	global_load_dword v17, v[4:5], off
	ds_read_b32 v18, v2
	v_add_u32_e32 v16, s15, v16
	v_cmp_le_i32_e32 vcc, s25, v16
	s_or_b64 s[18:19], vcc, s[18:19]
	v_add_u32_e32 v19, s27, v2
	s_waitcnt lgkmcnt(0)
	v_sub_f32_e32 v18, v18, v14
	v_mul_f32_e32 v20, 0x3fb8aa3b, v18
	v_fma_f32 v21, v18, s17, -v20
	v_rndne_f32_e32 v22, v20
	v_fmac_f32_e32 v21, 0x32a5705f, v18
	v_sub_f32_e32 v20, v20, v22
	v_add_f32_e32 v20, v20, v21
	v_cvt_i32_f32_e32 v22, v22
	v_exp_f32_e32 v20, v20
	v_cmp_ngt_f32_e32 vcc, s28, v18
	v_lshl_add_u64 v[4:5], v[4:5], 0, s[22:23]
	v_add_u32_e32 v2, s22, v2
	v_ldexp_f32 v20, v20, v22
	v_cndmask_b32_e32 v20, 0, v20, vcc
	v_cmp_nlt_f32_e32 vcc, s29, v18
	s_nop 1
	v_cndmask_b32_e32 v18, v15, v20, vcc
	s_waitcnt vmcnt(0)
	v_mul_f32_e32 v20, v17, v18
	v_fmac_f32_e32 v3, v17, v18
	ds_write_b32 v19, v20
	s_andn2_b64 exec, exec, s[18:19]
	s_cbranch_execnz .LBB70_11
; %bb.12:
	s_or_b64 exec, exec, s[18:19]
.LBB70_13:
	s_or_b64 exec, exec, s[20:21]
	ds_bpermute_b32 v1, v1, v3
	s_waitcnt lgkmcnt(0)
	s_barrier
	v_add_f32_e32 v1, v3, v1
	ds_bpermute_b32 v2, v6, v1
	s_waitcnt lgkmcnt(0)
	v_add_f32_e32 v1, v1, v2
	ds_bpermute_b32 v2, v8, v1
	s_waitcnt lgkmcnt(0)
	v_add_f32_e32 v1, v1, v2
	ds_bpermute_b32 v2, v9, v1
	s_waitcnt lgkmcnt(0)
	v_add_f32_e32 v1, v1, v2
	ds_bpermute_b32 v2, v10, v1
	s_waitcnt lgkmcnt(0)
	v_add_f32_e32 v1, v1, v2
	ds_bpermute_b32 v2, v7, v1
	s_waitcnt lgkmcnt(0)
	v_add_f32_e32 v1, v1, v2
	s_and_saveexec_b64 s[18:19], s[0:1]
	s_cbranch_execz .LBB70_15
; %bb.14:
	ds_write_b32 v11, v1 offset:8
.LBB70_15:
	s_or_b64 exec, exec, s[18:19]
	s_waitcnt lgkmcnt(0)
	s_barrier
	s_and_saveexec_b64 s[0:1], s[4:5]
	s_cbranch_execz .LBB70_17
; %bb.16:
	ds_read_b32 v1, v12 offset:8
.LBB70_17:
	s_or_b64 exec, exec, s[0:1]
	s_waitcnt lgkmcnt(0)
	ds_bpermute_b32 v2, v7, v1
	s_movk_i32 s0, 0x60
	v_cmp_gt_u32_e32 vcc, s0, v0
	s_waitcnt lgkmcnt(0)
	v_add_f32_e32 v1, v1, v2
	ds_bpermute_b32 v2, v13, v1
	s_and_saveexec_b64 s[0:1], vcc
	s_cbranch_execz .LBB70_24
; %bb.18:
	s_cmp_gt_i32 s26, 0
	s_mov_b32 s15, 0
	s_cbranch_scc1 .LBB70_20
; %bb.19:
	v_mov_b32_e32 v1, 0
	v_mov_b32_e32 v4, s15
	s_cbranch_execz .LBB70_21
	s_branch .LBB70_23
.LBB70_20:
                                        ; implicit-def: $sgpr15
	v_mov_b32_e32 v4, s15
.LBB70_21:
	s_waitcnt lgkmcnt(0)
	v_add_f32_e32 v1, 0x358637bd, v2
	v_div_scale_f32 v2, s[4:5], v1, v1, 1.0
	v_rcp_f32_e32 v3, v2
	s_mul_i32 s4, s14, 0x60
	s_mulk_i32 s16, 0x60
	s_ashr_i32 s5, s4, 31
	v_fma_f32 v4, -v2, v3, 1.0
	v_fmac_f32_e32 v3, v4, v3
	v_div_scale_f32 v4, vcc, 1.0, v1, 1.0
	v_mul_f32_e32 v5, v4, v3
	v_fma_f32 v6, -v2, v5, v4
	s_ashr_i32 s17, s16, 31
	s_max_i32 s15, s25, 1
	v_fmac_f32_e32 v5, v6, v3
	s_add_i32 s14, s27, 16
	s_lshl_b64 s[4:5], s[4:5], 1
	s_lshl_b64 s[16:17], s[16:17], 1
	v_fma_f32 v2, -v2, v5, v4
	s_add_u32 s4, s4, s16
	v_div_fmas_f32 v2, v2, v3, v5
	s_addc_u32 s5, s5, s17
	v_div_fixup_f32 v5, v2, v1, 1.0
	v_mov_b32_e32 v1, 0
	s_add_u32 s4, s8, s4
	v_lshlrev_b32_e32 v2, 1, v0
	v_mov_b32_e32 v3, v1
	s_addc_u32 s5, s9, s5
	v_lshl_add_u64 v[2:3], s[4:5], 0, v[2:3]
	s_mov_b64 s[4:5], 0xc0
	v_mov_b32_e32 v4, v1
.LBB70_22:                              ; =>This Inner Loop Header: Depth=1
	global_load_ushort v6, v[2:3], off
	v_mov_b32_e32 v7, s14
	s_waitcnt vmcnt(0)
	;;#ASMSTART
	v_cvt_f32_f16 v6, v6;
	;;#ASMEND
	ds_read_b32 v7, v7
	s_add_i32 s15, s15, -1
	s_add_i32 s14, s14, 4
	v_lshl_add_u64 v[2:3], v[2:3], 0, s[4:5]
	s_cmp_eq_u32 s15, 0
	s_waitcnt lgkmcnt(0)
	v_mul_f32_e32 v6, v6, v7
	v_fmac_f32_e32 v4, v5, v6
	s_cbranch_scc0 .LBB70_22
.LBB70_23:
	s_mul_i32 s4, s24, 0x60
	s_ashr_i32 s5, s4, 31
	s_lshl_b64 s[4:5], s[4:5], 1
	s_add_u32 s14, s10, s4
	s_mul_i32 s4, s2, 0x60
	s_addc_u32 s15, s11, s5
	s_ashr_i32 s5, s4, 31
	s_lshl_b64 s[4:5], s[4:5], 1
	s_add_u32 s4, s14, s4
	s_addc_u32 s5, s15, s5
	s_waitcnt lgkmcnt(0)
	v_lshl_add_u64 v[2:3], v[0:1], 1, s[4:5]
	;;#ASMSTART
	v_cvt_f16_f32 v1, v4;

	;;#ASMEND
	global_store_short v[2:3], v1, off
.LBB70_24:
	s_or_b64 exec, exec, s[0:1]
	s_mov_b64 s[4:5], 0
.LBB70_25:
	s_and_b64 vcc, exec, s[4:5]
	s_cbranch_vccz .LBB70_34
; %bb.26:
	s_movk_i32 s0, 0x60
	v_cmp_gt_u32_e32 vcc, s0, v0
	s_and_saveexec_b64 s[4:5], vcc
	s_cbranch_execz .LBB70_34
; %bb.27:
	s_mul_i32 s1, s3, s12
	s_mul_i32 s4, s1, 0x60
	s_ashr_i32 s5, s4, 31
	s_lshl_b64 s[14:15], s[4:5], 1
	s_add_u32 s1, s10, s14
	s_mul_i32 s10, s2, 0x60
	s_addc_u32 s5, s11, s15
	s_ashr_i32 s11, s10, 31
	s_lshl_b64 s[2:3], s[10:11], 1
	s_add_u32 s2, s1, s2
	s_mul_i32 s4, s4, s13
	s_addc_u32 s3, s5, s3
	s_ashr_i32 s5, s4, 31
	s_lshl_b64 s[4:5], s[4:5], 1
	s_load_dword s6, s[6:7], 0xc
	s_add_u32 s1, s8, s4
	s_mul_i32 s4, s10, s13
	s_addc_u32 s8, s9, s5
	s_ashr_i32 s5, s4, 31
	s_lshl_b64 s[4:5], s[4:5], 1
	s_add_u32 s4, s1, s4
	s_addc_u32 s5, s8, s5
	s_waitcnt lgkmcnt(0)
	s_and_b32 s8, s6, 0xffff
	v_cvt_f32_u32_e32 v1, s8
	v_add_u32_e32 v2, s8, v0
	v_mov_b32_e32 v4, s8
	v_cmp_gt_u32_e32 vcc, s0, v2
	v_rcp_iflag_f32_e32 v1, v1
	s_cmp_eq_u32 s8, 1
	v_max_u32_e32 v3, 0x60, v2
	v_addc_co_u32_e64 v2, s[0:1], v0, v4, vcc
	v_mul_f32_e32 v1, 0x4f7ffffe, v1
	v_cvt_u32_f32_e32 v1, v1
	s_cselect_b64 s[6:7], -1, 0
	s_sub_i32 s0, 0, s8
	v_sub_u32_e32 v2, v3, v2
	v_mul_lo_u32 v3, s0, v1
	v_mul_hi_u32 v3, v1, v3
	v_add_u32_e32 v1, v1, v3
	v_mul_hi_u32 v1, v2, v1
	v_mul_lo_u32 v3, v1, s8
	v_sub_u32_e32 v2, v2, v3
	v_add_u32_e32 v3, 1, v1
	v_cmp_le_u32_e64 s[0:1], s8, v2
	s_nop 1
	v_cndmask_b32_e64 v1, v1, v3, s[0:1]
	v_subrev_u32_e32 v3, s8, v2
	v_cndmask_b32_e64 v2, v2, v3, s[0:1]
	v_add_u32_e32 v3, 1, v1
	v_cmp_le_u32_e64 s[0:1], s8, v2
	s_nop 1
	v_cndmask_b32_e64 v1, v1, v3, s[0:1]
	v_addc_co_u32_e32 v1, vcc, 1, v1, vcc
	v_cmp_lt_u32_e32 vcc, 7, v1
	s_and_b64 s[10:11], vcc, s[6:7]
	s_mov_b64 s[6:7], -1
	s_and_saveexec_b64 s[0:1], s[10:11]
	s_cbranch_execz .LBB70_31
; %bb.28:
	v_and_b32_e32 v4, -8, v1
	s_mov_b64 s[6:7], 0
	v_mov_b32_e32 v3, 0
	v_mov_b32_e32 v2, v0
	;; [unrolled: 1-line block ×3, first 2 shown]
.LBB70_29:                              ; =>This Inner Loop Header: Depth=1
	v_lshlrev_b64 v[10:11], 1, v[2:3]
	v_lshl_add_u64 v[6:7], s[4:5], 0, v[10:11]
	global_load_dwordx4 v[6:9], v[6:7], off
	v_add_u32_e32 v5, -8, v5
	v_cmp_eq_u32_e32 vcc, 0, v5
	v_add_u32_e32 v2, 8, v2
	v_lshl_add_u64 v[10:11], s[2:3], 0, v[10:11]
	s_or_b64 s[6:7], vcc, s[6:7]
	s_waitcnt vmcnt(0)
	global_store_dwordx4 v[10:11], v[6:9], off
	s_andn2_b64 exec, exec, s[6:7]
	s_cbranch_execnz .LBB70_29
; %bb.30:
	s_or_b64 exec, exec, s[6:7]
	v_cmp_ne_u32_e32 vcc, v1, v4
	v_add_u32_e32 v0, v0, v4
	s_orn2_b64 s[6:7], vcc, exec
.LBB70_31:
	s_or_b64 exec, exec, s[0:1]
	s_and_b64 exec, exec, s[6:7]
	s_cbranch_execz .LBB70_34
; %bb.32:
	v_mov_b32_e32 v1, 0
	s_mov_b32 s1, 0
	v_lshlrev_b64 v[2:3], 1, v[0:1]
	s_lshl_b32 s0, s8, 1
	s_mov_b64 s[6:7], 0
	s_movk_i32 s9, 0x5f
.LBB70_33:                              ; =>This Inner Loop Header: Depth=1
	v_lshl_add_u64 v[4:5], s[4:5], 0, v[2:3]
	global_load_ushort v1, v[4:5], off
	v_add_u32_e32 v0, s8, v0
	v_cmp_lt_u32_e32 vcc, s9, v0
	v_lshl_add_u64 v[4:5], s[2:3], 0, v[2:3]
	v_lshl_add_u64 v[2:3], v[2:3], 0, s[0:1]
	s_or_b64 s[6:7], vcc, s[6:7]
	s_waitcnt vmcnt(0)
	global_store_short v[4:5], v1, off
	s_andn2_b64 exec, exec, s[6:7]
	s_cbranch_execnz .LBB70_33
.LBB70_34:
	s_endpgm
	.section	.rodata,"a",@progbits
	.p2align	6, 0x0
	.amdhsa_kernel _ZN4vllm32paged_attention_v2_reduce_kernelItLi96ELi128ELi512EEEvPT_PKfS4_PKS1_PKii
		.amdhsa_group_segment_fixed_size 16
		.amdhsa_private_segment_fixed_size 0
		.amdhsa_kernarg_size 304
		.amdhsa_user_sgpr_count 2
		.amdhsa_user_sgpr_dispatch_ptr 0
		.amdhsa_user_sgpr_queue_ptr 0
		.amdhsa_user_sgpr_kernarg_segment_ptr 1
		.amdhsa_user_sgpr_dispatch_id 0
		.amdhsa_user_sgpr_kernarg_preload_length 0
		.amdhsa_user_sgpr_kernarg_preload_offset 0
		.amdhsa_user_sgpr_private_segment_size 0
		.amdhsa_uses_dynamic_stack 0
		.amdhsa_enable_private_segment 0
		.amdhsa_system_sgpr_workgroup_id_x 1
		.amdhsa_system_sgpr_workgroup_id_y 1
		.amdhsa_system_sgpr_workgroup_id_z 0
		.amdhsa_system_sgpr_workgroup_info 0
		.amdhsa_system_vgpr_workitem_id 0
		.amdhsa_next_free_vgpr 23
		.amdhsa_next_free_sgpr 32
		.amdhsa_accum_offset 24
		.amdhsa_reserve_vcc 1
		.amdhsa_float_round_mode_32 0
		.amdhsa_float_round_mode_16_64 0
		.amdhsa_float_denorm_mode_32 3
		.amdhsa_float_denorm_mode_16_64 3
		.amdhsa_dx10_clamp 1
		.amdhsa_ieee_mode 1
		.amdhsa_fp16_overflow 0
		.amdhsa_tg_split 0
		.amdhsa_exception_fp_ieee_invalid_op 0
		.amdhsa_exception_fp_denorm_src 0
		.amdhsa_exception_fp_ieee_div_zero 0
		.amdhsa_exception_fp_ieee_overflow 0
		.amdhsa_exception_fp_ieee_underflow 0
		.amdhsa_exception_fp_ieee_inexact 0
		.amdhsa_exception_int_div_zero 0
	.end_amdhsa_kernel
	.section	.text._ZN4vllm32paged_attention_v2_reduce_kernelItLi96ELi128ELi512EEEvPT_PKfS4_PKS1_PKii,"axG",@progbits,_ZN4vllm32paged_attention_v2_reduce_kernelItLi96ELi128ELi512EEEvPT_PKfS4_PKS1_PKii,comdat
.Lfunc_end70:
	.size	_ZN4vllm32paged_attention_v2_reduce_kernelItLi96ELi128ELi512EEEvPT_PKfS4_PKS1_PKii, .Lfunc_end70-_ZN4vllm32paged_attention_v2_reduce_kernelItLi96ELi128ELi512EEEvPT_PKfS4_PKS1_PKii
                                        ; -- End function
	.section	.AMDGPU.csdata,"",@progbits
; Kernel info:
; codeLenInByte = 2140
; NumSgprs: 38
; NumVgprs: 23
; NumAgprs: 0
; TotalNumVgprs: 23
; ScratchSize: 0
; MemoryBound: 0
; FloatMode: 240
; IeeeMode: 1
; LDSByteSize: 16 bytes/workgroup (compile time only)
; SGPRBlocks: 4
; VGPRBlocks: 2
; NumSGPRsForWavesPerEU: 38
; NumVGPRsForWavesPerEU: 23
; AccumOffset: 24
; Occupancy: 8
; WaveLimiterHint : 0
; COMPUTE_PGM_RSRC2:SCRATCH_EN: 0
; COMPUTE_PGM_RSRC2:USER_SGPR: 2
; COMPUTE_PGM_RSRC2:TRAP_HANDLER: 0
; COMPUTE_PGM_RSRC2:TGID_X_EN: 1
; COMPUTE_PGM_RSRC2:TGID_Y_EN: 1
; COMPUTE_PGM_RSRC2:TGID_Z_EN: 0
; COMPUTE_PGM_RSRC2:TIDIG_COMP_CNT: 0
; COMPUTE_PGM_RSRC3_GFX90A:ACCUM_OFFSET: 5
; COMPUTE_PGM_RSRC3_GFX90A:TG_SPLIT: 0
	.section	.text._ZN4vllm25paged_attention_v2_kernelIttLi112ELi8ELi128ELNS_18Fp8KVCacheDataTypeE0ELb1ELi512EEEvPfS2_PT_PKS3_PKT0_S9_ifPKiSB_iPKfiiiSD_SD_iiiii,"axG",@progbits,_ZN4vllm25paged_attention_v2_kernelIttLi112ELi8ELi128ELNS_18Fp8KVCacheDataTypeE0ELb1ELi512EEEvPfS2_PT_PKS3_PKT0_S9_ifPKiSB_iPKfiiiSD_SD_iiiii,comdat
	.protected	_ZN4vllm25paged_attention_v2_kernelIttLi112ELi8ELi128ELNS_18Fp8KVCacheDataTypeE0ELb1ELi512EEEvPfS2_PT_PKS3_PKT0_S9_ifPKiSB_iPKfiiiSD_SD_iiiii ; -- Begin function _ZN4vllm25paged_attention_v2_kernelIttLi112ELi8ELi128ELNS_18Fp8KVCacheDataTypeE0ELb1ELi512EEEvPfS2_PT_PKS3_PKT0_S9_ifPKiSB_iPKfiiiSD_SD_iiiii
	.globl	_ZN4vllm25paged_attention_v2_kernelIttLi112ELi8ELi128ELNS_18Fp8KVCacheDataTypeE0ELb1ELi512EEEvPfS2_PT_PKS3_PKT0_S9_ifPKiSB_iPKfiiiSD_SD_iiiii
	.p2align	8
	.type	_ZN4vllm25paged_attention_v2_kernelIttLi112ELi8ELi128ELNS_18Fp8KVCacheDataTypeE0ELb1ELi512EEEvPfS2_PT_PKS3_PKT0_S9_ifPKiSB_iPKfiiiSD_SD_iiiii,@function
_ZN4vllm25paged_attention_v2_kernelIttLi112ELi8ELi128ELNS_18Fp8KVCacheDataTypeE0ELb1ELi512EEEvPfS2_PT_PKS3_PKT0_S9_ifPKiSB_iPKfiiiSD_SD_iiiii: ; @_ZN4vllm25paged_attention_v2_kernelIttLi112ELi8ELi128ELNS_18Fp8KVCacheDataTypeE0ELb1ELi512EEEvPfS2_PT_PKS3_PKT0_S9_ifPKiSB_iPKfiiiSD_SD_iiiii
; %bb.0:
	s_load_dwordx2 s[6:7], s[0:1], 0x40
	s_mov_b32 s30, s3
	s_ashr_i32 s31, s3, 31
	s_lshl_b64 s[8:9], s[30:31], 2
	s_waitcnt lgkmcnt(0)
	s_add_u32 s6, s6, s8
	s_addc_u32 s7, s7, s9
	s_load_dword s31, s[6:7], 0x0
	s_lshl_b32 s51, s4, 9
	s_waitcnt lgkmcnt(0)
	s_cmp_ge_i32 s51, s31
	s_cbranch_scc1 .LBB71_69
; %bb.1:
	s_load_dword s5, s[0:1], 0x90
	s_load_dwordx2 s[40:41], s[0:1], 0x30
	s_mov_b32 s52, 0
	s_waitcnt lgkmcnt(0)
	s_abs_i32 s7, s5
	s_abs_i32 s3, s40
	v_cvt_f32_u32_e32 v1, s3
	s_sub_i32 s8, 0, s3
	s_xor_b32 s6, s5, s40
	s_ashr_i32 s6, s6, 31
	v_rcp_iflag_f32_e32 v1, v1
	s_nop 0
	v_mul_f32_e32 v1, 0x4f7ffffe, v1
	v_cvt_u32_f32_e32 v1, v1
	s_nop 0
	v_readfirstlane_b32 s9, v1
	s_mul_i32 s8, s8, s9
	s_mul_hi_u32 s8, s9, s8
	s_add_i32 s9, s9, s8
	s_mul_hi_u32 s8, s7, s9
	s_mul_i32 s9, s8, s3
	s_sub_i32 s7, s7, s9
	s_add_i32 s10, s8, 1
	s_sub_i32 s9, s7, s3
	s_cmp_ge_u32 s7, s3
	s_cselect_b32 s8, s10, s8
	s_cselect_b32 s7, s9, s7
	s_add_i32 s9, s8, 1
	s_cmp_ge_u32 s7, s3
	s_cselect_b32 s3, s9, s8
	s_xor_b32 s3, s3, s6
	s_sub_i32 s10, s3, s6
	s_abs_i32 s8, s10
	v_cvt_f32_u32_e32 v1, s8
	s_load_dwordx2 s[6:7], s[0:1], 0x50
	s_sub_i32 s3, 0, s8
	s_abs_i32 s9, s2
	v_rcp_iflag_f32_e32 v1, v1
	s_nop 0
	v_mul_f32_e32 v1, 0x4f7ffffe, v1
	v_cvt_u32_f32_e32 v1, v1
	s_nop 0
	v_readfirstlane_b32 s11, v1
	s_mul_i32 s3, s3, s11
	s_mul_hi_u32 s3, s11, s3
	s_add_i32 s11, s11, s3
	s_waitcnt lgkmcnt(0)
	s_cmp_eq_u64 s[6:7], 0
	s_mul_hi_u32 s12, s9, s11
	s_cbranch_scc1 .LBB71_3
; %bb.2:
	s_ashr_i32 s3, s2, 31
	s_lshl_b64 s[14:15], s[2:3], 2
	s_add_u32 s6, s6, s14
	s_addc_u32 s7, s7, s15
	s_load_dword s52, s[6:7], 0x0
.LBB71_3:
	s_load_dwordx4 s[16:19], s[0:1], 0x58
	s_movk_i32 s6, 0x70
	s_ashr_i32 s3, s2, 31
	s_ashr_i32 s13, s10, 31
	v_and_b32_e32 v4, 7, v0
	s_mul_i32 s14, s2, 0x70
	v_cmp_gt_u32_e64 s[10:11], s6, v0
	v_lshlrev_b32_e32 v6, 1, v0
	s_and_saveexec_b64 s[6:7], s[10:11]
	s_cbranch_execz .LBB71_5
; %bb.4:
	s_load_dwordx2 s[20:21], s[0:1], 0x18
	s_waitcnt lgkmcnt(0)
	s_mul_i32 s22, s30, s16
	s_ashr_i32 s23, s22, 31
	s_lshl_b64 s[22:23], s[22:23], 1
	v_lshrrev_b32_e32 v2, 2, v0
	s_add_u32 s16, s20, s22
	s_addc_u32 s19, s21, s23
	s_ashr_i32 s15, s14, 31
	s_lshl_b64 s[20:21], s[14:15], 1
	s_add_u32 s20, s16, s20
	s_addc_u32 s21, s19, s21
	global_load_ushort v1, v6, s[20:21]
	v_and_b32_e32 v2, 0xfe, v2
	v_mad_u32_u24 v2, v4, 28, v2
	s_waitcnt vmcnt(0)
	ds_write_b16 v2, v1
.LBB71_5:
	s_or_b64 exec, exec, s[6:7]
	s_mul_i32 s6, s12, s8
	s_sub_i32 s6, s9, s6
	s_xor_b32 s3, s3, s13
	s_add_i32 s7, s12, 1
	s_sub_i32 s9, s6, s8
	s_load_dwordx4 s[20:23], s[0:1], 0x78
	s_cmp_ge_u32 s6, s8
	s_cselect_b32 s7, s7, s12
	s_load_dword s12, s[0:1], 0x88
	s_cselect_b32 s6, s9, s6
	s_add_i32 s9, s7, 1
	s_cmp_ge_u32 s6, s8
	s_cselect_b32 s6, s9, s7
	s_waitcnt lgkmcnt(0)
	s_abs_i32 s33, s23
	v_cvt_f32_u32_e32 v1, s33
	s_xor_b32 s6, s6, s3
	s_sub_i32 s8, s6, s3
	s_sub_i32 s6, 0, s33
	v_rcp_iflag_f32_e32 v1, v1
	s_add_i32 s13, s31, -1
	s_abs_i32 s3, s13
	v_mul_f32_e32 v1, 0x4f7ffffe, v1
	v_cvt_u32_f32_e32 v1, v1
	s_barrier
	v_readfirstlane_b32 s48, v1
	s_mul_i32 s6, s6, s48
	s_mul_hi_u32 s6, s48, s6
	s_add_i32 s48, s48, s6
	s_cmp_lt_i32 s12, 0
	s_mul_hi_u32 s9, s3, s48
	s_cbranch_scc0 .LBB71_7
; %bb.6:
	s_mul_i32 s6, s20, s40
	s_add_i32 s6, s8, s6
	s_mul_i32 s6, s6, s12
	s_sub_i32 s49, 1, s6
	s_mov_b64 s[6:7], 0
	s_branch .LBB71_8
.LBB71_7:
	s_mov_b64 s[6:7], -1
                                        ; implicit-def: $sgpr49
.LBB71_8:
	s_load_dwordx2 s[34:35], s[0:1], 0x38
	s_ashr_i32 s13, s13, 31
	s_andn2_b64 vcc, exec, s[6:7]
	s_ashr_i32 s23, s23, 31
	s_cbranch_vccnz .LBB71_10
; %bb.9:
	s_mul_i32 s6, s5, s20
	s_add_i32 s6, s6, s2
	s_mul_i32 s6, s6, s12
	s_add_i32 s49, s6, 1
.LBB71_10:
	s_load_dword s6, s[0:1], 0x48
	s_load_dwordx2 s[38:39], s[0:1], 0x28
	s_load_dword s15, s[0:1], 0x98
	s_load_dwordx4 s[24:27], s[0:1], 0x0
	s_load_dwordx2 s[28:29], s[0:1], 0x10
	s_mul_i32 s7, s9, s33
	s_waitcnt lgkmcnt(0)
	s_mul_i32 s36, s30, s6
	s_sub_i32 s3, s3, s7
	s_ashr_i32 s37, s36, 31
	s_xor_b32 s6, s13, s23
	s_add_i32 s7, s9, 1
	s_sub_i32 s12, s3, s33
	s_cmp_ge_u32 s3, s33
	s_cselect_b32 s7, s7, s9
	s_cselect_b32 s3, s12, s3
	s_add_i32 s9, s7, 1
	s_cmp_ge_u32 s3, s33
	s_cselect_b32 s3, s9, s7
	s_xor_b32 s3, s3, s6
	s_sub_i32 s16, s3, s6
	s_add_i32 s3, s31, 7
	s_ashr_i32 s6, s3, 31
	s_lshr_b32 s6, s6, 29
	s_add_i32 s3, s3, s6
	s_lshl_b32 s20, s4, 6
	s_ashr_i32 s3, s3, 3
	s_add_i32 s6, s20, 64
	v_lshrrev_b32_e32 v7, 6, v0
	s_min_i32 s50, s6, s3
	v_or_b32_e32 v8, s20, v7
	v_cmp_gt_i32_e64 s[6:7], s50, v8
	v_mov_b32_e32 v13, 0xff7fffff
	s_mul_i32 s18, s8, s18
	v_ashrrev_i32_e32 v9, 31, v8
	v_lshl_add_u32 v1, v7, 3, s51
	v_mbcnt_lo_u32_b32 v10, -1, 0
	s_and_saveexec_b64 s[42:43], s[6:7]
	s_cbranch_execz .LBB71_20
; %bb.11:
	s_load_dwordx2 s[0:1], s[0:1], 0x20
	s_ashr_i32 s19, s18, 31
	s_sub_i32 s40, s16, s21
	s_lshl_b64 s[8:9], s[18:19], 1
	v_bfe_u32 v11, v0, 3, 3
	s_waitcnt lgkmcnt(0)
	s_add_u32 s0, s0, s8
	s_addc_u32 s1, s1, s9
	s_abs_i32 s19, s22
	v_cvt_f32_u32_e32 v5, s19
	v_lshlrev_b32_e32 v2, 4, v11
	v_mov_b32_e32 v3, 0
	v_lshl_add_u64 v[12:13], s[0:1], 0, v[2:3]
	v_rcp_iflag_f32_e32 v5, v5
	v_lshlrev_b32_e32 v2, 1, v4
	v_lshl_add_u64 v[2:3], v[12:13], 0, v[2:3]
	s_sub_i32 s0, 0, s19
	v_mul_f32_e32 v5, 0x4f7ffffe, v5
	v_cvt_u32_f32_e32 v5, v5
	v_lshlrev_b32_e32 v13, 2, v11
	v_cmp_eq_u32_e32 vcc, 0, v4
	v_mul_u32_u24_e32 v12, 28, v4
	v_mul_lo_u32 v4, s0, v5
	s_lshl_b64 s[0:1], s[36:37], 2
	v_lshl_or_b32 v13, v7, 5, v13
	s_add_u32 s0, s34, s0
	v_add_u32_e32 v16, 0xf0, v13
	v_subrev_u32_e32 v13, s31, v11
	v_mbcnt_hi_u32_b32 v19, -1, v10
	v_mul_hi_u32 v4, v5, v4
	s_addc_u32 s1, s35, s1
	v_add_u32_e32 v17, 1, v13
	v_and_b32_e32 v13, 64, v19
	s_mov_b32 s53, s17
	v_cmp_neq_f32_e64 s[8:9], s52, 0
	v_add_u32_e32 v14, v5, v4
	v_lshl_add_u64 v[4:5], v[8:9], 2, s[0:1]
	v_lshl_add_u32 v15, v7, 3, s51
	s_mov_b64 s[44:45], 0
	v_mov_b32_e32 v18, 0xff7fffff
	v_add_u32_e32 v20, 64, v13
	v_xor_b32_e32 v21, 4, v19
	v_xor_b32_e32 v22, 2, v19
	v_xor_b32_e32 v23, 1, v19
	v_mov_b32_e32 v13, 0xff7fffff
	v_mov_b32_e32 v24, v8
	s_branch .LBB71_14
.LBB71_12:                              ;   in Loop: Header=BB71_14 Depth=1
	s_or_b64 exec, exec, s[46:47]
.LBB71_13:                              ;   in Loop: Header=BB71_14 Depth=1
	s_or_b64 exec, exec, s[12:13]
	v_add_u32_e32 v24, 2, v24
	v_cmp_le_i32_e64 s[0:1], s50, v24
	v_lshl_add_u64 v[4:5], v[4:5], 0, 8
	v_add_u32_e32 v15, 16, v15
	s_or_b64 s[44:45], s[0:1], s[44:45]
	v_add_u32_e32 v16, 64, v16
	s_andn2_b64 exec, exec, s[44:45]
	s_cbranch_execz .LBB71_19
.LBB71_14:                              ; =>This Inner Loop Header: Depth=1
	s_waitcnt lgkmcnt(0)
	v_sub_u32_e32 v26, 0, v15
	v_max_i32_e32 v26, v15, v26
	v_mul_hi_u32 v27, v26, s48
	v_mul_lo_u32 v28, v27, s33
	v_sub_u32_e32 v26, v26, v28
	v_add_u32_e32 v28, 1, v27
	v_cmp_le_u32_e64 s[0:1], s33, v26
	v_ashrrev_i32_e32 v25, 31, v15
	v_xor_b32_e32 v25, s23, v25
	v_cndmask_b32_e64 v27, v27, v28, s[0:1]
	v_subrev_u32_e32 v28, s33, v26
	v_cndmask_b32_e64 v26, v26, v28, s[0:1]
	v_add_u32_e32 v28, 1, v27
	v_cmp_le_u32_e64 s[0:1], s33, v26
	s_nop 1
	v_cndmask_b32_e64 v26, v27, v28, s[0:1]
	v_xor_b32_e32 v26, v26, v25
	v_sub_u32_e32 v25, v26, v25
	v_add_u32_e32 v26, s49, v25
	v_sub_u32_e32 v28, 0, v26
	v_ashrrev_i32_e32 v27, 31, v26
	v_max_i32_e32 v26, v26, v28
	v_mul_hi_u32 v28, v26, v14
	v_mul_lo_u32 v28, v28, s19
	v_sub_u32_e32 v26, v26, v28
	v_subrev_u32_e32 v28, s19, v26
	v_cmp_le_u32_e64 s[0:1], s19, v26
	v_cmp_ge_i32_e64 s[12:13], s40, v25
	s_nop 0
	v_cndmask_b32_e64 v26, v26, v28, s[0:1]
	v_subrev_u32_e32 v28, s19, v26
	v_cmp_le_u32_e64 s[0:1], s19, v26
	s_nop 1
	v_cndmask_b32_e64 v26, v26, v28, s[0:1]
	v_xor_b32_e32 v26, v26, v27
	v_sub_u32_e32 v26, v26, v27
	v_cmp_ne_u32_e64 s[0:1], 0, v26
	s_and_b64 s[0:1], s[0:1], s[12:13]
	s_and_b64 s[46:47], vcc, s[0:1]
	s_and_saveexec_b64 s[12:13], s[46:47]
	s_cbranch_execz .LBB71_16
; %bb.15:                               ;   in Loop: Header=BB71_14 Depth=1
	ds_write_b32 v16, v18
.LBB71_16:                              ;   in Loop: Header=BB71_14 Depth=1
	s_or_b64 exec, exec, s[12:13]
	s_xor_b64 s[0:1], s[0:1], -1
	s_and_saveexec_b64 s[12:13], s[0:1]
	s_cbranch_execz .LBB71_13
; %bb.17:                               ;   in Loop: Header=BB71_14 Depth=1
	global_load_dword v25, v[4:5], off
	s_waitcnt vmcnt(0)
	v_mad_i64_i32 v[26:27], s[0:1], v25, s53, 0
	v_lshl_add_u64 v[26:27], v[26:27], 1, v[2:3]
	global_load_ushort v25, v[26:27], off
	global_load_ushort v28, v[26:27], off offset:128
	global_load_ushort v29, v[26:27], off offset:256
	;; [unrolled: 1-line block ×10, first 2 shown]
	ds_read_u16 v38, v12
	global_load_ushort v39, v[26:27], off offset:1408
	global_load_ushort v40, v[26:27], off offset:1536
	s_nop 0
	global_load_ushort v26, v[26:27], off offset:1664
	s_waitcnt lgkmcnt(0)
	;;#ASMSTART
	v_cvt_f32_f16 v27, v38;
	;;#ASMEND
	v_cmp_lt_i32_e64 s[0:1], v21, v20
	s_waitcnt vmcnt(13)
	;;#ASMSTART
	v_cvt_f32_f16 v25, v25;
	;;#ASMEND
	ds_read_u16 v38, v12 offset:2
	s_waitcnt lgkmcnt(0)
	;;#ASMSTART
	v_cvt_f32_f16 v38, v38;
	;;#ASMEND
	s_waitcnt vmcnt(12)
	;;#ASMSTART
	v_cvt_f32_f16 v28, v28;
	;;#ASMEND
	ds_read_u16 v41, v12 offset:4
	v_mul_f32_e32 v28, v38, v28
	v_fmac_f32_e32 v28, v27, v25
	s_waitcnt lgkmcnt(0)
	;;#ASMSTART
	v_cvt_f32_f16 v41, v41;
	;;#ASMEND
	s_waitcnt vmcnt(11)
	;;#ASMSTART
	v_cvt_f32_f16 v29, v29;
	;;#ASMEND
	ds_read_u16 v42, v12 offset:6
	v_fmac_f32_e32 v28, v41, v29
	s_waitcnt lgkmcnt(0)
	;;#ASMSTART
	v_cvt_f32_f16 v42, v42;
	;;#ASMEND
	s_waitcnt vmcnt(10)
	;;#ASMSTART
	v_cvt_f32_f16 v30, v30;
	;;#ASMEND
	ds_read_u16 v43, v12 offset:8
	;; [unrolled: 10-line block ×10, first 2 shown]
	v_fmac_f32_e32 v28, v25, v27
	v_cndmask_b32_e64 v50, v19, v21, s[0:1]
	s_waitcnt lgkmcnt(0)
	;;#ASMSTART
	v_cvt_f32_f16 v29, v29;
	;;#ASMEND
	s_waitcnt vmcnt(1)
	;;#ASMSTART
	v_cvt_f32_f16 v30, v40;
	;;#ASMEND
	v_lshlrev_b32_e32 v50, 2, v50
	v_fmac_f32_e32 v28, v29, v30
	ds_read_u16 v31, v12 offset:26
	s_waitcnt lgkmcnt(0)
	;;#ASMSTART
	v_cvt_f32_f16 v25, v31;
	;;#ASMEND
	s_waitcnt vmcnt(0)
	;;#ASMSTART
	v_cvt_f32_f16 v26, v26;
	;;#ASMEND
	v_cmp_lt_i32_e64 s[0:1], v22, v20
	v_fmac_f32_e32 v28, v25, v26
	ds_bpermute_b32 v25, v50, v28
	v_cndmask_b32_e64 v26, v19, v22, s[0:1]
	v_lshlrev_b32_e32 v26, 2, v26
	v_cmp_lt_i32_e64 s[0:1], v23, v20
	s_waitcnt lgkmcnt(0)
	v_add_f32_e32 v25, v28, v25
	ds_bpermute_b32 v26, v26, v25
	v_cndmask_b32_e64 v27, v19, v23, s[0:1]
	s_waitcnt lgkmcnt(0)
	v_add_f32_e32 v25, v25, v26
	v_lshlrev_b32_e32 v26, 2, v27
	ds_bpermute_b32 v26, v26, v25
	s_and_saveexec_b64 s[46:47], vcc
	s_cbranch_execz .LBB71_12
; %bb.18:                               ;   in Loop: Header=BB71_14 Depth=1
	v_add_u32_e32 v27, v17, v15
	v_cvt_f32_i32_e32 v27, v27
	s_waitcnt lgkmcnt(0)
	v_add_f32_e32 v25, v25, v26
	v_add_u32_e32 v28, v11, v15
	v_cmp_gt_i32_e64 s[0:1], s31, v28
	v_mul_f32_e32 v26, s52, v27
	v_cndmask_b32_e64 v26, 0, v26, s[8:9]
	v_fmac_f32_e32 v26, s41, v25
	v_cndmask_b32_e64 v25, 0, v26, s[0:1]
	ds_write_b32 v16, v25
	v_max_f32_e32 v25, v13, v13
	v_max_f32_e32 v25, v25, v26
	v_cndmask_b32_e64 v13, v13, v25, s[0:1]
	s_branch .LBB71_12
.LBB71_19:
	s_or_b64 exec, exec, s[44:45]
.LBB71_20:
	s_or_b64 exec, exec, s[42:43]
	v_mbcnt_hi_u32_b32 v2, -1, v10
	v_and_b32_e32 v3, 64, v2
	v_add_u32_e32 v3, 64, v3
	v_xor_b32_e32 v4, 32, v2
	v_cmp_lt_i32_e32 vcc, v4, v3
	v_xor_b32_e32 v11, 16, v2
	v_max_f32_e32 v5, v13, v13
	v_cndmask_b32_e32 v4, v2, v4, vcc
	v_lshlrev_b32_e32 v10, 2, v4
	ds_bpermute_b32 v4, v10, v13
	v_cmp_lt_i32_e32 vcc, v11, v3
	v_and_b32_e32 v18, 63, v0
	s_waitcnt lgkmcnt(0)
	v_max_f32_e32 v4, v4, v4
	v_max_f32_e32 v4, v5, v4
	v_cndmask_b32_e32 v5, v2, v11, vcc
	v_lshlrev_b32_e32 v12, 2, v5
	ds_bpermute_b32 v5, v12, v4
	v_xor_b32_e32 v11, 8, v2
	v_cmp_lt_i32_e32 vcc, v11, v3
	s_waitcnt lgkmcnt(0)
	v_max_f32_e32 v5, v5, v5
	v_max_f32_e32 v4, v4, v5
	v_cndmask_b32_e32 v5, v2, v11, vcc
	v_lshlrev_b32_e32 v13, 2, v5
	ds_bpermute_b32 v11, v13, v4
	v_cmp_eq_u32_e32 vcc, 0, v18
	v_lshlrev_b32_e32 v5, 2, v7
	s_and_saveexec_b64 s[0:1], vcc
	s_cbranch_execz .LBB71_22
; %bb.21:
	s_waitcnt lgkmcnt(0)
	v_max_f32_e32 v11, v11, v11
	v_max_f32_e32 v4, v4, v4
	;; [unrolled: 1-line block ×3, first 2 shown]
	ds_write_b32 v5, v4 offset:224
.LBB71_22:
	s_or_b64 exec, exec, s[0:1]
	v_cmp_gt_u32_e64 s[0:1], 2, v18
	v_mov_b32_e32 v4, 0xff7fffff
	s_waitcnt lgkmcnt(0)
	v_lshlrev_b32_e32 v11, 2, v18
	s_barrier
	s_and_saveexec_b64 s[8:9], s[0:1]
	s_cbranch_execz .LBB71_24
; %bb.23:
	ds_read_b32 v4, v11 offset:224
.LBB71_24:
	s_or_b64 exec, exec, s[8:9]
	v_xor_b32_e32 v14, 1, v2
	v_cmp_lt_i32_e64 s[8:9], v14, v3
	v_mov_b32_e32 v16, 0
	s_nop 0
	v_cndmask_b32_e64 v14, v2, v14, s[8:9]
	v_lshlrev_b32_e32 v14, 2, v14
	s_waitcnt lgkmcnt(0)
	ds_bpermute_b32 v15, v14, v4
	v_max_f32_e32 v4, v4, v4
	s_sub_i32 s8, s50, s20
	s_lshl_b32 s8, s8, 3
	s_add_i32 s8, s8, s51
	s_waitcnt lgkmcnt(0)
	v_max_f32_e32 v15, v15, v15
	v_max_f32_e32 v4, v4, v15
	v_lshlrev_b32_e32 v15, 2, v2
	v_and_b32_e32 v15, 0x100, v15
	ds_bpermute_b32 v4, v15, v4
	s_min_i32 s20, s8, s31
	s_sub_i32 s19, s20, s51
	v_cmp_gt_i32_e64 s[8:9], s19, v0
	s_and_saveexec_b64 s[40:41], s[8:9]
	s_cbranch_execz .LBB71_28
; %bb.25:
	v_mov_b32_e32 v16, 0xf0
	v_lshl_add_u32 v17, v0, 2, v16
	s_mov_b64 s[42:43], 0
	v_mov_b32_e32 v16, 0
	v_mov_b32_e32 v19, v0
.LBB71_26:                              ; =>This Inner Loop Header: Depth=1
	ds_read_b32 v20, v17
	v_add_u32_e32 v19, 0x80, v19
	v_cmp_le_i32_e64 s[12:13], s19, v19
	s_or_b64 s[42:43], s[12:13], s[42:43]
	s_waitcnt lgkmcnt(0)
	v_sub_f32_e32 v20, v20, v4
	v_mul_f32_e32 v20, 0x3fb8aa3b, v20
	v_exp_f32_e32 v20, v20
	ds_write_b32 v17, v20
	v_add_f32_e32 v16, v16, v20
	v_add_u32_e32 v17, 0x200, v17
	s_andn2_b64 exec, exec, s[42:43]
	s_cbranch_execnz .LBB71_26
; %bb.27:
	s_or_b64 exec, exec, s[42:43]
.LBB71_28:
	s_or_b64 exec, exec, s[40:41]
	ds_bpermute_b32 v10, v10, v16
	s_waitcnt lgkmcnt(0)
	v_add_f32_e32 v10, v16, v10
	ds_bpermute_b32 v12, v12, v10
	s_waitcnt lgkmcnt(0)
	v_add_f32_e32 v10, v10, v12
	ds_bpermute_b32 v12, v13, v10
	v_xor_b32_e32 v13, 4, v2
	v_cmp_lt_i32_e64 s[12:13], v13, v3
	s_waitcnt lgkmcnt(0)
	v_add_f32_e32 v10, v10, v12
	v_cndmask_b32_e64 v13, v2, v13, s[12:13]
	v_lshlrev_b32_e32 v13, 2, v13
	ds_bpermute_b32 v12, v13, v10
	v_xor_b32_e32 v13, 2, v2
	v_cmp_lt_i32_e64 s[12:13], v13, v3
	s_waitcnt lgkmcnt(0)
	v_add_f32_e32 v3, v10, v12
	v_cndmask_b32_e64 v2, v2, v13, s[12:13]
	v_lshlrev_b32_e32 v2, 2, v2
	ds_bpermute_b32 v2, v2, v3
	s_waitcnt lgkmcnt(0)
	v_add_f32_e32 v2, v3, v2
	ds_bpermute_b32 v3, v14, v2
	s_waitcnt lgkmcnt(0)
	v_add_f32_e32 v2, v2, v3
	s_and_saveexec_b64 s[12:13], vcc
	s_cbranch_execz .LBB71_30
; %bb.29:
	ds_write_b32 v5, v2 offset:232
.LBB71_30:
	s_or_b64 exec, exec, s[12:13]
	s_waitcnt lgkmcnt(0)
	s_barrier
	s_and_saveexec_b64 s[12:13], s[0:1]
	s_cbranch_execz .LBB71_32
; %bb.31:
	ds_read_b32 v2, v11 offset:232
.LBB71_32:
	s_or_b64 exec, exec, s[12:13]
	s_waitcnt lgkmcnt(0)
	ds_bpermute_b32 v3, v14, v2
	s_waitcnt lgkmcnt(0)
	v_add_f32_e32 v2, v2, v3
	ds_bpermute_b32 v5, v15, v2
	s_and_saveexec_b64 s[0:1], s[8:9]
	s_cbranch_execz .LBB71_45
; %bb.33:
	s_waitcnt lgkmcnt(0)
	v_add_f32_e32 v2, 0x358637bd, v5
	v_div_scale_f32 v3, s[8:9], v2, v2, 1.0
	v_rcp_f32_e32 v10, v3
	v_div_scale_f32 v11, vcc, 1.0, v2, 1.0
	s_movk_i32 s8, 0x7f
	v_fma_f32 v12, -v3, v10, 1.0
	v_fmac_f32_e32 v10, v12, v10
	v_mul_f32_e32 v12, v11, v10
	v_fma_f32 v13, -v3, v12, v11
	v_fmac_f32_e32 v12, v13, v10
	v_fma_f32 v3, -v3, v12, v11
	v_div_fmas_f32 v3, v3, v10, v12
	v_div_fixup_f32 v2, v3, v2, 1.0
	v_xad_u32 v3, v0, -1, s20
	v_subrev_u32_e32 v10, s51, v3
	v_cmp_lt_u32_e32 vcc, s8, v10
	s_mov_b64 s[12:13], -1
	v_mov_b32_e32 v3, v0
	s_and_saveexec_b64 s[8:9], vcc
	s_cbranch_execz .LBB71_42
; %bb.34:
	v_lshrrev_b32_e32 v10, 7, v10
	v_add_u32_e32 v12, -1, v10
	v_lshrrev_b32_e32 v11, 1, v12
	v_mov_b32_e32 v3, v2
	v_add_u32_e32 v11, 1, v11
	v_cmp_lt_u32_e32 vcc, 13, v12
	v_mov_b32_e32 v14, 0
	s_and_saveexec_b64 s[12:13], vcc
	s_cbranch_execz .LBB71_38
; %bb.35:
	v_mov_b32_e32 v13, 0xf0
	v_and_b32_e32 v12, -8, v11
	v_lshl_add_u32 v13, v0, 2, v13
	s_mov_b32 s20, 0
	s_mov_b64 s[40:41], 0
.LBB71_36:                              ; =>This Inner Loop Header: Depth=1
	ds_read2st64_b32 v[14:15], v13 offset1:2
	ds_read2st64_b32 v[16:17], v13 offset0:4 offset1:6
	ds_read2st64_b32 v[20:21], v13 offset0:8 offset1:10
	ds_read2st64_b32 v[22:23], v13 offset0:12 offset1:14
	v_add_u32_e32 v12, -8, v12
	s_waitcnt lgkmcnt(3)
	v_pk_mul_f32 v[14:15], v[2:3], v[14:15]
	s_waitcnt lgkmcnt(2)
	v_pk_mul_f32 v[16:17], v[2:3], v[16:17]
	ds_write2st64_b32 v13, v14, v15 offset1:2
	ds_write2st64_b32 v13, v16, v17 offset0:4 offset1:6
	ds_read2st64_b32 v[16:17], v13 offset0:16 offset1:18
	s_waitcnt lgkmcnt(4)
	v_pk_mul_f32 v[14:15], v[2:3], v[20:21]
	ds_write2st64_b32 v13, v14, v15 offset0:8 offset1:10
	s_waitcnt lgkmcnt(4)
	v_pk_mul_f32 v[14:15], v[2:3], v[22:23]
	ds_write2st64_b32 v13, v14, v15 offset0:12 offset1:14
	ds_read2st64_b32 v[14:15], v13 offset0:20 offset1:22
	s_waitcnt lgkmcnt(3)
	v_pk_mul_f32 v[16:17], v[2:3], v[16:17]
	ds_read2st64_b32 v[20:21], v13 offset0:24 offset1:26
	ds_write2st64_b32 v13, v16, v17 offset0:16 offset1:18
	ds_read2st64_b32 v[16:17], v13 offset0:28 offset1:30
	s_waitcnt lgkmcnt(3)
	v_pk_mul_f32 v[14:15], v[2:3], v[14:15]
	ds_write2st64_b32 v13, v14, v15 offset0:20 offset1:22
	s_waitcnt lgkmcnt(3)
	v_pk_mul_f32 v[14:15], v[2:3], v[20:21]
	ds_write2st64_b32 v13, v14, v15 offset0:24 offset1:26
	s_waitcnt lgkmcnt(2)
	v_pk_mul_f32 v[14:15], v[2:3], v[16:17]
	s_add_i32 s20, s20, 16
	v_cmp_eq_u32_e32 vcc, 0, v12
	ds_write2st64_b32 v13, v14, v15 offset0:28 offset1:30
	v_add_u32_e32 v13, 0x2000, v13
	s_or_b64 s[40:41], vcc, s[40:41]
	v_mov_b32_e32 v14, s20
	s_andn2_b64 exec, exec, s[40:41]
	s_cbranch_execnz .LBB71_36
; %bb.37:
	s_or_b64 exec, exec, s[40:41]
.LBB71_38:
	s_or_b64 exec, exec, s[12:13]
	v_and_b32_e32 v11, 7, v11
	v_cmp_ne_u32_e32 vcc, 0, v11
	s_and_saveexec_b64 s[12:13], vcc
	s_cbranch_execz .LBB71_41
; %bb.39:
	v_lshlrev_b32_e32 v12, 9, v14
	v_lshlrev_b32_e32 v13, 2, v0
	s_movk_i32 s20, 0xf0
	v_add3_u32 v12, v12, v13, s20
	s_mov_b64 s[40:41], 0
.LBB71_40:                              ; =>This Inner Loop Header: Depth=1
	ds_read2st64_b32 v[14:15], v12 offset1:2
	v_add_u32_e32 v11, -1, v11
	v_cmp_eq_u32_e32 vcc, 0, v11
	s_or_b64 s[40:41], vcc, s[40:41]
	s_waitcnt lgkmcnt(0)
	v_pk_mul_f32 v[14:15], v[2:3], v[14:15]
	ds_write2st64_b32 v12, v14, v15 offset1:2
	v_add_u32_e32 v12, 0x400, v12
	s_andn2_b64 exec, exec, s[40:41]
	s_cbranch_execnz .LBB71_40
.LBB71_41:
	s_or_b64 exec, exec, s[12:13]
	v_add_u32_e32 v10, 1, v10
	v_and_b32_e32 v11, 0x3fffffe, v10
	v_cmp_ne_u32_e32 vcc, v10, v11
	v_lshl_add_u32 v3, v11, 7, v0
	s_orn2_b64 s[12:13], vcc, exec
.LBB71_42:
	s_or_b64 exec, exec, s[8:9]
	s_and_b64 exec, exec, s[12:13]
	s_cbranch_execz .LBB71_45
; %bb.43:
	v_mov_b32_e32 v10, 0xf0
	v_lshl_add_u32 v10, v3, 2, v10
	s_mov_b64 s[8:9], 0
.LBB71_44:                              ; =>This Inner Loop Header: Depth=1
	ds_read_b32 v11, v10
	v_add_u32_e32 v3, 0x80, v3
	v_cmp_le_i32_e32 vcc, s19, v3
	s_or_b64 s[8:9], vcc, s[8:9]
	s_waitcnt lgkmcnt(0)
	v_mul_f32_e32 v11, v2, v11
	ds_write_b32 v10, v11
	v_add_u32_e32 v10, 0x200, v10
	s_andn2_b64 exec, exec, s[8:9]
	s_cbranch_execnz .LBB71_44
.LBB71_45:
	s_or_b64 exec, exec, s[0:1]
	s_mul_i32 s0, s15, s30
	v_cmp_eq_u32_e32 vcc, 0, v0
	s_mul_i32 s8, s0, s5
	s_waitcnt lgkmcnt(0)
	s_barrier
	s_and_saveexec_b64 s[0:1], vcc
	s_cbranch_execz .LBB71_47
; %bb.46:
	s_ashr_i32 s9, s8, 31
	s_lshl_b64 s[12:13], s[8:9], 2
	s_add_u32 s5, s26, s12
	s_mul_i32 s26, s15, s2
	s_addc_u32 s9, s27, s13
	s_ashr_i32 s27, s26, 31
	s_lshl_b64 s[26:27], s[26:27], 2
	s_add_u32 s2, s5, s26
	s_addc_u32 s9, s9, s27
	s_ashr_i32 s5, s4, 31
	s_lshl_b64 s[40:41], s[4:5], 2
	s_add_u32 s42, s2, s40
	s_addc_u32 s43, s9, s41
	s_add_u32 s2, s24, s12
	s_addc_u32 s5, s25, s13
	s_add_u32 s2, s2, s26
	s_addc_u32 s5, s5, s27
	s_add_u32 s12, s2, s40
	v_mov_b32_e32 v2, 0
	s_addc_u32 s13, s5, s41
	global_store_dword v2, v4, s[42:43]
	global_store_dword v2, v5, s[12:13]
.LBB71_47:
	s_or_b64 exec, exec, s[0:1]
	v_mov_b32_e32 v20, 0
	v_mov_b32_e32 v19, 0
	s_and_saveexec_b64 s[12:13], s[6:7]
	s_cbranch_execz .LBB71_59
; %bb.48:
	s_ashr_i32 s19, s18, 31
	s_sub_i32 s5, s16, s21
	s_lshl_b64 s[0:1], s[18:19], 1
	s_add_u32 s6, s38, s0
	s_addc_u32 s7, s39, s1
	s_abs_i32 s22, s22
	v_cvt_f32_u32_e32 v5, s22
	v_or_b32_e32 v3, 64, v18
	s_movk_i32 s0, 0x70
	v_cmp_gt_u32_e32 vcc, s0, v3
	v_lshlrev_b32_e32 v4, 3, v3
	v_rcp_iflag_f32_e32 v3, v5
	s_sub_i32 s0, 0, s22
	s_add_i32 s24, s3, -1
	v_lshlrev_b32_e32 v2, 3, v18
	v_mul_f32_e32 v3, 0x4f7ffffe, v3
	v_cvt_u32_f32_e32 v3, v3
	v_mov_b32_e32 v11, 0
	s_mov_b32 s9, s17
	s_mov_b32 s25, s31
	v_mul_lo_u32 v5, s0, v3
	s_lshl_b64 s[0:1], s[36:37], 2
	v_mul_hi_u32 v5, v3, v5
	s_add_u32 s0, s34, s0
	v_add_u32_e32 v21, v3, v5
	s_addc_u32 s1, s35, s1
	v_mov_b32_e32 v3, 0xf0
	s_mov_b32 s26, s31
	s_mov_b32 s27, s31
	;; [unrolled: 1-line block ×6, first 2 shown]
	v_lshl_add_u64 v[12:13], v[8:9], 2, s[0:1]
	v_lshl_add_u32 v7, v7, 5, v3
	s_mov_b64 s[16:17], 0
	v_lshlrev_b32_e32 v10, 1, v2
	s_mov_b32 s34, 0x5040100
	v_lshlrev_b32_e32 v14, 1, v4
	v_mov_b32_e32 v19, v11
	v_mov_b32_e32 v20, v11
	s_branch .LBB71_52
.LBB71_49:                              ;   in Loop: Header=BB71_52 Depth=1
	s_or_b64 exec, exec, s[20:21]
	s_waitcnt vmcnt(0)
	;;#ASMSTART
	v_pk_mul_f16 v2, v26, v2;

	;;#ASMEND
	;;#ASMSTART
	v_pk_mul_f16 v3, v25, v3;

	;;#ASMEND
	;; [unrolled: 4-line block ×4, first 2 shown]
	s_nop 0
	;;#ASMSTART
	v_pk_add_f16 v2, v2, v3;

	;;#ASMEND
	s_nop 0
	;;#ASMSTART
	v_pk_add_f16 v2, v2, v4;

	;;#ASMEND
	;; [unrolled: 5-line block ×3, first 2 shown]
	s_nop 0
	v_lshrrev_b32_e32 v3, 16, v2
	v_and_b32_e32 v2, 0xffff, v2
	;;#ASMSTART
	v_cvt_f32_f16 v2, v2;
	;;#ASMEND
	;;#ASMSTART
	v_cvt_f32_f16 v3, v3;
	;;#ASMEND
	s_nop 0
	v_add_f32_e32 v2, v2, v3
	v_add_f32_e32 v19, v19, v2
.LBB71_50:                              ;   in Loop: Header=BB71_52 Depth=1
	s_or_b64 exec, exec, s[2:3]
	v_add_f32_e32 v2, v9, v22
	v_add_f32_e32 v20, v20, v2
.LBB71_51:                              ;   in Loop: Header=BB71_52 Depth=1
	s_or_b64 exec, exec, s[18:19]
	v_add_u32_e32 v8, 2, v8
	v_cmp_le_i32_e64 s[0:1], s50, v8
	v_lshl_add_u64 v[12:13], v[12:13], 0, 8
	v_add_u32_e32 v1, 16, v1
	s_or_b64 s[16:17], s[0:1], s[16:17]
	v_add_u32_e32 v7, 64, v7
	s_andn2_b64 exec, exec, s[16:17]
	s_cbranch_execz .LBB71_58
.LBB71_52:                              ; =>This Inner Loop Header: Depth=1
	v_sub_u32_e32 v3, 0, v1
	v_max_i32_e32 v3, v1, v3
	v_mul_hi_u32 v4, v3, s48
	v_mul_lo_u32 v5, v4, s33
	v_sub_u32_e32 v3, v3, v5
	v_add_u32_e32 v5, 1, v4
	v_cmp_le_u32_e64 s[0:1], s33, v3
	v_ashrrev_i32_e32 v2, 31, v1
	v_xor_b32_e32 v2, s23, v2
	v_cndmask_b32_e64 v4, v4, v5, s[0:1]
	v_subrev_u32_e32 v5, s33, v3
	v_cndmask_b32_e64 v3, v3, v5, s[0:1]
	v_add_u32_e32 v5, 1, v4
	v_cmp_le_u32_e64 s[0:1], s33, v3
	s_nop 1
	v_cndmask_b32_e64 v3, v4, v5, s[0:1]
	v_xor_b32_e32 v3, v3, v2
	v_sub_u32_e32 v2, v3, v2
	v_add_u32_e32 v3, s49, v2
	v_sub_u32_e32 v5, 0, v3
	v_ashrrev_i32_e32 v4, 31, v3
	v_max_i32_e32 v3, v3, v5
	v_mul_hi_u32 v5, v3, v21
	v_mul_lo_u32 v5, v5, s22
	v_sub_u32_e32 v3, v3, v5
	v_subrev_u32_e32 v5, s22, v3
	v_cmp_le_u32_e64 s[0:1], s22, v3
	v_cmp_lt_i32_e64 s[2:3], s5, v2
	s_nop 0
	v_cndmask_b32_e64 v3, v3, v5, s[0:1]
	v_subrev_u32_e32 v5, s22, v3
	v_cmp_le_u32_e64 s[0:1], s22, v3
	s_nop 1
	v_cndmask_b32_e64 v3, v3, v5, s[0:1]
	v_xor_b32_e32 v3, v3, v4
	v_sub_u32_e32 v3, v3, v4
	v_cmp_eq_u32_e64 s[0:1], 0, v3
	s_or_b64 s[0:1], s[0:1], s[2:3]
	s_and_saveexec_b64 s[18:19], s[0:1]
	s_cbranch_execz .LBB71_51
; %bb.53:                               ;   in Loop: Header=BB71_52 Depth=1
	global_load_dword v16, v[12:13], off
	ds_read2_b64 v[2:5], v7 offset1:1
	ds_read2_b64 v[26:29], v7 offset0:2 offset1:3
	s_waitcnt lgkmcnt(1)
	;;#ASMSTART
	v_cvt_f16_f32 v9, v2;

	;;#ASMEND
	;;#ASMSTART
	v_cvt_f16_f32 v15, v3;

	;;#ASMEND
	;;#ASMSTART
	v_cvt_f16_f32 v22, v4;

	;;#ASMEND
	;;#ASMSTART
	v_cvt_f16_f32 v23, v5;

	;;#ASMEND
	s_waitcnt lgkmcnt(0)
	;;#ASMSTART
	v_cvt_f16_f32 v24, v26;

	;;#ASMEND
	;;#ASMSTART
	v_cvt_f16_f32 v27, v27;

	;;#ASMEND
	;; [unrolled: 4-line block ×4, first 2 shown]
	s_waitcnt vmcnt(0)
	v_mad_i64_i32 v[2:3], s[0:1], v16, s9, 0
	v_lshl_add_u64 v[16:17], v[2:3], 1, s[6:7]
	v_lshl_add_u64 v[2:3], v[16:17], 0, v[10:11]
	global_load_dwordx4 v[2:5], v[2:3], off
	v_cmp_eq_u32_e64 s[0:1], s24, v8
	s_and_saveexec_b64 s[20:21], s[0:1]
	s_cbranch_execz .LBB71_55
; %bb.54:                               ;   in Loop: Header=BB71_52 Depth=1
	v_or_b32_e32 v33, 7, v1
	v_or_b32_e32 v34, 6, v1
	s_waitcnt vmcnt(0)
	v_lshrrev_b32_e32 v35, 16, v5
	v_cmp_gt_i32_e64 s[2:3], s40, v33
	v_or_b32_e32 v31, 5, v1
	v_or_b32_e32 v32, 4, v1
	v_cndmask_b32_e64 v33, 0, v35, s[2:3]
	v_cmp_gt_i32_e64 s[2:3], s39, v34
	v_or_b32_e32 v26, 3, v1
	v_or_b32_e32 v30, 2, v1
	v_cndmask_b32_e64 v5, 0, v5, s[2:3]
	v_perm_b32 v5, v33, v5, s34
	v_lshrrev_b32_e32 v33, 16, v4
	v_cmp_gt_i32_e64 s[2:3], s38, v31
	v_add_u32_e32 v25, 1, v1
	s_nop 0
	v_cndmask_b32_e64 v31, 0, v33, s[2:3]
	v_cmp_gt_i32_e64 s[2:3], s30, v32
	s_nop 1
	v_cndmask_b32_e64 v4, 0, v4, s[2:3]
	v_perm_b32 v4, v31, v4, s34
	v_lshrrev_b32_e32 v31, 16, v3
	v_cmp_gt_i32_e64 s[2:3], s27, v26
	s_nop 1
	v_cndmask_b32_e64 v26, 0, v31, s[2:3]
	v_cmp_gt_i32_e64 s[2:3], s26, v30
	s_nop 1
	v_cndmask_b32_e64 v3, 0, v3, s[2:3]
	v_perm_b32 v3, v26, v3, s34
	v_lshrrev_b32_e32 v26, 16, v2
	v_cmp_gt_i32_e64 s[2:3], s25, v25
	s_nop 1
	v_cndmask_b32_e64 v25, 0, v26, s[2:3]
	v_cmp_gt_i32_e64 s[2:3], s31, v1
	s_nop 1
	v_cndmask_b32_e64 v2, 0, v2, s[2:3]
	v_perm_b32 v2, v25, v2, s34
.LBB71_55:                              ;   in Loop: Header=BB71_52 Depth=1
	s_or_b64 exec, exec, s[20:21]
	v_and_b32_e32 v9, 0xffff, v9
	v_lshl_or_b32 v26, v15, 16, v9
	v_and_b32_e32 v9, 0xffff, v22
	v_lshl_or_b32 v25, v23, 16, v9
	;; [unrolled: 2-line block ×3, first 2 shown]
	v_and_b32_e32 v9, 0xffff, v28
	s_waitcnt vmcnt(0)
	;;#ASMSTART
	v_pk_mul_f16 v2, v26, v2;

	;;#ASMEND
	v_lshl_or_b32 v23, v29, 16, v9
	;;#ASMSTART
	v_pk_mul_f16 v3, v25, v3;

	;;#ASMEND
	;;#ASMSTART
	v_pk_mul_f16 v4, v24, v4;

	;;#ASMEND
	;; [unrolled: 4-line block ×3, first 2 shown]
	s_nop 0
	;;#ASMSTART
	v_pk_add_f16 v2, v2, v3;

	;;#ASMEND
	s_nop 0
	;;#ASMSTART
	v_pk_add_f16 v2, v2, v4;

	;;#ASMEND
	;; [unrolled: 5-line block ×3, first 2 shown]
	s_nop 0
	v_lshrrev_b32_e32 v3, 16, v2
	v_and_b32_e32 v2, 0xffff, v2
	;;#ASMSTART
	v_cvt_f32_f16 v9, v2;
	;;#ASMEND
	;;#ASMSTART
	v_cvt_f32_f16 v22, v3;
	;;#ASMEND
	s_and_saveexec_b64 s[2:3], vcc
	s_cbranch_execz .LBB71_50
; %bb.56:                               ;   in Loop: Header=BB71_52 Depth=1
	v_mov_b32_e32 v15, v11
	v_lshl_add_u64 v[2:3], v[16:17], 0, v[14:15]
	global_load_dwordx4 v[2:5], v[2:3], off
	s_and_saveexec_b64 s[20:21], s[0:1]
	s_cbranch_execz .LBB71_49
; %bb.57:                               ;   in Loop: Header=BB71_52 Depth=1
	v_or_b32_e32 v29, 7, v1
	v_or_b32_e32 v30, 6, v1
	s_waitcnt vmcnt(0)
	v_lshrrev_b32_e32 v31, 16, v5
	v_cmp_gt_i32_e64 s[0:1], s40, v29
	v_or_b32_e32 v27, 5, v1
	v_or_b32_e32 v28, 4, v1
	v_cndmask_b32_e64 v29, 0, v31, s[0:1]
	v_cmp_gt_i32_e64 s[0:1], s39, v30
	v_or_b32_e32 v16, 3, v1
	v_or_b32_e32 v17, 2, v1
	v_cndmask_b32_e64 v5, 0, v5, s[0:1]
	v_perm_b32 v5, v29, v5, s34
	v_lshrrev_b32_e32 v29, 16, v4
	v_cmp_gt_i32_e64 s[0:1], s38, v27
	v_add_u32_e32 v15, 1, v1
	s_nop 0
	v_cndmask_b32_e64 v27, 0, v29, s[0:1]
	v_cmp_gt_i32_e64 s[0:1], s30, v28
	s_nop 1
	v_cndmask_b32_e64 v4, 0, v4, s[0:1]
	v_perm_b32 v4, v27, v4, s34
	v_lshrrev_b32_e32 v27, 16, v3
	v_cmp_gt_i32_e64 s[0:1], s27, v16
	s_nop 1
	v_cndmask_b32_e64 v16, 0, v27, s[0:1]
	v_cmp_gt_i32_e64 s[0:1], s26, v17
	s_nop 1
	v_cndmask_b32_e64 v3, 0, v3, s[0:1]
	v_perm_b32 v3, v16, v3, s34
	v_lshrrev_b32_e32 v16, 16, v2
	v_cmp_gt_i32_e64 s[0:1], s25, v15
	s_nop 1
	v_cndmask_b32_e64 v15, 0, v16, s[0:1]
	v_cmp_gt_i32_e64 s[0:1], s31, v1
	s_nop 1
	v_cndmask_b32_e64 v2, 0, v2, s[0:1]
	v_perm_b32 v2, v15, v2, s34
	s_branch .LBB71_49
.LBB71_58:
	s_or_b64 exec, exec, s[16:17]
.LBB71_59:
	s_or_b64 exec, exec, s[12:13]
	v_and_b32_e32 v1, 0x3c0, v0
	v_cmp_eq_u32_e32 vcc, 64, v1
	s_barrier
	s_and_saveexec_b64 s[0:1], vcc
	s_cbranch_execz .LBB71_62
; %bb.60:
	v_mov_b32_e32 v1, 0xf0
	v_lshl_add_u32 v2, v18, 2, v1
	ds_write_b32 v2, v20
	s_and_b64 exec, exec, s[10:11]
	s_cbranch_execz .LBB71_62
; %bb.61:
	v_lshl_add_u32 v1, v0, 2, v1
	ds_write_b32 v1, v19
.LBB71_62:
	s_or_b64 exec, exec, s[0:1]
	v_cmp_gt_u32_e32 vcc, 64, v0
	v_or_b32_e32 v1, 64, v0
	s_waitcnt lgkmcnt(0)
	s_barrier
	s_and_saveexec_b64 s[2:3], vcc
	s_cbranch_execz .LBB71_66
; %bb.63:
	v_mov_b32_e32 v2, 0xf0
	v_lshl_add_u32 v2, v0, 2, v2
	ds_read_b32 v0, v2
	s_movk_i32 s0, 0x70
	v_cmp_gt_u32_e64 s[0:1], s0, v1
	s_and_saveexec_b64 s[6:7], s[0:1]
	s_cbranch_execz .LBB71_65
; %bb.64:
	ds_read_b32 v2, v2 offset:256
	s_waitcnt lgkmcnt(0)
	v_add_f32_e32 v19, v19, v2
.LBB71_65:
	s_or_b64 exec, exec, s[6:7]
	s_waitcnt lgkmcnt(0)
	v_add_f32_e32 v20, v20, v0
.LBB71_66:
	s_or_b64 exec, exec, s[2:3]
	s_barrier
	s_and_saveexec_b64 s[0:1], vcc
	s_cbranch_execz .LBB71_69
; %bb.67:
	s_mul_i32 s0, s8, 0x70
	s_ashr_i32 s1, s0, 31
	s_lshl_b64 s[0:1], s[0:1], 1
	s_add_u32 s3, s28, s0
	s_mul_i32 s0, s15, s14
	s_addc_u32 s5, s29, s1
	s_ashr_i32 s1, s0, 31
	s_lshl_b64 s[0:1], s[0:1], 1
	s_add_u32 s3, s3, s0
	s_mul_i32 s0, s4, 0x70
	s_addc_u32 s5, s5, s1
	s_ashr_i32 s1, s0, 31
	s_lshl_b64 s[0:1], s[0:1], 1
	s_movk_i32 s2, 0x70
	s_add_u32 s0, s3, s0
	s_addc_u32 s1, s5, s1
	v_cmp_gt_u32_e32 vcc, s2, v1
	;;#ASMSTART
	v_cvt_f16_f32 v0, v20;

	;;#ASMEND
	global_store_short v6, v0, s[0:1]
	s_and_b64 exec, exec, vcc
	s_cbranch_execz .LBB71_69
; %bb.68:
	v_mov_b32_e32 v7, 0
	v_lshl_add_u64 v[0:1], s[0:1], 0, v[6:7]
	;;#ASMSTART
	v_cvt_f16_f32 v2, v19;

	;;#ASMEND
	global_store_short v[0:1], v2, off offset:128
.LBB71_69:
	s_endpgm
	.section	.rodata,"a",@progbits
	.p2align	6, 0x0
	.amdhsa_kernel _ZN4vllm25paged_attention_v2_kernelIttLi112ELi8ELi128ELNS_18Fp8KVCacheDataTypeE0ELb1ELi512EEEvPfS2_PT_PKS3_PKT0_S9_ifPKiSB_iPKfiiiSD_SD_iiiii
		.amdhsa_group_segment_fixed_size 240
		.amdhsa_private_segment_fixed_size 0
		.amdhsa_kernarg_size 400
		.amdhsa_user_sgpr_count 2
		.amdhsa_user_sgpr_dispatch_ptr 0
		.amdhsa_user_sgpr_queue_ptr 0
		.amdhsa_user_sgpr_kernarg_segment_ptr 1
		.amdhsa_user_sgpr_dispatch_id 0
		.amdhsa_user_sgpr_kernarg_preload_length 0
		.amdhsa_user_sgpr_kernarg_preload_offset 0
		.amdhsa_user_sgpr_private_segment_size 0
		.amdhsa_uses_dynamic_stack 0
		.amdhsa_enable_private_segment 0
		.amdhsa_system_sgpr_workgroup_id_x 1
		.amdhsa_system_sgpr_workgroup_id_y 1
		.amdhsa_system_sgpr_workgroup_id_z 1
		.amdhsa_system_sgpr_workgroup_info 0
		.amdhsa_system_vgpr_workitem_id 0
		.amdhsa_next_free_vgpr 51
		.amdhsa_next_free_sgpr 54
		.amdhsa_accum_offset 52
		.amdhsa_reserve_vcc 1
		.amdhsa_float_round_mode_32 0
		.amdhsa_float_round_mode_16_64 0
		.amdhsa_float_denorm_mode_32 3
		.amdhsa_float_denorm_mode_16_64 3
		.amdhsa_dx10_clamp 1
		.amdhsa_ieee_mode 1
		.amdhsa_fp16_overflow 0
		.amdhsa_tg_split 0
		.amdhsa_exception_fp_ieee_invalid_op 0
		.amdhsa_exception_fp_denorm_src 0
		.amdhsa_exception_fp_ieee_div_zero 0
		.amdhsa_exception_fp_ieee_overflow 0
		.amdhsa_exception_fp_ieee_underflow 0
		.amdhsa_exception_fp_ieee_inexact 0
		.amdhsa_exception_int_div_zero 0
	.end_amdhsa_kernel
	.section	.text._ZN4vllm25paged_attention_v2_kernelIttLi112ELi8ELi128ELNS_18Fp8KVCacheDataTypeE0ELb1ELi512EEEvPfS2_PT_PKS3_PKT0_S9_ifPKiSB_iPKfiiiSD_SD_iiiii,"axG",@progbits,_ZN4vllm25paged_attention_v2_kernelIttLi112ELi8ELi128ELNS_18Fp8KVCacheDataTypeE0ELb1ELi512EEEvPfS2_PT_PKS3_PKT0_S9_ifPKiSB_iPKfiiiSD_SD_iiiii,comdat
.Lfunc_end71:
	.size	_ZN4vllm25paged_attention_v2_kernelIttLi112ELi8ELi128ELNS_18Fp8KVCacheDataTypeE0ELb1ELi512EEEvPfS2_PT_PKS3_PKT0_S9_ifPKiSB_iPKfiiiSD_SD_iiiii, .Lfunc_end71-_ZN4vllm25paged_attention_v2_kernelIttLi112ELi8ELi128ELNS_18Fp8KVCacheDataTypeE0ELb1ELi512EEEvPfS2_PT_PKS3_PKT0_S9_ifPKiSB_iPKfiiiSD_SD_iiiii
                                        ; -- End function
	.section	.AMDGPU.csdata,"",@progbits
; Kernel info:
; codeLenInByte = 5464
; NumSgprs: 60
; NumVgprs: 51
; NumAgprs: 0
; TotalNumVgprs: 51
; ScratchSize: 0
; MemoryBound: 0
; FloatMode: 240
; IeeeMode: 1
; LDSByteSize: 240 bytes/workgroup (compile time only)
; SGPRBlocks: 7
; VGPRBlocks: 6
; NumSGPRsForWavesPerEU: 60
; NumVGPRsForWavesPerEU: 51
; AccumOffset: 52
; Occupancy: 8
; WaveLimiterHint : 1
; COMPUTE_PGM_RSRC2:SCRATCH_EN: 0
; COMPUTE_PGM_RSRC2:USER_SGPR: 2
; COMPUTE_PGM_RSRC2:TRAP_HANDLER: 0
; COMPUTE_PGM_RSRC2:TGID_X_EN: 1
; COMPUTE_PGM_RSRC2:TGID_Y_EN: 1
; COMPUTE_PGM_RSRC2:TGID_Z_EN: 1
; COMPUTE_PGM_RSRC2:TIDIG_COMP_CNT: 0
; COMPUTE_PGM_RSRC3_GFX90A:ACCUM_OFFSET: 12
; COMPUTE_PGM_RSRC3_GFX90A:TG_SPLIT: 0
	.section	.text._ZN4vllm32paged_attention_v2_reduce_kernelItLi112ELi128ELi512EEEvPT_PKfS4_PKS1_PKii,"axG",@progbits,_ZN4vllm32paged_attention_v2_reduce_kernelItLi112ELi128ELi512EEEvPT_PKfS4_PKS1_PKii,comdat
	.protected	_ZN4vllm32paged_attention_v2_reduce_kernelItLi112ELi128ELi512EEEvPT_PKfS4_PKS1_PKii ; -- Begin function _ZN4vllm32paged_attention_v2_reduce_kernelItLi112ELi128ELi512EEEvPT_PKfS4_PKS1_PKii
	.globl	_ZN4vllm32paged_attention_v2_reduce_kernelItLi112ELi128ELi512EEEvPT_PKfS4_PKS1_PKii
	.p2align	8
	.type	_ZN4vllm32paged_attention_v2_reduce_kernelItLi112ELi128ELi512EEEvPT_PKfS4_PKS1_PKii,@function
_ZN4vllm32paged_attention_v2_reduce_kernelItLi112ELi128ELi512EEEvPT_PKfS4_PKS1_PKii: ; @_ZN4vllm32paged_attention_v2_reduce_kernelItLi112ELi128ELi512EEEvPT_PKfS4_PKS1_PKii
; %bb.0:
	s_load_dwordx4 s[8:11], s[0:1], 0x18
	s_add_u32 s6, s0, 48
	s_mov_b32 s12, s3
	s_addc_u32 s7, s1, 0
	s_ashr_i32 s13, s3, 31
	s_lshl_b64 s[4:5], s[12:13], 2
	s_waitcnt lgkmcnt(0)
	s_add_u32 s4, s10, s4
	s_addc_u32 s5, s11, s5
	s_load_dword s26, s[4:5], 0x0
	s_load_dwordx2 s[10:11], s[0:1], 0x0
	s_load_dword s13, s[0:1], 0x28
	s_load_dword s3, s[0:1], 0x30
	s_waitcnt lgkmcnt(0)
	s_add_i32 s4, s26, -1
	s_cmpk_gt_u32 s4, 0x1ff
	s_mov_b64 s[4:5], -1
	s_cbranch_scc0 .LBB72_25
; %bb.1:
	s_add_i32 s4, s26, 0x1ff
	s_load_dwordx2 s[18:19], s[0:1], 0x8
	s_ashr_i32 s5, s4, 31
	s_lshr_b32 s5, s5, 23
	s_add_i32 s4, s4, s5
	s_mul_i32 s24, s3, s12
	s_ashr_i32 s25, s4, 9
	s_mul_i32 s14, s24, s13
	s_mul_i32 s16, s2, s13
	s_ashr_i32 s15, s14, 31
	s_ashr_i32 s17, s16, 31
	v_cmp_gt_i32_e32 vcc, s25, v0
	v_mov_b32_e32 v6, 0xff7fffff
	v_lshlrev_b32_e32 v2, 2, v0
	s_and_saveexec_b64 s[4:5], vcc
	s_cbranch_execz .LBB72_5
; %bb.2:
	s_load_dword s20, s[6:7], 0xc
	s_load_dwordx2 s[22:23], s[0:1], 0x10
	s_lshl_b64 s[0:1], s[14:15], 2
	s_lshl_b64 s[28:29], s[16:17], 2
	v_mov_b32_e32 v3, 0
	s_waitcnt lgkmcnt(0)
	s_and_b32 s27, s20, 0xffff
	s_add_u32 s0, s0, s28
	s_addc_u32 s1, s1, s29
	s_add_u32 s0, s22, s0
	s_addc_u32 s1, s23, s1
	s_mov_b32 s21, 0
	v_lshl_add_u64 v[4:5], s[0:1], 0, v[2:3]
	s_lshl_b32 s20, s27, 2
	v_add_u32_e32 v1, 16, v2
	s_mov_b64 s[22:23], 0
	v_mov_b32_e32 v6, 0xff7fffff
	v_mov_b32_e32 v3, v0
.LBB72_3:                               ; =>This Inner Loop Header: Depth=1
	global_load_dword v7, v[4:5], off
	v_add_u32_e32 v3, s27, v3
	v_max_f32_e32 v6, v6, v6
	v_cmp_le_i32_e64 s[0:1], s25, v3
	v_lshl_add_u64 v[4:5], v[4:5], 0, s[20:21]
	s_or_b64 s[22:23], s[0:1], s[22:23]
	s_waitcnt vmcnt(0)
	ds_write_b32 v1, v7
	v_max_f32_e32 v7, v7, v7
	v_add_u32_e32 v1, s20, v1
	v_max_f32_e32 v6, v6, v7
	s_andn2_b64 exec, exec, s[22:23]
	s_cbranch_execnz .LBB72_3
; %bb.4:
	s_or_b64 exec, exec, s[22:23]
.LBB72_5:
	s_or_b64 exec, exec, s[4:5]
	v_mbcnt_lo_u32_b32 v1, -1, 0
	v_mbcnt_hi_u32_b32 v3, -1, v1
	v_and_b32_e32 v1, 64, v3
	v_add_u32_e32 v7, 64, v1
	v_xor_b32_e32 v1, 32, v3
	v_cmp_lt_i32_e64 s[0:1], v1, v7
	v_max_f32_e32 v5, v6, v6
	v_xor_b32_e32 v8, 8, v3
	v_cndmask_b32_e64 v1, v3, v1, s[0:1]
	v_lshlrev_b32_e32 v1, 2, v1
	ds_bpermute_b32 v4, v1, v6
	v_xor_b32_e32 v6, 16, v3
	v_cmp_lt_i32_e64 s[0:1], v6, v7
	v_xor_b32_e32 v9, 4, v3
	v_xor_b32_e32 v10, 2, v3
	s_waitcnt lgkmcnt(0)
	v_max_f32_e32 v4, v4, v4
	v_max_f32_e32 v4, v5, v4
	v_cndmask_b32_e64 v5, v3, v6, s[0:1]
	v_lshlrev_b32_e32 v6, 2, v5
	ds_bpermute_b32 v5, v6, v4
	v_cmp_lt_i32_e64 s[0:1], v8, v7
	v_lshrrev_b32_e32 v13, 6, v0
	s_waitcnt lgkmcnt(0)
	s_barrier
	v_max_f32_e32 v5, v5, v5
	v_max_f32_e32 v4, v4, v5
	v_cndmask_b32_e64 v5, v3, v8, s[0:1]
	v_lshlrev_b32_e32 v8, 2, v5
	ds_bpermute_b32 v5, v8, v4
	v_cmp_lt_i32_e64 s[0:1], v9, v7
	s_waitcnt lgkmcnt(0)
	v_max_f32_e32 v5, v5, v5
	v_max_f32_e32 v4, v4, v5
	v_cndmask_b32_e64 v5, v3, v9, s[0:1]
	v_lshlrev_b32_e32 v9, 2, v5
	ds_bpermute_b32 v5, v9, v4
	v_cmp_lt_i32_e64 s[0:1], v10, v7
	s_waitcnt lgkmcnt(0)
	v_max_f32_e32 v5, v5, v5
	v_max_f32_e32 v5, v4, v5
	v_cndmask_b32_e64 v4, v3, v10, s[0:1]
	v_lshlrev_b32_e32 v10, 2, v4
	ds_bpermute_b32 v11, v10, v5
	v_and_b32_e32 v4, 63, v0
	s_waitcnt lgkmcnt(0)
	v_max_f32_e32 v11, v11, v11
	v_max_f32_e32 v5, v5, v11
	v_xor_b32_e32 v11, 1, v3
	v_cmp_lt_i32_e64 s[0:1], v11, v7
	s_nop 1
	v_cndmask_b32_e64 v7, v3, v11, s[0:1]
	v_lshlrev_b32_e32 v7, 2, v7
	ds_bpermute_b32 v12, v7, v5
	v_cmp_eq_u32_e64 s[0:1], 0, v4
	v_lshlrev_b32_e32 v11, 2, v13
	s_and_saveexec_b64 s[4:5], s[0:1]
	s_cbranch_execz .LBB72_7
; %bb.6:
	s_waitcnt lgkmcnt(0)
	v_max_f32_e32 v12, v12, v12
	v_max_f32_e32 v5, v5, v5
	;; [unrolled: 1-line block ×3, first 2 shown]
	ds_write_b32 v11, v5
.LBB72_7:
	s_or_b64 exec, exec, s[4:5]
	v_cmp_gt_u32_e64 s[4:5], 2, v4
	v_mov_b32_e32 v5, 0xff7fffff
	s_waitcnt lgkmcnt(0)
	v_lshlrev_b32_e32 v12, 2, v4
	s_barrier
	s_and_saveexec_b64 s[20:21], s[4:5]
	s_cbranch_execz .LBB72_9
; %bb.8:
	ds_read_b32 v5, v12
.LBB72_9:
	s_or_b64 exec, exec, s[20:21]
	s_waitcnt lgkmcnt(0)
	ds_bpermute_b32 v4, v7, v5
	v_max_f32_e32 v5, v5, v5
	v_lshlrev_b32_e32 v3, 2, v3
	v_and_b32_e32 v13, 0x100, v3
	s_lshl_b32 s27, s25, 2
	s_waitcnt lgkmcnt(0)
	v_max_f32_e32 v4, v4, v4
	v_max_f32_e32 v4, v5, v4
	ds_bpermute_b32 v14, v13, v4
	v_mov_b32_e32 v3, 0
	s_and_saveexec_b64 s[20:21], vcc
	s_cbranch_execz .LBB72_13
; %bb.10:
	s_load_dword s22, s[6:7], 0xc
	s_lshl_b64 s[28:29], s[14:15], 2
	s_lshl_b64 s[30:31], s[16:17], 2
	v_mov_b32_e32 v3, 0
	s_mov_b32 s23, 0
	s_waitcnt lgkmcnt(0)
	s_and_b32 s15, s22, 0xffff
	s_add_u32 s17, s28, s30
	s_addc_u32 s22, s29, s31
	s_add_u32 s18, s18, s17
	s_addc_u32 s19, s19, s22
	v_lshl_add_u64 v[4:5], s[18:19], 0, v[2:3]
	s_lshl_b32 s22, s15, 2
	v_add_u32_e32 v2, 16, v2
	s_mov_b64 s[18:19], 0
	s_mov_b32 s17, 0x3fb8aa3b
	s_mov_b32 s28, 0xc2ce8ed0
	;; [unrolled: 1-line block ×3, first 2 shown]
	v_mov_b32_e32 v15, 0x7f800000
	v_mov_b32_e32 v16, v0
.LBB72_11:                              ; =>This Inner Loop Header: Depth=1
	global_load_dword v17, v[4:5], off
	ds_read_b32 v18, v2
	v_add_u32_e32 v16, s15, v16
	v_cmp_le_i32_e32 vcc, s25, v16
	s_or_b64 s[18:19], vcc, s[18:19]
	v_add_u32_e32 v19, s27, v2
	s_waitcnt lgkmcnt(0)
	v_sub_f32_e32 v18, v18, v14
	v_mul_f32_e32 v20, 0x3fb8aa3b, v18
	v_fma_f32 v21, v18, s17, -v20
	v_rndne_f32_e32 v22, v20
	v_fmac_f32_e32 v21, 0x32a5705f, v18
	v_sub_f32_e32 v20, v20, v22
	v_add_f32_e32 v20, v20, v21
	v_cvt_i32_f32_e32 v22, v22
	v_exp_f32_e32 v20, v20
	v_cmp_ngt_f32_e32 vcc, s28, v18
	v_lshl_add_u64 v[4:5], v[4:5], 0, s[22:23]
	v_add_u32_e32 v2, s22, v2
	v_ldexp_f32 v20, v20, v22
	v_cndmask_b32_e32 v20, 0, v20, vcc
	v_cmp_nlt_f32_e32 vcc, s29, v18
	s_nop 1
	v_cndmask_b32_e32 v18, v15, v20, vcc
	s_waitcnt vmcnt(0)
	v_mul_f32_e32 v20, v17, v18
	v_fmac_f32_e32 v3, v17, v18
	ds_write_b32 v19, v20
	s_andn2_b64 exec, exec, s[18:19]
	s_cbranch_execnz .LBB72_11
; %bb.12:
	s_or_b64 exec, exec, s[18:19]
.LBB72_13:
	s_or_b64 exec, exec, s[20:21]
	ds_bpermute_b32 v1, v1, v3
	s_waitcnt lgkmcnt(0)
	s_barrier
	v_add_f32_e32 v1, v3, v1
	ds_bpermute_b32 v2, v6, v1
	s_waitcnt lgkmcnt(0)
	v_add_f32_e32 v1, v1, v2
	ds_bpermute_b32 v2, v8, v1
	s_waitcnt lgkmcnt(0)
	;; [unrolled: 3-line block ×5, first 2 shown]
	v_add_f32_e32 v1, v1, v2
	s_and_saveexec_b64 s[18:19], s[0:1]
	s_cbranch_execz .LBB72_15
; %bb.14:
	ds_write_b32 v11, v1 offset:8
.LBB72_15:
	s_or_b64 exec, exec, s[18:19]
	s_waitcnt lgkmcnt(0)
	s_barrier
	s_and_saveexec_b64 s[0:1], s[4:5]
	s_cbranch_execz .LBB72_17
; %bb.16:
	ds_read_b32 v1, v12 offset:8
.LBB72_17:
	s_or_b64 exec, exec, s[0:1]
	s_waitcnt lgkmcnt(0)
	ds_bpermute_b32 v2, v7, v1
	s_movk_i32 s0, 0x70
	v_cmp_gt_u32_e32 vcc, s0, v0
	s_waitcnt lgkmcnt(0)
	v_add_f32_e32 v1, v1, v2
	ds_bpermute_b32 v2, v13, v1
	s_and_saveexec_b64 s[0:1], vcc
	s_cbranch_execz .LBB72_24
; %bb.18:
	s_cmp_gt_i32 s26, 0
	s_mov_b32 s15, 0
	s_cbranch_scc1 .LBB72_20
; %bb.19:
	v_mov_b32_e32 v1, 0
	v_mov_b32_e32 v4, s15
	s_cbranch_execz .LBB72_21
	s_branch .LBB72_23
.LBB72_20:
                                        ; implicit-def: $sgpr15
	v_mov_b32_e32 v4, s15
.LBB72_21:
	s_waitcnt lgkmcnt(0)
	v_add_f32_e32 v1, 0x358637bd, v2
	v_div_scale_f32 v2, s[4:5], v1, v1, 1.0
	v_rcp_f32_e32 v3, v2
	s_mul_i32 s4, s14, 0x70
	s_mulk_i32 s16, 0x70
	s_ashr_i32 s5, s4, 31
	v_fma_f32 v4, -v2, v3, 1.0
	v_fmac_f32_e32 v3, v4, v3
	v_div_scale_f32 v4, vcc, 1.0, v1, 1.0
	v_mul_f32_e32 v5, v4, v3
	v_fma_f32 v6, -v2, v5, v4
	s_ashr_i32 s17, s16, 31
	s_max_i32 s15, s25, 1
	v_fmac_f32_e32 v5, v6, v3
	s_add_i32 s14, s27, 16
	s_lshl_b64 s[4:5], s[4:5], 1
	s_lshl_b64 s[16:17], s[16:17], 1
	v_fma_f32 v2, -v2, v5, v4
	s_add_u32 s4, s4, s16
	v_div_fmas_f32 v2, v2, v3, v5
	s_addc_u32 s5, s5, s17
	v_div_fixup_f32 v5, v2, v1, 1.0
	v_mov_b32_e32 v1, 0
	s_add_u32 s4, s8, s4
	v_lshlrev_b32_e32 v2, 1, v0
	v_mov_b32_e32 v3, v1
	s_addc_u32 s5, s9, s5
	v_lshl_add_u64 v[2:3], s[4:5], 0, v[2:3]
	s_mov_b64 s[4:5], 0xe0
	v_mov_b32_e32 v4, v1
.LBB72_22:                              ; =>This Inner Loop Header: Depth=1
	global_load_ushort v6, v[2:3], off
	v_mov_b32_e32 v7, s14
	s_waitcnt vmcnt(0)
	;;#ASMSTART
	v_cvt_f32_f16 v6, v6;
	;;#ASMEND
	ds_read_b32 v7, v7
	s_add_i32 s15, s15, -1
	s_add_i32 s14, s14, 4
	v_lshl_add_u64 v[2:3], v[2:3], 0, s[4:5]
	s_cmp_eq_u32 s15, 0
	s_waitcnt lgkmcnt(0)
	v_mul_f32_e32 v6, v6, v7
	v_fmac_f32_e32 v4, v5, v6
	s_cbranch_scc0 .LBB72_22
.LBB72_23:
	s_mul_i32 s4, s24, 0x70
	s_ashr_i32 s5, s4, 31
	s_lshl_b64 s[4:5], s[4:5], 1
	s_add_u32 s14, s10, s4
	s_mul_i32 s4, s2, 0x70
	s_addc_u32 s15, s11, s5
	s_ashr_i32 s5, s4, 31
	s_lshl_b64 s[4:5], s[4:5], 1
	s_add_u32 s4, s14, s4
	s_addc_u32 s5, s15, s5
	s_waitcnt lgkmcnt(0)
	v_lshl_add_u64 v[2:3], v[0:1], 1, s[4:5]
	;;#ASMSTART
	v_cvt_f16_f32 v1, v4;

	;;#ASMEND
	global_store_short v[2:3], v1, off
.LBB72_24:
	s_or_b64 exec, exec, s[0:1]
	s_mov_b64 s[4:5], 0
.LBB72_25:
	s_and_b64 vcc, exec, s[4:5]
	s_cbranch_vccz .LBB72_34
; %bb.26:
	s_movk_i32 s0, 0x70
	v_cmp_gt_u32_e32 vcc, s0, v0
	s_and_saveexec_b64 s[4:5], vcc
	s_cbranch_execz .LBB72_34
; %bb.27:
	s_mul_i32 s1, s3, s12
	s_mul_i32 s4, s1, 0x70
	s_ashr_i32 s5, s4, 31
	s_lshl_b64 s[14:15], s[4:5], 1
	s_add_u32 s1, s10, s14
	s_mul_i32 s10, s2, 0x70
	s_addc_u32 s5, s11, s15
	s_ashr_i32 s11, s10, 31
	s_lshl_b64 s[2:3], s[10:11], 1
	s_add_u32 s2, s1, s2
	s_mul_i32 s4, s4, s13
	s_addc_u32 s3, s5, s3
	s_ashr_i32 s5, s4, 31
	s_lshl_b64 s[4:5], s[4:5], 1
	s_load_dword s6, s[6:7], 0xc
	s_add_u32 s1, s8, s4
	s_mul_i32 s4, s10, s13
	s_addc_u32 s8, s9, s5
	s_ashr_i32 s5, s4, 31
	s_lshl_b64 s[4:5], s[4:5], 1
	s_add_u32 s4, s1, s4
	s_addc_u32 s5, s8, s5
	s_waitcnt lgkmcnt(0)
	s_and_b32 s8, s6, 0xffff
	v_cvt_f32_u32_e32 v1, s8
	v_add_u32_e32 v2, s8, v0
	v_mov_b32_e32 v4, s8
	v_cmp_gt_u32_e32 vcc, s0, v2
	v_rcp_iflag_f32_e32 v1, v1
	s_cmp_eq_u32 s8, 1
	v_max_u32_e32 v3, 0x70, v2
	v_addc_co_u32_e64 v2, s[0:1], v0, v4, vcc
	v_mul_f32_e32 v1, 0x4f7ffffe, v1
	v_cvt_u32_f32_e32 v1, v1
	s_cselect_b64 s[6:7], -1, 0
	s_sub_i32 s0, 0, s8
	v_sub_u32_e32 v2, v3, v2
	v_mul_lo_u32 v3, s0, v1
	v_mul_hi_u32 v3, v1, v3
	v_add_u32_e32 v1, v1, v3
	v_mul_hi_u32 v1, v2, v1
	v_mul_lo_u32 v3, v1, s8
	v_sub_u32_e32 v2, v2, v3
	v_add_u32_e32 v3, 1, v1
	v_cmp_le_u32_e64 s[0:1], s8, v2
	s_nop 1
	v_cndmask_b32_e64 v1, v1, v3, s[0:1]
	v_subrev_u32_e32 v3, s8, v2
	v_cndmask_b32_e64 v2, v2, v3, s[0:1]
	v_add_u32_e32 v3, 1, v1
	v_cmp_le_u32_e64 s[0:1], s8, v2
	s_nop 1
	v_cndmask_b32_e64 v1, v1, v3, s[0:1]
	v_addc_co_u32_e32 v1, vcc, 1, v1, vcc
	v_cmp_lt_u32_e32 vcc, 7, v1
	s_and_b64 s[10:11], vcc, s[6:7]
	s_mov_b64 s[6:7], -1
	s_and_saveexec_b64 s[0:1], s[10:11]
	s_cbranch_execz .LBB72_31
; %bb.28:
	v_and_b32_e32 v4, -8, v1
	s_mov_b64 s[6:7], 0
	v_mov_b32_e32 v3, 0
	v_mov_b32_e32 v2, v0
	;; [unrolled: 1-line block ×3, first 2 shown]
.LBB72_29:                              ; =>This Inner Loop Header: Depth=1
	v_lshlrev_b64 v[10:11], 1, v[2:3]
	v_lshl_add_u64 v[6:7], s[4:5], 0, v[10:11]
	global_load_dwordx4 v[6:9], v[6:7], off
	v_add_u32_e32 v5, -8, v5
	v_cmp_eq_u32_e32 vcc, 0, v5
	v_add_u32_e32 v2, 8, v2
	v_lshl_add_u64 v[10:11], s[2:3], 0, v[10:11]
	s_or_b64 s[6:7], vcc, s[6:7]
	s_waitcnt vmcnt(0)
	global_store_dwordx4 v[10:11], v[6:9], off
	s_andn2_b64 exec, exec, s[6:7]
	s_cbranch_execnz .LBB72_29
; %bb.30:
	s_or_b64 exec, exec, s[6:7]
	v_cmp_ne_u32_e32 vcc, v1, v4
	v_add_u32_e32 v0, v0, v4
	s_orn2_b64 s[6:7], vcc, exec
.LBB72_31:
	s_or_b64 exec, exec, s[0:1]
	s_and_b64 exec, exec, s[6:7]
	s_cbranch_execz .LBB72_34
; %bb.32:
	v_mov_b32_e32 v1, 0
	s_mov_b32 s1, 0
	v_lshlrev_b64 v[2:3], 1, v[0:1]
	s_lshl_b32 s0, s8, 1
	s_mov_b64 s[6:7], 0
	s_movk_i32 s9, 0x6f
.LBB72_33:                              ; =>This Inner Loop Header: Depth=1
	v_lshl_add_u64 v[4:5], s[4:5], 0, v[2:3]
	global_load_ushort v1, v[4:5], off
	v_add_u32_e32 v0, s8, v0
	v_cmp_lt_u32_e32 vcc, s9, v0
	v_lshl_add_u64 v[4:5], s[2:3], 0, v[2:3]
	v_lshl_add_u64 v[2:3], v[2:3], 0, s[0:1]
	s_or_b64 s[6:7], vcc, s[6:7]
	s_waitcnt vmcnt(0)
	global_store_short v[4:5], v1, off
	s_andn2_b64 exec, exec, s[6:7]
	s_cbranch_execnz .LBB72_33
.LBB72_34:
	s_endpgm
	.section	.rodata,"a",@progbits
	.p2align	6, 0x0
	.amdhsa_kernel _ZN4vllm32paged_attention_v2_reduce_kernelItLi112ELi128ELi512EEEvPT_PKfS4_PKS1_PKii
		.amdhsa_group_segment_fixed_size 16
		.amdhsa_private_segment_fixed_size 0
		.amdhsa_kernarg_size 304
		.amdhsa_user_sgpr_count 2
		.amdhsa_user_sgpr_dispatch_ptr 0
		.amdhsa_user_sgpr_queue_ptr 0
		.amdhsa_user_sgpr_kernarg_segment_ptr 1
		.amdhsa_user_sgpr_dispatch_id 0
		.amdhsa_user_sgpr_kernarg_preload_length 0
		.amdhsa_user_sgpr_kernarg_preload_offset 0
		.amdhsa_user_sgpr_private_segment_size 0
		.amdhsa_uses_dynamic_stack 0
		.amdhsa_enable_private_segment 0
		.amdhsa_system_sgpr_workgroup_id_x 1
		.amdhsa_system_sgpr_workgroup_id_y 1
		.amdhsa_system_sgpr_workgroup_id_z 0
		.amdhsa_system_sgpr_workgroup_info 0
		.amdhsa_system_vgpr_workitem_id 0
		.amdhsa_next_free_vgpr 23
		.amdhsa_next_free_sgpr 32
		.amdhsa_accum_offset 24
		.amdhsa_reserve_vcc 1
		.amdhsa_float_round_mode_32 0
		.amdhsa_float_round_mode_16_64 0
		.amdhsa_float_denorm_mode_32 3
		.amdhsa_float_denorm_mode_16_64 3
		.amdhsa_dx10_clamp 1
		.amdhsa_ieee_mode 1
		.amdhsa_fp16_overflow 0
		.amdhsa_tg_split 0
		.amdhsa_exception_fp_ieee_invalid_op 0
		.amdhsa_exception_fp_denorm_src 0
		.amdhsa_exception_fp_ieee_div_zero 0
		.amdhsa_exception_fp_ieee_overflow 0
		.amdhsa_exception_fp_ieee_underflow 0
		.amdhsa_exception_fp_ieee_inexact 0
		.amdhsa_exception_int_div_zero 0
	.end_amdhsa_kernel
	.section	.text._ZN4vllm32paged_attention_v2_reduce_kernelItLi112ELi128ELi512EEEvPT_PKfS4_PKS1_PKii,"axG",@progbits,_ZN4vllm32paged_attention_v2_reduce_kernelItLi112ELi128ELi512EEEvPT_PKfS4_PKS1_PKii,comdat
.Lfunc_end72:
	.size	_ZN4vllm32paged_attention_v2_reduce_kernelItLi112ELi128ELi512EEEvPT_PKfS4_PKS1_PKii, .Lfunc_end72-_ZN4vllm32paged_attention_v2_reduce_kernelItLi112ELi128ELi512EEEvPT_PKfS4_PKS1_PKii
                                        ; -- End function
	.section	.AMDGPU.csdata,"",@progbits
; Kernel info:
; codeLenInByte = 2140
; NumSgprs: 38
; NumVgprs: 23
; NumAgprs: 0
; TotalNumVgprs: 23
; ScratchSize: 0
; MemoryBound: 0
; FloatMode: 240
; IeeeMode: 1
; LDSByteSize: 16 bytes/workgroup (compile time only)
; SGPRBlocks: 4
; VGPRBlocks: 2
; NumSGPRsForWavesPerEU: 38
; NumVGPRsForWavesPerEU: 23
; AccumOffset: 24
; Occupancy: 8
; WaveLimiterHint : 0
; COMPUTE_PGM_RSRC2:SCRATCH_EN: 0
; COMPUTE_PGM_RSRC2:USER_SGPR: 2
; COMPUTE_PGM_RSRC2:TRAP_HANDLER: 0
; COMPUTE_PGM_RSRC2:TGID_X_EN: 1
; COMPUTE_PGM_RSRC2:TGID_Y_EN: 1
; COMPUTE_PGM_RSRC2:TGID_Z_EN: 0
; COMPUTE_PGM_RSRC2:TIDIG_COMP_CNT: 0
; COMPUTE_PGM_RSRC3_GFX90A:ACCUM_OFFSET: 5
; COMPUTE_PGM_RSRC3_GFX90A:TG_SPLIT: 0
	.section	.text._ZN4vllm25paged_attention_v2_kernelIttLi120ELi8ELi128ELNS_18Fp8KVCacheDataTypeE0ELb1ELi512EEEvPfS2_PT_PKS3_PKT0_S9_ifPKiSB_iPKfiiiSD_SD_iiiii,"axG",@progbits,_ZN4vllm25paged_attention_v2_kernelIttLi120ELi8ELi128ELNS_18Fp8KVCacheDataTypeE0ELb1ELi512EEEvPfS2_PT_PKS3_PKT0_S9_ifPKiSB_iPKfiiiSD_SD_iiiii,comdat
	.protected	_ZN4vllm25paged_attention_v2_kernelIttLi120ELi8ELi128ELNS_18Fp8KVCacheDataTypeE0ELb1ELi512EEEvPfS2_PT_PKS3_PKT0_S9_ifPKiSB_iPKfiiiSD_SD_iiiii ; -- Begin function _ZN4vllm25paged_attention_v2_kernelIttLi120ELi8ELi128ELNS_18Fp8KVCacheDataTypeE0ELb1ELi512EEEvPfS2_PT_PKS3_PKT0_S9_ifPKiSB_iPKfiiiSD_SD_iiiii
	.globl	_ZN4vllm25paged_attention_v2_kernelIttLi120ELi8ELi128ELNS_18Fp8KVCacheDataTypeE0ELb1ELi512EEEvPfS2_PT_PKS3_PKT0_S9_ifPKiSB_iPKfiiiSD_SD_iiiii
	.p2align	8
	.type	_ZN4vllm25paged_attention_v2_kernelIttLi120ELi8ELi128ELNS_18Fp8KVCacheDataTypeE0ELb1ELi512EEEvPfS2_PT_PKS3_PKT0_S9_ifPKiSB_iPKfiiiSD_SD_iiiii,@function
_ZN4vllm25paged_attention_v2_kernelIttLi120ELi8ELi128ELNS_18Fp8KVCacheDataTypeE0ELb1ELi512EEEvPfS2_PT_PKS3_PKT0_S9_ifPKiSB_iPKfiiiSD_SD_iiiii: ; @_ZN4vllm25paged_attention_v2_kernelIttLi120ELi8ELi128ELNS_18Fp8KVCacheDataTypeE0ELb1ELi512EEEvPfS2_PT_PKS3_PKT0_S9_ifPKiSB_iPKfiiiSD_SD_iiiii
; %bb.0:
	s_load_dwordx2 s[6:7], s[0:1], 0x40
	s_mov_b32 s30, s3
	s_ashr_i32 s31, s3, 31
	s_lshl_b64 s[8:9], s[30:31], 2
	s_waitcnt lgkmcnt(0)
	s_add_u32 s6, s6, s8
	s_addc_u32 s7, s7, s9
	s_load_dword s31, s[6:7], 0x0
	s_lshl_b32 s51, s4, 9
	s_waitcnt lgkmcnt(0)
	s_cmp_ge_i32 s51, s31
	s_cbranch_scc1 .LBB73_69
; %bb.1:
	s_load_dword s5, s[0:1], 0x90
	s_load_dwordx2 s[40:41], s[0:1], 0x30
	s_mov_b32 s52, 0
	s_waitcnt lgkmcnt(0)
	s_abs_i32 s7, s5
	s_abs_i32 s3, s40
	v_cvt_f32_u32_e32 v1, s3
	s_sub_i32 s8, 0, s3
	s_xor_b32 s6, s5, s40
	s_ashr_i32 s6, s6, 31
	v_rcp_iflag_f32_e32 v1, v1
	s_nop 0
	v_mul_f32_e32 v1, 0x4f7ffffe, v1
	v_cvt_u32_f32_e32 v1, v1
	s_nop 0
	v_readfirstlane_b32 s9, v1
	s_mul_i32 s8, s8, s9
	s_mul_hi_u32 s8, s9, s8
	s_add_i32 s9, s9, s8
	s_mul_hi_u32 s8, s7, s9
	s_mul_i32 s9, s8, s3
	s_sub_i32 s7, s7, s9
	s_add_i32 s10, s8, 1
	s_sub_i32 s9, s7, s3
	s_cmp_ge_u32 s7, s3
	s_cselect_b32 s8, s10, s8
	s_cselect_b32 s7, s9, s7
	s_add_i32 s9, s8, 1
	s_cmp_ge_u32 s7, s3
	s_cselect_b32 s3, s9, s8
	s_xor_b32 s3, s3, s6
	s_sub_i32 s10, s3, s6
	s_abs_i32 s8, s10
	v_cvt_f32_u32_e32 v1, s8
	s_load_dwordx2 s[6:7], s[0:1], 0x50
	s_sub_i32 s3, 0, s8
	s_abs_i32 s9, s2
	v_rcp_iflag_f32_e32 v1, v1
	s_nop 0
	v_mul_f32_e32 v1, 0x4f7ffffe, v1
	v_cvt_u32_f32_e32 v1, v1
	s_nop 0
	v_readfirstlane_b32 s11, v1
	s_mul_i32 s3, s3, s11
	s_mul_hi_u32 s3, s11, s3
	s_add_i32 s11, s11, s3
	s_waitcnt lgkmcnt(0)
	s_cmp_eq_u64 s[6:7], 0
	s_mul_hi_u32 s12, s9, s11
	s_cbranch_scc1 .LBB73_3
; %bb.2:
	s_ashr_i32 s3, s2, 31
	s_lshl_b64 s[14:15], s[2:3], 2
	s_add_u32 s6, s6, s14
	s_addc_u32 s7, s7, s15
	s_load_dword s52, s[6:7], 0x0
.LBB73_3:
	s_load_dwordx4 s[16:19], s[0:1], 0x58
	s_movk_i32 s6, 0x78
	s_ashr_i32 s3, s2, 31
	s_ashr_i32 s13, s10, 31
	v_and_b32_e32 v4, 7, v0
	s_mul_i32 s14, s2, 0x78
	v_cmp_gt_u32_e64 s[10:11], s6, v0
	v_lshlrev_b32_e32 v6, 1, v0
	s_and_saveexec_b64 s[6:7], s[10:11]
	s_cbranch_execz .LBB73_5
; %bb.4:
	s_load_dwordx2 s[20:21], s[0:1], 0x18
	s_waitcnt lgkmcnt(0)
	s_mul_i32 s22, s30, s16
	s_ashr_i32 s23, s22, 31
	s_lshl_b64 s[22:23], s[22:23], 1
	v_lshrrev_b32_e32 v2, 2, v0
	s_add_u32 s16, s20, s22
	s_addc_u32 s19, s21, s23
	s_ashr_i32 s15, s14, 31
	s_lshl_b64 s[20:21], s[14:15], 1
	s_add_u32 s20, s16, s20
	s_addc_u32 s21, s19, s21
	global_load_ushort v1, v6, s[20:21]
	v_and_b32_e32 v2, 0xfe, v2
	v_mad_u32_u24 v2, v4, 30, v2
	s_waitcnt vmcnt(0)
	ds_write_b16 v2, v1
.LBB73_5:
	s_or_b64 exec, exec, s[6:7]
	s_mul_i32 s6, s12, s8
	s_sub_i32 s6, s9, s6
	s_xor_b32 s3, s3, s13
	s_add_i32 s7, s12, 1
	s_sub_i32 s9, s6, s8
	s_load_dwordx4 s[20:23], s[0:1], 0x78
	s_cmp_ge_u32 s6, s8
	s_cselect_b32 s7, s7, s12
	s_load_dword s12, s[0:1], 0x88
	s_cselect_b32 s6, s9, s6
	s_add_i32 s9, s7, 1
	s_cmp_ge_u32 s6, s8
	s_cselect_b32 s6, s9, s7
	s_waitcnt lgkmcnt(0)
	s_abs_i32 s33, s23
	v_cvt_f32_u32_e32 v1, s33
	s_xor_b32 s6, s6, s3
	s_sub_i32 s8, s6, s3
	s_sub_i32 s6, 0, s33
	v_rcp_iflag_f32_e32 v1, v1
	s_add_i32 s13, s31, -1
	s_abs_i32 s3, s13
	v_mul_f32_e32 v1, 0x4f7ffffe, v1
	v_cvt_u32_f32_e32 v1, v1
	s_barrier
	v_readfirstlane_b32 s48, v1
	s_mul_i32 s6, s6, s48
	s_mul_hi_u32 s6, s48, s6
	s_add_i32 s48, s48, s6
	s_cmp_lt_i32 s12, 0
	s_mul_hi_u32 s9, s3, s48
	s_cbranch_scc0 .LBB73_7
; %bb.6:
	s_mul_i32 s6, s20, s40
	s_add_i32 s6, s8, s6
	s_mul_i32 s6, s6, s12
	s_sub_i32 s49, 1, s6
	s_mov_b64 s[6:7], 0
	s_branch .LBB73_8
.LBB73_7:
	s_mov_b64 s[6:7], -1
                                        ; implicit-def: $sgpr49
.LBB73_8:
	s_load_dwordx2 s[34:35], s[0:1], 0x38
	s_ashr_i32 s13, s13, 31
	s_andn2_b64 vcc, exec, s[6:7]
	s_ashr_i32 s23, s23, 31
	s_cbranch_vccnz .LBB73_10
; %bb.9:
	s_mul_i32 s6, s5, s20
	s_add_i32 s6, s6, s2
	s_mul_i32 s6, s6, s12
	s_add_i32 s49, s6, 1
.LBB73_10:
	s_load_dword s6, s[0:1], 0x48
	s_load_dwordx2 s[38:39], s[0:1], 0x28
	s_load_dword s15, s[0:1], 0x98
	s_load_dwordx4 s[24:27], s[0:1], 0x0
	s_load_dwordx2 s[28:29], s[0:1], 0x10
	s_mul_i32 s7, s9, s33
	s_waitcnt lgkmcnt(0)
	s_mul_i32 s36, s30, s6
	s_sub_i32 s3, s3, s7
	s_ashr_i32 s37, s36, 31
	s_xor_b32 s6, s13, s23
	s_add_i32 s7, s9, 1
	s_sub_i32 s12, s3, s33
	s_cmp_ge_u32 s3, s33
	s_cselect_b32 s7, s7, s9
	s_cselect_b32 s3, s12, s3
	s_add_i32 s9, s7, 1
	s_cmp_ge_u32 s3, s33
	s_cselect_b32 s3, s9, s7
	s_xor_b32 s3, s3, s6
	s_sub_i32 s16, s3, s6
	s_add_i32 s3, s31, 7
	s_ashr_i32 s6, s3, 31
	s_lshr_b32 s6, s6, 29
	s_add_i32 s3, s3, s6
	s_lshl_b32 s20, s4, 6
	s_ashr_i32 s3, s3, 3
	s_add_i32 s6, s20, 64
	v_lshrrev_b32_e32 v7, 6, v0
	s_min_i32 s50, s6, s3
	v_or_b32_e32 v8, s20, v7
	v_cmp_gt_i32_e64 s[6:7], s50, v8
	v_mov_b32_e32 v13, 0xff7fffff
	s_mul_i32 s18, s8, s18
	v_ashrrev_i32_e32 v9, 31, v8
	v_lshl_add_u32 v1, v7, 3, s51
	v_mbcnt_lo_u32_b32 v10, -1, 0
	s_and_saveexec_b64 s[42:43], s[6:7]
	s_cbranch_execz .LBB73_20
; %bb.11:
	s_load_dwordx2 s[0:1], s[0:1], 0x20
	s_ashr_i32 s19, s18, 31
	s_sub_i32 s40, s16, s21
	s_lshl_b64 s[8:9], s[18:19], 1
	v_bfe_u32 v11, v0, 3, 3
	s_waitcnt lgkmcnt(0)
	s_add_u32 s0, s0, s8
	s_addc_u32 s1, s1, s9
	s_abs_i32 s19, s22
	v_cvt_f32_u32_e32 v5, s19
	v_lshlrev_b32_e32 v2, 4, v11
	v_mov_b32_e32 v3, 0
	v_lshl_add_u64 v[12:13], s[0:1], 0, v[2:3]
	v_rcp_iflag_f32_e32 v5, v5
	v_lshlrev_b32_e32 v2, 1, v4
	v_lshl_add_u64 v[2:3], v[12:13], 0, v[2:3]
	s_sub_i32 s0, 0, s19
	v_mul_f32_e32 v5, 0x4f7ffffe, v5
	v_cvt_u32_f32_e32 v5, v5
	v_lshlrev_b32_e32 v13, 2, v11
	v_cmp_eq_u32_e32 vcc, 0, v4
	v_mul_u32_u24_e32 v12, 30, v4
	v_mul_lo_u32 v4, s0, v5
	s_lshl_b64 s[0:1], s[36:37], 2
	v_lshl_or_b32 v13, v7, 5, v13
	s_add_u32 s0, s34, s0
	v_add_u32_e32 v16, 0x100, v13
	v_subrev_u32_e32 v13, s31, v11
	v_mbcnt_hi_u32_b32 v19, -1, v10
	v_mul_hi_u32 v4, v5, v4
	s_addc_u32 s1, s35, s1
	v_add_u32_e32 v17, 1, v13
	v_and_b32_e32 v13, 64, v19
	s_mov_b32 s53, s17
	v_cmp_neq_f32_e64 s[8:9], s52, 0
	v_add_u32_e32 v14, v5, v4
	v_lshl_add_u64 v[4:5], v[8:9], 2, s[0:1]
	v_lshl_add_u32 v15, v7, 3, s51
	s_mov_b64 s[44:45], 0
	v_mov_b32_e32 v18, 0xff7fffff
	v_add_u32_e32 v20, 64, v13
	v_xor_b32_e32 v21, 4, v19
	v_xor_b32_e32 v22, 2, v19
	;; [unrolled: 1-line block ×3, first 2 shown]
	v_mov_b32_e32 v13, 0xff7fffff
	v_mov_b32_e32 v24, v8
	s_branch .LBB73_14
.LBB73_12:                              ;   in Loop: Header=BB73_14 Depth=1
	s_or_b64 exec, exec, s[46:47]
.LBB73_13:                              ;   in Loop: Header=BB73_14 Depth=1
	s_or_b64 exec, exec, s[12:13]
	v_add_u32_e32 v24, 2, v24
	v_cmp_le_i32_e64 s[0:1], s50, v24
	v_lshl_add_u64 v[4:5], v[4:5], 0, 8
	v_add_u32_e32 v15, 16, v15
	s_or_b64 s[44:45], s[0:1], s[44:45]
	v_add_u32_e32 v16, 64, v16
	s_andn2_b64 exec, exec, s[44:45]
	s_cbranch_execz .LBB73_19
.LBB73_14:                              ; =>This Inner Loop Header: Depth=1
	s_waitcnt lgkmcnt(0)
	v_sub_u32_e32 v26, 0, v15
	v_max_i32_e32 v26, v15, v26
	v_mul_hi_u32 v27, v26, s48
	v_mul_lo_u32 v28, v27, s33
	v_sub_u32_e32 v26, v26, v28
	v_add_u32_e32 v28, 1, v27
	v_cmp_le_u32_e64 s[0:1], s33, v26
	v_ashrrev_i32_e32 v25, 31, v15
	v_xor_b32_e32 v25, s23, v25
	v_cndmask_b32_e64 v27, v27, v28, s[0:1]
	v_subrev_u32_e32 v28, s33, v26
	v_cndmask_b32_e64 v26, v26, v28, s[0:1]
	v_add_u32_e32 v28, 1, v27
	v_cmp_le_u32_e64 s[0:1], s33, v26
	s_nop 1
	v_cndmask_b32_e64 v26, v27, v28, s[0:1]
	v_xor_b32_e32 v26, v26, v25
	v_sub_u32_e32 v25, v26, v25
	v_add_u32_e32 v26, s49, v25
	v_sub_u32_e32 v28, 0, v26
	v_ashrrev_i32_e32 v27, 31, v26
	v_max_i32_e32 v26, v26, v28
	v_mul_hi_u32 v28, v26, v14
	v_mul_lo_u32 v28, v28, s19
	v_sub_u32_e32 v26, v26, v28
	v_subrev_u32_e32 v28, s19, v26
	v_cmp_le_u32_e64 s[0:1], s19, v26
	v_cmp_ge_i32_e64 s[12:13], s40, v25
	s_nop 0
	v_cndmask_b32_e64 v26, v26, v28, s[0:1]
	v_subrev_u32_e32 v28, s19, v26
	v_cmp_le_u32_e64 s[0:1], s19, v26
	s_nop 1
	v_cndmask_b32_e64 v26, v26, v28, s[0:1]
	v_xor_b32_e32 v26, v26, v27
	v_sub_u32_e32 v26, v26, v27
	v_cmp_ne_u32_e64 s[0:1], 0, v26
	s_and_b64 s[0:1], s[0:1], s[12:13]
	s_and_b64 s[46:47], vcc, s[0:1]
	s_and_saveexec_b64 s[12:13], s[46:47]
	s_cbranch_execz .LBB73_16
; %bb.15:                               ;   in Loop: Header=BB73_14 Depth=1
	ds_write_b32 v16, v18
.LBB73_16:                              ;   in Loop: Header=BB73_14 Depth=1
	s_or_b64 exec, exec, s[12:13]
	s_xor_b64 s[0:1], s[0:1], -1
	s_and_saveexec_b64 s[12:13], s[0:1]
	s_cbranch_execz .LBB73_13
; %bb.17:                               ;   in Loop: Header=BB73_14 Depth=1
	global_load_dword v25, v[4:5], off
	s_waitcnt vmcnt(0)
	v_mad_i64_i32 v[26:27], s[0:1], v25, s53, 0
	v_lshl_add_u64 v[26:27], v[26:27], 1, v[2:3]
	global_load_ushort v25, v[26:27], off
	global_load_ushort v28, v[26:27], off offset:128
	global_load_ushort v29, v[26:27], off offset:256
	;; [unrolled: 1-line block ×10, first 2 shown]
	ds_read_u16 v38, v12
	global_load_ushort v39, v[26:27], off offset:1408
	global_load_ushort v40, v[26:27], off offset:1536
	;; [unrolled: 1-line block ×3, first 2 shown]
	s_nop 0
	global_load_ushort v26, v[26:27], off offset:1792
	s_waitcnt lgkmcnt(0)
	;;#ASMSTART
	v_cvt_f32_f16 v27, v38;
	;;#ASMEND
	v_cmp_lt_i32_e64 s[0:1], v21, v20
	s_waitcnt vmcnt(14)
	;;#ASMSTART
	v_cvt_f32_f16 v25, v25;
	;;#ASMEND
	ds_read_u16 v38, v12 offset:2
	s_waitcnt lgkmcnt(0)
	;;#ASMSTART
	v_cvt_f32_f16 v38, v38;
	;;#ASMEND
	s_waitcnt vmcnt(13)
	;;#ASMSTART
	v_cvt_f32_f16 v28, v28;
	;;#ASMEND
	ds_read_u16 v42, v12 offset:4
	v_mul_f32_e32 v28, v38, v28
	v_fmac_f32_e32 v28, v27, v25
	s_waitcnt lgkmcnt(0)
	;;#ASMSTART
	v_cvt_f32_f16 v42, v42;
	;;#ASMEND
	s_waitcnt vmcnt(12)
	;;#ASMSTART
	v_cvt_f32_f16 v29, v29;
	;;#ASMEND
	ds_read_u16 v43, v12 offset:6
	v_fmac_f32_e32 v28, v42, v29
	s_waitcnt lgkmcnt(0)
	;;#ASMSTART
	v_cvt_f32_f16 v43, v43;
	;;#ASMEND
	s_waitcnt vmcnt(11)
	;;#ASMSTART
	v_cvt_f32_f16 v30, v30;
	;;#ASMEND
	ds_read_u16 v44, v12 offset:8
	;; [unrolled: 10-line block ×11, first 2 shown]
	v_fmac_f32_e32 v28, v29, v30
	v_cndmask_b32_e64 v52, v19, v21, s[0:1]
	s_waitcnt lgkmcnt(0)
	;;#ASMSTART
	v_cvt_f32_f16 v31, v31;
	;;#ASMEND
	s_waitcnt vmcnt(1)
	;;#ASMSTART
	v_cvt_f32_f16 v32, v41;
	;;#ASMEND
	v_lshlrev_b32_e32 v52, 2, v52
	v_fmac_f32_e32 v28, v31, v32
	ds_read_u16 v33, v12 offset:28
	s_waitcnt lgkmcnt(0)
	;;#ASMSTART
	v_cvt_f32_f16 v25, v33;
	;;#ASMEND
	s_waitcnt vmcnt(0)
	;;#ASMSTART
	v_cvt_f32_f16 v26, v26;
	;;#ASMEND
	v_cmp_lt_i32_e64 s[0:1], v22, v20
	v_fmac_f32_e32 v28, v25, v26
	ds_bpermute_b32 v25, v52, v28
	v_cndmask_b32_e64 v26, v19, v22, s[0:1]
	v_lshlrev_b32_e32 v26, 2, v26
	v_cmp_lt_i32_e64 s[0:1], v23, v20
	s_waitcnt lgkmcnt(0)
	v_add_f32_e32 v25, v28, v25
	ds_bpermute_b32 v26, v26, v25
	v_cndmask_b32_e64 v27, v19, v23, s[0:1]
	s_waitcnt lgkmcnt(0)
	v_add_f32_e32 v25, v25, v26
	v_lshlrev_b32_e32 v26, 2, v27
	ds_bpermute_b32 v26, v26, v25
	s_and_saveexec_b64 s[46:47], vcc
	s_cbranch_execz .LBB73_12
; %bb.18:                               ;   in Loop: Header=BB73_14 Depth=1
	v_add_u32_e32 v27, v17, v15
	v_cvt_f32_i32_e32 v27, v27
	s_waitcnt lgkmcnt(0)
	v_add_f32_e32 v25, v25, v26
	v_add_u32_e32 v28, v11, v15
	v_cmp_gt_i32_e64 s[0:1], s31, v28
	v_mul_f32_e32 v26, s52, v27
	v_cndmask_b32_e64 v26, 0, v26, s[8:9]
	v_fmac_f32_e32 v26, s41, v25
	v_cndmask_b32_e64 v25, 0, v26, s[0:1]
	ds_write_b32 v16, v25
	v_max_f32_e32 v25, v13, v13
	v_max_f32_e32 v25, v25, v26
	v_cndmask_b32_e64 v13, v13, v25, s[0:1]
	s_branch .LBB73_12
.LBB73_19:
	s_or_b64 exec, exec, s[44:45]
.LBB73_20:
	s_or_b64 exec, exec, s[42:43]
	v_mbcnt_hi_u32_b32 v2, -1, v10
	v_and_b32_e32 v3, 64, v2
	v_add_u32_e32 v3, 64, v3
	v_xor_b32_e32 v4, 32, v2
	v_cmp_lt_i32_e32 vcc, v4, v3
	v_xor_b32_e32 v11, 16, v2
	v_max_f32_e32 v5, v13, v13
	v_cndmask_b32_e32 v4, v2, v4, vcc
	v_lshlrev_b32_e32 v10, 2, v4
	ds_bpermute_b32 v4, v10, v13
	v_cmp_lt_i32_e32 vcc, v11, v3
	v_and_b32_e32 v18, 63, v0
	s_waitcnt lgkmcnt(0)
	v_max_f32_e32 v4, v4, v4
	v_max_f32_e32 v4, v5, v4
	v_cndmask_b32_e32 v5, v2, v11, vcc
	v_lshlrev_b32_e32 v12, 2, v5
	ds_bpermute_b32 v5, v12, v4
	v_xor_b32_e32 v11, 8, v2
	v_cmp_lt_i32_e32 vcc, v11, v3
	s_waitcnt lgkmcnt(0)
	v_max_f32_e32 v5, v5, v5
	v_max_f32_e32 v4, v4, v5
	v_cndmask_b32_e32 v5, v2, v11, vcc
	v_lshlrev_b32_e32 v13, 2, v5
	ds_bpermute_b32 v11, v13, v4
	v_cmp_eq_u32_e32 vcc, 0, v18
	v_lshlrev_b32_e32 v5, 2, v7
	s_and_saveexec_b64 s[0:1], vcc
	s_cbranch_execz .LBB73_22
; %bb.21:
	s_waitcnt lgkmcnt(0)
	v_max_f32_e32 v11, v11, v11
	v_max_f32_e32 v4, v4, v4
	;; [unrolled: 1-line block ×3, first 2 shown]
	ds_write_b32 v5, v4 offset:240
.LBB73_22:
	s_or_b64 exec, exec, s[0:1]
	v_cmp_gt_u32_e64 s[0:1], 2, v18
	v_mov_b32_e32 v4, 0xff7fffff
	s_waitcnt lgkmcnt(0)
	v_lshlrev_b32_e32 v11, 2, v18
	s_barrier
	s_and_saveexec_b64 s[8:9], s[0:1]
	s_cbranch_execz .LBB73_24
; %bb.23:
	ds_read_b32 v4, v11 offset:240
.LBB73_24:
	s_or_b64 exec, exec, s[8:9]
	v_xor_b32_e32 v14, 1, v2
	v_cmp_lt_i32_e64 s[8:9], v14, v3
	v_mov_b32_e32 v16, 0
	s_nop 0
	v_cndmask_b32_e64 v14, v2, v14, s[8:9]
	v_lshlrev_b32_e32 v14, 2, v14
	s_waitcnt lgkmcnt(0)
	ds_bpermute_b32 v15, v14, v4
	v_max_f32_e32 v4, v4, v4
	s_sub_i32 s8, s50, s20
	s_lshl_b32 s8, s8, 3
	s_add_i32 s8, s8, s51
	s_waitcnt lgkmcnt(0)
	v_max_f32_e32 v15, v15, v15
	v_max_f32_e32 v4, v4, v15
	v_lshlrev_b32_e32 v15, 2, v2
	v_and_b32_e32 v15, 0x100, v15
	ds_bpermute_b32 v4, v15, v4
	s_min_i32 s20, s8, s31
	s_sub_i32 s19, s20, s51
	v_cmp_gt_i32_e64 s[8:9], s19, v0
	s_and_saveexec_b64 s[40:41], s[8:9]
	s_cbranch_execz .LBB73_28
; %bb.25:
	v_mov_b32_e32 v16, 0x100
	v_lshl_add_u32 v17, v0, 2, v16
	s_mov_b64 s[42:43], 0
	v_mov_b32_e32 v16, 0
	v_mov_b32_e32 v19, v0
.LBB73_26:                              ; =>This Inner Loop Header: Depth=1
	ds_read_b32 v20, v17
	v_add_u32_e32 v19, 0x80, v19
	v_cmp_le_i32_e64 s[12:13], s19, v19
	s_or_b64 s[42:43], s[12:13], s[42:43]
	s_waitcnt lgkmcnt(0)
	v_sub_f32_e32 v20, v20, v4
	v_mul_f32_e32 v20, 0x3fb8aa3b, v20
	v_exp_f32_e32 v20, v20
	ds_write_b32 v17, v20
	v_add_f32_e32 v16, v16, v20
	v_add_u32_e32 v17, 0x200, v17
	s_andn2_b64 exec, exec, s[42:43]
	s_cbranch_execnz .LBB73_26
; %bb.27:
	s_or_b64 exec, exec, s[42:43]
.LBB73_28:
	s_or_b64 exec, exec, s[40:41]
	ds_bpermute_b32 v10, v10, v16
	s_waitcnt lgkmcnt(0)
	v_add_f32_e32 v10, v16, v10
	ds_bpermute_b32 v12, v12, v10
	s_waitcnt lgkmcnt(0)
	v_add_f32_e32 v10, v10, v12
	ds_bpermute_b32 v12, v13, v10
	v_xor_b32_e32 v13, 4, v2
	v_cmp_lt_i32_e64 s[12:13], v13, v3
	s_waitcnt lgkmcnt(0)
	v_add_f32_e32 v10, v10, v12
	v_cndmask_b32_e64 v13, v2, v13, s[12:13]
	v_lshlrev_b32_e32 v13, 2, v13
	ds_bpermute_b32 v12, v13, v10
	v_xor_b32_e32 v13, 2, v2
	v_cmp_lt_i32_e64 s[12:13], v13, v3
	s_waitcnt lgkmcnt(0)
	v_add_f32_e32 v3, v10, v12
	v_cndmask_b32_e64 v2, v2, v13, s[12:13]
	v_lshlrev_b32_e32 v2, 2, v2
	ds_bpermute_b32 v2, v2, v3
	s_waitcnt lgkmcnt(0)
	v_add_f32_e32 v2, v3, v2
	ds_bpermute_b32 v3, v14, v2
	s_waitcnt lgkmcnt(0)
	v_add_f32_e32 v2, v2, v3
	s_and_saveexec_b64 s[12:13], vcc
	s_cbranch_execz .LBB73_30
; %bb.29:
	ds_write_b32 v5, v2 offset:248
.LBB73_30:
	s_or_b64 exec, exec, s[12:13]
	s_waitcnt lgkmcnt(0)
	s_barrier
	s_and_saveexec_b64 s[12:13], s[0:1]
	s_cbranch_execz .LBB73_32
; %bb.31:
	ds_read_b32 v2, v11 offset:248
.LBB73_32:
	s_or_b64 exec, exec, s[12:13]
	s_waitcnt lgkmcnt(0)
	ds_bpermute_b32 v3, v14, v2
	s_waitcnt lgkmcnt(0)
	v_add_f32_e32 v2, v2, v3
	ds_bpermute_b32 v5, v15, v2
	s_and_saveexec_b64 s[0:1], s[8:9]
	s_cbranch_execz .LBB73_45
; %bb.33:
	s_waitcnt lgkmcnt(0)
	v_add_f32_e32 v2, 0x358637bd, v5
	v_div_scale_f32 v3, s[8:9], v2, v2, 1.0
	v_rcp_f32_e32 v10, v3
	v_div_scale_f32 v11, vcc, 1.0, v2, 1.0
	s_movk_i32 s8, 0x7f
	v_fma_f32 v12, -v3, v10, 1.0
	v_fmac_f32_e32 v10, v12, v10
	v_mul_f32_e32 v12, v11, v10
	v_fma_f32 v13, -v3, v12, v11
	v_fmac_f32_e32 v12, v13, v10
	v_fma_f32 v3, -v3, v12, v11
	v_div_fmas_f32 v3, v3, v10, v12
	v_div_fixup_f32 v2, v3, v2, 1.0
	v_xad_u32 v3, v0, -1, s20
	v_subrev_u32_e32 v10, s51, v3
	v_cmp_lt_u32_e32 vcc, s8, v10
	s_mov_b64 s[12:13], -1
	v_mov_b32_e32 v3, v0
	s_and_saveexec_b64 s[8:9], vcc
	s_cbranch_execz .LBB73_42
; %bb.34:
	v_lshrrev_b32_e32 v10, 7, v10
	v_add_u32_e32 v12, -1, v10
	v_lshrrev_b32_e32 v11, 1, v12
	v_mov_b32_e32 v3, v2
	v_add_u32_e32 v11, 1, v11
	v_cmp_lt_u32_e32 vcc, 13, v12
	v_mov_b32_e32 v14, 0
	s_and_saveexec_b64 s[12:13], vcc
	s_cbranch_execz .LBB73_38
; %bb.35:
	v_mov_b32_e32 v13, 0x100
	v_and_b32_e32 v12, -8, v11
	v_lshl_add_u32 v13, v0, 2, v13
	s_mov_b32 s20, 0
	s_mov_b64 s[40:41], 0
.LBB73_36:                              ; =>This Inner Loop Header: Depth=1
	ds_read2st64_b32 v[14:15], v13 offset1:2
	ds_read2st64_b32 v[16:17], v13 offset0:4 offset1:6
	ds_read2st64_b32 v[20:21], v13 offset0:8 offset1:10
	ds_read2st64_b32 v[22:23], v13 offset0:12 offset1:14
	v_add_u32_e32 v12, -8, v12
	s_waitcnt lgkmcnt(3)
	v_pk_mul_f32 v[14:15], v[2:3], v[14:15]
	s_waitcnt lgkmcnt(2)
	v_pk_mul_f32 v[16:17], v[2:3], v[16:17]
	ds_write2st64_b32 v13, v14, v15 offset1:2
	ds_write2st64_b32 v13, v16, v17 offset0:4 offset1:6
	ds_read2st64_b32 v[16:17], v13 offset0:16 offset1:18
	s_waitcnt lgkmcnt(4)
	v_pk_mul_f32 v[14:15], v[2:3], v[20:21]
	ds_write2st64_b32 v13, v14, v15 offset0:8 offset1:10
	s_waitcnt lgkmcnt(4)
	v_pk_mul_f32 v[14:15], v[2:3], v[22:23]
	ds_write2st64_b32 v13, v14, v15 offset0:12 offset1:14
	ds_read2st64_b32 v[14:15], v13 offset0:20 offset1:22
	s_waitcnt lgkmcnt(3)
	v_pk_mul_f32 v[16:17], v[2:3], v[16:17]
	ds_read2st64_b32 v[20:21], v13 offset0:24 offset1:26
	ds_write2st64_b32 v13, v16, v17 offset0:16 offset1:18
	ds_read2st64_b32 v[16:17], v13 offset0:28 offset1:30
	s_waitcnt lgkmcnt(3)
	v_pk_mul_f32 v[14:15], v[2:3], v[14:15]
	ds_write2st64_b32 v13, v14, v15 offset0:20 offset1:22
	s_waitcnt lgkmcnt(3)
	v_pk_mul_f32 v[14:15], v[2:3], v[20:21]
	ds_write2st64_b32 v13, v14, v15 offset0:24 offset1:26
	s_waitcnt lgkmcnt(2)
	v_pk_mul_f32 v[14:15], v[2:3], v[16:17]
	s_add_i32 s20, s20, 16
	v_cmp_eq_u32_e32 vcc, 0, v12
	ds_write2st64_b32 v13, v14, v15 offset0:28 offset1:30
	v_add_u32_e32 v13, 0x2000, v13
	s_or_b64 s[40:41], vcc, s[40:41]
	v_mov_b32_e32 v14, s20
	s_andn2_b64 exec, exec, s[40:41]
	s_cbranch_execnz .LBB73_36
; %bb.37:
	s_or_b64 exec, exec, s[40:41]
.LBB73_38:
	s_or_b64 exec, exec, s[12:13]
	v_and_b32_e32 v11, 7, v11
	v_cmp_ne_u32_e32 vcc, 0, v11
	s_and_saveexec_b64 s[12:13], vcc
	s_cbranch_execz .LBB73_41
; %bb.39:
	v_lshlrev_b32_e32 v12, 9, v14
	v_lshlrev_b32_e32 v13, 2, v0
	s_movk_i32 s20, 0x100
	v_add3_u32 v12, v12, v13, s20
	s_mov_b64 s[40:41], 0
.LBB73_40:                              ; =>This Inner Loop Header: Depth=1
	ds_read2st64_b32 v[14:15], v12 offset1:2
	v_add_u32_e32 v11, -1, v11
	v_cmp_eq_u32_e32 vcc, 0, v11
	s_or_b64 s[40:41], vcc, s[40:41]
	s_waitcnt lgkmcnt(0)
	v_pk_mul_f32 v[14:15], v[2:3], v[14:15]
	ds_write2st64_b32 v12, v14, v15 offset1:2
	v_add_u32_e32 v12, 0x400, v12
	s_andn2_b64 exec, exec, s[40:41]
	s_cbranch_execnz .LBB73_40
.LBB73_41:
	s_or_b64 exec, exec, s[12:13]
	v_add_u32_e32 v10, 1, v10
	v_and_b32_e32 v11, 0x3fffffe, v10
	v_cmp_ne_u32_e32 vcc, v10, v11
	v_lshl_add_u32 v3, v11, 7, v0
	s_orn2_b64 s[12:13], vcc, exec
.LBB73_42:
	s_or_b64 exec, exec, s[8:9]
	s_and_b64 exec, exec, s[12:13]
	s_cbranch_execz .LBB73_45
; %bb.43:
	v_mov_b32_e32 v10, 0x100
	v_lshl_add_u32 v10, v3, 2, v10
	s_mov_b64 s[8:9], 0
.LBB73_44:                              ; =>This Inner Loop Header: Depth=1
	ds_read_b32 v11, v10
	v_add_u32_e32 v3, 0x80, v3
	v_cmp_le_i32_e32 vcc, s19, v3
	s_or_b64 s[8:9], vcc, s[8:9]
	s_waitcnt lgkmcnt(0)
	v_mul_f32_e32 v11, v2, v11
	ds_write_b32 v10, v11
	v_add_u32_e32 v10, 0x200, v10
	s_andn2_b64 exec, exec, s[8:9]
	s_cbranch_execnz .LBB73_44
.LBB73_45:
	s_or_b64 exec, exec, s[0:1]
	s_mul_i32 s0, s15, s30
	v_cmp_eq_u32_e32 vcc, 0, v0
	s_mul_i32 s8, s0, s5
	s_waitcnt lgkmcnt(0)
	s_barrier
	s_and_saveexec_b64 s[0:1], vcc
	s_cbranch_execz .LBB73_47
; %bb.46:
	s_ashr_i32 s9, s8, 31
	s_lshl_b64 s[12:13], s[8:9], 2
	s_add_u32 s5, s26, s12
	s_mul_i32 s26, s15, s2
	s_addc_u32 s9, s27, s13
	s_ashr_i32 s27, s26, 31
	s_lshl_b64 s[26:27], s[26:27], 2
	s_add_u32 s2, s5, s26
	s_addc_u32 s9, s9, s27
	s_ashr_i32 s5, s4, 31
	s_lshl_b64 s[40:41], s[4:5], 2
	s_add_u32 s42, s2, s40
	s_addc_u32 s43, s9, s41
	s_add_u32 s2, s24, s12
	s_addc_u32 s5, s25, s13
	;; [unrolled: 2-line block ×3, first 2 shown]
	s_add_u32 s12, s2, s40
	v_mov_b32_e32 v2, 0
	s_addc_u32 s13, s5, s41
	global_store_dword v2, v4, s[42:43]
	global_store_dword v2, v5, s[12:13]
.LBB73_47:
	s_or_b64 exec, exec, s[0:1]
	v_mov_b32_e32 v20, 0
	v_mov_b32_e32 v19, 0
	s_and_saveexec_b64 s[12:13], s[6:7]
	s_cbranch_execz .LBB73_59
; %bb.48:
	s_ashr_i32 s19, s18, 31
	s_sub_i32 s5, s16, s21
	s_lshl_b64 s[0:1], s[18:19], 1
	s_add_u32 s6, s38, s0
	s_addc_u32 s7, s39, s1
	s_abs_i32 s22, s22
	v_cvt_f32_u32_e32 v5, s22
	v_or_b32_e32 v3, 64, v18
	s_movk_i32 s0, 0x78
	v_cmp_gt_u32_e32 vcc, s0, v3
	v_lshlrev_b32_e32 v4, 3, v3
	v_rcp_iflag_f32_e32 v3, v5
	s_sub_i32 s0, 0, s22
	s_add_i32 s24, s3, -1
	v_lshlrev_b32_e32 v2, 3, v18
	v_mul_f32_e32 v3, 0x4f7ffffe, v3
	v_cvt_u32_f32_e32 v3, v3
	v_mov_b32_e32 v11, 0
	s_mov_b32 s9, s17
	s_mov_b32 s25, s31
	v_mul_lo_u32 v5, s0, v3
	s_lshl_b64 s[0:1], s[36:37], 2
	v_mul_hi_u32 v5, v3, v5
	s_add_u32 s0, s34, s0
	v_add_u32_e32 v21, v3, v5
	s_addc_u32 s1, s35, s1
	v_mov_b32_e32 v3, 0x100
	s_mov_b32 s26, s31
	s_mov_b32 s27, s31
	;; [unrolled: 1-line block ×6, first 2 shown]
	v_lshl_add_u64 v[12:13], v[8:9], 2, s[0:1]
	v_lshl_add_u32 v7, v7, 5, v3
	s_mov_b64 s[16:17], 0
	v_lshlrev_b32_e32 v10, 1, v2
	s_mov_b32 s34, 0x5040100
	v_lshlrev_b32_e32 v14, 1, v4
	v_mov_b32_e32 v19, v11
	v_mov_b32_e32 v20, v11
	s_branch .LBB73_52
.LBB73_49:                              ;   in Loop: Header=BB73_52 Depth=1
	s_or_b64 exec, exec, s[20:21]
	s_waitcnt vmcnt(0)
	;;#ASMSTART
	v_pk_mul_f16 v2, v26, v2;

	;;#ASMEND
	;;#ASMSTART
	v_pk_mul_f16 v3, v25, v3;

	;;#ASMEND
	;; [unrolled: 4-line block ×4, first 2 shown]
	s_nop 0
	;;#ASMSTART
	v_pk_add_f16 v2, v2, v3;

	;;#ASMEND
	s_nop 0
	;;#ASMSTART
	v_pk_add_f16 v2, v2, v4;

	;;#ASMEND
	s_nop 0
	;;#ASMSTART
	v_pk_add_f16 v2, v2, v5;

	;;#ASMEND
	s_nop 0
	v_lshrrev_b32_e32 v3, 16, v2
	v_and_b32_e32 v2, 0xffff, v2
	;;#ASMSTART
	v_cvt_f32_f16 v2, v2;
	;;#ASMEND
	;;#ASMSTART
	v_cvt_f32_f16 v3, v3;
	;;#ASMEND
	s_nop 0
	v_add_f32_e32 v2, v2, v3
	v_add_f32_e32 v19, v19, v2
.LBB73_50:                              ;   in Loop: Header=BB73_52 Depth=1
	s_or_b64 exec, exec, s[2:3]
	v_add_f32_e32 v2, v9, v22
	v_add_f32_e32 v20, v20, v2
.LBB73_51:                              ;   in Loop: Header=BB73_52 Depth=1
	s_or_b64 exec, exec, s[18:19]
	v_add_u32_e32 v8, 2, v8
	v_cmp_le_i32_e64 s[0:1], s50, v8
	v_lshl_add_u64 v[12:13], v[12:13], 0, 8
	v_add_u32_e32 v1, 16, v1
	s_or_b64 s[16:17], s[0:1], s[16:17]
	v_add_u32_e32 v7, 64, v7
	s_andn2_b64 exec, exec, s[16:17]
	s_cbranch_execz .LBB73_58
.LBB73_52:                              ; =>This Inner Loop Header: Depth=1
	v_sub_u32_e32 v3, 0, v1
	v_max_i32_e32 v3, v1, v3
	v_mul_hi_u32 v4, v3, s48
	v_mul_lo_u32 v5, v4, s33
	v_sub_u32_e32 v3, v3, v5
	v_add_u32_e32 v5, 1, v4
	v_cmp_le_u32_e64 s[0:1], s33, v3
	v_ashrrev_i32_e32 v2, 31, v1
	v_xor_b32_e32 v2, s23, v2
	v_cndmask_b32_e64 v4, v4, v5, s[0:1]
	v_subrev_u32_e32 v5, s33, v3
	v_cndmask_b32_e64 v3, v3, v5, s[0:1]
	v_add_u32_e32 v5, 1, v4
	v_cmp_le_u32_e64 s[0:1], s33, v3
	s_nop 1
	v_cndmask_b32_e64 v3, v4, v5, s[0:1]
	v_xor_b32_e32 v3, v3, v2
	v_sub_u32_e32 v2, v3, v2
	v_add_u32_e32 v3, s49, v2
	v_sub_u32_e32 v5, 0, v3
	v_ashrrev_i32_e32 v4, 31, v3
	v_max_i32_e32 v3, v3, v5
	v_mul_hi_u32 v5, v3, v21
	v_mul_lo_u32 v5, v5, s22
	v_sub_u32_e32 v3, v3, v5
	v_subrev_u32_e32 v5, s22, v3
	v_cmp_le_u32_e64 s[0:1], s22, v3
	v_cmp_lt_i32_e64 s[2:3], s5, v2
	s_nop 0
	v_cndmask_b32_e64 v3, v3, v5, s[0:1]
	v_subrev_u32_e32 v5, s22, v3
	v_cmp_le_u32_e64 s[0:1], s22, v3
	s_nop 1
	v_cndmask_b32_e64 v3, v3, v5, s[0:1]
	v_xor_b32_e32 v3, v3, v4
	v_sub_u32_e32 v3, v3, v4
	v_cmp_eq_u32_e64 s[0:1], 0, v3
	s_or_b64 s[0:1], s[0:1], s[2:3]
	s_and_saveexec_b64 s[18:19], s[0:1]
	s_cbranch_execz .LBB73_51
; %bb.53:                               ;   in Loop: Header=BB73_52 Depth=1
	global_load_dword v16, v[12:13], off
	ds_read2_b64 v[2:5], v7 offset1:1
	ds_read2_b64 v[26:29], v7 offset0:2 offset1:3
	s_waitcnt lgkmcnt(1)
	;;#ASMSTART
	v_cvt_f16_f32 v9, v2;

	;;#ASMEND
	;;#ASMSTART
	v_cvt_f16_f32 v15, v3;

	;;#ASMEND
	;;#ASMSTART
	v_cvt_f16_f32 v22, v4;

	;;#ASMEND
	;;#ASMSTART
	v_cvt_f16_f32 v23, v5;

	;;#ASMEND
	s_waitcnt lgkmcnt(0)
	;;#ASMSTART
	v_cvt_f16_f32 v24, v26;

	;;#ASMEND
	;;#ASMSTART
	v_cvt_f16_f32 v27, v27;

	;;#ASMEND
	;; [unrolled: 4-line block ×4, first 2 shown]
	s_waitcnt vmcnt(0)
	v_mad_i64_i32 v[2:3], s[0:1], v16, s9, 0
	v_lshl_add_u64 v[16:17], v[2:3], 1, s[6:7]
	v_lshl_add_u64 v[2:3], v[16:17], 0, v[10:11]
	global_load_dwordx4 v[2:5], v[2:3], off
	v_cmp_eq_u32_e64 s[0:1], s24, v8
	s_and_saveexec_b64 s[20:21], s[0:1]
	s_cbranch_execz .LBB73_55
; %bb.54:                               ;   in Loop: Header=BB73_52 Depth=1
	v_or_b32_e32 v33, 7, v1
	v_or_b32_e32 v34, 6, v1
	s_waitcnt vmcnt(0)
	v_lshrrev_b32_e32 v35, 16, v5
	v_cmp_gt_i32_e64 s[2:3], s40, v33
	v_or_b32_e32 v31, 5, v1
	v_or_b32_e32 v32, 4, v1
	v_cndmask_b32_e64 v33, 0, v35, s[2:3]
	v_cmp_gt_i32_e64 s[2:3], s39, v34
	v_or_b32_e32 v26, 3, v1
	v_or_b32_e32 v30, 2, v1
	v_cndmask_b32_e64 v5, 0, v5, s[2:3]
	v_perm_b32 v5, v33, v5, s34
	v_lshrrev_b32_e32 v33, 16, v4
	v_cmp_gt_i32_e64 s[2:3], s38, v31
	v_add_u32_e32 v25, 1, v1
	s_nop 0
	v_cndmask_b32_e64 v31, 0, v33, s[2:3]
	v_cmp_gt_i32_e64 s[2:3], s30, v32
	s_nop 1
	v_cndmask_b32_e64 v4, 0, v4, s[2:3]
	v_perm_b32 v4, v31, v4, s34
	v_lshrrev_b32_e32 v31, 16, v3
	v_cmp_gt_i32_e64 s[2:3], s27, v26
	s_nop 1
	v_cndmask_b32_e64 v26, 0, v31, s[2:3]
	v_cmp_gt_i32_e64 s[2:3], s26, v30
	s_nop 1
	v_cndmask_b32_e64 v3, 0, v3, s[2:3]
	v_perm_b32 v3, v26, v3, s34
	v_lshrrev_b32_e32 v26, 16, v2
	v_cmp_gt_i32_e64 s[2:3], s25, v25
	s_nop 1
	v_cndmask_b32_e64 v25, 0, v26, s[2:3]
	v_cmp_gt_i32_e64 s[2:3], s31, v1
	s_nop 1
	v_cndmask_b32_e64 v2, 0, v2, s[2:3]
	v_perm_b32 v2, v25, v2, s34
.LBB73_55:                              ;   in Loop: Header=BB73_52 Depth=1
	s_or_b64 exec, exec, s[20:21]
	v_and_b32_e32 v9, 0xffff, v9
	v_lshl_or_b32 v26, v15, 16, v9
	v_and_b32_e32 v9, 0xffff, v22
	v_lshl_or_b32 v25, v23, 16, v9
	;; [unrolled: 2-line block ×3, first 2 shown]
	v_and_b32_e32 v9, 0xffff, v28
	s_waitcnt vmcnt(0)
	;;#ASMSTART
	v_pk_mul_f16 v2, v26, v2;

	;;#ASMEND
	v_lshl_or_b32 v23, v29, 16, v9
	;;#ASMSTART
	v_pk_mul_f16 v3, v25, v3;

	;;#ASMEND
	;;#ASMSTART
	v_pk_mul_f16 v4, v24, v4;

	;;#ASMEND
	;; [unrolled: 4-line block ×3, first 2 shown]
	s_nop 0
	;;#ASMSTART
	v_pk_add_f16 v2, v2, v3;

	;;#ASMEND
	s_nop 0
	;;#ASMSTART
	v_pk_add_f16 v2, v2, v4;

	;;#ASMEND
	;; [unrolled: 5-line block ×3, first 2 shown]
	s_nop 0
	v_lshrrev_b32_e32 v3, 16, v2
	v_and_b32_e32 v2, 0xffff, v2
	;;#ASMSTART
	v_cvt_f32_f16 v9, v2;
	;;#ASMEND
	;;#ASMSTART
	v_cvt_f32_f16 v22, v3;
	;;#ASMEND
	s_and_saveexec_b64 s[2:3], vcc
	s_cbranch_execz .LBB73_50
; %bb.56:                               ;   in Loop: Header=BB73_52 Depth=1
	v_mov_b32_e32 v15, v11
	v_lshl_add_u64 v[2:3], v[16:17], 0, v[14:15]
	global_load_dwordx4 v[2:5], v[2:3], off
	s_and_saveexec_b64 s[20:21], s[0:1]
	s_cbranch_execz .LBB73_49
; %bb.57:                               ;   in Loop: Header=BB73_52 Depth=1
	v_or_b32_e32 v29, 7, v1
	v_or_b32_e32 v30, 6, v1
	s_waitcnt vmcnt(0)
	v_lshrrev_b32_e32 v31, 16, v5
	v_cmp_gt_i32_e64 s[0:1], s40, v29
	v_or_b32_e32 v27, 5, v1
	v_or_b32_e32 v28, 4, v1
	v_cndmask_b32_e64 v29, 0, v31, s[0:1]
	v_cmp_gt_i32_e64 s[0:1], s39, v30
	v_or_b32_e32 v16, 3, v1
	v_or_b32_e32 v17, 2, v1
	v_cndmask_b32_e64 v5, 0, v5, s[0:1]
	v_perm_b32 v5, v29, v5, s34
	v_lshrrev_b32_e32 v29, 16, v4
	v_cmp_gt_i32_e64 s[0:1], s38, v27
	v_add_u32_e32 v15, 1, v1
	s_nop 0
	v_cndmask_b32_e64 v27, 0, v29, s[0:1]
	v_cmp_gt_i32_e64 s[0:1], s30, v28
	s_nop 1
	v_cndmask_b32_e64 v4, 0, v4, s[0:1]
	v_perm_b32 v4, v27, v4, s34
	v_lshrrev_b32_e32 v27, 16, v3
	v_cmp_gt_i32_e64 s[0:1], s27, v16
	s_nop 1
	v_cndmask_b32_e64 v16, 0, v27, s[0:1]
	v_cmp_gt_i32_e64 s[0:1], s26, v17
	s_nop 1
	v_cndmask_b32_e64 v3, 0, v3, s[0:1]
	v_perm_b32 v3, v16, v3, s34
	v_lshrrev_b32_e32 v16, 16, v2
	v_cmp_gt_i32_e64 s[0:1], s25, v15
	s_nop 1
	v_cndmask_b32_e64 v15, 0, v16, s[0:1]
	v_cmp_gt_i32_e64 s[0:1], s31, v1
	s_nop 1
	v_cndmask_b32_e64 v2, 0, v2, s[0:1]
	v_perm_b32 v2, v15, v2, s34
	s_branch .LBB73_49
.LBB73_58:
	s_or_b64 exec, exec, s[16:17]
.LBB73_59:
	s_or_b64 exec, exec, s[12:13]
	v_and_b32_e32 v1, 0x3c0, v0
	v_cmp_eq_u32_e32 vcc, 64, v1
	s_barrier
	s_and_saveexec_b64 s[0:1], vcc
	s_cbranch_execz .LBB73_62
; %bb.60:
	v_mov_b32_e32 v1, 0x100
	v_lshl_add_u32 v2, v18, 2, v1
	ds_write_b32 v2, v20
	s_and_b64 exec, exec, s[10:11]
	s_cbranch_execz .LBB73_62
; %bb.61:
	v_lshl_add_u32 v1, v0, 2, v1
	ds_write_b32 v1, v19
.LBB73_62:
	s_or_b64 exec, exec, s[0:1]
	v_cmp_gt_u32_e32 vcc, 64, v0
	v_or_b32_e32 v1, 64, v0
	s_waitcnt lgkmcnt(0)
	s_barrier
	s_and_saveexec_b64 s[2:3], vcc
	s_cbranch_execz .LBB73_66
; %bb.63:
	v_mov_b32_e32 v2, 0x100
	v_lshl_add_u32 v2, v0, 2, v2
	ds_read_b32 v0, v2
	s_movk_i32 s0, 0x78
	v_cmp_gt_u32_e64 s[0:1], s0, v1
	s_and_saveexec_b64 s[6:7], s[0:1]
	s_cbranch_execz .LBB73_65
; %bb.64:
	ds_read_b32 v2, v2 offset:256
	s_waitcnt lgkmcnt(0)
	v_add_f32_e32 v19, v19, v2
.LBB73_65:
	s_or_b64 exec, exec, s[6:7]
	s_waitcnt lgkmcnt(0)
	v_add_f32_e32 v20, v20, v0
.LBB73_66:
	s_or_b64 exec, exec, s[2:3]
	s_barrier
	s_and_saveexec_b64 s[0:1], vcc
	s_cbranch_execz .LBB73_69
; %bb.67:
	s_mul_i32 s0, s8, 0x78
	s_ashr_i32 s1, s0, 31
	s_lshl_b64 s[0:1], s[0:1], 1
	s_add_u32 s3, s28, s0
	s_mul_i32 s0, s15, s14
	s_addc_u32 s5, s29, s1
	s_ashr_i32 s1, s0, 31
	s_lshl_b64 s[0:1], s[0:1], 1
	s_add_u32 s3, s3, s0
	s_mul_i32 s0, s4, 0x78
	s_addc_u32 s5, s5, s1
	s_ashr_i32 s1, s0, 31
	s_lshl_b64 s[0:1], s[0:1], 1
	s_movk_i32 s2, 0x78
	s_add_u32 s0, s3, s0
	s_addc_u32 s1, s5, s1
	v_cmp_gt_u32_e32 vcc, s2, v1
	;;#ASMSTART
	v_cvt_f16_f32 v0, v20;

	;;#ASMEND
	global_store_short v6, v0, s[0:1]
	s_and_b64 exec, exec, vcc
	s_cbranch_execz .LBB73_69
; %bb.68:
	v_mov_b32_e32 v7, 0
	v_lshl_add_u64 v[0:1], s[0:1], 0, v[6:7]
	;;#ASMSTART
	v_cvt_f16_f32 v2, v19;

	;;#ASMEND
	global_store_short v[0:1], v2, off offset:128
.LBB73_69:
	s_endpgm
	.section	.rodata,"a",@progbits
	.p2align	6, 0x0
	.amdhsa_kernel _ZN4vllm25paged_attention_v2_kernelIttLi120ELi8ELi128ELNS_18Fp8KVCacheDataTypeE0ELb1ELi512EEEvPfS2_PT_PKS3_PKT0_S9_ifPKiSB_iPKfiiiSD_SD_iiiii
		.amdhsa_group_segment_fixed_size 256
		.amdhsa_private_segment_fixed_size 0
		.amdhsa_kernarg_size 400
		.amdhsa_user_sgpr_count 2
		.amdhsa_user_sgpr_dispatch_ptr 0
		.amdhsa_user_sgpr_queue_ptr 0
		.amdhsa_user_sgpr_kernarg_segment_ptr 1
		.amdhsa_user_sgpr_dispatch_id 0
		.amdhsa_user_sgpr_kernarg_preload_length 0
		.amdhsa_user_sgpr_kernarg_preload_offset 0
		.amdhsa_user_sgpr_private_segment_size 0
		.amdhsa_uses_dynamic_stack 0
		.amdhsa_enable_private_segment 0
		.amdhsa_system_sgpr_workgroup_id_x 1
		.amdhsa_system_sgpr_workgroup_id_y 1
		.amdhsa_system_sgpr_workgroup_id_z 1
		.amdhsa_system_sgpr_workgroup_info 0
		.amdhsa_system_vgpr_workitem_id 0
		.amdhsa_next_free_vgpr 53
		.amdhsa_next_free_sgpr 54
		.amdhsa_accum_offset 56
		.amdhsa_reserve_vcc 1
		.amdhsa_float_round_mode_32 0
		.amdhsa_float_round_mode_16_64 0
		.amdhsa_float_denorm_mode_32 3
		.amdhsa_float_denorm_mode_16_64 3
		.amdhsa_dx10_clamp 1
		.amdhsa_ieee_mode 1
		.amdhsa_fp16_overflow 0
		.amdhsa_tg_split 0
		.amdhsa_exception_fp_ieee_invalid_op 0
		.amdhsa_exception_fp_denorm_src 0
		.amdhsa_exception_fp_ieee_div_zero 0
		.amdhsa_exception_fp_ieee_overflow 0
		.amdhsa_exception_fp_ieee_underflow 0
		.amdhsa_exception_fp_ieee_inexact 0
		.amdhsa_exception_int_div_zero 0
	.end_amdhsa_kernel
	.section	.text._ZN4vllm25paged_attention_v2_kernelIttLi120ELi8ELi128ELNS_18Fp8KVCacheDataTypeE0ELb1ELi512EEEvPfS2_PT_PKS3_PKT0_S9_ifPKiSB_iPKfiiiSD_SD_iiiii,"axG",@progbits,_ZN4vllm25paged_attention_v2_kernelIttLi120ELi8ELi128ELNS_18Fp8KVCacheDataTypeE0ELb1ELi512EEEvPfS2_PT_PKS3_PKT0_S9_ifPKiSB_iPKfiiiSD_SD_iiiii,comdat
.Lfunc_end73:
	.size	_ZN4vllm25paged_attention_v2_kernelIttLi120ELi8ELi128ELNS_18Fp8KVCacheDataTypeE0ELb1ELi512EEEvPfS2_PT_PKS3_PKT0_S9_ifPKiSB_iPKfiiiSD_SD_iiiii, .Lfunc_end73-_ZN4vllm25paged_attention_v2_kernelIttLi120ELi8ELi128ELNS_18Fp8KVCacheDataTypeE0ELb1ELi512EEEvPfS2_PT_PKS3_PKT0_S9_ifPKiSB_iPKfiiiSD_SD_iiiii
                                        ; -- End function
	.section	.AMDGPU.csdata,"",@progbits
; Kernel info:
; codeLenInByte = 5508
; NumSgprs: 60
; NumVgprs: 53
; NumAgprs: 0
; TotalNumVgprs: 53
; ScratchSize: 0
; MemoryBound: 0
; FloatMode: 240
; IeeeMode: 1
; LDSByteSize: 256 bytes/workgroup (compile time only)
; SGPRBlocks: 7
; VGPRBlocks: 6
; NumSGPRsForWavesPerEU: 60
; NumVGPRsForWavesPerEU: 53
; AccumOffset: 56
; Occupancy: 8
; WaveLimiterHint : 1
; COMPUTE_PGM_RSRC2:SCRATCH_EN: 0
; COMPUTE_PGM_RSRC2:USER_SGPR: 2
; COMPUTE_PGM_RSRC2:TRAP_HANDLER: 0
; COMPUTE_PGM_RSRC2:TGID_X_EN: 1
; COMPUTE_PGM_RSRC2:TGID_Y_EN: 1
; COMPUTE_PGM_RSRC2:TGID_Z_EN: 1
; COMPUTE_PGM_RSRC2:TIDIG_COMP_CNT: 0
; COMPUTE_PGM_RSRC3_GFX90A:ACCUM_OFFSET: 13
; COMPUTE_PGM_RSRC3_GFX90A:TG_SPLIT: 0
	.section	.text._ZN4vllm32paged_attention_v2_reduce_kernelItLi120ELi128ELi512EEEvPT_PKfS4_PKS1_PKii,"axG",@progbits,_ZN4vllm32paged_attention_v2_reduce_kernelItLi120ELi128ELi512EEEvPT_PKfS4_PKS1_PKii,comdat
	.protected	_ZN4vllm32paged_attention_v2_reduce_kernelItLi120ELi128ELi512EEEvPT_PKfS4_PKS1_PKii ; -- Begin function _ZN4vllm32paged_attention_v2_reduce_kernelItLi120ELi128ELi512EEEvPT_PKfS4_PKS1_PKii
	.globl	_ZN4vllm32paged_attention_v2_reduce_kernelItLi120ELi128ELi512EEEvPT_PKfS4_PKS1_PKii
	.p2align	8
	.type	_ZN4vllm32paged_attention_v2_reduce_kernelItLi120ELi128ELi512EEEvPT_PKfS4_PKS1_PKii,@function
_ZN4vllm32paged_attention_v2_reduce_kernelItLi120ELi128ELi512EEEvPT_PKfS4_PKS1_PKii: ; @_ZN4vllm32paged_attention_v2_reduce_kernelItLi120ELi128ELi512EEEvPT_PKfS4_PKS1_PKii
; %bb.0:
	s_load_dwordx4 s[8:11], s[0:1], 0x18
	s_add_u32 s6, s0, 48
	s_mov_b32 s12, s3
	s_addc_u32 s7, s1, 0
	s_ashr_i32 s13, s3, 31
	s_lshl_b64 s[4:5], s[12:13], 2
	s_waitcnt lgkmcnt(0)
	s_add_u32 s4, s10, s4
	s_addc_u32 s5, s11, s5
	s_load_dword s26, s[4:5], 0x0
	s_load_dwordx2 s[10:11], s[0:1], 0x0
	s_load_dword s13, s[0:1], 0x28
	s_load_dword s3, s[0:1], 0x30
	s_waitcnt lgkmcnt(0)
	s_add_i32 s4, s26, -1
	s_cmpk_gt_u32 s4, 0x1ff
	s_mov_b64 s[4:5], -1
	s_cbranch_scc0 .LBB74_25
; %bb.1:
	s_add_i32 s4, s26, 0x1ff
	s_load_dwordx2 s[18:19], s[0:1], 0x8
	s_ashr_i32 s5, s4, 31
	s_lshr_b32 s5, s5, 23
	s_add_i32 s4, s4, s5
	s_mul_i32 s24, s3, s12
	s_ashr_i32 s25, s4, 9
	s_mul_i32 s14, s24, s13
	s_mul_i32 s16, s2, s13
	s_ashr_i32 s15, s14, 31
	s_ashr_i32 s17, s16, 31
	v_cmp_gt_i32_e32 vcc, s25, v0
	v_mov_b32_e32 v6, 0xff7fffff
	v_lshlrev_b32_e32 v2, 2, v0
	s_and_saveexec_b64 s[4:5], vcc
	s_cbranch_execz .LBB74_5
; %bb.2:
	s_load_dword s20, s[6:7], 0xc
	s_load_dwordx2 s[22:23], s[0:1], 0x10
	s_lshl_b64 s[0:1], s[14:15], 2
	s_lshl_b64 s[28:29], s[16:17], 2
	v_mov_b32_e32 v3, 0
	s_waitcnt lgkmcnt(0)
	s_and_b32 s27, s20, 0xffff
	s_add_u32 s0, s0, s28
	s_addc_u32 s1, s1, s29
	s_add_u32 s0, s22, s0
	s_addc_u32 s1, s23, s1
	s_mov_b32 s21, 0
	v_lshl_add_u64 v[4:5], s[0:1], 0, v[2:3]
	s_lshl_b32 s20, s27, 2
	v_add_u32_e32 v1, 16, v2
	s_mov_b64 s[22:23], 0
	v_mov_b32_e32 v6, 0xff7fffff
	v_mov_b32_e32 v3, v0
.LBB74_3:                               ; =>This Inner Loop Header: Depth=1
	global_load_dword v7, v[4:5], off
	v_add_u32_e32 v3, s27, v3
	v_max_f32_e32 v6, v6, v6
	v_cmp_le_i32_e64 s[0:1], s25, v3
	v_lshl_add_u64 v[4:5], v[4:5], 0, s[20:21]
	s_or_b64 s[22:23], s[0:1], s[22:23]
	s_waitcnt vmcnt(0)
	ds_write_b32 v1, v7
	v_max_f32_e32 v7, v7, v7
	v_add_u32_e32 v1, s20, v1
	v_max_f32_e32 v6, v6, v7
	s_andn2_b64 exec, exec, s[22:23]
	s_cbranch_execnz .LBB74_3
; %bb.4:
	s_or_b64 exec, exec, s[22:23]
.LBB74_5:
	s_or_b64 exec, exec, s[4:5]
	v_mbcnt_lo_u32_b32 v1, -1, 0
	v_mbcnt_hi_u32_b32 v3, -1, v1
	v_and_b32_e32 v1, 64, v3
	v_add_u32_e32 v7, 64, v1
	v_xor_b32_e32 v1, 32, v3
	v_cmp_lt_i32_e64 s[0:1], v1, v7
	v_max_f32_e32 v5, v6, v6
	v_xor_b32_e32 v8, 8, v3
	v_cndmask_b32_e64 v1, v3, v1, s[0:1]
	v_lshlrev_b32_e32 v1, 2, v1
	ds_bpermute_b32 v4, v1, v6
	v_xor_b32_e32 v6, 16, v3
	v_cmp_lt_i32_e64 s[0:1], v6, v7
	v_xor_b32_e32 v9, 4, v3
	v_xor_b32_e32 v10, 2, v3
	s_waitcnt lgkmcnt(0)
	v_max_f32_e32 v4, v4, v4
	v_max_f32_e32 v4, v5, v4
	v_cndmask_b32_e64 v5, v3, v6, s[0:1]
	v_lshlrev_b32_e32 v6, 2, v5
	ds_bpermute_b32 v5, v6, v4
	v_cmp_lt_i32_e64 s[0:1], v8, v7
	v_lshrrev_b32_e32 v13, 6, v0
	s_waitcnt lgkmcnt(0)
	s_barrier
	v_max_f32_e32 v5, v5, v5
	v_max_f32_e32 v4, v4, v5
	v_cndmask_b32_e64 v5, v3, v8, s[0:1]
	v_lshlrev_b32_e32 v8, 2, v5
	ds_bpermute_b32 v5, v8, v4
	v_cmp_lt_i32_e64 s[0:1], v9, v7
	s_waitcnt lgkmcnt(0)
	v_max_f32_e32 v5, v5, v5
	v_max_f32_e32 v4, v4, v5
	v_cndmask_b32_e64 v5, v3, v9, s[0:1]
	v_lshlrev_b32_e32 v9, 2, v5
	ds_bpermute_b32 v5, v9, v4
	v_cmp_lt_i32_e64 s[0:1], v10, v7
	s_waitcnt lgkmcnt(0)
	v_max_f32_e32 v5, v5, v5
	v_max_f32_e32 v5, v4, v5
	v_cndmask_b32_e64 v4, v3, v10, s[0:1]
	v_lshlrev_b32_e32 v10, 2, v4
	ds_bpermute_b32 v11, v10, v5
	v_and_b32_e32 v4, 63, v0
	s_waitcnt lgkmcnt(0)
	v_max_f32_e32 v11, v11, v11
	v_max_f32_e32 v5, v5, v11
	v_xor_b32_e32 v11, 1, v3
	v_cmp_lt_i32_e64 s[0:1], v11, v7
	s_nop 1
	v_cndmask_b32_e64 v7, v3, v11, s[0:1]
	v_lshlrev_b32_e32 v7, 2, v7
	ds_bpermute_b32 v12, v7, v5
	v_cmp_eq_u32_e64 s[0:1], 0, v4
	v_lshlrev_b32_e32 v11, 2, v13
	s_and_saveexec_b64 s[4:5], s[0:1]
	s_cbranch_execz .LBB74_7
; %bb.6:
	s_waitcnt lgkmcnt(0)
	v_max_f32_e32 v12, v12, v12
	v_max_f32_e32 v5, v5, v5
	;; [unrolled: 1-line block ×3, first 2 shown]
	ds_write_b32 v11, v5
.LBB74_7:
	s_or_b64 exec, exec, s[4:5]
	v_cmp_gt_u32_e64 s[4:5], 2, v4
	v_mov_b32_e32 v5, 0xff7fffff
	s_waitcnt lgkmcnt(0)
	v_lshlrev_b32_e32 v12, 2, v4
	s_barrier
	s_and_saveexec_b64 s[20:21], s[4:5]
	s_cbranch_execz .LBB74_9
; %bb.8:
	ds_read_b32 v5, v12
.LBB74_9:
	s_or_b64 exec, exec, s[20:21]
	s_waitcnt lgkmcnt(0)
	ds_bpermute_b32 v4, v7, v5
	v_max_f32_e32 v5, v5, v5
	v_lshlrev_b32_e32 v3, 2, v3
	v_and_b32_e32 v13, 0x100, v3
	s_lshl_b32 s27, s25, 2
	s_waitcnt lgkmcnt(0)
	v_max_f32_e32 v4, v4, v4
	v_max_f32_e32 v4, v5, v4
	ds_bpermute_b32 v14, v13, v4
	v_mov_b32_e32 v3, 0
	s_and_saveexec_b64 s[20:21], vcc
	s_cbranch_execz .LBB74_13
; %bb.10:
	s_load_dword s22, s[6:7], 0xc
	s_lshl_b64 s[28:29], s[14:15], 2
	s_lshl_b64 s[30:31], s[16:17], 2
	v_mov_b32_e32 v3, 0
	s_mov_b32 s23, 0
	s_waitcnt lgkmcnt(0)
	s_and_b32 s15, s22, 0xffff
	s_add_u32 s17, s28, s30
	s_addc_u32 s22, s29, s31
	s_add_u32 s18, s18, s17
	s_addc_u32 s19, s19, s22
	v_lshl_add_u64 v[4:5], s[18:19], 0, v[2:3]
	s_lshl_b32 s22, s15, 2
	v_add_u32_e32 v2, 16, v2
	s_mov_b64 s[18:19], 0
	s_mov_b32 s17, 0x3fb8aa3b
	s_mov_b32 s28, 0xc2ce8ed0
	;; [unrolled: 1-line block ×3, first 2 shown]
	v_mov_b32_e32 v15, 0x7f800000
	v_mov_b32_e32 v16, v0
.LBB74_11:                              ; =>This Inner Loop Header: Depth=1
	global_load_dword v17, v[4:5], off
	ds_read_b32 v18, v2
	v_add_u32_e32 v16, s15, v16
	v_cmp_le_i32_e32 vcc, s25, v16
	s_or_b64 s[18:19], vcc, s[18:19]
	v_add_u32_e32 v19, s27, v2
	s_waitcnt lgkmcnt(0)
	v_sub_f32_e32 v18, v18, v14
	v_mul_f32_e32 v20, 0x3fb8aa3b, v18
	v_fma_f32 v21, v18, s17, -v20
	v_rndne_f32_e32 v22, v20
	v_fmac_f32_e32 v21, 0x32a5705f, v18
	v_sub_f32_e32 v20, v20, v22
	v_add_f32_e32 v20, v20, v21
	v_cvt_i32_f32_e32 v22, v22
	v_exp_f32_e32 v20, v20
	v_cmp_ngt_f32_e32 vcc, s28, v18
	v_lshl_add_u64 v[4:5], v[4:5], 0, s[22:23]
	v_add_u32_e32 v2, s22, v2
	v_ldexp_f32 v20, v20, v22
	v_cndmask_b32_e32 v20, 0, v20, vcc
	v_cmp_nlt_f32_e32 vcc, s29, v18
	s_nop 1
	v_cndmask_b32_e32 v18, v15, v20, vcc
	s_waitcnt vmcnt(0)
	v_mul_f32_e32 v20, v17, v18
	v_fmac_f32_e32 v3, v17, v18
	ds_write_b32 v19, v20
	s_andn2_b64 exec, exec, s[18:19]
	s_cbranch_execnz .LBB74_11
; %bb.12:
	s_or_b64 exec, exec, s[18:19]
.LBB74_13:
	s_or_b64 exec, exec, s[20:21]
	ds_bpermute_b32 v1, v1, v3
	s_waitcnt lgkmcnt(0)
	s_barrier
	v_add_f32_e32 v1, v3, v1
	ds_bpermute_b32 v2, v6, v1
	s_waitcnt lgkmcnt(0)
	v_add_f32_e32 v1, v1, v2
	ds_bpermute_b32 v2, v8, v1
	s_waitcnt lgkmcnt(0)
	;; [unrolled: 3-line block ×5, first 2 shown]
	v_add_f32_e32 v1, v1, v2
	s_and_saveexec_b64 s[18:19], s[0:1]
	s_cbranch_execz .LBB74_15
; %bb.14:
	ds_write_b32 v11, v1 offset:8
.LBB74_15:
	s_or_b64 exec, exec, s[18:19]
	s_waitcnt lgkmcnt(0)
	s_barrier
	s_and_saveexec_b64 s[0:1], s[4:5]
	s_cbranch_execz .LBB74_17
; %bb.16:
	ds_read_b32 v1, v12 offset:8
.LBB74_17:
	s_or_b64 exec, exec, s[0:1]
	s_waitcnt lgkmcnt(0)
	ds_bpermute_b32 v2, v7, v1
	s_movk_i32 s0, 0x78
	v_cmp_gt_u32_e32 vcc, s0, v0
	s_waitcnt lgkmcnt(0)
	v_add_f32_e32 v1, v1, v2
	ds_bpermute_b32 v2, v13, v1
	s_and_saveexec_b64 s[0:1], vcc
	s_cbranch_execz .LBB74_24
; %bb.18:
	s_cmp_gt_i32 s26, 0
	s_mov_b32 s15, 0
	s_cbranch_scc1 .LBB74_20
; %bb.19:
	v_mov_b32_e32 v1, 0
	v_mov_b32_e32 v4, s15
	s_cbranch_execz .LBB74_21
	s_branch .LBB74_23
.LBB74_20:
                                        ; implicit-def: $sgpr15
	v_mov_b32_e32 v4, s15
.LBB74_21:
	s_waitcnt lgkmcnt(0)
	v_add_f32_e32 v1, 0x358637bd, v2
	v_div_scale_f32 v2, s[4:5], v1, v1, 1.0
	v_rcp_f32_e32 v3, v2
	s_mul_i32 s4, s14, 0x78
	s_mulk_i32 s16, 0x78
	s_ashr_i32 s5, s4, 31
	v_fma_f32 v4, -v2, v3, 1.0
	v_fmac_f32_e32 v3, v4, v3
	v_div_scale_f32 v4, vcc, 1.0, v1, 1.0
	v_mul_f32_e32 v5, v4, v3
	v_fma_f32 v6, -v2, v5, v4
	s_ashr_i32 s17, s16, 31
	s_max_i32 s15, s25, 1
	v_fmac_f32_e32 v5, v6, v3
	s_add_i32 s14, s27, 16
	s_lshl_b64 s[4:5], s[4:5], 1
	s_lshl_b64 s[16:17], s[16:17], 1
	v_fma_f32 v2, -v2, v5, v4
	s_add_u32 s4, s4, s16
	v_div_fmas_f32 v2, v2, v3, v5
	s_addc_u32 s5, s5, s17
	v_div_fixup_f32 v5, v2, v1, 1.0
	v_mov_b32_e32 v1, 0
	s_add_u32 s4, s8, s4
	v_lshlrev_b32_e32 v2, 1, v0
	v_mov_b32_e32 v3, v1
	s_addc_u32 s5, s9, s5
	v_lshl_add_u64 v[2:3], s[4:5], 0, v[2:3]
	s_mov_b64 s[4:5], 0xf0
	v_mov_b32_e32 v4, v1
.LBB74_22:                              ; =>This Inner Loop Header: Depth=1
	global_load_ushort v6, v[2:3], off
	v_mov_b32_e32 v7, s14
	s_waitcnt vmcnt(0)
	;;#ASMSTART
	v_cvt_f32_f16 v6, v6;
	;;#ASMEND
	ds_read_b32 v7, v7
	s_add_i32 s15, s15, -1
	s_add_i32 s14, s14, 4
	v_lshl_add_u64 v[2:3], v[2:3], 0, s[4:5]
	s_cmp_eq_u32 s15, 0
	s_waitcnt lgkmcnt(0)
	v_mul_f32_e32 v6, v6, v7
	v_fmac_f32_e32 v4, v5, v6
	s_cbranch_scc0 .LBB74_22
.LBB74_23:
	s_mul_i32 s4, s24, 0x78
	s_ashr_i32 s5, s4, 31
	s_lshl_b64 s[4:5], s[4:5], 1
	s_add_u32 s14, s10, s4
	s_mul_i32 s4, s2, 0x78
	s_addc_u32 s15, s11, s5
	s_ashr_i32 s5, s4, 31
	s_lshl_b64 s[4:5], s[4:5], 1
	s_add_u32 s4, s14, s4
	s_addc_u32 s5, s15, s5
	s_waitcnt lgkmcnt(0)
	v_lshl_add_u64 v[2:3], v[0:1], 1, s[4:5]
	;;#ASMSTART
	v_cvt_f16_f32 v1, v4;

	;;#ASMEND
	global_store_short v[2:3], v1, off
.LBB74_24:
	s_or_b64 exec, exec, s[0:1]
	s_mov_b64 s[4:5], 0
.LBB74_25:
	s_and_b64 vcc, exec, s[4:5]
	s_cbranch_vccz .LBB74_34
; %bb.26:
	s_movk_i32 s0, 0x78
	v_cmp_gt_u32_e32 vcc, s0, v0
	s_and_saveexec_b64 s[4:5], vcc
	s_cbranch_execz .LBB74_34
; %bb.27:
	s_mul_i32 s1, s3, s12
	s_mul_i32 s4, s1, 0x78
	s_ashr_i32 s5, s4, 31
	s_lshl_b64 s[14:15], s[4:5], 1
	s_add_u32 s1, s10, s14
	s_mul_i32 s10, s2, 0x78
	s_addc_u32 s5, s11, s15
	s_ashr_i32 s11, s10, 31
	s_lshl_b64 s[2:3], s[10:11], 1
	s_add_u32 s2, s1, s2
	s_mul_i32 s4, s4, s13
	s_addc_u32 s3, s5, s3
	s_ashr_i32 s5, s4, 31
	s_lshl_b64 s[4:5], s[4:5], 1
	s_load_dword s6, s[6:7], 0xc
	s_add_u32 s1, s8, s4
	s_mul_i32 s4, s10, s13
	s_addc_u32 s8, s9, s5
	s_ashr_i32 s5, s4, 31
	s_lshl_b64 s[4:5], s[4:5], 1
	s_add_u32 s4, s1, s4
	s_addc_u32 s5, s8, s5
	s_waitcnt lgkmcnt(0)
	s_and_b32 s8, s6, 0xffff
	v_cvt_f32_u32_e32 v1, s8
	v_add_u32_e32 v2, s8, v0
	v_mov_b32_e32 v4, s8
	v_cmp_gt_u32_e32 vcc, s0, v2
	v_rcp_iflag_f32_e32 v1, v1
	s_cmp_eq_u32 s8, 1
	v_max_u32_e32 v3, 0x78, v2
	v_addc_co_u32_e64 v2, s[0:1], v0, v4, vcc
	v_mul_f32_e32 v1, 0x4f7ffffe, v1
	v_cvt_u32_f32_e32 v1, v1
	s_cselect_b64 s[6:7], -1, 0
	s_sub_i32 s0, 0, s8
	v_sub_u32_e32 v2, v3, v2
	v_mul_lo_u32 v3, s0, v1
	v_mul_hi_u32 v3, v1, v3
	v_add_u32_e32 v1, v1, v3
	v_mul_hi_u32 v1, v2, v1
	v_mul_lo_u32 v3, v1, s8
	v_sub_u32_e32 v2, v2, v3
	v_add_u32_e32 v3, 1, v1
	v_cmp_le_u32_e64 s[0:1], s8, v2
	s_nop 1
	v_cndmask_b32_e64 v1, v1, v3, s[0:1]
	v_subrev_u32_e32 v3, s8, v2
	v_cndmask_b32_e64 v2, v2, v3, s[0:1]
	v_add_u32_e32 v3, 1, v1
	v_cmp_le_u32_e64 s[0:1], s8, v2
	s_nop 1
	v_cndmask_b32_e64 v1, v1, v3, s[0:1]
	v_addc_co_u32_e32 v1, vcc, 1, v1, vcc
	v_cmp_lt_u32_e32 vcc, 7, v1
	s_and_b64 s[10:11], vcc, s[6:7]
	s_mov_b64 s[6:7], -1
	s_and_saveexec_b64 s[0:1], s[10:11]
	s_cbranch_execz .LBB74_31
; %bb.28:
	v_and_b32_e32 v4, -8, v1
	s_mov_b64 s[6:7], 0
	v_mov_b32_e32 v3, 0
	v_mov_b32_e32 v2, v0
	;; [unrolled: 1-line block ×3, first 2 shown]
.LBB74_29:                              ; =>This Inner Loop Header: Depth=1
	v_lshlrev_b64 v[10:11], 1, v[2:3]
	v_lshl_add_u64 v[6:7], s[4:5], 0, v[10:11]
	global_load_dwordx4 v[6:9], v[6:7], off
	v_add_u32_e32 v5, -8, v5
	v_cmp_eq_u32_e32 vcc, 0, v5
	v_add_u32_e32 v2, 8, v2
	v_lshl_add_u64 v[10:11], s[2:3], 0, v[10:11]
	s_or_b64 s[6:7], vcc, s[6:7]
	s_waitcnt vmcnt(0)
	global_store_dwordx4 v[10:11], v[6:9], off
	s_andn2_b64 exec, exec, s[6:7]
	s_cbranch_execnz .LBB74_29
; %bb.30:
	s_or_b64 exec, exec, s[6:7]
	v_cmp_ne_u32_e32 vcc, v1, v4
	v_add_u32_e32 v0, v0, v4
	s_orn2_b64 s[6:7], vcc, exec
.LBB74_31:
	s_or_b64 exec, exec, s[0:1]
	s_and_b64 exec, exec, s[6:7]
	s_cbranch_execz .LBB74_34
; %bb.32:
	v_mov_b32_e32 v1, 0
	s_mov_b32 s1, 0
	v_lshlrev_b64 v[2:3], 1, v[0:1]
	s_lshl_b32 s0, s8, 1
	s_mov_b64 s[6:7], 0
	s_movk_i32 s9, 0x77
.LBB74_33:                              ; =>This Inner Loop Header: Depth=1
	v_lshl_add_u64 v[4:5], s[4:5], 0, v[2:3]
	global_load_ushort v1, v[4:5], off
	v_add_u32_e32 v0, s8, v0
	v_cmp_lt_u32_e32 vcc, s9, v0
	v_lshl_add_u64 v[4:5], s[2:3], 0, v[2:3]
	v_lshl_add_u64 v[2:3], v[2:3], 0, s[0:1]
	s_or_b64 s[6:7], vcc, s[6:7]
	s_waitcnt vmcnt(0)
	global_store_short v[4:5], v1, off
	s_andn2_b64 exec, exec, s[6:7]
	s_cbranch_execnz .LBB74_33
.LBB74_34:
	s_endpgm
	.section	.rodata,"a",@progbits
	.p2align	6, 0x0
	.amdhsa_kernel _ZN4vllm32paged_attention_v2_reduce_kernelItLi120ELi128ELi512EEEvPT_PKfS4_PKS1_PKii
		.amdhsa_group_segment_fixed_size 16
		.amdhsa_private_segment_fixed_size 0
		.amdhsa_kernarg_size 304
		.amdhsa_user_sgpr_count 2
		.amdhsa_user_sgpr_dispatch_ptr 0
		.amdhsa_user_sgpr_queue_ptr 0
		.amdhsa_user_sgpr_kernarg_segment_ptr 1
		.amdhsa_user_sgpr_dispatch_id 0
		.amdhsa_user_sgpr_kernarg_preload_length 0
		.amdhsa_user_sgpr_kernarg_preload_offset 0
		.amdhsa_user_sgpr_private_segment_size 0
		.amdhsa_uses_dynamic_stack 0
		.amdhsa_enable_private_segment 0
		.amdhsa_system_sgpr_workgroup_id_x 1
		.amdhsa_system_sgpr_workgroup_id_y 1
		.amdhsa_system_sgpr_workgroup_id_z 0
		.amdhsa_system_sgpr_workgroup_info 0
		.amdhsa_system_vgpr_workitem_id 0
		.amdhsa_next_free_vgpr 23
		.amdhsa_next_free_sgpr 32
		.amdhsa_accum_offset 24
		.amdhsa_reserve_vcc 1
		.amdhsa_float_round_mode_32 0
		.amdhsa_float_round_mode_16_64 0
		.amdhsa_float_denorm_mode_32 3
		.amdhsa_float_denorm_mode_16_64 3
		.amdhsa_dx10_clamp 1
		.amdhsa_ieee_mode 1
		.amdhsa_fp16_overflow 0
		.amdhsa_tg_split 0
		.amdhsa_exception_fp_ieee_invalid_op 0
		.amdhsa_exception_fp_denorm_src 0
		.amdhsa_exception_fp_ieee_div_zero 0
		.amdhsa_exception_fp_ieee_overflow 0
		.amdhsa_exception_fp_ieee_underflow 0
		.amdhsa_exception_fp_ieee_inexact 0
		.amdhsa_exception_int_div_zero 0
	.end_amdhsa_kernel
	.section	.text._ZN4vllm32paged_attention_v2_reduce_kernelItLi120ELi128ELi512EEEvPT_PKfS4_PKS1_PKii,"axG",@progbits,_ZN4vllm32paged_attention_v2_reduce_kernelItLi120ELi128ELi512EEEvPT_PKfS4_PKS1_PKii,comdat
.Lfunc_end74:
	.size	_ZN4vllm32paged_attention_v2_reduce_kernelItLi120ELi128ELi512EEEvPT_PKfS4_PKS1_PKii, .Lfunc_end74-_ZN4vllm32paged_attention_v2_reduce_kernelItLi120ELi128ELi512EEEvPT_PKfS4_PKS1_PKii
                                        ; -- End function
	.section	.AMDGPU.csdata,"",@progbits
; Kernel info:
; codeLenInByte = 2140
; NumSgprs: 38
; NumVgprs: 23
; NumAgprs: 0
; TotalNumVgprs: 23
; ScratchSize: 0
; MemoryBound: 0
; FloatMode: 240
; IeeeMode: 1
; LDSByteSize: 16 bytes/workgroup (compile time only)
; SGPRBlocks: 4
; VGPRBlocks: 2
; NumSGPRsForWavesPerEU: 38
; NumVGPRsForWavesPerEU: 23
; AccumOffset: 24
; Occupancy: 8
; WaveLimiterHint : 0
; COMPUTE_PGM_RSRC2:SCRATCH_EN: 0
; COMPUTE_PGM_RSRC2:USER_SGPR: 2
; COMPUTE_PGM_RSRC2:TRAP_HANDLER: 0
; COMPUTE_PGM_RSRC2:TGID_X_EN: 1
; COMPUTE_PGM_RSRC2:TGID_Y_EN: 1
; COMPUTE_PGM_RSRC2:TGID_Z_EN: 0
; COMPUTE_PGM_RSRC2:TIDIG_COMP_CNT: 0
; COMPUTE_PGM_RSRC3_GFX90A:ACCUM_OFFSET: 5
; COMPUTE_PGM_RSRC3_GFX90A:TG_SPLIT: 0
	.section	.text._ZN4vllm25paged_attention_v2_kernelIttLi128ELi8ELi128ELNS_18Fp8KVCacheDataTypeE0ELb1ELi512EEEvPfS2_PT_PKS3_PKT0_S9_ifPKiSB_iPKfiiiSD_SD_iiiii,"axG",@progbits,_ZN4vllm25paged_attention_v2_kernelIttLi128ELi8ELi128ELNS_18Fp8KVCacheDataTypeE0ELb1ELi512EEEvPfS2_PT_PKS3_PKT0_S9_ifPKiSB_iPKfiiiSD_SD_iiiii,comdat
	.protected	_ZN4vllm25paged_attention_v2_kernelIttLi128ELi8ELi128ELNS_18Fp8KVCacheDataTypeE0ELb1ELi512EEEvPfS2_PT_PKS3_PKT0_S9_ifPKiSB_iPKfiiiSD_SD_iiiii ; -- Begin function _ZN4vllm25paged_attention_v2_kernelIttLi128ELi8ELi128ELNS_18Fp8KVCacheDataTypeE0ELb1ELi512EEEvPfS2_PT_PKS3_PKT0_S9_ifPKiSB_iPKfiiiSD_SD_iiiii
	.globl	_ZN4vllm25paged_attention_v2_kernelIttLi128ELi8ELi128ELNS_18Fp8KVCacheDataTypeE0ELb1ELi512EEEvPfS2_PT_PKS3_PKT0_S9_ifPKiSB_iPKfiiiSD_SD_iiiii
	.p2align	8
	.type	_ZN4vllm25paged_attention_v2_kernelIttLi128ELi8ELi128ELNS_18Fp8KVCacheDataTypeE0ELb1ELi512EEEvPfS2_PT_PKS3_PKT0_S9_ifPKiSB_iPKfiiiSD_SD_iiiii,@function
_ZN4vllm25paged_attention_v2_kernelIttLi128ELi8ELi128ELNS_18Fp8KVCacheDataTypeE0ELb1ELi512EEEvPfS2_PT_PKS3_PKT0_S9_ifPKiSB_iPKfiiiSD_SD_iiiii: ; @_ZN4vllm25paged_attention_v2_kernelIttLi128ELi8ELi128ELNS_18Fp8KVCacheDataTypeE0ELb1ELi512EEEvPfS2_PT_PKS3_PKT0_S9_ifPKiSB_iPKfiiiSD_SD_iiiii
; %bb.0:
	s_load_dwordx2 s[6:7], s[0:1], 0x40
	s_mov_b32 s28, s3
	s_ashr_i32 s29, s3, 31
	s_lshl_b64 s[8:9], s[28:29], 2
	s_waitcnt lgkmcnt(0)
	s_add_u32 s6, s6, s8
	s_addc_u32 s7, s7, s9
	s_load_dword s29, s[6:7], 0x0
	s_lshl_b32 s49, s4, 9
	s_waitcnt lgkmcnt(0)
	s_cmp_ge_i32 s49, s29
	s_cbranch_scc1 .LBB75_63
; %bb.1:
	s_load_dword s5, s[0:1], 0x90
	s_load_dwordx2 s[38:39], s[0:1], 0x30
	s_waitcnt lgkmcnt(0)
	s_abs_i32 s7, s5
	s_abs_i32 s3, s38
	v_cvt_f32_u32_e32 v1, s3
	s_sub_i32 s8, 0, s3
	s_xor_b32 s6, s5, s38
	s_ashr_i32 s6, s6, 31
	v_rcp_iflag_f32_e32 v1, v1
	s_nop 0
	v_mul_f32_e32 v1, 0x4f7ffffe, v1
	v_cvt_u32_f32_e32 v1, v1
	s_nop 0
	v_readfirstlane_b32 s9, v1
	s_mul_i32 s8, s8, s9
	s_mul_hi_u32 s8, s9, s8
	s_add_i32 s9, s9, s8
	s_mul_hi_u32 s8, s7, s9
	s_mul_i32 s9, s8, s3
	s_sub_i32 s7, s7, s9
	s_add_i32 s10, s8, 1
	s_sub_i32 s9, s7, s3
	s_cmp_ge_u32 s7, s3
	s_cselect_b32 s8, s10, s8
	s_cselect_b32 s7, s9, s7
	s_add_i32 s9, s8, 1
	s_cmp_ge_u32 s7, s3
	s_cselect_b32 s3, s9, s8
	s_xor_b32 s3, s3, s6
	s_sub_i32 s12, s3, s6
	s_abs_i32 s8, s12
	v_cvt_f32_u32_e32 v1, s8
	s_load_dwordx2 s[6:7], s[0:1], 0x50
	s_sub_i32 s10, 0, s8
	s_abs_i32 s9, s2
	v_rcp_iflag_f32_e32 v1, v1
	s_mov_b32 s3, 0
	v_mul_f32_e32 v1, 0x4f7ffffe, v1
	v_cvt_u32_f32_e32 v1, v1
	s_nop 0
	v_readfirstlane_b32 s11, v1
	s_mul_i32 s10, s10, s11
	s_mul_hi_u32 s10, s11, s10
	s_add_i32 s11, s11, s10
	s_waitcnt lgkmcnt(0)
	s_cmp_eq_u64 s[6:7], 0
	s_mul_hi_u32 s10, s9, s11
	s_cbranch_scc1 .LBB75_3
; %bb.2:
	s_ashr_i32 s3, s2, 31
	s_lshl_b64 s[14:15], s[2:3], 2
	s_add_u32 s6, s6, s14
	s_addc_u32 s7, s7, s15
	s_load_dword s3, s[6:7], 0x0
.LBB75_3:
	s_ashr_i32 s16, s12, 31
	s_load_dwordx4 s[12:15], s[0:1], 0x58
	s_movk_i32 s6, 0x80
	s_ashr_i32 s11, s2, 31
	v_and_b32_e32 v4, 7, v0
	s_lshl_b32 s24, s2, 7
	v_cmp_gt_u32_e32 vcc, s6, v0
	v_lshlrev_b32_e32 v16, 1, v0
	s_and_saveexec_b64 s[6:7], vcc
	s_cbranch_execz .LBB75_5
; %bb.4:
	s_load_dwordx2 s[18:19], s[0:1], 0x18
	s_waitcnt lgkmcnt(0)
	s_mul_i32 s20, s28, s12
	s_ashr_i32 s21, s20, 31
	s_lshl_b64 s[20:21], s[20:21], 1
	v_lshrrev_b32_e32 v2, 2, v0
	s_add_u32 s12, s18, s20
	s_addc_u32 s15, s19, s21
	s_ashr_i32 s25, s24, 31
	s_lshl_b64 s[18:19], s[24:25], 1
	s_add_u32 s18, s12, s18
	s_addc_u32 s19, s15, s19
	global_load_ushort v1, v16, s[18:19]
	v_and_b32_e32 v2, 0xfe, v2
	v_lshl_add_u32 v2, v4, 5, v2
	s_waitcnt vmcnt(0)
	ds_write_b16 v2, v1
.LBB75_5:
	s_or_b64 exec, exec, s[6:7]
	s_mul_i32 s7, s10, s8
	s_sub_i32 s7, s9, s7
	s_xor_b32 s6, s11, s16
	s_add_i32 s9, s10, 1
	s_sub_i32 s11, s7, s8
	s_load_dwordx4 s[16:19], s[0:1], 0x78
	s_cmp_ge_u32 s7, s8
	s_cselect_b32 s9, s9, s10
	s_cselect_b32 s7, s11, s7
	s_load_dword s11, s[0:1], 0x88
	s_add_i32 s10, s9, 1
	s_cmp_ge_u32 s7, s8
	s_cselect_b32 s7, s10, s9
	s_waitcnt lgkmcnt(0)
	s_abs_i32 s25, s19
	v_cvt_f32_u32_e32 v1, s25
	s_xor_b32 s7, s7, s6
	s_sub_i32 s10, s7, s6
	s_sub_i32 s6, 0, s25
	v_rcp_iflag_f32_e32 v1, v1
	s_add_i32 s12, s29, -1
	s_abs_i32 s8, s12
	v_mul_f32_e32 v1, 0x4f7ffffe, v1
	v_cvt_u32_f32_e32 v1, v1
	s_barrier
	v_readfirstlane_b32 s33, v1
	s_mul_i32 s6, s6, s33
	s_mul_hi_u32 s6, s33, s6
	s_add_i32 s33, s33, s6
	s_cmp_lt_i32 s11, 0
	s_mul_hi_u32 s9, s8, s33
	s_cbranch_scc0 .LBB75_7
; %bb.6:
	s_mul_i32 s6, s16, s38
	s_add_i32 s6, s10, s6
	s_mul_i32 s6, s6, s11
	s_sub_i32 s46, 1, s6
	s_mov_b64 s[6:7], 0
	s_branch .LBB75_8
.LBB75_7:
	s_mov_b64 s[6:7], -1
                                        ; implicit-def: $sgpr46
.LBB75_8:
	s_load_dwordx2 s[30:31], s[0:1], 0x38
	s_ashr_i32 s12, s12, 31
	s_andn2_b64 vcc, exec, s[6:7]
	s_ashr_i32 s19, s19, 31
	s_cbranch_vccnz .LBB75_10
; %bb.9:
	s_mul_i32 s6, s5, s16
	s_add_i32 s6, s6, s2
	s_mul_i32 s6, s6, s11
	s_add_i32 s46, s6, 1
.LBB75_10:
	s_load_dword s6, s[0:1], 0x48
	s_load_dwordx2 s[36:37], s[0:1], 0x28
	s_load_dword s16, s[0:1], 0x98
	s_load_dwordx4 s[20:23], s[0:1], 0x0
	s_load_dwordx2 s[26:27], s[0:1], 0x10
	s_mul_i32 s7, s9, s25
	s_waitcnt lgkmcnt(0)
	s_mul_i32 s34, s28, s6
	s_sub_i32 s7, s8, s7
	s_ashr_i32 s35, s34, 31
	s_xor_b32 s6, s12, s19
	s_add_i32 s8, s9, 1
	s_sub_i32 s11, s7, s25
	s_cmp_ge_u32 s7, s25
	s_cselect_b32 s8, s8, s9
	s_cselect_b32 s7, s11, s7
	s_add_i32 s9, s8, 1
	s_cmp_ge_u32 s7, s25
	s_cselect_b32 s7, s9, s8
	s_xor_b32 s7, s7, s6
	s_sub_i32 s48, s7, s6
	s_add_i32 s6, s29, 7
	s_ashr_i32 s7, s6, 31
	s_lshr_b32 s7, s7, 29
	s_add_i32 s6, s6, s7
	s_lshl_b32 s38, s4, 6
	s_ashr_i32 s12, s6, 3
	s_add_i32 s6, s38, 64
	v_lshrrev_b32_e32 v14, 6, v0
	s_min_i32 s47, s6, s12
	v_or_b32_e32 v6, s38, v14
	v_cmp_gt_i32_e64 s[8:9], s47, v6
	v_mov_b32_e32 v10, 0xff7fffff
	s_mul_i32 s14, s10, s14
	v_ashrrev_i32_e32 v7, 31, v6
	v_lshl_add_u32 v17, v14, 3, s49
	v_mbcnt_lo_u32_b32 v1, -1, 0
	s_and_saveexec_b64 s[40:41], s[8:9]
	s_cbranch_execz .LBB75_20
; %bb.11:
	s_load_dwordx2 s[0:1], s[0:1], 0x20
	s_ashr_i32 s15, s14, 31
	s_sub_i32 s50, s48, s17
	s_lshl_b64 s[6:7], s[14:15], 1
	v_bfe_u32 v8, v0, 3, 3
	s_waitcnt lgkmcnt(0)
	s_add_u32 s0, s0, s6
	s_addc_u32 s1, s1, s7
	s_abs_i32 s15, s18
	v_cvt_f32_u32_e32 v5, s15
	v_lshlrev_b32_e32 v2, 4, v8
	v_mov_b32_e32 v3, 0
	v_lshl_add_u64 v[10:11], s[0:1], 0, v[2:3]
	v_rcp_iflag_f32_e32 v5, v5
	v_lshlrev_b32_e32 v2, 1, v4
	v_lshl_add_u64 v[2:3], v[10:11], 0, v[2:3]
	s_sub_i32 s0, 0, s15
	v_mul_f32_e32 v5, 0x4f7ffffe, v5
	v_cvt_u32_f32_e32 v5, v5
	v_lshlrev_b32_e32 v10, 2, v8
	v_cmp_eq_u32_e32 vcc, 0, v4
	v_lshlrev_b32_e32 v9, 5, v4
	v_mul_lo_u32 v4, s0, v5
	s_lshl_b64 s[0:1], s[34:35], 2
	v_lshl_or_b32 v10, v14, 5, v10
	s_add_u32 s0, s30, s0
	v_add_u32_e32 v13, 0x110, v10
	v_subrev_u32_e32 v10, s29, v8
	v_mbcnt_hi_u32_b32 v19, -1, v1
	v_mul_hi_u32 v4, v5, v4
	s_addc_u32 s1, s31, s1
	v_add_u32_e32 v15, 1, v10
	v_and_b32_e32 v10, 64, v19
	s_mov_b32 s51, s13
	v_cmp_neq_f32_e64 s[6:7], s3, 0
	v_add_u32_e32 v11, v5, v4
	v_lshl_add_u64 v[4:5], v[6:7], 2, s[0:1]
	v_lshl_add_u32 v12, v14, 3, s49
	s_mov_b64 s[42:43], 0
	v_mov_b32_e32 v18, 0xff7fffff
	v_add_u32_e32 v20, 64, v10
	v_xor_b32_e32 v21, 4, v19
	v_xor_b32_e32 v22, 2, v19
	;; [unrolled: 1-line block ×3, first 2 shown]
	v_mov_b32_e32 v10, 0xff7fffff
	v_mov_b32_e32 v24, v6
	s_branch .LBB75_14
.LBB75_12:                              ;   in Loop: Header=BB75_14 Depth=1
	s_or_b64 exec, exec, s[44:45]
.LBB75_13:                              ;   in Loop: Header=BB75_14 Depth=1
	s_or_b64 exec, exec, s[10:11]
	v_add_u32_e32 v24, 2, v24
	v_cmp_le_i32_e64 s[0:1], s47, v24
	v_lshl_add_u64 v[4:5], v[4:5], 0, 8
	v_add_u32_e32 v12, 16, v12
	s_or_b64 s[42:43], s[0:1], s[42:43]
	v_add_u32_e32 v13, 64, v13
	s_andn2_b64 exec, exec, s[42:43]
	s_cbranch_execz .LBB75_19
.LBB75_14:                              ; =>This Inner Loop Header: Depth=1
	s_waitcnt lgkmcnt(0)
	v_sub_u32_e32 v26, 0, v12
	v_max_i32_e32 v26, v12, v26
	v_mul_hi_u32 v27, v26, s33
	v_mul_lo_u32 v28, v27, s25
	v_sub_u32_e32 v26, v26, v28
	v_add_u32_e32 v28, 1, v27
	v_cmp_le_u32_e64 s[0:1], s25, v26
	v_ashrrev_i32_e32 v25, 31, v12
	v_xor_b32_e32 v25, s19, v25
	v_cndmask_b32_e64 v27, v27, v28, s[0:1]
	v_subrev_u32_e32 v28, s25, v26
	v_cndmask_b32_e64 v26, v26, v28, s[0:1]
	v_add_u32_e32 v28, 1, v27
	v_cmp_le_u32_e64 s[0:1], s25, v26
	s_nop 1
	v_cndmask_b32_e64 v26, v27, v28, s[0:1]
	v_xor_b32_e32 v26, v26, v25
	v_sub_u32_e32 v25, v26, v25
	v_add_u32_e32 v26, s46, v25
	v_sub_u32_e32 v28, 0, v26
	v_ashrrev_i32_e32 v27, 31, v26
	v_max_i32_e32 v26, v26, v28
	v_mul_hi_u32 v28, v26, v11
	v_mul_lo_u32 v28, v28, s15
	v_sub_u32_e32 v26, v26, v28
	v_subrev_u32_e32 v28, s15, v26
	v_cmp_le_u32_e64 s[0:1], s15, v26
	v_cmp_ge_i32_e64 s[10:11], s50, v25
	s_nop 0
	v_cndmask_b32_e64 v26, v26, v28, s[0:1]
	v_subrev_u32_e32 v28, s15, v26
	v_cmp_le_u32_e64 s[0:1], s15, v26
	s_nop 1
	v_cndmask_b32_e64 v26, v26, v28, s[0:1]
	v_xor_b32_e32 v26, v26, v27
	v_sub_u32_e32 v26, v26, v27
	v_cmp_ne_u32_e64 s[0:1], 0, v26
	s_and_b64 s[0:1], s[0:1], s[10:11]
	s_and_b64 s[44:45], vcc, s[0:1]
	s_and_saveexec_b64 s[10:11], s[44:45]
	s_cbranch_execz .LBB75_16
; %bb.15:                               ;   in Loop: Header=BB75_14 Depth=1
	ds_write_b32 v13, v18
.LBB75_16:                              ;   in Loop: Header=BB75_14 Depth=1
	s_or_b64 exec, exec, s[10:11]
	s_xor_b64 s[0:1], s[0:1], -1
	s_and_saveexec_b64 s[10:11], s[0:1]
	s_cbranch_execz .LBB75_13
; %bb.17:                               ;   in Loop: Header=BB75_14 Depth=1
	global_load_dword v25, v[4:5], off
	s_waitcnt vmcnt(0)
	v_mad_i64_i32 v[26:27], s[0:1], v25, s51, 0
	v_lshl_add_u64 v[26:27], v[26:27], 1, v[2:3]
	global_load_ushort v25, v[26:27], off
	global_load_ushort v28, v[26:27], off offset:128
	global_load_ushort v29, v[26:27], off offset:256
	;; [unrolled: 1-line block ×10, first 2 shown]
	ds_read_u16 v38, v9
	global_load_ushort v39, v[26:27], off offset:1408
	global_load_ushort v40, v[26:27], off offset:1536
	;; [unrolled: 1-line block ×5, first 2 shown]
	s_waitcnt lgkmcnt(0)
	;;#ASMSTART
	v_cvt_f32_f16 v26, v38;
	;;#ASMEND
	v_cmp_lt_i32_e64 s[0:1], v21, v20
	s_waitcnt vmcnt(15)
	;;#ASMSTART
	v_cvt_f32_f16 v25, v25;
	;;#ASMEND
	ds_read_u16 v27, v9 offset:2
	s_waitcnt lgkmcnt(0)
	;;#ASMSTART
	v_cvt_f32_f16 v27, v27;
	;;#ASMEND
	s_waitcnt vmcnt(14)
	;;#ASMSTART
	v_cvt_f32_f16 v28, v28;
	;;#ASMEND
	ds_read_u16 v38, v9 offset:4
	v_mul_f32_e32 v27, v27, v28
	v_fmac_f32_e32 v27, v26, v25
	s_waitcnt lgkmcnt(0)
	;;#ASMSTART
	v_cvt_f32_f16 v38, v38;
	;;#ASMEND
	s_waitcnt vmcnt(13)
	;;#ASMSTART
	v_cvt_f32_f16 v29, v29;
	;;#ASMEND
	ds_read_u16 v44, v9 offset:6
	v_fmac_f32_e32 v27, v38, v29
	s_waitcnt lgkmcnt(0)
	;;#ASMSTART
	v_cvt_f32_f16 v44, v44;
	;;#ASMEND
	s_waitcnt vmcnt(12)
	;;#ASMSTART
	v_cvt_f32_f16 v30, v30;
	;;#ASMEND
	ds_read_u16 v45, v9 offset:8
	;; [unrolled: 10-line block ×12, first 2 shown]
	v_fmac_f32_e32 v27, v28, v29
	v_cndmask_b32_e64 v53, v19, v21, s[0:1]
	s_waitcnt lgkmcnt(0)
	;;#ASMSTART
	v_cvt_f32_f16 v30, v30;
	;;#ASMEND
	s_waitcnt vmcnt(1)
	;;#ASMSTART
	v_cvt_f32_f16 v31, v42;
	;;#ASMEND
	v_lshlrev_b32_e32 v53, 2, v53
	v_fmac_f32_e32 v27, v30, v31
	ds_read_u16 v32, v9 offset:30
	s_waitcnt lgkmcnt(0)
	;;#ASMSTART
	v_cvt_f32_f16 v25, v32;
	;;#ASMEND
	s_waitcnt vmcnt(0)
	;;#ASMSTART
	v_cvt_f32_f16 v26, v43;
	;;#ASMEND
	v_cmp_lt_i32_e64 s[0:1], v22, v20
	v_fmac_f32_e32 v27, v25, v26
	ds_bpermute_b32 v25, v53, v27
	v_cndmask_b32_e64 v26, v19, v22, s[0:1]
	v_lshlrev_b32_e32 v26, 2, v26
	v_cmp_lt_i32_e64 s[0:1], v23, v20
	s_waitcnt lgkmcnt(0)
	v_add_f32_e32 v25, v27, v25
	ds_bpermute_b32 v26, v26, v25
	v_cndmask_b32_e64 v27, v19, v23, s[0:1]
	s_waitcnt lgkmcnt(0)
	v_add_f32_e32 v25, v25, v26
	v_lshlrev_b32_e32 v26, 2, v27
	ds_bpermute_b32 v26, v26, v25
	s_and_saveexec_b64 s[44:45], vcc
	s_cbranch_execz .LBB75_12
; %bb.18:                               ;   in Loop: Header=BB75_14 Depth=1
	v_add_u32_e32 v27, v15, v12
	v_cvt_f32_i32_e32 v27, v27
	s_waitcnt lgkmcnt(0)
	v_add_f32_e32 v25, v25, v26
	v_add_u32_e32 v28, v8, v12
	v_cmp_gt_i32_e64 s[0:1], s29, v28
	v_mul_f32_e32 v26, s3, v27
	v_cndmask_b32_e64 v26, 0, v26, s[6:7]
	v_fmac_f32_e32 v26, s39, v25
	v_cndmask_b32_e64 v25, 0, v26, s[0:1]
	ds_write_b32 v13, v25
	v_max_f32_e32 v25, v10, v10
	v_max_f32_e32 v25, v25, v26
	v_cndmask_b32_e64 v10, v10, v25, s[0:1]
	s_branch .LBB75_12
.LBB75_19:
	s_or_b64 exec, exec, s[42:43]
.LBB75_20:
	s_or_b64 exec, exec, s[40:41]
	v_mbcnt_hi_u32_b32 v2, -1, v1
	v_and_b32_e32 v1, 64, v2
	v_add_u32_e32 v3, 64, v1
	v_xor_b32_e32 v1, 32, v2
	v_cmp_lt_i32_e32 vcc, v1, v3
	v_xor_b32_e32 v8, 16, v2
	v_max_f32_e32 v4, v10, v10
	v_cndmask_b32_e32 v1, v2, v1, vcc
	v_lshlrev_b32_e32 v5, 2, v1
	ds_bpermute_b32 v1, v5, v10
	v_cmp_lt_i32_e32 vcc, v8, v3
	v_and_b32_e32 v18, 63, v0
	s_waitcnt lgkmcnt(0)
	v_max_f32_e32 v1, v1, v1
	v_max_f32_e32 v1, v4, v1
	v_cndmask_b32_e32 v4, v2, v8, vcc
	v_lshlrev_b32_e32 v9, 2, v4
	ds_bpermute_b32 v4, v9, v1
	v_xor_b32_e32 v8, 8, v2
	v_cmp_lt_i32_e32 vcc, v8, v3
	s_waitcnt lgkmcnt(0)
	v_max_f32_e32 v4, v4, v4
	v_max_f32_e32 v1, v1, v4
	v_cndmask_b32_e32 v4, v2, v8, vcc
	v_lshlrev_b32_e32 v10, 2, v4
	ds_bpermute_b32 v8, v10, v1
	v_cmp_eq_u32_e32 vcc, 0, v18
	v_lshlrev_b32_e32 v4, 2, v14
	s_and_saveexec_b64 s[0:1], vcc
	s_cbranch_execz .LBB75_22
; %bb.21:
	s_waitcnt lgkmcnt(0)
	v_max_f32_e32 v8, v8, v8
	v_max_f32_e32 v1, v1, v1
	;; [unrolled: 1-line block ×3, first 2 shown]
	ds_write_b32 v4, v1 offset:256
.LBB75_22:
	s_or_b64 exec, exec, s[0:1]
	v_cmp_gt_u32_e64 s[0:1], 2, v18
	v_mov_b32_e32 v1, 0xff7fffff
	s_waitcnt lgkmcnt(0)
	v_lshlrev_b32_e32 v8, 2, v18
	s_barrier
	s_and_saveexec_b64 s[6:7], s[0:1]
	s_cbranch_execz .LBB75_24
; %bb.23:
	ds_read_b32 v1, v8 offset:256
.LBB75_24:
	s_or_b64 exec, exec, s[6:7]
	v_xor_b32_e32 v11, 1, v2
	v_cmp_lt_i32_e64 s[6:7], v11, v3
	s_sub_i32 s3, s47, s38
	s_lshl_b32 s3, s3, 3
	v_cndmask_b32_e64 v11, v2, v11, s[6:7]
	v_lshlrev_b32_e32 v11, 2, v11
	s_waitcnt lgkmcnt(0)
	ds_bpermute_b32 v12, v11, v1
	v_max_f32_e32 v1, v1, v1
	s_add_i32 s3, s3, s49
	s_min_i32 s15, s3, s29
	s_sub_i32 s3, s15, s49
	s_waitcnt lgkmcnt(0)
	v_max_f32_e32 v12, v12, v12
	v_max_f32_e32 v1, v1, v12
	v_lshlrev_b32_e32 v12, 2, v2
	v_and_b32_e32 v12, 0x100, v12
	ds_bpermute_b32 v1, v12, v1
	v_cmp_gt_i32_e64 s[6:7], s3, v0
	v_mov_b32_e32 v13, 0
	s_and_saveexec_b64 s[38:39], s[6:7]
	s_cbranch_execz .LBB75_28
; %bb.25:
	v_mov_b32_e32 v13, 0x110
	v_lshl_add_u32 v15, v0, 2, v13
	s_mov_b64 s[40:41], 0
	v_mov_b32_e32 v13, 0
	v_mov_b32_e32 v19, v0
.LBB75_26:                              ; =>This Inner Loop Header: Depth=1
	ds_read_b32 v20, v15
	v_add_u32_e32 v19, 0x80, v19
	v_cmp_le_i32_e64 s[10:11], s3, v19
	s_or_b64 s[40:41], s[10:11], s[40:41]
	s_waitcnt lgkmcnt(0)
	v_sub_f32_e32 v20, v20, v1
	v_mul_f32_e32 v20, 0x3fb8aa3b, v20
	v_exp_f32_e32 v20, v20
	ds_write_b32 v15, v20
	v_add_f32_e32 v13, v13, v20
	v_add_u32_e32 v15, 0x200, v15
	s_andn2_b64 exec, exec, s[40:41]
	s_cbranch_execnz .LBB75_26
; %bb.27:
	s_or_b64 exec, exec, s[40:41]
.LBB75_28:
	s_or_b64 exec, exec, s[38:39]
	ds_bpermute_b32 v5, v5, v13
	s_waitcnt lgkmcnt(0)
	v_add_f32_e32 v5, v13, v5
	ds_bpermute_b32 v9, v9, v5
	s_waitcnt lgkmcnt(0)
	v_add_f32_e32 v5, v5, v9
	ds_bpermute_b32 v9, v10, v5
	v_xor_b32_e32 v10, 4, v2
	v_cmp_lt_i32_e64 s[10:11], v10, v3
	s_waitcnt lgkmcnt(0)
	v_add_f32_e32 v5, v5, v9
	v_cndmask_b32_e64 v10, v2, v10, s[10:11]
	v_lshlrev_b32_e32 v10, 2, v10
	ds_bpermute_b32 v9, v10, v5
	v_xor_b32_e32 v10, 2, v2
	v_cmp_lt_i32_e64 s[10:11], v10, v3
	s_waitcnt lgkmcnt(0)
	v_add_f32_e32 v3, v5, v9
	v_cndmask_b32_e64 v2, v2, v10, s[10:11]
	v_lshlrev_b32_e32 v2, 2, v2
	ds_bpermute_b32 v2, v2, v3
	s_waitcnt lgkmcnt(0)
	v_add_f32_e32 v2, v3, v2
	ds_bpermute_b32 v3, v11, v2
	s_waitcnt lgkmcnt(0)
	v_add_f32_e32 v2, v2, v3
	s_and_saveexec_b64 s[10:11], vcc
	s_cbranch_execz .LBB75_30
; %bb.29:
	ds_write_b32 v4, v2 offset:264
.LBB75_30:
	s_or_b64 exec, exec, s[10:11]
	s_waitcnt lgkmcnt(0)
	s_barrier
	s_and_saveexec_b64 s[10:11], s[0:1]
	s_cbranch_execz .LBB75_32
; %bb.31:
	ds_read_b32 v2, v8 offset:264
.LBB75_32:
	s_or_b64 exec, exec, s[10:11]
	s_waitcnt lgkmcnt(0)
	ds_bpermute_b32 v3, v11, v2
	s_waitcnt lgkmcnt(0)
	v_add_f32_e32 v2, v2, v3
	ds_bpermute_b32 v4, v12, v2
	s_and_saveexec_b64 s[0:1], s[6:7]
	s_cbranch_execz .LBB75_45
; %bb.33:
	s_waitcnt lgkmcnt(0)
	v_add_f32_e32 v2, 0x358637bd, v4
	v_div_scale_f32 v3, s[6:7], v2, v2, 1.0
	v_rcp_f32_e32 v5, v3
	v_div_scale_f32 v8, vcc, 1.0, v2, 1.0
	s_movk_i32 s6, 0x7f
	v_fma_f32 v9, -v3, v5, 1.0
	v_fmac_f32_e32 v5, v9, v5
	v_mul_f32_e32 v9, v8, v5
	v_fma_f32 v10, -v3, v9, v8
	v_fmac_f32_e32 v9, v10, v5
	v_fma_f32 v3, -v3, v9, v8
	v_div_fmas_f32 v3, v3, v5, v9
	v_div_fixup_f32 v2, v3, v2, 1.0
	v_xad_u32 v3, v0, -1, s15
	v_subrev_u32_e32 v5, s49, v3
	v_cmp_lt_u32_e32 vcc, s6, v5
	s_mov_b64 s[10:11], -1
	v_mov_b32_e32 v3, v0
	s_and_saveexec_b64 s[6:7], vcc
	s_cbranch_execz .LBB75_42
; %bb.34:
	v_lshrrev_b32_e32 v5, 7, v5
	v_add_u32_e32 v9, -1, v5
	v_lshrrev_b32_e32 v8, 1, v9
	v_mov_b32_e32 v3, v2
	v_add_u32_e32 v8, 1, v8
	v_cmp_lt_u32_e32 vcc, 13, v9
	v_mov_b32_e32 v11, 0
	s_and_saveexec_b64 s[10:11], vcc
	s_cbranch_execz .LBB75_38
; %bb.35:
	v_mov_b32_e32 v10, 0x110
	v_and_b32_e32 v9, -8, v8
	v_lshl_add_u32 v10, v0, 2, v10
	s_mov_b32 s15, 0
	s_mov_b64 s[38:39], 0
.LBB75_36:                              ; =>This Inner Loop Header: Depth=1
	ds_read2st64_b32 v[12:13], v10 offset1:2
	ds_read2st64_b32 v[20:21], v10 offset0:4 offset1:6
	ds_read2st64_b32 v[22:23], v10 offset0:8 offset1:10
	;; [unrolled: 1-line block ×3, first 2 shown]
	v_add_u32_e32 v9, -8, v9
	s_waitcnt lgkmcnt(3)
	v_pk_mul_f32 v[12:13], v[2:3], v[12:13]
	s_waitcnt lgkmcnt(2)
	v_pk_mul_f32 v[20:21], v[2:3], v[20:21]
	ds_write2st64_b32 v10, v12, v13 offset1:2
	ds_write2st64_b32 v10, v20, v21 offset0:4 offset1:6
	ds_read2st64_b32 v[20:21], v10 offset0:16 offset1:18
	s_waitcnt lgkmcnt(4)
	v_pk_mul_f32 v[12:13], v[2:3], v[22:23]
	ds_write2st64_b32 v10, v12, v13 offset0:8 offset1:10
	s_waitcnt lgkmcnt(4)
	v_pk_mul_f32 v[12:13], v[2:3], v[24:25]
	ds_write2st64_b32 v10, v12, v13 offset0:12 offset1:14
	ds_read2st64_b32 v[12:13], v10 offset0:20 offset1:22
	s_waitcnt lgkmcnt(3)
	v_pk_mul_f32 v[20:21], v[2:3], v[20:21]
	ds_read2st64_b32 v[22:23], v10 offset0:24 offset1:26
	ds_write2st64_b32 v10, v20, v21 offset0:16 offset1:18
	ds_read2st64_b32 v[20:21], v10 offset0:28 offset1:30
	s_waitcnt lgkmcnt(3)
	v_pk_mul_f32 v[12:13], v[2:3], v[12:13]
	ds_write2st64_b32 v10, v12, v13 offset0:20 offset1:22
	s_waitcnt lgkmcnt(3)
	v_pk_mul_f32 v[12:13], v[2:3], v[22:23]
	ds_write2st64_b32 v10, v12, v13 offset0:24 offset1:26
	s_waitcnt lgkmcnt(2)
	v_pk_mul_f32 v[12:13], v[2:3], v[20:21]
	s_add_i32 s15, s15, 16
	v_cmp_eq_u32_e32 vcc, 0, v9
	ds_write2st64_b32 v10, v12, v13 offset0:28 offset1:30
	v_add_u32_e32 v10, 0x2000, v10
	s_or_b64 s[38:39], vcc, s[38:39]
	v_mov_b32_e32 v11, s15
	s_andn2_b64 exec, exec, s[38:39]
	s_cbranch_execnz .LBB75_36
; %bb.37:
	s_or_b64 exec, exec, s[38:39]
.LBB75_38:
	s_or_b64 exec, exec, s[10:11]
	v_and_b32_e32 v8, 7, v8
	v_cmp_ne_u32_e32 vcc, 0, v8
	s_and_saveexec_b64 s[10:11], vcc
	s_cbranch_execz .LBB75_41
; %bb.39:
	v_lshlrev_b32_e32 v9, 9, v11
	v_lshlrev_b32_e32 v10, 2, v0
	s_movk_i32 s15, 0x110
	v_add3_u32 v9, v9, v10, s15
	s_mov_b64 s[38:39], 0
.LBB75_40:                              ; =>This Inner Loop Header: Depth=1
	ds_read2st64_b32 v[10:11], v9 offset1:2
	v_add_u32_e32 v8, -1, v8
	v_cmp_eq_u32_e32 vcc, 0, v8
	s_or_b64 s[38:39], vcc, s[38:39]
	s_waitcnt lgkmcnt(0)
	v_pk_mul_f32 v[10:11], v[2:3], v[10:11]
	ds_write2st64_b32 v9, v10, v11 offset1:2
	v_add_u32_e32 v9, 0x400, v9
	s_andn2_b64 exec, exec, s[38:39]
	s_cbranch_execnz .LBB75_40
.LBB75_41:
	s_or_b64 exec, exec, s[10:11]
	v_add_u32_e32 v5, 1, v5
	v_and_b32_e32 v8, 0x3fffffe, v5
	v_cmp_ne_u32_e32 vcc, v5, v8
	v_lshl_add_u32 v3, v8, 7, v0
	s_orn2_b64 s[10:11], vcc, exec
.LBB75_42:
	s_or_b64 exec, exec, s[6:7]
	s_and_b64 exec, exec, s[10:11]
	s_cbranch_execz .LBB75_45
; %bb.43:
	v_mov_b32_e32 v5, 0x110
	v_lshl_add_u32 v5, v3, 2, v5
	s_mov_b64 s[6:7], 0
.LBB75_44:                              ; =>This Inner Loop Header: Depth=1
	ds_read_b32 v8, v5
	v_add_u32_e32 v3, 0x80, v3
	v_cmp_le_i32_e32 vcc, s3, v3
	s_or_b64 s[6:7], vcc, s[6:7]
	s_waitcnt lgkmcnt(0)
	v_mul_f32_e32 v8, v2, v8
	ds_write_b32 v5, v8
	v_add_u32_e32 v5, 0x200, v5
	s_andn2_b64 exec, exec, s[6:7]
	s_cbranch_execnz .LBB75_44
.LBB75_45:
	s_or_b64 exec, exec, s[0:1]
	s_mul_i32 s0, s16, s28
	v_cmp_eq_u32_e32 vcc, 0, v0
	s_mul_i32 s6, s0, s5
	s_waitcnt lgkmcnt(0)
	s_barrier
	s_and_saveexec_b64 s[0:1], vcc
	s_cbranch_execz .LBB75_47
; %bb.46:
	s_ashr_i32 s7, s6, 31
	s_lshl_b64 s[10:11], s[6:7], 2
	s_add_u32 s5, s22, s10
	s_mul_i32 s2, s16, s2
	s_addc_u32 s7, s23, s11
	s_ashr_i32 s3, s2, 31
	s_lshl_b64 s[2:3], s[2:3], 2
	s_add_u32 s15, s5, s2
	s_addc_u32 s7, s7, s3
	s_ashr_i32 s5, s4, 31
	s_lshl_b64 s[22:23], s[4:5], 2
	s_add_u32 s38, s15, s22
	s_addc_u32 s39, s7, s23
	s_add_u32 s5, s20, s10
	s_addc_u32 s7, s21, s11
	;; [unrolled: 2-line block ×3, first 2 shown]
	s_add_u32 s2, s2, s22
	v_mov_b32_e32 v2, 0
	s_addc_u32 s3, s3, s23
	global_store_dword v2, v1, s[38:39]
	global_store_dword v2, v4, s[2:3]
.LBB75_47:
	s_or_b64 exec, exec, s[0:1]
	v_mov_b32_e32 v1, 0
	v_mov_b32_e32 v9, 0
	s_and_saveexec_b64 s[2:3], s[8:9]
	s_cbranch_execz .LBB75_57
; %bb.48:
	s_ashr_i32 s15, s14, 31
	s_sub_i32 s5, s48, s17
	s_lshl_b64 s[0:1], s[14:15], 1
	s_add_u32 s0, s36, s0
	s_addc_u32 s1, s37, s1
	s_abs_i32 s14, s18
	v_cvt_f32_u32_e32 v1, s14
	s_sub_i32 s8, 0, s14
	v_mov_b32_e32 v9, 0
	v_lshlrev_b32_e32 v8, 4, v18
	v_rcp_iflag_f32_e32 v1, v1
	s_add_i32 s15, s12, -1
	v_lshl_add_u64 v[10:11], s[0:1], 0, v[8:9]
	s_lshl_b64 s[0:1], s[34:35], 2
	v_mul_f32_e32 v1, 0x4f7ffffe, v1
	v_cvt_u32_f32_e32 v1, v1
	s_add_u32 s0, s30, s0
	s_addc_u32 s1, s31, s1
	s_mov_b32 s7, s13
	v_mul_lo_u32 v2, s8, v1
	v_mul_hi_u32 v2, v1, v2
	v_add_u32_e32 v19, v1, v2
	v_mov_b32_e32 v1, 0x110
	s_mov_b32 s17, s29
	s_mov_b32 s18, s29
	;; [unrolled: 1-line block ×7, first 2 shown]
	v_lshl_add_u64 v[12:13], v[6:7], 2, s[0:1]
	v_lshl_add_u32 v7, v14, 5, v1
	s_mov_b64 s[8:9], 0
	s_mov_b32 s30, 0x5040100
	v_mov_b32_e32 v1, v9
	s_branch .LBB75_51
.LBB75_49:                              ;   in Loop: Header=BB75_51 Depth=1
	s_or_b64 exec, exec, s[0:1]
	s_waitcnt vmcnt(0)
	;;#ASMSTART
	v_pk_mul_f16 v2, v29, v2;

	;;#ASMEND
	;;#ASMSTART
	v_pk_mul_f16 v3, v28, v3;

	;;#ASMEND
	;; [unrolled: 4-line block ×4, first 2 shown]
	v_add_f32_e32 v8, v30, v31
	;;#ASMSTART
	v_pk_add_f16 v2, v2, v3;

	;;#ASMEND
	v_add_f32_e32 v9, v9, v8
	;;#ASMSTART
	v_pk_add_f16 v2, v2, v4;

	;;#ASMEND
	s_nop 0
	;;#ASMSTART
	v_pk_add_f16 v2, v2, v5;

	;;#ASMEND
	s_nop 0
	v_lshrrev_b32_e32 v3, 16, v2
	v_and_b32_e32 v2, 0xffff, v2
	;;#ASMSTART
	v_cvt_f32_f16 v2, v2;
	;;#ASMEND
	;;#ASMSTART
	v_cvt_f32_f16 v3, v3;
	;;#ASMEND
	s_nop 0
	v_add_f32_e32 v2, v2, v3
	v_add_f32_e32 v1, v1, v2
.LBB75_50:                              ;   in Loop: Header=BB75_51 Depth=1
	s_or_b64 exec, exec, s[10:11]
	v_add_u32_e32 v6, 2, v6
	v_cmp_le_i32_e32 vcc, s47, v6
	v_lshl_add_u64 v[12:13], v[12:13], 0, 8
	v_add_u32_e32 v17, 16, v17
	s_or_b64 s[8:9], vcc, s[8:9]
	v_add_u32_e32 v7, 64, v7
	s_andn2_b64 exec, exec, s[8:9]
	s_cbranch_execz .LBB75_56
.LBB75_51:                              ; =>This Inner Loop Header: Depth=1
	v_sub_u32_e32 v3, 0, v17
	v_max_i32_e32 v3, v17, v3
	v_mul_hi_u32 v4, v3, s33
	v_mul_lo_u32 v5, v4, s25
	v_sub_u32_e32 v3, v3, v5
	v_add_u32_e32 v5, 1, v4
	v_cmp_le_u32_e32 vcc, s25, v3
	v_ashrrev_i32_e32 v2, 31, v17
	v_xor_b32_e32 v2, s19, v2
	v_cndmask_b32_e32 v4, v4, v5, vcc
	v_subrev_u32_e32 v5, s25, v3
	v_cndmask_b32_e32 v3, v3, v5, vcc
	v_add_u32_e32 v5, 1, v4
	v_cmp_le_u32_e32 vcc, s25, v3
	s_nop 1
	v_cndmask_b32_e32 v3, v4, v5, vcc
	v_xor_b32_e32 v3, v3, v2
	v_sub_u32_e32 v2, v3, v2
	v_add_u32_e32 v3, s46, v2
	v_sub_u32_e32 v5, 0, v3
	v_ashrrev_i32_e32 v4, 31, v3
	v_max_i32_e32 v3, v3, v5
	v_mul_hi_u32 v5, v3, v19
	v_mul_lo_u32 v5, v5, s14
	v_sub_u32_e32 v3, v3, v5
	v_subrev_u32_e32 v5, s14, v3
	v_cmp_le_u32_e32 vcc, s14, v3
	v_cmp_lt_i32_e64 s[0:1], s5, v2
	s_nop 0
	v_cndmask_b32_e32 v3, v3, v5, vcc
	v_subrev_u32_e32 v5, s14, v3
	v_cmp_le_u32_e32 vcc, s14, v3
	s_nop 1
	v_cndmask_b32_e32 v3, v3, v5, vcc
	v_xor_b32_e32 v3, v3, v4
	v_sub_u32_e32 v3, v3, v4
	v_cmp_eq_u32_e32 vcc, 0, v3
	s_or_b64 s[0:1], vcc, s[0:1]
	s_and_saveexec_b64 s[10:11], s[0:1]
	s_cbranch_execz .LBB75_50
; %bb.52:                               ;   in Loop: Header=BB75_51 Depth=1
	global_load_dword v8, v[12:13], off
	ds_read2_b64 v[2:5], v7 offset1:1
	ds_read2_b64 v[20:23], v7 offset0:2 offset1:3
	v_cmp_eq_u32_e32 vcc, s15, v6
	v_or_b32_e32 v25, 7, v17
	s_waitcnt lgkmcnt(1)
	;;#ASMSTART
	v_cvt_f16_f32 v26, v2;

	;;#ASMEND
	;;#ASMSTART
	v_cvt_f16_f32 v27, v3;

	;;#ASMEND
	;; [unrolled: 4-line block ×4, first 2 shown]
	s_waitcnt lgkmcnt(0)
	;;#ASMSTART
	v_cvt_f16_f32 v31, v20;

	;;#ASMEND
	;;#ASMSTART
	v_cvt_f16_f32 v32, v21;

	;;#ASMEND
	;; [unrolled: 4-line block ×4, first 2 shown]
	v_or_b32_e32 v21, 3, v17
	v_or_b32_e32 v20, 2, v17
	;; [unrolled: 1-line block ×5, first 2 shown]
	s_waitcnt vmcnt(0)
	v_mad_i64_i32 v[2:3], s[0:1], v8, s7, 0
	v_lshl_add_u64 v[14:15], v[2:3], 1, v[10:11]
	global_load_dwordx4 v[2:5], v[14:15], off
	v_add_u32_e32 v8, 1, v17
	s_and_saveexec_b64 s[12:13], vcc
	s_cbranch_execz .LBB75_54
; %bb.53:                               ;   in Loop: Header=BB75_51 Depth=1
	s_waitcnt vmcnt(0)
	v_lshrrev_b32_e32 v29, 16, v5
	v_cmp_gt_i32_e64 s[0:1], s28, v25
	s_nop 1
	v_cndmask_b32_e64 v29, 0, v29, s[0:1]
	v_cmp_gt_i32_e64 s[0:1], s23, v24
	s_nop 1
	v_cndmask_b32_e64 v5, 0, v5, s[0:1]
	v_perm_b32 v5, v29, v5, s30
	v_lshrrev_b32_e32 v29, 16, v4
	v_cmp_gt_i32_e64 s[0:1], s22, v23
	s_nop 1
	v_cndmask_b32_e64 v29, 0, v29, s[0:1]
	v_cmp_gt_i32_e64 s[0:1], s21, v22
	s_nop 1
	v_cndmask_b32_e64 v4, 0, v4, s[0:1]
	v_perm_b32 v4, v29, v4, s30
	;; [unrolled: 8-line block ×4, first 2 shown]
.LBB75_54:                              ;   in Loop: Header=BB75_51 Depth=1
	s_or_b64 exec, exec, s[12:13]
	v_and_b32_e32 v26, 0xffff, v26
	v_lshl_or_b32 v29, v27, 16, v26
	v_and_b32_e32 v26, 0xffff, v28
	v_lshl_or_b32 v28, v30, 16, v26
	;; [unrolled: 2-line block ×3, first 2 shown]
	v_and_b32_e32 v26, 0xffff, v33
	s_waitcnt vmcnt(0)
	;;#ASMSTART
	v_pk_mul_f16 v2, v29, v2;

	;;#ASMEND
	v_lshl_or_b32 v26, v34, 16, v26
	;;#ASMSTART
	v_pk_mul_f16 v3, v28, v3;

	;;#ASMEND
	;;#ASMSTART
	v_pk_mul_f16 v4, v27, v4;

	;;#ASMEND
	;; [unrolled: 4-line block ×3, first 2 shown]
	s_nop 0
	;;#ASMSTART
	v_pk_add_f16 v2, v2, v3;

	;;#ASMEND
	s_nop 0
	;;#ASMSTART
	v_pk_add_f16 v2, v2, v4;

	;;#ASMEND
	;; [unrolled: 5-line block ×3, first 2 shown]
	s_nop 0
	v_lshrrev_b32_e32 v3, 16, v2
	v_and_b32_e32 v2, 0xffff, v2
	;;#ASMSTART
	v_cvt_f32_f16 v30, v2;
	;;#ASMEND
	;;#ASMSTART
	v_cvt_f32_f16 v31, v3;
	;;#ASMEND
	global_load_dwordx4 v[2:5], v[14:15], off offset:1024
	s_and_saveexec_b64 s[0:1], vcc
	s_cbranch_execz .LBB75_49
; %bb.55:                               ;   in Loop: Header=BB75_51 Depth=1
	s_waitcnt vmcnt(0)
	v_lshrrev_b32_e32 v14, 16, v5
	v_cmp_gt_i32_e32 vcc, s28, v25
	s_nop 1
	v_cndmask_b32_e32 v14, 0, v14, vcc
	v_cmp_gt_i32_e32 vcc, s23, v24
	s_nop 1
	v_cndmask_b32_e32 v5, 0, v5, vcc
	v_perm_b32 v5, v14, v5, s30
	v_lshrrev_b32_e32 v14, 16, v4
	v_cmp_gt_i32_e32 vcc, s22, v23
	s_nop 1
	v_cndmask_b32_e32 v14, 0, v14, vcc
	v_cmp_gt_i32_e32 vcc, s21, v22
	s_nop 1
	v_cndmask_b32_e32 v4, 0, v4, vcc
	v_perm_b32 v4, v14, v4, s30
	;; [unrolled: 8-line block ×4, first 2 shown]
	s_branch .LBB75_49
.LBB75_56:
	s_or_b64 exec, exec, s[8:9]
.LBB75_57:
	s_or_b64 exec, exec, s[2:3]
	v_and_b32_e32 v2, 0x3c0, v0
	v_cmp_eq_u32_e32 vcc, 64, v2
	s_barrier
	s_and_saveexec_b64 s[0:1], vcc
	s_cbranch_execz .LBB75_59
; %bb.58:
	v_mov_b32_e32 v2, 0x110
	v_lshl_add_u32 v3, v0, 2, v2
	v_lshl_add_u32 v2, v18, 2, v2
	ds_write_b32 v2, v9
	ds_write_b32 v3, v1
.LBB75_59:
	s_or_b64 exec, exec, s[0:1]
	v_cmp_gt_u32_e32 vcc, 64, v0
	s_waitcnt lgkmcnt(0)
	s_barrier
	s_and_saveexec_b64 s[0:1], vcc
	s_cbranch_execz .LBB75_61
; %bb.60:
	v_mov_b32_e32 v2, 0x110
	v_lshl_add_u32 v0, v0, 2, v2
	ds_read2st64_b32 v[2:3], v0 offset1:1
	v_mov_b32_e32 v0, v9
	s_waitcnt lgkmcnt(0)
	v_pk_add_f32 v[0:1], v[0:1], v[2:3]
	s_nop 0
	v_mov_b32_e32 v9, v0
.LBB75_61:
	s_or_b64 exec, exec, s[0:1]
	s_barrier
	s_and_saveexec_b64 s[0:1], vcc
	s_cbranch_execz .LBB75_63
; %bb.62:
	s_lshl_b32 s0, s6, 7
	s_ashr_i32 s1, s0, 31
	s_lshl_b64 s[0:1], s[0:1], 1
	s_add_u32 s2, s26, s0
	s_mul_i32 s0, s16, s24
	s_addc_u32 s3, s27, s1
	s_ashr_i32 s1, s0, 31
	s_lshl_b64 s[0:1], s[0:1], 1
	s_add_u32 s2, s2, s0
	s_addc_u32 s3, s3, s1
	s_lshl_b32 s0, s4, 7
	s_ashr_i32 s1, s0, 31
	s_lshl_b64 s[0:1], s[0:1], 1
	s_add_u32 s0, s2, s0
	s_addc_u32 s1, s3, s1
	;;#ASMSTART
	v_cvt_f16_f32 v0, v9;

	;;#ASMEND
	global_store_short v16, v0, s[0:1]
	;;#ASMSTART
	v_cvt_f16_f32 v0, v1;

	;;#ASMEND
	global_store_short v16, v0, s[0:1] offset:128
.LBB75_63:
	s_endpgm
	.section	.rodata,"a",@progbits
	.p2align	6, 0x0
	.amdhsa_kernel _ZN4vllm25paged_attention_v2_kernelIttLi128ELi8ELi128ELNS_18Fp8KVCacheDataTypeE0ELb1ELi512EEEvPfS2_PT_PKS3_PKT0_S9_ifPKiSB_iPKfiiiSD_SD_iiiii
		.amdhsa_group_segment_fixed_size 272
		.amdhsa_private_segment_fixed_size 0
		.amdhsa_kernarg_size 400
		.amdhsa_user_sgpr_count 2
		.amdhsa_user_sgpr_dispatch_ptr 0
		.amdhsa_user_sgpr_queue_ptr 0
		.amdhsa_user_sgpr_kernarg_segment_ptr 1
		.amdhsa_user_sgpr_dispatch_id 0
		.amdhsa_user_sgpr_kernarg_preload_length 0
		.amdhsa_user_sgpr_kernarg_preload_offset 0
		.amdhsa_user_sgpr_private_segment_size 0
		.amdhsa_uses_dynamic_stack 0
		.amdhsa_enable_private_segment 0
		.amdhsa_system_sgpr_workgroup_id_x 1
		.amdhsa_system_sgpr_workgroup_id_y 1
		.amdhsa_system_sgpr_workgroup_id_z 1
		.amdhsa_system_sgpr_workgroup_info 0
		.amdhsa_system_vgpr_workitem_id 0
		.amdhsa_next_free_vgpr 55
		.amdhsa_next_free_sgpr 52
		.amdhsa_accum_offset 56
		.amdhsa_reserve_vcc 1
		.amdhsa_float_round_mode_32 0
		.amdhsa_float_round_mode_16_64 0
		.amdhsa_float_denorm_mode_32 3
		.amdhsa_float_denorm_mode_16_64 3
		.amdhsa_dx10_clamp 1
		.amdhsa_ieee_mode 1
		.amdhsa_fp16_overflow 0
		.amdhsa_tg_split 0
		.amdhsa_exception_fp_ieee_invalid_op 0
		.amdhsa_exception_fp_denorm_src 0
		.amdhsa_exception_fp_ieee_div_zero 0
		.amdhsa_exception_fp_ieee_overflow 0
		.amdhsa_exception_fp_ieee_underflow 0
		.amdhsa_exception_fp_ieee_inexact 0
		.amdhsa_exception_int_div_zero 0
	.end_amdhsa_kernel
	.section	.text._ZN4vllm25paged_attention_v2_kernelIttLi128ELi8ELi128ELNS_18Fp8KVCacheDataTypeE0ELb1ELi512EEEvPfS2_PT_PKS3_PKT0_S9_ifPKiSB_iPKfiiiSD_SD_iiiii,"axG",@progbits,_ZN4vllm25paged_attention_v2_kernelIttLi128ELi8ELi128ELNS_18Fp8KVCacheDataTypeE0ELb1ELi512EEEvPfS2_PT_PKS3_PKT0_S9_ifPKiSB_iPKfiiiSD_SD_iiiii,comdat
.Lfunc_end75:
	.size	_ZN4vllm25paged_attention_v2_kernelIttLi128ELi8ELi128ELNS_18Fp8KVCacheDataTypeE0ELb1ELi512EEEvPfS2_PT_PKS3_PKT0_S9_ifPKiSB_iPKfiiiSD_SD_iiiii, .Lfunc_end75-_ZN4vllm25paged_attention_v2_kernelIttLi128ELi8ELi128ELNS_18Fp8KVCacheDataTypeE0ELb1ELi512EEEvPfS2_PT_PKS3_PKT0_S9_ifPKiSB_iPKfiiiSD_SD_iiiii
                                        ; -- End function
	.section	.AMDGPU.csdata,"",@progbits
; Kernel info:
; codeLenInByte = 5276
; NumSgprs: 58
; NumVgprs: 55
; NumAgprs: 0
; TotalNumVgprs: 55
; ScratchSize: 0
; MemoryBound: 0
; FloatMode: 240
; IeeeMode: 1
; LDSByteSize: 272 bytes/workgroup (compile time only)
; SGPRBlocks: 7
; VGPRBlocks: 6
; NumSGPRsForWavesPerEU: 58
; NumVGPRsForWavesPerEU: 55
; AccumOffset: 56
; Occupancy: 8
; WaveLimiterHint : 1
; COMPUTE_PGM_RSRC2:SCRATCH_EN: 0
; COMPUTE_PGM_RSRC2:USER_SGPR: 2
; COMPUTE_PGM_RSRC2:TRAP_HANDLER: 0
; COMPUTE_PGM_RSRC2:TGID_X_EN: 1
; COMPUTE_PGM_RSRC2:TGID_Y_EN: 1
; COMPUTE_PGM_RSRC2:TGID_Z_EN: 1
; COMPUTE_PGM_RSRC2:TIDIG_COMP_CNT: 0
; COMPUTE_PGM_RSRC3_GFX90A:ACCUM_OFFSET: 13
; COMPUTE_PGM_RSRC3_GFX90A:TG_SPLIT: 0
	.section	.text._ZN4vllm32paged_attention_v2_reduce_kernelItLi128ELi128ELi512EEEvPT_PKfS4_PKS1_PKii,"axG",@progbits,_ZN4vllm32paged_attention_v2_reduce_kernelItLi128ELi128ELi512EEEvPT_PKfS4_PKS1_PKii,comdat
	.protected	_ZN4vllm32paged_attention_v2_reduce_kernelItLi128ELi128ELi512EEEvPT_PKfS4_PKS1_PKii ; -- Begin function _ZN4vllm32paged_attention_v2_reduce_kernelItLi128ELi128ELi512EEEvPT_PKfS4_PKS1_PKii
	.globl	_ZN4vllm32paged_attention_v2_reduce_kernelItLi128ELi128ELi512EEEvPT_PKfS4_PKS1_PKii
	.p2align	8
	.type	_ZN4vllm32paged_attention_v2_reduce_kernelItLi128ELi128ELi512EEEvPT_PKfS4_PKS1_PKii,@function
_ZN4vllm32paged_attention_v2_reduce_kernelItLi128ELi128ELi512EEEvPT_PKfS4_PKS1_PKii: ; @_ZN4vllm32paged_attention_v2_reduce_kernelItLi128ELi128ELi512EEEvPT_PKfS4_PKS1_PKii
; %bb.0:
	s_load_dwordx4 s[8:11], s[0:1], 0x18
	s_add_u32 s6, s0, 48
	s_mov_b32 s12, s3
	s_addc_u32 s7, s1, 0
	s_ashr_i32 s13, s3, 31
	s_lshl_b64 s[4:5], s[12:13], 2
	s_waitcnt lgkmcnt(0)
	s_add_u32 s4, s10, s4
	s_addc_u32 s5, s11, s5
	s_load_dword s26, s[4:5], 0x0
	s_load_dwordx2 s[10:11], s[0:1], 0x0
	s_load_dword s3, s[0:1], 0x28
	s_load_dword s13, s[0:1], 0x30
	s_waitcnt lgkmcnt(0)
	s_add_i32 s4, s26, -1
	s_cmpk_gt_u32 s4, 0x1ff
	s_mov_b64 s[4:5], -1
	s_cbranch_scc0 .LBB76_25
; %bb.1:
	s_add_i32 s4, s26, 0x1ff
	s_load_dwordx2 s[18:19], s[0:1], 0x8
	s_ashr_i32 s5, s4, 31
	s_lshr_b32 s5, s5, 23
	s_add_i32 s4, s4, s5
	s_mul_i32 s24, s13, s12
	s_ashr_i32 s25, s4, 9
	s_mul_i32 s14, s24, s3
	s_mul_i32 s16, s2, s3
	s_ashr_i32 s15, s14, 31
	s_ashr_i32 s17, s16, 31
	v_cmp_gt_i32_e32 vcc, s25, v0
	v_mov_b32_e32 v6, 0xff7fffff
	v_lshlrev_b32_e32 v2, 2, v0
	s_and_saveexec_b64 s[4:5], vcc
	s_cbranch_execz .LBB76_5
; %bb.2:
	s_load_dword s20, s[6:7], 0xc
	s_load_dwordx2 s[22:23], s[0:1], 0x10
	s_lshl_b64 s[0:1], s[14:15], 2
	s_lshl_b64 s[28:29], s[16:17], 2
	v_mov_b32_e32 v3, 0
	s_waitcnt lgkmcnt(0)
	s_and_b32 s27, s20, 0xffff
	s_add_u32 s0, s0, s28
	s_addc_u32 s1, s1, s29
	s_add_u32 s0, s22, s0
	s_addc_u32 s1, s23, s1
	s_mov_b32 s21, 0
	v_lshl_add_u64 v[4:5], s[0:1], 0, v[2:3]
	s_lshl_b32 s20, s27, 2
	v_add_u32_e32 v1, 16, v2
	s_mov_b64 s[22:23], 0
	v_mov_b32_e32 v6, 0xff7fffff
	v_mov_b32_e32 v3, v0
.LBB76_3:                               ; =>This Inner Loop Header: Depth=1
	global_load_dword v7, v[4:5], off
	v_add_u32_e32 v3, s27, v3
	v_max_f32_e32 v6, v6, v6
	v_cmp_le_i32_e64 s[0:1], s25, v3
	v_lshl_add_u64 v[4:5], v[4:5], 0, s[20:21]
	s_or_b64 s[22:23], s[0:1], s[22:23]
	s_waitcnt vmcnt(0)
	ds_write_b32 v1, v7
	v_max_f32_e32 v7, v7, v7
	v_add_u32_e32 v1, s20, v1
	v_max_f32_e32 v6, v6, v7
	s_andn2_b64 exec, exec, s[22:23]
	s_cbranch_execnz .LBB76_3
; %bb.4:
	s_or_b64 exec, exec, s[22:23]
.LBB76_5:
	s_or_b64 exec, exec, s[4:5]
	v_mbcnt_lo_u32_b32 v1, -1, 0
	v_mbcnt_hi_u32_b32 v3, -1, v1
	v_and_b32_e32 v1, 64, v3
	v_add_u32_e32 v7, 64, v1
	v_xor_b32_e32 v1, 32, v3
	v_cmp_lt_i32_e64 s[0:1], v1, v7
	v_max_f32_e32 v5, v6, v6
	v_xor_b32_e32 v8, 8, v3
	v_cndmask_b32_e64 v1, v3, v1, s[0:1]
	v_lshlrev_b32_e32 v1, 2, v1
	ds_bpermute_b32 v4, v1, v6
	v_xor_b32_e32 v6, 16, v3
	v_cmp_lt_i32_e64 s[0:1], v6, v7
	v_xor_b32_e32 v9, 4, v3
	v_xor_b32_e32 v10, 2, v3
	s_waitcnt lgkmcnt(0)
	v_max_f32_e32 v4, v4, v4
	v_max_f32_e32 v4, v5, v4
	v_cndmask_b32_e64 v5, v3, v6, s[0:1]
	v_lshlrev_b32_e32 v6, 2, v5
	ds_bpermute_b32 v5, v6, v4
	v_cmp_lt_i32_e64 s[0:1], v8, v7
	v_lshrrev_b32_e32 v13, 6, v0
	s_waitcnt lgkmcnt(0)
	s_barrier
	v_max_f32_e32 v5, v5, v5
	v_max_f32_e32 v4, v4, v5
	v_cndmask_b32_e64 v5, v3, v8, s[0:1]
	v_lshlrev_b32_e32 v8, 2, v5
	ds_bpermute_b32 v5, v8, v4
	v_cmp_lt_i32_e64 s[0:1], v9, v7
	s_waitcnt lgkmcnt(0)
	v_max_f32_e32 v5, v5, v5
	v_max_f32_e32 v4, v4, v5
	v_cndmask_b32_e64 v5, v3, v9, s[0:1]
	v_lshlrev_b32_e32 v9, 2, v5
	ds_bpermute_b32 v5, v9, v4
	v_cmp_lt_i32_e64 s[0:1], v10, v7
	s_waitcnt lgkmcnt(0)
	v_max_f32_e32 v5, v5, v5
	v_max_f32_e32 v5, v4, v5
	v_cndmask_b32_e64 v4, v3, v10, s[0:1]
	v_lshlrev_b32_e32 v10, 2, v4
	ds_bpermute_b32 v11, v10, v5
	v_and_b32_e32 v4, 63, v0
	s_waitcnt lgkmcnt(0)
	v_max_f32_e32 v11, v11, v11
	v_max_f32_e32 v5, v5, v11
	v_xor_b32_e32 v11, 1, v3
	v_cmp_lt_i32_e64 s[0:1], v11, v7
	s_nop 1
	v_cndmask_b32_e64 v7, v3, v11, s[0:1]
	v_lshlrev_b32_e32 v7, 2, v7
	ds_bpermute_b32 v12, v7, v5
	v_cmp_eq_u32_e64 s[0:1], 0, v4
	v_lshlrev_b32_e32 v11, 2, v13
	s_and_saveexec_b64 s[4:5], s[0:1]
	s_cbranch_execz .LBB76_7
; %bb.6:
	s_waitcnt lgkmcnt(0)
	v_max_f32_e32 v12, v12, v12
	v_max_f32_e32 v5, v5, v5
	;; [unrolled: 1-line block ×3, first 2 shown]
	ds_write_b32 v11, v5
.LBB76_7:
	s_or_b64 exec, exec, s[4:5]
	v_cmp_gt_u32_e64 s[4:5], 2, v4
	v_mov_b32_e32 v5, 0xff7fffff
	s_waitcnt lgkmcnt(0)
	v_lshlrev_b32_e32 v12, 2, v4
	s_barrier
	s_and_saveexec_b64 s[20:21], s[4:5]
	s_cbranch_execz .LBB76_9
; %bb.8:
	ds_read_b32 v5, v12
.LBB76_9:
	s_or_b64 exec, exec, s[20:21]
	s_waitcnt lgkmcnt(0)
	ds_bpermute_b32 v4, v7, v5
	v_max_f32_e32 v5, v5, v5
	v_lshlrev_b32_e32 v3, 2, v3
	v_and_b32_e32 v13, 0x100, v3
	s_lshl_b32 s27, s25, 2
	s_waitcnt lgkmcnt(0)
	v_max_f32_e32 v4, v4, v4
	v_max_f32_e32 v4, v5, v4
	ds_bpermute_b32 v14, v13, v4
	v_mov_b32_e32 v3, 0
	s_and_saveexec_b64 s[20:21], vcc
	s_cbranch_execz .LBB76_13
; %bb.10:
	s_load_dword s22, s[6:7], 0xc
	s_lshl_b64 s[28:29], s[14:15], 2
	s_lshl_b64 s[30:31], s[16:17], 2
	v_mov_b32_e32 v3, 0
	s_mov_b32 s23, 0
	s_waitcnt lgkmcnt(0)
	s_and_b32 s15, s22, 0xffff
	s_add_u32 s17, s28, s30
	s_addc_u32 s22, s29, s31
	s_add_u32 s18, s18, s17
	s_addc_u32 s19, s19, s22
	v_lshl_add_u64 v[4:5], s[18:19], 0, v[2:3]
	s_lshl_b32 s22, s15, 2
	v_add_u32_e32 v2, 16, v2
	s_mov_b64 s[18:19], 0
	s_mov_b32 s17, 0x3fb8aa3b
	s_mov_b32 s28, 0xc2ce8ed0
	;; [unrolled: 1-line block ×3, first 2 shown]
	v_mov_b32_e32 v15, 0x7f800000
	v_mov_b32_e32 v16, v0
.LBB76_11:                              ; =>This Inner Loop Header: Depth=1
	global_load_dword v17, v[4:5], off
	ds_read_b32 v18, v2
	v_add_u32_e32 v16, s15, v16
	v_cmp_le_i32_e32 vcc, s25, v16
	s_or_b64 s[18:19], vcc, s[18:19]
	v_add_u32_e32 v19, s27, v2
	s_waitcnt lgkmcnt(0)
	v_sub_f32_e32 v18, v18, v14
	v_mul_f32_e32 v20, 0x3fb8aa3b, v18
	v_fma_f32 v21, v18, s17, -v20
	v_rndne_f32_e32 v22, v20
	v_fmac_f32_e32 v21, 0x32a5705f, v18
	v_sub_f32_e32 v20, v20, v22
	v_add_f32_e32 v20, v20, v21
	v_cvt_i32_f32_e32 v22, v22
	v_exp_f32_e32 v20, v20
	v_cmp_ngt_f32_e32 vcc, s28, v18
	v_lshl_add_u64 v[4:5], v[4:5], 0, s[22:23]
	v_add_u32_e32 v2, s22, v2
	v_ldexp_f32 v20, v20, v22
	v_cndmask_b32_e32 v20, 0, v20, vcc
	v_cmp_nlt_f32_e32 vcc, s29, v18
	s_nop 1
	v_cndmask_b32_e32 v18, v15, v20, vcc
	s_waitcnt vmcnt(0)
	v_mul_f32_e32 v20, v17, v18
	v_fmac_f32_e32 v3, v17, v18
	ds_write_b32 v19, v20
	s_andn2_b64 exec, exec, s[18:19]
	s_cbranch_execnz .LBB76_11
; %bb.12:
	s_or_b64 exec, exec, s[18:19]
.LBB76_13:
	s_or_b64 exec, exec, s[20:21]
	ds_bpermute_b32 v1, v1, v3
	s_waitcnt lgkmcnt(0)
	s_barrier
	v_add_f32_e32 v1, v3, v1
	ds_bpermute_b32 v2, v6, v1
	s_waitcnt lgkmcnt(0)
	v_add_f32_e32 v1, v1, v2
	ds_bpermute_b32 v2, v8, v1
	s_waitcnt lgkmcnt(0)
	;; [unrolled: 3-line block ×5, first 2 shown]
	v_add_f32_e32 v1, v1, v2
	s_and_saveexec_b64 s[18:19], s[0:1]
	s_cbranch_execz .LBB76_15
; %bb.14:
	ds_write_b32 v11, v1 offset:8
.LBB76_15:
	s_or_b64 exec, exec, s[18:19]
	s_waitcnt lgkmcnt(0)
	s_barrier
	s_and_saveexec_b64 s[0:1], s[4:5]
	s_cbranch_execz .LBB76_17
; %bb.16:
	ds_read_b32 v1, v12 offset:8
.LBB76_17:
	s_or_b64 exec, exec, s[0:1]
	s_waitcnt lgkmcnt(0)
	ds_bpermute_b32 v2, v7, v1
	s_movk_i32 s0, 0x80
	v_cmp_gt_u32_e32 vcc, s0, v0
	s_waitcnt lgkmcnt(0)
	v_add_f32_e32 v1, v1, v2
	ds_bpermute_b32 v2, v13, v1
	s_and_saveexec_b64 s[0:1], vcc
	s_cbranch_execz .LBB76_24
; %bb.18:
	s_cmp_gt_i32 s26, 0
	s_mov_b32 s15, 0
	s_cbranch_scc1 .LBB76_20
; %bb.19:
	v_mov_b32_e32 v1, 0
	v_mov_b32_e32 v4, s15
	s_cbranch_execz .LBB76_21
	s_branch .LBB76_23
.LBB76_20:
                                        ; implicit-def: $sgpr15
	v_mov_b32_e32 v4, s15
.LBB76_21:
	s_waitcnt lgkmcnt(0)
	v_add_f32_e32 v1, 0x358637bd, v2
	v_div_scale_f32 v2, s[4:5], v1, v1, 1.0
	v_rcp_f32_e32 v3, v2
	s_lshl_b32 s4, s14, 7
	s_lshl_b32 s16, s16, 7
	s_ashr_i32 s5, s4, 31
	v_fma_f32 v4, -v2, v3, 1.0
	v_fmac_f32_e32 v3, v4, v3
	v_div_scale_f32 v4, vcc, 1.0, v1, 1.0
	v_mul_f32_e32 v5, v4, v3
	v_fma_f32 v6, -v2, v5, v4
	s_ashr_i32 s17, s16, 31
	s_max_i32 s15, s25, 1
	v_fmac_f32_e32 v5, v6, v3
	s_add_i32 s14, s27, 16
	s_lshl_b64 s[4:5], s[4:5], 1
	s_lshl_b64 s[16:17], s[16:17], 1
	v_fma_f32 v2, -v2, v5, v4
	s_add_u32 s4, s4, s16
	v_div_fmas_f32 v2, v2, v3, v5
	s_addc_u32 s5, s5, s17
	v_div_fixup_f32 v5, v2, v1, 1.0
	v_mov_b32_e32 v1, 0
	s_add_u32 s4, s8, s4
	v_lshlrev_b32_e32 v2, 1, v0
	v_mov_b32_e32 v3, v1
	s_addc_u32 s5, s9, s5
	v_lshl_add_u64 v[2:3], s[4:5], 0, v[2:3]
	s_mov_b64 s[4:5], 0x100
	v_mov_b32_e32 v4, v1
.LBB76_22:                              ; =>This Inner Loop Header: Depth=1
	global_load_ushort v6, v[2:3], off
	v_mov_b32_e32 v7, s14
	s_waitcnt vmcnt(0)
	;;#ASMSTART
	v_cvt_f32_f16 v6, v6;
	;;#ASMEND
	ds_read_b32 v7, v7
	s_add_i32 s15, s15, -1
	s_add_i32 s14, s14, 4
	v_lshl_add_u64 v[2:3], v[2:3], 0, s[4:5]
	s_cmp_eq_u32 s15, 0
	s_waitcnt lgkmcnt(0)
	v_mul_f32_e32 v6, v6, v7
	v_fmac_f32_e32 v4, v5, v6
	s_cbranch_scc0 .LBB76_22
.LBB76_23:
	s_lshl_b32 s4, s24, 7
	s_ashr_i32 s5, s4, 31
	s_lshl_b64 s[4:5], s[4:5], 1
	s_add_u32 s14, s10, s4
	s_addc_u32 s15, s11, s5
	s_lshl_b32 s4, s2, 7
	s_ashr_i32 s5, s4, 31
	s_lshl_b64 s[4:5], s[4:5], 1
	s_add_u32 s4, s14, s4
	s_addc_u32 s5, s15, s5
	s_waitcnt lgkmcnt(0)
	v_lshl_add_u64 v[2:3], v[0:1], 1, s[4:5]
	;;#ASMSTART
	v_cvt_f16_f32 v1, v4;

	;;#ASMEND
	global_store_short v[2:3], v1, off
.LBB76_24:
	s_or_b64 exec, exec, s[0:1]
	s_mov_b64 s[4:5], 0
.LBB76_25:
	s_and_b64 vcc, exec, s[4:5]
	s_cbranch_vccz .LBB76_34
; %bb.26:
	s_movk_i32 s0, 0x80
	v_cmp_gt_u32_e32 vcc, s0, v0
	s_and_saveexec_b64 s[4:5], vcc
	s_cbranch_execz .LBB76_34
; %bb.27:
	s_mul_i32 s13, s13, s12
	s_lshl_b32 s4, s13, 7
	s_ashr_i32 s5, s4, 31
	s_lshl_b64 s[4:5], s[4:5], 1
	s_add_u32 s1, s10, s4
	s_addc_u32 s10, s11, s5
	s_lshl_b32 s4, s2, 7
	s_ashr_i32 s5, s4, 31
	s_lshl_b64 s[4:5], s[4:5], 1
	s_add_u32 s4, s1, s4
	s_mul_i32 s1, s3, s13
	s_addc_u32 s5, s10, s5
	s_lshl_b32 s10, s1, 7
	s_ashr_i32 s11, s10, 31
	s_lshl_b64 s[10:11], s[10:11], 1
	s_add_u32 s1, s8, s10
	s_mul_i32 s2, s2, s3
	s_load_dword s6, s[6:7], 0xc
	s_addc_u32 s8, s9, s11
	s_lshl_b32 s2, s2, 7
	s_ashr_i32 s3, s2, 31
	s_lshl_b64 s[2:3], s[2:3], 1
	s_add_u32 s2, s1, s2
	s_addc_u32 s3, s8, s3
	s_waitcnt lgkmcnt(0)
	s_and_b32 s8, s6, 0xffff
	v_cvt_f32_u32_e32 v1, s8
	v_add_u32_e32 v2, s8, v0
	v_mov_b32_e32 v4, s8
	v_cmp_gt_u32_e32 vcc, s0, v2
	v_rcp_iflag_f32_e32 v1, v1
	s_cmp_eq_u32 s8, 1
	v_max_u32_e32 v3, 0x80, v2
	v_addc_co_u32_e64 v2, s[0:1], v0, v4, vcc
	v_mul_f32_e32 v1, 0x4f7ffffe, v1
	v_cvt_u32_f32_e32 v1, v1
	s_cselect_b64 s[6:7], -1, 0
	s_sub_i32 s0, 0, s8
	v_sub_u32_e32 v2, v3, v2
	v_mul_lo_u32 v3, s0, v1
	v_mul_hi_u32 v3, v1, v3
	v_add_u32_e32 v1, v1, v3
	v_mul_hi_u32 v1, v2, v1
	v_mul_lo_u32 v3, v1, s8
	v_sub_u32_e32 v2, v2, v3
	v_add_u32_e32 v3, 1, v1
	v_cmp_le_u32_e64 s[0:1], s8, v2
	s_nop 1
	v_cndmask_b32_e64 v1, v1, v3, s[0:1]
	v_subrev_u32_e32 v3, s8, v2
	v_cndmask_b32_e64 v2, v2, v3, s[0:1]
	v_add_u32_e32 v3, 1, v1
	v_cmp_le_u32_e64 s[0:1], s8, v2
	s_nop 1
	v_cndmask_b32_e64 v1, v1, v3, s[0:1]
	v_addc_co_u32_e32 v1, vcc, 1, v1, vcc
	v_cmp_lt_u32_e32 vcc, 7, v1
	s_and_b64 s[10:11], vcc, s[6:7]
	s_mov_b64 s[6:7], -1
	s_and_saveexec_b64 s[0:1], s[10:11]
	s_cbranch_execz .LBB76_31
; %bb.28:
	v_and_b32_e32 v4, -8, v1
	s_mov_b64 s[6:7], 0
	v_mov_b32_e32 v3, 0
	v_mov_b32_e32 v2, v0
	;; [unrolled: 1-line block ×3, first 2 shown]
.LBB76_29:                              ; =>This Inner Loop Header: Depth=1
	v_lshlrev_b64 v[10:11], 1, v[2:3]
	v_lshl_add_u64 v[6:7], s[2:3], 0, v[10:11]
	global_load_dwordx4 v[6:9], v[6:7], off
	v_add_u32_e32 v5, -8, v5
	v_cmp_eq_u32_e32 vcc, 0, v5
	v_add_u32_e32 v2, 8, v2
	v_lshl_add_u64 v[10:11], s[4:5], 0, v[10:11]
	s_or_b64 s[6:7], vcc, s[6:7]
	s_waitcnt vmcnt(0)
	global_store_dwordx4 v[10:11], v[6:9], off
	s_andn2_b64 exec, exec, s[6:7]
	s_cbranch_execnz .LBB76_29
; %bb.30:
	s_or_b64 exec, exec, s[6:7]
	v_cmp_ne_u32_e32 vcc, v1, v4
	v_add_u32_e32 v0, v0, v4
	s_orn2_b64 s[6:7], vcc, exec
.LBB76_31:
	s_or_b64 exec, exec, s[0:1]
	s_and_b64 exec, exec, s[6:7]
	s_cbranch_execz .LBB76_34
; %bb.32:
	v_mov_b32_e32 v1, 0
	s_mov_b32 s1, 0
	v_lshlrev_b64 v[2:3], 1, v[0:1]
	s_lshl_b32 s0, s8, 1
	s_mov_b64 s[6:7], 0
	s_movk_i32 s9, 0x7f
.LBB76_33:                              ; =>This Inner Loop Header: Depth=1
	v_lshl_add_u64 v[4:5], s[2:3], 0, v[2:3]
	global_load_ushort v1, v[4:5], off
	v_add_u32_e32 v0, s8, v0
	v_cmp_lt_u32_e32 vcc, s9, v0
	v_lshl_add_u64 v[4:5], s[4:5], 0, v[2:3]
	v_lshl_add_u64 v[2:3], v[2:3], 0, s[0:1]
	s_or_b64 s[6:7], vcc, s[6:7]
	s_waitcnt vmcnt(0)
	global_store_short v[4:5], v1, off
	s_andn2_b64 exec, exec, s[6:7]
	s_cbranch_execnz .LBB76_33
.LBB76_34:
	s_endpgm
	.section	.rodata,"a",@progbits
	.p2align	6, 0x0
	.amdhsa_kernel _ZN4vllm32paged_attention_v2_reduce_kernelItLi128ELi128ELi512EEEvPT_PKfS4_PKS1_PKii
		.amdhsa_group_segment_fixed_size 16
		.amdhsa_private_segment_fixed_size 0
		.amdhsa_kernarg_size 304
		.amdhsa_user_sgpr_count 2
		.amdhsa_user_sgpr_dispatch_ptr 0
		.amdhsa_user_sgpr_queue_ptr 0
		.amdhsa_user_sgpr_kernarg_segment_ptr 1
		.amdhsa_user_sgpr_dispatch_id 0
		.amdhsa_user_sgpr_kernarg_preload_length 0
		.amdhsa_user_sgpr_kernarg_preload_offset 0
		.amdhsa_user_sgpr_private_segment_size 0
		.amdhsa_uses_dynamic_stack 0
		.amdhsa_enable_private_segment 0
		.amdhsa_system_sgpr_workgroup_id_x 1
		.amdhsa_system_sgpr_workgroup_id_y 1
		.amdhsa_system_sgpr_workgroup_id_z 0
		.amdhsa_system_sgpr_workgroup_info 0
		.amdhsa_system_vgpr_workitem_id 0
		.amdhsa_next_free_vgpr 23
		.amdhsa_next_free_sgpr 32
		.amdhsa_accum_offset 24
		.amdhsa_reserve_vcc 1
		.amdhsa_float_round_mode_32 0
		.amdhsa_float_round_mode_16_64 0
		.amdhsa_float_denorm_mode_32 3
		.amdhsa_float_denorm_mode_16_64 3
		.amdhsa_dx10_clamp 1
		.amdhsa_ieee_mode 1
		.amdhsa_fp16_overflow 0
		.amdhsa_tg_split 0
		.amdhsa_exception_fp_ieee_invalid_op 0
		.amdhsa_exception_fp_denorm_src 0
		.amdhsa_exception_fp_ieee_div_zero 0
		.amdhsa_exception_fp_ieee_overflow 0
		.amdhsa_exception_fp_ieee_underflow 0
		.amdhsa_exception_fp_ieee_inexact 0
		.amdhsa_exception_int_div_zero 0
	.end_amdhsa_kernel
	.section	.text._ZN4vllm32paged_attention_v2_reduce_kernelItLi128ELi128ELi512EEEvPT_PKfS4_PKS1_PKii,"axG",@progbits,_ZN4vllm32paged_attention_v2_reduce_kernelItLi128ELi128ELi512EEEvPT_PKfS4_PKS1_PKii,comdat
.Lfunc_end76:
	.size	_ZN4vllm32paged_attention_v2_reduce_kernelItLi128ELi128ELi512EEEvPT_PKfS4_PKS1_PKii, .Lfunc_end76-_ZN4vllm32paged_attention_v2_reduce_kernelItLi128ELi128ELi512EEEvPT_PKfS4_PKS1_PKii
                                        ; -- End function
	.section	.AMDGPU.csdata,"",@progbits
; Kernel info:
; codeLenInByte = 2128
; NumSgprs: 38
; NumVgprs: 23
; NumAgprs: 0
; TotalNumVgprs: 23
; ScratchSize: 0
; MemoryBound: 0
; FloatMode: 240
; IeeeMode: 1
; LDSByteSize: 16 bytes/workgroup (compile time only)
; SGPRBlocks: 4
; VGPRBlocks: 2
; NumSGPRsForWavesPerEU: 38
; NumVGPRsForWavesPerEU: 23
; AccumOffset: 24
; Occupancy: 8
; WaveLimiterHint : 0
; COMPUTE_PGM_RSRC2:SCRATCH_EN: 0
; COMPUTE_PGM_RSRC2:USER_SGPR: 2
; COMPUTE_PGM_RSRC2:TRAP_HANDLER: 0
; COMPUTE_PGM_RSRC2:TGID_X_EN: 1
; COMPUTE_PGM_RSRC2:TGID_Y_EN: 1
; COMPUTE_PGM_RSRC2:TGID_Z_EN: 0
; COMPUTE_PGM_RSRC2:TIDIG_COMP_CNT: 0
; COMPUTE_PGM_RSRC3_GFX90A:ACCUM_OFFSET: 5
; COMPUTE_PGM_RSRC3_GFX90A:TG_SPLIT: 0
	.section	.text._ZN4vllm25paged_attention_v2_kernelIttLi192ELi8ELi128ELNS_18Fp8KVCacheDataTypeE0ELb1ELi512EEEvPfS2_PT_PKS3_PKT0_S9_ifPKiSB_iPKfiiiSD_SD_iiiii,"axG",@progbits,_ZN4vllm25paged_attention_v2_kernelIttLi192ELi8ELi128ELNS_18Fp8KVCacheDataTypeE0ELb1ELi512EEEvPfS2_PT_PKS3_PKT0_S9_ifPKiSB_iPKfiiiSD_SD_iiiii,comdat
	.protected	_ZN4vllm25paged_attention_v2_kernelIttLi192ELi8ELi128ELNS_18Fp8KVCacheDataTypeE0ELb1ELi512EEEvPfS2_PT_PKS3_PKT0_S9_ifPKiSB_iPKfiiiSD_SD_iiiii ; -- Begin function _ZN4vllm25paged_attention_v2_kernelIttLi192ELi8ELi128ELNS_18Fp8KVCacheDataTypeE0ELb1ELi512EEEvPfS2_PT_PKS3_PKT0_S9_ifPKiSB_iPKfiiiSD_SD_iiiii
	.globl	_ZN4vllm25paged_attention_v2_kernelIttLi192ELi8ELi128ELNS_18Fp8KVCacheDataTypeE0ELb1ELi512EEEvPfS2_PT_PKS3_PKT0_S9_ifPKiSB_iPKfiiiSD_SD_iiiii
	.p2align	8
	.type	_ZN4vllm25paged_attention_v2_kernelIttLi192ELi8ELi128ELNS_18Fp8KVCacheDataTypeE0ELb1ELi512EEEvPfS2_PT_PKS3_PKT0_S9_ifPKiSB_iPKfiiiSD_SD_iiiii,@function
_ZN4vllm25paged_attention_v2_kernelIttLi192ELi8ELi128ELNS_18Fp8KVCacheDataTypeE0ELb1ELi512EEEvPfS2_PT_PKS3_PKT0_S9_ifPKiSB_iPKfiiiSD_SD_iiiii: ; @_ZN4vllm25paged_attention_v2_kernelIttLi192ELi8ELi128ELNS_18Fp8KVCacheDataTypeE0ELb1ELi512EEEvPfS2_PT_PKS3_PKT0_S9_ifPKiSB_iPKfiiiSD_SD_iiiii
; %bb.0:
	s_load_dwordx2 s[6:7], s[0:1], 0x40
	s_mov_b32 s36, s3
	s_ashr_i32 s37, s3, 31
	s_lshl_b64 s[8:9], s[36:37], 2
	s_waitcnt lgkmcnt(0)
	s_add_u32 s6, s6, s8
	s_addc_u32 s7, s7, s9
	s_load_dword s37, s[6:7], 0x0
	s_lshl_b32 s49, s4, 9
	s_waitcnt lgkmcnt(0)
	s_cmp_ge_i32 s49, s37
	s_cbranch_scc1 .LBB77_65
; %bb.1:
	s_load_dword s5, s[0:1], 0x90
	s_load_dwordx2 s[40:41], s[0:1], 0x30
	s_waitcnt lgkmcnt(0)
	s_abs_i32 s7, s5
	s_abs_i32 s3, s40
	v_cvt_f32_u32_e32 v1, s3
	s_sub_i32 s8, 0, s3
	s_xor_b32 s6, s5, s40
	s_ashr_i32 s6, s6, 31
	v_rcp_iflag_f32_e32 v1, v1
	s_nop 0
	v_mul_f32_e32 v1, 0x4f7ffffe, v1
	v_cvt_u32_f32_e32 v1, v1
	s_nop 0
	v_readfirstlane_b32 s9, v1
	s_mul_i32 s8, s8, s9
	s_mul_hi_u32 s8, s9, s8
	s_add_i32 s9, s9, s8
	s_mul_hi_u32 s8, s7, s9
	s_mul_i32 s9, s8, s3
	s_sub_i32 s7, s7, s9
	s_add_i32 s10, s8, 1
	s_sub_i32 s9, s7, s3
	s_cmp_ge_u32 s7, s3
	s_cselect_b32 s8, s10, s8
	s_cselect_b32 s7, s9, s7
	s_add_i32 s9, s8, 1
	s_cmp_ge_u32 s7, s3
	s_cselect_b32 s3, s9, s8
	s_xor_b32 s3, s3, s6
	s_sub_i32 s24, s3, s6
	s_abs_i32 s38, s24
	v_cvt_f32_u32_e32 v1, s38
	s_load_dwordx2 s[6:7], s[0:1], 0x50
	s_sub_i32 s3, 0, s38
	s_abs_i32 s25, s2
	v_rcp_iflag_f32_e32 v1, v1
	s_nop 0
	v_mul_f32_e32 v1, 0x4f7ffffe, v1
	v_cvt_u32_f32_e32 v1, v1
	s_nop 0
	v_readfirstlane_b32 s8, v1
	s_mul_i32 s3, s3, s8
	s_mul_hi_u32 s3, s8, s3
	s_add_i32 s8, s8, s3
	s_waitcnt lgkmcnt(0)
	s_cmp_eq_u64 s[6:7], 0
	s_mov_b32 s3, 0
	s_cbranch_scc1 .LBB77_3
; %bb.2:
	s_ashr_i32 s3, s2, 31
	s_lshl_b64 s[10:11], s[2:3], 2
	s_add_u32 s6, s6, s10
	s_addc_u32 s7, s7, s11
	s_load_dword s3, s[6:7], 0x0
.LBB77_3:
	s_load_dwordx4 s[20:23], s[0:1], 0x0
	s_load_dwordx2 s[28:29], s[0:1], 0x10
	s_load_dwordx4 s[12:15], s[0:1], 0x20
	s_load_dwordx2 s[34:35], s[0:1], 0x38
	s_load_dword s33, s[0:1], 0x98
	s_load_dwordx4 s[16:19], s[0:1], 0x58
	v_and_b32_e32 v11, 7, v0
	s_movk_i32 s6, 0xc0
	s_mul_i32 s30, s2, 0xc0
	s_mul_hi_u32 s26, s25, s8
	s_ashr_i32 s31, s30, 31
	v_cmp_gt_u32_e32 vcc, s6, v0
	v_lshlrev_b32_e32 v2, 1, v11
	s_and_saveexec_b64 s[6:7], vcc
	s_cbranch_execz .LBB77_6
; %bb.4:
	s_load_dwordx2 s[8:9], s[0:1], 0x18
	s_waitcnt lgkmcnt(0)
	s_mul_i32 s10, s36, s16
	s_ashr_i32 s11, s10, 31
	s_lshl_b64 s[10:11], s[10:11], 1
	s_lshl_b64 s[42:43], s[30:31], 1
	s_add_u32 s10, s10, s42
	s_addc_u32 s11, s11, s43
	v_lshrrev_b32_e32 v4, 3, v0
	s_add_u32 s8, s8, s10
	v_add_u32_e32 v1, -16, v4
	v_lshlrev_b32_e32 v3, 1, v4
	v_lshl_or_b32 v4, v4, 4, v2
	v_mov_b32_e32 v5, 0
	s_addc_u32 s9, s9, s11
	v_mad_u32_u24 v3, v11, 48, v3
	v_lshl_add_u64 v[4:5], s[8:9], 0, v[4:5]
	s_mov_b64 s[8:9], 0
	s_mov_b64 s[10:11], 0x100
.LBB77_5:                               ; =>This Inner Loop Header: Depth=1
	global_load_ushort v6, v[4:5], off
	v_add_u32_e32 v1, 16, v1
	v_cmp_lt_u32_e32 vcc, 7, v1
	v_lshl_add_u64 v[4:5], v[4:5], 0, s[10:11]
	s_or_b64 s[8:9], vcc, s[8:9]
	s_waitcnt vmcnt(0)
	ds_write_b16 v3, v6
	v_add_u32_e32 v3, 32, v3
	s_andn2_b64 exec, exec, s[8:9]
	s_cbranch_execnz .LBB77_5
.LBB77_6:
	s_or_b64 exec, exec, s[6:7]
	s_ashr_i32 s6, s2, 31
	s_ashr_i32 s7, s24, 31
	s_xor_b32 s6, s6, s7
	s_mul_i32 s7, s26, s38
	s_sub_i32 s7, s25, s7
	s_add_i32 s8, s26, 1
	s_sub_i32 s9, s7, s38
	s_cmp_ge_u32 s7, s38
	s_cselect_b32 s8, s8, s26
	s_load_dwordx4 s[24:27], s[0:1], 0x78
	s_cselect_b32 s7, s9, s7
	s_add_i32 s9, s8, 1
	s_cmp_ge_u32 s7, s38
	s_cselect_b32 s7, s9, s8
	s_load_dword s9, s[0:1], 0x88
	s_waitcnt lgkmcnt(0)
	s_abs_i32 s16, s27
	v_cvt_f32_u32_e32 v1, s16
	s_xor_b32 s7, s7, s6
	s_sub_i32 s8, s7, s6
	s_sub_i32 s6, 0, s16
	v_rcp_iflag_f32_e32 v1, v1
	s_add_i32 s19, s37, -1
	s_abs_i32 s10, s19
	v_mul_f32_e32 v1, 0x4f7ffffe, v1
	v_cvt_u32_f32_e32 v1, v1
	s_barrier
	v_readfirstlane_b32 s31, v1
	s_mul_i32 s6, s6, s31
	s_mul_hi_u32 s6, s31, s6
	s_add_i32 s31, s31, s6
	s_cmp_lt_i32 s9, 0
	s_mul_hi_u32 s11, s10, s31
	s_cbranch_scc0 .LBB77_8
; %bb.7:
	s_mul_i32 s6, s24, s40
	s_add_i32 s6, s8, s6
	s_mul_i32 s6, s6, s9
	s_sub_i32 s46, 1, s6
	s_ashr_i32 s19, s19, 31
	s_ashr_i32 s27, s27, 31
	s_cbranch_execz .LBB77_9
	s_branch .LBB77_10
.LBB77_8:
                                        ; implicit-def: $sgpr46
	s_ashr_i32 s19, s19, 31
	s_ashr_i32 s27, s27, 31
.LBB77_9:
	s_mul_i32 s6, s5, s24
	s_add_i32 s6, s6, s2
	s_mul_i32 s6, s6, s9
	s_add_i32 s46, s6, 1
.LBB77_10:
	s_load_dword s0, s[0:1], 0x48
	s_mul_i32 s6, s11, s16
	s_sub_i32 s6, s10, s6
	s_xor_b32 s1, s19, s27
	s_add_i32 s7, s11, 1
	s_waitcnt lgkmcnt(0)
	s_mul_i32 s38, s36, s0
	s_ashr_i32 s39, s38, 31
	s_sub_i32 s0, s6, s16
	s_cmp_ge_u32 s6, s16
	s_cselect_b32 s7, s7, s11
	s_cselect_b32 s0, s0, s6
	s_add_i32 s6, s7, 1
	s_cmp_ge_u32 s0, s16
	s_cselect_b32 s0, s6, s7
	s_xor_b32 s0, s0, s1
	s_sub_i32 s48, s0, s1
	s_add_i32 s0, s37, 7
	s_ashr_i32 s1, s0, 31
	s_lshr_b32 s1, s1, 29
	s_add_i32 s0, s0, s1
	s_lshl_b32 s40, s4, 6
	s_ashr_i32 s47, s0, 3
	s_add_i32 s0, s40, 64
	v_lshrrev_b32_e32 v10, 6, v0
	s_min_i32 s24, s0, s47
	v_or_b32_e32 v6, s40, v10
	v_cmp_gt_i32_e64 s[0:1], s24, v6
	v_mov_b32_e32 v12, 0xff7fffff
	s_mul_i32 s18, s8, s18
	v_ashrrev_i32_e32 v7, 31, v6
	v_lshl_add_u32 v1, v10, 3, s49
	v_mbcnt_lo_u32_b32 v8, -1, 0
	s_and_saveexec_b64 s[42:43], s[0:1]
	s_cbranch_execz .LBB77_20
; %bb.11:
	s_ashr_i32 s19, s18, 31
	s_sub_i32 s50, s48, s25
	s_lshl_b64 s[6:7], s[18:19], 1
	s_add_u32 s6, s12, s6
	s_addc_u32 s7, s13, s7
	s_abs_i32 s19, s26
	v_cvt_f32_u32_e32 v3, s19
	v_bfe_u32 v9, v0, 3, 3
	v_lshlrev_b32_e32 v4, 4, v9
	v_mov_b32_e32 v5, 0
	v_rcp_iflag_f32_e32 v14, v3
	v_lshl_add_u64 v[12:13], s[6:7], 0, v[4:5]
	v_mov_b32_e32 v3, v5
	v_lshl_add_u64 v[2:3], v[12:13], 0, v[2:3]
	v_mul_f32_e32 v4, 0x4f7ffffe, v14
	v_cvt_u32_f32_e32 v4, v4
	s_sub_i32 s8, 0, s19
	v_lshlrev_b32_e32 v12, 2, v9
	v_lshl_or_b32 v12, v10, 5, v12
	v_mul_lo_u32 v5, s8, v4
	s_lshl_b64 s[8:9], s[38:39], 2
	s_add_u32 s8, s34, s8
	v_add_u32_e32 v15, 0x190, v12
	v_subrev_u32_e32 v12, s37, v9
	v_mbcnt_hi_u32_b32 v18, -1, v8
	v_mul_hi_u32 v5, v4, v5
	s_addc_u32 s9, s35, s9
	v_add_u32_e32 v16, 1, v12
	v_and_b32_e32 v12, 64, v18
	v_cmp_eq_u32_e32 vcc, 0, v11
	s_mov_b32 s51, s17
	v_mul_u32_u24_e32 v11, 48, v11
	v_cmp_neq_f32_e64 s[6:7], s3, 0
	v_add_u32_e32 v13, v4, v5
	v_lshl_add_u64 v[4:5], v[6:7], 2, s[8:9]
	v_lshl_add_u32 v14, v10, 3, s49
	s_mov_b64 s[12:13], 0
	v_mov_b32_e32 v17, 0xff7fffff
	v_add_u32_e32 v19, 64, v12
	v_xor_b32_e32 v20, 4, v18
	v_xor_b32_e32 v21, 2, v18
	;; [unrolled: 1-line block ×3, first 2 shown]
	v_mov_b32_e32 v12, 0xff7fffff
	v_mov_b32_e32 v23, v6
	s_branch .LBB77_14
.LBB77_12:                              ;   in Loop: Header=BB77_14 Depth=1
	s_or_b64 exec, exec, s[44:45]
.LBB77_13:                              ;   in Loop: Header=BB77_14 Depth=1
	s_or_b64 exec, exec, s[10:11]
	v_add_u32_e32 v23, 2, v23
	v_cmp_le_i32_e64 s[8:9], s24, v23
	v_lshl_add_u64 v[4:5], v[4:5], 0, 8
	v_add_u32_e32 v14, 16, v14
	s_or_b64 s[12:13], s[8:9], s[12:13]
	v_add_u32_e32 v15, 64, v15
	s_andn2_b64 exec, exec, s[12:13]
	s_cbranch_execz .LBB77_19
.LBB77_14:                              ; =>This Inner Loop Header: Depth=1
	s_waitcnt lgkmcnt(0)
	v_sub_u32_e32 v25, 0, v14
	v_max_i32_e32 v25, v14, v25
	v_mul_hi_u32 v26, v25, s31
	v_mul_lo_u32 v27, v26, s16
	v_sub_u32_e32 v25, v25, v27
	v_add_u32_e32 v27, 1, v26
	v_cmp_le_u32_e64 s[8:9], s16, v25
	v_ashrrev_i32_e32 v24, 31, v14
	v_xor_b32_e32 v24, s27, v24
	v_cndmask_b32_e64 v26, v26, v27, s[8:9]
	v_subrev_u32_e32 v27, s16, v25
	v_cndmask_b32_e64 v25, v25, v27, s[8:9]
	v_add_u32_e32 v27, 1, v26
	v_cmp_le_u32_e64 s[8:9], s16, v25
	s_nop 1
	v_cndmask_b32_e64 v25, v26, v27, s[8:9]
	v_xor_b32_e32 v25, v25, v24
	v_sub_u32_e32 v24, v25, v24
	v_add_u32_e32 v25, s46, v24
	v_sub_u32_e32 v27, 0, v25
	v_ashrrev_i32_e32 v26, 31, v25
	v_max_i32_e32 v25, v25, v27
	v_mul_hi_u32 v27, v25, v13
	v_mul_lo_u32 v27, v27, s19
	v_sub_u32_e32 v25, v25, v27
	v_subrev_u32_e32 v27, s19, v25
	v_cmp_le_u32_e64 s[8:9], s19, v25
	v_cmp_ge_i32_e64 s[10:11], s50, v24
	s_nop 0
	v_cndmask_b32_e64 v25, v25, v27, s[8:9]
	v_subrev_u32_e32 v27, s19, v25
	v_cmp_le_u32_e64 s[8:9], s19, v25
	s_nop 1
	v_cndmask_b32_e64 v25, v25, v27, s[8:9]
	v_xor_b32_e32 v25, v25, v26
	v_sub_u32_e32 v25, v25, v26
	v_cmp_ne_u32_e64 s[8:9], 0, v25
	s_and_b64 s[8:9], s[8:9], s[10:11]
	s_and_b64 s[44:45], vcc, s[8:9]
	s_and_saveexec_b64 s[10:11], s[44:45]
	s_cbranch_execz .LBB77_16
; %bb.15:                               ;   in Loop: Header=BB77_14 Depth=1
	ds_write_b32 v15, v17
.LBB77_16:                              ;   in Loop: Header=BB77_14 Depth=1
	s_or_b64 exec, exec, s[10:11]
	s_xor_b64 s[8:9], s[8:9], -1
	s_and_saveexec_b64 s[10:11], s[8:9]
	s_cbranch_execz .LBB77_13
; %bb.17:                               ;   in Loop: Header=BB77_14 Depth=1
	global_load_dword v24, v[4:5], off
	s_waitcnt vmcnt(0)
	v_mad_i64_i32 v[24:25], s[8:9], v24, s51, 0
	v_lshl_add_u64 v[24:25], v[24:25], 1, v[2:3]
	global_load_ushort v26, v[24:25], off
	global_load_ushort v27, v[24:25], off offset:128
	global_load_ushort v28, v[24:25], off offset:256
	;; [unrolled: 1-line block ×9, first 2 shown]
	ds_read_u16 v36, v11
	global_load_ushort v37, v[24:25], off offset:1280
	global_load_ushort v38, v[24:25], off offset:1408
	;; [unrolled: 1-line block ×14, first 2 shown]
	s_waitcnt lgkmcnt(0)
	;;#ASMSTART
	v_cvt_f32_f16 v24, v36;
	;;#ASMEND
	v_cmp_lt_i32_e64 s[8:9], v20, v19
	s_waitcnt vmcnt(23)
	;;#ASMSTART
	v_cvt_f32_f16 v25, v26;
	;;#ASMEND
	ds_read_u16 v26, v11 offset:2
	s_waitcnt lgkmcnt(0)
	;;#ASMSTART
	v_cvt_f32_f16 v26, v26;
	;;#ASMEND
	s_waitcnt vmcnt(22)
	;;#ASMSTART
	v_cvt_f32_f16 v27, v27;
	;;#ASMEND
	ds_read_u16 v36, v11 offset:4
	v_mul_f32_e32 v26, v26, v27
	v_fmac_f32_e32 v26, v24, v25
	s_waitcnt lgkmcnt(0)
	;;#ASMSTART
	v_cvt_f32_f16 v36, v36;
	;;#ASMEND
	s_waitcnt vmcnt(21)
	;;#ASMSTART
	v_cvt_f32_f16 v28, v28;
	;;#ASMEND
	ds_read_u16 v51, v11 offset:6
	v_fmac_f32_e32 v26, v36, v28
	s_waitcnt lgkmcnt(0)
	;;#ASMSTART
	v_cvt_f32_f16 v51, v51;
	;;#ASMEND
	s_waitcnt vmcnt(20)
	;;#ASMSTART
	v_cvt_f32_f16 v29, v29;
	;;#ASMEND
	ds_read_u16 v52, v11 offset:8
	;; [unrolled: 10-line block ×19, first 2 shown]
	v_fmac_f32_e32 v26, v29, v30
	s_waitcnt lgkmcnt(0)
	;;#ASMSTART
	v_cvt_f32_f16 v31, v31;
	;;#ASMEND
	s_waitcnt vmcnt(2)
	;;#ASMSTART
	v_cvt_f32_f16 v32, v48;
	;;#ASMEND
	v_cndmask_b32_e64 v66, v18, v20, s[8:9]
	v_fmac_f32_e32 v26, v31, v32
	ds_read_u16 v33, v11 offset:44
	s_waitcnt lgkmcnt(0)
	;;#ASMSTART
	v_cvt_f32_f16 v24, v33;
	;;#ASMEND
	s_waitcnt vmcnt(1)
	;;#ASMSTART
	v_cvt_f32_f16 v25, v49;
	;;#ASMEND
	v_lshlrev_b32_e32 v66, 2, v66
	v_fmac_f32_e32 v26, v24, v25
	ds_read_u16 v33, v11 offset:46
	s_waitcnt lgkmcnt(0)
	;;#ASMSTART
	v_cvt_f32_f16 v24, v33;
	;;#ASMEND
	s_waitcnt vmcnt(0)
	;;#ASMSTART
	v_cvt_f32_f16 v25, v50;
	;;#ASMEND
	v_cmp_lt_i32_e64 s[8:9], v21, v19
	v_fmac_f32_e32 v26, v24, v25
	ds_bpermute_b32 v24, v66, v26
	v_cndmask_b32_e64 v25, v18, v21, s[8:9]
	v_lshlrev_b32_e32 v25, 2, v25
	v_cmp_lt_i32_e64 s[8:9], v22, v19
	s_waitcnt lgkmcnt(0)
	v_add_f32_e32 v24, v26, v24
	ds_bpermute_b32 v25, v25, v24
	v_cndmask_b32_e64 v26, v18, v22, s[8:9]
	s_waitcnt lgkmcnt(0)
	v_add_f32_e32 v24, v24, v25
	v_lshlrev_b32_e32 v25, 2, v26
	ds_bpermute_b32 v25, v25, v24
	s_and_saveexec_b64 s[44:45], vcc
	s_cbranch_execz .LBB77_12
; %bb.18:                               ;   in Loop: Header=BB77_14 Depth=1
	v_add_u32_e32 v26, v16, v14
	v_cvt_f32_i32_e32 v26, v26
	s_waitcnt lgkmcnt(0)
	v_add_f32_e32 v24, v24, v25
	v_add_u32_e32 v27, v9, v14
	v_cmp_gt_i32_e64 s[8:9], s37, v27
	v_mul_f32_e32 v25, s3, v26
	v_cndmask_b32_e64 v25, 0, v25, s[6:7]
	v_fmac_f32_e32 v25, s41, v24
	v_cndmask_b32_e64 v24, 0, v25, s[8:9]
	ds_write_b32 v15, v24
	v_max_f32_e32 v24, v12, v12
	v_max_f32_e32 v24, v24, v25
	v_cndmask_b32_e64 v12, v12, v24, s[8:9]
	s_branch .LBB77_12
.LBB77_19:
	s_or_b64 exec, exec, s[12:13]
.LBB77_20:
	s_or_b64 exec, exec, s[42:43]
	v_mbcnt_hi_u32_b32 v2, -1, v8
	v_and_b32_e32 v3, 64, v2
	v_add_u32_e32 v3, 64, v3
	v_xor_b32_e32 v4, 32, v2
	v_cmp_lt_i32_e32 vcc, v4, v3
	v_xor_b32_e32 v9, 16, v2
	v_max_f32_e32 v5, v12, v12
	v_cndmask_b32_e32 v4, v2, v4, vcc
	v_lshlrev_b32_e32 v8, 2, v4
	ds_bpermute_b32 v4, v8, v12
	v_cmp_lt_i32_e32 vcc, v9, v3
	v_and_b32_e32 v18, 63, v0
	s_waitcnt lgkmcnt(0)
	v_max_f32_e32 v4, v4, v4
	v_max_f32_e32 v4, v5, v4
	v_cndmask_b32_e32 v5, v2, v9, vcc
	v_lshlrev_b32_e32 v11, 2, v5
	ds_bpermute_b32 v5, v11, v4
	v_xor_b32_e32 v9, 8, v2
	v_cmp_lt_i32_e32 vcc, v9, v3
	s_waitcnt lgkmcnt(0)
	v_max_f32_e32 v5, v5, v5
	v_max_f32_e32 v4, v4, v5
	v_cndmask_b32_e32 v5, v2, v9, vcc
	v_lshlrev_b32_e32 v12, 2, v5
	ds_bpermute_b32 v9, v12, v4
	v_cmp_eq_u32_e32 vcc, 0, v18
	v_lshlrev_b32_e32 v5, 2, v10
	s_and_saveexec_b64 s[6:7], vcc
	s_cbranch_execz .LBB77_22
; %bb.21:
	s_waitcnt lgkmcnt(0)
	v_max_f32_e32 v9, v9, v9
	v_max_f32_e32 v4, v4, v4
	v_max_f32_e32 v4, v4, v9
	ds_write_b32 v5, v4 offset:384
.LBB77_22:
	s_or_b64 exec, exec, s[6:7]
	v_cmp_gt_u32_e64 s[6:7], 2, v18
	v_mov_b32_e32 v4, 0xff7fffff
	s_waitcnt lgkmcnt(0)
	v_lshlrev_b32_e32 v9, 2, v18
	s_barrier
	s_and_saveexec_b64 s[8:9], s[6:7]
	s_cbranch_execz .LBB77_24
; %bb.23:
	ds_read_b32 v4, v9 offset:384
.LBB77_24:
	s_or_b64 exec, exec, s[8:9]
	v_xor_b32_e32 v13, 1, v2
	v_cmp_lt_i32_e64 s[8:9], v13, v3
	s_sub_i32 s3, s24, s40
	s_lshl_b32 s3, s3, 3
	v_cndmask_b32_e64 v13, v2, v13, s[8:9]
	v_lshlrev_b32_e32 v13, 2, v13
	s_waitcnt lgkmcnt(0)
	ds_bpermute_b32 v14, v13, v4
	v_max_f32_e32 v4, v4, v4
	s_add_i32 s3, s3, s49
	s_min_i32 s19, s3, s37
	s_sub_i32 s3, s19, s49
	s_waitcnt lgkmcnt(0)
	v_max_f32_e32 v14, v14, v14
	v_max_f32_e32 v4, v4, v14
	v_lshlrev_b32_e32 v14, 2, v2
	v_and_b32_e32 v14, 0x100, v14
	ds_bpermute_b32 v4, v14, v4
	v_cmp_gt_i32_e64 s[8:9], s3, v0
	v_mov_b32_e32 v15, 0
	s_and_saveexec_b64 s[12:13], s[8:9]
	s_cbranch_execz .LBB77_28
; %bb.25:
	v_mov_b32_e32 v15, 0x190
	v_lshl_add_u32 v16, v0, 2, v15
	s_mov_b64 s[40:41], 0
	v_mov_b32_e32 v15, 0
	v_mov_b32_e32 v17, v0
.LBB77_26:                              ; =>This Inner Loop Header: Depth=1
	ds_read_b32 v19, v16
	v_add_u32_e32 v17, 0x80, v17
	v_cmp_le_i32_e64 s[10:11], s3, v17
	s_or_b64 s[40:41], s[10:11], s[40:41]
	s_waitcnt lgkmcnt(0)
	v_sub_f32_e32 v19, v19, v4
	v_mul_f32_e32 v19, 0x3fb8aa3b, v19
	v_exp_f32_e32 v19, v19
	ds_write_b32 v16, v19
	v_add_f32_e32 v15, v15, v19
	v_add_u32_e32 v16, 0x200, v16
	s_andn2_b64 exec, exec, s[40:41]
	s_cbranch_execnz .LBB77_26
; %bb.27:
	s_or_b64 exec, exec, s[40:41]
.LBB77_28:
	s_or_b64 exec, exec, s[12:13]
	ds_bpermute_b32 v8, v8, v15
	s_waitcnt lgkmcnt(0)
	v_add_f32_e32 v8, v15, v8
	ds_bpermute_b32 v11, v11, v8
	s_waitcnt lgkmcnt(0)
	v_add_f32_e32 v8, v8, v11
	ds_bpermute_b32 v11, v12, v8
	v_xor_b32_e32 v12, 4, v2
	v_cmp_lt_i32_e64 s[10:11], v12, v3
	s_waitcnt lgkmcnt(0)
	v_add_f32_e32 v8, v8, v11
	v_cndmask_b32_e64 v12, v2, v12, s[10:11]
	v_lshlrev_b32_e32 v12, 2, v12
	ds_bpermute_b32 v11, v12, v8
	v_xor_b32_e32 v12, 2, v2
	v_cmp_lt_i32_e64 s[10:11], v12, v3
	s_waitcnt lgkmcnt(0)
	v_add_f32_e32 v3, v8, v11
	v_cndmask_b32_e64 v2, v2, v12, s[10:11]
	v_lshlrev_b32_e32 v2, 2, v2
	ds_bpermute_b32 v2, v2, v3
	s_waitcnt lgkmcnt(0)
	v_add_f32_e32 v2, v3, v2
	ds_bpermute_b32 v3, v13, v2
	s_waitcnt lgkmcnt(0)
	v_add_f32_e32 v2, v2, v3
	s_and_saveexec_b64 s[10:11], vcc
	s_cbranch_execz .LBB77_30
; %bb.29:
	ds_write_b32 v5, v2 offset:392
.LBB77_30:
	s_or_b64 exec, exec, s[10:11]
	s_waitcnt lgkmcnt(0)
	s_barrier
	s_and_saveexec_b64 s[10:11], s[6:7]
	s_cbranch_execz .LBB77_32
; %bb.31:
	ds_read_b32 v2, v9 offset:392
.LBB77_32:
	s_or_b64 exec, exec, s[10:11]
	s_waitcnt lgkmcnt(0)
	ds_bpermute_b32 v3, v13, v2
	s_waitcnt lgkmcnt(0)
	v_add_f32_e32 v2, v2, v3
	ds_bpermute_b32 v5, v14, v2
	s_and_saveexec_b64 s[6:7], s[8:9]
	s_cbranch_execz .LBB77_45
; %bb.33:
	s_waitcnt lgkmcnt(0)
	v_add_f32_e32 v2, 0x358637bd, v5
	v_div_scale_f32 v3, s[8:9], v2, v2, 1.0
	v_rcp_f32_e32 v8, v3
	v_div_scale_f32 v9, vcc, 1.0, v2, 1.0
	s_movk_i32 s8, 0x7f
	v_fma_f32 v11, -v3, v8, 1.0
	v_fmac_f32_e32 v8, v11, v8
	v_mul_f32_e32 v11, v9, v8
	v_fma_f32 v12, -v3, v11, v9
	v_fmac_f32_e32 v11, v12, v8
	v_fma_f32 v3, -v3, v11, v9
	v_div_fmas_f32 v3, v3, v8, v11
	v_div_fixup_f32 v2, v3, v2, 1.0
	v_xad_u32 v3, v0, -1, s19
	v_subrev_u32_e32 v8, s49, v3
	v_cmp_lt_u32_e32 vcc, s8, v8
	s_mov_b64 s[10:11], -1
	v_mov_b32_e32 v3, v0
	s_and_saveexec_b64 s[8:9], vcc
	s_cbranch_execz .LBB77_42
; %bb.34:
	v_lshrrev_b32_e32 v8, 7, v8
	v_add_u32_e32 v11, -1, v8
	v_lshrrev_b32_e32 v9, 1, v11
	v_mov_b32_e32 v3, v2
	v_add_u32_e32 v9, 1, v9
	v_cmp_lt_u32_e32 vcc, 13, v11
	v_mov_b32_e32 v13, 0
	s_and_saveexec_b64 s[10:11], vcc
	s_cbranch_execz .LBB77_38
; %bb.35:
	v_mov_b32_e32 v12, 0x190
	v_and_b32_e32 v11, -8, v9
	v_lshl_add_u32 v12, v0, 2, v12
	s_mov_b32 s19, 0
	s_mov_b64 s[12:13], 0
.LBB77_36:                              ; =>This Inner Loop Header: Depth=1
	ds_read2st64_b32 v[14:15], v12 offset1:2
	ds_read2st64_b32 v[16:17], v12 offset0:4 offset1:6
	ds_read2st64_b32 v[20:21], v12 offset0:8 offset1:10
	;; [unrolled: 1-line block ×3, first 2 shown]
	v_add_u32_e32 v11, -8, v11
	s_waitcnt lgkmcnt(3)
	v_pk_mul_f32 v[14:15], v[2:3], v[14:15]
	s_waitcnt lgkmcnt(2)
	v_pk_mul_f32 v[16:17], v[2:3], v[16:17]
	ds_write2st64_b32 v12, v14, v15 offset1:2
	ds_write2st64_b32 v12, v16, v17 offset0:4 offset1:6
	ds_read2st64_b32 v[16:17], v12 offset0:16 offset1:18
	s_waitcnt lgkmcnt(4)
	v_pk_mul_f32 v[14:15], v[2:3], v[20:21]
	ds_write2st64_b32 v12, v14, v15 offset0:8 offset1:10
	s_waitcnt lgkmcnt(4)
	v_pk_mul_f32 v[14:15], v[2:3], v[22:23]
	ds_write2st64_b32 v12, v14, v15 offset0:12 offset1:14
	ds_read2st64_b32 v[14:15], v12 offset0:20 offset1:22
	s_waitcnt lgkmcnt(3)
	v_pk_mul_f32 v[16:17], v[2:3], v[16:17]
	ds_read2st64_b32 v[20:21], v12 offset0:24 offset1:26
	ds_write2st64_b32 v12, v16, v17 offset0:16 offset1:18
	ds_read2st64_b32 v[16:17], v12 offset0:28 offset1:30
	s_waitcnt lgkmcnt(3)
	v_pk_mul_f32 v[14:15], v[2:3], v[14:15]
	ds_write2st64_b32 v12, v14, v15 offset0:20 offset1:22
	s_waitcnt lgkmcnt(3)
	v_pk_mul_f32 v[14:15], v[2:3], v[20:21]
	ds_write2st64_b32 v12, v14, v15 offset0:24 offset1:26
	s_waitcnt lgkmcnt(2)
	v_pk_mul_f32 v[14:15], v[2:3], v[16:17]
	s_add_i32 s19, s19, 16
	v_cmp_eq_u32_e32 vcc, 0, v11
	ds_write2st64_b32 v12, v14, v15 offset0:28 offset1:30
	v_add_u32_e32 v12, 0x2000, v12
	s_or_b64 s[12:13], vcc, s[12:13]
	v_mov_b32_e32 v13, s19
	s_andn2_b64 exec, exec, s[12:13]
	s_cbranch_execnz .LBB77_36
; %bb.37:
	s_or_b64 exec, exec, s[12:13]
.LBB77_38:
	s_or_b64 exec, exec, s[10:11]
	v_and_b32_e32 v9, 7, v9
	v_cmp_ne_u32_e32 vcc, 0, v9
	s_and_saveexec_b64 s[10:11], vcc
	s_cbranch_execz .LBB77_41
; %bb.39:
	v_lshlrev_b32_e32 v11, 9, v13
	v_lshlrev_b32_e32 v12, 2, v0
	s_movk_i32 s12, 0x190
	v_add3_u32 v11, v11, v12, s12
	s_mov_b64 s[12:13], 0
.LBB77_40:                              ; =>This Inner Loop Header: Depth=1
	ds_read2st64_b32 v[12:13], v11 offset1:2
	v_add_u32_e32 v9, -1, v9
	v_cmp_eq_u32_e32 vcc, 0, v9
	s_or_b64 s[12:13], vcc, s[12:13]
	s_waitcnt lgkmcnt(0)
	v_pk_mul_f32 v[12:13], v[2:3], v[12:13]
	ds_write2st64_b32 v11, v12, v13 offset1:2
	v_add_u32_e32 v11, 0x400, v11
	s_andn2_b64 exec, exec, s[12:13]
	s_cbranch_execnz .LBB77_40
.LBB77_41:
	s_or_b64 exec, exec, s[10:11]
	v_add_u32_e32 v8, 1, v8
	v_and_b32_e32 v9, 0x3fffffe, v8
	v_cmp_ne_u32_e32 vcc, v8, v9
	v_lshl_add_u32 v3, v9, 7, v0
	s_orn2_b64 s[10:11], vcc, exec
.LBB77_42:
	s_or_b64 exec, exec, s[8:9]
	s_and_b64 exec, exec, s[10:11]
	s_cbranch_execz .LBB77_45
; %bb.43:
	v_mov_b32_e32 v8, 0x190
	v_lshl_add_u32 v8, v3, 2, v8
	s_mov_b64 s[8:9], 0
.LBB77_44:                              ; =>This Inner Loop Header: Depth=1
	ds_read_b32 v9, v8
	v_add_u32_e32 v3, 0x80, v3
	v_cmp_le_i32_e32 vcc, s3, v3
	s_or_b64 s[8:9], vcc, s[8:9]
	s_waitcnt lgkmcnt(0)
	v_mul_f32_e32 v9, v2, v9
	ds_write_b32 v8, v9
	v_add_u32_e32 v8, 0x200, v8
	s_andn2_b64 exec, exec, s[8:9]
	s_cbranch_execnz .LBB77_44
.LBB77_45:
	s_or_b64 exec, exec, s[6:7]
	s_mul_i32 s3, s33, s36
	v_cmp_eq_u32_e32 vcc, 0, v0
	s_mul_i32 s6, s3, s5
	s_waitcnt lgkmcnt(0)
	s_barrier
	s_and_saveexec_b64 s[8:9], vcc
	s_cbranch_execz .LBB77_47
; %bb.46:
	s_ashr_i32 s7, s6, 31
	s_lshl_b64 s[10:11], s[6:7], 2
	s_add_u32 s5, s22, s10
	s_mul_i32 s2, s33, s2
	s_addc_u32 s7, s23, s11
	s_ashr_i32 s3, s2, 31
	s_lshl_b64 s[2:3], s[2:3], 2
	s_add_u32 s19, s5, s2
	s_addc_u32 s7, s7, s3
	s_ashr_i32 s5, s4, 31
	s_lshl_b64 s[12:13], s[4:5], 2
	s_add_u32 s22, s19, s12
	s_addc_u32 s23, s7, s13
	s_add_u32 s5, s20, s10
	s_addc_u32 s7, s21, s11
	;; [unrolled: 2-line block ×3, first 2 shown]
	s_add_u32 s2, s2, s12
	v_mov_b32_e32 v2, 0
	s_addc_u32 s3, s3, s13
	global_store_dword v2, v4, s[22:23]
	global_store_dword v2, v5, s[2:3]
.LBB77_47:
	s_or_b64 exec, exec, s[8:9]
	v_mov_b32_e32 v8, 0
	v_mov_b32_e32 v11, 0
	;; [unrolled: 1-line block ×3, first 2 shown]
	s_and_saveexec_b64 s[2:3], s[0:1]
	s_cbranch_execz .LBB77_59
; %bb.48:
	s_ashr_i32 s19, s18, 31
	s_sub_i32 s5, s48, s25
	s_lshl_b64 s[0:1], s[18:19], 1
	s_add_u32 s0, s14, s0
	s_addc_u32 s1, s15, s1
	s_abs_i32 s14, s26
	v_cvt_f32_u32_e32 v2, s14
	s_sub_i32 s8, 0, s14
	v_mov_b32_e32 v9, 0
	v_lshlrev_b32_e32 v8, 4, v18
	v_rcp_iflag_f32_e32 v2, v2
	s_add_i32 s47, s47, -1
	v_lshl_add_u64 v[12:13], s[0:1], 0, v[8:9]
	s_lshl_b64 s[0:1], s[38:39], 2
	v_mul_f32_e32 v2, 0x4f7ffffe, v2
	v_cvt_u32_f32_e32 v2, v2
	s_add_u32 s0, s34, s0
	s_addc_u32 s1, s35, s1
	s_mov_b32 s7, s17
	v_mul_lo_u32 v3, s8, v2
	v_mul_hi_u32 v3, v2, v3
	v_add_u32_e32 v19, v2, v3
	v_mov_b32_e32 v2, 0x190
	s_mov_b32 s15, s37
	s_mov_b32 s17, s37
	;; [unrolled: 1-line block ×7, first 2 shown]
	v_lshl_add_u64 v[14:15], v[6:7], 2, s[0:1]
	v_lshl_add_u32 v7, v10, 5, v2
	s_mov_b64 s[8:9], 0
	s_mov_b32 s23, 0x5040100
	v_mov_b32_e32 v11, v9
	v_mov_b32_e32 v8, v9
	s_branch .LBB77_51
.LBB77_49:                              ;   in Loop: Header=BB77_51 Depth=1
	s_or_b64 exec, exec, s[0:1]
	s_waitcnt vmcnt(0)
	;;#ASMSTART
	v_pk_mul_f16 v2, v29, v2;

	;;#ASMEND
	;;#ASMSTART
	v_pk_mul_f16 v3, v28, v3;

	;;#ASMEND
	;; [unrolled: 4-line block ×4, first 2 shown]
	v_add_f32_e32 v10, v32, v33
	;;#ASMSTART
	v_pk_add_f16 v2, v2, v3;

	;;#ASMEND
	v_add_f32_e32 v11, v11, v10
	;;#ASMSTART
	v_pk_add_f16 v2, v2, v4;

	;;#ASMEND
	;; [unrolled: 5-line block ×3, first 2 shown]
	v_add_f32_e32 v9, v9, v10
	v_lshrrev_b32_e32 v3, 16, v2
	v_and_b32_e32 v2, 0xffff, v2
	;;#ASMSTART
	v_cvt_f32_f16 v2, v2;
	;;#ASMEND
	;;#ASMSTART
	v_cvt_f32_f16 v3, v3;
	;;#ASMEND
	s_nop 0
	v_add_f32_e32 v2, v2, v3
	v_add_f32_e32 v8, v8, v2
.LBB77_50:                              ;   in Loop: Header=BB77_51 Depth=1
	s_or_b64 exec, exec, s[10:11]
	v_add_u32_e32 v6, 2, v6
	v_cmp_le_i32_e32 vcc, s24, v6
	v_lshl_add_u64 v[14:15], v[14:15], 0, 8
	v_add_u32_e32 v1, 16, v1
	s_or_b64 s[8:9], vcc, s[8:9]
	v_add_u32_e32 v7, 64, v7
	s_andn2_b64 exec, exec, s[8:9]
	s_cbranch_execz .LBB77_58
.LBB77_51:                              ; =>This Inner Loop Header: Depth=1
	v_sub_u32_e32 v3, 0, v1
	v_max_i32_e32 v3, v1, v3
	v_mul_hi_u32 v4, v3, s31
	v_mul_lo_u32 v5, v4, s16
	v_sub_u32_e32 v3, v3, v5
	v_add_u32_e32 v5, 1, v4
	v_cmp_le_u32_e32 vcc, s16, v3
	v_ashrrev_i32_e32 v2, 31, v1
	v_xor_b32_e32 v2, s27, v2
	v_cndmask_b32_e32 v4, v4, v5, vcc
	v_subrev_u32_e32 v5, s16, v3
	v_cndmask_b32_e32 v3, v3, v5, vcc
	v_add_u32_e32 v5, 1, v4
	v_cmp_le_u32_e32 vcc, s16, v3
	s_nop 1
	v_cndmask_b32_e32 v3, v4, v5, vcc
	v_xor_b32_e32 v3, v3, v2
	v_sub_u32_e32 v2, v3, v2
	v_add_u32_e32 v3, s46, v2
	v_sub_u32_e32 v5, 0, v3
	v_ashrrev_i32_e32 v4, 31, v3
	v_max_i32_e32 v3, v3, v5
	v_mul_hi_u32 v5, v3, v19
	v_mul_lo_u32 v5, v5, s14
	v_sub_u32_e32 v3, v3, v5
	v_subrev_u32_e32 v5, s14, v3
	v_cmp_le_u32_e32 vcc, s14, v3
	v_cmp_lt_i32_e64 s[0:1], s5, v2
	s_nop 0
	v_cndmask_b32_e32 v3, v3, v5, vcc
	v_subrev_u32_e32 v5, s14, v3
	v_cmp_le_u32_e32 vcc, s14, v3
	s_nop 1
	v_cndmask_b32_e32 v3, v3, v5, vcc
	v_xor_b32_e32 v3, v3, v4
	v_sub_u32_e32 v3, v3, v4
	v_cmp_eq_u32_e32 vcc, 0, v3
	s_or_b64 s[0:1], vcc, s[0:1]
	s_and_saveexec_b64 s[10:11], s[0:1]
	s_cbranch_execz .LBB77_50
; %bb.52:                               ;   in Loop: Header=BB77_51 Depth=1
	global_load_dword v10, v[14:15], off
	ds_read2_b64 v[2:5], v7 offset1:1
	ds_read2_b64 v[20:23], v7 offset0:2 offset1:3
	v_cmp_eq_u32_e32 vcc, s47, v6
	v_or_b32_e32 v25, 7, v1
	s_waitcnt lgkmcnt(1)
	;;#ASMSTART
	v_cvt_f16_f32 v26, v2;

	;;#ASMEND
	;;#ASMSTART
	v_cvt_f16_f32 v27, v3;

	;;#ASMEND
	;; [unrolled: 4-line block ×4, first 2 shown]
	s_waitcnt lgkmcnt(0)
	;;#ASMSTART
	v_cvt_f16_f32 v31, v20;

	;;#ASMEND
	;;#ASMSTART
	v_cvt_f16_f32 v32, v21;

	;;#ASMEND
	;; [unrolled: 4-line block ×4, first 2 shown]
	v_or_b32_e32 v21, 3, v1
	v_or_b32_e32 v20, 2, v1
	;; [unrolled: 1-line block ×5, first 2 shown]
	s_waitcnt vmcnt(0)
	v_mad_i64_i32 v[2:3], s[0:1], v10, s7, 0
	v_lshl_add_u64 v[16:17], v[2:3], 1, v[12:13]
	global_load_dwordx4 v[2:5], v[16:17], off
	v_add_u32_e32 v10, 1, v1
	s_and_saveexec_b64 s[12:13], vcc
	s_cbranch_execz .LBB77_54
; %bb.53:                               ;   in Loop: Header=BB77_51 Depth=1
	s_waitcnt vmcnt(0)
	v_lshrrev_b32_e32 v29, 16, v5
	v_cmp_gt_i32_e64 s[0:1], s22, v25
	s_nop 1
	v_cndmask_b32_e64 v29, 0, v29, s[0:1]
	v_cmp_gt_i32_e64 s[0:1], s21, v24
	s_nop 1
	v_cndmask_b32_e64 v5, 0, v5, s[0:1]
	v_perm_b32 v5, v29, v5, s23
	v_lshrrev_b32_e32 v29, 16, v4
	v_cmp_gt_i32_e64 s[0:1], s20, v23
	s_nop 1
	v_cndmask_b32_e64 v29, 0, v29, s[0:1]
	v_cmp_gt_i32_e64 s[0:1], s19, v22
	s_nop 1
	v_cndmask_b32_e64 v4, 0, v4, s[0:1]
	v_perm_b32 v4, v29, v4, s23
	;; [unrolled: 8-line block ×4, first 2 shown]
.LBB77_54:                              ;   in Loop: Header=BB77_51 Depth=1
	s_or_b64 exec, exec, s[12:13]
	v_and_b32_e32 v26, 0xffff, v26
	v_lshl_or_b32 v29, v27, 16, v26
	v_and_b32_e32 v26, 0xffff, v28
	v_lshl_or_b32 v28, v30, 16, v26
	;; [unrolled: 2-line block ×3, first 2 shown]
	v_and_b32_e32 v26, 0xffff, v33
	s_waitcnt vmcnt(0)
	;;#ASMSTART
	v_pk_mul_f16 v2, v29, v2;

	;;#ASMEND
	v_lshl_or_b32 v26, v34, 16, v26
	;;#ASMSTART
	v_pk_mul_f16 v3, v28, v3;

	;;#ASMEND
	;;#ASMSTART
	v_pk_mul_f16 v4, v27, v4;

	;;#ASMEND
	;; [unrolled: 4-line block ×3, first 2 shown]
	s_nop 0
	;;#ASMSTART
	v_pk_add_f16 v2, v2, v3;

	;;#ASMEND
	s_nop 0
	;;#ASMSTART
	v_pk_add_f16 v2, v2, v4;

	;;#ASMEND
	;; [unrolled: 5-line block ×3, first 2 shown]
	s_nop 0
	v_lshrrev_b32_e32 v3, 16, v2
	v_and_b32_e32 v2, 0xffff, v2
	;;#ASMSTART
	v_cvt_f32_f16 v30, v2;
	;;#ASMEND
	;;#ASMSTART
	v_cvt_f32_f16 v31, v3;
	;;#ASMEND
	global_load_dwordx4 v[2:5], v[16:17], off offset:1024
	s_and_saveexec_b64 s[12:13], vcc
	s_cbranch_execz .LBB77_56
; %bb.55:                               ;   in Loop: Header=BB77_51 Depth=1
	s_waitcnt vmcnt(0)
	v_lshrrev_b32_e32 v32, 16, v5
	v_cmp_gt_i32_e64 s[0:1], s22, v25
	s_nop 1
	v_cndmask_b32_e64 v32, 0, v32, s[0:1]
	v_cmp_gt_i32_e64 s[0:1], s21, v24
	s_nop 1
	v_cndmask_b32_e64 v5, 0, v5, s[0:1]
	v_perm_b32 v5, v32, v5, s23
	v_lshrrev_b32_e32 v32, 16, v4
	v_cmp_gt_i32_e64 s[0:1], s20, v23
	s_nop 1
	v_cndmask_b32_e64 v32, 0, v32, s[0:1]
	v_cmp_gt_i32_e64 s[0:1], s19, v22
	s_nop 1
	v_cndmask_b32_e64 v4, 0, v4, s[0:1]
	v_perm_b32 v4, v32, v4, s23
	;; [unrolled: 8-line block ×4, first 2 shown]
.LBB77_56:                              ;   in Loop: Header=BB77_51 Depth=1
	s_or_b64 exec, exec, s[12:13]
	s_waitcnt vmcnt(0)
	;;#ASMSTART
	v_pk_mul_f16 v2, v29, v2;

	;;#ASMEND
	;;#ASMSTART
	v_pk_mul_f16 v3, v28, v3;

	;;#ASMEND
	;; [unrolled: 4-line block ×4, first 2 shown]
	s_nop 0
	;;#ASMSTART
	v_pk_add_f16 v2, v2, v3;

	;;#ASMEND
	s_nop 0
	;;#ASMSTART
	v_pk_add_f16 v2, v2, v4;

	;;#ASMEND
	;; [unrolled: 5-line block ×3, first 2 shown]
	s_nop 0
	v_lshrrev_b32_e32 v3, 16, v2
	v_and_b32_e32 v2, 0xffff, v2
	;;#ASMSTART
	v_cvt_f32_f16 v32, v2;
	;;#ASMEND
	;;#ASMSTART
	v_cvt_f32_f16 v33, v3;
	;;#ASMEND
	global_load_dwordx4 v[2:5], v[16:17], off offset:2048
	s_and_saveexec_b64 s[0:1], vcc
	s_cbranch_execz .LBB77_49
; %bb.57:                               ;   in Loop: Header=BB77_51 Depth=1
	s_waitcnt vmcnt(0)
	v_lshrrev_b32_e32 v16, 16, v5
	v_cmp_gt_i32_e32 vcc, s22, v25
	s_nop 1
	v_cndmask_b32_e32 v16, 0, v16, vcc
	v_cmp_gt_i32_e32 vcc, s21, v24
	s_nop 1
	v_cndmask_b32_e32 v5, 0, v5, vcc
	v_perm_b32 v5, v16, v5, s23
	v_lshrrev_b32_e32 v16, 16, v4
	v_cmp_gt_i32_e32 vcc, s20, v23
	s_nop 1
	v_cndmask_b32_e32 v16, 0, v16, vcc
	v_cmp_gt_i32_e32 vcc, s19, v22
	s_nop 1
	v_cndmask_b32_e32 v4, 0, v4, vcc
	v_perm_b32 v4, v16, v4, s23
	;; [unrolled: 8-line block ×4, first 2 shown]
	s_branch .LBB77_49
.LBB77_58:
	s_or_b64 exec, exec, s[8:9]
.LBB77_59:
	s_or_b64 exec, exec, s[2:3]
	v_and_b32_e32 v1, 0x3c0, v0
	v_cmp_eq_u32_e32 vcc, 64, v1
	s_barrier
	s_and_saveexec_b64 s[0:1], vcc
	s_cbranch_execz .LBB77_61
; %bb.60:
	v_mov_b32_e32 v1, 0x190
	v_lshl_add_u32 v2, v18, 2, v1
	v_lshl_add_u32 v1, v0, 2, v1
	ds_write_b32 v2, v9
	ds_write_b32 v1, v11
	ds_write_b32 v2, v8 offset:512
.LBB77_61:
	s_or_b64 exec, exec, s[0:1]
	v_cmp_gt_u32_e32 vcc, 64, v0
	s_waitcnt lgkmcnt(0)
	s_barrier
	s_and_saveexec_b64 s[0:1], vcc
	s_cbranch_execz .LBB77_63
; %bb.62:
	v_mov_b32_e32 v1, 0x190
	v_lshl_add_u32 v1, v0, 2, v1
	ds_read2st64_b32 v[2:3], v1 offset1:1
	ds_read_b32 v1, v1 offset:512
	v_mov_b32_e32 v10, v9
	s_waitcnt lgkmcnt(1)
	v_pk_add_f32 v[10:11], v[10:11], v[2:3]
	s_waitcnt lgkmcnt(0)
	v_add_f32_e32 v8, v8, v1
	v_mov_b32_e32 v9, v10
.LBB77_63:
	s_or_b64 exec, exec, s[0:1]
	s_barrier
	s_and_saveexec_b64 s[0:1], vcc
	s_cbranch_execz .LBB77_65
; %bb.64:
	s_mul_i32 s0, s6, 0xc0
	s_ashr_i32 s1, s0, 31
	s_lshl_b64 s[0:1], s[0:1], 1
	s_add_u32 s2, s28, s0
	s_mul_i32 s0, s33, s30
	s_addc_u32 s3, s29, s1
	s_ashr_i32 s1, s0, 31
	s_lshl_b64 s[0:1], s[0:1], 1
	s_add_u32 s2, s2, s0
	s_mul_i32 s0, s4, 0xc0
	s_addc_u32 s3, s3, s1
	s_ashr_i32 s1, s0, 31
	s_lshl_b64 s[0:1], s[0:1], 1
	s_add_u32 s0, s2, s0
	s_addc_u32 s1, s3, s1
	v_lshlrev_b32_e32 v0, 1, v0
	;;#ASMSTART
	v_cvt_f16_f32 v1, v9;

	;;#ASMEND
	global_store_short v0, v1, s[0:1]
	;;#ASMSTART
	v_cvt_f16_f32 v1, v11;

	;;#ASMEND
	global_store_short v0, v1, s[0:1] offset:128
	;;#ASMSTART
	v_cvt_f16_f32 v1, v8;

	;;#ASMEND
	global_store_short v0, v1, s[0:1] offset:256
.LBB77_65:
	s_endpgm
	.section	.rodata,"a",@progbits
	.p2align	6, 0x0
	.amdhsa_kernel _ZN4vllm25paged_attention_v2_kernelIttLi192ELi8ELi128ELNS_18Fp8KVCacheDataTypeE0ELb1ELi512EEEvPfS2_PT_PKS3_PKT0_S9_ifPKiSB_iPKfiiiSD_SD_iiiii
		.amdhsa_group_segment_fixed_size 400
		.amdhsa_private_segment_fixed_size 0
		.amdhsa_kernarg_size 400
		.amdhsa_user_sgpr_count 2
		.amdhsa_user_sgpr_dispatch_ptr 0
		.amdhsa_user_sgpr_queue_ptr 0
		.amdhsa_user_sgpr_kernarg_segment_ptr 1
		.amdhsa_user_sgpr_dispatch_id 0
		.amdhsa_user_sgpr_kernarg_preload_length 0
		.amdhsa_user_sgpr_kernarg_preload_offset 0
		.amdhsa_user_sgpr_private_segment_size 0
		.amdhsa_uses_dynamic_stack 0
		.amdhsa_enable_private_segment 0
		.amdhsa_system_sgpr_workgroup_id_x 1
		.amdhsa_system_sgpr_workgroup_id_y 1
		.amdhsa_system_sgpr_workgroup_id_z 1
		.amdhsa_system_sgpr_workgroup_info 0
		.amdhsa_system_vgpr_workitem_id 0
		.amdhsa_next_free_vgpr 68
		.amdhsa_next_free_sgpr 52
		.amdhsa_accum_offset 68
		.amdhsa_reserve_vcc 1
		.amdhsa_float_round_mode_32 0
		.amdhsa_float_round_mode_16_64 0
		.amdhsa_float_denorm_mode_32 3
		.amdhsa_float_denorm_mode_16_64 3
		.amdhsa_dx10_clamp 1
		.amdhsa_ieee_mode 1
		.amdhsa_fp16_overflow 0
		.amdhsa_tg_split 0
		.amdhsa_exception_fp_ieee_invalid_op 0
		.amdhsa_exception_fp_denorm_src 0
		.amdhsa_exception_fp_ieee_div_zero 0
		.amdhsa_exception_fp_ieee_overflow 0
		.amdhsa_exception_fp_ieee_underflow 0
		.amdhsa_exception_fp_ieee_inexact 0
		.amdhsa_exception_int_div_zero 0
	.end_amdhsa_kernel
	.section	.text._ZN4vllm25paged_attention_v2_kernelIttLi192ELi8ELi128ELNS_18Fp8KVCacheDataTypeE0ELb1ELi512EEEvPfS2_PT_PKS3_PKT0_S9_ifPKiSB_iPKfiiiSD_SD_iiiii,"axG",@progbits,_ZN4vllm25paged_attention_v2_kernelIttLi192ELi8ELi128ELNS_18Fp8KVCacheDataTypeE0ELb1ELi512EEEvPfS2_PT_PKS3_PKT0_S9_ifPKiSB_iPKfiiiSD_SD_iiiii,comdat
.Lfunc_end77:
	.size	_ZN4vllm25paged_attention_v2_kernelIttLi192ELi8ELi128ELNS_18Fp8KVCacheDataTypeE0ELb1ELi512EEEvPfS2_PT_PKS3_PKT0_S9_ifPKiSB_iPKfiiiSD_SD_iiiii, .Lfunc_end77-_ZN4vllm25paged_attention_v2_kernelIttLi192ELi8ELi128ELNS_18Fp8KVCacheDataTypeE0ELb1ELi512EEEvPfS2_PT_PKS3_PKT0_S9_ifPKiSB_iPKfiiiSD_SD_iiiii
                                        ; -- End function
	.section	.AMDGPU.csdata,"",@progbits
; Kernel info:
; codeLenInByte = 6076
; NumSgprs: 58
; NumVgprs: 68
; NumAgprs: 0
; TotalNumVgprs: 68
; ScratchSize: 0
; MemoryBound: 0
; FloatMode: 240
; IeeeMode: 1
; LDSByteSize: 400 bytes/workgroup (compile time only)
; SGPRBlocks: 7
; VGPRBlocks: 8
; NumSGPRsForWavesPerEU: 58
; NumVGPRsForWavesPerEU: 68
; AccumOffset: 68
; Occupancy: 7
; WaveLimiterHint : 1
; COMPUTE_PGM_RSRC2:SCRATCH_EN: 0
; COMPUTE_PGM_RSRC2:USER_SGPR: 2
; COMPUTE_PGM_RSRC2:TRAP_HANDLER: 0
; COMPUTE_PGM_RSRC2:TGID_X_EN: 1
; COMPUTE_PGM_RSRC2:TGID_Y_EN: 1
; COMPUTE_PGM_RSRC2:TGID_Z_EN: 1
; COMPUTE_PGM_RSRC2:TIDIG_COMP_CNT: 0
; COMPUTE_PGM_RSRC3_GFX90A:ACCUM_OFFSET: 16
; COMPUTE_PGM_RSRC3_GFX90A:TG_SPLIT: 0
	.section	.text._ZN4vllm32paged_attention_v2_reduce_kernelItLi192ELi128ELi512EEEvPT_PKfS4_PKS1_PKii,"axG",@progbits,_ZN4vllm32paged_attention_v2_reduce_kernelItLi192ELi128ELi512EEEvPT_PKfS4_PKS1_PKii,comdat
	.protected	_ZN4vllm32paged_attention_v2_reduce_kernelItLi192ELi128ELi512EEEvPT_PKfS4_PKS1_PKii ; -- Begin function _ZN4vllm32paged_attention_v2_reduce_kernelItLi192ELi128ELi512EEEvPT_PKfS4_PKS1_PKii
	.globl	_ZN4vllm32paged_attention_v2_reduce_kernelItLi192ELi128ELi512EEEvPT_PKfS4_PKS1_PKii
	.p2align	8
	.type	_ZN4vllm32paged_attention_v2_reduce_kernelItLi192ELi128ELi512EEEvPT_PKfS4_PKS1_PKii,@function
_ZN4vllm32paged_attention_v2_reduce_kernelItLi192ELi128ELi512EEEvPT_PKfS4_PKS1_PKii: ; @_ZN4vllm32paged_attention_v2_reduce_kernelItLi192ELi128ELi512EEEvPT_PKfS4_PKS1_PKii
; %bb.0:
	s_load_dwordx4 s[8:11], s[0:1], 0x18
	s_add_u32 s6, s0, 48
	s_mov_b32 s12, s3
	s_addc_u32 s7, s1, 0
	s_ashr_i32 s13, s3, 31
	s_lshl_b64 s[4:5], s[12:13], 2
	s_waitcnt lgkmcnt(0)
	s_add_u32 s4, s10, s4
	s_addc_u32 s5, s11, s5
	s_load_dword s24, s[4:5], 0x0
	s_load_dwordx2 s[10:11], s[0:1], 0x0
	s_load_dword s13, s[0:1], 0x28
	s_load_dword s3, s[0:1], 0x30
	s_waitcnt lgkmcnt(0)
	s_add_i32 s4, s24, -1
	s_cmpk_gt_u32 s4, 0x1ff
	s_mov_b64 s[4:5], -1
	s_cbranch_scc0 .LBB78_24
; %bb.1:
	s_add_i32 s4, s24, 0x1ff
	s_load_dwordx2 s[18:19], s[0:1], 0x8
	s_ashr_i32 s5, s4, 31
	s_lshr_b32 s5, s5, 23
	s_add_i32 s4, s4, s5
	s_mul_i32 s26, s3, s12
	s_ashr_i32 s25, s4, 9
	s_mul_i32 s14, s26, s13
	s_mul_i32 s16, s2, s13
	s_ashr_i32 s15, s14, 31
	s_ashr_i32 s17, s16, 31
	v_cmp_gt_i32_e32 vcc, s25, v0
	v_mov_b32_e32 v4, 0xff7fffff
	s_and_saveexec_b64 s[4:5], vcc
	s_cbranch_execz .LBB78_5
; %bb.2:
	s_load_dword s20, s[6:7], 0xc
	s_load_dwordx2 s[22:23], s[0:1], 0x10
	s_lshl_b64 s[0:1], s[14:15], 2
	s_lshl_b64 s[28:29], s[16:17], 2
	v_lshlrev_b32_e32 v4, 2, v0
	s_waitcnt lgkmcnt(0)
	s_and_b32 s27, s20, 0xffff
	s_add_u32 s0, s0, s28
	s_addc_u32 s1, s1, s29
	s_add_u32 s0, s22, s0
	v_mov_b32_e32 v5, 0
	s_addc_u32 s1, s23, s1
	s_mov_b32 s21, 0
	v_lshl_add_u64 v[2:3], s[0:1], 0, v[4:5]
	s_lshl_b32 s20, s27, 2
	v_add_u32_e32 v1, 16, v4
	s_mov_b64 s[22:23], 0
	v_mov_b32_e32 v4, 0xff7fffff
	v_mov_b32_e32 v5, v0
.LBB78_3:                               ; =>This Inner Loop Header: Depth=1
	global_load_dword v6, v[2:3], off
	v_add_u32_e32 v5, s27, v5
	v_max_f32_e32 v4, v4, v4
	v_cmp_le_i32_e64 s[0:1], s25, v5
	v_lshl_add_u64 v[2:3], v[2:3], 0, s[20:21]
	s_or_b64 s[22:23], s[0:1], s[22:23]
	s_waitcnt vmcnt(0)
	ds_write_b32 v1, v6
	v_max_f32_e32 v6, v6, v6
	v_add_u32_e32 v1, s20, v1
	v_max_f32_e32 v4, v4, v6
	s_andn2_b64 exec, exec, s[22:23]
	s_cbranch_execnz .LBB78_3
; %bb.4:
	s_or_b64 exec, exec, s[22:23]
.LBB78_5:
	s_or_b64 exec, exec, s[4:5]
	v_mbcnt_lo_u32_b32 v1, -1, 0
	v_mbcnt_hi_u32_b32 v2, -1, v1
	v_and_b32_e32 v1, 64, v2
	v_add_u32_e32 v5, 64, v1
	v_xor_b32_e32 v1, 32, v2
	v_cmp_lt_i32_e64 s[0:1], v1, v5
	v_xor_b32_e32 v6, 16, v2
	v_lshrrev_b32_e32 v10, 6, v0
	v_cndmask_b32_e64 v1, v2, v1, s[0:1]
	v_lshlrev_b32_e32 v1, 2, v1
	ds_bpermute_b32 v3, v1, v4
	v_max_f32_e32 v4, v4, v4
	v_cmp_lt_i32_e64 s[0:1], v6, v5
	s_waitcnt lgkmcnt(0)
	s_barrier
	v_max_f32_e32 v3, v3, v3
	v_max_f32_e32 v3, v4, v3
	v_cndmask_b32_e64 v4, v2, v6, s[0:1]
	v_lshlrev_b32_e32 v8, 2, v4
	ds_bpermute_b32 v4, v8, v3
	v_xor_b32_e32 v6, 8, v2
	v_cmp_lt_i32_e64 s[0:1], v6, v5
	s_waitcnt lgkmcnt(0)
	v_max_f32_e32 v4, v4, v4
	v_max_f32_e32 v3, v3, v4
	v_cndmask_b32_e64 v4, v2, v6, s[0:1]
	v_lshlrev_b32_e32 v9, 2, v4
	ds_bpermute_b32 v4, v9, v3
	v_xor_b32_e32 v6, 4, v2
	v_cmp_lt_i32_e64 s[0:1], v6, v5
	s_waitcnt lgkmcnt(0)
	;; [unrolled: 8-line block ×3, first 2 shown]
	v_max_f32_e32 v4, v4, v4
	v_max_f32_e32 v3, v3, v4
	v_cndmask_b32_e64 v4, v2, v6, s[0:1]
	v_lshlrev_b32_e32 v12, 2, v4
	ds_bpermute_b32 v4, v12, v3
	v_and_b32_e32 v6, 63, v0
	s_waitcnt lgkmcnt(0)
	v_max_f32_e32 v4, v4, v4
	v_max_f32_e32 v3, v3, v4
	v_xor_b32_e32 v4, 1, v2
	v_cmp_lt_i32_e64 s[0:1], v4, v5
	s_nop 1
	v_cndmask_b32_e64 v4, v2, v4, s[0:1]
	v_lshlrev_b32_e32 v7, 2, v4
	ds_bpermute_b32 v4, v7, v3
	v_cmp_eq_u32_e64 s[0:1], 0, v6
	s_and_saveexec_b64 s[4:5], s[0:1]
	s_cbranch_execz .LBB78_7
; %bb.6:
	s_waitcnt lgkmcnt(0)
	v_max_f32_e32 v4, v4, v4
	v_max_f32_e32 v3, v3, v3
	;; [unrolled: 1-line block ×3, first 2 shown]
	v_lshlrev_b32_e32 v4, 2, v10
	ds_write_b32 v4, v3
.LBB78_7:
	s_or_b64 exec, exec, s[4:5]
	v_cmp_gt_u32_e64 s[4:5], 2, v6
	v_mov_b32_e32 v3, 0xff7fffff
	s_waitcnt lgkmcnt(0)
	s_barrier
	s_and_saveexec_b64 s[20:21], s[4:5]
	s_cbranch_execz .LBB78_9
; %bb.8:
	v_lshlrev_b32_e32 v3, 2, v6
	ds_read_b32 v3, v3
.LBB78_9:
	s_or_b64 exec, exec, s[20:21]
	s_waitcnt lgkmcnt(0)
	ds_bpermute_b32 v4, v7, v3
	v_max_f32_e32 v3, v3, v3
	v_lshlrev_b32_e32 v2, 2, v2
	v_and_b32_e32 v13, 0x100, v2
	s_lshl_b32 s27, s25, 2
	s_waitcnt lgkmcnt(0)
	v_max_f32_e32 v4, v4, v4
	v_max_f32_e32 v3, v3, v4
	ds_bpermute_b32 v14, v13, v3
	v_mov_b32_e32 v3, 0
	s_and_saveexec_b64 s[20:21], vcc
	s_cbranch_execz .LBB78_13
; %bb.10:
	s_load_dword s22, s[6:7], 0xc
	s_lshl_b64 s[28:29], s[14:15], 2
	s_lshl_b64 s[30:31], s[16:17], 2
	v_lshlrev_b32_e32 v2, 2, v0
	v_mov_b32_e32 v3, 0
	s_waitcnt lgkmcnt(0)
	s_and_b32 s15, s22, 0xffff
	s_add_u32 s17, s28, s30
	s_addc_u32 s22, s29, s31
	s_add_u32 s18, s18, s17
	s_addc_u32 s19, s19, s22
	s_mov_b32 s23, 0
	v_lshl_add_u64 v[4:5], s[18:19], 0, v[2:3]
	s_lshl_b32 s22, s15, 2
	v_add_u32_e32 v2, 16, v2
	s_mov_b64 s[18:19], 0
	s_mov_b32 s17, 0x3fb8aa3b
	s_mov_b32 s28, 0xc2ce8ed0
	;; [unrolled: 1-line block ×3, first 2 shown]
	v_mov_b32_e32 v15, 0x7f800000
	v_mov_b32_e32 v16, v0
.LBB78_11:                              ; =>This Inner Loop Header: Depth=1
	global_load_dword v17, v[4:5], off
	ds_read_b32 v18, v2
	v_add_u32_e32 v16, s15, v16
	v_cmp_le_i32_e32 vcc, s25, v16
	s_or_b64 s[18:19], vcc, s[18:19]
	v_add_u32_e32 v19, s27, v2
	s_waitcnt lgkmcnt(0)
	v_sub_f32_e32 v18, v18, v14
	v_mul_f32_e32 v20, 0x3fb8aa3b, v18
	v_fma_f32 v21, v18, s17, -v20
	v_rndne_f32_e32 v22, v20
	v_fmac_f32_e32 v21, 0x32a5705f, v18
	v_sub_f32_e32 v20, v20, v22
	v_add_f32_e32 v20, v20, v21
	v_cvt_i32_f32_e32 v22, v22
	v_exp_f32_e32 v20, v20
	v_cmp_ngt_f32_e32 vcc, s28, v18
	v_lshl_add_u64 v[4:5], v[4:5], 0, s[22:23]
	v_add_u32_e32 v2, s22, v2
	v_ldexp_f32 v20, v20, v22
	v_cndmask_b32_e32 v20, 0, v20, vcc
	v_cmp_nlt_f32_e32 vcc, s29, v18
	s_nop 1
	v_cndmask_b32_e32 v18, v15, v20, vcc
	s_waitcnt vmcnt(0)
	v_mul_f32_e32 v20, v17, v18
	v_fmac_f32_e32 v3, v17, v18
	ds_write_b32 v19, v20
	s_andn2_b64 exec, exec, s[18:19]
	s_cbranch_execnz .LBB78_11
; %bb.12:
	s_or_b64 exec, exec, s[18:19]
.LBB78_13:
	s_or_b64 exec, exec, s[20:21]
	ds_bpermute_b32 v1, v1, v3
	s_waitcnt lgkmcnt(0)
	s_barrier
	v_add_f32_e32 v1, v3, v1
	ds_bpermute_b32 v2, v8, v1
	s_waitcnt lgkmcnt(0)
	v_add_f32_e32 v1, v1, v2
	ds_bpermute_b32 v2, v9, v1
	s_waitcnt lgkmcnt(0)
	;; [unrolled: 3-line block ×5, first 2 shown]
	v_add_f32_e32 v1, v1, v2
	s_and_saveexec_b64 s[18:19], s[0:1]
	s_cbranch_execz .LBB78_15
; %bb.14:
	v_lshlrev_b32_e32 v2, 2, v10
	ds_write_b32 v2, v1 offset:8
.LBB78_15:
	s_or_b64 exec, exec, s[18:19]
	s_waitcnt lgkmcnt(0)
	s_barrier
	s_and_saveexec_b64 s[0:1], s[4:5]
	s_cbranch_execz .LBB78_17
; %bb.16:
	v_lshlrev_b32_e32 v1, 2, v6
	ds_read_b32 v1, v1 offset:8
.LBB78_17:
	s_or_b64 exec, exec, s[0:1]
	s_waitcnt lgkmcnt(0)
	ds_bpermute_b32 v2, v7, v1
	s_movk_i32 s0, 0xc0
	v_cmp_gt_u32_e32 vcc, s0, v0
	s_waitcnt lgkmcnt(0)
	v_add_f32_e32 v1, v1, v2
	ds_bpermute_b32 v1, v13, v1
	s_and_saveexec_b64 s[4:5], vcc
	s_cbranch_execz .LBB78_23
; %bb.18:
	s_waitcnt lgkmcnt(0)
	v_add_f32_e32 v1, 0x358637bd, v1
	v_div_scale_f32 v2, s[0:1], v1, v1, 1.0
	s_mul_i32 s0, s14, 0xc0
	s_mul_i32 s14, s26, 0xc0
	s_mulk_i32 s16, 0xc0
	s_ashr_i32 s15, s14, 31
	v_rcp_f32_e32 v3, v2
	s_ashr_i32 s1, s0, 31
	s_ashr_i32 s17, s16, 31
	s_lshl_b64 s[14:15], s[14:15], 1
	s_add_u32 s18, s10, s14
	s_mul_i32 s14, s2, 0xc0
	s_addc_u32 s19, s11, s15
	s_ashr_i32 s15, s14, 31
	s_lshl_b64 s[14:15], s[14:15], 1
	v_fma_f32 v5, -v2, v3, 1.0
	s_add_u32 s14, s18, s14
	v_div_scale_f32 v4, vcc, 1.0, v1, 1.0
	v_fmac_f32_e32 v3, v5, v3
	s_addc_u32 s15, s19, s15
	s_add_i32 s22, s27, 16
	v_mul_f32_e32 v5, v4, v3
	s_cmp_gt_i32 s24, 0
	v_fma_f32 v6, -v2, v5, v4
	s_cselect_b64 s[18:19], -1, 0
	s_max_i32 s23, s25, 1
	s_lshl_b64 s[0:1], s[0:1], 1
	s_lshl_b64 s[16:17], s[16:17], 1
	v_fmac_f32_e32 v5, v6, v3
	s_add_u32 s0, s0, s16
	v_fma_f32 v2, -v2, v5, v4
	s_addc_u32 s1, s1, s17
	v_div_fmas_f32 v2, v2, v3, v5
	s_add_u32 s0, s8, s0
	v_div_fixup_f32 v1, v2, v1, 1.0
	v_lshlrev_b32_e32 v2, 1, v0
	v_mov_b32_e32 v3, 0
	s_addc_u32 s1, s9, s1
	v_lshl_add_u64 v[4:5], s[0:1], 0, v[2:3]
	v_cndmask_b32_e64 v2, 0, 1, s[18:19]
	s_mov_b64 s[16:17], 0
	v_cmp_ne_u32_e64 s[0:1], 1, v2
	s_mov_b64 s[18:19], 0x180
	s_mov_b64 s[20:21], 0x100
	v_mov_b32_e32 v2, v0
	s_branch .LBB78_20
.LBB78_19:                              ;   in Loop: Header=BB78_20 Depth=1
	v_lshl_add_u64 v[6:7], v[2:3], 1, s[14:15]
	;;#ASMSTART
	v_cvt_f16_f32 v8, v8;

	;;#ASMEND
	global_store_short v[6:7], v8, off
	v_add_u32_e32 v6, 0x80, v2
	v_cmp_lt_u32_e32 vcc, 63, v2
	v_lshl_add_u64 v[4:5], v[4:5], 0, s[20:21]
	s_or_b64 s[16:17], vcc, s[16:17]
	v_mov_b32_e32 v2, v6
	s_andn2_b64 exec, exec, s[16:17]
	s_cbranch_execz .LBB78_23
.LBB78_20:                              ; =>This Loop Header: Depth=1
                                        ;     Child Loop BB78_22 Depth 2
	s_and_b64 vcc, exec, s[0:1]
	v_mov_b32_e32 v8, 0
	s_cbranch_vccnz .LBB78_19
; %bb.21:                               ;   in Loop: Header=BB78_20 Depth=1
	v_mov_b32_e32 v8, 0
	s_mov_b32 s24, s22
	v_mov_b64_e32 v[6:7], v[4:5]
	s_mov_b32 s25, s23
.LBB78_22:                              ;   Parent Loop BB78_20 Depth=1
                                        ; =>  This Inner Loop Header: Depth=2
	global_load_ushort v9, v[6:7], off
	v_mov_b32_e32 v10, s24
	s_waitcnt vmcnt(0)
	;;#ASMSTART
	v_cvt_f32_f16 v9, v9;
	;;#ASMEND
	ds_read_b32 v10, v10
	s_add_i32 s25, s25, -1
	s_add_i32 s24, s24, 4
	v_lshl_add_u64 v[6:7], v[6:7], 0, s[18:19]
	s_cmp_eq_u32 s25, 0
	s_waitcnt lgkmcnt(0)
	v_mul_f32_e32 v9, v9, v10
	v_fmac_f32_e32 v8, v1, v9
	s_cbranch_scc0 .LBB78_22
	s_branch .LBB78_19
.LBB78_23:
	s_or_b64 exec, exec, s[4:5]
	s_mov_b64 s[4:5], 0
.LBB78_24:
	s_and_b64 vcc, exec, s[4:5]
	s_cbranch_vccz .LBB78_33
; %bb.25:
	s_movk_i32 s0, 0xc0
	v_cmp_gt_u32_e32 vcc, s0, v0
	s_and_saveexec_b64 s[4:5], vcc
	s_cbranch_execz .LBB78_33
; %bb.26:
	s_mul_i32 s1, s3, s12
	s_mul_i32 s4, s1, 0xc0
	s_ashr_i32 s5, s4, 31
	s_lshl_b64 s[14:15], s[4:5], 1
	s_add_u32 s1, s10, s14
	s_mul_i32 s10, s2, 0xc0
	s_addc_u32 s5, s11, s15
	s_ashr_i32 s11, s10, 31
	s_lshl_b64 s[2:3], s[10:11], 1
	s_add_u32 s2, s1, s2
	s_mul_i32 s4, s4, s13
	s_addc_u32 s3, s5, s3
	s_ashr_i32 s5, s4, 31
	s_lshl_b64 s[4:5], s[4:5], 1
	s_load_dword s6, s[6:7], 0xc
	s_add_u32 s1, s8, s4
	s_mul_i32 s4, s10, s13
	s_addc_u32 s8, s9, s5
	s_ashr_i32 s5, s4, 31
	s_lshl_b64 s[4:5], s[4:5], 1
	s_add_u32 s4, s1, s4
	s_addc_u32 s5, s8, s5
	s_waitcnt lgkmcnt(0)
	s_and_b32 s8, s6, 0xffff
	v_cvt_f32_u32_e32 v1, s8
	v_add_u32_e32 v2, s8, v0
	v_mov_b32_e32 v4, s8
	v_cmp_gt_u32_e32 vcc, s0, v2
	v_rcp_iflag_f32_e32 v1, v1
	s_cmp_eq_u32 s8, 1
	v_max_u32_e32 v3, 0xc0, v2
	v_addc_co_u32_e64 v2, s[0:1], v0, v4, vcc
	v_mul_f32_e32 v1, 0x4f7ffffe, v1
	v_cvt_u32_f32_e32 v1, v1
	s_cselect_b64 s[6:7], -1, 0
	s_sub_i32 s0, 0, s8
	v_sub_u32_e32 v2, v3, v2
	v_mul_lo_u32 v3, s0, v1
	v_mul_hi_u32 v3, v1, v3
	v_add_u32_e32 v1, v1, v3
	v_mul_hi_u32 v1, v2, v1
	v_mul_lo_u32 v3, v1, s8
	v_sub_u32_e32 v2, v2, v3
	v_add_u32_e32 v3, 1, v1
	v_cmp_le_u32_e64 s[0:1], s8, v2
	s_nop 1
	v_cndmask_b32_e64 v1, v1, v3, s[0:1]
	v_subrev_u32_e32 v3, s8, v2
	v_cndmask_b32_e64 v2, v2, v3, s[0:1]
	v_add_u32_e32 v3, 1, v1
	v_cmp_le_u32_e64 s[0:1], s8, v2
	s_nop 1
	v_cndmask_b32_e64 v1, v1, v3, s[0:1]
	v_addc_co_u32_e32 v1, vcc, 1, v1, vcc
	v_cmp_lt_u32_e32 vcc, 7, v1
	s_and_b64 s[10:11], vcc, s[6:7]
	s_mov_b64 s[6:7], -1
	s_and_saveexec_b64 s[0:1], s[10:11]
	s_cbranch_execz .LBB78_30
; %bb.27:
	v_and_b32_e32 v4, -8, v1
	s_mov_b64 s[6:7], 0
	v_mov_b32_e32 v3, 0
	v_mov_b32_e32 v2, v0
	;; [unrolled: 1-line block ×3, first 2 shown]
.LBB78_28:                              ; =>This Inner Loop Header: Depth=1
	v_lshlrev_b64 v[10:11], 1, v[2:3]
	v_lshl_add_u64 v[6:7], s[4:5], 0, v[10:11]
	global_load_dwordx4 v[6:9], v[6:7], off
	v_add_u32_e32 v5, -8, v5
	v_cmp_eq_u32_e32 vcc, 0, v5
	v_add_u32_e32 v2, 8, v2
	v_lshl_add_u64 v[10:11], s[2:3], 0, v[10:11]
	s_or_b64 s[6:7], vcc, s[6:7]
	s_waitcnt vmcnt(0)
	global_store_dwordx4 v[10:11], v[6:9], off
	s_andn2_b64 exec, exec, s[6:7]
	s_cbranch_execnz .LBB78_28
; %bb.29:
	s_or_b64 exec, exec, s[6:7]
	v_cmp_ne_u32_e32 vcc, v1, v4
	v_add_u32_e32 v0, v0, v4
	s_orn2_b64 s[6:7], vcc, exec
.LBB78_30:
	s_or_b64 exec, exec, s[0:1]
	s_and_b64 exec, exec, s[6:7]
	s_cbranch_execz .LBB78_33
; %bb.31:
	v_mov_b32_e32 v1, 0
	s_mov_b32 s1, 0
	v_lshlrev_b64 v[2:3], 1, v[0:1]
	s_lshl_b32 s0, s8, 1
	s_mov_b64 s[6:7], 0
	s_movk_i32 s9, 0xbf
.LBB78_32:                              ; =>This Inner Loop Header: Depth=1
	v_lshl_add_u64 v[4:5], s[4:5], 0, v[2:3]
	global_load_ushort v1, v[4:5], off
	v_add_u32_e32 v0, s8, v0
	v_cmp_lt_u32_e32 vcc, s9, v0
	v_lshl_add_u64 v[4:5], s[2:3], 0, v[2:3]
	v_lshl_add_u64 v[2:3], v[2:3], 0, s[0:1]
	s_or_b64 s[6:7], vcc, s[6:7]
	s_waitcnt vmcnt(0)
	global_store_short v[4:5], v1, off
	s_andn2_b64 exec, exec, s[6:7]
	s_cbranch_execnz .LBB78_32
.LBB78_33:
	s_endpgm
	.section	.rodata,"a",@progbits
	.p2align	6, 0x0
	.amdhsa_kernel _ZN4vllm32paged_attention_v2_reduce_kernelItLi192ELi128ELi512EEEvPT_PKfS4_PKS1_PKii
		.amdhsa_group_segment_fixed_size 16
		.amdhsa_private_segment_fixed_size 0
		.amdhsa_kernarg_size 304
		.amdhsa_user_sgpr_count 2
		.amdhsa_user_sgpr_dispatch_ptr 0
		.amdhsa_user_sgpr_queue_ptr 0
		.amdhsa_user_sgpr_kernarg_segment_ptr 1
		.amdhsa_user_sgpr_dispatch_id 0
		.amdhsa_user_sgpr_kernarg_preload_length 0
		.amdhsa_user_sgpr_kernarg_preload_offset 0
		.amdhsa_user_sgpr_private_segment_size 0
		.amdhsa_uses_dynamic_stack 0
		.amdhsa_enable_private_segment 0
		.amdhsa_system_sgpr_workgroup_id_x 1
		.amdhsa_system_sgpr_workgroup_id_y 1
		.amdhsa_system_sgpr_workgroup_id_z 0
		.amdhsa_system_sgpr_workgroup_info 0
		.amdhsa_system_vgpr_workitem_id 0
		.amdhsa_next_free_vgpr 23
		.amdhsa_next_free_sgpr 32
		.amdhsa_accum_offset 24
		.amdhsa_reserve_vcc 1
		.amdhsa_float_round_mode_32 0
		.amdhsa_float_round_mode_16_64 0
		.amdhsa_float_denorm_mode_32 3
		.amdhsa_float_denorm_mode_16_64 3
		.amdhsa_dx10_clamp 1
		.amdhsa_ieee_mode 1
		.amdhsa_fp16_overflow 0
		.amdhsa_tg_split 0
		.amdhsa_exception_fp_ieee_invalid_op 0
		.amdhsa_exception_fp_denorm_src 0
		.amdhsa_exception_fp_ieee_div_zero 0
		.amdhsa_exception_fp_ieee_overflow 0
		.amdhsa_exception_fp_ieee_underflow 0
		.amdhsa_exception_fp_ieee_inexact 0
		.amdhsa_exception_int_div_zero 0
	.end_amdhsa_kernel
	.section	.text._ZN4vllm32paged_attention_v2_reduce_kernelItLi192ELi128ELi512EEEvPT_PKfS4_PKS1_PKii,"axG",@progbits,_ZN4vllm32paged_attention_v2_reduce_kernelItLi192ELi128ELi512EEEvPT_PKfS4_PKS1_PKii,comdat
.Lfunc_end78:
	.size	_ZN4vllm32paged_attention_v2_reduce_kernelItLi192ELi128ELi512EEEvPT_PKfS4_PKS1_PKii, .Lfunc_end78-_ZN4vllm32paged_attention_v2_reduce_kernelItLi192ELi128ELi512EEEvPT_PKfS4_PKS1_PKii
                                        ; -- End function
	.section	.AMDGPU.csdata,"",@progbits
; Kernel info:
; codeLenInByte = 2220
; NumSgprs: 38
; NumVgprs: 23
; NumAgprs: 0
; TotalNumVgprs: 23
; ScratchSize: 0
; MemoryBound: 0
; FloatMode: 240
; IeeeMode: 1
; LDSByteSize: 16 bytes/workgroup (compile time only)
; SGPRBlocks: 4
; VGPRBlocks: 2
; NumSGPRsForWavesPerEU: 38
; NumVGPRsForWavesPerEU: 23
; AccumOffset: 24
; Occupancy: 8
; WaveLimiterHint : 0
; COMPUTE_PGM_RSRC2:SCRATCH_EN: 0
; COMPUTE_PGM_RSRC2:USER_SGPR: 2
; COMPUTE_PGM_RSRC2:TRAP_HANDLER: 0
; COMPUTE_PGM_RSRC2:TGID_X_EN: 1
; COMPUTE_PGM_RSRC2:TGID_Y_EN: 1
; COMPUTE_PGM_RSRC2:TGID_Z_EN: 0
; COMPUTE_PGM_RSRC2:TIDIG_COMP_CNT: 0
; COMPUTE_PGM_RSRC3_GFX90A:ACCUM_OFFSET: 5
; COMPUTE_PGM_RSRC3_GFX90A:TG_SPLIT: 0
	.section	.text._ZN4vllm25paged_attention_v2_kernelIttLi256ELi8ELi128ELNS_18Fp8KVCacheDataTypeE0ELb1ELi512EEEvPfS2_PT_PKS3_PKT0_S9_ifPKiSB_iPKfiiiSD_SD_iiiii,"axG",@progbits,_ZN4vllm25paged_attention_v2_kernelIttLi256ELi8ELi128ELNS_18Fp8KVCacheDataTypeE0ELb1ELi512EEEvPfS2_PT_PKS3_PKT0_S9_ifPKiSB_iPKfiiiSD_SD_iiiii,comdat
	.protected	_ZN4vllm25paged_attention_v2_kernelIttLi256ELi8ELi128ELNS_18Fp8KVCacheDataTypeE0ELb1ELi512EEEvPfS2_PT_PKS3_PKT0_S9_ifPKiSB_iPKfiiiSD_SD_iiiii ; -- Begin function _ZN4vllm25paged_attention_v2_kernelIttLi256ELi8ELi128ELNS_18Fp8KVCacheDataTypeE0ELb1ELi512EEEvPfS2_PT_PKS3_PKT0_S9_ifPKiSB_iPKfiiiSD_SD_iiiii
	.globl	_ZN4vllm25paged_attention_v2_kernelIttLi256ELi8ELi128ELNS_18Fp8KVCacheDataTypeE0ELb1ELi512EEEvPfS2_PT_PKS3_PKT0_S9_ifPKiSB_iPKfiiiSD_SD_iiiii
	.p2align	8
	.type	_ZN4vllm25paged_attention_v2_kernelIttLi256ELi8ELi128ELNS_18Fp8KVCacheDataTypeE0ELb1ELi512EEEvPfS2_PT_PKS3_PKT0_S9_ifPKiSB_iPKfiiiSD_SD_iiiii,@function
_ZN4vllm25paged_attention_v2_kernelIttLi256ELi8ELi128ELNS_18Fp8KVCacheDataTypeE0ELb1ELi512EEEvPfS2_PT_PKS3_PKT0_S9_ifPKiSB_iPKfiiiSD_SD_iiiii: ; @_ZN4vllm25paged_attention_v2_kernelIttLi256ELi8ELi128ELNS_18Fp8KVCacheDataTypeE0ELb1ELi512EEEvPfS2_PT_PKS3_PKT0_S9_ifPKiSB_iPKfiiiSD_SD_iiiii
; %bb.0:
	s_load_dwordx2 s[6:7], s[0:1], 0x40
	s_mov_b32 s36, s3
	s_ashr_i32 s37, s3, 31
	s_lshl_b64 s[8:9], s[36:37], 2
	s_waitcnt lgkmcnt(0)
	s_add_u32 s6, s6, s8
	s_addc_u32 s7, s7, s9
	s_load_dword s37, s[6:7], 0x0
	s_lshl_b32 s49, s4, 9
	s_waitcnt lgkmcnt(0)
	s_cmp_ge_i32 s49, s37
	s_cbranch_scc1 .LBB79_67
; %bb.1:
	s_load_dword s5, s[0:1], 0x90
	s_load_dwordx2 s[40:41], s[0:1], 0x30
	s_waitcnt lgkmcnt(0)
	s_abs_i32 s7, s5
	s_abs_i32 s3, s40
	v_cvt_f32_u32_e32 v1, s3
	s_sub_i32 s8, 0, s3
	s_xor_b32 s6, s5, s40
	s_ashr_i32 s6, s6, 31
	v_rcp_iflag_f32_e32 v1, v1
	s_nop 0
	v_mul_f32_e32 v1, 0x4f7ffffe, v1
	v_cvt_u32_f32_e32 v1, v1
	s_nop 0
	v_readfirstlane_b32 s9, v1
	s_mul_i32 s8, s8, s9
	s_mul_hi_u32 s8, s9, s8
	s_add_i32 s9, s9, s8
	s_mul_hi_u32 s8, s7, s9
	s_mul_i32 s9, s8, s3
	s_sub_i32 s7, s7, s9
	s_add_i32 s10, s8, 1
	s_sub_i32 s9, s7, s3
	s_cmp_ge_u32 s7, s3
	s_cselect_b32 s8, s10, s8
	s_cselect_b32 s7, s9, s7
	s_add_i32 s9, s8, 1
	s_cmp_ge_u32 s7, s3
	s_cselect_b32 s3, s9, s8
	s_xor_b32 s3, s3, s6
	s_sub_i32 s24, s3, s6
	s_abs_i32 s38, s24
	v_cvt_f32_u32_e32 v1, s38
	s_load_dwordx2 s[6:7], s[0:1], 0x50
	s_sub_i32 s3, 0, s38
	s_abs_i32 s25, s2
	v_rcp_iflag_f32_e32 v1, v1
	s_nop 0
	v_mul_f32_e32 v1, 0x4f7ffffe, v1
	v_cvt_u32_f32_e32 v1, v1
	s_nop 0
	v_readfirstlane_b32 s8, v1
	s_mul_i32 s3, s3, s8
	s_mul_hi_u32 s3, s8, s3
	s_add_i32 s8, s8, s3
	s_waitcnt lgkmcnt(0)
	s_cmp_eq_u64 s[6:7], 0
	s_mov_b32 s3, 0
	s_cbranch_scc1 .LBB79_3
; %bb.2:
	s_ashr_i32 s3, s2, 31
	s_lshl_b64 s[10:11], s[2:3], 2
	s_add_u32 s6, s6, s10
	s_addc_u32 s7, s7, s11
	s_load_dword s3, s[6:7], 0x0
.LBB79_3:
	s_load_dwordx4 s[20:23], s[0:1], 0x0
	s_load_dwordx2 s[28:29], s[0:1], 0x10
	s_load_dwordx4 s[12:15], s[0:1], 0x20
	s_load_dwordx2 s[34:35], s[0:1], 0x38
	s_load_dword s33, s[0:1], 0x98
	s_load_dwordx4 s[16:19], s[0:1], 0x58
	v_and_b32_e32 v9, 7, v0
	s_lshl_b32 s30, s2, 8
	s_movk_i32 s6, 0x100
	s_mul_hi_u32 s26, s25, s8
	s_ashr_i32 s31, s30, 31
	v_cmp_gt_u32_e32 vcc, s6, v0
	v_lshlrev_b32_e32 v2, 1, v9
	s_and_saveexec_b64 s[6:7], vcc
	s_cbranch_execz .LBB79_6
; %bb.4:
	s_load_dwordx2 s[8:9], s[0:1], 0x18
	s_waitcnt lgkmcnt(0)
	s_mul_i32 s10, s36, s16
	s_ashr_i32 s11, s10, 31
	s_lshl_b64 s[10:11], s[10:11], 1
	s_lshl_b64 s[42:43], s[30:31], 1
	s_add_u32 s10, s10, s42
	s_addc_u32 s11, s11, s43
	v_lshrrev_b32_e32 v4, 3, v0
	s_add_u32 s8, s8, s10
	v_add_u32_e32 v1, -16, v4
	v_lshlrev_b32_e32 v3, 1, v4
	v_lshl_or_b32 v4, v4, 4, v2
	v_mov_b32_e32 v5, 0
	s_addc_u32 s9, s9, s11
	v_lshl_add_u32 v3, v9, 6, v3
	v_lshl_add_u64 v[4:5], s[8:9], 0, v[4:5]
	s_mov_b64 s[8:9], 0
	s_mov_b64 s[10:11], 0x100
.LBB79_5:                               ; =>This Inner Loop Header: Depth=1
	global_load_ushort v6, v[4:5], off
	v_add_co_u32_e32 v1, vcc, 16, v1
	s_xor_b64 s[42:43], vcc, -1
	s_and_b64 s[42:43], exec, s[42:43]
	v_lshl_add_u64 v[4:5], v[4:5], 0, s[10:11]
	s_or_b64 s[8:9], s[42:43], s[8:9]
	s_waitcnt vmcnt(0)
	ds_write_b16 v3, v6
	v_add_u32_e32 v3, 32, v3
	s_andn2_b64 exec, exec, s[8:9]
	s_cbranch_execnz .LBB79_5
.LBB79_6:
	s_or_b64 exec, exec, s[6:7]
	s_ashr_i32 s6, s2, 31
	s_ashr_i32 s7, s24, 31
	s_xor_b32 s6, s6, s7
	s_mul_i32 s7, s26, s38
	s_sub_i32 s7, s25, s7
	s_add_i32 s8, s26, 1
	s_sub_i32 s9, s7, s38
	s_cmp_ge_u32 s7, s38
	s_cselect_b32 s8, s8, s26
	s_load_dwordx4 s[24:27], s[0:1], 0x78
	s_cselect_b32 s7, s9, s7
	s_add_i32 s9, s8, 1
	s_cmp_ge_u32 s7, s38
	s_cselect_b32 s7, s9, s8
	s_load_dword s9, s[0:1], 0x88
	s_waitcnt lgkmcnt(0)
	s_abs_i32 s16, s27
	v_cvt_f32_u32_e32 v1, s16
	s_xor_b32 s7, s7, s6
	s_sub_i32 s8, s7, s6
	s_sub_i32 s6, 0, s16
	v_rcp_iflag_f32_e32 v1, v1
	s_add_i32 s19, s37, -1
	s_abs_i32 s10, s19
	v_mul_f32_e32 v1, 0x4f7ffffe, v1
	v_cvt_u32_f32_e32 v1, v1
	s_barrier
	v_readfirstlane_b32 s31, v1
	s_mul_i32 s6, s6, s31
	s_mul_hi_u32 s6, s31, s6
	s_add_i32 s31, s31, s6
	s_cmp_lt_i32 s9, 0
	s_mul_hi_u32 s11, s10, s31
	s_cbranch_scc0 .LBB79_8
; %bb.7:
	s_mul_i32 s6, s24, s40
	s_add_i32 s6, s8, s6
	s_mul_i32 s6, s6, s9
	s_sub_i32 s46, 1, s6
	s_ashr_i32 s19, s19, 31
	s_ashr_i32 s27, s27, 31
	s_cbranch_execz .LBB79_9
	s_branch .LBB79_10
.LBB79_8:
                                        ; implicit-def: $sgpr46
	s_ashr_i32 s19, s19, 31
	s_ashr_i32 s27, s27, 31
.LBB79_9:
	s_mul_i32 s6, s5, s24
	s_add_i32 s6, s6, s2
	s_mul_i32 s6, s6, s9
	s_add_i32 s46, s6, 1
.LBB79_10:
	s_load_dword s0, s[0:1], 0x48
	s_mul_i32 s6, s11, s16
	s_sub_i32 s6, s10, s6
	s_xor_b32 s1, s19, s27
	s_add_i32 s7, s11, 1
	s_waitcnt lgkmcnt(0)
	s_mul_i32 s38, s36, s0
	s_ashr_i32 s39, s38, 31
	s_sub_i32 s0, s6, s16
	s_cmp_ge_u32 s6, s16
	s_cselect_b32 s7, s7, s11
	s_cselect_b32 s0, s0, s6
	s_add_i32 s6, s7, 1
	s_cmp_ge_u32 s0, s16
	s_cselect_b32 s0, s6, s7
	s_xor_b32 s0, s0, s1
	s_sub_i32 s48, s0, s1
	s_add_i32 s0, s37, 7
	s_ashr_i32 s1, s0, 31
	s_lshr_b32 s1, s1, 29
	s_add_i32 s0, s0, s1
	s_lshl_b32 s40, s4, 6
	s_ashr_i32 s47, s0, 3
	s_add_i32 s0, s40, 64
	v_lshrrev_b32_e32 v6, 6, v0
	s_min_i32 s24, s0, s47
	v_or_b32_e32 v10, s40, v6
	v_cmp_gt_i32_e64 s[0:1], s24, v10
	v_mov_b32_e32 v12, 0xff7fffff
	s_mul_i32 s18, s8, s18
	v_ashrrev_i32_e32 v11, 31, v10
	v_lshl_add_u32 v1, v6, 3, s49
	v_mbcnt_lo_u32_b32 v7, -1, 0
	s_and_saveexec_b64 s[42:43], s[0:1]
	s_cbranch_execz .LBB79_20
; %bb.11:
	s_ashr_i32 s19, s18, 31
	s_sub_i32 s50, s48, s25
	s_lshl_b64 s[6:7], s[18:19], 1
	s_add_u32 s6, s12, s6
	s_addc_u32 s7, s13, s7
	s_abs_i32 s19, s26
	v_cvt_f32_u32_e32 v3, s19
	v_bfe_u32 v8, v0, 3, 3
	v_lshlrev_b32_e32 v4, 4, v8
	v_mov_b32_e32 v5, 0
	v_rcp_iflag_f32_e32 v14, v3
	v_lshl_add_u64 v[12:13], s[6:7], 0, v[4:5]
	v_mov_b32_e32 v3, v5
	v_lshl_add_u64 v[2:3], v[12:13], 0, v[2:3]
	v_mul_f32_e32 v4, 0x4f7ffffe, v14
	v_cvt_u32_f32_e32 v4, v4
	s_sub_i32 s8, 0, s19
	v_lshlrev_b32_e32 v12, 2, v8
	v_lshl_or_b32 v12, v6, 5, v12
	v_mul_lo_u32 v5, s8, v4
	s_lshl_b64 s[8:9], s[38:39], 2
	s_add_u32 s8, s34, s8
	v_add_u32_e32 v15, 0x210, v12
	v_subrev_u32_e32 v12, s37, v8
	v_mbcnt_hi_u32_b32 v18, -1, v7
	v_mul_hi_u32 v5, v4, v5
	s_addc_u32 s9, s35, s9
	v_add_u32_e32 v16, 1, v12
	v_and_b32_e32 v12, 64, v18
	v_cmp_eq_u32_e32 vcc, 0, v9
	s_mov_b32 s51, s17
	v_lshlrev_b32_e32 v9, 6, v9
	v_cmp_neq_f32_e64 s[6:7], s3, 0
	v_add_u32_e32 v13, v4, v5
	v_lshl_add_u64 v[4:5], v[10:11], 2, s[8:9]
	v_lshl_add_u32 v14, v6, 3, s49
	s_mov_b64 s[12:13], 0
	v_mov_b32_e32 v17, 0xff7fffff
	v_add_u32_e32 v19, 64, v12
	v_xor_b32_e32 v20, 4, v18
	v_xor_b32_e32 v21, 2, v18
	;; [unrolled: 1-line block ×3, first 2 shown]
	v_mov_b32_e32 v12, 0xff7fffff
	v_mov_b32_e32 v23, v10
	s_branch .LBB79_14
.LBB79_12:                              ;   in Loop: Header=BB79_14 Depth=1
	s_or_b64 exec, exec, s[44:45]
.LBB79_13:                              ;   in Loop: Header=BB79_14 Depth=1
	s_or_b64 exec, exec, s[10:11]
	v_add_u32_e32 v23, 2, v23
	v_cmp_le_i32_e64 s[8:9], s24, v23
	v_lshl_add_u64 v[4:5], v[4:5], 0, 8
	v_add_u32_e32 v14, 16, v14
	s_or_b64 s[12:13], s[8:9], s[12:13]
	v_add_u32_e32 v15, 64, v15
	s_andn2_b64 exec, exec, s[12:13]
	s_cbranch_execz .LBB79_19
.LBB79_14:                              ; =>This Inner Loop Header: Depth=1
	s_waitcnt lgkmcnt(0)
	v_sub_u32_e32 v25, 0, v14
	v_max_i32_e32 v25, v14, v25
	v_mul_hi_u32 v26, v25, s31
	v_mul_lo_u32 v27, v26, s16
	v_sub_u32_e32 v25, v25, v27
	v_add_u32_e32 v27, 1, v26
	v_cmp_le_u32_e64 s[8:9], s16, v25
	v_ashrrev_i32_e32 v24, 31, v14
	v_xor_b32_e32 v24, s27, v24
	v_cndmask_b32_e64 v26, v26, v27, s[8:9]
	v_subrev_u32_e32 v27, s16, v25
	v_cndmask_b32_e64 v25, v25, v27, s[8:9]
	v_add_u32_e32 v27, 1, v26
	v_cmp_le_u32_e64 s[8:9], s16, v25
	s_nop 1
	v_cndmask_b32_e64 v25, v26, v27, s[8:9]
	v_xor_b32_e32 v25, v25, v24
	v_sub_u32_e32 v24, v25, v24
	v_add_u32_e32 v25, s46, v24
	v_sub_u32_e32 v27, 0, v25
	v_ashrrev_i32_e32 v26, 31, v25
	v_max_i32_e32 v25, v25, v27
	v_mul_hi_u32 v27, v25, v13
	v_mul_lo_u32 v27, v27, s19
	v_sub_u32_e32 v25, v25, v27
	v_subrev_u32_e32 v27, s19, v25
	v_cmp_le_u32_e64 s[8:9], s19, v25
	v_cmp_ge_i32_e64 s[10:11], s50, v24
	s_nop 0
	v_cndmask_b32_e64 v25, v25, v27, s[8:9]
	v_subrev_u32_e32 v27, s19, v25
	v_cmp_le_u32_e64 s[8:9], s19, v25
	s_nop 1
	v_cndmask_b32_e64 v25, v25, v27, s[8:9]
	v_xor_b32_e32 v25, v25, v26
	v_sub_u32_e32 v25, v25, v26
	v_cmp_ne_u32_e64 s[8:9], 0, v25
	s_and_b64 s[8:9], s[8:9], s[10:11]
	s_and_b64 s[44:45], vcc, s[8:9]
	s_and_saveexec_b64 s[10:11], s[44:45]
	s_cbranch_execz .LBB79_16
; %bb.15:                               ;   in Loop: Header=BB79_14 Depth=1
	ds_write_b32 v15, v17
.LBB79_16:                              ;   in Loop: Header=BB79_14 Depth=1
	s_or_b64 exec, exec, s[10:11]
	s_xor_b64 s[8:9], s[8:9], -1
	s_and_saveexec_b64 s[10:11], s[8:9]
	s_cbranch_execz .LBB79_13
; %bb.17:                               ;   in Loop: Header=BB79_14 Depth=1
	global_load_dword v24, v[4:5], off
	s_waitcnt vmcnt(0)
	v_mad_i64_i32 v[24:25], s[8:9], v24, s51, 0
	v_lshl_add_u64 v[24:25], v[24:25], 1, v[2:3]
	global_load_ushort v26, v[24:25], off
	global_load_ushort v27, v[24:25], off offset:128
	global_load_ushort v28, v[24:25], off offset:256
	;; [unrolled: 1-line block ×7, first 2 shown]
	ds_read_u16 v34, v9
	global_load_ushort v35, v[24:25], off offset:1024
	global_load_ushort v36, v[24:25], off offset:1152
	;; [unrolled: 1-line block ×24, first 2 shown]
	s_waitcnt lgkmcnt(0)
	;;#ASMSTART
	v_cvt_f32_f16 v24, v34;
	;;#ASMEND
	v_cmp_lt_i32_e64 s[8:9], v20, v19
	s_waitcnt vmcnt(31)
	;;#ASMSTART
	v_cvt_f32_f16 v25, v26;
	;;#ASMEND
	ds_read_u16 v26, v9 offset:2
	s_waitcnt lgkmcnt(0)
	;;#ASMSTART
	v_cvt_f32_f16 v26, v26;
	;;#ASMEND
	s_waitcnt vmcnt(30)
	;;#ASMSTART
	v_cvt_f32_f16 v27, v27;
	;;#ASMEND
	ds_read_u16 v34, v9 offset:4
	v_mul_f32_e32 v26, v26, v27
	v_fmac_f32_e32 v26, v24, v25
	s_waitcnt lgkmcnt(0)
	;;#ASMSTART
	v_cvt_f32_f16 v34, v34;
	;;#ASMEND
	s_waitcnt vmcnt(29)
	;;#ASMSTART
	v_cvt_f32_f16 v28, v28;
	;;#ASMEND
	ds_read_u16 v59, v9 offset:6
	v_fmac_f32_e32 v26, v34, v28
	s_waitcnt lgkmcnt(0)
	;;#ASMSTART
	v_cvt_f32_f16 v59, v59;
	;;#ASMEND
	s_waitcnt vmcnt(28)
	;;#ASMSTART
	v_cvt_f32_f16 v29, v29;
	;;#ASMEND
	ds_read_u16 v60, v9 offset:8
	;; [unrolled: 10-line block ×27, first 2 shown]
	v_fmac_f32_e32 v26, v33, v34
	s_waitcnt lgkmcnt(0)
	;;#ASMSTART
	v_cvt_f32_f16 v35, v35;
	;;#ASMEND
	s_waitcnt vmcnt(2)
	;;#ASMSTART
	v_cvt_f32_f16 v36, v56;
	;;#ASMEND
	v_cndmask_b32_e64 v80, v18, v20, s[8:9]
	v_fmac_f32_e32 v26, v35, v36
	ds_read_u16 v37, v9 offset:60
	s_waitcnt lgkmcnt(0)
	;;#ASMSTART
	v_cvt_f32_f16 v24, v37;
	;;#ASMEND
	s_waitcnt vmcnt(1)
	;;#ASMSTART
	v_cvt_f32_f16 v25, v57;
	;;#ASMEND
	v_lshlrev_b32_e32 v80, 2, v80
	v_fmac_f32_e32 v26, v24, v25
	ds_read_u16 v27, v9 offset:62
	s_waitcnt lgkmcnt(0)
	;;#ASMSTART
	v_cvt_f32_f16 v24, v27;
	;;#ASMEND
	s_waitcnt vmcnt(0)
	;;#ASMSTART
	v_cvt_f32_f16 v25, v58;
	;;#ASMEND
	v_cmp_lt_i32_e64 s[8:9], v21, v19
	v_fmac_f32_e32 v26, v24, v25
	ds_bpermute_b32 v24, v80, v26
	v_cndmask_b32_e64 v25, v18, v21, s[8:9]
	v_lshlrev_b32_e32 v25, 2, v25
	v_cmp_lt_i32_e64 s[8:9], v22, v19
	s_waitcnt lgkmcnt(0)
	v_add_f32_e32 v24, v26, v24
	ds_bpermute_b32 v25, v25, v24
	v_cndmask_b32_e64 v26, v18, v22, s[8:9]
	s_waitcnt lgkmcnt(0)
	v_add_f32_e32 v24, v24, v25
	v_lshlrev_b32_e32 v25, 2, v26
	ds_bpermute_b32 v25, v25, v24
	s_and_saveexec_b64 s[44:45], vcc
	s_cbranch_execz .LBB79_12
; %bb.18:                               ;   in Loop: Header=BB79_14 Depth=1
	v_add_u32_e32 v26, v16, v14
	v_cvt_f32_i32_e32 v26, v26
	s_waitcnt lgkmcnt(0)
	v_add_f32_e32 v24, v24, v25
	v_add_u32_e32 v27, v8, v14
	v_cmp_gt_i32_e64 s[8:9], s37, v27
	v_mul_f32_e32 v25, s3, v26
	v_cndmask_b32_e64 v25, 0, v25, s[6:7]
	v_fmac_f32_e32 v25, s41, v24
	v_cndmask_b32_e64 v24, 0, v25, s[8:9]
	ds_write_b32 v15, v24
	v_max_f32_e32 v24, v12, v12
	v_max_f32_e32 v24, v24, v25
	v_cndmask_b32_e64 v12, v12, v24, s[8:9]
	s_branch .LBB79_12
.LBB79_19:
	s_or_b64 exec, exec, s[12:13]
.LBB79_20:
	s_or_b64 exec, exec, s[42:43]
	v_mbcnt_hi_u32_b32 v2, -1, v7
	v_and_b32_e32 v3, 64, v2
	v_add_u32_e32 v3, 64, v3
	v_xor_b32_e32 v4, 32, v2
	v_cmp_lt_i32_e32 vcc, v4, v3
	v_xor_b32_e32 v8, 16, v2
	v_max_f32_e32 v5, v12, v12
	v_cndmask_b32_e32 v4, v2, v4, vcc
	v_lshlrev_b32_e32 v7, 2, v4
	ds_bpermute_b32 v4, v7, v12
	v_cmp_lt_i32_e32 vcc, v8, v3
	v_and_b32_e32 v18, 63, v0
	s_waitcnt lgkmcnt(0)
	v_max_f32_e32 v4, v4, v4
	v_max_f32_e32 v4, v5, v4
	v_cndmask_b32_e32 v5, v2, v8, vcc
	v_lshlrev_b32_e32 v9, 2, v5
	ds_bpermute_b32 v5, v9, v4
	v_xor_b32_e32 v8, 8, v2
	v_cmp_lt_i32_e32 vcc, v8, v3
	s_waitcnt lgkmcnt(0)
	v_max_f32_e32 v5, v5, v5
	v_max_f32_e32 v4, v4, v5
	v_cndmask_b32_e32 v5, v2, v8, vcc
	v_lshlrev_b32_e32 v12, 2, v5
	ds_bpermute_b32 v8, v12, v4
	v_cmp_eq_u32_e32 vcc, 0, v18
	v_lshlrev_b32_e32 v5, 2, v6
	s_and_saveexec_b64 s[6:7], vcc
	s_cbranch_execz .LBB79_22
; %bb.21:
	s_waitcnt lgkmcnt(0)
	v_max_f32_e32 v8, v8, v8
	v_max_f32_e32 v4, v4, v4
	;; [unrolled: 1-line block ×3, first 2 shown]
	ds_write_b32 v5, v4 offset:512
.LBB79_22:
	s_or_b64 exec, exec, s[6:7]
	v_cmp_gt_u32_e64 s[6:7], 2, v18
	v_mov_b32_e32 v4, 0xff7fffff
	s_waitcnt lgkmcnt(0)
	v_lshlrev_b32_e32 v8, 2, v18
	s_barrier
	s_and_saveexec_b64 s[8:9], s[6:7]
	s_cbranch_execz .LBB79_24
; %bb.23:
	ds_read_b32 v4, v8 offset:512
.LBB79_24:
	s_or_b64 exec, exec, s[8:9]
	v_xor_b32_e32 v13, 1, v2
	v_cmp_lt_i32_e64 s[8:9], v13, v3
	s_sub_i32 s3, s24, s40
	s_lshl_b32 s3, s3, 3
	v_cndmask_b32_e64 v13, v2, v13, s[8:9]
	v_lshlrev_b32_e32 v13, 2, v13
	s_waitcnt lgkmcnt(0)
	ds_bpermute_b32 v14, v13, v4
	v_max_f32_e32 v4, v4, v4
	s_add_i32 s3, s3, s49
	s_min_i32 s19, s3, s37
	s_sub_i32 s3, s19, s49
	s_waitcnt lgkmcnt(0)
	v_max_f32_e32 v14, v14, v14
	v_max_f32_e32 v4, v4, v14
	v_lshlrev_b32_e32 v14, 2, v2
	v_and_b32_e32 v14, 0x100, v14
	ds_bpermute_b32 v4, v14, v4
	v_cmp_gt_i32_e64 s[8:9], s3, v0
	v_mov_b32_e32 v15, 0
	s_and_saveexec_b64 s[12:13], s[8:9]
	s_cbranch_execz .LBB79_28
; %bb.25:
	v_mov_b32_e32 v15, 0x210
	v_lshl_add_u32 v16, v0, 2, v15
	s_mov_b64 s[40:41], 0
	v_mov_b32_e32 v15, 0
	v_mov_b32_e32 v17, v0
.LBB79_26:                              ; =>This Inner Loop Header: Depth=1
	ds_read_b32 v19, v16
	v_add_u32_e32 v17, 0x80, v17
	v_cmp_le_i32_e64 s[10:11], s3, v17
	s_or_b64 s[40:41], s[10:11], s[40:41]
	s_waitcnt lgkmcnt(0)
	v_sub_f32_e32 v19, v19, v4
	v_mul_f32_e32 v19, 0x3fb8aa3b, v19
	v_exp_f32_e32 v19, v19
	ds_write_b32 v16, v19
	v_add_f32_e32 v15, v15, v19
	v_add_u32_e32 v16, 0x200, v16
	s_andn2_b64 exec, exec, s[40:41]
	s_cbranch_execnz .LBB79_26
; %bb.27:
	s_or_b64 exec, exec, s[40:41]
.LBB79_28:
	s_or_b64 exec, exec, s[12:13]
	ds_bpermute_b32 v7, v7, v15
	s_waitcnt lgkmcnt(0)
	v_add_f32_e32 v7, v15, v7
	ds_bpermute_b32 v9, v9, v7
	s_waitcnt lgkmcnt(0)
	v_add_f32_e32 v7, v7, v9
	ds_bpermute_b32 v9, v12, v7
	v_xor_b32_e32 v12, 4, v2
	v_cmp_lt_i32_e64 s[10:11], v12, v3
	s_waitcnt lgkmcnt(0)
	v_add_f32_e32 v7, v7, v9
	v_cndmask_b32_e64 v12, v2, v12, s[10:11]
	v_lshlrev_b32_e32 v12, 2, v12
	ds_bpermute_b32 v9, v12, v7
	v_xor_b32_e32 v12, 2, v2
	v_cmp_lt_i32_e64 s[10:11], v12, v3
	s_waitcnt lgkmcnt(0)
	v_add_f32_e32 v3, v7, v9
	v_cndmask_b32_e64 v2, v2, v12, s[10:11]
	v_lshlrev_b32_e32 v2, 2, v2
	ds_bpermute_b32 v2, v2, v3
	s_waitcnt lgkmcnt(0)
	v_add_f32_e32 v2, v3, v2
	ds_bpermute_b32 v3, v13, v2
	s_waitcnt lgkmcnt(0)
	v_add_f32_e32 v2, v2, v3
	s_and_saveexec_b64 s[10:11], vcc
	s_cbranch_execz .LBB79_30
; %bb.29:
	ds_write_b32 v5, v2 offset:520
.LBB79_30:
	s_or_b64 exec, exec, s[10:11]
	s_waitcnt lgkmcnt(0)
	s_barrier
	s_and_saveexec_b64 s[10:11], s[6:7]
	s_cbranch_execz .LBB79_32
; %bb.31:
	ds_read_b32 v2, v8 offset:520
.LBB79_32:
	s_or_b64 exec, exec, s[10:11]
	s_waitcnt lgkmcnt(0)
	ds_bpermute_b32 v3, v13, v2
	s_waitcnt lgkmcnt(0)
	v_add_f32_e32 v2, v2, v3
	ds_bpermute_b32 v5, v14, v2
	s_and_saveexec_b64 s[6:7], s[8:9]
	s_cbranch_execz .LBB79_45
; %bb.33:
	s_waitcnt lgkmcnt(0)
	v_add_f32_e32 v2, 0x358637bd, v5
	v_div_scale_f32 v3, s[8:9], v2, v2, 1.0
	v_rcp_f32_e32 v7, v3
	v_div_scale_f32 v8, vcc, 1.0, v2, 1.0
	s_movk_i32 s8, 0x7f
	v_fma_f32 v9, -v3, v7, 1.0
	v_fmac_f32_e32 v7, v9, v7
	v_mul_f32_e32 v9, v8, v7
	v_fma_f32 v12, -v3, v9, v8
	v_fmac_f32_e32 v9, v12, v7
	v_fma_f32 v3, -v3, v9, v8
	v_div_fmas_f32 v3, v3, v7, v9
	v_div_fixup_f32 v2, v3, v2, 1.0
	v_xad_u32 v3, v0, -1, s19
	v_subrev_u32_e32 v7, s49, v3
	v_cmp_lt_u32_e32 vcc, s8, v7
	s_mov_b64 s[10:11], -1
	v_mov_b32_e32 v3, v0
	s_and_saveexec_b64 s[8:9], vcc
	s_cbranch_execz .LBB79_42
; %bb.34:
	v_lshrrev_b32_e32 v7, 7, v7
	v_add_u32_e32 v9, -1, v7
	v_lshrrev_b32_e32 v8, 1, v9
	v_mov_b32_e32 v3, v2
	v_add_u32_e32 v8, 1, v8
	v_cmp_lt_u32_e32 vcc, 13, v9
	v_mov_b32_e32 v13, 0
	s_and_saveexec_b64 s[10:11], vcc
	s_cbranch_execz .LBB79_38
; %bb.35:
	v_mov_b32_e32 v12, 0x210
	v_and_b32_e32 v9, -8, v8
	v_lshl_add_u32 v12, v0, 2, v12
	s_mov_b32 s19, 0
	s_mov_b64 s[12:13], 0
.LBB79_36:                              ; =>This Inner Loop Header: Depth=1
	ds_read2st64_b32 v[14:15], v12 offset1:2
	ds_read2st64_b32 v[16:17], v12 offset0:4 offset1:6
	ds_read2st64_b32 v[20:21], v12 offset0:8 offset1:10
	;; [unrolled: 1-line block ×3, first 2 shown]
	v_add_u32_e32 v9, -8, v9
	s_waitcnt lgkmcnt(3)
	v_pk_mul_f32 v[14:15], v[2:3], v[14:15]
	s_waitcnt lgkmcnt(2)
	v_pk_mul_f32 v[16:17], v[2:3], v[16:17]
	ds_write2st64_b32 v12, v14, v15 offset1:2
	ds_write2st64_b32 v12, v16, v17 offset0:4 offset1:6
	ds_read2st64_b32 v[16:17], v12 offset0:16 offset1:18
	s_waitcnt lgkmcnt(4)
	v_pk_mul_f32 v[14:15], v[2:3], v[20:21]
	ds_write2st64_b32 v12, v14, v15 offset0:8 offset1:10
	s_waitcnt lgkmcnt(4)
	v_pk_mul_f32 v[14:15], v[2:3], v[22:23]
	ds_write2st64_b32 v12, v14, v15 offset0:12 offset1:14
	ds_read2st64_b32 v[14:15], v12 offset0:20 offset1:22
	s_waitcnt lgkmcnt(3)
	v_pk_mul_f32 v[16:17], v[2:3], v[16:17]
	ds_read2st64_b32 v[20:21], v12 offset0:24 offset1:26
	ds_write2st64_b32 v12, v16, v17 offset0:16 offset1:18
	ds_read2st64_b32 v[16:17], v12 offset0:28 offset1:30
	s_waitcnt lgkmcnt(3)
	v_pk_mul_f32 v[14:15], v[2:3], v[14:15]
	ds_write2st64_b32 v12, v14, v15 offset0:20 offset1:22
	s_waitcnt lgkmcnt(3)
	v_pk_mul_f32 v[14:15], v[2:3], v[20:21]
	ds_write2st64_b32 v12, v14, v15 offset0:24 offset1:26
	s_waitcnt lgkmcnt(2)
	v_pk_mul_f32 v[14:15], v[2:3], v[16:17]
	s_add_i32 s19, s19, 16
	v_cmp_eq_u32_e32 vcc, 0, v9
	ds_write2st64_b32 v12, v14, v15 offset0:28 offset1:30
	v_add_u32_e32 v12, 0x2000, v12
	s_or_b64 s[12:13], vcc, s[12:13]
	v_mov_b32_e32 v13, s19
	s_andn2_b64 exec, exec, s[12:13]
	s_cbranch_execnz .LBB79_36
; %bb.37:
	s_or_b64 exec, exec, s[12:13]
.LBB79_38:
	s_or_b64 exec, exec, s[10:11]
	v_and_b32_e32 v8, 7, v8
	v_cmp_ne_u32_e32 vcc, 0, v8
	s_and_saveexec_b64 s[10:11], vcc
	s_cbranch_execz .LBB79_41
; %bb.39:
	v_lshlrev_b32_e32 v9, 9, v13
	v_lshlrev_b32_e32 v12, 2, v0
	s_movk_i32 s12, 0x210
	v_add3_u32 v9, v9, v12, s12
	s_mov_b64 s[12:13], 0
.LBB79_40:                              ; =>This Inner Loop Header: Depth=1
	ds_read2st64_b32 v[12:13], v9 offset1:2
	v_add_u32_e32 v8, -1, v8
	v_cmp_eq_u32_e32 vcc, 0, v8
	s_or_b64 s[12:13], vcc, s[12:13]
	s_waitcnt lgkmcnt(0)
	v_pk_mul_f32 v[12:13], v[2:3], v[12:13]
	ds_write2st64_b32 v9, v12, v13 offset1:2
	v_add_u32_e32 v9, 0x400, v9
	s_andn2_b64 exec, exec, s[12:13]
	s_cbranch_execnz .LBB79_40
.LBB79_41:
	s_or_b64 exec, exec, s[10:11]
	v_add_u32_e32 v7, 1, v7
	v_and_b32_e32 v8, 0x3fffffe, v7
	v_cmp_ne_u32_e32 vcc, v7, v8
	v_lshl_add_u32 v3, v8, 7, v0
	s_orn2_b64 s[10:11], vcc, exec
.LBB79_42:
	s_or_b64 exec, exec, s[8:9]
	s_and_b64 exec, exec, s[10:11]
	s_cbranch_execz .LBB79_45
; %bb.43:
	v_mov_b32_e32 v7, 0x210
	v_lshl_add_u32 v7, v3, 2, v7
	s_mov_b64 s[8:9], 0
.LBB79_44:                              ; =>This Inner Loop Header: Depth=1
	ds_read_b32 v8, v7
	v_add_u32_e32 v3, 0x80, v3
	v_cmp_le_i32_e32 vcc, s3, v3
	s_or_b64 s[8:9], vcc, s[8:9]
	s_waitcnt lgkmcnt(0)
	v_mul_f32_e32 v8, v2, v8
	ds_write_b32 v7, v8
	v_add_u32_e32 v7, 0x200, v7
	s_andn2_b64 exec, exec, s[8:9]
	s_cbranch_execnz .LBB79_44
.LBB79_45:
	s_or_b64 exec, exec, s[6:7]
	s_mul_i32 s3, s33, s36
	s_mov_b32 s8, 0
	v_cmp_eq_u32_e32 vcc, 0, v0
	s_mul_i32 s6, s3, s5
	s_waitcnt lgkmcnt(0)
	s_barrier
	s_and_saveexec_b64 s[10:11], vcc
	s_cbranch_execz .LBB79_47
; %bb.46:
	s_ashr_i32 s7, s6, 31
	s_lshl_b64 s[12:13], s[6:7], 2
	s_add_u32 s5, s22, s12
	s_mul_i32 s2, s33, s2
	s_addc_u32 s7, s23, s13
	s_ashr_i32 s3, s2, 31
	s_lshl_b64 s[2:3], s[2:3], 2
	s_add_u32 s9, s5, s2
	s_addc_u32 s7, s7, s3
	s_ashr_i32 s5, s4, 31
	s_lshl_b64 s[22:23], s[4:5], 2
	s_add_u32 s40, s9, s22
	s_addc_u32 s41, s7, s23
	s_add_u32 s5, s20, s12
	s_addc_u32 s7, s21, s13
	;; [unrolled: 2-line block ×3, first 2 shown]
	s_add_u32 s2, s2, s22
	v_mov_b32_e32 v2, 0
	s_addc_u32 s3, s3, s23
	global_store_dword v2, v4, s[40:41]
	global_store_dword v2, v5, s[2:3]
.LBB79_47:
	s_or_b64 exec, exec, s[10:11]
	s_mov_b32 s9, s8
	s_mov_b32 s10, s8
	;; [unrolled: 1-line block ×3, first 2 shown]
	v_mov_b64_e32 v[2:3], s[8:9]
	v_mov_b64_e32 v[4:5], s[10:11]
	s_and_saveexec_b64 s[2:3], s[0:1]
	s_cbranch_execz .LBB79_61
; %bb.48:
	s_ashr_i32 s19, s18, 31
	s_sub_i32 s5, s48, s25
	s_lshl_b64 s[0:1], s[18:19], 1
	s_add_u32 s0, s14, s0
	s_addc_u32 s1, s15, s1
	s_abs_i32 s14, s26
	v_cvt_f32_u32_e32 v2, s14
	s_sub_i32 s8, 0, s14
	s_add_i32 s47, s47, -1
	s_mov_b32 s40, 0
	v_rcp_iflag_f32_e32 v2, v2
	s_mov_b32 s41, s40
	s_mov_b32 s42, s40
	;; [unrolled: 1-line block ×3, first 2 shown]
	v_mul_f32_e32 v2, 0x4f7ffffe, v2
	v_cvt_u32_f32_e32 v2, v2
	s_mov_b32 s7, s17
	s_mov_b32 s15, s37
	s_mov_b32 s17, s37
	v_mul_lo_u32 v3, s8, v2
	v_mul_hi_u32 v3, v2, v3
	v_add_u32_e32 v19, v2, v3
	v_mov_b32_e32 v3, 0
	v_lshlrev_b32_e32 v2, 4, v18
	v_lshl_add_u64 v[12:13], s[0:1], 0, v[2:3]
	s_lshl_b64 s[0:1], s[38:39], 2
	s_add_u32 s0, s34, s0
	s_addc_u32 s1, s35, s1
	v_mov_b32_e32 v2, 0x210
	v_lshl_add_u64 v[14:15], v[10:11], 2, s[0:1]
	v_lshl_add_u32 v11, v6, 5, v2
	v_mov_b64_e32 v[2:3], s[40:41]
	s_mov_b32 s18, s37
	s_mov_b32 s19, s37
	;; [unrolled: 1-line block ×5, first 2 shown]
	s_mov_b64 s[8:9], 0
	v_mov_b64_e32 v[4:5], s[42:43]
	s_mov_b32 s23, 0x5040100
	s_branch .LBB79_51
.LBB79_49:                              ;   in Loop: Header=BB79_51 Depth=1
	s_or_b64 exec, exec, s[0:1]
	s_waitcnt vmcnt(0)
	;;#ASMSTART
	v_pk_mul_f16 v6, v30, v6;

	;;#ASMEND
	;;#ASMSTART
	v_pk_mul_f16 v7, v29, v7;

	;;#ASMEND
	;; [unrolled: 4-line block ×4, first 2 shown]
	v_add_f32_e32 v16, v31, v32
	;;#ASMSTART
	v_pk_add_f16 v6, v6, v7;

	;;#ASMEND
	v_add_f32_e32 v2, v2, v16
	;;#ASMSTART
	v_pk_add_f16 v6, v6, v8;

	;;#ASMEND
	;; [unrolled: 5-line block ×3, first 2 shown]
	v_add_f32_e32 v3, v3, v16
	v_lshrrev_b32_e32 v7, 16, v6
	v_and_b32_e32 v6, 0xffff, v6
	;;#ASMSTART
	v_cvt_f32_f16 v6, v6;
	;;#ASMEND
	v_add_f32_e32 v16, v35, v36
	;;#ASMSTART
	v_cvt_f32_f16 v7, v7;
	;;#ASMEND
	v_add_f32_e32 v4, v4, v16
	v_add_f32_e32 v6, v6, v7
	v_add_f32_e32 v5, v5, v6
.LBB79_50:                              ;   in Loop: Header=BB79_51 Depth=1
	s_or_b64 exec, exec, s[10:11]
	v_add_u32_e32 v10, 2, v10
	v_cmp_le_i32_e32 vcc, s24, v10
	v_lshl_add_u64 v[14:15], v[14:15], 0, 8
	v_add_u32_e32 v1, 16, v1
	s_or_b64 s[8:9], vcc, s[8:9]
	v_add_u32_e32 v11, 64, v11
	s_andn2_b64 exec, exec, s[8:9]
	s_cbranch_execz .LBB79_60
.LBB79_51:                              ; =>This Inner Loop Header: Depth=1
	v_sub_u32_e32 v7, 0, v1
	v_max_i32_e32 v7, v1, v7
	v_mul_hi_u32 v8, v7, s31
	v_mul_lo_u32 v9, v8, s16
	v_sub_u32_e32 v7, v7, v9
	v_add_u32_e32 v9, 1, v8
	v_cmp_le_u32_e32 vcc, s16, v7
	v_ashrrev_i32_e32 v6, 31, v1
	v_xor_b32_e32 v6, s27, v6
	v_cndmask_b32_e32 v8, v8, v9, vcc
	v_subrev_u32_e32 v9, s16, v7
	v_cndmask_b32_e32 v7, v7, v9, vcc
	v_add_u32_e32 v9, 1, v8
	v_cmp_le_u32_e32 vcc, s16, v7
	s_nop 1
	v_cndmask_b32_e32 v7, v8, v9, vcc
	v_xor_b32_e32 v7, v7, v6
	v_sub_u32_e32 v6, v7, v6
	v_add_u32_e32 v7, s46, v6
	v_sub_u32_e32 v9, 0, v7
	v_ashrrev_i32_e32 v8, 31, v7
	v_max_i32_e32 v7, v7, v9
	v_mul_hi_u32 v9, v7, v19
	v_mul_lo_u32 v9, v9, s14
	v_sub_u32_e32 v7, v7, v9
	v_subrev_u32_e32 v9, s14, v7
	v_cmp_le_u32_e32 vcc, s14, v7
	v_cmp_lt_i32_e64 s[0:1], s5, v6
	s_nop 0
	v_cndmask_b32_e32 v7, v7, v9, vcc
	v_subrev_u32_e32 v9, s14, v7
	v_cmp_le_u32_e32 vcc, s14, v7
	s_nop 1
	v_cndmask_b32_e32 v7, v7, v9, vcc
	v_xor_b32_e32 v7, v7, v8
	v_sub_u32_e32 v7, v7, v8
	v_cmp_eq_u32_e32 vcc, 0, v7
	s_or_b64 s[0:1], vcc, s[0:1]
	s_and_saveexec_b64 s[10:11], s[0:1]
	s_cbranch_execz .LBB79_50
; %bb.52:                               ;   in Loop: Header=BB79_51 Depth=1
	global_load_dword v16, v[14:15], off
	ds_read2_b64 v[6:9], v11 offset1:1
	ds_read2_b64 v[20:23], v11 offset0:2 offset1:3
	v_cmp_eq_u32_e32 vcc, s47, v10
	v_or_b32_e32 v24, 5, v1
	s_waitcnt lgkmcnt(1)
	;;#ASMSTART
	v_cvt_f16_f32 v27, v6;

	;;#ASMEND
	;;#ASMSTART
	v_cvt_f16_f32 v28, v7;

	;;#ASMEND
	;; [unrolled: 4-line block ×4, first 2 shown]
	s_waitcnt lgkmcnt(0)
	;;#ASMSTART
	v_cvt_f16_f32 v32, v20;

	;;#ASMEND
	;;#ASMSTART
	v_cvt_f16_f32 v33, v21;

	;;#ASMEND
	;; [unrolled: 4-line block ×4, first 2 shown]
	v_add_u32_e32 v20, 1, v1
	v_or_b32_e32 v22, 3, v1
	v_or_b32_e32 v21, 2, v1
	;; [unrolled: 1-line block ×5, first 2 shown]
	s_waitcnt vmcnt(0)
	v_mad_i64_i32 v[6:7], s[0:1], v16, s7, 0
	v_lshl_add_u64 v[16:17], v[6:7], 1, v[12:13]
	global_load_dwordx4 v[6:9], v[16:17], off
	s_and_saveexec_b64 s[12:13], vcc
	s_cbranch_execz .LBB79_54
; %bb.53:                               ;   in Loop: Header=BB79_51 Depth=1
	s_waitcnt vmcnt(0)
	v_lshrrev_b32_e32 v30, 16, v9
	v_cmp_gt_i32_e64 s[0:1], s22, v26
	s_nop 1
	v_cndmask_b32_e64 v30, 0, v30, s[0:1]
	v_cmp_gt_i32_e64 s[0:1], s21, v25
	s_nop 1
	v_cndmask_b32_e64 v9, 0, v9, s[0:1]
	v_perm_b32 v9, v30, v9, s23
	v_lshrrev_b32_e32 v30, 16, v8
	v_cmp_gt_i32_e64 s[0:1], s20, v24
	s_nop 1
	v_cndmask_b32_e64 v30, 0, v30, s[0:1]
	v_cmp_gt_i32_e64 s[0:1], s19, v23
	s_nop 1
	v_cndmask_b32_e64 v8, 0, v8, s[0:1]
	v_perm_b32 v8, v30, v8, s23
	;; [unrolled: 8-line block ×4, first 2 shown]
.LBB79_54:                              ;   in Loop: Header=BB79_51 Depth=1
	s_or_b64 exec, exec, s[12:13]
	v_and_b32_e32 v27, 0xffff, v27
	v_lshl_or_b32 v30, v28, 16, v27
	v_and_b32_e32 v27, 0xffff, v29
	v_lshl_or_b32 v29, v31, 16, v27
	;; [unrolled: 2-line block ×3, first 2 shown]
	v_and_b32_e32 v27, 0xffff, v34
	s_waitcnt vmcnt(0)
	;;#ASMSTART
	v_pk_mul_f16 v6, v30, v6;

	;;#ASMEND
	v_lshl_or_b32 v27, v35, 16, v27
	;;#ASMSTART
	v_pk_mul_f16 v7, v29, v7;

	;;#ASMEND
	;;#ASMSTART
	v_pk_mul_f16 v8, v28, v8;

	;;#ASMEND
	;; [unrolled: 4-line block ×3, first 2 shown]
	s_nop 0
	;;#ASMSTART
	v_pk_add_f16 v6, v6, v7;

	;;#ASMEND
	s_nop 0
	;;#ASMSTART
	v_pk_add_f16 v6, v6, v8;

	;;#ASMEND
	;; [unrolled: 5-line block ×3, first 2 shown]
	s_nop 0
	v_lshrrev_b32_e32 v7, 16, v6
	v_and_b32_e32 v6, 0xffff, v6
	;;#ASMSTART
	v_cvt_f32_f16 v31, v6;
	;;#ASMEND
	;;#ASMSTART
	v_cvt_f32_f16 v32, v7;
	;;#ASMEND
	global_load_dwordx4 v[6:9], v[16:17], off offset:1024
	s_and_saveexec_b64 s[12:13], vcc
	s_cbranch_execz .LBB79_56
; %bb.55:                               ;   in Loop: Header=BB79_51 Depth=1
	s_waitcnt vmcnt(0)
	v_lshrrev_b32_e32 v33, 16, v9
	v_cmp_gt_i32_e64 s[0:1], s22, v26
	s_nop 1
	v_cndmask_b32_e64 v33, 0, v33, s[0:1]
	v_cmp_gt_i32_e64 s[0:1], s21, v25
	s_nop 1
	v_cndmask_b32_e64 v9, 0, v9, s[0:1]
	v_perm_b32 v9, v33, v9, s23
	v_lshrrev_b32_e32 v33, 16, v8
	v_cmp_gt_i32_e64 s[0:1], s20, v24
	s_nop 1
	v_cndmask_b32_e64 v33, 0, v33, s[0:1]
	v_cmp_gt_i32_e64 s[0:1], s19, v23
	s_nop 1
	v_cndmask_b32_e64 v8, 0, v8, s[0:1]
	v_perm_b32 v8, v33, v8, s23
	v_lshrrev_b32_e32 v33, 16, v7
	v_cmp_gt_i32_e64 s[0:1], s18, v22
	s_nop 1
	v_cndmask_b32_e64 v33, 0, v33, s[0:1]
	v_cmp_gt_i32_e64 s[0:1], s17, v21
	s_nop 1
	v_cndmask_b32_e64 v7, 0, v7, s[0:1]
	v_perm_b32 v7, v33, v7, s23
	v_lshrrev_b32_e32 v33, 16, v6
	v_cmp_gt_i32_e64 s[0:1], s15, v20
	s_nop 1
	v_cndmask_b32_e64 v33, 0, v33, s[0:1]
	v_cmp_gt_i32_e64 s[0:1], s37, v1
	s_nop 1
	v_cndmask_b32_e64 v6, 0, v6, s[0:1]
	v_perm_b32 v6, v33, v6, s23
.LBB79_56:                              ;   in Loop: Header=BB79_51 Depth=1
	s_or_b64 exec, exec, s[12:13]
	s_waitcnt vmcnt(0)
	;;#ASMSTART
	v_pk_mul_f16 v6, v30, v6;

	;;#ASMEND
	;;#ASMSTART
	v_pk_mul_f16 v7, v29, v7;

	;;#ASMEND
	;; [unrolled: 4-line block ×4, first 2 shown]
	s_nop 0
	;;#ASMSTART
	v_pk_add_f16 v6, v6, v7;

	;;#ASMEND
	s_nop 0
	;;#ASMSTART
	v_pk_add_f16 v6, v6, v8;

	;;#ASMEND
	;; [unrolled: 5-line block ×3, first 2 shown]
	s_nop 0
	v_lshrrev_b32_e32 v7, 16, v6
	v_and_b32_e32 v6, 0xffff, v6
	;;#ASMSTART
	v_cvt_f32_f16 v33, v6;
	;;#ASMEND
	;;#ASMSTART
	v_cvt_f32_f16 v34, v7;
	;;#ASMEND
	global_load_dwordx4 v[6:9], v[16:17], off offset:2048
	s_and_saveexec_b64 s[12:13], vcc
	s_cbranch_execz .LBB79_58
; %bb.57:                               ;   in Loop: Header=BB79_51 Depth=1
	s_waitcnt vmcnt(0)
	v_lshrrev_b32_e32 v35, 16, v9
	v_cmp_gt_i32_e64 s[0:1], s22, v26
	s_nop 1
	v_cndmask_b32_e64 v35, 0, v35, s[0:1]
	v_cmp_gt_i32_e64 s[0:1], s21, v25
	s_nop 1
	v_cndmask_b32_e64 v9, 0, v9, s[0:1]
	v_perm_b32 v9, v35, v9, s23
	v_lshrrev_b32_e32 v35, 16, v8
	v_cmp_gt_i32_e64 s[0:1], s20, v24
	s_nop 1
	v_cndmask_b32_e64 v35, 0, v35, s[0:1]
	v_cmp_gt_i32_e64 s[0:1], s19, v23
	s_nop 1
	v_cndmask_b32_e64 v8, 0, v8, s[0:1]
	v_perm_b32 v8, v35, v8, s23
	;; [unrolled: 8-line block ×4, first 2 shown]
.LBB79_58:                              ;   in Loop: Header=BB79_51 Depth=1
	s_or_b64 exec, exec, s[12:13]
	s_waitcnt vmcnt(0)
	;;#ASMSTART
	v_pk_mul_f16 v6, v30, v6;

	;;#ASMEND
	;;#ASMSTART
	v_pk_mul_f16 v7, v29, v7;

	;;#ASMEND
	;; [unrolled: 4-line block ×4, first 2 shown]
	s_nop 0
	;;#ASMSTART
	v_pk_add_f16 v6, v6, v7;

	;;#ASMEND
	s_nop 0
	;;#ASMSTART
	v_pk_add_f16 v6, v6, v8;

	;;#ASMEND
	;; [unrolled: 5-line block ×3, first 2 shown]
	s_nop 0
	v_lshrrev_b32_e32 v7, 16, v6
	v_and_b32_e32 v6, 0xffff, v6
	;;#ASMSTART
	v_cvt_f32_f16 v35, v6;
	;;#ASMEND
	;;#ASMSTART
	v_cvt_f32_f16 v36, v7;
	;;#ASMEND
	global_load_dwordx4 v[6:9], v[16:17], off offset:3072
	s_and_saveexec_b64 s[0:1], vcc
	s_cbranch_execz .LBB79_49
; %bb.59:                               ;   in Loop: Header=BB79_51 Depth=1
	s_waitcnt vmcnt(0)
	v_lshrrev_b32_e32 v16, 16, v9
	v_cmp_gt_i32_e32 vcc, s22, v26
	s_nop 1
	v_cndmask_b32_e32 v16, 0, v16, vcc
	v_cmp_gt_i32_e32 vcc, s21, v25
	s_nop 1
	v_cndmask_b32_e32 v9, 0, v9, vcc
	v_perm_b32 v9, v16, v9, s23
	v_lshrrev_b32_e32 v16, 16, v8
	v_cmp_gt_i32_e32 vcc, s20, v24
	s_nop 1
	v_cndmask_b32_e32 v16, 0, v16, vcc
	v_cmp_gt_i32_e32 vcc, s19, v23
	s_nop 1
	v_cndmask_b32_e32 v8, 0, v8, vcc
	v_perm_b32 v8, v16, v8, s23
	;; [unrolled: 8-line block ×4, first 2 shown]
	s_branch .LBB79_49
.LBB79_60:
	s_or_b64 exec, exec, s[8:9]
.LBB79_61:
	s_or_b64 exec, exec, s[2:3]
	v_and_b32_e32 v1, 0x3c0, v0
	v_cmp_eq_u32_e32 vcc, 64, v1
	s_barrier
	s_and_saveexec_b64 s[0:1], vcc
	s_cbranch_execz .LBB79_63
; %bb.62:
	v_lshlrev_b32_e32 v1, 2, v0
	v_mov_b32_e32 v7, 0x210
	v_or_b32_e32 v6, 0x300, v1
	v_lshl_add_u32 v7, v18, 2, v7
	v_add_u32_e32 v6, 0x210, v6
	v_add_u32_e32 v1, 0x210, v1
	ds_write_b32 v7, v2
	ds_write_b32 v1, v3
	ds_write_b32 v7, v4 offset:512
	ds_write_b32 v6, v5
.LBB79_63:
	s_or_b64 exec, exec, s[0:1]
	v_cmp_gt_u32_e32 vcc, 64, v0
	s_waitcnt lgkmcnt(0)
	s_barrier
	s_and_saveexec_b64 s[0:1], vcc
	s_cbranch_execz .LBB79_65
; %bb.64:
	v_mov_b32_e32 v1, 0x210
	v_lshl_add_u32 v1, v0, 2, v1
	ds_read2st64_b32 v[6:7], v1 offset0:2 offset1:3
	ds_read2st64_b32 v[8:9], v1 offset1:1
	s_waitcnt lgkmcnt(1)
	v_pk_add_f32 v[4:5], v[4:5], v[6:7]
	s_waitcnt lgkmcnt(0)
	v_pk_add_f32 v[2:3], v[2:3], v[8:9]
.LBB79_65:
	s_or_b64 exec, exec, s[0:1]
	s_barrier
	s_and_saveexec_b64 s[0:1], vcc
	s_cbranch_execz .LBB79_67
; %bb.66:
	s_lshl_b32 s0, s6, 8
	s_ashr_i32 s1, s0, 31
	s_lshl_b64 s[0:1], s[0:1], 1
	s_add_u32 s2, s28, s0
	s_mul_i32 s0, s33, s30
	s_addc_u32 s3, s29, s1
	s_ashr_i32 s1, s0, 31
	s_lshl_b64 s[0:1], s[0:1], 1
	s_add_u32 s2, s2, s0
	s_addc_u32 s3, s3, s1
	s_lshl_b32 s0, s4, 8
	s_ashr_i32 s1, s0, 31
	s_lshl_b64 s[0:1], s[0:1], 1
	s_add_u32 s0, s2, s0
	s_addc_u32 s1, s3, s1
	v_lshlrev_b32_e32 v0, 1, v0
	;;#ASMSTART
	v_cvt_f16_f32 v1, v2;

	;;#ASMEND
	global_store_short v0, v1, s[0:1]
	;;#ASMSTART
	v_cvt_f16_f32 v1, v3;

	;;#ASMEND
	global_store_short v0, v1, s[0:1] offset:128
	;;#ASMSTART
	v_cvt_f16_f32 v1, v4;

	;;#ASMEND
	global_store_short v0, v1, s[0:1] offset:256
	;; [unrolled: 5-line block ×3, first 2 shown]
.LBB79_67:
	s_endpgm
	.section	.rodata,"a",@progbits
	.p2align	6, 0x0
	.amdhsa_kernel _ZN4vllm25paged_attention_v2_kernelIttLi256ELi8ELi128ELNS_18Fp8KVCacheDataTypeE0ELb1ELi512EEEvPfS2_PT_PKS3_PKT0_S9_ifPKiSB_iPKfiiiSD_SD_iiiii
		.amdhsa_group_segment_fixed_size 528
		.amdhsa_private_segment_fixed_size 0
		.amdhsa_kernarg_size 400
		.amdhsa_user_sgpr_count 2
		.amdhsa_user_sgpr_dispatch_ptr 0
		.amdhsa_user_sgpr_queue_ptr 0
		.amdhsa_user_sgpr_kernarg_segment_ptr 1
		.amdhsa_user_sgpr_dispatch_id 0
		.amdhsa_user_sgpr_kernarg_preload_length 0
		.amdhsa_user_sgpr_kernarg_preload_offset 0
		.amdhsa_user_sgpr_private_segment_size 0
		.amdhsa_uses_dynamic_stack 0
		.amdhsa_enable_private_segment 0
		.amdhsa_system_sgpr_workgroup_id_x 1
		.amdhsa_system_sgpr_workgroup_id_y 1
		.amdhsa_system_sgpr_workgroup_id_z 1
		.amdhsa_system_sgpr_workgroup_info 0
		.amdhsa_system_vgpr_workitem_id 0
		.amdhsa_next_free_vgpr 82
		.amdhsa_next_free_sgpr 52
		.amdhsa_accum_offset 84
		.amdhsa_reserve_vcc 1
		.amdhsa_float_round_mode_32 0
		.amdhsa_float_round_mode_16_64 0
		.amdhsa_float_denorm_mode_32 3
		.amdhsa_float_denorm_mode_16_64 3
		.amdhsa_dx10_clamp 1
		.amdhsa_ieee_mode 1
		.amdhsa_fp16_overflow 0
		.amdhsa_tg_split 0
		.amdhsa_exception_fp_ieee_invalid_op 0
		.amdhsa_exception_fp_denorm_src 0
		.amdhsa_exception_fp_ieee_div_zero 0
		.amdhsa_exception_fp_ieee_overflow 0
		.amdhsa_exception_fp_ieee_underflow 0
		.amdhsa_exception_fp_ieee_inexact 0
		.amdhsa_exception_int_div_zero 0
	.end_amdhsa_kernel
	.section	.text._ZN4vllm25paged_attention_v2_kernelIttLi256ELi8ELi128ELNS_18Fp8KVCacheDataTypeE0ELb1ELi512EEEvPfS2_PT_PKS3_PKT0_S9_ifPKiSB_iPKfiiiSD_SD_iiiii,"axG",@progbits,_ZN4vllm25paged_attention_v2_kernelIttLi256ELi8ELi128ELNS_18Fp8KVCacheDataTypeE0ELb1ELi512EEEvPfS2_PT_PKS3_PKT0_S9_ifPKiSB_iPKfiiiSD_SD_iiiii,comdat
.Lfunc_end79:
	.size	_ZN4vllm25paged_attention_v2_kernelIttLi256ELi8ELi128ELNS_18Fp8KVCacheDataTypeE0ELb1ELi512EEEvPfS2_PT_PKS3_PKT0_S9_ifPKiSB_iPKfiiiSD_SD_iiiii, .Lfunc_end79-_ZN4vllm25paged_attention_v2_kernelIttLi256ELi8ELi128ELNS_18Fp8KVCacheDataTypeE0ELb1ELi512EEEvPfS2_PT_PKS3_PKT0_S9_ifPKiSB_iPKfiiiSD_SD_iiiii
                                        ; -- End function
	.section	.AMDGPU.csdata,"",@progbits
; Kernel info:
; codeLenInByte = 6828
; NumSgprs: 58
; NumVgprs: 82
; NumAgprs: 0
; TotalNumVgprs: 82
; ScratchSize: 0
; MemoryBound: 0
; FloatMode: 240
; IeeeMode: 1
; LDSByteSize: 528 bytes/workgroup (compile time only)
; SGPRBlocks: 7
; VGPRBlocks: 10
; NumSGPRsForWavesPerEU: 58
; NumVGPRsForWavesPerEU: 82
; AccumOffset: 84
; Occupancy: 5
; WaveLimiterHint : 1
; COMPUTE_PGM_RSRC2:SCRATCH_EN: 0
; COMPUTE_PGM_RSRC2:USER_SGPR: 2
; COMPUTE_PGM_RSRC2:TRAP_HANDLER: 0
; COMPUTE_PGM_RSRC2:TGID_X_EN: 1
; COMPUTE_PGM_RSRC2:TGID_Y_EN: 1
; COMPUTE_PGM_RSRC2:TGID_Z_EN: 1
; COMPUTE_PGM_RSRC2:TIDIG_COMP_CNT: 0
; COMPUTE_PGM_RSRC3_GFX90A:ACCUM_OFFSET: 20
; COMPUTE_PGM_RSRC3_GFX90A:TG_SPLIT: 0
	.section	.text._ZN4vllm32paged_attention_v2_reduce_kernelItLi256ELi128ELi512EEEvPT_PKfS4_PKS1_PKii,"axG",@progbits,_ZN4vllm32paged_attention_v2_reduce_kernelItLi256ELi128ELi512EEEvPT_PKfS4_PKS1_PKii,comdat
	.protected	_ZN4vllm32paged_attention_v2_reduce_kernelItLi256ELi128ELi512EEEvPT_PKfS4_PKS1_PKii ; -- Begin function _ZN4vllm32paged_attention_v2_reduce_kernelItLi256ELi128ELi512EEEvPT_PKfS4_PKS1_PKii
	.globl	_ZN4vllm32paged_attention_v2_reduce_kernelItLi256ELi128ELi512EEEvPT_PKfS4_PKS1_PKii
	.p2align	8
	.type	_ZN4vllm32paged_attention_v2_reduce_kernelItLi256ELi128ELi512EEEvPT_PKfS4_PKS1_PKii,@function
_ZN4vllm32paged_attention_v2_reduce_kernelItLi256ELi128ELi512EEEvPT_PKfS4_PKS1_PKii: ; @_ZN4vllm32paged_attention_v2_reduce_kernelItLi256ELi128ELi512EEEvPT_PKfS4_PKS1_PKii
; %bb.0:
	s_load_dwordx4 s[8:11], s[0:1], 0x18
	s_add_u32 s6, s0, 48
	s_mov_b32 s12, s3
	s_addc_u32 s7, s1, 0
	s_ashr_i32 s13, s3, 31
	s_lshl_b64 s[4:5], s[12:13], 2
	s_waitcnt lgkmcnt(0)
	s_add_u32 s4, s10, s4
	s_addc_u32 s5, s11, s5
	s_load_dword s24, s[4:5], 0x0
	s_load_dwordx2 s[10:11], s[0:1], 0x0
	s_load_dword s3, s[0:1], 0x28
	s_load_dword s13, s[0:1], 0x30
	s_waitcnt lgkmcnt(0)
	s_add_i32 s4, s24, -1
	s_cmpk_gt_u32 s4, 0x1ff
	s_mov_b64 s[4:5], -1
	s_cbranch_scc0 .LBB80_24
; %bb.1:
	s_add_i32 s4, s24, 0x1ff
	s_load_dwordx2 s[18:19], s[0:1], 0x8
	s_ashr_i32 s5, s4, 31
	s_lshr_b32 s5, s5, 23
	s_add_i32 s4, s4, s5
	s_mul_i32 s26, s13, s12
	s_ashr_i32 s25, s4, 9
	s_mul_i32 s14, s26, s3
	s_mul_i32 s16, s2, s3
	s_ashr_i32 s15, s14, 31
	s_ashr_i32 s17, s16, 31
	v_cmp_gt_i32_e32 vcc, s25, v0
	v_mov_b32_e32 v4, 0xff7fffff
	s_and_saveexec_b64 s[4:5], vcc
	s_cbranch_execz .LBB80_5
; %bb.2:
	s_load_dword s20, s[6:7], 0xc
	s_load_dwordx2 s[22:23], s[0:1], 0x10
	s_lshl_b64 s[0:1], s[14:15], 2
	s_lshl_b64 s[28:29], s[16:17], 2
	v_lshlrev_b32_e32 v4, 2, v0
	s_waitcnt lgkmcnt(0)
	s_and_b32 s27, s20, 0xffff
	s_add_u32 s0, s0, s28
	s_addc_u32 s1, s1, s29
	s_add_u32 s0, s22, s0
	v_mov_b32_e32 v5, 0
	s_addc_u32 s1, s23, s1
	s_mov_b32 s21, 0
	v_lshl_add_u64 v[2:3], s[0:1], 0, v[4:5]
	s_lshl_b32 s20, s27, 2
	v_add_u32_e32 v1, 16, v4
	s_mov_b64 s[22:23], 0
	v_mov_b32_e32 v4, 0xff7fffff
	v_mov_b32_e32 v5, v0
.LBB80_3:                               ; =>This Inner Loop Header: Depth=1
	global_load_dword v6, v[2:3], off
	v_add_u32_e32 v5, s27, v5
	v_max_f32_e32 v4, v4, v4
	v_cmp_le_i32_e64 s[0:1], s25, v5
	v_lshl_add_u64 v[2:3], v[2:3], 0, s[20:21]
	s_or_b64 s[22:23], s[0:1], s[22:23]
	s_waitcnt vmcnt(0)
	ds_write_b32 v1, v6
	v_max_f32_e32 v6, v6, v6
	v_add_u32_e32 v1, s20, v1
	v_max_f32_e32 v4, v4, v6
	s_andn2_b64 exec, exec, s[22:23]
	s_cbranch_execnz .LBB80_3
; %bb.4:
	s_or_b64 exec, exec, s[22:23]
.LBB80_5:
	s_or_b64 exec, exec, s[4:5]
	v_mbcnt_lo_u32_b32 v1, -1, 0
	v_mbcnt_hi_u32_b32 v2, -1, v1
	v_and_b32_e32 v1, 64, v2
	v_add_u32_e32 v5, 64, v1
	v_xor_b32_e32 v1, 32, v2
	v_cmp_lt_i32_e64 s[0:1], v1, v5
	v_xor_b32_e32 v6, 16, v2
	v_lshrrev_b32_e32 v10, 6, v0
	v_cndmask_b32_e64 v1, v2, v1, s[0:1]
	v_lshlrev_b32_e32 v1, 2, v1
	ds_bpermute_b32 v3, v1, v4
	v_max_f32_e32 v4, v4, v4
	v_cmp_lt_i32_e64 s[0:1], v6, v5
	s_waitcnt lgkmcnt(0)
	s_barrier
	v_max_f32_e32 v3, v3, v3
	v_max_f32_e32 v3, v4, v3
	v_cndmask_b32_e64 v4, v2, v6, s[0:1]
	v_lshlrev_b32_e32 v8, 2, v4
	ds_bpermute_b32 v4, v8, v3
	v_xor_b32_e32 v6, 8, v2
	v_cmp_lt_i32_e64 s[0:1], v6, v5
	s_waitcnt lgkmcnt(0)
	v_max_f32_e32 v4, v4, v4
	v_max_f32_e32 v3, v3, v4
	v_cndmask_b32_e64 v4, v2, v6, s[0:1]
	v_lshlrev_b32_e32 v9, 2, v4
	ds_bpermute_b32 v4, v9, v3
	v_xor_b32_e32 v6, 4, v2
	v_cmp_lt_i32_e64 s[0:1], v6, v5
	s_waitcnt lgkmcnt(0)
	;; [unrolled: 8-line block ×3, first 2 shown]
	v_max_f32_e32 v4, v4, v4
	v_max_f32_e32 v3, v3, v4
	v_cndmask_b32_e64 v4, v2, v6, s[0:1]
	v_lshlrev_b32_e32 v12, 2, v4
	ds_bpermute_b32 v4, v12, v3
	v_and_b32_e32 v6, 63, v0
	s_waitcnt lgkmcnt(0)
	v_max_f32_e32 v4, v4, v4
	v_max_f32_e32 v3, v3, v4
	v_xor_b32_e32 v4, 1, v2
	v_cmp_lt_i32_e64 s[0:1], v4, v5
	s_nop 1
	v_cndmask_b32_e64 v4, v2, v4, s[0:1]
	v_lshlrev_b32_e32 v7, 2, v4
	ds_bpermute_b32 v4, v7, v3
	v_cmp_eq_u32_e64 s[0:1], 0, v6
	s_and_saveexec_b64 s[4:5], s[0:1]
	s_cbranch_execz .LBB80_7
; %bb.6:
	s_waitcnt lgkmcnt(0)
	v_max_f32_e32 v4, v4, v4
	v_max_f32_e32 v3, v3, v3
	v_max_f32_e32 v3, v3, v4
	v_lshlrev_b32_e32 v4, 2, v10
	ds_write_b32 v4, v3
.LBB80_7:
	s_or_b64 exec, exec, s[4:5]
	v_cmp_gt_u32_e64 s[4:5], 2, v6
	v_mov_b32_e32 v3, 0xff7fffff
	s_waitcnt lgkmcnt(0)
	s_barrier
	s_and_saveexec_b64 s[20:21], s[4:5]
	s_cbranch_execz .LBB80_9
; %bb.8:
	v_lshlrev_b32_e32 v3, 2, v6
	ds_read_b32 v3, v3
.LBB80_9:
	s_or_b64 exec, exec, s[20:21]
	s_waitcnt lgkmcnt(0)
	ds_bpermute_b32 v4, v7, v3
	v_max_f32_e32 v3, v3, v3
	v_lshlrev_b32_e32 v2, 2, v2
	v_and_b32_e32 v13, 0x100, v2
	s_lshl_b32 s27, s25, 2
	s_waitcnt lgkmcnt(0)
	v_max_f32_e32 v4, v4, v4
	v_max_f32_e32 v3, v3, v4
	ds_bpermute_b32 v14, v13, v3
	v_mov_b32_e32 v3, 0
	s_and_saveexec_b64 s[20:21], vcc
	s_cbranch_execz .LBB80_13
; %bb.10:
	s_load_dword s22, s[6:7], 0xc
	s_lshl_b64 s[28:29], s[14:15], 2
	s_lshl_b64 s[30:31], s[16:17], 2
	v_lshlrev_b32_e32 v2, 2, v0
	v_mov_b32_e32 v3, 0
	s_waitcnt lgkmcnt(0)
	s_and_b32 s15, s22, 0xffff
	s_add_u32 s17, s28, s30
	s_addc_u32 s22, s29, s31
	s_add_u32 s18, s18, s17
	s_addc_u32 s19, s19, s22
	s_mov_b32 s23, 0
	v_lshl_add_u64 v[4:5], s[18:19], 0, v[2:3]
	s_lshl_b32 s22, s15, 2
	v_add_u32_e32 v2, 16, v2
	s_mov_b64 s[18:19], 0
	s_mov_b32 s17, 0x3fb8aa3b
	s_mov_b32 s28, 0xc2ce8ed0
	;; [unrolled: 1-line block ×3, first 2 shown]
	v_mov_b32_e32 v15, 0x7f800000
	v_mov_b32_e32 v16, v0
.LBB80_11:                              ; =>This Inner Loop Header: Depth=1
	global_load_dword v17, v[4:5], off
	ds_read_b32 v18, v2
	v_add_u32_e32 v16, s15, v16
	v_cmp_le_i32_e32 vcc, s25, v16
	s_or_b64 s[18:19], vcc, s[18:19]
	v_add_u32_e32 v19, s27, v2
	s_waitcnt lgkmcnt(0)
	v_sub_f32_e32 v18, v18, v14
	v_mul_f32_e32 v20, 0x3fb8aa3b, v18
	v_fma_f32 v21, v18, s17, -v20
	v_rndne_f32_e32 v22, v20
	v_fmac_f32_e32 v21, 0x32a5705f, v18
	v_sub_f32_e32 v20, v20, v22
	v_add_f32_e32 v20, v20, v21
	v_cvt_i32_f32_e32 v22, v22
	v_exp_f32_e32 v20, v20
	v_cmp_ngt_f32_e32 vcc, s28, v18
	v_lshl_add_u64 v[4:5], v[4:5], 0, s[22:23]
	v_add_u32_e32 v2, s22, v2
	v_ldexp_f32 v20, v20, v22
	v_cndmask_b32_e32 v20, 0, v20, vcc
	v_cmp_nlt_f32_e32 vcc, s29, v18
	s_nop 1
	v_cndmask_b32_e32 v18, v15, v20, vcc
	s_waitcnt vmcnt(0)
	v_mul_f32_e32 v20, v17, v18
	v_fmac_f32_e32 v3, v17, v18
	ds_write_b32 v19, v20
	s_andn2_b64 exec, exec, s[18:19]
	s_cbranch_execnz .LBB80_11
; %bb.12:
	s_or_b64 exec, exec, s[18:19]
.LBB80_13:
	s_or_b64 exec, exec, s[20:21]
	ds_bpermute_b32 v1, v1, v3
	s_waitcnt lgkmcnt(0)
	s_barrier
	v_add_f32_e32 v1, v3, v1
	ds_bpermute_b32 v2, v8, v1
	s_waitcnt lgkmcnt(0)
	v_add_f32_e32 v1, v1, v2
	ds_bpermute_b32 v2, v9, v1
	s_waitcnt lgkmcnt(0)
	;; [unrolled: 3-line block ×5, first 2 shown]
	v_add_f32_e32 v1, v1, v2
	s_and_saveexec_b64 s[18:19], s[0:1]
	s_cbranch_execz .LBB80_15
; %bb.14:
	v_lshlrev_b32_e32 v2, 2, v10
	ds_write_b32 v2, v1 offset:8
.LBB80_15:
	s_or_b64 exec, exec, s[18:19]
	s_waitcnt lgkmcnt(0)
	s_barrier
	s_and_saveexec_b64 s[0:1], s[4:5]
	s_cbranch_execz .LBB80_17
; %bb.16:
	v_lshlrev_b32_e32 v1, 2, v6
	ds_read_b32 v1, v1 offset:8
.LBB80_17:
	s_or_b64 exec, exec, s[0:1]
	s_waitcnt lgkmcnt(0)
	ds_bpermute_b32 v2, v7, v1
	s_movk_i32 s0, 0x100
	v_cmp_gt_u32_e32 vcc, s0, v0
	s_waitcnt lgkmcnt(0)
	v_add_f32_e32 v1, v1, v2
	ds_bpermute_b32 v1, v13, v1
	s_and_saveexec_b64 s[4:5], vcc
	s_cbranch_execz .LBB80_23
; %bb.18:
	s_waitcnt lgkmcnt(0)
	v_add_f32_e32 v1, 0x358637bd, v1
	v_div_scale_f32 v2, s[0:1], v1, v1, 1.0
	s_lshl_b32 s0, s14, 8
	s_lshl_b32 s14, s26, 8
	s_lshl_b32 s16, s16, 8
	s_ashr_i32 s15, s14, 31
	s_ashr_i32 s1, s0, 31
	s_ashr_i32 s17, s16, 31
	s_lshl_b64 s[14:15], s[14:15], 1
	v_rcp_f32_e32 v3, v2
	s_add_u32 s18, s10, s14
	s_addc_u32 s19, s11, s15
	s_lshl_b32 s14, s2, 8
	s_ashr_i32 s15, s14, 31
	s_lshl_b64 s[14:15], s[14:15], 1
	v_fma_f32 v5, -v2, v3, 1.0
	s_add_u32 s14, s18, s14
	v_div_scale_f32 v4, vcc, 1.0, v1, 1.0
	v_fmac_f32_e32 v3, v5, v3
	s_addc_u32 s15, s19, s15
	s_add_i32 s22, s27, 16
	v_mul_f32_e32 v5, v4, v3
	s_cmp_gt_i32 s24, 0
	v_fma_f32 v6, -v2, v5, v4
	s_cselect_b64 s[18:19], -1, 0
	s_max_i32 s23, s25, 1
	s_lshl_b64 s[0:1], s[0:1], 1
	s_lshl_b64 s[16:17], s[16:17], 1
	v_fmac_f32_e32 v5, v6, v3
	s_add_u32 s0, s0, s16
	v_fma_f32 v2, -v2, v5, v4
	s_addc_u32 s1, s1, s17
	v_div_fmas_f32 v2, v2, v3, v5
	s_add_u32 s0, s8, s0
	v_div_fixup_f32 v1, v2, v1, 1.0
	v_lshlrev_b32_e32 v2, 1, v0
	v_mov_b32_e32 v3, 0
	s_addc_u32 s1, s9, s1
	v_lshl_add_u64 v[4:5], s[0:1], 0, v[2:3]
	v_cndmask_b32_e64 v2, 0, 1, s[18:19]
	s_mov_b64 s[16:17], 0
	v_cmp_ne_u32_e64 s[0:1], 1, v2
	s_mov_b64 s[18:19], 0x200
	s_mov_b64 s[20:21], 0x100
	s_movk_i32 s24, 0x7f
	v_mov_b32_e32 v2, v0
	s_branch .LBB80_20
.LBB80_19:                              ;   in Loop: Header=BB80_20 Depth=1
	v_lshl_add_u64 v[6:7], v[2:3], 1, s[14:15]
	;;#ASMSTART
	v_cvt_f16_f32 v8, v8;

	;;#ASMEND
	global_store_short v[6:7], v8, off
	v_add_u32_e32 v6, 0x80, v2
	v_cmp_lt_u32_e32 vcc, s24, v2
	v_lshl_add_u64 v[4:5], v[4:5], 0, s[20:21]
	s_or_b64 s[16:17], vcc, s[16:17]
	v_mov_b32_e32 v2, v6
	s_andn2_b64 exec, exec, s[16:17]
	s_cbranch_execz .LBB80_23
.LBB80_20:                              ; =>This Loop Header: Depth=1
                                        ;     Child Loop BB80_22 Depth 2
	s_and_b64 vcc, exec, s[0:1]
	v_mov_b32_e32 v8, 0
	s_cbranch_vccnz .LBB80_19
; %bb.21:                               ;   in Loop: Header=BB80_20 Depth=1
	v_mov_b32_e32 v8, 0
	s_mov_b32 s25, s22
	v_mov_b64_e32 v[6:7], v[4:5]
	s_mov_b32 s26, s23
.LBB80_22:                              ;   Parent Loop BB80_20 Depth=1
                                        ; =>  This Inner Loop Header: Depth=2
	global_load_ushort v9, v[6:7], off
	v_mov_b32_e32 v10, s25
	s_waitcnt vmcnt(0)
	;;#ASMSTART
	v_cvt_f32_f16 v9, v9;
	;;#ASMEND
	ds_read_b32 v10, v10
	s_add_i32 s26, s26, -1
	s_add_i32 s25, s25, 4
	v_lshl_add_u64 v[6:7], v[6:7], 0, s[18:19]
	s_cmp_eq_u32 s26, 0
	s_waitcnt lgkmcnt(0)
	v_mul_f32_e32 v9, v9, v10
	v_fmac_f32_e32 v8, v1, v9
	s_cbranch_scc0 .LBB80_22
	s_branch .LBB80_19
.LBB80_23:
	s_or_b64 exec, exec, s[4:5]
	s_mov_b64 s[4:5], 0
.LBB80_24:
	s_and_b64 vcc, exec, s[4:5]
	s_cbranch_vccz .LBB80_33
; %bb.25:
	s_movk_i32 s0, 0x100
	v_cmp_gt_u32_e32 vcc, s0, v0
	s_and_saveexec_b64 s[4:5], vcc
	s_cbranch_execz .LBB80_33
; %bb.26:
	s_mul_i32 s13, s13, s12
	s_lshl_b32 s4, s13, 8
	s_ashr_i32 s5, s4, 31
	s_lshl_b64 s[4:5], s[4:5], 1
	s_add_u32 s1, s10, s4
	s_addc_u32 s10, s11, s5
	s_lshl_b32 s4, s2, 8
	s_ashr_i32 s5, s4, 31
	s_lshl_b64 s[4:5], s[4:5], 1
	s_add_u32 s4, s1, s4
	s_mul_i32 s1, s3, s13
	s_addc_u32 s5, s10, s5
	s_lshl_b32 s10, s1, 8
	s_ashr_i32 s11, s10, 31
	s_lshl_b64 s[10:11], s[10:11], 1
	s_add_u32 s1, s8, s10
	s_mul_i32 s2, s2, s3
	s_load_dword s6, s[6:7], 0xc
	s_addc_u32 s8, s9, s11
	s_lshl_b32 s2, s2, 8
	s_ashr_i32 s3, s2, 31
	s_lshl_b64 s[2:3], s[2:3], 1
	s_add_u32 s2, s1, s2
	s_addc_u32 s3, s8, s3
	s_waitcnt lgkmcnt(0)
	s_and_b32 s8, s6, 0xffff
	v_cvt_f32_u32_e32 v1, s8
	v_add_u32_e32 v2, s8, v0
	v_mov_b32_e32 v4, s8
	v_cmp_gt_u32_e32 vcc, s0, v2
	v_rcp_iflag_f32_e32 v1, v1
	s_cmp_eq_u32 s8, 1
	v_max_u32_e32 v3, 0x100, v2
	v_addc_co_u32_e64 v2, s[0:1], v0, v4, vcc
	v_mul_f32_e32 v1, 0x4f7ffffe, v1
	v_cvt_u32_f32_e32 v1, v1
	s_cselect_b64 s[6:7], -1, 0
	s_sub_i32 s0, 0, s8
	v_sub_u32_e32 v2, v3, v2
	v_mul_lo_u32 v3, s0, v1
	v_mul_hi_u32 v3, v1, v3
	v_add_u32_e32 v1, v1, v3
	v_mul_hi_u32 v1, v2, v1
	v_mul_lo_u32 v3, v1, s8
	v_sub_u32_e32 v2, v2, v3
	v_add_u32_e32 v3, 1, v1
	v_cmp_le_u32_e64 s[0:1], s8, v2
	s_nop 1
	v_cndmask_b32_e64 v1, v1, v3, s[0:1]
	v_subrev_u32_e32 v3, s8, v2
	v_cndmask_b32_e64 v2, v2, v3, s[0:1]
	v_add_u32_e32 v3, 1, v1
	v_cmp_le_u32_e64 s[0:1], s8, v2
	s_nop 1
	v_cndmask_b32_e64 v1, v1, v3, s[0:1]
	v_addc_co_u32_e32 v1, vcc, 1, v1, vcc
	v_cmp_lt_u32_e32 vcc, 7, v1
	s_and_b64 s[10:11], vcc, s[6:7]
	s_mov_b64 s[6:7], -1
	s_and_saveexec_b64 s[0:1], s[10:11]
	s_cbranch_execz .LBB80_30
; %bb.27:
	v_and_b32_e32 v4, -8, v1
	s_mov_b64 s[6:7], 0
	v_mov_b32_e32 v3, 0
	v_mov_b32_e32 v2, v0
	;; [unrolled: 1-line block ×3, first 2 shown]
.LBB80_28:                              ; =>This Inner Loop Header: Depth=1
	v_lshlrev_b64 v[10:11], 1, v[2:3]
	v_lshl_add_u64 v[6:7], s[2:3], 0, v[10:11]
	global_load_dwordx4 v[6:9], v[6:7], off
	v_add_u32_e32 v5, -8, v5
	v_cmp_eq_u32_e32 vcc, 0, v5
	v_add_u32_e32 v2, 8, v2
	v_lshl_add_u64 v[10:11], s[4:5], 0, v[10:11]
	s_or_b64 s[6:7], vcc, s[6:7]
	s_waitcnt vmcnt(0)
	global_store_dwordx4 v[10:11], v[6:9], off
	s_andn2_b64 exec, exec, s[6:7]
	s_cbranch_execnz .LBB80_28
; %bb.29:
	s_or_b64 exec, exec, s[6:7]
	v_cmp_ne_u32_e32 vcc, v1, v4
	v_add_u32_e32 v0, v0, v4
	s_orn2_b64 s[6:7], vcc, exec
.LBB80_30:
	s_or_b64 exec, exec, s[0:1]
	s_and_b64 exec, exec, s[6:7]
	s_cbranch_execz .LBB80_33
; %bb.31:
	v_mov_b32_e32 v1, 0
	s_mov_b32 s1, 0
	v_lshlrev_b64 v[2:3], 1, v[0:1]
	s_lshl_b32 s0, s8, 1
	s_mov_b64 s[6:7], 0
	s_movk_i32 s9, 0xff
.LBB80_32:                              ; =>This Inner Loop Header: Depth=1
	v_lshl_add_u64 v[4:5], s[2:3], 0, v[2:3]
	global_load_ushort v1, v[4:5], off
	v_add_u32_e32 v0, s8, v0
	v_cmp_lt_u32_e32 vcc, s9, v0
	v_lshl_add_u64 v[4:5], s[4:5], 0, v[2:3]
	v_lshl_add_u64 v[2:3], v[2:3], 0, s[0:1]
	s_or_b64 s[6:7], vcc, s[6:7]
	s_waitcnt vmcnt(0)
	global_store_short v[4:5], v1, off
	s_andn2_b64 exec, exec, s[6:7]
	s_cbranch_execnz .LBB80_32
.LBB80_33:
	s_endpgm
	.section	.rodata,"a",@progbits
	.p2align	6, 0x0
	.amdhsa_kernel _ZN4vllm32paged_attention_v2_reduce_kernelItLi256ELi128ELi512EEEvPT_PKfS4_PKS1_PKii
		.amdhsa_group_segment_fixed_size 16
		.amdhsa_private_segment_fixed_size 0
		.amdhsa_kernarg_size 304
		.amdhsa_user_sgpr_count 2
		.amdhsa_user_sgpr_dispatch_ptr 0
		.amdhsa_user_sgpr_queue_ptr 0
		.amdhsa_user_sgpr_kernarg_segment_ptr 1
		.amdhsa_user_sgpr_dispatch_id 0
		.amdhsa_user_sgpr_kernarg_preload_length 0
		.amdhsa_user_sgpr_kernarg_preload_offset 0
		.amdhsa_user_sgpr_private_segment_size 0
		.amdhsa_uses_dynamic_stack 0
		.amdhsa_enable_private_segment 0
		.amdhsa_system_sgpr_workgroup_id_x 1
		.amdhsa_system_sgpr_workgroup_id_y 1
		.amdhsa_system_sgpr_workgroup_id_z 0
		.amdhsa_system_sgpr_workgroup_info 0
		.amdhsa_system_vgpr_workitem_id 0
		.amdhsa_next_free_vgpr 23
		.amdhsa_next_free_sgpr 32
		.amdhsa_accum_offset 24
		.amdhsa_reserve_vcc 1
		.amdhsa_float_round_mode_32 0
		.amdhsa_float_round_mode_16_64 0
		.amdhsa_float_denorm_mode_32 3
		.amdhsa_float_denorm_mode_16_64 3
		.amdhsa_dx10_clamp 1
		.amdhsa_ieee_mode 1
		.amdhsa_fp16_overflow 0
		.amdhsa_tg_split 0
		.amdhsa_exception_fp_ieee_invalid_op 0
		.amdhsa_exception_fp_denorm_src 0
		.amdhsa_exception_fp_ieee_div_zero 0
		.amdhsa_exception_fp_ieee_overflow 0
		.amdhsa_exception_fp_ieee_underflow 0
		.amdhsa_exception_fp_ieee_inexact 0
		.amdhsa_exception_int_div_zero 0
	.end_amdhsa_kernel
	.section	.text._ZN4vllm32paged_attention_v2_reduce_kernelItLi256ELi128ELi512EEEvPT_PKfS4_PKS1_PKii,"axG",@progbits,_ZN4vllm32paged_attention_v2_reduce_kernelItLi256ELi128ELi512EEEvPT_PKfS4_PKS1_PKii,comdat
.Lfunc_end80:
	.size	_ZN4vllm32paged_attention_v2_reduce_kernelItLi256ELi128ELi512EEEvPT_PKfS4_PKS1_PKii, .Lfunc_end80-_ZN4vllm32paged_attention_v2_reduce_kernelItLi256ELi128ELi512EEEvPT_PKfS4_PKS1_PKii
                                        ; -- End function
	.section	.AMDGPU.csdata,"",@progbits
; Kernel info:
; codeLenInByte = 2212
; NumSgprs: 38
; NumVgprs: 23
; NumAgprs: 0
; TotalNumVgprs: 23
; ScratchSize: 0
; MemoryBound: 0
; FloatMode: 240
; IeeeMode: 1
; LDSByteSize: 16 bytes/workgroup (compile time only)
; SGPRBlocks: 4
; VGPRBlocks: 2
; NumSGPRsForWavesPerEU: 38
; NumVGPRsForWavesPerEU: 23
; AccumOffset: 24
; Occupancy: 8
; WaveLimiterHint : 0
; COMPUTE_PGM_RSRC2:SCRATCH_EN: 0
; COMPUTE_PGM_RSRC2:USER_SGPR: 2
; COMPUTE_PGM_RSRC2:TRAP_HANDLER: 0
; COMPUTE_PGM_RSRC2:TGID_X_EN: 1
; COMPUTE_PGM_RSRC2:TGID_Y_EN: 1
; COMPUTE_PGM_RSRC2:TGID_Z_EN: 0
; COMPUTE_PGM_RSRC2:TIDIG_COMP_CNT: 0
; COMPUTE_PGM_RSRC3_GFX90A:ACCUM_OFFSET: 5
; COMPUTE_PGM_RSRC3_GFX90A:TG_SPLIT: 0
	.section	.text._ZN4vllm25paged_attention_v2_kernelIttLi32ELi8ELi128ELNS_18Fp8KVCacheDataTypeE0ELb0ELi512EEEvPfS2_PT_PKS3_PKT0_S9_ifPKiSB_iPKfiiiSD_SD_iiiii,"axG",@progbits,_ZN4vllm25paged_attention_v2_kernelIttLi32ELi8ELi128ELNS_18Fp8KVCacheDataTypeE0ELb0ELi512EEEvPfS2_PT_PKS3_PKT0_S9_ifPKiSB_iPKfiiiSD_SD_iiiii,comdat
	.protected	_ZN4vllm25paged_attention_v2_kernelIttLi32ELi8ELi128ELNS_18Fp8KVCacheDataTypeE0ELb0ELi512EEEvPfS2_PT_PKS3_PKT0_S9_ifPKiSB_iPKfiiiSD_SD_iiiii ; -- Begin function _ZN4vllm25paged_attention_v2_kernelIttLi32ELi8ELi128ELNS_18Fp8KVCacheDataTypeE0ELb0ELi512EEEvPfS2_PT_PKS3_PKT0_S9_ifPKiSB_iPKfiiiSD_SD_iiiii
	.globl	_ZN4vllm25paged_attention_v2_kernelIttLi32ELi8ELi128ELNS_18Fp8KVCacheDataTypeE0ELb0ELi512EEEvPfS2_PT_PKS3_PKT0_S9_ifPKiSB_iPKfiiiSD_SD_iiiii
	.p2align	8
	.type	_ZN4vllm25paged_attention_v2_kernelIttLi32ELi8ELi128ELNS_18Fp8KVCacheDataTypeE0ELb0ELi512EEEvPfS2_PT_PKS3_PKT0_S9_ifPKiSB_iPKfiiiSD_SD_iiiii,@function
_ZN4vllm25paged_attention_v2_kernelIttLi32ELi8ELi128ELNS_18Fp8KVCacheDataTypeE0ELb0ELi512EEEvPfS2_PT_PKS3_PKT0_S9_ifPKiSB_iPKfiiiSD_SD_iiiii: ; @_ZN4vllm25paged_attention_v2_kernelIttLi32ELi8ELi128ELNS_18Fp8KVCacheDataTypeE0ELb0ELi512EEEvPfS2_PT_PKS3_PKT0_S9_ifPKiSB_iPKfiiiSD_SD_iiiii
; %bb.0:
	s_load_dwordx2 s[6:7], s[0:1], 0x40
	s_mov_b32 s24, s3
	s_ashr_i32 s25, s3, 31
	s_lshl_b64 s[8:9], s[24:25], 2
	s_waitcnt lgkmcnt(0)
	s_add_u32 s6, s6, s8
	s_addc_u32 s7, s7, s9
	s_load_dword s25, s[6:7], 0x0
	s_lshl_b32 s40, s4, 9
	s_waitcnt lgkmcnt(0)
	s_cmp_ge_i32 s40, s25
	s_cbranch_scc1 .LBB81_54
; %bb.1:
	s_load_dword s5, s[0:1], 0x90
	s_load_dwordx2 s[10:11], s[0:1], 0x30
	s_waitcnt lgkmcnt(0)
	s_abs_i32 s7, s5
	s_abs_i32 s3, s10
	v_cvt_f32_u32_e32 v1, s3
	s_sub_i32 s8, 0, s3
	s_xor_b32 s6, s5, s10
	s_ashr_i32 s6, s6, 31
	v_rcp_iflag_f32_e32 v1, v1
	s_nop 0
	v_mul_f32_e32 v1, 0x4f7ffffe, v1
	v_cvt_u32_f32_e32 v1, v1
	s_nop 0
	v_readfirstlane_b32 s9, v1
	s_mul_i32 s8, s8, s9
	s_mul_hi_u32 s8, s9, s8
	s_add_i32 s9, s9, s8
	s_mul_hi_u32 s8, s7, s9
	s_mul_i32 s9, s8, s3
	s_sub_i32 s7, s7, s9
	s_add_i32 s10, s8, 1
	s_sub_i32 s9, s7, s3
	s_cmp_ge_u32 s7, s3
	s_cselect_b32 s8, s10, s8
	s_cselect_b32 s7, s9, s7
	s_add_i32 s9, s8, 1
	s_cmp_ge_u32 s7, s3
	s_cselect_b32 s3, s9, s8
	s_xor_b32 s3, s3, s6
	s_sub_i32 s18, s3, s6
	s_abs_i32 s8, s18
	v_cvt_f32_u32_e32 v1, s8
	s_load_dwordx2 s[6:7], s[0:1], 0x50
	s_sub_i32 s3, 0, s8
	s_abs_i32 s9, s2
	v_rcp_iflag_f32_e32 v1, v1
	s_mov_b32 s10, 0
	v_mul_f32_e32 v1, 0x4f7ffffe, v1
	v_cvt_u32_f32_e32 v1, v1
	s_nop 0
	v_readfirstlane_b32 s12, v1
	s_mul_i32 s3, s3, s12
	s_mul_hi_u32 s3, s12, s3
	s_add_i32 s12, s12, s3
	s_waitcnt lgkmcnt(0)
	s_cmp_eq_u64 s[6:7], 0
	s_mul_hi_u32 s16, s9, s12
	s_cbranch_scc1 .LBB81_3
; %bb.2:
	s_ashr_i32 s3, s2, 31
	s_lshl_b64 s[12:13], s[2:3], 2
	s_add_u32 s6, s6, s12
	s_addc_u32 s7, s7, s13
	s_load_dword s10, s[6:7], 0x0
.LBB81_3:
	s_load_dwordx4 s[12:15], s[0:1], 0x58
	s_ashr_i32 s17, s2, 31
	s_waitcnt lgkmcnt(0)
	s_ashr_i32 s15, s18, 31
	v_and_b32_e32 v4, 7, v0
	s_lshl_b32 s20, s2, 5
	v_cmp_gt_u32_e32 vcc, 32, v0
	s_and_saveexec_b64 s[6:7], vcc
	s_cbranch_execz .LBB81_5
; %bb.4:
	s_load_dwordx2 s[18:19], s[0:1], 0x18
	s_mul_i32 s22, s24, s12
	s_ashr_i32 s23, s22, 31
	s_lshl_b64 s[22:23], s[22:23], 1
	v_lshlrev_b32_e32 v1, 1, v0
	s_waitcnt lgkmcnt(0)
	s_add_u32 s3, s18, s22
	s_addc_u32 s12, s19, s23
	s_ashr_i32 s21, s20, 31
	s_lshl_b64 s[18:19], s[20:21], 1
	s_add_u32 s18, s3, s18
	s_addc_u32 s19, s12, s19
	global_load_ushort v1, v1, s[18:19]
	v_lshrrev_b32_e32 v2, 2, v0
	v_and_b32_e32 v2, 0xfe, v2
	v_lshl_add_u32 v2, v4, 3, v2
	s_waitcnt vmcnt(0)
	ds_write_b16 v2, v1
.LBB81_5:
	s_or_b64 exec, exec, s[6:7]
	s_add_i32 s3, s25, 7
	s_ashr_i32 s6, s3, 31
	s_lshr_b32 s6, s6, 29
	s_add_i32 s3, s3, s6
	s_ashr_i32 s12, s3, 3
	s_lshl_b32 s3, s4, 6
	s_mul_i32 s7, s16, s8
	s_add_i32 s6, s3, 64
	s_sub_i32 s7, s9, s7
	s_min_i32 s33, s6, s12
	s_xor_b32 s6, s17, s15
	s_add_i32 s9, s16, 1
	s_sub_i32 s15, s7, s8
	s_cmp_ge_u32 s7, s8
	s_cselect_b32 s9, s9, s16
	s_cselect_b32 s7, s15, s7
	s_add_i32 s15, s9, 1
	s_cmp_ge_u32 s7, s8
	s_load_dwordx2 s[26:27], s[0:1], 0x38
	s_load_dword s8, s[0:1], 0x48
	v_lshrrev_b32_e32 v1, 6, v0
	s_cselect_b32 s7, s15, s9
	s_xor_b32 s7, s7, s6
	v_or_b32_e32 v6, s3, v1
	s_waitcnt lgkmcnt(0)
	s_mul_i32 s28, s24, s8
	s_sub_i32 s15, s7, s6
	s_ashr_i32 s29, s28, 31
	v_cmp_gt_i32_e64 s[6:7], s33, v6
	v_cmp_le_i32_e32 vcc, s33, v6
	v_mbcnt_lo_u32_b32 v14, -1, 0
	s_barrier
	s_waitcnt lgkmcnt(0)
                                        ; implicit-def: $sgpr36
                                        ; implicit-def: $vgpr8
                                        ; implicit-def: $vgpr9
	s_and_saveexec_b64 s[8:9], vcc
	s_xor_b64 s[8:9], exec, s[8:9]
; %bb.6:
	v_mbcnt_hi_u32_b32 v8, -1, v14
	v_and_b32_e32 v2, 64, v8
	v_add_u32_e32 v9, 64, v2
	s_mov_b32 s36, 0xff7fffff
                                        ; implicit-def: $vgpr4
                                        ; implicit-def: $vgpr14
; %bb.7:
	s_or_saveexec_b64 s[34:35], s[8:9]
	s_load_dwordx4 s[16:19], s[0:1], 0x0
	s_load_dwordx2 s[22:23], s[0:1], 0x10
	s_load_dwordx2 s[30:31], s[0:1], 0x28
	s_load_dword s21, s[0:1], 0x98
	v_mov_b32_e32 v10, s36
	s_mul_i32 s14, s15, s14
	v_ashrrev_i32_e32 v7, 31, v6
	s_xor_b64 exec, exec, s[34:35]
	s_cbranch_execz .LBB81_13
; %bb.8:
	s_load_dwordx2 s[0:1], s[0:1], 0x20
	s_ashr_i32 s15, s14, 31
	s_lshl_b64 s[8:9], s[14:15], 1
	v_bfe_u32 v5, v0, 3, 3
	v_lshlrev_b32_e32 v2, 4, v5
	s_waitcnt lgkmcnt(0)
	s_add_u32 s0, s0, s8
	s_addc_u32 s1, s1, s9
	v_mov_b32_e32 v3, 0
	v_lshl_add_u64 v[8:9], s[0:1], 0, v[2:3]
	v_lshlrev_b32_e32 v2, 1, v4
	v_lshlrev_b32_e32 v11, 3, v4
	v_cmp_eq_u32_e32 vcc, 0, v4
	s_sub_i32 s15, 1, s25
	v_lshlrev_b32_e32 v4, 3, v1
	s_lshl_b64 s[8:9], s[28:29], 2
	v_lshl_add_u64 v[2:3], v[8:9], 0, v[2:3]
	v_add3_u32 v12, s40, v4, v5
	v_lshlrev_b32_e32 v4, 2, v5
	s_add_u32 s8, s26, s8
	v_mbcnt_hi_u32_b32 v8, -1, v14
	v_lshl_or_b32 v4, v1, 5, v4
	s_addc_u32 s9, s27, s9
	v_and_b32_e32 v9, 64, v8
	s_mov_b32 s41, s13
	v_cmp_neq_f32_e64 s[0:1], s10, 0
	v_add_u32_e32 v13, 0x50, v4
	v_lshl_add_u64 v[4:5], v[6:7], 2, s[8:9]
	s_mov_b64 s[36:37], 0
	v_mov_b32_e32 v10, 0xff7fffff
	v_add_u32_e32 v9, 64, v9
	v_xor_b32_e32 v14, 4, v8
	v_xor_b32_e32 v15, 2, v8
	;; [unrolled: 1-line block ×3, first 2 shown]
	v_mov_b32_e32 v17, v6
	s_branch .LBB81_10
.LBB81_9:                               ;   in Loop: Header=BB81_10 Depth=1
	s_or_b64 exec, exec, s[38:39]
	v_add_u32_e32 v17, 2, v17
	v_cmp_le_i32_e64 s[8:9], s33, v17
	v_add_u32_e32 v12, 16, v12
	v_add_u32_e32 v13, 64, v13
	s_or_b64 s[36:37], s[8:9], s[36:37]
	v_lshl_add_u64 v[4:5], v[4:5], 0, 8
	s_andn2_b64 exec, exec, s[36:37]
	s_cbranch_execz .LBB81_12
.LBB81_10:                              ; =>This Inner Loop Header: Depth=1
	global_load_dword v18, v[4:5], off
	s_waitcnt vmcnt(0) lgkmcnt(0)
	v_mad_i64_i32 v[18:19], s[8:9], v18, s41, 0
	v_lshl_add_u64 v[18:19], v[18:19], 1, v[2:3]
	global_load_ushort v20, v[18:19], off
	global_load_ushort v21, v[18:19], off offset:128
	global_load_ushort v22, v[18:19], off offset:256
	;; [unrolled: 1-line block ×3, first 2 shown]
	ds_read_u16 v18, v11
	s_waitcnt lgkmcnt(0)
	;;#ASMSTART
	v_cvt_f32_f16 v18, v18;
	;;#ASMEND
	v_cmp_lt_i32_e64 s[8:9], v14, v9
	s_waitcnt vmcnt(3)
	;;#ASMSTART
	v_cvt_f32_f16 v19, v20;
	;;#ASMEND
	ds_read_u16 v20, v11 offset:2
	s_waitcnt lgkmcnt(0)
	;;#ASMSTART
	v_cvt_f32_f16 v20, v20;
	;;#ASMEND
	s_waitcnt vmcnt(2)
	;;#ASMSTART
	v_cvt_f32_f16 v21, v21;
	;;#ASMEND
	ds_read_u16 v24, v11 offset:4
	v_mul_f32_e32 v20, v20, v21
	v_fmac_f32_e32 v20, v18, v19
	v_cndmask_b32_e64 v25, v8, v14, s[8:9]
	s_waitcnt lgkmcnt(0)
	;;#ASMSTART
	v_cvt_f32_f16 v24, v24;
	;;#ASMEND
	s_waitcnt vmcnt(1)
	;;#ASMSTART
	v_cvt_f32_f16 v22, v22;
	;;#ASMEND
	ds_read_u16 v26, v11 offset:6
	v_fmac_f32_e32 v20, v24, v22
	v_lshlrev_b32_e32 v25, 2, v25
	s_waitcnt lgkmcnt(0)
	;;#ASMSTART
	v_cvt_f32_f16 v18, v26;
	;;#ASMEND
	s_waitcnt vmcnt(0)
	;;#ASMSTART
	v_cvt_f32_f16 v19, v23;
	;;#ASMEND
	v_cmp_lt_i32_e64 s[8:9], v15, v9
	v_fmac_f32_e32 v20, v18, v19
	ds_bpermute_b32 v18, v25, v20
	v_cndmask_b32_e64 v19, v8, v15, s[8:9]
	v_lshlrev_b32_e32 v19, 2, v19
	v_cmp_lt_i32_e64 s[8:9], v16, v9
	s_waitcnt lgkmcnt(0)
	v_add_f32_e32 v18, v20, v18
	ds_bpermute_b32 v19, v19, v18
	v_cndmask_b32_e64 v20, v8, v16, s[8:9]
	s_waitcnt lgkmcnt(0)
	v_add_f32_e32 v18, v18, v19
	v_lshlrev_b32_e32 v19, 2, v20
	ds_bpermute_b32 v19, v19, v18
	s_and_saveexec_b64 s[38:39], vcc
	s_cbranch_execz .LBB81_9
; %bb.11:                               ;   in Loop: Header=BB81_10 Depth=1
	v_add_u32_e32 v20, s15, v12
	v_cvt_f32_i32_e32 v20, v20
	s_waitcnt lgkmcnt(0)
	v_add_f32_e32 v18, v18, v19
	v_cmp_gt_i32_e64 s[8:9], s25, v12
	v_max_f32_e32 v19, v10, v10
	v_mul_f32_e32 v20, s10, v20
	v_cndmask_b32_e64 v20, 0, v20, s[0:1]
	v_fmac_f32_e32 v20, s11, v18
	v_cndmask_b32_e64 v18, 0, v20, s[8:9]
	ds_write_b32 v13, v18
	v_max_f32_e32 v18, v19, v20
	v_cndmask_b32_e64 v10, v10, v18, s[8:9]
	s_branch .LBB81_9
.LBB81_12:
	s_or_b64 exec, exec, s[36:37]
.LBB81_13:
	s_or_b64 exec, exec, s[34:35]
	v_xor_b32_e32 v2, 32, v8
	v_cmp_lt_i32_e32 vcc, v2, v9
	v_xor_b32_e32 v5, 16, v8
	v_max_f32_e32 v4, v10, v10
	v_cndmask_b32_e32 v2, v8, v2, vcc
	v_lshlrev_b32_e32 v3, 2, v2
	ds_bpermute_b32 v2, v3, v10
	v_cmp_lt_i32_e32 vcc, v5, v9
	v_and_b32_e32 v14, 63, v0
	s_waitcnt lgkmcnt(0)
	v_max_f32_e32 v2, v2, v2
	v_max_f32_e32 v2, v4, v2
	v_cndmask_b32_e32 v4, v8, v5, vcc
	v_lshlrev_b32_e32 v10, 2, v4
	ds_bpermute_b32 v4, v10, v2
	v_xor_b32_e32 v5, 8, v8
	v_cmp_lt_i32_e32 vcc, v5, v9
	s_waitcnt lgkmcnt(0)
	v_max_f32_e32 v4, v4, v4
	v_max_f32_e32 v4, v2, v4
	v_cndmask_b32_e32 v2, v8, v5, vcc
	v_lshlrev_b32_e32 v11, 2, v2
	ds_bpermute_b32 v5, v11, v4
	v_cmp_eq_u32_e32 vcc, 0, v14
	v_lshlrev_b32_e32 v2, 2, v1
	s_and_saveexec_b64 s[0:1], vcc
	s_cbranch_execz .LBB81_15
; %bb.14:
	s_waitcnt lgkmcnt(0)
	v_max_f32_e32 v5, v5, v5
	v_max_f32_e32 v4, v4, v4
	;; [unrolled: 1-line block ×3, first 2 shown]
	ds_write_b32 v2, v4 offset:64
.LBB81_15:
	s_or_b64 exec, exec, s[0:1]
	v_cmp_gt_u32_e64 s[0:1], 2, v14
	v_mov_b32_e32 v4, 0xff7fffff
	s_waitcnt lgkmcnt(0)
	v_lshlrev_b32_e32 v5, 2, v14
	s_barrier
	s_and_saveexec_b64 s[8:9], s[0:1]
	s_cbranch_execz .LBB81_17
; %bb.16:
	ds_read_b32 v4, v5 offset:64
.LBB81_17:
	s_or_b64 exec, exec, s[8:9]
	v_xor_b32_e32 v12, 1, v8
	v_cmp_lt_i32_e64 s[8:9], v12, v9
	s_sub_i32 s3, s33, s3
	s_lshl_b32 s3, s3, 3
	v_cndmask_b32_e64 v12, v8, v12, s[8:9]
	v_lshlrev_b32_e32 v12, 2, v12
	s_waitcnt lgkmcnt(0)
	ds_bpermute_b32 v13, v12, v4
	v_max_f32_e32 v4, v4, v4
	s_add_i32 s3, s3, s40
	s_min_i32 s15, s3, s25
	s_sub_i32 s3, s15, s40
	s_waitcnt lgkmcnt(0)
	v_max_f32_e32 v13, v13, v13
	v_max_f32_e32 v4, v4, v13
	v_lshlrev_b32_e32 v13, 2, v8
	v_and_b32_e32 v13, 0xffffff00, v13
	ds_bpermute_b32 v4, v13, v4
	v_cmp_gt_i32_e64 s[8:9], s3, v0
	v_mov_b32_e32 v15, 0
	s_and_saveexec_b64 s[34:35], s[8:9]
	s_cbranch_execz .LBB81_21
; %bb.18:
	v_mov_b32_e32 v15, 0x50
	v_lshl_add_u32 v16, v0, 2, v15
	s_mov_b64 s[36:37], 0
	v_mov_b32_e32 v15, 0
	v_mov_b32_e32 v17, v0
.LBB81_19:                              ; =>This Inner Loop Header: Depth=1
	ds_read_b32 v18, v16
	v_add_u32_e32 v17, 0x80, v17
	v_cmp_le_i32_e64 s[10:11], s3, v17
	s_or_b64 s[36:37], s[10:11], s[36:37]
	s_waitcnt lgkmcnt(0)
	v_sub_f32_e32 v18, v18, v4
	v_mul_f32_e32 v18, 0x3fb8aa3b, v18
	v_exp_f32_e32 v18, v18
	ds_write_b32 v16, v18
	v_add_f32_e32 v15, v15, v18
	v_add_u32_e32 v16, 0x200, v16
	s_andn2_b64 exec, exec, s[36:37]
	s_cbranch_execnz .LBB81_19
; %bb.20:
	s_or_b64 exec, exec, s[36:37]
.LBB81_21:
	s_or_b64 exec, exec, s[34:35]
	ds_bpermute_b32 v3, v3, v15
	s_waitcnt lgkmcnt(0)
	v_add_f32_e32 v3, v15, v3
	ds_bpermute_b32 v10, v10, v3
	s_waitcnt lgkmcnt(0)
	v_add_f32_e32 v3, v3, v10
	ds_bpermute_b32 v10, v11, v3
	v_xor_b32_e32 v11, 4, v8
	v_cmp_lt_i32_e64 s[10:11], v11, v9
	s_waitcnt lgkmcnt(0)
	v_add_f32_e32 v3, v3, v10
	v_cndmask_b32_e64 v11, v8, v11, s[10:11]
	v_lshlrev_b32_e32 v11, 2, v11
	ds_bpermute_b32 v10, v11, v3
	v_xor_b32_e32 v11, 2, v8
	v_cmp_lt_i32_e64 s[10:11], v11, v9
	s_waitcnt lgkmcnt(0)
	v_add_f32_e32 v3, v3, v10
	v_cndmask_b32_e64 v8, v8, v11, s[10:11]
	v_lshlrev_b32_e32 v8, 2, v8
	ds_bpermute_b32 v8, v8, v3
	s_waitcnt lgkmcnt(0)
	v_add_f32_e32 v3, v3, v8
	ds_bpermute_b32 v8, v12, v3
	s_waitcnt lgkmcnt(0)
	v_add_f32_e32 v3, v3, v8
	s_and_saveexec_b64 s[10:11], vcc
	s_cbranch_execz .LBB81_23
; %bb.22:
	ds_write_b32 v2, v3 offset:72
.LBB81_23:
	s_or_b64 exec, exec, s[10:11]
	s_waitcnt lgkmcnt(0)
	s_barrier
	s_and_saveexec_b64 s[10:11], s[0:1]
	s_cbranch_execz .LBB81_25
; %bb.24:
	ds_read_b32 v3, v5 offset:72
.LBB81_25:
	s_or_b64 exec, exec, s[10:11]
	s_waitcnt lgkmcnt(0)
	ds_bpermute_b32 v2, v12, v3
	s_waitcnt lgkmcnt(0)
	v_add_f32_e32 v2, v3, v2
	ds_bpermute_b32 v5, v13, v2
	s_and_saveexec_b64 s[0:1], s[8:9]
	s_cbranch_execz .LBB81_38
; %bb.26:
	s_waitcnt lgkmcnt(0)
	v_add_f32_e32 v2, 0x358637bd, v5
	v_div_scale_f32 v3, s[8:9], v2, v2, 1.0
	v_rcp_f32_e32 v8, v3
	v_div_scale_f32 v9, vcc, 1.0, v2, 1.0
	s_movk_i32 s8, 0x7f
	v_fma_f32 v10, -v3, v8, 1.0
	v_fmac_f32_e32 v8, v10, v8
	v_mul_f32_e32 v10, v9, v8
	v_fma_f32 v11, -v3, v10, v9
	v_fmac_f32_e32 v10, v11, v8
	v_fma_f32 v3, -v3, v10, v9
	v_div_fmas_f32 v3, v3, v8, v10
	v_div_fixup_f32 v2, v3, v2, 1.0
	v_xad_u32 v3, v0, -1, s15
	v_subrev_u32_e32 v8, s40, v3
	v_cmp_lt_u32_e32 vcc, s8, v8
	s_mov_b64 s[10:11], -1
	v_mov_b32_e32 v3, v0
	s_and_saveexec_b64 s[8:9], vcc
	s_cbranch_execz .LBB81_35
; %bb.27:
	v_lshrrev_b32_e32 v8, 7, v8
	v_add_u32_e32 v10, -1, v8
	v_lshrrev_b32_e32 v9, 1, v10
	v_mov_b32_e32 v3, v2
	v_add_u32_e32 v9, 1, v9
	v_cmp_lt_u32_e32 vcc, 13, v10
	v_mov_b32_e32 v12, 0
	s_and_saveexec_b64 s[10:11], vcc
	s_cbranch_execz .LBB81_31
; %bb.28:
	v_mov_b32_e32 v11, 0x50
	v_and_b32_e32 v10, -8, v9
	v_lshl_add_u32 v11, v0, 2, v11
	s_mov_b32 s15, 0
	s_mov_b64 s[34:35], 0
.LBB81_29:                              ; =>This Inner Loop Header: Depth=1
	ds_read2st64_b32 v[12:13], v11 offset1:2
	ds_read2st64_b32 v[16:17], v11 offset0:4 offset1:6
	ds_read2st64_b32 v[18:19], v11 offset0:8 offset1:10
	;; [unrolled: 1-line block ×3, first 2 shown]
	v_add_u32_e32 v10, -8, v10
	s_waitcnt lgkmcnt(3)
	v_pk_mul_f32 v[12:13], v[2:3], v[12:13]
	s_waitcnt lgkmcnt(2)
	v_pk_mul_f32 v[16:17], v[2:3], v[16:17]
	ds_write2st64_b32 v11, v12, v13 offset1:2
	ds_write2st64_b32 v11, v16, v17 offset0:4 offset1:6
	ds_read2st64_b32 v[16:17], v11 offset0:16 offset1:18
	s_waitcnt lgkmcnt(4)
	v_pk_mul_f32 v[12:13], v[2:3], v[18:19]
	ds_write2st64_b32 v11, v12, v13 offset0:8 offset1:10
	s_waitcnt lgkmcnt(4)
	v_pk_mul_f32 v[12:13], v[2:3], v[20:21]
	ds_write2st64_b32 v11, v12, v13 offset0:12 offset1:14
	ds_read2st64_b32 v[12:13], v11 offset0:20 offset1:22
	s_waitcnt lgkmcnt(3)
	v_pk_mul_f32 v[16:17], v[2:3], v[16:17]
	ds_read2st64_b32 v[18:19], v11 offset0:24 offset1:26
	ds_write2st64_b32 v11, v16, v17 offset0:16 offset1:18
	ds_read2st64_b32 v[16:17], v11 offset0:28 offset1:30
	s_waitcnt lgkmcnt(3)
	v_pk_mul_f32 v[12:13], v[2:3], v[12:13]
	ds_write2st64_b32 v11, v12, v13 offset0:20 offset1:22
	s_waitcnt lgkmcnt(3)
	v_pk_mul_f32 v[12:13], v[2:3], v[18:19]
	ds_write2st64_b32 v11, v12, v13 offset0:24 offset1:26
	s_waitcnt lgkmcnt(2)
	v_pk_mul_f32 v[12:13], v[2:3], v[16:17]
	s_add_i32 s15, s15, 16
	v_cmp_eq_u32_e32 vcc, 0, v10
	ds_write2st64_b32 v11, v12, v13 offset0:28 offset1:30
	v_add_u32_e32 v11, 0x2000, v11
	s_or_b64 s[34:35], vcc, s[34:35]
	v_mov_b32_e32 v12, s15
	s_andn2_b64 exec, exec, s[34:35]
	s_cbranch_execnz .LBB81_29
; %bb.30:
	s_or_b64 exec, exec, s[34:35]
.LBB81_31:
	s_or_b64 exec, exec, s[10:11]
	v_and_b32_e32 v9, 7, v9
	v_cmp_ne_u32_e32 vcc, 0, v9
	s_and_saveexec_b64 s[10:11], vcc
	s_cbranch_execz .LBB81_34
; %bb.32:
	v_lshlrev_b32_e32 v10, 9, v12
	v_lshlrev_b32_e32 v11, 2, v0
	s_movk_i32 s15, 0x50
	v_add3_u32 v10, v10, v11, s15
	s_mov_b64 s[34:35], 0
.LBB81_33:                              ; =>This Inner Loop Header: Depth=1
	ds_read2st64_b32 v[12:13], v10 offset1:2
	v_add_u32_e32 v9, -1, v9
	v_cmp_eq_u32_e32 vcc, 0, v9
	s_or_b64 s[34:35], vcc, s[34:35]
	s_waitcnt lgkmcnt(0)
	v_pk_mul_f32 v[12:13], v[2:3], v[12:13]
	ds_write2st64_b32 v10, v12, v13 offset1:2
	v_add_u32_e32 v10, 0x400, v10
	s_andn2_b64 exec, exec, s[34:35]
	s_cbranch_execnz .LBB81_33
.LBB81_34:
	s_or_b64 exec, exec, s[10:11]
	v_add_u32_e32 v8, 1, v8
	v_and_b32_e32 v9, 0x3fffffe, v8
	v_cmp_ne_u32_e32 vcc, v8, v9
	v_lshl_add_u32 v3, v9, 7, v0
	s_orn2_b64 s[10:11], vcc, exec
.LBB81_35:
	s_or_b64 exec, exec, s[8:9]
	s_and_b64 exec, exec, s[10:11]
	s_cbranch_execz .LBB81_38
; %bb.36:
	v_mov_b32_e32 v8, 0x50
	v_lshl_add_u32 v8, v3, 2, v8
	s_mov_b64 s[8:9], 0
.LBB81_37:                              ; =>This Inner Loop Header: Depth=1
	ds_read_b32 v9, v8
	v_add_u32_e32 v3, 0x80, v3
	v_cmp_le_i32_e32 vcc, s3, v3
	s_or_b64 s[8:9], vcc, s[8:9]
	s_waitcnt lgkmcnt(0)
	v_mul_f32_e32 v9, v2, v9
	ds_write_b32 v8, v9
	v_add_u32_e32 v8, 0x200, v8
	s_andn2_b64 exec, exec, s[8:9]
	s_cbranch_execnz .LBB81_37
.LBB81_38:
	s_or_b64 exec, exec, s[0:1]
	s_mul_i32 s0, s21, s24
	v_cmp_eq_u32_e32 vcc, 0, v0
	s_mul_i32 s8, s0, s5
	s_waitcnt lgkmcnt(0)
	s_barrier
	s_and_saveexec_b64 s[0:1], vcc
	s_cbranch_execz .LBB81_40
; %bb.39:
	s_ashr_i32 s9, s8, 31
	s_lshl_b64 s[10:11], s[8:9], 2
	s_add_u32 s5, s18, s10
	s_mul_i32 s2, s21, s2
	s_addc_u32 s9, s19, s11
	s_ashr_i32 s3, s2, 31
	s_lshl_b64 s[2:3], s[2:3], 2
	s_add_u32 s15, s5, s2
	s_addc_u32 s9, s9, s3
	s_ashr_i32 s5, s4, 31
	s_lshl_b64 s[18:19], s[4:5], 2
	s_add_u32 s34, s15, s18
	s_addc_u32 s35, s9, s19
	s_add_u32 s5, s16, s10
	s_addc_u32 s9, s17, s11
	;; [unrolled: 2-line block ×3, first 2 shown]
	s_add_u32 s2, s2, s18
	v_mov_b32_e32 v2, 0
	s_addc_u32 s3, s3, s19
	global_store_dword v2, v4, s[34:35]
	global_store_dword v2, v5, s[2:3]
.LBB81_40:
	s_or_b64 exec, exec, s[0:1]
	v_mov_b32_e32 v9, 0
	s_and_saveexec_b64 s[2:3], s[6:7]
	s_cbranch_execz .LBB81_48
; %bb.41:
	s_ashr_i32 s15, s14, 31
	s_lshl_b64 s[0:1], s[14:15], 1
	s_add_u32 s0, s30, s0
	s_addc_u32 s1, s31, s1
	v_lshlrev_b32_e32 v8, 4, v14
	v_mov_b32_e32 v9, 0
	v_lshl_add_u64 v[10:11], s[0:1], 0, v[8:9]
	s_add_i32 s9, s12, -1
	s_lshl_b64 s[0:1], s[28:29], 2
	s_add_u32 s0, s26, s0
	v_mov_b32_e32 v2, 0x50
	s_addc_u32 s1, s27, s1
	v_cmp_gt_u32_e32 vcc, 32, v14
	s_mov_b32 s5, s13
	s_mov_b32 s14, s25
	;; [unrolled: 1-line block ×8, first 2 shown]
	v_lshl_add_u32 v8, v1, 3, s40
	v_lshl_add_u32 v1, v1, 5, v2
	v_lshl_add_u64 v[12:13], v[6:7], 2, s[0:1]
	s_mov_b64 s[6:7], 0
	s_mov_b32 s26, 0x5040100
	s_branch .LBB81_44
.LBB81_42:                              ;   in Loop: Header=BB81_44 Depth=1
	s_or_b64 exec, exec, s[12:13]
	v_and_b32_e32 v7, 0xffff, v7
	v_lshl_or_b32 v7, v15, 16, v7
	v_and_b32_e32 v15, 0xffff, v16
	v_lshl_or_b32 v15, v17, 16, v15
	v_and_b32_e32 v16, 0xffff, v18
	v_and_b32_e32 v17, 0xffff, v20
	s_waitcnt vmcnt(0)
	;;#ASMSTART
	v_pk_mul_f16 v2, v7, v2;

	;;#ASMEND
	v_lshl_or_b32 v16, v19, 16, v16
	v_lshl_or_b32 v17, v21, 16, v17
	;;#ASMSTART
	v_pk_mul_f16 v3, v15, v3;

	;;#ASMEND
	;;#ASMSTART
	v_pk_mul_f16 v4, v16, v4;

	;;#ASMEND
	;; [unrolled: 4-line block ×3, first 2 shown]
	s_nop 0
	;;#ASMSTART
	v_pk_add_f16 v2, v2, v3;

	;;#ASMEND
	s_nop 0
	;;#ASMSTART
	v_pk_add_f16 v2, v2, v4;

	;;#ASMEND
	;; [unrolled: 5-line block ×3, first 2 shown]
	s_nop 0
	v_lshrrev_b32_e32 v3, 16, v2
	v_and_b32_e32 v2, 0xffff, v2
	;;#ASMSTART
	v_cvt_f32_f16 v2, v2;
	;;#ASMEND
	;;#ASMSTART
	v_cvt_f32_f16 v3, v3;
	;;#ASMEND
	s_nop 0
	v_add_f32_e32 v2, v2, v3
	v_add_f32_e32 v9, v9, v2
.LBB81_43:                              ;   in Loop: Header=BB81_44 Depth=1
	s_or_b64 exec, exec, s[10:11]
	v_add_u32_e32 v6, 2, v6
	v_cmp_le_i32_e64 s[0:1], s33, v6
	v_add_u32_e32 v8, 16, v8
	v_add_u32_e32 v1, 64, v1
	s_or_b64 s[6:7], s[0:1], s[6:7]
	v_lshl_add_u64 v[12:13], v[12:13], 0, 8
	s_andn2_b64 exec, exec, s[6:7]
	s_cbranch_execz .LBB81_47
.LBB81_44:                              ; =>This Inner Loop Header: Depth=1
	ds_read2_b64 v[2:5], v1 offset1:1
	ds_read2_b64 v[18:21], v1 offset0:2 offset1:3
	s_waitcnt lgkmcnt(1)
	;;#ASMSTART
	v_cvt_f16_f32 v7, v2;

	;;#ASMEND
	;;#ASMSTART
	v_cvt_f16_f32 v15, v3;

	;;#ASMEND
	;;#ASMSTART
	v_cvt_f16_f32 v16, v4;

	;;#ASMEND
	;;#ASMSTART
	v_cvt_f16_f32 v17, v5;

	;;#ASMEND
	s_waitcnt lgkmcnt(0)
	;;#ASMSTART
	v_cvt_f16_f32 v18, v18;

	;;#ASMEND
	;;#ASMSTART
	v_cvt_f16_f32 v19, v19;

	;;#ASMEND
	;; [unrolled: 4-line block ×4, first 2 shown]
	s_and_saveexec_b64 s[10:11], vcc
	s_cbranch_execz .LBB81_43
; %bb.45:                               ;   in Loop: Header=BB81_44 Depth=1
	global_load_dword v2, v[12:13], off
	s_waitcnt vmcnt(0)
	v_mad_i64_i32 v[2:3], s[0:1], v2, s5, 0
	v_lshl_add_u64 v[2:3], v[2:3], 1, v[10:11]
	global_load_dwordx4 v[2:5], v[2:3], off
	v_cmp_eq_u32_e64 s[0:1], s9, v6
	s_and_saveexec_b64 s[12:13], s[0:1]
	s_cbranch_execz .LBB81_42
; %bb.46:                               ;   in Loop: Header=BB81_44 Depth=1
	v_or_b32_e32 v27, 7, v8
	v_or_b32_e32 v28, 6, v8
	s_waitcnt vmcnt(0)
	v_lshrrev_b32_e32 v29, 16, v5
	v_cmp_gt_i32_e64 s[0:1], s24, v27
	v_or_b32_e32 v25, 5, v8
	v_or_b32_e32 v26, 4, v8
	v_cndmask_b32_e64 v27, 0, v29, s[0:1]
	v_cmp_gt_i32_e64 s[0:1], s19, v28
	v_or_b32_e32 v23, 3, v8
	v_or_b32_e32 v24, 2, v8
	v_cndmask_b32_e64 v5, 0, v5, s[0:1]
	v_perm_b32 v5, v27, v5, s26
	v_lshrrev_b32_e32 v27, 16, v4
	v_cmp_gt_i32_e64 s[0:1], s18, v25
	v_add_u32_e32 v22, 1, v8
	s_nop 0
	v_cndmask_b32_e64 v25, 0, v27, s[0:1]
	v_cmp_gt_i32_e64 s[0:1], s17, v26
	s_nop 1
	v_cndmask_b32_e64 v4, 0, v4, s[0:1]
	v_perm_b32 v4, v25, v4, s26
	v_lshrrev_b32_e32 v25, 16, v3
	v_cmp_gt_i32_e64 s[0:1], s16, v23
	s_nop 1
	v_cndmask_b32_e64 v23, 0, v25, s[0:1]
	v_cmp_gt_i32_e64 s[0:1], s15, v24
	s_nop 1
	v_cndmask_b32_e64 v3, 0, v3, s[0:1]
	v_perm_b32 v3, v23, v3, s26
	v_lshrrev_b32_e32 v23, 16, v2
	v_cmp_gt_i32_e64 s[0:1], s14, v22
	s_nop 1
	v_cndmask_b32_e64 v22, 0, v23, s[0:1]
	v_cmp_gt_i32_e64 s[0:1], s25, v8
	s_nop 1
	v_cndmask_b32_e64 v2, 0, v2, s[0:1]
	v_perm_b32 v2, v22, v2, s26
	s_branch .LBB81_42
.LBB81_47:
	s_or_b64 exec, exec, s[6:7]
.LBB81_48:
	s_or_b64 exec, exec, s[2:3]
	v_and_b32_e32 v1, 0x3c0, v0
	v_cmp_eq_u32_e64 s[0:1], 64, v1
	v_cmp_gt_u32_e32 vcc, 32, v14
	s_and_b64 s[2:3], s[0:1], vcc
	s_barrier
	s_and_saveexec_b64 s[0:1], s[2:3]
	s_cbranch_execz .LBB81_50
; %bb.49:
	v_mov_b32_e32 v1, 0x50
	v_lshl_add_u32 v1, v14, 2, v1
	ds_write_b32 v1, v9
.LBB81_50:
	s_or_b64 exec, exec, s[0:1]
	v_cmp_gt_u32_e64 s[0:1], 64, v0
	s_and_b64 s[0:1], s[0:1], vcc
	s_waitcnt lgkmcnt(0)
	s_barrier
	s_and_saveexec_b64 s[2:3], s[0:1]
	s_cbranch_execz .LBB81_52
; %bb.51:
	v_mov_b32_e32 v0, 0x50
	v_lshl_add_u32 v0, v14, 2, v0
	ds_read_b32 v0, v0
	s_waitcnt lgkmcnt(0)
	v_add_f32_e32 v9, v9, v0
.LBB81_52:
	s_or_b64 exec, exec, s[2:3]
	s_barrier
	s_and_saveexec_b64 s[2:3], s[0:1]
	s_cbranch_execz .LBB81_54
; %bb.53:
	s_lshl_b32 s0, s8, 5
	s_ashr_i32 s1, s0, 31
	s_lshl_b64 s[0:1], s[0:1], 1
	s_add_u32 s2, s22, s0
	s_mul_i32 s0, s21, s20
	s_addc_u32 s3, s23, s1
	s_ashr_i32 s1, s0, 31
	s_lshl_b64 s[0:1], s[0:1], 1
	s_add_u32 s2, s2, s0
	s_addc_u32 s3, s3, s1
	s_lshl_b32 s0, s4, 5
	s_ashr_i32 s1, s0, 31
	s_lshl_b64 s[0:1], s[0:1], 1
	s_add_u32 s0, s2, s0
	s_addc_u32 s1, s3, s1
	v_lshlrev_b32_e32 v0, 1, v14
	;;#ASMSTART
	v_cvt_f16_f32 v1, v9;

	;;#ASMEND
	global_store_short v0, v1, s[0:1]
.LBB81_54:
	s_endpgm
	.section	.rodata,"a",@progbits
	.p2align	6, 0x0
	.amdhsa_kernel _ZN4vllm25paged_attention_v2_kernelIttLi32ELi8ELi128ELNS_18Fp8KVCacheDataTypeE0ELb0ELi512EEEvPfS2_PT_PKS3_PKT0_S9_ifPKiSB_iPKfiiiSD_SD_iiiii
		.amdhsa_group_segment_fixed_size 80
		.amdhsa_private_segment_fixed_size 0
		.amdhsa_kernarg_size 400
		.amdhsa_user_sgpr_count 2
		.amdhsa_user_sgpr_dispatch_ptr 0
		.amdhsa_user_sgpr_queue_ptr 0
		.amdhsa_user_sgpr_kernarg_segment_ptr 1
		.amdhsa_user_sgpr_dispatch_id 0
		.amdhsa_user_sgpr_kernarg_preload_length 0
		.amdhsa_user_sgpr_kernarg_preload_offset 0
		.amdhsa_user_sgpr_private_segment_size 0
		.amdhsa_uses_dynamic_stack 0
		.amdhsa_enable_private_segment 0
		.amdhsa_system_sgpr_workgroup_id_x 1
		.amdhsa_system_sgpr_workgroup_id_y 1
		.amdhsa_system_sgpr_workgroup_id_z 1
		.amdhsa_system_sgpr_workgroup_info 0
		.amdhsa_system_vgpr_workitem_id 0
		.amdhsa_next_free_vgpr 30
		.amdhsa_next_free_sgpr 42
		.amdhsa_accum_offset 32
		.amdhsa_reserve_vcc 1
		.amdhsa_float_round_mode_32 0
		.amdhsa_float_round_mode_16_64 0
		.amdhsa_float_denorm_mode_32 3
		.amdhsa_float_denorm_mode_16_64 3
		.amdhsa_dx10_clamp 1
		.amdhsa_ieee_mode 1
		.amdhsa_fp16_overflow 0
		.amdhsa_tg_split 0
		.amdhsa_exception_fp_ieee_invalid_op 0
		.amdhsa_exception_fp_denorm_src 0
		.amdhsa_exception_fp_ieee_div_zero 0
		.amdhsa_exception_fp_ieee_overflow 0
		.amdhsa_exception_fp_ieee_underflow 0
		.amdhsa_exception_fp_ieee_inexact 0
		.amdhsa_exception_int_div_zero 0
	.end_amdhsa_kernel
	.section	.text._ZN4vllm25paged_attention_v2_kernelIttLi32ELi8ELi128ELNS_18Fp8KVCacheDataTypeE0ELb0ELi512EEEvPfS2_PT_PKS3_PKT0_S9_ifPKiSB_iPKfiiiSD_SD_iiiii,"axG",@progbits,_ZN4vllm25paged_attention_v2_kernelIttLi32ELi8ELi128ELNS_18Fp8KVCacheDataTypeE0ELb0ELi512EEEvPfS2_PT_PKS3_PKT0_S9_ifPKiSB_iPKfiiiSD_SD_iiiii,comdat
.Lfunc_end81:
	.size	_ZN4vllm25paged_attention_v2_kernelIttLi32ELi8ELi128ELNS_18Fp8KVCacheDataTypeE0ELb0ELi512EEEvPfS2_PT_PKS3_PKT0_S9_ifPKiSB_iPKfiiiSD_SD_iiiii, .Lfunc_end81-_ZN4vllm25paged_attention_v2_kernelIttLi32ELi8ELi128ELNS_18Fp8KVCacheDataTypeE0ELb0ELi512EEEvPfS2_PT_PKS3_PKT0_S9_ifPKiSB_iPKfiiiSD_SD_iiiii
                                        ; -- End function
	.section	.AMDGPU.csdata,"",@progbits
; Kernel info:
; codeLenInByte = 3732
; NumSgprs: 48
; NumVgprs: 30
; NumAgprs: 0
; TotalNumVgprs: 30
; ScratchSize: 0
; MemoryBound: 0
; FloatMode: 240
; IeeeMode: 1
; LDSByteSize: 80 bytes/workgroup (compile time only)
; SGPRBlocks: 5
; VGPRBlocks: 3
; NumSGPRsForWavesPerEU: 48
; NumVGPRsForWavesPerEU: 30
; AccumOffset: 32
; Occupancy: 8
; WaveLimiterHint : 1
; COMPUTE_PGM_RSRC2:SCRATCH_EN: 0
; COMPUTE_PGM_RSRC2:USER_SGPR: 2
; COMPUTE_PGM_RSRC2:TRAP_HANDLER: 0
; COMPUTE_PGM_RSRC2:TGID_X_EN: 1
; COMPUTE_PGM_RSRC2:TGID_Y_EN: 1
; COMPUTE_PGM_RSRC2:TGID_Z_EN: 1
; COMPUTE_PGM_RSRC2:TIDIG_COMP_CNT: 0
; COMPUTE_PGM_RSRC3_GFX90A:ACCUM_OFFSET: 7
; COMPUTE_PGM_RSRC3_GFX90A:TG_SPLIT: 0
	.section	.text._ZN4vllm25paged_attention_v2_kernelIttLi64ELi8ELi128ELNS_18Fp8KVCacheDataTypeE0ELb0ELi512EEEvPfS2_PT_PKS3_PKT0_S9_ifPKiSB_iPKfiiiSD_SD_iiiii,"axG",@progbits,_ZN4vllm25paged_attention_v2_kernelIttLi64ELi8ELi128ELNS_18Fp8KVCacheDataTypeE0ELb0ELi512EEEvPfS2_PT_PKS3_PKT0_S9_ifPKiSB_iPKfiiiSD_SD_iiiii,comdat
	.protected	_ZN4vllm25paged_attention_v2_kernelIttLi64ELi8ELi128ELNS_18Fp8KVCacheDataTypeE0ELb0ELi512EEEvPfS2_PT_PKS3_PKT0_S9_ifPKiSB_iPKfiiiSD_SD_iiiii ; -- Begin function _ZN4vllm25paged_attention_v2_kernelIttLi64ELi8ELi128ELNS_18Fp8KVCacheDataTypeE0ELb0ELi512EEEvPfS2_PT_PKS3_PKT0_S9_ifPKiSB_iPKfiiiSD_SD_iiiii
	.globl	_ZN4vllm25paged_attention_v2_kernelIttLi64ELi8ELi128ELNS_18Fp8KVCacheDataTypeE0ELb0ELi512EEEvPfS2_PT_PKS3_PKT0_S9_ifPKiSB_iPKfiiiSD_SD_iiiii
	.p2align	8
	.type	_ZN4vllm25paged_attention_v2_kernelIttLi64ELi8ELi128ELNS_18Fp8KVCacheDataTypeE0ELb0ELi512EEEvPfS2_PT_PKS3_PKT0_S9_ifPKiSB_iPKfiiiSD_SD_iiiii,@function
_ZN4vllm25paged_attention_v2_kernelIttLi64ELi8ELi128ELNS_18Fp8KVCacheDataTypeE0ELb0ELi512EEEvPfS2_PT_PKS3_PKT0_S9_ifPKiSB_iPKfiiiSD_SD_iiiii: ; @_ZN4vllm25paged_attention_v2_kernelIttLi64ELi8ELi128ELNS_18Fp8KVCacheDataTypeE0ELb0ELi512EEEvPfS2_PT_PKS3_PKT0_S9_ifPKiSB_iPKfiiiSD_SD_iiiii
; %bb.0:
	s_load_dwordx2 s[6:7], s[0:1], 0x40
	s_mov_b32 s26, s3
	s_ashr_i32 s27, s3, 31
	s_lshl_b64 s[8:9], s[26:27], 2
	s_waitcnt lgkmcnt(0)
	s_add_u32 s6, s6, s8
	s_addc_u32 s7, s7, s9
	s_load_dword s27, s[6:7], 0x0
	s_lshl_b32 s42, s4, 9
	s_waitcnt lgkmcnt(0)
	s_cmp_ge_i32 s42, s27
	s_cbranch_scc1 .LBB82_52
; %bb.1:
	s_load_dword s5, s[0:1], 0x90
	s_load_dwordx2 s[12:13], s[0:1], 0x30
	s_waitcnt lgkmcnt(0)
	s_abs_i32 s7, s5
	s_abs_i32 s3, s12
	v_cvt_f32_u32_e32 v1, s3
	s_sub_i32 s8, 0, s3
	s_xor_b32 s6, s5, s12
	s_ashr_i32 s6, s6, 31
	v_rcp_iflag_f32_e32 v1, v1
	s_nop 0
	v_mul_f32_e32 v1, 0x4f7ffffe, v1
	v_cvt_u32_f32_e32 v1, v1
	s_nop 0
	v_readfirstlane_b32 s9, v1
	s_mul_i32 s8, s8, s9
	s_mul_hi_u32 s8, s9, s8
	s_add_i32 s9, s9, s8
	s_mul_hi_u32 s8, s7, s9
	s_mul_i32 s9, s8, s3
	s_sub_i32 s7, s7, s9
	s_add_i32 s10, s8, 1
	s_sub_i32 s9, s7, s3
	s_cmp_ge_u32 s7, s3
	s_cselect_b32 s8, s10, s8
	s_cselect_b32 s7, s9, s7
	s_add_i32 s9, s8, 1
	s_cmp_ge_u32 s7, s3
	s_cselect_b32 s3, s9, s8
	s_xor_b32 s3, s3, s6
	s_sub_i32 s8, s3, s6
	s_abs_i32 s10, s8
	v_cvt_f32_u32_e32 v1, s10
	s_load_dwordx2 s[6:7], s[0:1], 0x50
	s_sub_i32 s9, 0, s10
	s_abs_i32 s11, s2
	v_rcp_iflag_f32_e32 v1, v1
	s_mov_b32 s3, 0
	v_mul_f32_e32 v1, 0x4f7ffffe, v1
	v_cvt_u32_f32_e32 v1, v1
	s_nop 0
	v_readfirstlane_b32 s12, v1
	s_mul_i32 s9, s9, s12
	s_mul_hi_u32 s9, s12, s9
	s_add_i32 s12, s12, s9
	s_waitcnt lgkmcnt(0)
	s_cmp_eq_u64 s[6:7], 0
	s_mul_hi_u32 s12, s11, s12
	s_cbranch_scc1 .LBB82_3
; %bb.2:
	s_ashr_i32 s3, s2, 31
	s_lshl_b64 s[14:15], s[2:3], 2
	s_add_u32 s6, s6, s14
	s_addc_u32 s7, s7, s15
	s_load_dword s3, s[6:7], 0x0
.LBB82_3:
	s_load_dwordx4 s[16:19], s[0:1], 0x58
	s_ashr_i32 s20, s2, 31
	s_waitcnt lgkmcnt(0)
	s_ashr_i32 s19, s8, 31
	v_and_b32_e32 v4, 7, v0
	s_lshl_b32 s14, s2, 6
	v_cmp_gt_u32_e64 s[8:9], 64, v0
	s_and_saveexec_b64 s[6:7], s[8:9]
	s_cbranch_execz .LBB82_5
; %bb.4:
	s_load_dwordx2 s[22:23], s[0:1], 0x18
	s_mul_i32 s24, s26, s16
	s_ashr_i32 s25, s24, 31
	s_lshl_b64 s[24:25], s[24:25], 1
	v_lshlrev_b32_e32 v1, 1, v0
	s_waitcnt lgkmcnt(0)
	s_add_u32 s16, s22, s24
	s_addc_u32 s21, s23, s25
	s_ashr_i32 s15, s14, 31
	s_lshl_b64 s[22:23], s[14:15], 1
	s_add_u32 s22, s16, s22
	s_addc_u32 s23, s21, s23
	global_load_ushort v1, v1, s[22:23]
	v_lshrrev_b32_e32 v2, 2, v0
	v_and_b32_e32 v2, 0xfe, v2
	v_lshl_add_u32 v2, v4, 4, v2
	s_waitcnt vmcnt(0)
	ds_write_b16 v2, v1
.LBB82_5:
	s_or_b64 exec, exec, s[6:7]
	s_add_i32 s6, s27, 7
	s_ashr_i32 s7, s6, 31
	s_lshr_b32 s7, s7, 29
	s_add_i32 s6, s6, s7
	s_lshl_b32 s16, s4, 6
	s_mul_i32 s7, s12, s10
	s_ashr_i32 s43, s6, 3
	s_add_i32 s6, s16, 64
	s_sub_i32 s7, s11, s7
	s_min_i32 s15, s6, s43
	s_xor_b32 s6, s20, s19
	s_add_i32 s11, s12, 1
	s_sub_i32 s19, s7, s10
	s_cmp_ge_u32 s7, s10
	s_cselect_b32 s11, s11, s12
	s_cselect_b32 s7, s19, s7
	s_add_i32 s12, s11, 1
	s_cmp_ge_u32 s7, s10
	s_load_dwordx2 s[28:29], s[0:1], 0x38
	s_load_dword s10, s[0:1], 0x48
	v_lshrrev_b32_e32 v1, 6, v0
	s_cselect_b32 s7, s12, s11
	s_xor_b32 s7, s7, s6
	v_or_b32_e32 v6, s16, v1
	s_waitcnt lgkmcnt(0)
	s_mul_i32 s30, s26, s10
	s_sub_i32 s12, s7, s6
	s_ashr_i32 s31, s30, 31
	v_cmp_gt_i32_e64 s[6:7], s15, v6
	v_cmp_le_i32_e32 vcc, s15, v6
	v_mbcnt_lo_u32_b32 v14, -1, 0
	s_barrier
	s_waitcnt lgkmcnt(0)
                                        ; implicit-def: $sgpr19
                                        ; implicit-def: $vgpr8
                                        ; implicit-def: $vgpr9
	s_and_saveexec_b64 s[10:11], vcc
	s_xor_b64 s[10:11], exec, s[10:11]
; %bb.6:
	v_mbcnt_hi_u32_b32 v8, -1, v14
	v_and_b32_e32 v2, 64, v8
	v_add_u32_e32 v9, 64, v2
	s_mov_b32 s19, 0xff7fffff
                                        ; implicit-def: $vgpr4
                                        ; implicit-def: $vgpr14
; %bb.7:
	s_or_saveexec_b64 s[36:37], s[10:11]
	s_load_dwordx4 s[20:23], s[0:1], 0x0
	s_load_dwordx2 s[24:25], s[0:1], 0x10
	s_load_dwordx2 s[34:35], s[0:1], 0x28
	s_load_dword s33, s[0:1], 0x98
	v_mov_b32_e32 v10, s19
	s_mul_i32 s18, s12, s18
	v_ashrrev_i32_e32 v7, 31, v6
	s_xor_b64 exec, exec, s[36:37]
	s_cbranch_execz .LBB82_13
; %bb.8:
	s_load_dwordx2 s[0:1], s[0:1], 0x20
	s_ashr_i32 s19, s18, 31
	s_lshl_b64 s[10:11], s[18:19], 1
	v_bfe_u32 v5, v0, 3, 3
	v_lshlrev_b32_e32 v2, 4, v5
	s_waitcnt lgkmcnt(0)
	s_add_u32 s0, s0, s10
	s_addc_u32 s1, s1, s11
	v_mov_b32_e32 v3, 0
	v_lshl_add_u64 v[8:9], s[0:1], 0, v[2:3]
	v_lshlrev_b32_e32 v2, 1, v4
	v_lshlrev_b32_e32 v11, 4, v4
	v_cmp_eq_u32_e32 vcc, 0, v4
	s_sub_i32 s19, 1, s27
	v_lshlrev_b32_e32 v4, 3, v1
	s_lshl_b64 s[10:11], s[30:31], 2
	v_lshl_add_u64 v[2:3], v[8:9], 0, v[2:3]
	v_add3_u32 v12, s42, v4, v5
	v_lshlrev_b32_e32 v4, 2, v5
	s_add_u32 s10, s28, s10
	v_mbcnt_hi_u32_b32 v8, -1, v14
	v_lshl_or_b32 v4, v1, 5, v4
	s_addc_u32 s11, s29, s11
	v_and_b32_e32 v9, 64, v8
	s_mov_b32 s12, s17
	v_cmp_neq_f32_e64 s[0:1], s3, 0
	v_add_u32_e32 v13, 0x90, v4
	v_lshl_add_u64 v[4:5], v[6:7], 2, s[10:11]
	s_mov_b64 s[38:39], 0
	v_mov_b32_e32 v10, 0xff7fffff
	v_add_u32_e32 v9, 64, v9
	v_xor_b32_e32 v14, 4, v8
	v_xor_b32_e32 v15, 2, v8
	;; [unrolled: 1-line block ×3, first 2 shown]
	v_mov_b32_e32 v17, v6
	s_branch .LBB82_10
.LBB82_9:                               ;   in Loop: Header=BB82_10 Depth=1
	s_or_b64 exec, exec, s[40:41]
	v_add_u32_e32 v17, 2, v17
	v_cmp_le_i32_e64 s[10:11], s15, v17
	v_add_u32_e32 v12, 16, v12
	v_add_u32_e32 v13, 64, v13
	s_or_b64 s[38:39], s[10:11], s[38:39]
	v_lshl_add_u64 v[4:5], v[4:5], 0, 8
	s_andn2_b64 exec, exec, s[38:39]
	s_cbranch_execz .LBB82_12
.LBB82_10:                              ; =>This Inner Loop Header: Depth=1
	global_load_dword v18, v[4:5], off
	s_waitcnt vmcnt(0) lgkmcnt(0)
	v_mad_i64_i32 v[18:19], s[10:11], v18, s12, 0
	v_lshl_add_u64 v[18:19], v[18:19], 1, v[2:3]
	global_load_ushort v20, v[18:19], off
	global_load_ushort v21, v[18:19], off offset:128
	global_load_ushort v22, v[18:19], off offset:256
	;; [unrolled: 1-line block ×7, first 2 shown]
	ds_read_u16 v18, v11
	s_waitcnt lgkmcnt(0)
	;;#ASMSTART
	v_cvt_f32_f16 v18, v18;
	;;#ASMEND
	v_cmp_lt_i32_e64 s[10:11], v14, v9
	s_waitcnt vmcnt(7)
	;;#ASMSTART
	v_cvt_f32_f16 v19, v20;
	;;#ASMEND
	ds_read_u16 v20, v11 offset:2
	s_waitcnt lgkmcnt(0)
	;;#ASMSTART
	v_cvt_f32_f16 v20, v20;
	;;#ASMEND
	s_waitcnt vmcnt(6)
	;;#ASMSTART
	v_cvt_f32_f16 v21, v21;
	;;#ASMEND
	ds_read_u16 v28, v11 offset:4
	v_mul_f32_e32 v20, v20, v21
	v_fmac_f32_e32 v20, v18, v19
	s_waitcnt lgkmcnt(0)
	;;#ASMSTART
	v_cvt_f32_f16 v28, v28;
	;;#ASMEND
	s_waitcnt vmcnt(5)
	;;#ASMSTART
	v_cvt_f32_f16 v22, v22;
	;;#ASMEND
	ds_read_u16 v29, v11 offset:6
	v_fmac_f32_e32 v20, v28, v22
	s_waitcnt lgkmcnt(0)
	;;#ASMSTART
	v_cvt_f32_f16 v29, v29;
	;;#ASMEND
	s_waitcnt vmcnt(4)
	;;#ASMSTART
	v_cvt_f32_f16 v23, v23;
	;;#ASMEND
	ds_read_u16 v30, v11 offset:8
	v_fmac_f32_e32 v20, v29, v23
	s_waitcnt lgkmcnt(0)
	;;#ASMSTART
	v_cvt_f32_f16 v30, v30;
	;;#ASMEND
	s_waitcnt vmcnt(3)
	;;#ASMSTART
	v_cvt_f32_f16 v24, v24;
	;;#ASMEND
	ds_read_u16 v31, v11 offset:10
	v_fmac_f32_e32 v20, v30, v24
	s_waitcnt lgkmcnt(0)
	;;#ASMSTART
	v_cvt_f32_f16 v31, v31;
	;;#ASMEND
	s_waitcnt vmcnt(2)
	;;#ASMSTART
	v_cvt_f32_f16 v25, v25;
	;;#ASMEND
	v_cndmask_b32_e64 v32, v8, v14, s[10:11]
	v_fmac_f32_e32 v20, v31, v25
	ds_read_u16 v33, v11 offset:12
	s_waitcnt lgkmcnt(0)
	;;#ASMSTART
	v_cvt_f32_f16 v18, v33;
	;;#ASMEND
	s_waitcnt vmcnt(1)
	;;#ASMSTART
	v_cvt_f32_f16 v19, v26;
	;;#ASMEND
	v_lshlrev_b32_e32 v32, 2, v32
	v_fmac_f32_e32 v20, v18, v19
	ds_read_u16 v21, v11 offset:14
	s_waitcnt lgkmcnt(0)
	;;#ASMSTART
	v_cvt_f32_f16 v18, v21;
	;;#ASMEND
	s_waitcnt vmcnt(0)
	;;#ASMSTART
	v_cvt_f32_f16 v19, v27;
	;;#ASMEND
	v_cmp_lt_i32_e64 s[10:11], v15, v9
	v_fmac_f32_e32 v20, v18, v19
	ds_bpermute_b32 v18, v32, v20
	v_cndmask_b32_e64 v19, v8, v15, s[10:11]
	v_lshlrev_b32_e32 v19, 2, v19
	v_cmp_lt_i32_e64 s[10:11], v16, v9
	s_waitcnt lgkmcnt(0)
	v_add_f32_e32 v18, v20, v18
	ds_bpermute_b32 v19, v19, v18
	v_cndmask_b32_e64 v20, v8, v16, s[10:11]
	s_waitcnt lgkmcnt(0)
	v_add_f32_e32 v18, v18, v19
	v_lshlrev_b32_e32 v19, 2, v20
	ds_bpermute_b32 v19, v19, v18
	s_and_saveexec_b64 s[40:41], vcc
	s_cbranch_execz .LBB82_9
; %bb.11:                               ;   in Loop: Header=BB82_10 Depth=1
	v_add_u32_e32 v20, s19, v12
	v_cvt_f32_i32_e32 v20, v20
	s_waitcnt lgkmcnt(0)
	v_add_f32_e32 v18, v18, v19
	v_cmp_gt_i32_e64 s[10:11], s27, v12
	v_max_f32_e32 v19, v10, v10
	v_mul_f32_e32 v20, s3, v20
	v_cndmask_b32_e64 v20, 0, v20, s[0:1]
	v_fmac_f32_e32 v20, s13, v18
	v_cndmask_b32_e64 v18, 0, v20, s[10:11]
	ds_write_b32 v13, v18
	v_max_f32_e32 v18, v19, v20
	v_cndmask_b32_e64 v10, v10, v18, s[10:11]
	s_branch .LBB82_9
.LBB82_12:
	s_or_b64 exec, exec, s[38:39]
.LBB82_13:
	s_or_b64 exec, exec, s[36:37]
	v_xor_b32_e32 v2, 32, v8
	v_cmp_lt_i32_e32 vcc, v2, v9
	v_xor_b32_e32 v5, 16, v8
	v_max_f32_e32 v4, v10, v10
	v_cndmask_b32_e32 v2, v8, v2, vcc
	v_lshlrev_b32_e32 v3, 2, v2
	ds_bpermute_b32 v2, v3, v10
	v_cmp_lt_i32_e32 vcc, v5, v9
	v_and_b32_e32 v14, 63, v0
	s_waitcnt lgkmcnt(0)
	v_max_f32_e32 v2, v2, v2
	v_max_f32_e32 v2, v4, v2
	v_cndmask_b32_e32 v4, v8, v5, vcc
	v_lshlrev_b32_e32 v10, 2, v4
	ds_bpermute_b32 v4, v10, v2
	v_xor_b32_e32 v5, 8, v8
	v_cmp_lt_i32_e32 vcc, v5, v9
	s_waitcnt lgkmcnt(0)
	v_max_f32_e32 v4, v4, v4
	v_max_f32_e32 v4, v2, v4
	v_cndmask_b32_e32 v2, v8, v5, vcc
	v_lshlrev_b32_e32 v11, 2, v2
	ds_bpermute_b32 v5, v11, v4
	v_cmp_eq_u32_e32 vcc, 0, v14
	v_lshlrev_b32_e32 v2, 2, v1
	s_and_saveexec_b64 s[0:1], vcc
	s_cbranch_execz .LBB82_15
; %bb.14:
	s_waitcnt lgkmcnt(0)
	v_max_f32_e32 v5, v5, v5
	v_max_f32_e32 v4, v4, v4
	;; [unrolled: 1-line block ×3, first 2 shown]
	ds_write_b32 v2, v4 offset:128
.LBB82_15:
	s_or_b64 exec, exec, s[0:1]
	v_cmp_gt_u32_e64 s[0:1], 2, v14
	v_mov_b32_e32 v4, 0xff7fffff
	s_waitcnt lgkmcnt(0)
	v_lshlrev_b32_e32 v5, 2, v14
	s_barrier
	s_and_saveexec_b64 s[10:11], s[0:1]
	s_cbranch_execz .LBB82_17
; %bb.16:
	ds_read_b32 v4, v5 offset:128
.LBB82_17:
	s_or_b64 exec, exec, s[10:11]
	v_xor_b32_e32 v12, 1, v8
	v_cmp_lt_i32_e64 s[10:11], v12, v9
	s_sub_i32 s3, s15, s16
	s_lshl_b32 s3, s3, 3
	v_cndmask_b32_e64 v12, v8, v12, s[10:11]
	v_lshlrev_b32_e32 v12, 2, v12
	s_waitcnt lgkmcnt(0)
	ds_bpermute_b32 v13, v12, v4
	v_max_f32_e32 v4, v4, v4
	s_add_i32 s3, s3, s42
	s_min_i32 s19, s3, s27
	s_sub_i32 s3, s19, s42
	s_waitcnt lgkmcnt(0)
	v_max_f32_e32 v13, v13, v13
	v_max_f32_e32 v4, v4, v13
	v_lshlrev_b32_e32 v13, 2, v8
	v_and_b32_e32 v13, 0xffffff00, v13
	ds_bpermute_b32 v4, v13, v4
	v_cmp_gt_i32_e64 s[10:11], s3, v0
	v_mov_b32_e32 v15, 0
	s_and_saveexec_b64 s[36:37], s[10:11]
	s_cbranch_execz .LBB82_21
; %bb.18:
	v_mov_b32_e32 v15, 0x90
	v_lshl_add_u32 v16, v0, 2, v15
	s_mov_b64 s[38:39], 0
	v_mov_b32_e32 v15, 0
	v_mov_b32_e32 v17, v0
.LBB82_19:                              ; =>This Inner Loop Header: Depth=1
	ds_read_b32 v18, v16
	v_add_u32_e32 v17, 0x80, v17
	v_cmp_le_i32_e64 s[12:13], s3, v17
	s_or_b64 s[38:39], s[12:13], s[38:39]
	s_waitcnt lgkmcnt(0)
	v_sub_f32_e32 v18, v18, v4
	v_mul_f32_e32 v18, 0x3fb8aa3b, v18
	v_exp_f32_e32 v18, v18
	ds_write_b32 v16, v18
	v_add_f32_e32 v15, v15, v18
	v_add_u32_e32 v16, 0x200, v16
	s_andn2_b64 exec, exec, s[38:39]
	s_cbranch_execnz .LBB82_19
; %bb.20:
	s_or_b64 exec, exec, s[38:39]
.LBB82_21:
	s_or_b64 exec, exec, s[36:37]
	ds_bpermute_b32 v3, v3, v15
	s_waitcnt lgkmcnt(0)
	v_add_f32_e32 v3, v15, v3
	ds_bpermute_b32 v10, v10, v3
	s_waitcnt lgkmcnt(0)
	v_add_f32_e32 v3, v3, v10
	ds_bpermute_b32 v10, v11, v3
	v_xor_b32_e32 v11, 4, v8
	v_cmp_lt_i32_e64 s[12:13], v11, v9
	s_waitcnt lgkmcnt(0)
	v_add_f32_e32 v3, v3, v10
	v_cndmask_b32_e64 v11, v8, v11, s[12:13]
	v_lshlrev_b32_e32 v11, 2, v11
	ds_bpermute_b32 v10, v11, v3
	v_xor_b32_e32 v11, 2, v8
	v_cmp_lt_i32_e64 s[12:13], v11, v9
	s_waitcnt lgkmcnt(0)
	v_add_f32_e32 v3, v3, v10
	v_cndmask_b32_e64 v8, v8, v11, s[12:13]
	v_lshlrev_b32_e32 v8, 2, v8
	ds_bpermute_b32 v8, v8, v3
	s_waitcnt lgkmcnt(0)
	v_add_f32_e32 v3, v3, v8
	ds_bpermute_b32 v8, v12, v3
	s_waitcnt lgkmcnt(0)
	v_add_f32_e32 v3, v3, v8
	s_and_saveexec_b64 s[12:13], vcc
	s_cbranch_execz .LBB82_23
; %bb.22:
	ds_write_b32 v2, v3 offset:136
.LBB82_23:
	s_or_b64 exec, exec, s[12:13]
	s_waitcnt lgkmcnt(0)
	s_barrier
	s_and_saveexec_b64 s[12:13], s[0:1]
	s_cbranch_execz .LBB82_25
; %bb.24:
	ds_read_b32 v3, v5 offset:136
.LBB82_25:
	s_or_b64 exec, exec, s[12:13]
	s_waitcnt lgkmcnt(0)
	ds_bpermute_b32 v2, v12, v3
	s_waitcnt lgkmcnt(0)
	v_add_f32_e32 v2, v3, v2
	ds_bpermute_b32 v5, v13, v2
	s_and_saveexec_b64 s[0:1], s[10:11]
	s_cbranch_execz .LBB82_38
; %bb.26:
	s_waitcnt lgkmcnt(0)
	v_add_f32_e32 v2, 0x358637bd, v5
	v_div_scale_f32 v3, s[10:11], v2, v2, 1.0
	v_rcp_f32_e32 v8, v3
	v_div_scale_f32 v9, vcc, 1.0, v2, 1.0
	s_movk_i32 s10, 0x7f
	v_fma_f32 v10, -v3, v8, 1.0
	v_fmac_f32_e32 v8, v10, v8
	v_mul_f32_e32 v10, v9, v8
	v_fma_f32 v11, -v3, v10, v9
	v_fmac_f32_e32 v10, v11, v8
	v_fma_f32 v3, -v3, v10, v9
	v_div_fmas_f32 v3, v3, v8, v10
	v_div_fixup_f32 v2, v3, v2, 1.0
	v_xad_u32 v3, v0, -1, s19
	v_subrev_u32_e32 v8, s42, v3
	v_cmp_lt_u32_e32 vcc, s10, v8
	s_mov_b64 s[12:13], -1
	v_mov_b32_e32 v3, v0
	s_and_saveexec_b64 s[10:11], vcc
	s_cbranch_execz .LBB82_35
; %bb.27:
	v_lshrrev_b32_e32 v8, 7, v8
	v_add_u32_e32 v10, -1, v8
	v_lshrrev_b32_e32 v9, 1, v10
	v_mov_b32_e32 v3, v2
	v_add_u32_e32 v9, 1, v9
	v_cmp_lt_u32_e32 vcc, 13, v10
	v_mov_b32_e32 v12, 0
	s_and_saveexec_b64 s[12:13], vcc
	s_cbranch_execz .LBB82_31
; %bb.28:
	v_mov_b32_e32 v11, 0x90
	v_and_b32_e32 v10, -8, v9
	v_lshl_add_u32 v11, v0, 2, v11
	s_mov_b32 s19, 0
	s_mov_b64 s[36:37], 0
.LBB82_29:                              ; =>This Inner Loop Header: Depth=1
	ds_read2st64_b32 v[12:13], v11 offset1:2
	ds_read2st64_b32 v[16:17], v11 offset0:4 offset1:6
	ds_read2st64_b32 v[18:19], v11 offset0:8 offset1:10
	;; [unrolled: 1-line block ×3, first 2 shown]
	v_add_u32_e32 v10, -8, v10
	s_waitcnt lgkmcnt(3)
	v_pk_mul_f32 v[12:13], v[2:3], v[12:13]
	s_waitcnt lgkmcnt(2)
	v_pk_mul_f32 v[16:17], v[2:3], v[16:17]
	ds_write2st64_b32 v11, v12, v13 offset1:2
	ds_write2st64_b32 v11, v16, v17 offset0:4 offset1:6
	ds_read2st64_b32 v[16:17], v11 offset0:16 offset1:18
	s_waitcnt lgkmcnt(4)
	v_pk_mul_f32 v[12:13], v[2:3], v[18:19]
	ds_write2st64_b32 v11, v12, v13 offset0:8 offset1:10
	s_waitcnt lgkmcnt(4)
	v_pk_mul_f32 v[12:13], v[2:3], v[20:21]
	ds_write2st64_b32 v11, v12, v13 offset0:12 offset1:14
	ds_read2st64_b32 v[12:13], v11 offset0:20 offset1:22
	s_waitcnt lgkmcnt(3)
	v_pk_mul_f32 v[16:17], v[2:3], v[16:17]
	ds_read2st64_b32 v[18:19], v11 offset0:24 offset1:26
	ds_write2st64_b32 v11, v16, v17 offset0:16 offset1:18
	ds_read2st64_b32 v[16:17], v11 offset0:28 offset1:30
	s_waitcnt lgkmcnt(3)
	v_pk_mul_f32 v[12:13], v[2:3], v[12:13]
	ds_write2st64_b32 v11, v12, v13 offset0:20 offset1:22
	s_waitcnt lgkmcnt(3)
	v_pk_mul_f32 v[12:13], v[2:3], v[18:19]
	ds_write2st64_b32 v11, v12, v13 offset0:24 offset1:26
	s_waitcnt lgkmcnt(2)
	v_pk_mul_f32 v[12:13], v[2:3], v[16:17]
	s_add_i32 s19, s19, 16
	v_cmp_eq_u32_e32 vcc, 0, v10
	ds_write2st64_b32 v11, v12, v13 offset0:28 offset1:30
	v_add_u32_e32 v11, 0x2000, v11
	s_or_b64 s[36:37], vcc, s[36:37]
	v_mov_b32_e32 v12, s19
	s_andn2_b64 exec, exec, s[36:37]
	s_cbranch_execnz .LBB82_29
; %bb.30:
	s_or_b64 exec, exec, s[36:37]
.LBB82_31:
	s_or_b64 exec, exec, s[12:13]
	v_and_b32_e32 v9, 7, v9
	v_cmp_ne_u32_e32 vcc, 0, v9
	s_and_saveexec_b64 s[12:13], vcc
	s_cbranch_execz .LBB82_34
; %bb.32:
	v_lshlrev_b32_e32 v10, 9, v12
	v_lshlrev_b32_e32 v11, 2, v0
	s_movk_i32 s19, 0x90
	v_add3_u32 v10, v10, v11, s19
	s_mov_b64 s[36:37], 0
.LBB82_33:                              ; =>This Inner Loop Header: Depth=1
	ds_read2st64_b32 v[12:13], v10 offset1:2
	v_add_u32_e32 v9, -1, v9
	v_cmp_eq_u32_e32 vcc, 0, v9
	s_or_b64 s[36:37], vcc, s[36:37]
	s_waitcnt lgkmcnt(0)
	v_pk_mul_f32 v[12:13], v[2:3], v[12:13]
	ds_write2st64_b32 v10, v12, v13 offset1:2
	v_add_u32_e32 v10, 0x400, v10
	s_andn2_b64 exec, exec, s[36:37]
	s_cbranch_execnz .LBB82_33
.LBB82_34:
	s_or_b64 exec, exec, s[12:13]
	v_add_u32_e32 v8, 1, v8
	v_and_b32_e32 v9, 0x3fffffe, v8
	v_cmp_ne_u32_e32 vcc, v8, v9
	v_lshl_add_u32 v3, v9, 7, v0
	s_orn2_b64 s[12:13], vcc, exec
.LBB82_35:
	s_or_b64 exec, exec, s[10:11]
	s_and_b64 exec, exec, s[12:13]
	s_cbranch_execz .LBB82_38
; %bb.36:
	v_mov_b32_e32 v8, 0x90
	v_lshl_add_u32 v8, v3, 2, v8
	s_mov_b64 s[10:11], 0
.LBB82_37:                              ; =>This Inner Loop Header: Depth=1
	ds_read_b32 v9, v8
	v_add_u32_e32 v3, 0x80, v3
	v_cmp_le_i32_e32 vcc, s3, v3
	s_or_b64 s[10:11], vcc, s[10:11]
	s_waitcnt lgkmcnt(0)
	v_mul_f32_e32 v9, v2, v9
	ds_write_b32 v8, v9
	v_add_u32_e32 v8, 0x200, v8
	s_andn2_b64 exec, exec, s[10:11]
	s_cbranch_execnz .LBB82_37
.LBB82_38:
	s_or_b64 exec, exec, s[0:1]
	s_mul_i32 s0, s33, s26
	v_cmp_eq_u32_e32 vcc, 0, v0
	s_mul_i32 s0, s0, s5
	s_waitcnt lgkmcnt(0)
	s_barrier
	s_and_saveexec_b64 s[10:11], vcc
	s_cbranch_execz .LBB82_40
; %bb.39:
	s_ashr_i32 s1, s0, 31
	s_lshl_b64 s[12:13], s[0:1], 2
	s_add_u32 s1, s22, s12
	s_mul_i32 s2, s33, s2
	s_addc_u32 s5, s23, s13
	s_ashr_i32 s3, s2, 31
	s_lshl_b64 s[2:3], s[2:3], 2
	s_add_u32 s1, s1, s2
	s_addc_u32 s19, s5, s3
	s_ashr_i32 s5, s4, 31
	s_lshl_b64 s[4:5], s[4:5], 2
	s_add_u32 s22, s1, s4
	s_addc_u32 s23, s19, s5
	s_add_u32 s1, s20, s12
	s_addc_u32 s12, s21, s13
	;; [unrolled: 2-line block ×3, first 2 shown]
	s_add_u32 s2, s1, s4
	v_mov_b32_e32 v2, 0
	s_addc_u32 s3, s3, s5
	global_store_dword v2, v4, s[22:23]
	global_store_dword v2, v5, s[2:3]
.LBB82_40:
	s_or_b64 exec, exec, s[10:11]
	v_mov_b32_e32 v9, 0
	s_and_saveexec_b64 s[2:3], s[6:7]
	s_cbranch_execz .LBB82_46
; %bb.41:
	s_ashr_i32 s19, s18, 31
	s_lshl_b64 s[4:5], s[18:19], 1
	s_add_u32 s4, s34, s4
	s_addc_u32 s5, s35, s5
	v_lshlrev_b32_e32 v8, 4, v14
	v_mov_b32_e32 v9, 0
	v_lshl_add_u64 v[10:11], s[4:5], 0, v[8:9]
	s_add_i32 s43, s43, -1
	s_lshl_b64 s[4:5], s[30:31], 2
	s_add_u32 s4, s28, s4
	v_mov_b32_e32 v2, 0x90
	s_addc_u32 s5, s29, s5
	s_mov_b32 s1, s17
	s_mov_b32 s10, s27
	;; [unrolled: 1-line block ×8, first 2 shown]
	v_lshl_add_u32 v8, v1, 3, s42
	v_lshl_add_u32 v1, v1, 5, v2
	v_lshl_add_u64 v[12:13], v[6:7], 2, s[4:5]
	s_mov_b64 s[4:5], 0
	s_mov_b32 s20, 0x5040100
	s_branch .LBB82_43
.LBB82_42:                              ;   in Loop: Header=BB82_43 Depth=1
	s_or_b64 exec, exec, s[6:7]
	v_and_b32_e32 v7, 0xffff, v7
	v_lshl_or_b32 v7, v15, 16, v7
	v_and_b32_e32 v15, 0xffff, v16
	v_lshl_or_b32 v15, v17, 16, v15
	v_and_b32_e32 v16, 0xffff, v18
	v_and_b32_e32 v17, 0xffff, v20
	s_waitcnt vmcnt(0)
	;;#ASMSTART
	v_pk_mul_f16 v2, v7, v2;

	;;#ASMEND
	v_lshl_or_b32 v16, v19, 16, v16
	v_lshl_or_b32 v17, v21, 16, v17
	;;#ASMSTART
	v_pk_mul_f16 v3, v15, v3;

	;;#ASMEND
	;;#ASMSTART
	v_pk_mul_f16 v4, v16, v4;

	;;#ASMEND
	;; [unrolled: 4-line block ×3, first 2 shown]
	v_add_u32_e32 v6, 2, v6
	;;#ASMSTART
	v_pk_add_f16 v2, v2, v3;

	;;#ASMEND
	v_cmp_le_i32_e32 vcc, s15, v6
	;;#ASMSTART
	v_pk_add_f16 v2, v2, v4;

	;;#ASMEND
	v_add_u32_e32 v8, 16, v8
	;;#ASMSTART
	v_pk_add_f16 v2, v2, v5;

	;;#ASMEND
	v_add_u32_e32 v1, 64, v1
	v_lshrrev_b32_e32 v3, 16, v2
	v_and_b32_e32 v2, 0xffff, v2
	;;#ASMSTART
	v_cvt_f32_f16 v2, v2;
	;;#ASMEND
	;;#ASMSTART
	v_cvt_f32_f16 v3, v3;
	;;#ASMEND
	s_or_b64 s[4:5], vcc, s[4:5]
	v_add_f32_e32 v2, v2, v3
	v_add_f32_e32 v9, v9, v2
	v_lshl_add_u64 v[12:13], v[12:13], 0, 8
	s_andn2_b64 exec, exec, s[4:5]
	s_cbranch_execz .LBB82_45
.LBB82_43:                              ; =>This Inner Loop Header: Depth=1
	global_load_dword v22, v[12:13], off
	ds_read2_b64 v[2:5], v1 offset1:1
	ds_read2_b64 v[18:21], v1 offset0:2 offset1:3
	v_cmp_eq_u32_e32 vcc, s43, v6
	s_waitcnt lgkmcnt(1)
	;;#ASMSTART
	v_cvt_f16_f32 v7, v2;

	;;#ASMEND
	;;#ASMSTART
	v_cvt_f16_f32 v15, v3;

	;;#ASMEND
	;; [unrolled: 4-line block ×4, first 2 shown]
	s_waitcnt lgkmcnt(0)
	;;#ASMSTART
	v_cvt_f16_f32 v18, v18;

	;;#ASMEND
	;;#ASMSTART
	v_cvt_f16_f32 v19, v19;

	;;#ASMEND
	;;#ASMSTART
	v_cvt_f16_f32 v20, v20;

	;;#ASMEND
	;;#ASMSTART
	v_cvt_f16_f32 v21, v21;

	;;#ASMEND
	s_waitcnt vmcnt(0)
	v_mad_i64_i32 v[2:3], s[6:7], v22, s1, 0
	v_lshl_add_u64 v[2:3], v[2:3], 1, v[10:11]
	global_load_dwordx4 v[2:5], v[2:3], off
	s_and_saveexec_b64 s[6:7], vcc
	s_cbranch_execz .LBB82_42
; %bb.44:                               ;   in Loop: Header=BB82_43 Depth=1
	v_or_b32_e32 v27, 7, v8
	v_or_b32_e32 v28, 6, v8
	s_waitcnt vmcnt(0)
	v_lshrrev_b32_e32 v29, 16, v5
	v_cmp_gt_i32_e32 vcc, s19, v27
	v_or_b32_e32 v25, 5, v8
	v_or_b32_e32 v26, 4, v8
	v_cndmask_b32_e32 v27, 0, v29, vcc
	v_cmp_gt_i32_e32 vcc, s18, v28
	v_or_b32_e32 v23, 3, v8
	v_or_b32_e32 v24, 2, v8
	v_cndmask_b32_e32 v5, 0, v5, vcc
	v_perm_b32 v5, v27, v5, s20
	v_lshrrev_b32_e32 v27, 16, v4
	v_cmp_gt_i32_e32 vcc, s17, v25
	v_add_u32_e32 v22, 1, v8
	s_nop 0
	v_cndmask_b32_e32 v25, 0, v27, vcc
	v_cmp_gt_i32_e32 vcc, s13, v26
	s_nop 1
	v_cndmask_b32_e32 v4, 0, v4, vcc
	v_perm_b32 v4, v25, v4, s20
	v_lshrrev_b32_e32 v25, 16, v3
	v_cmp_gt_i32_e32 vcc, s12, v23
	s_nop 1
	v_cndmask_b32_e32 v23, 0, v25, vcc
	v_cmp_gt_i32_e32 vcc, s11, v24
	s_nop 1
	v_cndmask_b32_e32 v3, 0, v3, vcc
	v_perm_b32 v3, v23, v3, s20
	v_lshrrev_b32_e32 v23, 16, v2
	v_cmp_gt_i32_e32 vcc, s10, v22
	s_nop 1
	v_cndmask_b32_e32 v22, 0, v23, vcc
	v_cmp_gt_i32_e32 vcc, s27, v8
	s_nop 1
	v_cndmask_b32_e32 v2, 0, v2, vcc
	v_perm_b32 v2, v22, v2, s20
	s_branch .LBB82_42
.LBB82_45:
	s_or_b64 exec, exec, s[4:5]
.LBB82_46:
	s_or_b64 exec, exec, s[2:3]
	v_and_b32_e32 v0, 0x3c0, v0
	v_cmp_eq_u32_e32 vcc, 64, v0
	s_barrier
	s_and_saveexec_b64 s[2:3], vcc
	s_cbranch_execz .LBB82_48
; %bb.47:
	v_mov_b32_e32 v0, 0x90
	v_lshl_add_u32 v0, v14, 2, v0
	ds_write_b32 v0, v9
.LBB82_48:
	s_or_b64 exec, exec, s[2:3]
	s_waitcnt lgkmcnt(0)
	s_barrier
	s_and_saveexec_b64 s[2:3], s[8:9]
	s_cbranch_execz .LBB82_50
; %bb.49:
	v_mov_b32_e32 v0, 0x90
	v_lshl_add_u32 v0, v14, 2, v0
	ds_read_b32 v0, v0
	s_waitcnt lgkmcnt(0)
	v_add_f32_e32 v9, v9, v0
.LBB82_50:
	s_or_b64 exec, exec, s[2:3]
	s_barrier
	s_and_saveexec_b64 s[2:3], s[8:9]
	s_cbranch_execz .LBB82_52
; %bb.51:
	s_lshl_b32 s0, s0, 6
	s_ashr_i32 s1, s0, 31
	s_lshl_b64 s[0:1], s[0:1], 1
	s_add_u32 s2, s24, s0
	s_mul_i32 s0, s33, s14
	s_addc_u32 s3, s25, s1
	s_ashr_i32 s1, s0, 31
	s_lshl_b64 s[0:1], s[0:1], 1
	s_add_u32 s2, s2, s0
	s_addc_u32 s3, s3, s1
	s_ashr_i32 s17, s16, 31
	s_lshl_b64 s[0:1], s[16:17], 1
	s_add_u32 s0, s2, s0
	s_addc_u32 s1, s3, s1
	v_lshlrev_b32_e32 v0, 1, v14
	;;#ASMSTART
	v_cvt_f16_f32 v1, v9;

	;;#ASMEND
	global_store_short v0, v1, s[0:1]
.LBB82_52:
	s_endpgm
	.section	.rodata,"a",@progbits
	.p2align	6, 0x0
	.amdhsa_kernel _ZN4vllm25paged_attention_v2_kernelIttLi64ELi8ELi128ELNS_18Fp8KVCacheDataTypeE0ELb0ELi512EEEvPfS2_PT_PKS3_PKT0_S9_ifPKiSB_iPKfiiiSD_SD_iiiii
		.amdhsa_group_segment_fixed_size 144
		.amdhsa_private_segment_fixed_size 0
		.amdhsa_kernarg_size 400
		.amdhsa_user_sgpr_count 2
		.amdhsa_user_sgpr_dispatch_ptr 0
		.amdhsa_user_sgpr_queue_ptr 0
		.amdhsa_user_sgpr_kernarg_segment_ptr 1
		.amdhsa_user_sgpr_dispatch_id 0
		.amdhsa_user_sgpr_kernarg_preload_length 0
		.amdhsa_user_sgpr_kernarg_preload_offset 0
		.amdhsa_user_sgpr_private_segment_size 0
		.amdhsa_uses_dynamic_stack 0
		.amdhsa_enable_private_segment 0
		.amdhsa_system_sgpr_workgroup_id_x 1
		.amdhsa_system_sgpr_workgroup_id_y 1
		.amdhsa_system_sgpr_workgroup_id_z 1
		.amdhsa_system_sgpr_workgroup_info 0
		.amdhsa_system_vgpr_workitem_id 0
		.amdhsa_next_free_vgpr 34
		.amdhsa_next_free_sgpr 44
		.amdhsa_accum_offset 36
		.amdhsa_reserve_vcc 1
		.amdhsa_float_round_mode_32 0
		.amdhsa_float_round_mode_16_64 0
		.amdhsa_float_denorm_mode_32 3
		.amdhsa_float_denorm_mode_16_64 3
		.amdhsa_dx10_clamp 1
		.amdhsa_ieee_mode 1
		.amdhsa_fp16_overflow 0
		.amdhsa_tg_split 0
		.amdhsa_exception_fp_ieee_invalid_op 0
		.amdhsa_exception_fp_denorm_src 0
		.amdhsa_exception_fp_ieee_div_zero 0
		.amdhsa_exception_fp_ieee_overflow 0
		.amdhsa_exception_fp_ieee_underflow 0
		.amdhsa_exception_fp_ieee_inexact 0
		.amdhsa_exception_int_div_zero 0
	.end_amdhsa_kernel
	.section	.text._ZN4vllm25paged_attention_v2_kernelIttLi64ELi8ELi128ELNS_18Fp8KVCacheDataTypeE0ELb0ELi512EEEvPfS2_PT_PKS3_PKT0_S9_ifPKiSB_iPKfiiiSD_SD_iiiii,"axG",@progbits,_ZN4vllm25paged_attention_v2_kernelIttLi64ELi8ELi128ELNS_18Fp8KVCacheDataTypeE0ELb0ELi512EEEvPfS2_PT_PKS3_PKT0_S9_ifPKiSB_iPKfiiiSD_SD_iiiii,comdat
.Lfunc_end82:
	.size	_ZN4vllm25paged_attention_v2_kernelIttLi64ELi8ELi128ELNS_18Fp8KVCacheDataTypeE0ELb0ELi512EEEvPfS2_PT_PKS3_PKT0_S9_ifPKiSB_iPKfiiiSD_SD_iiiii, .Lfunc_end82-_ZN4vllm25paged_attention_v2_kernelIttLi64ELi8ELi128ELNS_18Fp8KVCacheDataTypeE0ELb0ELi512EEEvPfS2_PT_PKS3_PKT0_S9_ifPKiSB_iPKfiiiSD_SD_iiiii
                                        ; -- End function
	.section	.AMDGPU.csdata,"",@progbits
; Kernel info:
; codeLenInByte = 3776
; NumSgprs: 50
; NumVgprs: 34
; NumAgprs: 0
; TotalNumVgprs: 34
; ScratchSize: 0
; MemoryBound: 0
; FloatMode: 240
; IeeeMode: 1
; LDSByteSize: 144 bytes/workgroup (compile time only)
; SGPRBlocks: 6
; VGPRBlocks: 4
; NumSGPRsForWavesPerEU: 50
; NumVGPRsForWavesPerEU: 34
; AccumOffset: 36
; Occupancy: 8
; WaveLimiterHint : 1
; COMPUTE_PGM_RSRC2:SCRATCH_EN: 0
; COMPUTE_PGM_RSRC2:USER_SGPR: 2
; COMPUTE_PGM_RSRC2:TRAP_HANDLER: 0
; COMPUTE_PGM_RSRC2:TGID_X_EN: 1
; COMPUTE_PGM_RSRC2:TGID_Y_EN: 1
; COMPUTE_PGM_RSRC2:TGID_Z_EN: 1
; COMPUTE_PGM_RSRC2:TIDIG_COMP_CNT: 0
; COMPUTE_PGM_RSRC3_GFX90A:ACCUM_OFFSET: 8
; COMPUTE_PGM_RSRC3_GFX90A:TG_SPLIT: 0
	.section	.text._ZN4vllm25paged_attention_v2_kernelIttLi80ELi8ELi128ELNS_18Fp8KVCacheDataTypeE0ELb0ELi512EEEvPfS2_PT_PKS3_PKT0_S9_ifPKiSB_iPKfiiiSD_SD_iiiii,"axG",@progbits,_ZN4vllm25paged_attention_v2_kernelIttLi80ELi8ELi128ELNS_18Fp8KVCacheDataTypeE0ELb0ELi512EEEvPfS2_PT_PKS3_PKT0_S9_ifPKiSB_iPKfiiiSD_SD_iiiii,comdat
	.protected	_ZN4vllm25paged_attention_v2_kernelIttLi80ELi8ELi128ELNS_18Fp8KVCacheDataTypeE0ELb0ELi512EEEvPfS2_PT_PKS3_PKT0_S9_ifPKiSB_iPKfiiiSD_SD_iiiii ; -- Begin function _ZN4vllm25paged_attention_v2_kernelIttLi80ELi8ELi128ELNS_18Fp8KVCacheDataTypeE0ELb0ELi512EEEvPfS2_PT_PKS3_PKT0_S9_ifPKiSB_iPKfiiiSD_SD_iiiii
	.globl	_ZN4vllm25paged_attention_v2_kernelIttLi80ELi8ELi128ELNS_18Fp8KVCacheDataTypeE0ELb0ELi512EEEvPfS2_PT_PKS3_PKT0_S9_ifPKiSB_iPKfiiiSD_SD_iiiii
	.p2align	8
	.type	_ZN4vllm25paged_attention_v2_kernelIttLi80ELi8ELi128ELNS_18Fp8KVCacheDataTypeE0ELb0ELi512EEEvPfS2_PT_PKS3_PKT0_S9_ifPKiSB_iPKfiiiSD_SD_iiiii,@function
_ZN4vllm25paged_attention_v2_kernelIttLi80ELi8ELi128ELNS_18Fp8KVCacheDataTypeE0ELb0ELi512EEEvPfS2_PT_PKS3_PKT0_S9_ifPKiSB_iPKfiiiSD_SD_iiiii: ; @_ZN4vllm25paged_attention_v2_kernelIttLi80ELi8ELi128ELNS_18Fp8KVCacheDataTypeE0ELb0ELi512EEEvPfS2_PT_PKS3_PKT0_S9_ifPKiSB_iPKfiiiSD_SD_iiiii
; %bb.0:
	s_load_dwordx2 s[6:7], s[0:1], 0x40
	s_mov_b32 s26, s3
	s_ashr_i32 s27, s3, 31
	s_lshl_b64 s[8:9], s[26:27], 2
	s_waitcnt lgkmcnt(0)
	s_add_u32 s6, s6, s8
	s_addc_u32 s7, s7, s9
	s_load_dword s27, s[6:7], 0x0
	s_lshl_b32 s42, s4, 9
	s_waitcnt lgkmcnt(0)
	s_cmp_ge_i32 s42, s27
	s_cbranch_scc1 .LBB83_60
; %bb.1:
	s_load_dword s5, s[0:1], 0x90
	s_load_dwordx2 s[12:13], s[0:1], 0x30
	s_mov_b32 s43, 0
	s_waitcnt lgkmcnt(0)
	s_abs_i32 s7, s5
	s_abs_i32 s3, s12
	v_cvt_f32_u32_e32 v1, s3
	s_sub_i32 s8, 0, s3
	s_xor_b32 s6, s5, s12
	s_ashr_i32 s6, s6, 31
	v_rcp_iflag_f32_e32 v1, v1
	s_nop 0
	v_mul_f32_e32 v1, 0x4f7ffffe, v1
	v_cvt_u32_f32_e32 v1, v1
	s_nop 0
	v_readfirstlane_b32 s9, v1
	s_mul_i32 s8, s8, s9
	s_mul_hi_u32 s8, s9, s8
	s_add_i32 s9, s9, s8
	s_mul_hi_u32 s8, s7, s9
	s_mul_i32 s9, s8, s3
	s_sub_i32 s7, s7, s9
	s_add_i32 s10, s8, 1
	s_sub_i32 s9, s7, s3
	s_cmp_ge_u32 s7, s3
	s_cselect_b32 s8, s10, s8
	s_cselect_b32 s7, s9, s7
	s_add_i32 s9, s8, 1
	s_cmp_ge_u32 s7, s3
	s_cselect_b32 s3, s9, s8
	s_xor_b32 s3, s3, s6
	s_sub_i32 s8, s3, s6
	s_abs_i32 s10, s8
	v_cvt_f32_u32_e32 v1, s10
	s_load_dwordx2 s[6:7], s[0:1], 0x50
	s_sub_i32 s3, 0, s10
	s_abs_i32 s11, s2
	v_rcp_iflag_f32_e32 v1, v1
	s_nop 0
	v_mul_f32_e32 v1, 0x4f7ffffe, v1
	v_cvt_u32_f32_e32 v1, v1
	s_nop 0
	v_readfirstlane_b32 s9, v1
	s_mul_i32 s3, s3, s9
	s_mul_hi_u32 s3, s9, s3
	s_add_i32 s9, s9, s3
	s_waitcnt lgkmcnt(0)
	s_cmp_eq_u64 s[6:7], 0
	s_mul_hi_u32 s20, s11, s9
	s_cbranch_scc1 .LBB83_3
; %bb.2:
	s_ashr_i32 s3, s2, 31
	s_lshl_b64 s[14:15], s[2:3], 2
	s_add_u32 s6, s6, s14
	s_addc_u32 s7, s7, s15
	s_load_dword s43, s[6:7], 0x0
.LBB83_3:
	s_load_dwordx4 s[16:19], s[0:1], 0x58
	s_movk_i32 s3, 0x50
	s_ashr_i32 s21, s2, 31
	s_ashr_i32 s22, s8, 31
	v_and_b32_e32 v4, 7, v0
	s_mul_i32 s14, s2, 0x50
	v_cmp_gt_u32_e64 s[8:9], s3, v0
	v_lshlrev_b32_e32 v6, 1, v0
	s_and_saveexec_b64 s[6:7], s[8:9]
	s_cbranch_execz .LBB83_5
; %bb.4:
	s_load_dwordx2 s[24:25], s[0:1], 0x18
	s_waitcnt lgkmcnt(0)
	s_mul_i32 s28, s26, s16
	s_ashr_i32 s29, s28, 31
	s_lshl_b64 s[28:29], s[28:29], 1
	v_lshrrev_b32_e32 v2, 2, v0
	s_add_u32 s3, s24, s28
	s_addc_u32 s12, s25, s29
	s_ashr_i32 s15, s14, 31
	s_lshl_b64 s[24:25], s[14:15], 1
	s_add_u32 s24, s3, s24
	s_addc_u32 s25, s12, s25
	global_load_ushort v1, v6, s[24:25]
	v_and_b32_e32 v2, 0xfe, v2
	v_mad_u32_u24 v2, v4, 20, v2
	s_waitcnt vmcnt(0)
	ds_write_b16 v2, v1
.LBB83_5:
	s_or_b64 exec, exec, s[6:7]
	s_add_i32 s3, s27, 7
	s_ashr_i32 s6, s3, 31
	s_lshr_b32 s6, s6, 29
	s_add_i32 s3, s3, s6
	s_lshl_b32 s12, s4, 6
	s_mul_i32 s7, s20, s10
	s_ashr_i32 s3, s3, 3
	s_add_i32 s6, s12, 64
	s_sub_i32 s7, s11, s7
	s_min_i32 s33, s6, s3
	s_xor_b32 s6, s21, s22
	s_add_i32 s11, s20, 1
	s_sub_i32 s15, s7, s10
	s_cmp_ge_u32 s7, s10
	s_cselect_b32 s11, s11, s20
	s_cselect_b32 s7, s15, s7
	s_add_i32 s15, s11, 1
	s_cmp_ge_u32 s7, s10
	s_load_dwordx2 s[28:29], s[0:1], 0x38
	s_load_dword s10, s[0:1], 0x48
	v_lshrrev_b32_e32 v1, 6, v0
	s_cselect_b32 s7, s15, s11
	s_xor_b32 s7, s7, s6
	v_or_b32_e32 v8, s12, v1
	s_waitcnt lgkmcnt(0)
	s_mul_i32 s30, s26, s10
	s_sub_i32 s16, s7, s6
	s_ashr_i32 s31, s30, 31
	v_cmp_gt_i32_e64 s[6:7], s33, v8
	v_cmp_le_i32_e32 vcc, s33, v8
	v_mbcnt_lo_u32_b32 v15, -1, 0
	s_barrier
	s_waitcnt lgkmcnt(0)
                                        ; implicit-def: $sgpr19
                                        ; implicit-def: $vgpr10
                                        ; implicit-def: $vgpr11
	s_and_saveexec_b64 s[10:11], vcc
	s_xor_b64 s[10:11], exec, s[10:11]
; %bb.6:
	v_mbcnt_hi_u32_b32 v10, -1, v15
	v_and_b32_e32 v2, 64, v10
	v_add_u32_e32 v11, 64, v2
	s_mov_b32 s19, 0xff7fffff
                                        ; implicit-def: $vgpr4
                                        ; implicit-def: $vgpr15
; %bb.7:
	s_or_saveexec_b64 s[36:37], s[10:11]
	s_load_dwordx4 s[20:23], s[0:1], 0x0
	s_load_dwordx2 s[24:25], s[0:1], 0x10
	s_load_dwordx2 s[34:35], s[0:1], 0x28
	s_load_dword s15, s[0:1], 0x98
	v_mov_b32_e32 v7, s19
	s_mul_i32 s18, s16, s18
	v_ashrrev_i32_e32 v9, 31, v8
	s_xor_b64 exec, exec, s[36:37]
	s_cbranch_execz .LBB83_13
; %bb.8:
	s_load_dwordx2 s[0:1], s[0:1], 0x20
	s_ashr_i32 s19, s18, 31
	s_lshl_b64 s[10:11], s[18:19], 1
	v_bfe_u32 v5, v0, 3, 3
	v_lshlrev_b32_e32 v2, 4, v5
	s_waitcnt lgkmcnt(0)
	s_add_u32 s0, s0, s10
	s_addc_u32 s1, s1, s11
	v_mov_b32_e32 v3, 0
	v_lshl_add_u64 v[10:11], s[0:1], 0, v[2:3]
	v_lshlrev_b32_e32 v2, 1, v4
	v_mul_u32_u24_e32 v12, 20, v4
	v_cmp_eq_u32_e32 vcc, 0, v4
	s_sub_i32 s19, 1, s27
	v_lshlrev_b32_e32 v4, 3, v1
	s_lshl_b64 s[10:11], s[30:31], 2
	v_lshl_add_u64 v[2:3], v[10:11], 0, v[2:3]
	v_add3_u32 v13, s42, v4, v5
	v_lshlrev_b32_e32 v4, 2, v5
	s_add_u32 s10, s28, s10
	v_mbcnt_hi_u32_b32 v10, -1, v15
	v_lshl_or_b32 v4, v1, 5, v4
	s_addc_u32 s11, s29, s11
	v_and_b32_e32 v11, 64, v10
	s_mov_b32 s16, s17
	v_cmp_neq_f32_e64 s[0:1], s43, 0
	v_add_u32_e32 v14, 0xb0, v4
	v_lshl_add_u64 v[4:5], v[8:9], 2, s[10:11]
	s_mov_b64 s[38:39], 0
	v_mov_b32_e32 v7, 0xff7fffff
	v_add_u32_e32 v11, 64, v11
	v_xor_b32_e32 v15, 4, v10
	v_xor_b32_e32 v16, 2, v10
	v_xor_b32_e32 v17, 1, v10
	v_mov_b32_e32 v18, v8
	s_branch .LBB83_10
.LBB83_9:                               ;   in Loop: Header=BB83_10 Depth=1
	s_or_b64 exec, exec, s[40:41]
	v_add_u32_e32 v18, 2, v18
	v_cmp_le_i32_e64 s[10:11], s33, v18
	v_add_u32_e32 v13, 16, v13
	v_add_u32_e32 v14, 64, v14
	s_or_b64 s[38:39], s[10:11], s[38:39]
	v_lshl_add_u64 v[4:5], v[4:5], 0, 8
	s_andn2_b64 exec, exec, s[38:39]
	s_cbranch_execz .LBB83_12
.LBB83_10:                              ; =>This Inner Loop Header: Depth=1
	global_load_dword v19, v[4:5], off
	s_waitcnt vmcnt(0) lgkmcnt(0)
	v_mad_i64_i32 v[20:21], s[10:11], v19, s16, 0
	v_lshl_add_u64 v[20:21], v[20:21], 1, v[2:3]
	global_load_ushort v19, v[20:21], off
	global_load_ushort v22, v[20:21], off offset:128
	global_load_ushort v23, v[20:21], off offset:256
	;; [unrolled: 1-line block ×9, first 2 shown]
	ds_read_u16 v20, v12
	s_waitcnt lgkmcnt(0)
	;;#ASMSTART
	v_cvt_f32_f16 v20, v20;
	;;#ASMEND
	v_cmp_lt_i32_e64 s[10:11], v15, v11
	s_waitcnt vmcnt(9)
	;;#ASMSTART
	v_cvt_f32_f16 v19, v19;
	;;#ASMEND
	ds_read_u16 v21, v12 offset:2
	s_waitcnt lgkmcnt(0)
	;;#ASMSTART
	v_cvt_f32_f16 v21, v21;
	;;#ASMEND
	s_waitcnt vmcnt(8)
	;;#ASMSTART
	v_cvt_f32_f16 v22, v22;
	;;#ASMEND
	ds_read_u16 v31, v12 offset:4
	v_mul_f32_e32 v21, v21, v22
	v_fmac_f32_e32 v21, v20, v19
	s_waitcnt lgkmcnt(0)
	;;#ASMSTART
	v_cvt_f32_f16 v31, v31;
	;;#ASMEND
	s_waitcnt vmcnt(7)
	;;#ASMSTART
	v_cvt_f32_f16 v23, v23;
	;;#ASMEND
	ds_read_u16 v32, v12 offset:6
	v_fmac_f32_e32 v21, v31, v23
	s_waitcnt lgkmcnt(0)
	;;#ASMSTART
	v_cvt_f32_f16 v32, v32;
	;;#ASMEND
	s_waitcnt vmcnt(6)
	;;#ASMSTART
	v_cvt_f32_f16 v24, v24;
	;;#ASMEND
	ds_read_u16 v33, v12 offset:8
	;; [unrolled: 10-line block ×5, first 2 shown]
	v_fmac_f32_e32 v21, v35, v27
	s_waitcnt lgkmcnt(0)
	;;#ASMSTART
	v_cvt_f32_f16 v22, v36;
	;;#ASMEND
	s_waitcnt vmcnt(2)
	;;#ASMSTART
	v_cvt_f32_f16 v28, v28;
	;;#ASMEND
	v_cndmask_b32_e64 v37, v10, v15, s[10:11]
	v_fmac_f32_e32 v21, v22, v28
	ds_read_u16 v36, v12 offset:16
	s_waitcnt lgkmcnt(0)
	;;#ASMSTART
	v_cvt_f32_f16 v19, v36;
	;;#ASMEND
	s_waitcnt vmcnt(1)
	;;#ASMSTART
	v_cvt_f32_f16 v20, v29;
	;;#ASMEND
	v_lshlrev_b32_e32 v37, 2, v37
	v_fmac_f32_e32 v21, v19, v20
	ds_read_u16 v23, v12 offset:18
	s_waitcnt lgkmcnt(0)
	;;#ASMSTART
	v_cvt_f32_f16 v19, v23;
	;;#ASMEND
	s_waitcnt vmcnt(0)
	;;#ASMSTART
	v_cvt_f32_f16 v20, v30;
	;;#ASMEND
	v_cmp_lt_i32_e64 s[10:11], v16, v11
	v_fmac_f32_e32 v21, v19, v20
	ds_bpermute_b32 v19, v37, v21
	v_cndmask_b32_e64 v20, v10, v16, s[10:11]
	v_lshlrev_b32_e32 v20, 2, v20
	v_cmp_lt_i32_e64 s[10:11], v17, v11
	s_waitcnt lgkmcnt(0)
	v_add_f32_e32 v19, v21, v19
	ds_bpermute_b32 v20, v20, v19
	v_cndmask_b32_e64 v21, v10, v17, s[10:11]
	s_waitcnt lgkmcnt(0)
	v_add_f32_e32 v19, v19, v20
	v_lshlrev_b32_e32 v20, 2, v21
	ds_bpermute_b32 v20, v20, v19
	s_and_saveexec_b64 s[40:41], vcc
	s_cbranch_execz .LBB83_9
; %bb.11:                               ;   in Loop: Header=BB83_10 Depth=1
	v_add_u32_e32 v21, s19, v13
	v_cvt_f32_i32_e32 v21, v21
	s_waitcnt lgkmcnt(0)
	v_add_f32_e32 v19, v19, v20
	v_cmp_gt_i32_e64 s[10:11], s27, v13
	v_max_f32_e32 v20, v7, v7
	v_mul_f32_e32 v21, s43, v21
	v_cndmask_b32_e64 v21, 0, v21, s[0:1]
	v_fmac_f32_e32 v21, s13, v19
	v_cndmask_b32_e64 v19, 0, v21, s[10:11]
	ds_write_b32 v14, v19
	v_max_f32_e32 v19, v20, v21
	v_cndmask_b32_e64 v7, v7, v19, s[10:11]
	s_branch .LBB83_9
.LBB83_12:
	s_or_b64 exec, exec, s[38:39]
.LBB83_13:
	s_or_b64 exec, exec, s[36:37]
	v_xor_b32_e32 v2, 32, v10
	v_cmp_lt_i32_e32 vcc, v2, v11
	v_xor_b32_e32 v5, 16, v10
	v_max_f32_e32 v4, v7, v7
	v_cndmask_b32_e32 v2, v10, v2, vcc
	v_lshlrev_b32_e32 v3, 2, v2
	ds_bpermute_b32 v2, v3, v7
	v_cmp_lt_i32_e32 vcc, v5, v11
	v_and_b32_e32 v7, 63, v0
	s_waitcnt lgkmcnt(0)
	v_max_f32_e32 v2, v2, v2
	v_max_f32_e32 v2, v4, v2
	v_cndmask_b32_e32 v4, v10, v5, vcc
	v_lshlrev_b32_e32 v12, 2, v4
	ds_bpermute_b32 v4, v12, v2
	v_xor_b32_e32 v5, 8, v10
	v_cmp_lt_i32_e32 vcc, v5, v11
	s_waitcnt lgkmcnt(0)
	v_max_f32_e32 v4, v4, v4
	v_max_f32_e32 v4, v2, v4
	v_cndmask_b32_e32 v2, v10, v5, vcc
	v_lshlrev_b32_e32 v13, 2, v2
	ds_bpermute_b32 v5, v13, v4
	v_cmp_eq_u32_e32 vcc, 0, v7
	v_lshlrev_b32_e32 v2, 2, v1
	s_and_saveexec_b64 s[0:1], vcc
	s_cbranch_execz .LBB83_15
; %bb.14:
	s_waitcnt lgkmcnt(0)
	v_max_f32_e32 v5, v5, v5
	v_max_f32_e32 v4, v4, v4
	;; [unrolled: 1-line block ×3, first 2 shown]
	ds_write_b32 v2, v4 offset:160
.LBB83_15:
	s_or_b64 exec, exec, s[0:1]
	v_cmp_gt_u32_e64 s[0:1], 2, v7
	v_mov_b32_e32 v4, 0xff7fffff
	s_waitcnt lgkmcnt(0)
	v_lshlrev_b32_e32 v5, 2, v7
	s_barrier
	s_and_saveexec_b64 s[10:11], s[0:1]
	s_cbranch_execz .LBB83_17
; %bb.16:
	ds_read_b32 v4, v5 offset:160
.LBB83_17:
	s_or_b64 exec, exec, s[10:11]
	v_xor_b32_e32 v14, 1, v10
	v_cmp_lt_i32_e64 s[10:11], v14, v11
	v_mov_b32_e32 v16, 0
	s_nop 0
	v_cndmask_b32_e64 v14, v10, v14, s[10:11]
	v_lshlrev_b32_e32 v14, 2, v14
	s_waitcnt lgkmcnt(0)
	ds_bpermute_b32 v15, v14, v4
	v_max_f32_e32 v4, v4, v4
	s_sub_i32 s10, s33, s12
	s_lshl_b32 s10, s10, 3
	s_add_i32 s10, s10, s42
	s_waitcnt lgkmcnt(0)
	v_max_f32_e32 v15, v15, v15
	v_max_f32_e32 v4, v4, v15
	v_lshlrev_b32_e32 v15, 2, v10
	v_and_b32_e32 v15, 0xffffff00, v15
	ds_bpermute_b32 v4, v15, v4
	s_min_i32 s19, s10, s27
	s_sub_i32 s16, s19, s42
	v_cmp_gt_i32_e64 s[10:11], s16, v0
	s_and_saveexec_b64 s[36:37], s[10:11]
	s_cbranch_execz .LBB83_21
; %bb.18:
	v_mov_b32_e32 v16, 0xb0
	v_lshl_add_u32 v17, v0, 2, v16
	s_mov_b64 s[38:39], 0
	v_mov_b32_e32 v16, 0
	v_mov_b32_e32 v18, v0
.LBB83_19:                              ; =>This Inner Loop Header: Depth=1
	ds_read_b32 v19, v17
	v_add_u32_e32 v18, 0x80, v18
	v_cmp_le_i32_e64 s[12:13], s16, v18
	s_or_b64 s[38:39], s[12:13], s[38:39]
	s_waitcnt lgkmcnt(0)
	v_sub_f32_e32 v19, v19, v4
	v_mul_f32_e32 v19, 0x3fb8aa3b, v19
	v_exp_f32_e32 v19, v19
	ds_write_b32 v17, v19
	v_add_f32_e32 v16, v16, v19
	v_add_u32_e32 v17, 0x200, v17
	s_andn2_b64 exec, exec, s[38:39]
	s_cbranch_execnz .LBB83_19
; %bb.20:
	s_or_b64 exec, exec, s[38:39]
.LBB83_21:
	s_or_b64 exec, exec, s[36:37]
	ds_bpermute_b32 v3, v3, v16
	s_waitcnt lgkmcnt(0)
	v_add_f32_e32 v3, v16, v3
	ds_bpermute_b32 v12, v12, v3
	s_waitcnt lgkmcnt(0)
	v_add_f32_e32 v3, v3, v12
	ds_bpermute_b32 v12, v13, v3
	v_xor_b32_e32 v13, 4, v10
	v_cmp_lt_i32_e64 s[12:13], v13, v11
	s_waitcnt lgkmcnt(0)
	v_add_f32_e32 v3, v3, v12
	v_cndmask_b32_e64 v13, v10, v13, s[12:13]
	v_lshlrev_b32_e32 v13, 2, v13
	ds_bpermute_b32 v12, v13, v3
	v_xor_b32_e32 v13, 2, v10
	v_cmp_lt_i32_e64 s[12:13], v13, v11
	s_waitcnt lgkmcnt(0)
	v_add_f32_e32 v3, v3, v12
	v_cndmask_b32_e64 v10, v10, v13, s[12:13]
	v_lshlrev_b32_e32 v10, 2, v10
	ds_bpermute_b32 v10, v10, v3
	s_waitcnt lgkmcnt(0)
	v_add_f32_e32 v3, v3, v10
	ds_bpermute_b32 v10, v14, v3
	s_waitcnt lgkmcnt(0)
	v_add_f32_e32 v3, v3, v10
	s_and_saveexec_b64 s[12:13], vcc
	s_cbranch_execz .LBB83_23
; %bb.22:
	ds_write_b32 v2, v3 offset:168
.LBB83_23:
	s_or_b64 exec, exec, s[12:13]
	s_waitcnt lgkmcnt(0)
	s_barrier
	s_and_saveexec_b64 s[12:13], s[0:1]
	s_cbranch_execz .LBB83_25
; %bb.24:
	ds_read_b32 v3, v5 offset:168
.LBB83_25:
	s_or_b64 exec, exec, s[12:13]
	s_waitcnt lgkmcnt(0)
	ds_bpermute_b32 v2, v14, v3
	s_waitcnt lgkmcnt(0)
	v_add_f32_e32 v2, v3, v2
	ds_bpermute_b32 v5, v15, v2
	s_and_saveexec_b64 s[0:1], s[10:11]
	s_cbranch_execz .LBB83_38
; %bb.26:
	s_waitcnt lgkmcnt(0)
	v_add_f32_e32 v2, 0x358637bd, v5
	v_div_scale_f32 v3, s[10:11], v2, v2, 1.0
	v_rcp_f32_e32 v10, v3
	v_div_scale_f32 v11, vcc, 1.0, v2, 1.0
	s_movk_i32 s10, 0x7f
	v_fma_f32 v12, -v3, v10, 1.0
	v_fmac_f32_e32 v10, v12, v10
	v_mul_f32_e32 v12, v11, v10
	v_fma_f32 v13, -v3, v12, v11
	v_fmac_f32_e32 v12, v13, v10
	v_fma_f32 v3, -v3, v12, v11
	v_div_fmas_f32 v3, v3, v10, v12
	v_div_fixup_f32 v2, v3, v2, 1.0
	v_xad_u32 v3, v0, -1, s19
	v_subrev_u32_e32 v10, s42, v3
	v_cmp_lt_u32_e32 vcc, s10, v10
	s_mov_b64 s[12:13], -1
	v_mov_b32_e32 v3, v0
	s_and_saveexec_b64 s[10:11], vcc
	s_cbranch_execz .LBB83_35
; %bb.27:
	v_lshrrev_b32_e32 v10, 7, v10
	v_add_u32_e32 v12, -1, v10
	v_lshrrev_b32_e32 v11, 1, v12
	v_mov_b32_e32 v3, v2
	v_add_u32_e32 v11, 1, v11
	v_cmp_lt_u32_e32 vcc, 13, v12
	v_mov_b32_e32 v14, 0
	s_and_saveexec_b64 s[12:13], vcc
	s_cbranch_execz .LBB83_31
; %bb.28:
	v_mov_b32_e32 v13, 0xb0
	v_and_b32_e32 v12, -8, v11
	v_lshl_add_u32 v13, v0, 2, v13
	s_mov_b32 s19, 0
	s_mov_b64 s[36:37], 0
.LBB83_29:                              ; =>This Inner Loop Header: Depth=1
	ds_read2st64_b32 v[14:15], v13 offset1:2
	ds_read2st64_b32 v[16:17], v13 offset0:4 offset1:6
	ds_read2st64_b32 v[18:19], v13 offset0:8 offset1:10
	;; [unrolled: 1-line block ×3, first 2 shown]
	v_add_u32_e32 v12, -8, v12
	s_waitcnt lgkmcnt(3)
	v_pk_mul_f32 v[14:15], v[2:3], v[14:15]
	s_waitcnt lgkmcnt(2)
	v_pk_mul_f32 v[16:17], v[2:3], v[16:17]
	ds_write2st64_b32 v13, v14, v15 offset1:2
	ds_write2st64_b32 v13, v16, v17 offset0:4 offset1:6
	ds_read2st64_b32 v[16:17], v13 offset0:16 offset1:18
	s_waitcnt lgkmcnt(4)
	v_pk_mul_f32 v[14:15], v[2:3], v[18:19]
	ds_write2st64_b32 v13, v14, v15 offset0:8 offset1:10
	s_waitcnt lgkmcnt(4)
	v_pk_mul_f32 v[14:15], v[2:3], v[20:21]
	ds_write2st64_b32 v13, v14, v15 offset0:12 offset1:14
	ds_read2st64_b32 v[14:15], v13 offset0:20 offset1:22
	s_waitcnt lgkmcnt(3)
	v_pk_mul_f32 v[16:17], v[2:3], v[16:17]
	ds_read2st64_b32 v[18:19], v13 offset0:24 offset1:26
	ds_write2st64_b32 v13, v16, v17 offset0:16 offset1:18
	ds_read2st64_b32 v[16:17], v13 offset0:28 offset1:30
	s_waitcnt lgkmcnt(3)
	v_pk_mul_f32 v[14:15], v[2:3], v[14:15]
	ds_write2st64_b32 v13, v14, v15 offset0:20 offset1:22
	s_waitcnt lgkmcnt(3)
	v_pk_mul_f32 v[14:15], v[2:3], v[18:19]
	ds_write2st64_b32 v13, v14, v15 offset0:24 offset1:26
	s_waitcnt lgkmcnt(2)
	v_pk_mul_f32 v[14:15], v[2:3], v[16:17]
	s_add_i32 s19, s19, 16
	v_cmp_eq_u32_e32 vcc, 0, v12
	ds_write2st64_b32 v13, v14, v15 offset0:28 offset1:30
	v_add_u32_e32 v13, 0x2000, v13
	s_or_b64 s[36:37], vcc, s[36:37]
	v_mov_b32_e32 v14, s19
	s_andn2_b64 exec, exec, s[36:37]
	s_cbranch_execnz .LBB83_29
; %bb.30:
	s_or_b64 exec, exec, s[36:37]
.LBB83_31:
	s_or_b64 exec, exec, s[12:13]
	v_and_b32_e32 v11, 7, v11
	v_cmp_ne_u32_e32 vcc, 0, v11
	s_and_saveexec_b64 s[12:13], vcc
	s_cbranch_execz .LBB83_34
; %bb.32:
	v_lshlrev_b32_e32 v12, 9, v14
	v_lshlrev_b32_e32 v13, 2, v0
	s_movk_i32 s19, 0xb0
	v_add3_u32 v12, v12, v13, s19
	s_mov_b64 s[36:37], 0
.LBB83_33:                              ; =>This Inner Loop Header: Depth=1
	ds_read2st64_b32 v[14:15], v12 offset1:2
	v_add_u32_e32 v11, -1, v11
	v_cmp_eq_u32_e32 vcc, 0, v11
	s_or_b64 s[36:37], vcc, s[36:37]
	s_waitcnt lgkmcnt(0)
	v_pk_mul_f32 v[14:15], v[2:3], v[14:15]
	ds_write2st64_b32 v12, v14, v15 offset1:2
	v_add_u32_e32 v12, 0x400, v12
	s_andn2_b64 exec, exec, s[36:37]
	s_cbranch_execnz .LBB83_33
.LBB83_34:
	s_or_b64 exec, exec, s[12:13]
	v_add_u32_e32 v10, 1, v10
	v_and_b32_e32 v11, 0x3fffffe, v10
	v_cmp_ne_u32_e32 vcc, v10, v11
	v_lshl_add_u32 v3, v11, 7, v0
	s_orn2_b64 s[12:13], vcc, exec
.LBB83_35:
	s_or_b64 exec, exec, s[10:11]
	s_and_b64 exec, exec, s[12:13]
	s_cbranch_execz .LBB83_38
; %bb.36:
	v_mov_b32_e32 v10, 0xb0
	v_lshl_add_u32 v10, v3, 2, v10
	s_mov_b64 s[10:11], 0
.LBB83_37:                              ; =>This Inner Loop Header: Depth=1
	ds_read_b32 v11, v10
	v_add_u32_e32 v3, 0x80, v3
	v_cmp_le_i32_e32 vcc, s16, v3
	s_or_b64 s[10:11], vcc, s[10:11]
	s_waitcnt lgkmcnt(0)
	v_mul_f32_e32 v11, v2, v11
	ds_write_b32 v10, v11
	v_add_u32_e32 v10, 0x200, v10
	s_andn2_b64 exec, exec, s[10:11]
	s_cbranch_execnz .LBB83_37
.LBB83_38:
	s_or_b64 exec, exec, s[0:1]
	s_mul_i32 s1, s15, s26
	s_mov_b32 s0, 0
	v_cmp_eq_u32_e32 vcc, 0, v0
	s_mul_i32 s10, s1, s5
	s_waitcnt lgkmcnt(0)
	s_barrier
	s_and_saveexec_b64 s[12:13], vcc
	s_cbranch_execz .LBB83_40
; %bb.39:
	s_ashr_i32 s11, s10, 31
	s_lshl_b64 s[36:37], s[10:11], 2
	s_add_u32 s1, s22, s36
	s_mul_i32 s22, s15, s2
	s_addc_u32 s5, s23, s37
	s_ashr_i32 s23, s22, 31
	s_lshl_b64 s[22:23], s[22:23], 2
	s_add_u32 s1, s1, s22
	s_addc_u32 s2, s5, s23
	s_ashr_i32 s5, s4, 31
	s_lshl_b64 s[38:39], s[4:5], 2
	s_add_u32 s40, s1, s38
	s_addc_u32 s41, s2, s39
	s_add_u32 s1, s20, s36
	s_addc_u32 s2, s21, s37
	;; [unrolled: 2-line block ×3, first 2 shown]
	s_add_u32 s20, s1, s38
	v_mov_b32_e32 v2, 0
	s_addc_u32 s21, s2, s39
	global_store_dword v2, v4, s[40:41]
	global_store_dword v2, v5, s[20:21]
.LBB83_40:
	s_or_b64 exec, exec, s[12:13]
	s_mov_b32 s1, s0
	v_mov_b64_e32 v[10:11], s[0:1]
	s_and_saveexec_b64 s[12:13], s[6:7]
	s_cbranch_execz .LBB83_50
; %bb.41:
	s_ashr_i32 s19, s18, 31
	s_lshl_b64 s[0:1], s[18:19], 1
	s_add_u32 s6, s34, s0
	s_addc_u32 s7, s35, s1
	s_add_i32 s11, s3, -1
	s_lshl_b64 s[2:3], s[30:31], 2
	s_mov_b32 s0, 0
	v_or_b32_e32 v3, 64, v7
	s_movk_i32 s1, 0x50
	s_add_u32 s2, s28, s2
	v_lshlrev_b32_e32 v2, 3, v7
	v_mov_b32_e32 v13, 0
	v_cmp_gt_u32_e32 vcc, s1, v3
	v_lshlrev_b32_e32 v4, 3, v3
	v_mov_b32_e32 v3, 0xb0
	s_addc_u32 s3, s29, s3
	s_mov_b32 s1, s0
	s_mov_b32 s5, s17
	;; [unrolled: 1-line block ×9, first 2 shown]
	v_lshl_add_u32 v20, v1, 3, s42
	v_lshl_add_u32 v1, v1, 5, v3
	v_lshl_add_u64 v[14:15], v[8:9], 2, s[2:3]
	s_mov_b64 s[16:17], 0
	v_mov_b64_e32 v[10:11], s[0:1]
	v_lshlrev_b32_e32 v16, 1, v2
	v_mov_b32_e32 v17, v13
	s_mov_b32 s28, 0x5040100
	v_lshlrev_b32_e32 v12, 1, v4
	s_branch .LBB83_44
.LBB83_42:                              ;   in Loop: Header=BB83_44 Depth=1
	s_or_b64 exec, exec, s[18:19]
	s_waitcnt vmcnt(0)
	;;#ASMSTART
	v_pk_mul_f16 v2, v23, v2;

	;;#ASMEND
	;;#ASMSTART
	v_pk_mul_f16 v3, v22, v3;

	;;#ASMEND
	;; [unrolled: 4-line block ×4, first 2 shown]
	s_nop 0
	;;#ASMSTART
	v_pk_add_f16 v2, v2, v3;

	;;#ASMEND
	s_nop 0
	;;#ASMSTART
	v_pk_add_f16 v2, v2, v4;

	;;#ASMEND
	;; [unrolled: 5-line block ×3, first 2 shown]
	s_nop 0
	v_lshrrev_b32_e32 v3, 16, v2
	v_and_b32_e32 v2, 0xffff, v2
	;;#ASMSTART
	v_cvt_f32_f16 v2, v2;
	;;#ASMEND
	;;#ASMSTART
	v_cvt_f32_f16 v3, v3;
	;;#ASMEND
	s_nop 0
	v_add_f32_e32 v2, v2, v3
	v_add_f32_e32 v11, v11, v2
.LBB83_43:                              ;   in Loop: Header=BB83_44 Depth=1
	s_or_b64 exec, exec, s[2:3]
	v_add_u32_e32 v8, 2, v8
	v_cmp_le_i32_e64 s[0:1], s33, v8
	v_add_u32_e32 v20, 16, v20
	v_add_u32_e32 v1, 64, v1
	s_or_b64 s[16:17], s[0:1], s[16:17]
	v_lshl_add_u64 v[14:15], v[14:15], 0, 8
	s_andn2_b64 exec, exec, s[16:17]
	s_cbranch_execz .LBB83_49
.LBB83_44:                              ; =>This Inner Loop Header: Depth=1
	global_load_dword v18, v[14:15], off
	ds_read2_b64 v[2:5], v1 offset1:1
	ds_read2_b64 v[26:29], v1 offset0:2 offset1:3
	s_waitcnt lgkmcnt(1)
	;;#ASMSTART
	v_cvt_f16_f32 v9, v2;

	;;#ASMEND
	;;#ASMSTART
	v_cvt_f16_f32 v21, v3;

	;;#ASMEND
	;; [unrolled: 4-line block ×4, first 2 shown]
	s_waitcnt lgkmcnt(0)
	;;#ASMSTART
	v_cvt_f16_f32 v25, v26;

	;;#ASMEND
	;;#ASMSTART
	v_cvt_f16_f32 v26, v27;

	;;#ASMEND
	;; [unrolled: 4-line block ×4, first 2 shown]
	s_waitcnt vmcnt(0)
	v_mad_i64_i32 v[2:3], s[0:1], v18, s5, 0
	v_lshl_add_u64 v[18:19], v[2:3], 1, s[6:7]
	v_lshl_add_u64 v[2:3], v[18:19], 0, v[16:17]
	global_load_dwordx4 v[2:5], v[2:3], off
	v_cmp_eq_u32_e64 s[0:1], s11, v8
	s_and_saveexec_b64 s[18:19], s[0:1]
	s_cbranch_execz .LBB83_46
; %bb.45:                               ;   in Loop: Header=BB83_44 Depth=1
	v_or_b32_e32 v33, 7, v20
	v_or_b32_e32 v34, 6, v20
	s_waitcnt vmcnt(0)
	v_lshrrev_b32_e32 v35, 16, v5
	v_cmp_gt_i32_e64 s[2:3], s35, v33
	v_or_b32_e32 v31, 5, v20
	v_or_b32_e32 v32, 4, v20
	v_cndmask_b32_e64 v33, 0, v35, s[2:3]
	v_cmp_gt_i32_e64 s[2:3], s34, v34
	v_or_b32_e32 v29, 3, v20
	v_or_b32_e32 v30, 2, v20
	v_cndmask_b32_e64 v5, 0, v5, s[2:3]
	v_perm_b32 v5, v33, v5, s28
	v_lshrrev_b32_e32 v33, 16, v4
	v_cmp_gt_i32_e64 s[2:3], s26, v31
	v_add_u32_e32 v23, 1, v20
	s_nop 0
	v_cndmask_b32_e64 v31, 0, v33, s[2:3]
	v_cmp_gt_i32_e64 s[2:3], s23, v32
	s_nop 1
	v_cndmask_b32_e64 v4, 0, v4, s[2:3]
	v_perm_b32 v4, v31, v4, s28
	v_lshrrev_b32_e32 v31, 16, v3
	v_cmp_gt_i32_e64 s[2:3], s22, v29
	s_nop 1
	v_cndmask_b32_e64 v29, 0, v31, s[2:3]
	v_cmp_gt_i32_e64 s[2:3], s21, v30
	s_nop 1
	v_cndmask_b32_e64 v3, 0, v3, s[2:3]
	v_perm_b32 v3, v29, v3, s28
	v_lshrrev_b32_e32 v29, 16, v2
	v_cmp_gt_i32_e64 s[2:3], s20, v23
	s_nop 1
	v_cndmask_b32_e64 v23, 0, v29, s[2:3]
	v_cmp_gt_i32_e64 s[2:3], s27, v20
	s_nop 1
	v_cndmask_b32_e64 v2, 0, v2, s[2:3]
	v_perm_b32 v2, v23, v2, s28
.LBB83_46:                              ;   in Loop: Header=BB83_44 Depth=1
	s_or_b64 exec, exec, s[18:19]
	v_and_b32_e32 v9, 0xffff, v9
	v_lshl_or_b32 v23, v21, 16, v9
	v_and_b32_e32 v9, 0xffff, v22
	v_lshl_or_b32 v22, v24, 16, v9
	;; [unrolled: 2-line block ×3, first 2 shown]
	v_and_b32_e32 v9, 0xffff, v27
	s_waitcnt vmcnt(0)
	;;#ASMSTART
	v_pk_mul_f16 v2, v23, v2;

	;;#ASMEND
	v_lshl_or_b32 v9, v28, 16, v9
	;;#ASMSTART
	v_pk_mul_f16 v3, v22, v3;

	;;#ASMEND
	;;#ASMSTART
	v_pk_mul_f16 v4, v21, v4;

	;;#ASMEND
	;; [unrolled: 4-line block ×3, first 2 shown]
	s_nop 0
	;;#ASMSTART
	v_pk_add_f16 v2, v2, v3;

	;;#ASMEND
	s_nop 0
	;;#ASMSTART
	v_pk_add_f16 v2, v2, v4;

	;;#ASMEND
	;; [unrolled: 5-line block ×3, first 2 shown]
	s_nop 0
	v_lshrrev_b32_e32 v3, 16, v2
	v_and_b32_e32 v2, 0xffff, v2
	;;#ASMSTART
	v_cvt_f32_f16 v2, v2;
	;;#ASMEND
	;;#ASMSTART
	v_cvt_f32_f16 v3, v3;
	;;#ASMEND
	s_nop 0
	v_add_f32_e32 v2, v2, v3
	v_add_f32_e32 v10, v10, v2
	s_and_saveexec_b64 s[2:3], vcc
	s_cbranch_execz .LBB83_43
; %bb.47:                               ;   in Loop: Header=BB83_44 Depth=1
	v_lshl_add_u64 v[2:3], v[18:19], 0, v[12:13]
	global_load_dwordx4 v[2:5], v[2:3], off
	s_and_saveexec_b64 s[18:19], s[0:1]
	s_cbranch_execz .LBB83_42
; %bb.48:                               ;   in Loop: Header=BB83_44 Depth=1
	v_or_b32_e32 v27, 7, v20
	v_or_b32_e32 v28, 6, v20
	s_waitcnt vmcnt(0)
	v_lshrrev_b32_e32 v29, 16, v5
	v_cmp_gt_i32_e64 s[0:1], s35, v27
	v_or_b32_e32 v25, 5, v20
	v_or_b32_e32 v26, 4, v20
	v_cndmask_b32_e64 v27, 0, v29, s[0:1]
	v_cmp_gt_i32_e64 s[0:1], s34, v28
	v_or_b32_e32 v19, 3, v20
	v_or_b32_e32 v24, 2, v20
	v_cndmask_b32_e64 v5, 0, v5, s[0:1]
	v_perm_b32 v5, v27, v5, s28
	v_lshrrev_b32_e32 v27, 16, v4
	v_cmp_gt_i32_e64 s[0:1], s26, v25
	v_add_u32_e32 v18, 1, v20
	s_nop 0
	v_cndmask_b32_e64 v25, 0, v27, s[0:1]
	v_cmp_gt_i32_e64 s[0:1], s23, v26
	s_nop 1
	v_cndmask_b32_e64 v4, 0, v4, s[0:1]
	v_perm_b32 v4, v25, v4, s28
	v_lshrrev_b32_e32 v25, 16, v3
	v_cmp_gt_i32_e64 s[0:1], s22, v19
	s_nop 1
	v_cndmask_b32_e64 v19, 0, v25, s[0:1]
	v_cmp_gt_i32_e64 s[0:1], s21, v24
	s_nop 1
	v_cndmask_b32_e64 v3, 0, v3, s[0:1]
	v_perm_b32 v3, v19, v3, s28
	v_lshrrev_b32_e32 v19, 16, v2
	v_cmp_gt_i32_e64 s[0:1], s20, v18
	s_nop 1
	v_cndmask_b32_e64 v18, 0, v19, s[0:1]
	v_cmp_gt_i32_e64 s[0:1], s27, v20
	s_nop 1
	v_cndmask_b32_e64 v2, 0, v2, s[0:1]
	v_perm_b32 v2, v18, v2, s28
	s_branch .LBB83_42
.LBB83_49:
	s_or_b64 exec, exec, s[16:17]
.LBB83_50:
	s_or_b64 exec, exec, s[12:13]
	v_and_b32_e32 v1, 0x3c0, v0
	v_cmp_eq_u32_e32 vcc, 64, v1
	s_barrier
	s_and_saveexec_b64 s[0:1], vcc
	s_cbranch_execz .LBB83_53
; %bb.51:
	v_mov_b32_e32 v1, 0xb0
	v_lshl_add_u32 v2, v7, 2, v1
	ds_write_b32 v2, v10
	s_and_b64 exec, exec, s[8:9]
	s_cbranch_execz .LBB83_53
; %bb.52:
	v_lshl_add_u32 v1, v0, 2, v1
	ds_write_b32 v1, v11
.LBB83_53:
	s_or_b64 exec, exec, s[0:1]
	v_cmp_gt_u32_e32 vcc, 64, v0
	v_or_b32_e32 v1, 64, v0
	s_waitcnt lgkmcnt(0)
	s_barrier
	s_and_saveexec_b64 s[2:3], vcc
	s_cbranch_execz .LBB83_57
; %bb.54:
	v_mov_b32_e32 v2, 0xb0
	v_lshl_add_u32 v0, v0, 2, v2
	ds_read_b32 v2, v0
	s_movk_i32 s0, 0x50
	v_cmp_gt_u32_e64 s[0:1], s0, v1
	s_waitcnt lgkmcnt(0)
	v_add_f32_e32 v10, v10, v2
	s_and_saveexec_b64 s[6:7], s[0:1]
	s_cbranch_execz .LBB83_56
; %bb.55:
	ds_read_b32 v0, v0 offset:256
	s_waitcnt lgkmcnt(0)
	v_add_f32_e32 v11, v11, v0
.LBB83_56:
	s_or_b64 exec, exec, s[6:7]
.LBB83_57:
	s_or_b64 exec, exec, s[2:3]
	s_barrier
	s_and_saveexec_b64 s[0:1], vcc
	s_cbranch_execz .LBB83_60
; %bb.58:
	s_mul_i32 s0, s10, 0x50
	s_ashr_i32 s1, s0, 31
	s_lshl_b64 s[0:1], s[0:1], 1
	s_add_u32 s3, s24, s0
	s_mul_i32 s0, s15, s14
	s_addc_u32 s5, s25, s1
	s_ashr_i32 s1, s0, 31
	s_lshl_b64 s[0:1], s[0:1], 1
	s_add_u32 s3, s3, s0
	s_mul_i32 s0, s4, 0x50
	s_addc_u32 s5, s5, s1
	s_ashr_i32 s1, s0, 31
	s_lshl_b64 s[0:1], s[0:1], 1
	s_movk_i32 s2, 0x50
	s_add_u32 s0, s3, s0
	s_addc_u32 s1, s5, s1
	v_cmp_gt_u32_e32 vcc, s2, v1
	;;#ASMSTART
	v_cvt_f16_f32 v0, v10;

	;;#ASMEND
	global_store_short v6, v0, s[0:1]
	s_and_b64 exec, exec, vcc
	s_cbranch_execz .LBB83_60
; %bb.59:
	v_mov_b32_e32 v7, 0
	v_lshl_add_u64 v[0:1], s[0:1], 0, v[6:7]
	;;#ASMSTART
	v_cvt_f16_f32 v2, v11;

	;;#ASMEND
	global_store_short v[0:1], v2, off offset:128
.LBB83_60:
	s_endpgm
	.section	.rodata,"a",@progbits
	.p2align	6, 0x0
	.amdhsa_kernel _ZN4vllm25paged_attention_v2_kernelIttLi80ELi8ELi128ELNS_18Fp8KVCacheDataTypeE0ELb0ELi512EEEvPfS2_PT_PKS3_PKT0_S9_ifPKiSB_iPKfiiiSD_SD_iiiii
		.amdhsa_group_segment_fixed_size 176
		.amdhsa_private_segment_fixed_size 0
		.amdhsa_kernarg_size 400
		.amdhsa_user_sgpr_count 2
		.amdhsa_user_sgpr_dispatch_ptr 0
		.amdhsa_user_sgpr_queue_ptr 0
		.amdhsa_user_sgpr_kernarg_segment_ptr 1
		.amdhsa_user_sgpr_dispatch_id 0
		.amdhsa_user_sgpr_kernarg_preload_length 0
		.amdhsa_user_sgpr_kernarg_preload_offset 0
		.amdhsa_user_sgpr_private_segment_size 0
		.amdhsa_uses_dynamic_stack 0
		.amdhsa_enable_private_segment 0
		.amdhsa_system_sgpr_workgroup_id_x 1
		.amdhsa_system_sgpr_workgroup_id_y 1
		.amdhsa_system_sgpr_workgroup_id_z 1
		.amdhsa_system_sgpr_workgroup_info 0
		.amdhsa_system_vgpr_workitem_id 0
		.amdhsa_next_free_vgpr 38
		.amdhsa_next_free_sgpr 44
		.amdhsa_accum_offset 40
		.amdhsa_reserve_vcc 1
		.amdhsa_float_round_mode_32 0
		.amdhsa_float_round_mode_16_64 0
		.amdhsa_float_denorm_mode_32 3
		.amdhsa_float_denorm_mode_16_64 3
		.amdhsa_dx10_clamp 1
		.amdhsa_ieee_mode 1
		.amdhsa_fp16_overflow 0
		.amdhsa_tg_split 0
		.amdhsa_exception_fp_ieee_invalid_op 0
		.amdhsa_exception_fp_denorm_src 0
		.amdhsa_exception_fp_ieee_div_zero 0
		.amdhsa_exception_fp_ieee_overflow 0
		.amdhsa_exception_fp_ieee_underflow 0
		.amdhsa_exception_fp_ieee_inexact 0
		.amdhsa_exception_int_div_zero 0
	.end_amdhsa_kernel
	.section	.text._ZN4vllm25paged_attention_v2_kernelIttLi80ELi8ELi128ELNS_18Fp8KVCacheDataTypeE0ELb0ELi512EEEvPfS2_PT_PKS3_PKT0_S9_ifPKiSB_iPKfiiiSD_SD_iiiii,"axG",@progbits,_ZN4vllm25paged_attention_v2_kernelIttLi80ELi8ELi128ELNS_18Fp8KVCacheDataTypeE0ELb0ELi512EEEvPfS2_PT_PKS3_PKT0_S9_ifPKiSB_iPKfiiiSD_SD_iiiii,comdat
.Lfunc_end83:
	.size	_ZN4vllm25paged_attention_v2_kernelIttLi80ELi8ELi128ELNS_18Fp8KVCacheDataTypeE0ELb0ELi512EEEvPfS2_PT_PKS3_PKT0_S9_ifPKiSB_iPKfiiiSD_SD_iiiii, .Lfunc_end83-_ZN4vllm25paged_attention_v2_kernelIttLi80ELi8ELi128ELNS_18Fp8KVCacheDataTypeE0ELb0ELi512EEEvPfS2_PT_PKS3_PKT0_S9_ifPKiSB_iPKfiiiSD_SD_iiiii
                                        ; -- End function
	.section	.AMDGPU.csdata,"",@progbits
; Kernel info:
; codeLenInByte = 4528
; NumSgprs: 50
; NumVgprs: 38
; NumAgprs: 0
; TotalNumVgprs: 38
; ScratchSize: 0
; MemoryBound: 0
; FloatMode: 240
; IeeeMode: 1
; LDSByteSize: 176 bytes/workgroup (compile time only)
; SGPRBlocks: 6
; VGPRBlocks: 4
; NumSGPRsForWavesPerEU: 50
; NumVGPRsForWavesPerEU: 38
; AccumOffset: 40
; Occupancy: 8
; WaveLimiterHint : 1
; COMPUTE_PGM_RSRC2:SCRATCH_EN: 0
; COMPUTE_PGM_RSRC2:USER_SGPR: 2
; COMPUTE_PGM_RSRC2:TRAP_HANDLER: 0
; COMPUTE_PGM_RSRC2:TGID_X_EN: 1
; COMPUTE_PGM_RSRC2:TGID_Y_EN: 1
; COMPUTE_PGM_RSRC2:TGID_Z_EN: 1
; COMPUTE_PGM_RSRC2:TIDIG_COMP_CNT: 0
; COMPUTE_PGM_RSRC3_GFX90A:ACCUM_OFFSET: 9
; COMPUTE_PGM_RSRC3_GFX90A:TG_SPLIT: 0
	.section	.text._ZN4vllm25paged_attention_v2_kernelIttLi96ELi8ELi128ELNS_18Fp8KVCacheDataTypeE0ELb0ELi512EEEvPfS2_PT_PKS3_PKT0_S9_ifPKiSB_iPKfiiiSD_SD_iiiii,"axG",@progbits,_ZN4vllm25paged_attention_v2_kernelIttLi96ELi8ELi128ELNS_18Fp8KVCacheDataTypeE0ELb0ELi512EEEvPfS2_PT_PKS3_PKT0_S9_ifPKiSB_iPKfiiiSD_SD_iiiii,comdat
	.protected	_ZN4vllm25paged_attention_v2_kernelIttLi96ELi8ELi128ELNS_18Fp8KVCacheDataTypeE0ELb0ELi512EEEvPfS2_PT_PKS3_PKT0_S9_ifPKiSB_iPKfiiiSD_SD_iiiii ; -- Begin function _ZN4vllm25paged_attention_v2_kernelIttLi96ELi8ELi128ELNS_18Fp8KVCacheDataTypeE0ELb0ELi512EEEvPfS2_PT_PKS3_PKT0_S9_ifPKiSB_iPKfiiiSD_SD_iiiii
	.globl	_ZN4vllm25paged_attention_v2_kernelIttLi96ELi8ELi128ELNS_18Fp8KVCacheDataTypeE0ELb0ELi512EEEvPfS2_PT_PKS3_PKT0_S9_ifPKiSB_iPKfiiiSD_SD_iiiii
	.p2align	8
	.type	_ZN4vllm25paged_attention_v2_kernelIttLi96ELi8ELi128ELNS_18Fp8KVCacheDataTypeE0ELb0ELi512EEEvPfS2_PT_PKS3_PKT0_S9_ifPKiSB_iPKfiiiSD_SD_iiiii,@function
_ZN4vllm25paged_attention_v2_kernelIttLi96ELi8ELi128ELNS_18Fp8KVCacheDataTypeE0ELb0ELi512EEEvPfS2_PT_PKS3_PKT0_S9_ifPKiSB_iPKfiiiSD_SD_iiiii: ; @_ZN4vllm25paged_attention_v2_kernelIttLi96ELi8ELi128ELNS_18Fp8KVCacheDataTypeE0ELb0ELi512EEEvPfS2_PT_PKS3_PKT0_S9_ifPKiSB_iPKfiiiSD_SD_iiiii
; %bb.0:
	s_load_dwordx2 s[6:7], s[0:1], 0x40
	s_mov_b32 s26, s3
	s_ashr_i32 s27, s3, 31
	s_lshl_b64 s[8:9], s[26:27], 2
	s_waitcnt lgkmcnt(0)
	s_add_u32 s6, s6, s8
	s_addc_u32 s7, s7, s9
	s_load_dword s27, s[6:7], 0x0
	s_lshl_b32 s42, s4, 9
	s_waitcnt lgkmcnt(0)
	s_cmp_ge_i32 s42, s27
	s_cbranch_scc1 .LBB84_60
; %bb.1:
	s_load_dword s5, s[0:1], 0x90
	s_load_dwordx2 s[12:13], s[0:1], 0x30
	s_mov_b32 s43, 0
	s_waitcnt lgkmcnt(0)
	s_abs_i32 s7, s5
	s_abs_i32 s3, s12
	v_cvt_f32_u32_e32 v1, s3
	s_sub_i32 s8, 0, s3
	s_xor_b32 s6, s5, s12
	s_ashr_i32 s6, s6, 31
	v_rcp_iflag_f32_e32 v1, v1
	s_nop 0
	v_mul_f32_e32 v1, 0x4f7ffffe, v1
	v_cvt_u32_f32_e32 v1, v1
	s_nop 0
	v_readfirstlane_b32 s9, v1
	s_mul_i32 s8, s8, s9
	s_mul_hi_u32 s8, s9, s8
	s_add_i32 s9, s9, s8
	s_mul_hi_u32 s8, s7, s9
	s_mul_i32 s9, s8, s3
	s_sub_i32 s7, s7, s9
	s_add_i32 s10, s8, 1
	s_sub_i32 s9, s7, s3
	s_cmp_ge_u32 s7, s3
	s_cselect_b32 s8, s10, s8
	s_cselect_b32 s7, s9, s7
	s_add_i32 s9, s8, 1
	s_cmp_ge_u32 s7, s3
	s_cselect_b32 s3, s9, s8
	s_xor_b32 s3, s3, s6
	s_sub_i32 s8, s3, s6
	s_abs_i32 s10, s8
	v_cvt_f32_u32_e32 v1, s10
	s_load_dwordx2 s[6:7], s[0:1], 0x50
	s_sub_i32 s3, 0, s10
	s_abs_i32 s11, s2
	v_rcp_iflag_f32_e32 v1, v1
	s_nop 0
	v_mul_f32_e32 v1, 0x4f7ffffe, v1
	v_cvt_u32_f32_e32 v1, v1
	s_nop 0
	v_readfirstlane_b32 s9, v1
	s_mul_i32 s3, s3, s9
	s_mul_hi_u32 s3, s9, s3
	s_add_i32 s9, s9, s3
	s_waitcnt lgkmcnt(0)
	s_cmp_eq_u64 s[6:7], 0
	s_mul_hi_u32 s20, s11, s9
	s_cbranch_scc1 .LBB84_3
; %bb.2:
	s_ashr_i32 s3, s2, 31
	s_lshl_b64 s[14:15], s[2:3], 2
	s_add_u32 s6, s6, s14
	s_addc_u32 s7, s7, s15
	s_load_dword s43, s[6:7], 0x0
.LBB84_3:
	s_load_dwordx4 s[16:19], s[0:1], 0x58
	s_movk_i32 s3, 0x60
	s_ashr_i32 s21, s2, 31
	s_ashr_i32 s22, s8, 31
	v_and_b32_e32 v4, 7, v0
	s_mul_i32 s14, s2, 0x60
	v_cmp_gt_u32_e64 s[8:9], s3, v0
	v_lshlrev_b32_e32 v6, 1, v0
	s_and_saveexec_b64 s[6:7], s[8:9]
	s_cbranch_execz .LBB84_5
; %bb.4:
	s_load_dwordx2 s[24:25], s[0:1], 0x18
	s_waitcnt lgkmcnt(0)
	s_mul_i32 s28, s26, s16
	s_ashr_i32 s29, s28, 31
	s_lshl_b64 s[28:29], s[28:29], 1
	v_lshrrev_b32_e32 v2, 2, v0
	s_add_u32 s3, s24, s28
	s_addc_u32 s12, s25, s29
	s_ashr_i32 s15, s14, 31
	s_lshl_b64 s[24:25], s[14:15], 1
	s_add_u32 s24, s3, s24
	s_addc_u32 s25, s12, s25
	global_load_ushort v1, v6, s[24:25]
	v_and_b32_e32 v2, 0xfe, v2
	v_mad_u32_u24 v2, v4, 24, v2
	s_waitcnt vmcnt(0)
	ds_write_b16 v2, v1
.LBB84_5:
	s_or_b64 exec, exec, s[6:7]
	s_add_i32 s3, s27, 7
	s_ashr_i32 s6, s3, 31
	s_lshr_b32 s6, s6, 29
	s_add_i32 s3, s3, s6
	s_lshl_b32 s12, s4, 6
	s_mul_i32 s7, s20, s10
	s_ashr_i32 s3, s3, 3
	s_add_i32 s6, s12, 64
	s_sub_i32 s7, s11, s7
	s_min_i32 s33, s6, s3
	s_xor_b32 s6, s21, s22
	s_add_i32 s11, s20, 1
	s_sub_i32 s15, s7, s10
	s_cmp_ge_u32 s7, s10
	s_cselect_b32 s11, s11, s20
	s_cselect_b32 s7, s15, s7
	s_add_i32 s15, s11, 1
	s_cmp_ge_u32 s7, s10
	s_load_dwordx2 s[28:29], s[0:1], 0x38
	s_load_dword s10, s[0:1], 0x48
	v_lshrrev_b32_e32 v1, 6, v0
	s_cselect_b32 s7, s15, s11
	s_xor_b32 s7, s7, s6
	v_or_b32_e32 v8, s12, v1
	s_waitcnt lgkmcnt(0)
	s_mul_i32 s30, s26, s10
	s_sub_i32 s16, s7, s6
	s_ashr_i32 s31, s30, 31
	v_cmp_gt_i32_e64 s[6:7], s33, v8
	v_cmp_le_i32_e32 vcc, s33, v8
	v_mbcnt_lo_u32_b32 v15, -1, 0
	s_barrier
	s_waitcnt lgkmcnt(0)
                                        ; implicit-def: $sgpr19
                                        ; implicit-def: $vgpr10
                                        ; implicit-def: $vgpr11
	s_and_saveexec_b64 s[10:11], vcc
	s_xor_b64 s[10:11], exec, s[10:11]
; %bb.6:
	v_mbcnt_hi_u32_b32 v10, -1, v15
	v_and_b32_e32 v2, 64, v10
	v_add_u32_e32 v11, 64, v2
	s_mov_b32 s19, 0xff7fffff
                                        ; implicit-def: $vgpr4
                                        ; implicit-def: $vgpr15
; %bb.7:
	s_or_saveexec_b64 s[36:37], s[10:11]
	s_load_dwordx4 s[20:23], s[0:1], 0x0
	s_load_dwordx2 s[24:25], s[0:1], 0x10
	s_load_dwordx2 s[34:35], s[0:1], 0x28
	s_load_dword s15, s[0:1], 0x98
	v_mov_b32_e32 v7, s19
	s_mul_i32 s18, s16, s18
	v_ashrrev_i32_e32 v9, 31, v8
	s_xor_b64 exec, exec, s[36:37]
	s_cbranch_execz .LBB84_13
; %bb.8:
	s_load_dwordx2 s[0:1], s[0:1], 0x20
	s_ashr_i32 s19, s18, 31
	s_lshl_b64 s[10:11], s[18:19], 1
	v_bfe_u32 v5, v0, 3, 3
	v_lshlrev_b32_e32 v2, 4, v5
	s_waitcnt lgkmcnt(0)
	s_add_u32 s0, s0, s10
	s_addc_u32 s1, s1, s11
	v_mov_b32_e32 v3, 0
	v_lshl_add_u64 v[10:11], s[0:1], 0, v[2:3]
	v_lshlrev_b32_e32 v2, 1, v4
	v_mul_u32_u24_e32 v12, 24, v4
	v_cmp_eq_u32_e32 vcc, 0, v4
	s_sub_i32 s19, 1, s27
	v_lshlrev_b32_e32 v4, 3, v1
	s_lshl_b64 s[10:11], s[30:31], 2
	v_lshl_add_u64 v[2:3], v[10:11], 0, v[2:3]
	v_add3_u32 v13, s42, v4, v5
	v_lshlrev_b32_e32 v4, 2, v5
	s_add_u32 s10, s28, s10
	v_mbcnt_hi_u32_b32 v10, -1, v15
	v_lshl_or_b32 v4, v1, 5, v4
	s_addc_u32 s11, s29, s11
	v_and_b32_e32 v11, 64, v10
	s_mov_b32 s16, s17
	v_cmp_neq_f32_e64 s[0:1], s43, 0
	v_add_u32_e32 v14, 0xd0, v4
	v_lshl_add_u64 v[4:5], v[8:9], 2, s[10:11]
	s_mov_b64 s[38:39], 0
	v_mov_b32_e32 v7, 0xff7fffff
	v_add_u32_e32 v11, 64, v11
	v_xor_b32_e32 v15, 4, v10
	v_xor_b32_e32 v16, 2, v10
	;; [unrolled: 1-line block ×3, first 2 shown]
	v_mov_b32_e32 v18, v8
	s_branch .LBB84_10
.LBB84_9:                               ;   in Loop: Header=BB84_10 Depth=1
	s_or_b64 exec, exec, s[40:41]
	v_add_u32_e32 v18, 2, v18
	v_cmp_le_i32_e64 s[10:11], s33, v18
	v_add_u32_e32 v13, 16, v13
	v_add_u32_e32 v14, 64, v14
	s_or_b64 s[38:39], s[10:11], s[38:39]
	v_lshl_add_u64 v[4:5], v[4:5], 0, 8
	s_andn2_b64 exec, exec, s[38:39]
	s_cbranch_execz .LBB84_12
.LBB84_10:                              ; =>This Inner Loop Header: Depth=1
	global_load_dword v19, v[4:5], off
	s_waitcnt vmcnt(0) lgkmcnt(0)
	v_mad_i64_i32 v[20:21], s[10:11], v19, s16, 0
	v_lshl_add_u64 v[20:21], v[20:21], 1, v[2:3]
	global_load_ushort v19, v[20:21], off
	global_load_ushort v22, v[20:21], off offset:128
	global_load_ushort v23, v[20:21], off offset:256
	;; [unrolled: 1-line block ×10, first 2 shown]
	ds_read_u16 v32, v12
	global_load_ushort v20, v[20:21], off offset:1408
	s_waitcnt lgkmcnt(0)
	;;#ASMSTART
	v_cvt_f32_f16 v21, v32;
	;;#ASMEND
	v_cmp_lt_i32_e64 s[10:11], v15, v11
	s_waitcnt vmcnt(11)
	;;#ASMSTART
	v_cvt_f32_f16 v19, v19;
	;;#ASMEND
	ds_read_u16 v32, v12 offset:2
	s_waitcnt lgkmcnt(0)
	;;#ASMSTART
	v_cvt_f32_f16 v32, v32;
	;;#ASMEND
	s_waitcnt vmcnt(10)
	;;#ASMSTART
	v_cvt_f32_f16 v22, v22;
	;;#ASMEND
	ds_read_u16 v33, v12 offset:4
	v_mul_f32_e32 v22, v32, v22
	v_fmac_f32_e32 v22, v21, v19
	s_waitcnt lgkmcnt(0)
	;;#ASMSTART
	v_cvt_f32_f16 v33, v33;
	;;#ASMEND
	s_waitcnt vmcnt(9)
	;;#ASMSTART
	v_cvt_f32_f16 v23, v23;
	;;#ASMEND
	ds_read_u16 v34, v12 offset:6
	v_fmac_f32_e32 v22, v33, v23
	s_waitcnt lgkmcnt(0)
	;;#ASMSTART
	v_cvt_f32_f16 v34, v34;
	;;#ASMEND
	s_waitcnt vmcnt(8)
	;;#ASMSTART
	v_cvt_f32_f16 v24, v24;
	;;#ASMEND
	ds_read_u16 v35, v12 offset:8
	;; [unrolled: 10-line block ×8, first 2 shown]
	v_fmac_f32_e32 v22, v19, v21
	v_cndmask_b32_e64 v40, v10, v15, s[10:11]
	s_waitcnt lgkmcnt(0)
	;;#ASMSTART
	v_cvt_f32_f16 v23, v23;
	;;#ASMEND
	s_waitcnt vmcnt(1)
	;;#ASMSTART
	v_cvt_f32_f16 v24, v31;
	;;#ASMEND
	v_lshlrev_b32_e32 v40, 2, v40
	v_fmac_f32_e32 v22, v23, v24
	ds_read_u16 v25, v12 offset:22
	s_waitcnt lgkmcnt(0)
	;;#ASMSTART
	v_cvt_f32_f16 v19, v25;
	;;#ASMEND
	s_waitcnt vmcnt(0)
	;;#ASMSTART
	v_cvt_f32_f16 v20, v20;
	;;#ASMEND
	v_cmp_lt_i32_e64 s[10:11], v16, v11
	v_fmac_f32_e32 v22, v19, v20
	ds_bpermute_b32 v19, v40, v22
	v_cndmask_b32_e64 v20, v10, v16, s[10:11]
	v_lshlrev_b32_e32 v20, 2, v20
	v_cmp_lt_i32_e64 s[10:11], v17, v11
	s_waitcnt lgkmcnt(0)
	v_add_f32_e32 v19, v22, v19
	ds_bpermute_b32 v20, v20, v19
	v_cndmask_b32_e64 v21, v10, v17, s[10:11]
	s_waitcnt lgkmcnt(0)
	v_add_f32_e32 v19, v19, v20
	v_lshlrev_b32_e32 v20, 2, v21
	ds_bpermute_b32 v20, v20, v19
	s_and_saveexec_b64 s[40:41], vcc
	s_cbranch_execz .LBB84_9
; %bb.11:                               ;   in Loop: Header=BB84_10 Depth=1
	v_add_u32_e32 v21, s19, v13
	v_cvt_f32_i32_e32 v21, v21
	s_waitcnt lgkmcnt(0)
	v_add_f32_e32 v19, v19, v20
	v_cmp_gt_i32_e64 s[10:11], s27, v13
	v_max_f32_e32 v20, v7, v7
	v_mul_f32_e32 v21, s43, v21
	v_cndmask_b32_e64 v21, 0, v21, s[0:1]
	v_fmac_f32_e32 v21, s13, v19
	v_cndmask_b32_e64 v19, 0, v21, s[10:11]
	ds_write_b32 v14, v19
	v_max_f32_e32 v19, v20, v21
	v_cndmask_b32_e64 v7, v7, v19, s[10:11]
	s_branch .LBB84_9
.LBB84_12:
	s_or_b64 exec, exec, s[38:39]
.LBB84_13:
	s_or_b64 exec, exec, s[36:37]
	v_xor_b32_e32 v2, 32, v10
	v_cmp_lt_i32_e32 vcc, v2, v11
	v_xor_b32_e32 v5, 16, v10
	v_max_f32_e32 v4, v7, v7
	v_cndmask_b32_e32 v2, v10, v2, vcc
	v_lshlrev_b32_e32 v3, 2, v2
	ds_bpermute_b32 v2, v3, v7
	v_cmp_lt_i32_e32 vcc, v5, v11
	v_and_b32_e32 v7, 63, v0
	s_waitcnt lgkmcnt(0)
	v_max_f32_e32 v2, v2, v2
	v_max_f32_e32 v2, v4, v2
	v_cndmask_b32_e32 v4, v10, v5, vcc
	v_lshlrev_b32_e32 v12, 2, v4
	ds_bpermute_b32 v4, v12, v2
	v_xor_b32_e32 v5, 8, v10
	v_cmp_lt_i32_e32 vcc, v5, v11
	s_waitcnt lgkmcnt(0)
	v_max_f32_e32 v4, v4, v4
	v_max_f32_e32 v4, v2, v4
	v_cndmask_b32_e32 v2, v10, v5, vcc
	v_lshlrev_b32_e32 v13, 2, v2
	ds_bpermute_b32 v5, v13, v4
	v_cmp_eq_u32_e32 vcc, 0, v7
	v_lshlrev_b32_e32 v2, 2, v1
	s_and_saveexec_b64 s[0:1], vcc
	s_cbranch_execz .LBB84_15
; %bb.14:
	s_waitcnt lgkmcnt(0)
	v_max_f32_e32 v5, v5, v5
	v_max_f32_e32 v4, v4, v4
	;; [unrolled: 1-line block ×3, first 2 shown]
	ds_write_b32 v2, v4 offset:192
.LBB84_15:
	s_or_b64 exec, exec, s[0:1]
	v_cmp_gt_u32_e64 s[0:1], 2, v7
	v_mov_b32_e32 v4, 0xff7fffff
	s_waitcnt lgkmcnt(0)
	v_lshlrev_b32_e32 v5, 2, v7
	s_barrier
	s_and_saveexec_b64 s[10:11], s[0:1]
	s_cbranch_execz .LBB84_17
; %bb.16:
	ds_read_b32 v4, v5 offset:192
.LBB84_17:
	s_or_b64 exec, exec, s[10:11]
	v_xor_b32_e32 v14, 1, v10
	v_cmp_lt_i32_e64 s[10:11], v14, v11
	v_mov_b32_e32 v16, 0
	s_nop 0
	v_cndmask_b32_e64 v14, v10, v14, s[10:11]
	v_lshlrev_b32_e32 v14, 2, v14
	s_waitcnt lgkmcnt(0)
	ds_bpermute_b32 v15, v14, v4
	v_max_f32_e32 v4, v4, v4
	s_sub_i32 s10, s33, s12
	s_lshl_b32 s10, s10, 3
	s_add_i32 s10, s10, s42
	s_waitcnt lgkmcnt(0)
	v_max_f32_e32 v15, v15, v15
	v_max_f32_e32 v4, v4, v15
	v_lshlrev_b32_e32 v15, 2, v10
	v_and_b32_e32 v15, 0xffffff00, v15
	ds_bpermute_b32 v4, v15, v4
	s_min_i32 s19, s10, s27
	s_sub_i32 s16, s19, s42
	v_cmp_gt_i32_e64 s[10:11], s16, v0
	s_and_saveexec_b64 s[36:37], s[10:11]
	s_cbranch_execz .LBB84_21
; %bb.18:
	v_mov_b32_e32 v16, 0xd0
	v_lshl_add_u32 v17, v0, 2, v16
	s_mov_b64 s[38:39], 0
	v_mov_b32_e32 v16, 0
	v_mov_b32_e32 v18, v0
.LBB84_19:                              ; =>This Inner Loop Header: Depth=1
	ds_read_b32 v19, v17
	v_add_u32_e32 v18, 0x80, v18
	v_cmp_le_i32_e64 s[12:13], s16, v18
	s_or_b64 s[38:39], s[12:13], s[38:39]
	s_waitcnt lgkmcnt(0)
	v_sub_f32_e32 v19, v19, v4
	v_mul_f32_e32 v19, 0x3fb8aa3b, v19
	v_exp_f32_e32 v19, v19
	ds_write_b32 v17, v19
	v_add_f32_e32 v16, v16, v19
	v_add_u32_e32 v17, 0x200, v17
	s_andn2_b64 exec, exec, s[38:39]
	s_cbranch_execnz .LBB84_19
; %bb.20:
	s_or_b64 exec, exec, s[38:39]
.LBB84_21:
	s_or_b64 exec, exec, s[36:37]
	ds_bpermute_b32 v3, v3, v16
	s_waitcnt lgkmcnt(0)
	v_add_f32_e32 v3, v16, v3
	ds_bpermute_b32 v12, v12, v3
	s_waitcnt lgkmcnt(0)
	v_add_f32_e32 v3, v3, v12
	ds_bpermute_b32 v12, v13, v3
	v_xor_b32_e32 v13, 4, v10
	v_cmp_lt_i32_e64 s[12:13], v13, v11
	s_waitcnt lgkmcnt(0)
	v_add_f32_e32 v3, v3, v12
	v_cndmask_b32_e64 v13, v10, v13, s[12:13]
	v_lshlrev_b32_e32 v13, 2, v13
	ds_bpermute_b32 v12, v13, v3
	v_xor_b32_e32 v13, 2, v10
	v_cmp_lt_i32_e64 s[12:13], v13, v11
	s_waitcnt lgkmcnt(0)
	v_add_f32_e32 v3, v3, v12
	v_cndmask_b32_e64 v10, v10, v13, s[12:13]
	v_lshlrev_b32_e32 v10, 2, v10
	ds_bpermute_b32 v10, v10, v3
	s_waitcnt lgkmcnt(0)
	v_add_f32_e32 v3, v3, v10
	ds_bpermute_b32 v10, v14, v3
	s_waitcnt lgkmcnt(0)
	v_add_f32_e32 v3, v3, v10
	s_and_saveexec_b64 s[12:13], vcc
	s_cbranch_execz .LBB84_23
; %bb.22:
	ds_write_b32 v2, v3 offset:200
.LBB84_23:
	s_or_b64 exec, exec, s[12:13]
	s_waitcnt lgkmcnt(0)
	s_barrier
	s_and_saveexec_b64 s[12:13], s[0:1]
	s_cbranch_execz .LBB84_25
; %bb.24:
	ds_read_b32 v3, v5 offset:200
.LBB84_25:
	s_or_b64 exec, exec, s[12:13]
	s_waitcnt lgkmcnt(0)
	ds_bpermute_b32 v2, v14, v3
	s_waitcnt lgkmcnt(0)
	v_add_f32_e32 v2, v3, v2
	ds_bpermute_b32 v5, v15, v2
	s_and_saveexec_b64 s[0:1], s[10:11]
	s_cbranch_execz .LBB84_38
; %bb.26:
	s_waitcnt lgkmcnt(0)
	v_add_f32_e32 v2, 0x358637bd, v5
	v_div_scale_f32 v3, s[10:11], v2, v2, 1.0
	v_rcp_f32_e32 v10, v3
	v_div_scale_f32 v11, vcc, 1.0, v2, 1.0
	s_movk_i32 s10, 0x7f
	v_fma_f32 v12, -v3, v10, 1.0
	v_fmac_f32_e32 v10, v12, v10
	v_mul_f32_e32 v12, v11, v10
	v_fma_f32 v13, -v3, v12, v11
	v_fmac_f32_e32 v12, v13, v10
	v_fma_f32 v3, -v3, v12, v11
	v_div_fmas_f32 v3, v3, v10, v12
	v_div_fixup_f32 v2, v3, v2, 1.0
	v_xad_u32 v3, v0, -1, s19
	v_subrev_u32_e32 v10, s42, v3
	v_cmp_lt_u32_e32 vcc, s10, v10
	s_mov_b64 s[12:13], -1
	v_mov_b32_e32 v3, v0
	s_and_saveexec_b64 s[10:11], vcc
	s_cbranch_execz .LBB84_35
; %bb.27:
	v_lshrrev_b32_e32 v10, 7, v10
	v_add_u32_e32 v12, -1, v10
	v_lshrrev_b32_e32 v11, 1, v12
	v_mov_b32_e32 v3, v2
	v_add_u32_e32 v11, 1, v11
	v_cmp_lt_u32_e32 vcc, 13, v12
	v_mov_b32_e32 v14, 0
	s_and_saveexec_b64 s[12:13], vcc
	s_cbranch_execz .LBB84_31
; %bb.28:
	v_mov_b32_e32 v13, 0xd0
	v_and_b32_e32 v12, -8, v11
	v_lshl_add_u32 v13, v0, 2, v13
	s_mov_b32 s19, 0
	s_mov_b64 s[36:37], 0
.LBB84_29:                              ; =>This Inner Loop Header: Depth=1
	ds_read2st64_b32 v[14:15], v13 offset1:2
	ds_read2st64_b32 v[16:17], v13 offset0:4 offset1:6
	ds_read2st64_b32 v[18:19], v13 offset0:8 offset1:10
	;; [unrolled: 1-line block ×3, first 2 shown]
	v_add_u32_e32 v12, -8, v12
	s_waitcnt lgkmcnt(3)
	v_pk_mul_f32 v[14:15], v[2:3], v[14:15]
	s_waitcnt lgkmcnt(2)
	v_pk_mul_f32 v[16:17], v[2:3], v[16:17]
	ds_write2st64_b32 v13, v14, v15 offset1:2
	ds_write2st64_b32 v13, v16, v17 offset0:4 offset1:6
	ds_read2st64_b32 v[16:17], v13 offset0:16 offset1:18
	s_waitcnt lgkmcnt(4)
	v_pk_mul_f32 v[14:15], v[2:3], v[18:19]
	ds_write2st64_b32 v13, v14, v15 offset0:8 offset1:10
	s_waitcnt lgkmcnt(4)
	v_pk_mul_f32 v[14:15], v[2:3], v[20:21]
	ds_write2st64_b32 v13, v14, v15 offset0:12 offset1:14
	ds_read2st64_b32 v[14:15], v13 offset0:20 offset1:22
	s_waitcnt lgkmcnt(3)
	v_pk_mul_f32 v[16:17], v[2:3], v[16:17]
	ds_read2st64_b32 v[18:19], v13 offset0:24 offset1:26
	ds_write2st64_b32 v13, v16, v17 offset0:16 offset1:18
	ds_read2st64_b32 v[16:17], v13 offset0:28 offset1:30
	s_waitcnt lgkmcnt(3)
	v_pk_mul_f32 v[14:15], v[2:3], v[14:15]
	ds_write2st64_b32 v13, v14, v15 offset0:20 offset1:22
	s_waitcnt lgkmcnt(3)
	v_pk_mul_f32 v[14:15], v[2:3], v[18:19]
	ds_write2st64_b32 v13, v14, v15 offset0:24 offset1:26
	s_waitcnt lgkmcnt(2)
	v_pk_mul_f32 v[14:15], v[2:3], v[16:17]
	s_add_i32 s19, s19, 16
	v_cmp_eq_u32_e32 vcc, 0, v12
	ds_write2st64_b32 v13, v14, v15 offset0:28 offset1:30
	v_add_u32_e32 v13, 0x2000, v13
	s_or_b64 s[36:37], vcc, s[36:37]
	v_mov_b32_e32 v14, s19
	s_andn2_b64 exec, exec, s[36:37]
	s_cbranch_execnz .LBB84_29
; %bb.30:
	s_or_b64 exec, exec, s[36:37]
.LBB84_31:
	s_or_b64 exec, exec, s[12:13]
	v_and_b32_e32 v11, 7, v11
	v_cmp_ne_u32_e32 vcc, 0, v11
	s_and_saveexec_b64 s[12:13], vcc
	s_cbranch_execz .LBB84_34
; %bb.32:
	v_lshlrev_b32_e32 v12, 9, v14
	v_lshlrev_b32_e32 v13, 2, v0
	s_movk_i32 s19, 0xd0
	v_add3_u32 v12, v12, v13, s19
	s_mov_b64 s[36:37], 0
.LBB84_33:                              ; =>This Inner Loop Header: Depth=1
	ds_read2st64_b32 v[14:15], v12 offset1:2
	v_add_u32_e32 v11, -1, v11
	v_cmp_eq_u32_e32 vcc, 0, v11
	s_or_b64 s[36:37], vcc, s[36:37]
	s_waitcnt lgkmcnt(0)
	v_pk_mul_f32 v[14:15], v[2:3], v[14:15]
	ds_write2st64_b32 v12, v14, v15 offset1:2
	v_add_u32_e32 v12, 0x400, v12
	s_andn2_b64 exec, exec, s[36:37]
	s_cbranch_execnz .LBB84_33
.LBB84_34:
	s_or_b64 exec, exec, s[12:13]
	v_add_u32_e32 v10, 1, v10
	v_and_b32_e32 v11, 0x3fffffe, v10
	v_cmp_ne_u32_e32 vcc, v10, v11
	v_lshl_add_u32 v3, v11, 7, v0
	s_orn2_b64 s[12:13], vcc, exec
.LBB84_35:
	s_or_b64 exec, exec, s[10:11]
	s_and_b64 exec, exec, s[12:13]
	s_cbranch_execz .LBB84_38
; %bb.36:
	v_mov_b32_e32 v10, 0xd0
	v_lshl_add_u32 v10, v3, 2, v10
	s_mov_b64 s[10:11], 0
.LBB84_37:                              ; =>This Inner Loop Header: Depth=1
	ds_read_b32 v11, v10
	v_add_u32_e32 v3, 0x80, v3
	v_cmp_le_i32_e32 vcc, s16, v3
	s_or_b64 s[10:11], vcc, s[10:11]
	s_waitcnt lgkmcnt(0)
	v_mul_f32_e32 v11, v2, v11
	ds_write_b32 v10, v11
	v_add_u32_e32 v10, 0x200, v10
	s_andn2_b64 exec, exec, s[10:11]
	s_cbranch_execnz .LBB84_37
.LBB84_38:
	s_or_b64 exec, exec, s[0:1]
	s_mul_i32 s1, s15, s26
	s_mov_b32 s0, 0
	v_cmp_eq_u32_e32 vcc, 0, v0
	s_mul_i32 s10, s1, s5
	s_waitcnt lgkmcnt(0)
	s_barrier
	s_and_saveexec_b64 s[12:13], vcc
	s_cbranch_execz .LBB84_40
; %bb.39:
	s_ashr_i32 s11, s10, 31
	s_lshl_b64 s[36:37], s[10:11], 2
	s_add_u32 s1, s22, s36
	s_mul_i32 s22, s15, s2
	s_addc_u32 s5, s23, s37
	s_ashr_i32 s23, s22, 31
	s_lshl_b64 s[22:23], s[22:23], 2
	s_add_u32 s1, s1, s22
	s_addc_u32 s2, s5, s23
	s_ashr_i32 s5, s4, 31
	s_lshl_b64 s[38:39], s[4:5], 2
	s_add_u32 s40, s1, s38
	s_addc_u32 s41, s2, s39
	s_add_u32 s1, s20, s36
	s_addc_u32 s2, s21, s37
	;; [unrolled: 2-line block ×3, first 2 shown]
	s_add_u32 s20, s1, s38
	v_mov_b32_e32 v2, 0
	s_addc_u32 s21, s2, s39
	global_store_dword v2, v4, s[40:41]
	global_store_dword v2, v5, s[20:21]
.LBB84_40:
	s_or_b64 exec, exec, s[12:13]
	s_mov_b32 s1, s0
	v_mov_b64_e32 v[10:11], s[0:1]
	s_and_saveexec_b64 s[12:13], s[6:7]
	s_cbranch_execz .LBB84_50
; %bb.41:
	s_ashr_i32 s19, s18, 31
	s_lshl_b64 s[0:1], s[18:19], 1
	s_add_u32 s6, s34, s0
	s_addc_u32 s7, s35, s1
	s_add_i32 s11, s3, -1
	s_lshl_b64 s[2:3], s[30:31], 2
	s_mov_b32 s0, 0
	v_or_b32_e32 v3, 64, v7
	s_movk_i32 s1, 0x60
	s_add_u32 s2, s28, s2
	v_lshlrev_b32_e32 v2, 3, v7
	v_mov_b32_e32 v13, 0
	v_cmp_gt_u32_e32 vcc, s1, v3
	v_lshlrev_b32_e32 v4, 3, v3
	v_mov_b32_e32 v3, 0xd0
	s_addc_u32 s3, s29, s3
	s_mov_b32 s1, s0
	s_mov_b32 s5, s17
	;; [unrolled: 1-line block ×9, first 2 shown]
	v_lshl_add_u32 v20, v1, 3, s42
	v_lshl_add_u32 v1, v1, 5, v3
	v_lshl_add_u64 v[14:15], v[8:9], 2, s[2:3]
	s_mov_b64 s[16:17], 0
	v_mov_b64_e32 v[10:11], s[0:1]
	v_lshlrev_b32_e32 v16, 1, v2
	v_mov_b32_e32 v17, v13
	s_mov_b32 s28, 0x5040100
	v_lshlrev_b32_e32 v12, 1, v4
	s_branch .LBB84_44
.LBB84_42:                              ;   in Loop: Header=BB84_44 Depth=1
	s_or_b64 exec, exec, s[18:19]
	s_waitcnt vmcnt(0)
	;;#ASMSTART
	v_pk_mul_f16 v2, v23, v2;

	;;#ASMEND
	;;#ASMSTART
	v_pk_mul_f16 v3, v22, v3;

	;;#ASMEND
	;; [unrolled: 4-line block ×4, first 2 shown]
	s_nop 0
	;;#ASMSTART
	v_pk_add_f16 v2, v2, v3;

	;;#ASMEND
	s_nop 0
	;;#ASMSTART
	v_pk_add_f16 v2, v2, v4;

	;;#ASMEND
	;; [unrolled: 5-line block ×3, first 2 shown]
	s_nop 0
	v_lshrrev_b32_e32 v3, 16, v2
	v_and_b32_e32 v2, 0xffff, v2
	;;#ASMSTART
	v_cvt_f32_f16 v2, v2;
	;;#ASMEND
	;;#ASMSTART
	v_cvt_f32_f16 v3, v3;
	;;#ASMEND
	s_nop 0
	v_add_f32_e32 v2, v2, v3
	v_add_f32_e32 v11, v11, v2
.LBB84_43:                              ;   in Loop: Header=BB84_44 Depth=1
	s_or_b64 exec, exec, s[2:3]
	v_add_u32_e32 v8, 2, v8
	v_cmp_le_i32_e64 s[0:1], s33, v8
	v_add_u32_e32 v20, 16, v20
	v_add_u32_e32 v1, 64, v1
	s_or_b64 s[16:17], s[0:1], s[16:17]
	v_lshl_add_u64 v[14:15], v[14:15], 0, 8
	s_andn2_b64 exec, exec, s[16:17]
	s_cbranch_execz .LBB84_49
.LBB84_44:                              ; =>This Inner Loop Header: Depth=1
	global_load_dword v18, v[14:15], off
	ds_read2_b64 v[2:5], v1 offset1:1
	ds_read2_b64 v[26:29], v1 offset0:2 offset1:3
	s_waitcnt lgkmcnt(1)
	;;#ASMSTART
	v_cvt_f16_f32 v9, v2;

	;;#ASMEND
	;;#ASMSTART
	v_cvt_f16_f32 v21, v3;

	;;#ASMEND
	;; [unrolled: 4-line block ×4, first 2 shown]
	s_waitcnt lgkmcnt(0)
	;;#ASMSTART
	v_cvt_f16_f32 v25, v26;

	;;#ASMEND
	;;#ASMSTART
	v_cvt_f16_f32 v26, v27;

	;;#ASMEND
	;; [unrolled: 4-line block ×4, first 2 shown]
	s_waitcnt vmcnt(0)
	v_mad_i64_i32 v[2:3], s[0:1], v18, s5, 0
	v_lshl_add_u64 v[18:19], v[2:3], 1, s[6:7]
	v_lshl_add_u64 v[2:3], v[18:19], 0, v[16:17]
	global_load_dwordx4 v[2:5], v[2:3], off
	v_cmp_eq_u32_e64 s[0:1], s11, v8
	s_and_saveexec_b64 s[18:19], s[0:1]
	s_cbranch_execz .LBB84_46
; %bb.45:                               ;   in Loop: Header=BB84_44 Depth=1
	v_or_b32_e32 v33, 7, v20
	v_or_b32_e32 v34, 6, v20
	s_waitcnt vmcnt(0)
	v_lshrrev_b32_e32 v35, 16, v5
	v_cmp_gt_i32_e64 s[2:3], s35, v33
	v_or_b32_e32 v31, 5, v20
	v_or_b32_e32 v32, 4, v20
	v_cndmask_b32_e64 v33, 0, v35, s[2:3]
	v_cmp_gt_i32_e64 s[2:3], s34, v34
	v_or_b32_e32 v29, 3, v20
	v_or_b32_e32 v30, 2, v20
	v_cndmask_b32_e64 v5, 0, v5, s[2:3]
	v_perm_b32 v5, v33, v5, s28
	v_lshrrev_b32_e32 v33, 16, v4
	v_cmp_gt_i32_e64 s[2:3], s26, v31
	v_add_u32_e32 v23, 1, v20
	s_nop 0
	v_cndmask_b32_e64 v31, 0, v33, s[2:3]
	v_cmp_gt_i32_e64 s[2:3], s23, v32
	s_nop 1
	v_cndmask_b32_e64 v4, 0, v4, s[2:3]
	v_perm_b32 v4, v31, v4, s28
	v_lshrrev_b32_e32 v31, 16, v3
	v_cmp_gt_i32_e64 s[2:3], s22, v29
	s_nop 1
	v_cndmask_b32_e64 v29, 0, v31, s[2:3]
	v_cmp_gt_i32_e64 s[2:3], s21, v30
	s_nop 1
	v_cndmask_b32_e64 v3, 0, v3, s[2:3]
	v_perm_b32 v3, v29, v3, s28
	v_lshrrev_b32_e32 v29, 16, v2
	v_cmp_gt_i32_e64 s[2:3], s20, v23
	s_nop 1
	v_cndmask_b32_e64 v23, 0, v29, s[2:3]
	v_cmp_gt_i32_e64 s[2:3], s27, v20
	s_nop 1
	v_cndmask_b32_e64 v2, 0, v2, s[2:3]
	v_perm_b32 v2, v23, v2, s28
.LBB84_46:                              ;   in Loop: Header=BB84_44 Depth=1
	s_or_b64 exec, exec, s[18:19]
	v_and_b32_e32 v9, 0xffff, v9
	v_lshl_or_b32 v23, v21, 16, v9
	v_and_b32_e32 v9, 0xffff, v22
	v_lshl_or_b32 v22, v24, 16, v9
	;; [unrolled: 2-line block ×3, first 2 shown]
	v_and_b32_e32 v9, 0xffff, v27
	s_waitcnt vmcnt(0)
	;;#ASMSTART
	v_pk_mul_f16 v2, v23, v2;

	;;#ASMEND
	v_lshl_or_b32 v9, v28, 16, v9
	;;#ASMSTART
	v_pk_mul_f16 v3, v22, v3;

	;;#ASMEND
	;;#ASMSTART
	v_pk_mul_f16 v4, v21, v4;

	;;#ASMEND
	;; [unrolled: 4-line block ×3, first 2 shown]
	s_nop 0
	;;#ASMSTART
	v_pk_add_f16 v2, v2, v3;

	;;#ASMEND
	s_nop 0
	;;#ASMSTART
	v_pk_add_f16 v2, v2, v4;

	;;#ASMEND
	;; [unrolled: 5-line block ×3, first 2 shown]
	s_nop 0
	v_lshrrev_b32_e32 v3, 16, v2
	v_and_b32_e32 v2, 0xffff, v2
	;;#ASMSTART
	v_cvt_f32_f16 v2, v2;
	;;#ASMEND
	;;#ASMSTART
	v_cvt_f32_f16 v3, v3;
	;;#ASMEND
	s_nop 0
	v_add_f32_e32 v2, v2, v3
	v_add_f32_e32 v10, v10, v2
	s_and_saveexec_b64 s[2:3], vcc
	s_cbranch_execz .LBB84_43
; %bb.47:                               ;   in Loop: Header=BB84_44 Depth=1
	v_lshl_add_u64 v[2:3], v[18:19], 0, v[12:13]
	global_load_dwordx4 v[2:5], v[2:3], off
	s_and_saveexec_b64 s[18:19], s[0:1]
	s_cbranch_execz .LBB84_42
; %bb.48:                               ;   in Loop: Header=BB84_44 Depth=1
	v_or_b32_e32 v27, 7, v20
	v_or_b32_e32 v28, 6, v20
	s_waitcnt vmcnt(0)
	v_lshrrev_b32_e32 v29, 16, v5
	v_cmp_gt_i32_e64 s[0:1], s35, v27
	v_or_b32_e32 v25, 5, v20
	v_or_b32_e32 v26, 4, v20
	v_cndmask_b32_e64 v27, 0, v29, s[0:1]
	v_cmp_gt_i32_e64 s[0:1], s34, v28
	v_or_b32_e32 v19, 3, v20
	v_or_b32_e32 v24, 2, v20
	v_cndmask_b32_e64 v5, 0, v5, s[0:1]
	v_perm_b32 v5, v27, v5, s28
	v_lshrrev_b32_e32 v27, 16, v4
	v_cmp_gt_i32_e64 s[0:1], s26, v25
	v_add_u32_e32 v18, 1, v20
	s_nop 0
	v_cndmask_b32_e64 v25, 0, v27, s[0:1]
	v_cmp_gt_i32_e64 s[0:1], s23, v26
	s_nop 1
	v_cndmask_b32_e64 v4, 0, v4, s[0:1]
	v_perm_b32 v4, v25, v4, s28
	v_lshrrev_b32_e32 v25, 16, v3
	v_cmp_gt_i32_e64 s[0:1], s22, v19
	s_nop 1
	v_cndmask_b32_e64 v19, 0, v25, s[0:1]
	v_cmp_gt_i32_e64 s[0:1], s21, v24
	s_nop 1
	v_cndmask_b32_e64 v3, 0, v3, s[0:1]
	v_perm_b32 v3, v19, v3, s28
	v_lshrrev_b32_e32 v19, 16, v2
	v_cmp_gt_i32_e64 s[0:1], s20, v18
	s_nop 1
	v_cndmask_b32_e64 v18, 0, v19, s[0:1]
	v_cmp_gt_i32_e64 s[0:1], s27, v20
	s_nop 1
	v_cndmask_b32_e64 v2, 0, v2, s[0:1]
	v_perm_b32 v2, v18, v2, s28
	s_branch .LBB84_42
.LBB84_49:
	s_or_b64 exec, exec, s[16:17]
.LBB84_50:
	s_or_b64 exec, exec, s[12:13]
	v_and_b32_e32 v1, 0x3c0, v0
	v_cmp_eq_u32_e32 vcc, 64, v1
	s_barrier
	s_and_saveexec_b64 s[0:1], vcc
	s_cbranch_execz .LBB84_53
; %bb.51:
	v_mov_b32_e32 v1, 0xd0
	v_lshl_add_u32 v2, v7, 2, v1
	ds_write_b32 v2, v10
	s_and_b64 exec, exec, s[8:9]
	s_cbranch_execz .LBB84_53
; %bb.52:
	v_lshl_add_u32 v1, v0, 2, v1
	ds_write_b32 v1, v11
.LBB84_53:
	s_or_b64 exec, exec, s[0:1]
	v_cmp_gt_u32_e32 vcc, 64, v0
	v_or_b32_e32 v1, 64, v0
	s_waitcnt lgkmcnt(0)
	s_barrier
	s_and_saveexec_b64 s[2:3], vcc
	s_cbranch_execz .LBB84_57
; %bb.54:
	v_mov_b32_e32 v2, 0xd0
	v_lshl_add_u32 v0, v0, 2, v2
	ds_read_b32 v2, v0
	s_movk_i32 s0, 0x60
	v_cmp_gt_u32_e64 s[0:1], s0, v1
	s_waitcnt lgkmcnt(0)
	v_add_f32_e32 v10, v10, v2
	s_and_saveexec_b64 s[6:7], s[0:1]
	s_cbranch_execz .LBB84_56
; %bb.55:
	ds_read_b32 v0, v0 offset:256
	s_waitcnt lgkmcnt(0)
	v_add_f32_e32 v11, v11, v0
.LBB84_56:
	s_or_b64 exec, exec, s[6:7]
.LBB84_57:
	s_or_b64 exec, exec, s[2:3]
	s_barrier
	s_and_saveexec_b64 s[0:1], vcc
	s_cbranch_execz .LBB84_60
; %bb.58:
	s_mul_i32 s0, s10, 0x60
	s_ashr_i32 s1, s0, 31
	s_lshl_b64 s[0:1], s[0:1], 1
	s_add_u32 s3, s24, s0
	s_mul_i32 s0, s15, s14
	s_addc_u32 s5, s25, s1
	s_ashr_i32 s1, s0, 31
	s_lshl_b64 s[0:1], s[0:1], 1
	s_add_u32 s3, s3, s0
	s_mul_i32 s0, s4, 0x60
	s_addc_u32 s5, s5, s1
	s_ashr_i32 s1, s0, 31
	s_lshl_b64 s[0:1], s[0:1], 1
	s_movk_i32 s2, 0x60
	s_add_u32 s0, s3, s0
	s_addc_u32 s1, s5, s1
	v_cmp_gt_u32_e32 vcc, s2, v1
	;;#ASMSTART
	v_cvt_f16_f32 v0, v10;

	;;#ASMEND
	global_store_short v6, v0, s[0:1]
	s_and_b64 exec, exec, vcc
	s_cbranch_execz .LBB84_60
; %bb.59:
	v_mov_b32_e32 v7, 0
	v_lshl_add_u64 v[0:1], s[0:1], 0, v[6:7]
	;;#ASMSTART
	v_cvt_f16_f32 v2, v11;

	;;#ASMEND
	global_store_short v[0:1], v2, off offset:128
.LBB84_60:
	s_endpgm
	.section	.rodata,"a",@progbits
	.p2align	6, 0x0
	.amdhsa_kernel _ZN4vllm25paged_attention_v2_kernelIttLi96ELi8ELi128ELNS_18Fp8KVCacheDataTypeE0ELb0ELi512EEEvPfS2_PT_PKS3_PKT0_S9_ifPKiSB_iPKfiiiSD_SD_iiiii
		.amdhsa_group_segment_fixed_size 208
		.amdhsa_private_segment_fixed_size 0
		.amdhsa_kernarg_size 400
		.amdhsa_user_sgpr_count 2
		.amdhsa_user_sgpr_dispatch_ptr 0
		.amdhsa_user_sgpr_queue_ptr 0
		.amdhsa_user_sgpr_kernarg_segment_ptr 1
		.amdhsa_user_sgpr_dispatch_id 0
		.amdhsa_user_sgpr_kernarg_preload_length 0
		.amdhsa_user_sgpr_kernarg_preload_offset 0
		.amdhsa_user_sgpr_private_segment_size 0
		.amdhsa_uses_dynamic_stack 0
		.amdhsa_enable_private_segment 0
		.amdhsa_system_sgpr_workgroup_id_x 1
		.amdhsa_system_sgpr_workgroup_id_y 1
		.amdhsa_system_sgpr_workgroup_id_z 1
		.amdhsa_system_sgpr_workgroup_info 0
		.amdhsa_system_vgpr_workitem_id 0
		.amdhsa_next_free_vgpr 42
		.amdhsa_next_free_sgpr 44
		.amdhsa_accum_offset 44
		.amdhsa_reserve_vcc 1
		.amdhsa_float_round_mode_32 0
		.amdhsa_float_round_mode_16_64 0
		.amdhsa_float_denorm_mode_32 3
		.amdhsa_float_denorm_mode_16_64 3
		.amdhsa_dx10_clamp 1
		.amdhsa_ieee_mode 1
		.amdhsa_fp16_overflow 0
		.amdhsa_tg_split 0
		.amdhsa_exception_fp_ieee_invalid_op 0
		.amdhsa_exception_fp_denorm_src 0
		.amdhsa_exception_fp_ieee_div_zero 0
		.amdhsa_exception_fp_ieee_overflow 0
		.amdhsa_exception_fp_ieee_underflow 0
		.amdhsa_exception_fp_ieee_inexact 0
		.amdhsa_exception_int_div_zero 0
	.end_amdhsa_kernel
	.section	.text._ZN4vllm25paged_attention_v2_kernelIttLi96ELi8ELi128ELNS_18Fp8KVCacheDataTypeE0ELb0ELi512EEEvPfS2_PT_PKS3_PKT0_S9_ifPKiSB_iPKfiiiSD_SD_iiiii,"axG",@progbits,_ZN4vllm25paged_attention_v2_kernelIttLi96ELi8ELi128ELNS_18Fp8KVCacheDataTypeE0ELb0ELi512EEEvPfS2_PT_PKS3_PKT0_S9_ifPKiSB_iPKfiiiSD_SD_iiiii,comdat
.Lfunc_end84:
	.size	_ZN4vllm25paged_attention_v2_kernelIttLi96ELi8ELi128ELNS_18Fp8KVCacheDataTypeE0ELb0ELi512EEEvPfS2_PT_PKS3_PKT0_S9_ifPKiSB_iPKfiiiSD_SD_iiiii, .Lfunc_end84-_ZN4vllm25paged_attention_v2_kernelIttLi96ELi8ELi128ELNS_18Fp8KVCacheDataTypeE0ELb0ELi512EEEvPfS2_PT_PKS3_PKT0_S9_ifPKiSB_iPKfiiiSD_SD_iiiii
                                        ; -- End function
	.section	.AMDGPU.csdata,"",@progbits
; Kernel info:
; codeLenInByte = 4616
; NumSgprs: 50
; NumVgprs: 42
; NumAgprs: 0
; TotalNumVgprs: 42
; ScratchSize: 0
; MemoryBound: 0
; FloatMode: 240
; IeeeMode: 1
; LDSByteSize: 208 bytes/workgroup (compile time only)
; SGPRBlocks: 6
; VGPRBlocks: 5
; NumSGPRsForWavesPerEU: 50
; NumVGPRsForWavesPerEU: 42
; AccumOffset: 44
; Occupancy: 8
; WaveLimiterHint : 1
; COMPUTE_PGM_RSRC2:SCRATCH_EN: 0
; COMPUTE_PGM_RSRC2:USER_SGPR: 2
; COMPUTE_PGM_RSRC2:TRAP_HANDLER: 0
; COMPUTE_PGM_RSRC2:TGID_X_EN: 1
; COMPUTE_PGM_RSRC2:TGID_Y_EN: 1
; COMPUTE_PGM_RSRC2:TGID_Z_EN: 1
; COMPUTE_PGM_RSRC2:TIDIG_COMP_CNT: 0
; COMPUTE_PGM_RSRC3_GFX90A:ACCUM_OFFSET: 10
; COMPUTE_PGM_RSRC3_GFX90A:TG_SPLIT: 0
	.section	.text._ZN4vllm25paged_attention_v2_kernelIttLi112ELi8ELi128ELNS_18Fp8KVCacheDataTypeE0ELb0ELi512EEEvPfS2_PT_PKS3_PKT0_S9_ifPKiSB_iPKfiiiSD_SD_iiiii,"axG",@progbits,_ZN4vllm25paged_attention_v2_kernelIttLi112ELi8ELi128ELNS_18Fp8KVCacheDataTypeE0ELb0ELi512EEEvPfS2_PT_PKS3_PKT0_S9_ifPKiSB_iPKfiiiSD_SD_iiiii,comdat
	.protected	_ZN4vllm25paged_attention_v2_kernelIttLi112ELi8ELi128ELNS_18Fp8KVCacheDataTypeE0ELb0ELi512EEEvPfS2_PT_PKS3_PKT0_S9_ifPKiSB_iPKfiiiSD_SD_iiiii ; -- Begin function _ZN4vllm25paged_attention_v2_kernelIttLi112ELi8ELi128ELNS_18Fp8KVCacheDataTypeE0ELb0ELi512EEEvPfS2_PT_PKS3_PKT0_S9_ifPKiSB_iPKfiiiSD_SD_iiiii
	.globl	_ZN4vllm25paged_attention_v2_kernelIttLi112ELi8ELi128ELNS_18Fp8KVCacheDataTypeE0ELb0ELi512EEEvPfS2_PT_PKS3_PKT0_S9_ifPKiSB_iPKfiiiSD_SD_iiiii
	.p2align	8
	.type	_ZN4vllm25paged_attention_v2_kernelIttLi112ELi8ELi128ELNS_18Fp8KVCacheDataTypeE0ELb0ELi512EEEvPfS2_PT_PKS3_PKT0_S9_ifPKiSB_iPKfiiiSD_SD_iiiii,@function
_ZN4vllm25paged_attention_v2_kernelIttLi112ELi8ELi128ELNS_18Fp8KVCacheDataTypeE0ELb0ELi512EEEvPfS2_PT_PKS3_PKT0_S9_ifPKiSB_iPKfiiiSD_SD_iiiii: ; @_ZN4vllm25paged_attention_v2_kernelIttLi112ELi8ELi128ELNS_18Fp8KVCacheDataTypeE0ELb0ELi512EEEvPfS2_PT_PKS3_PKT0_S9_ifPKiSB_iPKfiiiSD_SD_iiiii
; %bb.0:
	s_load_dwordx2 s[6:7], s[0:1], 0x40
	s_mov_b32 s26, s3
	s_ashr_i32 s27, s3, 31
	s_lshl_b64 s[8:9], s[26:27], 2
	s_waitcnt lgkmcnt(0)
	s_add_u32 s6, s6, s8
	s_addc_u32 s7, s7, s9
	s_load_dword s27, s[6:7], 0x0
	s_lshl_b32 s42, s4, 9
	s_waitcnt lgkmcnt(0)
	s_cmp_ge_i32 s42, s27
	s_cbranch_scc1 .LBB85_60
; %bb.1:
	s_load_dword s5, s[0:1], 0x90
	s_load_dwordx2 s[12:13], s[0:1], 0x30
	s_mov_b32 s43, 0
	s_waitcnt lgkmcnt(0)
	s_abs_i32 s7, s5
	s_abs_i32 s3, s12
	v_cvt_f32_u32_e32 v1, s3
	s_sub_i32 s8, 0, s3
	s_xor_b32 s6, s5, s12
	s_ashr_i32 s6, s6, 31
	v_rcp_iflag_f32_e32 v1, v1
	s_nop 0
	v_mul_f32_e32 v1, 0x4f7ffffe, v1
	v_cvt_u32_f32_e32 v1, v1
	s_nop 0
	v_readfirstlane_b32 s9, v1
	s_mul_i32 s8, s8, s9
	s_mul_hi_u32 s8, s9, s8
	s_add_i32 s9, s9, s8
	s_mul_hi_u32 s8, s7, s9
	s_mul_i32 s9, s8, s3
	s_sub_i32 s7, s7, s9
	s_add_i32 s10, s8, 1
	s_sub_i32 s9, s7, s3
	s_cmp_ge_u32 s7, s3
	s_cselect_b32 s8, s10, s8
	s_cselect_b32 s7, s9, s7
	s_add_i32 s9, s8, 1
	s_cmp_ge_u32 s7, s3
	s_cselect_b32 s3, s9, s8
	s_xor_b32 s3, s3, s6
	s_sub_i32 s10, s3, s6
	s_abs_i32 s8, s10
	v_cvt_f32_u32_e32 v1, s8
	s_load_dwordx2 s[6:7], s[0:1], 0x50
	s_sub_i32 s3, 0, s8
	s_abs_i32 s9, s2
	v_rcp_iflag_f32_e32 v1, v1
	s_nop 0
	v_mul_f32_e32 v1, 0x4f7ffffe, v1
	v_cvt_u32_f32_e32 v1, v1
	s_nop 0
	v_readfirstlane_b32 s11, v1
	s_mul_i32 s3, s3, s11
	s_mul_hi_u32 s3, s11, s3
	s_add_i32 s11, s11, s3
	s_waitcnt lgkmcnt(0)
	s_cmp_eq_u64 s[6:7], 0
	s_mul_hi_u32 s20, s9, s11
	s_cbranch_scc1 .LBB85_3
; %bb.2:
	s_ashr_i32 s3, s2, 31
	s_lshl_b64 s[14:15], s[2:3], 2
	s_add_u32 s6, s6, s14
	s_addc_u32 s7, s7, s15
	s_load_dword s43, s[6:7], 0x0
.LBB85_3:
	s_load_dwordx4 s[16:19], s[0:1], 0x58
	s_movk_i32 s3, 0x70
	s_ashr_i32 s21, s2, 31
	s_ashr_i32 s22, s10, 31
	v_and_b32_e32 v4, 7, v0
	s_mul_i32 s14, s2, 0x70
	v_cmp_gt_u32_e64 s[10:11], s3, v0
	v_lshlrev_b32_e32 v6, 1, v0
	s_and_saveexec_b64 s[6:7], s[10:11]
	s_cbranch_execz .LBB85_5
; %bb.4:
	s_load_dwordx2 s[24:25], s[0:1], 0x18
	s_waitcnt lgkmcnt(0)
	s_mul_i32 s28, s26, s16
	s_ashr_i32 s29, s28, 31
	s_lshl_b64 s[28:29], s[28:29], 1
	v_lshrrev_b32_e32 v2, 2, v0
	s_add_u32 s3, s24, s28
	s_addc_u32 s12, s25, s29
	s_ashr_i32 s15, s14, 31
	s_lshl_b64 s[24:25], s[14:15], 1
	s_add_u32 s24, s3, s24
	s_addc_u32 s25, s12, s25
	global_load_ushort v1, v6, s[24:25]
	v_and_b32_e32 v2, 0xfe, v2
	v_mad_u32_u24 v2, v4, 28, v2
	s_waitcnt vmcnt(0)
	ds_write_b16 v2, v1
.LBB85_5:
	s_or_b64 exec, exec, s[6:7]
	s_add_i32 s3, s27, 7
	s_ashr_i32 s6, s3, 31
	s_lshr_b32 s6, s6, 29
	s_add_i32 s3, s3, s6
	s_lshl_b32 s12, s4, 6
	s_mul_i32 s7, s20, s8
	s_ashr_i32 s3, s3, 3
	s_add_i32 s6, s12, 64
	s_sub_i32 s7, s9, s7
	s_min_i32 s33, s6, s3
	s_xor_b32 s6, s21, s22
	s_add_i32 s9, s20, 1
	s_sub_i32 s15, s7, s8
	s_cmp_ge_u32 s7, s8
	s_cselect_b32 s9, s9, s20
	s_cselect_b32 s7, s15, s7
	s_add_i32 s15, s9, 1
	s_cmp_ge_u32 s7, s8
	s_load_dwordx2 s[28:29], s[0:1], 0x38
	s_load_dword s8, s[0:1], 0x48
	v_lshrrev_b32_e32 v1, 6, v0
	s_cselect_b32 s7, s15, s9
	s_xor_b32 s7, s7, s6
	v_or_b32_e32 v8, s12, v1
	s_waitcnt lgkmcnt(0)
	s_mul_i32 s30, s26, s8
	s_sub_i32 s16, s7, s6
	s_ashr_i32 s31, s30, 31
	v_cmp_gt_i32_e64 s[6:7], s33, v8
	v_cmp_le_i32_e32 vcc, s33, v8
	v_mbcnt_lo_u32_b32 v15, -1, 0
	s_barrier
	s_waitcnt lgkmcnt(0)
                                        ; implicit-def: $sgpr19
                                        ; implicit-def: $vgpr10
                                        ; implicit-def: $vgpr11
	s_and_saveexec_b64 s[8:9], vcc
	s_xor_b64 s[8:9], exec, s[8:9]
; %bb.6:
	v_mbcnt_hi_u32_b32 v10, -1, v15
	v_and_b32_e32 v2, 64, v10
	v_add_u32_e32 v11, 64, v2
	s_mov_b32 s19, 0xff7fffff
                                        ; implicit-def: $vgpr4
                                        ; implicit-def: $vgpr15
; %bb.7:
	s_or_saveexec_b64 s[36:37], s[8:9]
	s_load_dwordx4 s[20:23], s[0:1], 0x0
	s_load_dwordx2 s[24:25], s[0:1], 0x10
	s_load_dwordx2 s[34:35], s[0:1], 0x28
	s_load_dword s15, s[0:1], 0x98
	v_mov_b32_e32 v7, s19
	s_mul_i32 s18, s16, s18
	v_ashrrev_i32_e32 v9, 31, v8
	s_xor_b64 exec, exec, s[36:37]
	s_cbranch_execz .LBB85_13
; %bb.8:
	s_load_dwordx2 s[0:1], s[0:1], 0x20
	s_ashr_i32 s19, s18, 31
	s_lshl_b64 s[8:9], s[18:19], 1
	v_bfe_u32 v5, v0, 3, 3
	v_lshlrev_b32_e32 v2, 4, v5
	s_waitcnt lgkmcnt(0)
	s_add_u32 s0, s0, s8
	s_addc_u32 s1, s1, s9
	v_mov_b32_e32 v3, 0
	v_lshl_add_u64 v[10:11], s[0:1], 0, v[2:3]
	v_lshlrev_b32_e32 v2, 1, v4
	v_mul_u32_u24_e32 v12, 28, v4
	v_cmp_eq_u32_e32 vcc, 0, v4
	s_sub_i32 s19, 1, s27
	v_lshlrev_b32_e32 v4, 3, v1
	s_lshl_b64 s[0:1], s[30:31], 2
	v_lshl_add_u64 v[2:3], v[10:11], 0, v[2:3]
	v_add3_u32 v13, s42, v4, v5
	v_lshlrev_b32_e32 v4, 2, v5
	s_add_u32 s0, s28, s0
	v_mbcnt_hi_u32_b32 v10, -1, v15
	v_lshl_or_b32 v4, v1, 5, v4
	s_addc_u32 s1, s29, s1
	v_and_b32_e32 v11, 64, v10
	s_mov_b32 s16, s17
	v_cmp_neq_f32_e64 s[8:9], s43, 0
	v_add_u32_e32 v14, 0xf0, v4
	v_lshl_add_u64 v[4:5], v[8:9], 2, s[0:1]
	s_mov_b64 s[38:39], 0
	v_mov_b32_e32 v7, 0xff7fffff
	v_add_u32_e32 v11, 64, v11
	v_xor_b32_e32 v15, 4, v10
	v_xor_b32_e32 v16, 2, v10
	v_xor_b32_e32 v17, 1, v10
	v_mov_b32_e32 v18, v8
	s_branch .LBB85_10
.LBB85_9:                               ;   in Loop: Header=BB85_10 Depth=1
	s_or_b64 exec, exec, s[40:41]
	v_add_u32_e32 v18, 2, v18
	v_cmp_le_i32_e64 s[0:1], s33, v18
	v_add_u32_e32 v13, 16, v13
	v_add_u32_e32 v14, 64, v14
	s_or_b64 s[38:39], s[0:1], s[38:39]
	v_lshl_add_u64 v[4:5], v[4:5], 0, 8
	s_andn2_b64 exec, exec, s[38:39]
	s_cbranch_execz .LBB85_12
.LBB85_10:                              ; =>This Inner Loop Header: Depth=1
	global_load_dword v19, v[4:5], off
	s_waitcnt vmcnt(0) lgkmcnt(0)
	v_mad_i64_i32 v[20:21], s[0:1], v19, s16, 0
	v_lshl_add_u64 v[20:21], v[20:21], 1, v[2:3]
	global_load_ushort v19, v[20:21], off
	global_load_ushort v22, v[20:21], off offset:128
	global_load_ushort v23, v[20:21], off offset:256
	;; [unrolled: 1-line block ×10, first 2 shown]
	ds_read_u16 v32, v12
	global_load_ushort v33, v[20:21], off offset:1408
	global_load_ushort v34, v[20:21], off offset:1536
	;; [unrolled: 1-line block ×3, first 2 shown]
	s_waitcnt lgkmcnt(0)
	;;#ASMSTART
	v_cvt_f32_f16 v20, v32;
	;;#ASMEND
	v_cmp_lt_i32_e64 s[0:1], v15, v11
	s_waitcnt vmcnt(13)
	;;#ASMSTART
	v_cvt_f32_f16 v19, v19;
	;;#ASMEND
	ds_read_u16 v21, v12 offset:2
	s_waitcnt lgkmcnt(0)
	;;#ASMSTART
	v_cvt_f32_f16 v21, v21;
	;;#ASMEND
	s_waitcnt vmcnt(12)
	;;#ASMSTART
	v_cvt_f32_f16 v22, v22;
	;;#ASMEND
	ds_read_u16 v32, v12 offset:4
	v_mul_f32_e32 v21, v21, v22
	v_fmac_f32_e32 v21, v20, v19
	s_waitcnt lgkmcnt(0)
	;;#ASMSTART
	v_cvt_f32_f16 v32, v32;
	;;#ASMEND
	s_waitcnt vmcnt(11)
	;;#ASMSTART
	v_cvt_f32_f16 v23, v23;
	;;#ASMEND
	ds_read_u16 v36, v12 offset:6
	v_fmac_f32_e32 v21, v32, v23
	s_waitcnt lgkmcnt(0)
	;;#ASMSTART
	v_cvt_f32_f16 v36, v36;
	;;#ASMEND
	s_waitcnt vmcnt(10)
	;;#ASMSTART
	v_cvt_f32_f16 v24, v24;
	;;#ASMEND
	ds_read_u16 v37, v12 offset:8
	;; [unrolled: 10-line block ×10, first 2 shown]
	v_fmac_f32_e32 v21, v19, v20
	v_cndmask_b32_e64 v44, v10, v15, s[0:1]
	s_waitcnt lgkmcnt(0)
	;;#ASMSTART
	v_cvt_f32_f16 v23, v23;
	;;#ASMEND
	s_waitcnt vmcnt(1)
	;;#ASMSTART
	v_cvt_f32_f16 v24, v34;
	;;#ASMEND
	v_lshlrev_b32_e32 v44, 2, v44
	v_fmac_f32_e32 v21, v23, v24
	ds_read_u16 v25, v12 offset:26
	s_waitcnt lgkmcnt(0)
	;;#ASMSTART
	v_cvt_f32_f16 v19, v25;
	;;#ASMEND
	s_waitcnt vmcnt(0)
	;;#ASMSTART
	v_cvt_f32_f16 v20, v35;
	;;#ASMEND
	v_cmp_lt_i32_e64 s[0:1], v16, v11
	v_fmac_f32_e32 v21, v19, v20
	ds_bpermute_b32 v19, v44, v21
	v_cndmask_b32_e64 v20, v10, v16, s[0:1]
	v_lshlrev_b32_e32 v20, 2, v20
	v_cmp_lt_i32_e64 s[0:1], v17, v11
	s_waitcnt lgkmcnt(0)
	v_add_f32_e32 v19, v21, v19
	ds_bpermute_b32 v20, v20, v19
	v_cndmask_b32_e64 v21, v10, v17, s[0:1]
	s_waitcnt lgkmcnt(0)
	v_add_f32_e32 v19, v19, v20
	v_lshlrev_b32_e32 v20, 2, v21
	ds_bpermute_b32 v20, v20, v19
	s_and_saveexec_b64 s[40:41], vcc
	s_cbranch_execz .LBB85_9
; %bb.11:                               ;   in Loop: Header=BB85_10 Depth=1
	v_add_u32_e32 v21, s19, v13
	v_cvt_f32_i32_e32 v21, v21
	s_waitcnt lgkmcnt(0)
	v_add_f32_e32 v19, v19, v20
	v_cmp_gt_i32_e64 s[0:1], s27, v13
	v_max_f32_e32 v20, v7, v7
	v_mul_f32_e32 v21, s43, v21
	v_cndmask_b32_e64 v21, 0, v21, s[8:9]
	v_fmac_f32_e32 v21, s13, v19
	v_cndmask_b32_e64 v19, 0, v21, s[0:1]
	ds_write_b32 v14, v19
	v_max_f32_e32 v19, v20, v21
	v_cndmask_b32_e64 v7, v7, v19, s[0:1]
	s_branch .LBB85_9
.LBB85_12:
	s_or_b64 exec, exec, s[38:39]
.LBB85_13:
	s_or_b64 exec, exec, s[36:37]
	v_xor_b32_e32 v2, 32, v10
	v_cmp_lt_i32_e32 vcc, v2, v11
	v_xor_b32_e32 v5, 16, v10
	v_max_f32_e32 v4, v7, v7
	v_cndmask_b32_e32 v2, v10, v2, vcc
	v_lshlrev_b32_e32 v3, 2, v2
	ds_bpermute_b32 v2, v3, v7
	v_cmp_lt_i32_e32 vcc, v5, v11
	v_and_b32_e32 v7, 63, v0
	s_waitcnt lgkmcnt(0)
	v_max_f32_e32 v2, v2, v2
	v_max_f32_e32 v2, v4, v2
	v_cndmask_b32_e32 v4, v10, v5, vcc
	v_lshlrev_b32_e32 v12, 2, v4
	ds_bpermute_b32 v4, v12, v2
	v_xor_b32_e32 v5, 8, v10
	v_cmp_lt_i32_e32 vcc, v5, v11
	s_waitcnt lgkmcnt(0)
	v_max_f32_e32 v4, v4, v4
	v_max_f32_e32 v4, v2, v4
	v_cndmask_b32_e32 v2, v10, v5, vcc
	v_lshlrev_b32_e32 v13, 2, v2
	ds_bpermute_b32 v5, v13, v4
	v_cmp_eq_u32_e32 vcc, 0, v7
	v_lshlrev_b32_e32 v2, 2, v1
	s_and_saveexec_b64 s[0:1], vcc
	s_cbranch_execz .LBB85_15
; %bb.14:
	s_waitcnt lgkmcnt(0)
	v_max_f32_e32 v5, v5, v5
	v_max_f32_e32 v4, v4, v4
	;; [unrolled: 1-line block ×3, first 2 shown]
	ds_write_b32 v2, v4 offset:224
.LBB85_15:
	s_or_b64 exec, exec, s[0:1]
	v_cmp_gt_u32_e64 s[0:1], 2, v7
	v_mov_b32_e32 v4, 0xff7fffff
	s_waitcnt lgkmcnt(0)
	v_lshlrev_b32_e32 v5, 2, v7
	s_barrier
	s_and_saveexec_b64 s[8:9], s[0:1]
	s_cbranch_execz .LBB85_17
; %bb.16:
	ds_read_b32 v4, v5 offset:224
.LBB85_17:
	s_or_b64 exec, exec, s[8:9]
	v_xor_b32_e32 v14, 1, v10
	v_cmp_lt_i32_e64 s[8:9], v14, v11
	v_mov_b32_e32 v16, 0
	s_nop 0
	v_cndmask_b32_e64 v14, v10, v14, s[8:9]
	v_lshlrev_b32_e32 v14, 2, v14
	s_waitcnt lgkmcnt(0)
	ds_bpermute_b32 v15, v14, v4
	v_max_f32_e32 v4, v4, v4
	s_sub_i32 s8, s33, s12
	s_lshl_b32 s8, s8, 3
	s_add_i32 s8, s8, s42
	s_waitcnt lgkmcnt(0)
	v_max_f32_e32 v15, v15, v15
	v_max_f32_e32 v4, v4, v15
	v_lshlrev_b32_e32 v15, 2, v10
	v_and_b32_e32 v15, 0xffffff00, v15
	ds_bpermute_b32 v4, v15, v4
	s_min_i32 s19, s8, s27
	s_sub_i32 s16, s19, s42
	v_cmp_gt_i32_e64 s[8:9], s16, v0
	s_and_saveexec_b64 s[36:37], s[8:9]
	s_cbranch_execz .LBB85_21
; %bb.18:
	v_mov_b32_e32 v16, 0xf0
	v_lshl_add_u32 v17, v0, 2, v16
	s_mov_b64 s[38:39], 0
	v_mov_b32_e32 v16, 0
	v_mov_b32_e32 v18, v0
.LBB85_19:                              ; =>This Inner Loop Header: Depth=1
	ds_read_b32 v19, v17
	v_add_u32_e32 v18, 0x80, v18
	v_cmp_le_i32_e64 s[12:13], s16, v18
	s_or_b64 s[38:39], s[12:13], s[38:39]
	s_waitcnt lgkmcnt(0)
	v_sub_f32_e32 v19, v19, v4
	v_mul_f32_e32 v19, 0x3fb8aa3b, v19
	v_exp_f32_e32 v19, v19
	ds_write_b32 v17, v19
	v_add_f32_e32 v16, v16, v19
	v_add_u32_e32 v17, 0x200, v17
	s_andn2_b64 exec, exec, s[38:39]
	s_cbranch_execnz .LBB85_19
; %bb.20:
	s_or_b64 exec, exec, s[38:39]
.LBB85_21:
	s_or_b64 exec, exec, s[36:37]
	ds_bpermute_b32 v3, v3, v16
	s_waitcnt lgkmcnt(0)
	v_add_f32_e32 v3, v16, v3
	ds_bpermute_b32 v12, v12, v3
	s_waitcnt lgkmcnt(0)
	v_add_f32_e32 v3, v3, v12
	ds_bpermute_b32 v12, v13, v3
	v_xor_b32_e32 v13, 4, v10
	v_cmp_lt_i32_e64 s[12:13], v13, v11
	s_waitcnt lgkmcnt(0)
	v_add_f32_e32 v3, v3, v12
	v_cndmask_b32_e64 v13, v10, v13, s[12:13]
	v_lshlrev_b32_e32 v13, 2, v13
	ds_bpermute_b32 v12, v13, v3
	v_xor_b32_e32 v13, 2, v10
	v_cmp_lt_i32_e64 s[12:13], v13, v11
	s_waitcnt lgkmcnt(0)
	v_add_f32_e32 v3, v3, v12
	v_cndmask_b32_e64 v10, v10, v13, s[12:13]
	v_lshlrev_b32_e32 v10, 2, v10
	ds_bpermute_b32 v10, v10, v3
	s_waitcnt lgkmcnt(0)
	v_add_f32_e32 v3, v3, v10
	ds_bpermute_b32 v10, v14, v3
	s_waitcnt lgkmcnt(0)
	v_add_f32_e32 v3, v3, v10
	s_and_saveexec_b64 s[12:13], vcc
	s_cbranch_execz .LBB85_23
; %bb.22:
	ds_write_b32 v2, v3 offset:232
.LBB85_23:
	s_or_b64 exec, exec, s[12:13]
	s_waitcnt lgkmcnt(0)
	s_barrier
	s_and_saveexec_b64 s[12:13], s[0:1]
	s_cbranch_execz .LBB85_25
; %bb.24:
	ds_read_b32 v3, v5 offset:232
.LBB85_25:
	s_or_b64 exec, exec, s[12:13]
	s_waitcnt lgkmcnt(0)
	ds_bpermute_b32 v2, v14, v3
	s_waitcnt lgkmcnt(0)
	v_add_f32_e32 v2, v3, v2
	ds_bpermute_b32 v5, v15, v2
	s_and_saveexec_b64 s[0:1], s[8:9]
	s_cbranch_execz .LBB85_38
; %bb.26:
	s_waitcnt lgkmcnt(0)
	v_add_f32_e32 v2, 0x358637bd, v5
	v_div_scale_f32 v3, s[8:9], v2, v2, 1.0
	v_rcp_f32_e32 v10, v3
	v_div_scale_f32 v11, vcc, 1.0, v2, 1.0
	s_movk_i32 s8, 0x7f
	v_fma_f32 v12, -v3, v10, 1.0
	v_fmac_f32_e32 v10, v12, v10
	v_mul_f32_e32 v12, v11, v10
	v_fma_f32 v13, -v3, v12, v11
	v_fmac_f32_e32 v12, v13, v10
	v_fma_f32 v3, -v3, v12, v11
	v_div_fmas_f32 v3, v3, v10, v12
	v_div_fixup_f32 v2, v3, v2, 1.0
	v_xad_u32 v3, v0, -1, s19
	v_subrev_u32_e32 v10, s42, v3
	v_cmp_lt_u32_e32 vcc, s8, v10
	s_mov_b64 s[12:13], -1
	v_mov_b32_e32 v3, v0
	s_and_saveexec_b64 s[8:9], vcc
	s_cbranch_execz .LBB85_35
; %bb.27:
	v_lshrrev_b32_e32 v10, 7, v10
	v_add_u32_e32 v12, -1, v10
	v_lshrrev_b32_e32 v11, 1, v12
	v_mov_b32_e32 v3, v2
	v_add_u32_e32 v11, 1, v11
	v_cmp_lt_u32_e32 vcc, 13, v12
	v_mov_b32_e32 v14, 0
	s_and_saveexec_b64 s[12:13], vcc
	s_cbranch_execz .LBB85_31
; %bb.28:
	v_mov_b32_e32 v13, 0xf0
	v_and_b32_e32 v12, -8, v11
	v_lshl_add_u32 v13, v0, 2, v13
	s_mov_b32 s19, 0
	s_mov_b64 s[36:37], 0
.LBB85_29:                              ; =>This Inner Loop Header: Depth=1
	ds_read2st64_b32 v[14:15], v13 offset1:2
	ds_read2st64_b32 v[16:17], v13 offset0:4 offset1:6
	ds_read2st64_b32 v[18:19], v13 offset0:8 offset1:10
	;; [unrolled: 1-line block ×3, first 2 shown]
	v_add_u32_e32 v12, -8, v12
	s_waitcnt lgkmcnt(3)
	v_pk_mul_f32 v[14:15], v[2:3], v[14:15]
	s_waitcnt lgkmcnt(2)
	v_pk_mul_f32 v[16:17], v[2:3], v[16:17]
	ds_write2st64_b32 v13, v14, v15 offset1:2
	ds_write2st64_b32 v13, v16, v17 offset0:4 offset1:6
	ds_read2st64_b32 v[16:17], v13 offset0:16 offset1:18
	s_waitcnt lgkmcnt(4)
	v_pk_mul_f32 v[14:15], v[2:3], v[18:19]
	ds_write2st64_b32 v13, v14, v15 offset0:8 offset1:10
	s_waitcnt lgkmcnt(4)
	v_pk_mul_f32 v[14:15], v[2:3], v[20:21]
	ds_write2st64_b32 v13, v14, v15 offset0:12 offset1:14
	ds_read2st64_b32 v[14:15], v13 offset0:20 offset1:22
	s_waitcnt lgkmcnt(3)
	v_pk_mul_f32 v[16:17], v[2:3], v[16:17]
	ds_read2st64_b32 v[18:19], v13 offset0:24 offset1:26
	ds_write2st64_b32 v13, v16, v17 offset0:16 offset1:18
	ds_read2st64_b32 v[16:17], v13 offset0:28 offset1:30
	s_waitcnt lgkmcnt(3)
	v_pk_mul_f32 v[14:15], v[2:3], v[14:15]
	ds_write2st64_b32 v13, v14, v15 offset0:20 offset1:22
	s_waitcnt lgkmcnt(3)
	v_pk_mul_f32 v[14:15], v[2:3], v[18:19]
	ds_write2st64_b32 v13, v14, v15 offset0:24 offset1:26
	s_waitcnt lgkmcnt(2)
	v_pk_mul_f32 v[14:15], v[2:3], v[16:17]
	s_add_i32 s19, s19, 16
	v_cmp_eq_u32_e32 vcc, 0, v12
	ds_write2st64_b32 v13, v14, v15 offset0:28 offset1:30
	v_add_u32_e32 v13, 0x2000, v13
	s_or_b64 s[36:37], vcc, s[36:37]
	v_mov_b32_e32 v14, s19
	s_andn2_b64 exec, exec, s[36:37]
	s_cbranch_execnz .LBB85_29
; %bb.30:
	s_or_b64 exec, exec, s[36:37]
.LBB85_31:
	s_or_b64 exec, exec, s[12:13]
	v_and_b32_e32 v11, 7, v11
	v_cmp_ne_u32_e32 vcc, 0, v11
	s_and_saveexec_b64 s[12:13], vcc
	s_cbranch_execz .LBB85_34
; %bb.32:
	v_lshlrev_b32_e32 v12, 9, v14
	v_lshlrev_b32_e32 v13, 2, v0
	s_movk_i32 s19, 0xf0
	v_add3_u32 v12, v12, v13, s19
	s_mov_b64 s[36:37], 0
.LBB85_33:                              ; =>This Inner Loop Header: Depth=1
	ds_read2st64_b32 v[14:15], v12 offset1:2
	v_add_u32_e32 v11, -1, v11
	v_cmp_eq_u32_e32 vcc, 0, v11
	s_or_b64 s[36:37], vcc, s[36:37]
	s_waitcnt lgkmcnt(0)
	v_pk_mul_f32 v[14:15], v[2:3], v[14:15]
	ds_write2st64_b32 v12, v14, v15 offset1:2
	v_add_u32_e32 v12, 0x400, v12
	s_andn2_b64 exec, exec, s[36:37]
	s_cbranch_execnz .LBB85_33
.LBB85_34:
	s_or_b64 exec, exec, s[12:13]
	v_add_u32_e32 v10, 1, v10
	v_and_b32_e32 v11, 0x3fffffe, v10
	v_cmp_ne_u32_e32 vcc, v10, v11
	v_lshl_add_u32 v3, v11, 7, v0
	s_orn2_b64 s[12:13], vcc, exec
.LBB85_35:
	s_or_b64 exec, exec, s[8:9]
	s_and_b64 exec, exec, s[12:13]
	s_cbranch_execz .LBB85_38
; %bb.36:
	v_mov_b32_e32 v10, 0xf0
	v_lshl_add_u32 v10, v3, 2, v10
	s_mov_b64 s[8:9], 0
.LBB85_37:                              ; =>This Inner Loop Header: Depth=1
	ds_read_b32 v11, v10
	v_add_u32_e32 v3, 0x80, v3
	v_cmp_le_i32_e32 vcc, s16, v3
	s_or_b64 s[8:9], vcc, s[8:9]
	s_waitcnt lgkmcnt(0)
	v_mul_f32_e32 v11, v2, v11
	ds_write_b32 v10, v11
	v_add_u32_e32 v10, 0x200, v10
	s_andn2_b64 exec, exec, s[8:9]
	s_cbranch_execnz .LBB85_37
.LBB85_38:
	s_or_b64 exec, exec, s[0:1]
	s_mul_i32 s0, s15, s26
	v_cmp_eq_u32_e32 vcc, 0, v0
	s_mul_i32 s8, s0, s5
	s_waitcnt lgkmcnt(0)
	s_barrier
	s_and_saveexec_b64 s[0:1], vcc
	s_cbranch_execz .LBB85_40
; %bb.39:
	s_ashr_i32 s9, s8, 31
	s_lshl_b64 s[12:13], s[8:9], 2
	s_add_u32 s5, s22, s12
	s_mul_i32 s22, s15, s2
	s_addc_u32 s9, s23, s13
	s_ashr_i32 s23, s22, 31
	s_lshl_b64 s[22:23], s[22:23], 2
	s_add_u32 s2, s5, s22
	s_addc_u32 s9, s9, s23
	s_ashr_i32 s5, s4, 31
	s_lshl_b64 s[36:37], s[4:5], 2
	s_add_u32 s38, s2, s36
	s_addc_u32 s39, s9, s37
	s_add_u32 s2, s20, s12
	s_addc_u32 s5, s21, s13
	;; [unrolled: 2-line block ×3, first 2 shown]
	s_add_u32 s12, s2, s36
	v_mov_b32_e32 v2, 0
	s_addc_u32 s13, s5, s37
	global_store_dword v2, v4, s[38:39]
	global_store_dword v2, v5, s[12:13]
.LBB85_40:
	s_or_b64 exec, exec, s[0:1]
	v_mov_b32_e32 v19, 0
	v_mov_b32_e32 v18, 0
	s_and_saveexec_b64 s[12:13], s[6:7]
	s_cbranch_execz .LBB85_50
; %bb.41:
	s_ashr_i32 s19, s18, 31
	s_lshl_b64 s[0:1], s[18:19], 1
	s_add_u32 s6, s34, s0
	v_or_b32_e32 v3, 64, v7
	s_movk_i32 s0, 0x70
	s_addc_u32 s7, s35, s1
	s_add_i32 s9, s3, -1
	v_cmp_gt_u32_e32 vcc, s0, v3
	s_lshl_b64 s[0:1], s[30:31], 2
	s_add_u32 s0, s28, s0
	v_lshlrev_b32_e32 v2, 3, v7
	v_mov_b32_e32 v11, 0
	v_lshlrev_b32_e32 v4, 3, v3
	v_mov_b32_e32 v3, 0xf0
	s_addc_u32 s1, s29, s1
	s_mov_b32 s5, s17
	s_mov_b32 s20, s27
	;; [unrolled: 1-line block ×8, first 2 shown]
	v_lshl_add_u32 v20, v1, 3, s42
	v_lshl_add_u32 v1, v1, 5, v3
	v_lshl_add_u64 v[12:13], v[8:9], 2, s[0:1]
	s_mov_b64 s[16:17], 0
	v_lshlrev_b32_e32 v14, 1, v2
	v_mov_b32_e32 v15, v11
	s_mov_b32 s28, 0x5040100
	v_lshlrev_b32_e32 v10, 1, v4
	v_mov_b32_e32 v18, v11
	v_mov_b32_e32 v19, v11
	s_branch .LBB85_44
.LBB85_42:                              ;   in Loop: Header=BB85_44 Depth=1
	s_or_b64 exec, exec, s[18:19]
	s_waitcnt vmcnt(0)
	;;#ASMSTART
	v_pk_mul_f16 v2, v25, v2;

	;;#ASMEND
	;;#ASMSTART
	v_pk_mul_f16 v3, v24, v3;

	;;#ASMEND
	;; [unrolled: 4-line block ×4, first 2 shown]
	s_nop 0
	;;#ASMSTART
	v_pk_add_f16 v2, v2, v3;

	;;#ASMEND
	s_nop 0
	;;#ASMSTART
	v_pk_add_f16 v2, v2, v4;

	;;#ASMEND
	;; [unrolled: 5-line block ×3, first 2 shown]
	s_nop 0
	v_lshrrev_b32_e32 v3, 16, v2
	v_and_b32_e32 v2, 0xffff, v2
	;;#ASMSTART
	v_cvt_f32_f16 v2, v2;
	;;#ASMEND
	;;#ASMSTART
	v_cvt_f32_f16 v3, v3;
	;;#ASMEND
	s_nop 0
	v_add_f32_e32 v2, v2, v3
	v_add_f32_e32 v18, v18, v2
.LBB85_43:                              ;   in Loop: Header=BB85_44 Depth=1
	s_or_b64 exec, exec, s[2:3]
	v_add_u32_e32 v8, 2, v8
	v_add_f32_e32 v2, v9, v21
	v_cmp_le_i32_e64 s[0:1], s33, v8
	v_add_f32_e32 v19, v19, v2
	v_add_u32_e32 v20, 16, v20
	v_add_u32_e32 v1, 64, v1
	s_or_b64 s[16:17], s[0:1], s[16:17]
	v_lshl_add_u64 v[12:13], v[12:13], 0, 8
	s_andn2_b64 exec, exec, s[16:17]
	s_cbranch_execz .LBB85_49
.LBB85_44:                              ; =>This Inner Loop Header: Depth=1
	global_load_dword v16, v[12:13], off
	ds_read2_b64 v[2:5], v1 offset1:1
	ds_read2_b64 v[26:29], v1 offset0:2 offset1:3
	s_waitcnt lgkmcnt(1)
	;;#ASMSTART
	v_cvt_f16_f32 v9, v2;

	;;#ASMEND
	;;#ASMSTART
	v_cvt_f16_f32 v21, v3;

	;;#ASMEND
	;; [unrolled: 4-line block ×4, first 2 shown]
	s_waitcnt lgkmcnt(0)
	;;#ASMSTART
	v_cvt_f16_f32 v26, v26;

	;;#ASMEND
	;;#ASMSTART
	v_cvt_f16_f32 v27, v27;

	;;#ASMEND
	;; [unrolled: 4-line block ×4, first 2 shown]
	s_waitcnt vmcnt(0)
	v_mad_i64_i32 v[2:3], s[0:1], v16, s5, 0
	v_lshl_add_u64 v[16:17], v[2:3], 1, s[6:7]
	v_lshl_add_u64 v[2:3], v[16:17], 0, v[14:15]
	global_load_dwordx4 v[2:5], v[2:3], off
	v_cmp_eq_u32_e64 s[0:1], s9, v8
	s_and_saveexec_b64 s[18:19], s[0:1]
	s_cbranch_execz .LBB85_46
; %bb.45:                               ;   in Loop: Header=BB85_44 Depth=1
	v_or_b32_e32 v33, 7, v20
	v_or_b32_e32 v34, 6, v20
	s_waitcnt vmcnt(0)
	v_lshrrev_b32_e32 v35, 16, v5
	v_cmp_gt_i32_e64 s[2:3], s35, v33
	v_or_b32_e32 v31, 5, v20
	v_or_b32_e32 v32, 4, v20
	v_cndmask_b32_e64 v33, 0, v35, s[2:3]
	v_cmp_gt_i32_e64 s[2:3], s34, v34
	v_or_b32_e32 v25, 3, v20
	v_or_b32_e32 v30, 2, v20
	v_cndmask_b32_e64 v5, 0, v5, s[2:3]
	v_perm_b32 v5, v33, v5, s28
	v_lshrrev_b32_e32 v33, 16, v4
	v_cmp_gt_i32_e64 s[2:3], s26, v31
	v_add_u32_e32 v24, 1, v20
	s_nop 0
	v_cndmask_b32_e64 v31, 0, v33, s[2:3]
	v_cmp_gt_i32_e64 s[2:3], s23, v32
	s_nop 1
	v_cndmask_b32_e64 v4, 0, v4, s[2:3]
	v_perm_b32 v4, v31, v4, s28
	v_lshrrev_b32_e32 v31, 16, v3
	v_cmp_gt_i32_e64 s[2:3], s22, v25
	s_nop 1
	v_cndmask_b32_e64 v25, 0, v31, s[2:3]
	v_cmp_gt_i32_e64 s[2:3], s21, v30
	s_nop 1
	v_cndmask_b32_e64 v3, 0, v3, s[2:3]
	v_perm_b32 v3, v25, v3, s28
	v_lshrrev_b32_e32 v25, 16, v2
	v_cmp_gt_i32_e64 s[2:3], s20, v24
	s_nop 1
	v_cndmask_b32_e64 v24, 0, v25, s[2:3]
	v_cmp_gt_i32_e64 s[2:3], s27, v20
	s_nop 1
	v_cndmask_b32_e64 v2, 0, v2, s[2:3]
	v_perm_b32 v2, v24, v2, s28
.LBB85_46:                              ;   in Loop: Header=BB85_44 Depth=1
	s_or_b64 exec, exec, s[18:19]
	v_and_b32_e32 v9, 0xffff, v9
	v_lshl_or_b32 v25, v21, 16, v9
	v_and_b32_e32 v9, 0xffff, v22
	v_lshl_or_b32 v24, v23, 16, v9
	;; [unrolled: 2-line block ×3, first 2 shown]
	v_and_b32_e32 v9, 0xffff, v28
	s_waitcnt vmcnt(0)
	;;#ASMSTART
	v_pk_mul_f16 v2, v25, v2;

	;;#ASMEND
	v_lshl_or_b32 v22, v29, 16, v9
	;;#ASMSTART
	v_pk_mul_f16 v3, v24, v3;

	;;#ASMEND
	;;#ASMSTART
	v_pk_mul_f16 v4, v23, v4;

	;;#ASMEND
	;; [unrolled: 4-line block ×3, first 2 shown]
	s_nop 0
	;;#ASMSTART
	v_pk_add_f16 v2, v2, v3;

	;;#ASMEND
	s_nop 0
	;;#ASMSTART
	v_pk_add_f16 v2, v2, v4;

	;;#ASMEND
	;; [unrolled: 5-line block ×3, first 2 shown]
	s_nop 0
	v_lshrrev_b32_e32 v3, 16, v2
	v_and_b32_e32 v2, 0xffff, v2
	;;#ASMSTART
	v_cvt_f32_f16 v9, v2;
	;;#ASMEND
	;;#ASMSTART
	v_cvt_f32_f16 v21, v3;
	;;#ASMEND
	s_and_saveexec_b64 s[2:3], vcc
	s_cbranch_execz .LBB85_43
; %bb.47:                               ;   in Loop: Header=BB85_44 Depth=1
	v_lshl_add_u64 v[2:3], v[16:17], 0, v[10:11]
	global_load_dwordx4 v[2:5], v[2:3], off
	s_and_saveexec_b64 s[18:19], s[0:1]
	s_cbranch_execz .LBB85_42
; %bb.48:                               ;   in Loop: Header=BB85_44 Depth=1
	v_or_b32_e32 v29, 7, v20
	v_or_b32_e32 v30, 6, v20
	s_waitcnt vmcnt(0)
	v_lshrrev_b32_e32 v31, 16, v5
	v_cmp_gt_i32_e64 s[0:1], s35, v29
	v_or_b32_e32 v27, 5, v20
	v_or_b32_e32 v28, 4, v20
	v_cndmask_b32_e64 v29, 0, v31, s[0:1]
	v_cmp_gt_i32_e64 s[0:1], s34, v30
	v_or_b32_e32 v17, 3, v20
	v_or_b32_e32 v26, 2, v20
	v_cndmask_b32_e64 v5, 0, v5, s[0:1]
	v_perm_b32 v5, v29, v5, s28
	v_lshrrev_b32_e32 v29, 16, v4
	v_cmp_gt_i32_e64 s[0:1], s26, v27
	v_add_u32_e32 v16, 1, v20
	s_nop 0
	v_cndmask_b32_e64 v27, 0, v29, s[0:1]
	v_cmp_gt_i32_e64 s[0:1], s23, v28
	s_nop 1
	v_cndmask_b32_e64 v4, 0, v4, s[0:1]
	v_perm_b32 v4, v27, v4, s28
	v_lshrrev_b32_e32 v27, 16, v3
	v_cmp_gt_i32_e64 s[0:1], s22, v17
	s_nop 1
	v_cndmask_b32_e64 v17, 0, v27, s[0:1]
	v_cmp_gt_i32_e64 s[0:1], s21, v26
	s_nop 1
	v_cndmask_b32_e64 v3, 0, v3, s[0:1]
	v_perm_b32 v3, v17, v3, s28
	v_lshrrev_b32_e32 v17, 16, v2
	v_cmp_gt_i32_e64 s[0:1], s20, v16
	s_nop 1
	v_cndmask_b32_e64 v16, 0, v17, s[0:1]
	v_cmp_gt_i32_e64 s[0:1], s27, v20
	s_nop 1
	v_cndmask_b32_e64 v2, 0, v2, s[0:1]
	v_perm_b32 v2, v16, v2, s28
	s_branch .LBB85_42
.LBB85_49:
	s_or_b64 exec, exec, s[16:17]
.LBB85_50:
	s_or_b64 exec, exec, s[12:13]
	v_and_b32_e32 v1, 0x3c0, v0
	v_cmp_eq_u32_e32 vcc, 64, v1
	s_barrier
	s_and_saveexec_b64 s[0:1], vcc
	s_cbranch_execz .LBB85_53
; %bb.51:
	v_mov_b32_e32 v1, 0xf0
	v_lshl_add_u32 v2, v7, 2, v1
	ds_write_b32 v2, v19
	s_and_b64 exec, exec, s[10:11]
	s_cbranch_execz .LBB85_53
; %bb.52:
	v_lshl_add_u32 v1, v0, 2, v1
	ds_write_b32 v1, v18
.LBB85_53:
	s_or_b64 exec, exec, s[0:1]
	v_cmp_gt_u32_e32 vcc, 64, v0
	v_or_b32_e32 v1, 64, v0
	s_waitcnt lgkmcnt(0)
	s_barrier
	s_and_saveexec_b64 s[2:3], vcc
	s_cbranch_execz .LBB85_57
; %bb.54:
	v_mov_b32_e32 v2, 0xf0
	v_lshl_add_u32 v2, v0, 2, v2
	ds_read_b32 v0, v2
	s_movk_i32 s0, 0x70
	v_cmp_gt_u32_e64 s[0:1], s0, v1
	s_and_saveexec_b64 s[6:7], s[0:1]
	s_cbranch_execz .LBB85_56
; %bb.55:
	ds_read_b32 v2, v2 offset:256
	s_waitcnt lgkmcnt(0)
	v_add_f32_e32 v18, v18, v2
.LBB85_56:
	s_or_b64 exec, exec, s[6:7]
	s_waitcnt lgkmcnt(0)
	v_add_f32_e32 v19, v19, v0
.LBB85_57:
	s_or_b64 exec, exec, s[2:3]
	s_barrier
	s_and_saveexec_b64 s[0:1], vcc
	s_cbranch_execz .LBB85_60
; %bb.58:
	s_mul_i32 s0, s8, 0x70
	s_ashr_i32 s1, s0, 31
	s_lshl_b64 s[0:1], s[0:1], 1
	s_add_u32 s3, s24, s0
	s_mul_i32 s0, s15, s14
	s_addc_u32 s5, s25, s1
	s_ashr_i32 s1, s0, 31
	s_lshl_b64 s[0:1], s[0:1], 1
	s_add_u32 s3, s3, s0
	s_mul_i32 s0, s4, 0x70
	s_addc_u32 s5, s5, s1
	s_ashr_i32 s1, s0, 31
	s_lshl_b64 s[0:1], s[0:1], 1
	s_movk_i32 s2, 0x70
	s_add_u32 s0, s3, s0
	s_addc_u32 s1, s5, s1
	v_cmp_gt_u32_e32 vcc, s2, v1
	;;#ASMSTART
	v_cvt_f16_f32 v0, v19;

	;;#ASMEND
	global_store_short v6, v0, s[0:1]
	s_and_b64 exec, exec, vcc
	s_cbranch_execz .LBB85_60
; %bb.59:
	v_mov_b32_e32 v7, 0
	v_lshl_add_u64 v[0:1], s[0:1], 0, v[6:7]
	;;#ASMSTART
	v_cvt_f16_f32 v2, v18;

	;;#ASMEND
	global_store_short v[0:1], v2, off offset:128
.LBB85_60:
	s_endpgm
	.section	.rodata,"a",@progbits
	.p2align	6, 0x0
	.amdhsa_kernel _ZN4vllm25paged_attention_v2_kernelIttLi112ELi8ELi128ELNS_18Fp8KVCacheDataTypeE0ELb0ELi512EEEvPfS2_PT_PKS3_PKT0_S9_ifPKiSB_iPKfiiiSD_SD_iiiii
		.amdhsa_group_segment_fixed_size 240
		.amdhsa_private_segment_fixed_size 0
		.amdhsa_kernarg_size 400
		.amdhsa_user_sgpr_count 2
		.amdhsa_user_sgpr_dispatch_ptr 0
		.amdhsa_user_sgpr_queue_ptr 0
		.amdhsa_user_sgpr_kernarg_segment_ptr 1
		.amdhsa_user_sgpr_dispatch_id 0
		.amdhsa_user_sgpr_kernarg_preload_length 0
		.amdhsa_user_sgpr_kernarg_preload_offset 0
		.amdhsa_user_sgpr_private_segment_size 0
		.amdhsa_uses_dynamic_stack 0
		.amdhsa_enable_private_segment 0
		.amdhsa_system_sgpr_workgroup_id_x 1
		.amdhsa_system_sgpr_workgroup_id_y 1
		.amdhsa_system_sgpr_workgroup_id_z 1
		.amdhsa_system_sgpr_workgroup_info 0
		.amdhsa_system_vgpr_workitem_id 0
		.amdhsa_next_free_vgpr 45
		.amdhsa_next_free_sgpr 44
		.amdhsa_accum_offset 48
		.amdhsa_reserve_vcc 1
		.amdhsa_float_round_mode_32 0
		.amdhsa_float_round_mode_16_64 0
		.amdhsa_float_denorm_mode_32 3
		.amdhsa_float_denorm_mode_16_64 3
		.amdhsa_dx10_clamp 1
		.amdhsa_ieee_mode 1
		.amdhsa_fp16_overflow 0
		.amdhsa_tg_split 0
		.amdhsa_exception_fp_ieee_invalid_op 0
		.amdhsa_exception_fp_denorm_src 0
		.amdhsa_exception_fp_ieee_div_zero 0
		.amdhsa_exception_fp_ieee_overflow 0
		.amdhsa_exception_fp_ieee_underflow 0
		.amdhsa_exception_fp_ieee_inexact 0
		.amdhsa_exception_int_div_zero 0
	.end_amdhsa_kernel
	.section	.text._ZN4vllm25paged_attention_v2_kernelIttLi112ELi8ELi128ELNS_18Fp8KVCacheDataTypeE0ELb0ELi512EEEvPfS2_PT_PKS3_PKT0_S9_ifPKiSB_iPKfiiiSD_SD_iiiii,"axG",@progbits,_ZN4vllm25paged_attention_v2_kernelIttLi112ELi8ELi128ELNS_18Fp8KVCacheDataTypeE0ELb0ELi512EEEvPfS2_PT_PKS3_PKT0_S9_ifPKiSB_iPKfiiiSD_SD_iiiii,comdat
.Lfunc_end85:
	.size	_ZN4vllm25paged_attention_v2_kernelIttLi112ELi8ELi128ELNS_18Fp8KVCacheDataTypeE0ELb0ELi512EEEvPfS2_PT_PKS3_PKT0_S9_ifPKiSB_iPKfiiiSD_SD_iiiii, .Lfunc_end85-_ZN4vllm25paged_attention_v2_kernelIttLi112ELi8ELi128ELNS_18Fp8KVCacheDataTypeE0ELb0ELi512EEEvPfS2_PT_PKS3_PKT0_S9_ifPKiSB_iPKfiiiSD_SD_iiiii
                                        ; -- End function
	.section	.AMDGPU.csdata,"",@progbits
; Kernel info:
; codeLenInByte = 4692
; NumSgprs: 50
; NumVgprs: 45
; NumAgprs: 0
; TotalNumVgprs: 45
; ScratchSize: 0
; MemoryBound: 0
; FloatMode: 240
; IeeeMode: 1
; LDSByteSize: 240 bytes/workgroup (compile time only)
; SGPRBlocks: 6
; VGPRBlocks: 5
; NumSGPRsForWavesPerEU: 50
; NumVGPRsForWavesPerEU: 45
; AccumOffset: 48
; Occupancy: 8
; WaveLimiterHint : 1
; COMPUTE_PGM_RSRC2:SCRATCH_EN: 0
; COMPUTE_PGM_RSRC2:USER_SGPR: 2
; COMPUTE_PGM_RSRC2:TRAP_HANDLER: 0
; COMPUTE_PGM_RSRC2:TGID_X_EN: 1
; COMPUTE_PGM_RSRC2:TGID_Y_EN: 1
; COMPUTE_PGM_RSRC2:TGID_Z_EN: 1
; COMPUTE_PGM_RSRC2:TIDIG_COMP_CNT: 0
; COMPUTE_PGM_RSRC3_GFX90A:ACCUM_OFFSET: 11
; COMPUTE_PGM_RSRC3_GFX90A:TG_SPLIT: 0
	.section	.text._ZN4vllm25paged_attention_v2_kernelIttLi120ELi8ELi128ELNS_18Fp8KVCacheDataTypeE0ELb0ELi512EEEvPfS2_PT_PKS3_PKT0_S9_ifPKiSB_iPKfiiiSD_SD_iiiii,"axG",@progbits,_ZN4vllm25paged_attention_v2_kernelIttLi120ELi8ELi128ELNS_18Fp8KVCacheDataTypeE0ELb0ELi512EEEvPfS2_PT_PKS3_PKT0_S9_ifPKiSB_iPKfiiiSD_SD_iiiii,comdat
	.protected	_ZN4vllm25paged_attention_v2_kernelIttLi120ELi8ELi128ELNS_18Fp8KVCacheDataTypeE0ELb0ELi512EEEvPfS2_PT_PKS3_PKT0_S9_ifPKiSB_iPKfiiiSD_SD_iiiii ; -- Begin function _ZN4vllm25paged_attention_v2_kernelIttLi120ELi8ELi128ELNS_18Fp8KVCacheDataTypeE0ELb0ELi512EEEvPfS2_PT_PKS3_PKT0_S9_ifPKiSB_iPKfiiiSD_SD_iiiii
	.globl	_ZN4vllm25paged_attention_v2_kernelIttLi120ELi8ELi128ELNS_18Fp8KVCacheDataTypeE0ELb0ELi512EEEvPfS2_PT_PKS3_PKT0_S9_ifPKiSB_iPKfiiiSD_SD_iiiii
	.p2align	8
	.type	_ZN4vllm25paged_attention_v2_kernelIttLi120ELi8ELi128ELNS_18Fp8KVCacheDataTypeE0ELb0ELi512EEEvPfS2_PT_PKS3_PKT0_S9_ifPKiSB_iPKfiiiSD_SD_iiiii,@function
_ZN4vllm25paged_attention_v2_kernelIttLi120ELi8ELi128ELNS_18Fp8KVCacheDataTypeE0ELb0ELi512EEEvPfS2_PT_PKS3_PKT0_S9_ifPKiSB_iPKfiiiSD_SD_iiiii: ; @_ZN4vllm25paged_attention_v2_kernelIttLi120ELi8ELi128ELNS_18Fp8KVCacheDataTypeE0ELb0ELi512EEEvPfS2_PT_PKS3_PKT0_S9_ifPKiSB_iPKfiiiSD_SD_iiiii
; %bb.0:
	s_load_dwordx2 s[6:7], s[0:1], 0x40
	s_mov_b32 s26, s3
	s_ashr_i32 s27, s3, 31
	s_lshl_b64 s[8:9], s[26:27], 2
	s_waitcnt lgkmcnt(0)
	s_add_u32 s6, s6, s8
	s_addc_u32 s7, s7, s9
	s_load_dword s27, s[6:7], 0x0
	s_lshl_b32 s42, s4, 9
	s_waitcnt lgkmcnt(0)
	s_cmp_ge_i32 s42, s27
	s_cbranch_scc1 .LBB86_60
; %bb.1:
	s_load_dword s5, s[0:1], 0x90
	s_load_dwordx2 s[12:13], s[0:1], 0x30
	s_mov_b32 s43, 0
	s_waitcnt lgkmcnt(0)
	s_abs_i32 s7, s5
	s_abs_i32 s3, s12
	v_cvt_f32_u32_e32 v1, s3
	s_sub_i32 s8, 0, s3
	s_xor_b32 s6, s5, s12
	s_ashr_i32 s6, s6, 31
	v_rcp_iflag_f32_e32 v1, v1
	s_nop 0
	v_mul_f32_e32 v1, 0x4f7ffffe, v1
	v_cvt_u32_f32_e32 v1, v1
	s_nop 0
	v_readfirstlane_b32 s9, v1
	s_mul_i32 s8, s8, s9
	s_mul_hi_u32 s8, s9, s8
	s_add_i32 s9, s9, s8
	s_mul_hi_u32 s8, s7, s9
	s_mul_i32 s9, s8, s3
	s_sub_i32 s7, s7, s9
	s_add_i32 s10, s8, 1
	s_sub_i32 s9, s7, s3
	s_cmp_ge_u32 s7, s3
	s_cselect_b32 s8, s10, s8
	s_cselect_b32 s7, s9, s7
	s_add_i32 s9, s8, 1
	s_cmp_ge_u32 s7, s3
	s_cselect_b32 s3, s9, s8
	s_xor_b32 s3, s3, s6
	s_sub_i32 s10, s3, s6
	s_abs_i32 s8, s10
	v_cvt_f32_u32_e32 v1, s8
	s_load_dwordx2 s[6:7], s[0:1], 0x50
	s_sub_i32 s3, 0, s8
	s_abs_i32 s9, s2
	v_rcp_iflag_f32_e32 v1, v1
	s_nop 0
	v_mul_f32_e32 v1, 0x4f7ffffe, v1
	v_cvt_u32_f32_e32 v1, v1
	s_nop 0
	v_readfirstlane_b32 s11, v1
	s_mul_i32 s3, s3, s11
	s_mul_hi_u32 s3, s11, s3
	s_add_i32 s11, s11, s3
	s_waitcnt lgkmcnt(0)
	s_cmp_eq_u64 s[6:7], 0
	s_mul_hi_u32 s20, s9, s11
	s_cbranch_scc1 .LBB86_3
; %bb.2:
	s_ashr_i32 s3, s2, 31
	s_lshl_b64 s[14:15], s[2:3], 2
	s_add_u32 s6, s6, s14
	s_addc_u32 s7, s7, s15
	s_load_dword s43, s[6:7], 0x0
.LBB86_3:
	s_load_dwordx4 s[16:19], s[0:1], 0x58
	s_movk_i32 s3, 0x78
	s_ashr_i32 s21, s2, 31
	s_ashr_i32 s22, s10, 31
	v_and_b32_e32 v4, 7, v0
	s_mul_i32 s14, s2, 0x78
	v_cmp_gt_u32_e64 s[10:11], s3, v0
	v_lshlrev_b32_e32 v6, 1, v0
	s_and_saveexec_b64 s[6:7], s[10:11]
	s_cbranch_execz .LBB86_5
; %bb.4:
	s_load_dwordx2 s[24:25], s[0:1], 0x18
	s_waitcnt lgkmcnt(0)
	s_mul_i32 s28, s26, s16
	s_ashr_i32 s29, s28, 31
	s_lshl_b64 s[28:29], s[28:29], 1
	v_lshrrev_b32_e32 v2, 2, v0
	s_add_u32 s3, s24, s28
	s_addc_u32 s12, s25, s29
	s_ashr_i32 s15, s14, 31
	s_lshl_b64 s[24:25], s[14:15], 1
	s_add_u32 s24, s3, s24
	s_addc_u32 s25, s12, s25
	global_load_ushort v1, v6, s[24:25]
	v_and_b32_e32 v2, 0xfe, v2
	v_mad_u32_u24 v2, v4, 30, v2
	s_waitcnt vmcnt(0)
	ds_write_b16 v2, v1
.LBB86_5:
	s_or_b64 exec, exec, s[6:7]
	s_add_i32 s3, s27, 7
	s_ashr_i32 s6, s3, 31
	s_lshr_b32 s6, s6, 29
	s_add_i32 s3, s3, s6
	s_lshl_b32 s12, s4, 6
	s_mul_i32 s7, s20, s8
	s_ashr_i32 s3, s3, 3
	s_add_i32 s6, s12, 64
	s_sub_i32 s7, s9, s7
	s_min_i32 s33, s6, s3
	s_xor_b32 s6, s21, s22
	s_add_i32 s9, s20, 1
	s_sub_i32 s15, s7, s8
	s_cmp_ge_u32 s7, s8
	s_cselect_b32 s9, s9, s20
	s_cselect_b32 s7, s15, s7
	s_add_i32 s15, s9, 1
	s_cmp_ge_u32 s7, s8
	s_load_dwordx2 s[28:29], s[0:1], 0x38
	s_load_dword s8, s[0:1], 0x48
	v_lshrrev_b32_e32 v1, 6, v0
	s_cselect_b32 s7, s15, s9
	s_xor_b32 s7, s7, s6
	v_or_b32_e32 v8, s12, v1
	s_waitcnt lgkmcnt(0)
	s_mul_i32 s30, s26, s8
	s_sub_i32 s16, s7, s6
	s_ashr_i32 s31, s30, 31
	v_cmp_gt_i32_e64 s[6:7], s33, v8
	v_cmp_le_i32_e32 vcc, s33, v8
	v_mbcnt_lo_u32_b32 v15, -1, 0
	s_barrier
	s_waitcnt lgkmcnt(0)
                                        ; implicit-def: $sgpr19
                                        ; implicit-def: $vgpr10
                                        ; implicit-def: $vgpr11
	s_and_saveexec_b64 s[8:9], vcc
	s_xor_b64 s[8:9], exec, s[8:9]
; %bb.6:
	v_mbcnt_hi_u32_b32 v10, -1, v15
	v_and_b32_e32 v2, 64, v10
	v_add_u32_e32 v11, 64, v2
	s_mov_b32 s19, 0xff7fffff
                                        ; implicit-def: $vgpr4
                                        ; implicit-def: $vgpr15
; %bb.7:
	s_or_saveexec_b64 s[36:37], s[8:9]
	s_load_dwordx4 s[20:23], s[0:1], 0x0
	s_load_dwordx2 s[24:25], s[0:1], 0x10
	s_load_dwordx2 s[34:35], s[0:1], 0x28
	s_load_dword s15, s[0:1], 0x98
	v_mov_b32_e32 v7, s19
	s_mul_i32 s18, s16, s18
	v_ashrrev_i32_e32 v9, 31, v8
	s_xor_b64 exec, exec, s[36:37]
	s_cbranch_execz .LBB86_13
; %bb.8:
	s_load_dwordx2 s[0:1], s[0:1], 0x20
	s_ashr_i32 s19, s18, 31
	s_lshl_b64 s[8:9], s[18:19], 1
	v_bfe_u32 v5, v0, 3, 3
	v_lshlrev_b32_e32 v2, 4, v5
	s_waitcnt lgkmcnt(0)
	s_add_u32 s0, s0, s8
	s_addc_u32 s1, s1, s9
	v_mov_b32_e32 v3, 0
	v_lshl_add_u64 v[10:11], s[0:1], 0, v[2:3]
	v_lshlrev_b32_e32 v2, 1, v4
	v_mul_u32_u24_e32 v12, 30, v4
	v_cmp_eq_u32_e32 vcc, 0, v4
	s_sub_i32 s19, 1, s27
	v_lshlrev_b32_e32 v4, 3, v1
	s_lshl_b64 s[0:1], s[30:31], 2
	v_lshl_add_u64 v[2:3], v[10:11], 0, v[2:3]
	v_add3_u32 v13, s42, v4, v5
	v_lshlrev_b32_e32 v4, 2, v5
	s_add_u32 s0, s28, s0
	v_mbcnt_hi_u32_b32 v10, -1, v15
	v_lshl_or_b32 v4, v1, 5, v4
	s_addc_u32 s1, s29, s1
	v_and_b32_e32 v11, 64, v10
	s_mov_b32 s16, s17
	v_cmp_neq_f32_e64 s[8:9], s43, 0
	v_add_u32_e32 v14, 0x100, v4
	v_lshl_add_u64 v[4:5], v[8:9], 2, s[0:1]
	s_mov_b64 s[38:39], 0
	v_mov_b32_e32 v7, 0xff7fffff
	v_add_u32_e32 v11, 64, v11
	v_xor_b32_e32 v15, 4, v10
	v_xor_b32_e32 v16, 2, v10
	;; [unrolled: 1-line block ×3, first 2 shown]
	v_mov_b32_e32 v18, v8
	s_branch .LBB86_10
.LBB86_9:                               ;   in Loop: Header=BB86_10 Depth=1
	s_or_b64 exec, exec, s[40:41]
	v_add_u32_e32 v18, 2, v18
	v_cmp_le_i32_e64 s[0:1], s33, v18
	v_add_u32_e32 v13, 16, v13
	v_add_u32_e32 v14, 64, v14
	s_or_b64 s[38:39], s[0:1], s[38:39]
	v_lshl_add_u64 v[4:5], v[4:5], 0, 8
	s_andn2_b64 exec, exec, s[38:39]
	s_cbranch_execz .LBB86_12
.LBB86_10:                              ; =>This Inner Loop Header: Depth=1
	global_load_dword v19, v[4:5], off
	s_waitcnt vmcnt(0) lgkmcnt(0)
	v_mad_i64_i32 v[20:21], s[0:1], v19, s16, 0
	v_lshl_add_u64 v[20:21], v[20:21], 1, v[2:3]
	global_load_ushort v19, v[20:21], off
	global_load_ushort v22, v[20:21], off offset:128
	global_load_ushort v23, v[20:21], off offset:256
	global_load_ushort v24, v[20:21], off offset:384
	global_load_ushort v25, v[20:21], off offset:512
	global_load_ushort v26, v[20:21], off offset:640
	global_load_ushort v27, v[20:21], off offset:768
	global_load_ushort v28, v[20:21], off offset:896
	global_load_ushort v29, v[20:21], off offset:1024
	global_load_ushort v30, v[20:21], off offset:1152
	global_load_ushort v31, v[20:21], off offset:1280
	ds_read_u16 v32, v12
	global_load_ushort v33, v[20:21], off offset:1408
	global_load_ushort v34, v[20:21], off offset:1536
	;; [unrolled: 1-line block ×4, first 2 shown]
	s_waitcnt lgkmcnt(0)
	;;#ASMSTART
	v_cvt_f32_f16 v20, v32;
	;;#ASMEND
	v_cmp_lt_i32_e64 s[0:1], v15, v11
	s_waitcnt vmcnt(14)
	;;#ASMSTART
	v_cvt_f32_f16 v19, v19;
	;;#ASMEND
	ds_read_u16 v21, v12 offset:2
	s_waitcnt lgkmcnt(0)
	;;#ASMSTART
	v_cvt_f32_f16 v21, v21;
	;;#ASMEND
	s_waitcnt vmcnt(13)
	;;#ASMSTART
	v_cvt_f32_f16 v22, v22;
	;;#ASMEND
	ds_read_u16 v32, v12 offset:4
	v_mul_f32_e32 v21, v21, v22
	v_fmac_f32_e32 v21, v20, v19
	s_waitcnt lgkmcnt(0)
	;;#ASMSTART
	v_cvt_f32_f16 v32, v32;
	;;#ASMEND
	s_waitcnt vmcnt(12)
	;;#ASMSTART
	v_cvt_f32_f16 v23, v23;
	;;#ASMEND
	ds_read_u16 v37, v12 offset:6
	v_fmac_f32_e32 v21, v32, v23
	s_waitcnt lgkmcnt(0)
	;;#ASMSTART
	v_cvt_f32_f16 v37, v37;
	;;#ASMEND
	s_waitcnt vmcnt(11)
	;;#ASMSTART
	v_cvt_f32_f16 v24, v24;
	;;#ASMEND
	ds_read_u16 v38, v12 offset:8
	;; [unrolled: 10-line block ×11, first 2 shown]
	v_fmac_f32_e32 v21, v22, v23
	v_cndmask_b32_e64 v46, v10, v15, s[0:1]
	s_waitcnt lgkmcnt(0)
	;;#ASMSTART
	v_cvt_f32_f16 v24, v24;
	;;#ASMEND
	s_waitcnt vmcnt(1)
	;;#ASMSTART
	v_cvt_f32_f16 v25, v35;
	;;#ASMEND
	v_lshlrev_b32_e32 v46, 2, v46
	v_fmac_f32_e32 v21, v24, v25
	ds_read_u16 v26, v12 offset:28
	s_waitcnt lgkmcnt(0)
	;;#ASMSTART
	v_cvt_f32_f16 v19, v26;
	;;#ASMEND
	s_waitcnt vmcnt(0)
	;;#ASMSTART
	v_cvt_f32_f16 v20, v36;
	;;#ASMEND
	v_cmp_lt_i32_e64 s[0:1], v16, v11
	v_fmac_f32_e32 v21, v19, v20
	ds_bpermute_b32 v19, v46, v21
	v_cndmask_b32_e64 v20, v10, v16, s[0:1]
	v_lshlrev_b32_e32 v20, 2, v20
	v_cmp_lt_i32_e64 s[0:1], v17, v11
	s_waitcnt lgkmcnt(0)
	v_add_f32_e32 v19, v21, v19
	ds_bpermute_b32 v20, v20, v19
	v_cndmask_b32_e64 v21, v10, v17, s[0:1]
	s_waitcnt lgkmcnt(0)
	v_add_f32_e32 v19, v19, v20
	v_lshlrev_b32_e32 v20, 2, v21
	ds_bpermute_b32 v20, v20, v19
	s_and_saveexec_b64 s[40:41], vcc
	s_cbranch_execz .LBB86_9
; %bb.11:                               ;   in Loop: Header=BB86_10 Depth=1
	v_add_u32_e32 v21, s19, v13
	v_cvt_f32_i32_e32 v21, v21
	s_waitcnt lgkmcnt(0)
	v_add_f32_e32 v19, v19, v20
	v_cmp_gt_i32_e64 s[0:1], s27, v13
	v_max_f32_e32 v20, v7, v7
	v_mul_f32_e32 v21, s43, v21
	v_cndmask_b32_e64 v21, 0, v21, s[8:9]
	v_fmac_f32_e32 v21, s13, v19
	v_cndmask_b32_e64 v19, 0, v21, s[0:1]
	ds_write_b32 v14, v19
	v_max_f32_e32 v19, v20, v21
	v_cndmask_b32_e64 v7, v7, v19, s[0:1]
	s_branch .LBB86_9
.LBB86_12:
	s_or_b64 exec, exec, s[38:39]
.LBB86_13:
	s_or_b64 exec, exec, s[36:37]
	v_xor_b32_e32 v2, 32, v10
	v_cmp_lt_i32_e32 vcc, v2, v11
	v_xor_b32_e32 v5, 16, v10
	v_max_f32_e32 v4, v7, v7
	v_cndmask_b32_e32 v2, v10, v2, vcc
	v_lshlrev_b32_e32 v3, 2, v2
	ds_bpermute_b32 v2, v3, v7
	v_cmp_lt_i32_e32 vcc, v5, v11
	v_and_b32_e32 v7, 63, v0
	s_waitcnt lgkmcnt(0)
	v_max_f32_e32 v2, v2, v2
	v_max_f32_e32 v2, v4, v2
	v_cndmask_b32_e32 v4, v10, v5, vcc
	v_lshlrev_b32_e32 v12, 2, v4
	ds_bpermute_b32 v4, v12, v2
	v_xor_b32_e32 v5, 8, v10
	v_cmp_lt_i32_e32 vcc, v5, v11
	s_waitcnt lgkmcnt(0)
	v_max_f32_e32 v4, v4, v4
	v_max_f32_e32 v4, v2, v4
	v_cndmask_b32_e32 v2, v10, v5, vcc
	v_lshlrev_b32_e32 v13, 2, v2
	ds_bpermute_b32 v5, v13, v4
	v_cmp_eq_u32_e32 vcc, 0, v7
	v_lshlrev_b32_e32 v2, 2, v1
	s_and_saveexec_b64 s[0:1], vcc
	s_cbranch_execz .LBB86_15
; %bb.14:
	s_waitcnt lgkmcnt(0)
	v_max_f32_e32 v5, v5, v5
	v_max_f32_e32 v4, v4, v4
	v_max_f32_e32 v4, v4, v5
	ds_write_b32 v2, v4 offset:240
.LBB86_15:
	s_or_b64 exec, exec, s[0:1]
	v_cmp_gt_u32_e64 s[0:1], 2, v7
	v_mov_b32_e32 v4, 0xff7fffff
	s_waitcnt lgkmcnt(0)
	v_lshlrev_b32_e32 v5, 2, v7
	s_barrier
	s_and_saveexec_b64 s[8:9], s[0:1]
	s_cbranch_execz .LBB86_17
; %bb.16:
	ds_read_b32 v4, v5 offset:240
.LBB86_17:
	s_or_b64 exec, exec, s[8:9]
	v_xor_b32_e32 v14, 1, v10
	v_cmp_lt_i32_e64 s[8:9], v14, v11
	v_mov_b32_e32 v16, 0
	s_nop 0
	v_cndmask_b32_e64 v14, v10, v14, s[8:9]
	v_lshlrev_b32_e32 v14, 2, v14
	s_waitcnt lgkmcnt(0)
	ds_bpermute_b32 v15, v14, v4
	v_max_f32_e32 v4, v4, v4
	s_sub_i32 s8, s33, s12
	s_lshl_b32 s8, s8, 3
	s_add_i32 s8, s8, s42
	s_waitcnt lgkmcnt(0)
	v_max_f32_e32 v15, v15, v15
	v_max_f32_e32 v4, v4, v15
	v_lshlrev_b32_e32 v15, 2, v10
	v_and_b32_e32 v15, 0xffffff00, v15
	ds_bpermute_b32 v4, v15, v4
	s_min_i32 s19, s8, s27
	s_sub_i32 s16, s19, s42
	v_cmp_gt_i32_e64 s[8:9], s16, v0
	s_and_saveexec_b64 s[36:37], s[8:9]
	s_cbranch_execz .LBB86_21
; %bb.18:
	v_mov_b32_e32 v16, 0x100
	v_lshl_add_u32 v17, v0, 2, v16
	s_mov_b64 s[38:39], 0
	v_mov_b32_e32 v16, 0
	v_mov_b32_e32 v18, v0
.LBB86_19:                              ; =>This Inner Loop Header: Depth=1
	ds_read_b32 v19, v17
	v_add_u32_e32 v18, 0x80, v18
	v_cmp_le_i32_e64 s[12:13], s16, v18
	s_or_b64 s[38:39], s[12:13], s[38:39]
	s_waitcnt lgkmcnt(0)
	v_sub_f32_e32 v19, v19, v4
	v_mul_f32_e32 v19, 0x3fb8aa3b, v19
	v_exp_f32_e32 v19, v19
	ds_write_b32 v17, v19
	v_add_f32_e32 v16, v16, v19
	v_add_u32_e32 v17, 0x200, v17
	s_andn2_b64 exec, exec, s[38:39]
	s_cbranch_execnz .LBB86_19
; %bb.20:
	s_or_b64 exec, exec, s[38:39]
.LBB86_21:
	s_or_b64 exec, exec, s[36:37]
	ds_bpermute_b32 v3, v3, v16
	s_waitcnt lgkmcnt(0)
	v_add_f32_e32 v3, v16, v3
	ds_bpermute_b32 v12, v12, v3
	s_waitcnt lgkmcnt(0)
	v_add_f32_e32 v3, v3, v12
	ds_bpermute_b32 v12, v13, v3
	v_xor_b32_e32 v13, 4, v10
	v_cmp_lt_i32_e64 s[12:13], v13, v11
	s_waitcnt lgkmcnt(0)
	v_add_f32_e32 v3, v3, v12
	v_cndmask_b32_e64 v13, v10, v13, s[12:13]
	v_lshlrev_b32_e32 v13, 2, v13
	ds_bpermute_b32 v12, v13, v3
	v_xor_b32_e32 v13, 2, v10
	v_cmp_lt_i32_e64 s[12:13], v13, v11
	s_waitcnt lgkmcnt(0)
	v_add_f32_e32 v3, v3, v12
	v_cndmask_b32_e64 v10, v10, v13, s[12:13]
	v_lshlrev_b32_e32 v10, 2, v10
	ds_bpermute_b32 v10, v10, v3
	s_waitcnt lgkmcnt(0)
	v_add_f32_e32 v3, v3, v10
	ds_bpermute_b32 v10, v14, v3
	s_waitcnt lgkmcnt(0)
	v_add_f32_e32 v3, v3, v10
	s_and_saveexec_b64 s[12:13], vcc
	s_cbranch_execz .LBB86_23
; %bb.22:
	ds_write_b32 v2, v3 offset:248
.LBB86_23:
	s_or_b64 exec, exec, s[12:13]
	s_waitcnt lgkmcnt(0)
	s_barrier
	s_and_saveexec_b64 s[12:13], s[0:1]
	s_cbranch_execz .LBB86_25
; %bb.24:
	ds_read_b32 v3, v5 offset:248
.LBB86_25:
	s_or_b64 exec, exec, s[12:13]
	s_waitcnt lgkmcnt(0)
	ds_bpermute_b32 v2, v14, v3
	s_waitcnt lgkmcnt(0)
	v_add_f32_e32 v2, v3, v2
	ds_bpermute_b32 v5, v15, v2
	s_and_saveexec_b64 s[0:1], s[8:9]
	s_cbranch_execz .LBB86_38
; %bb.26:
	s_waitcnt lgkmcnt(0)
	v_add_f32_e32 v2, 0x358637bd, v5
	v_div_scale_f32 v3, s[8:9], v2, v2, 1.0
	v_rcp_f32_e32 v10, v3
	v_div_scale_f32 v11, vcc, 1.0, v2, 1.0
	s_movk_i32 s8, 0x7f
	v_fma_f32 v12, -v3, v10, 1.0
	v_fmac_f32_e32 v10, v12, v10
	v_mul_f32_e32 v12, v11, v10
	v_fma_f32 v13, -v3, v12, v11
	v_fmac_f32_e32 v12, v13, v10
	v_fma_f32 v3, -v3, v12, v11
	v_div_fmas_f32 v3, v3, v10, v12
	v_div_fixup_f32 v2, v3, v2, 1.0
	v_xad_u32 v3, v0, -1, s19
	v_subrev_u32_e32 v10, s42, v3
	v_cmp_lt_u32_e32 vcc, s8, v10
	s_mov_b64 s[12:13], -1
	v_mov_b32_e32 v3, v0
	s_and_saveexec_b64 s[8:9], vcc
	s_cbranch_execz .LBB86_35
; %bb.27:
	v_lshrrev_b32_e32 v10, 7, v10
	v_add_u32_e32 v12, -1, v10
	v_lshrrev_b32_e32 v11, 1, v12
	v_mov_b32_e32 v3, v2
	v_add_u32_e32 v11, 1, v11
	v_cmp_lt_u32_e32 vcc, 13, v12
	v_mov_b32_e32 v14, 0
	s_and_saveexec_b64 s[12:13], vcc
	s_cbranch_execz .LBB86_31
; %bb.28:
	v_mov_b32_e32 v13, 0x100
	v_and_b32_e32 v12, -8, v11
	v_lshl_add_u32 v13, v0, 2, v13
	s_mov_b32 s19, 0
	s_mov_b64 s[36:37], 0
.LBB86_29:                              ; =>This Inner Loop Header: Depth=1
	ds_read2st64_b32 v[14:15], v13 offset1:2
	ds_read2st64_b32 v[16:17], v13 offset0:4 offset1:6
	ds_read2st64_b32 v[18:19], v13 offset0:8 offset1:10
	;; [unrolled: 1-line block ×3, first 2 shown]
	v_add_u32_e32 v12, -8, v12
	s_waitcnt lgkmcnt(3)
	v_pk_mul_f32 v[14:15], v[2:3], v[14:15]
	s_waitcnt lgkmcnt(2)
	v_pk_mul_f32 v[16:17], v[2:3], v[16:17]
	ds_write2st64_b32 v13, v14, v15 offset1:2
	ds_write2st64_b32 v13, v16, v17 offset0:4 offset1:6
	ds_read2st64_b32 v[16:17], v13 offset0:16 offset1:18
	s_waitcnt lgkmcnt(4)
	v_pk_mul_f32 v[14:15], v[2:3], v[18:19]
	ds_write2st64_b32 v13, v14, v15 offset0:8 offset1:10
	s_waitcnt lgkmcnt(4)
	v_pk_mul_f32 v[14:15], v[2:3], v[20:21]
	ds_write2st64_b32 v13, v14, v15 offset0:12 offset1:14
	ds_read2st64_b32 v[14:15], v13 offset0:20 offset1:22
	s_waitcnt lgkmcnt(3)
	v_pk_mul_f32 v[16:17], v[2:3], v[16:17]
	ds_read2st64_b32 v[18:19], v13 offset0:24 offset1:26
	ds_write2st64_b32 v13, v16, v17 offset0:16 offset1:18
	ds_read2st64_b32 v[16:17], v13 offset0:28 offset1:30
	s_waitcnt lgkmcnt(3)
	v_pk_mul_f32 v[14:15], v[2:3], v[14:15]
	ds_write2st64_b32 v13, v14, v15 offset0:20 offset1:22
	s_waitcnt lgkmcnt(3)
	v_pk_mul_f32 v[14:15], v[2:3], v[18:19]
	ds_write2st64_b32 v13, v14, v15 offset0:24 offset1:26
	s_waitcnt lgkmcnt(2)
	v_pk_mul_f32 v[14:15], v[2:3], v[16:17]
	s_add_i32 s19, s19, 16
	v_cmp_eq_u32_e32 vcc, 0, v12
	ds_write2st64_b32 v13, v14, v15 offset0:28 offset1:30
	v_add_u32_e32 v13, 0x2000, v13
	s_or_b64 s[36:37], vcc, s[36:37]
	v_mov_b32_e32 v14, s19
	s_andn2_b64 exec, exec, s[36:37]
	s_cbranch_execnz .LBB86_29
; %bb.30:
	s_or_b64 exec, exec, s[36:37]
.LBB86_31:
	s_or_b64 exec, exec, s[12:13]
	v_and_b32_e32 v11, 7, v11
	v_cmp_ne_u32_e32 vcc, 0, v11
	s_and_saveexec_b64 s[12:13], vcc
	s_cbranch_execz .LBB86_34
; %bb.32:
	v_lshlrev_b32_e32 v12, 9, v14
	v_lshlrev_b32_e32 v13, 2, v0
	s_movk_i32 s19, 0x100
	v_add3_u32 v12, v12, v13, s19
	s_mov_b64 s[36:37], 0
.LBB86_33:                              ; =>This Inner Loop Header: Depth=1
	ds_read2st64_b32 v[14:15], v12 offset1:2
	v_add_u32_e32 v11, -1, v11
	v_cmp_eq_u32_e32 vcc, 0, v11
	s_or_b64 s[36:37], vcc, s[36:37]
	s_waitcnt lgkmcnt(0)
	v_pk_mul_f32 v[14:15], v[2:3], v[14:15]
	ds_write2st64_b32 v12, v14, v15 offset1:2
	v_add_u32_e32 v12, 0x400, v12
	s_andn2_b64 exec, exec, s[36:37]
	s_cbranch_execnz .LBB86_33
.LBB86_34:
	s_or_b64 exec, exec, s[12:13]
	v_add_u32_e32 v10, 1, v10
	v_and_b32_e32 v11, 0x3fffffe, v10
	v_cmp_ne_u32_e32 vcc, v10, v11
	v_lshl_add_u32 v3, v11, 7, v0
	s_orn2_b64 s[12:13], vcc, exec
.LBB86_35:
	s_or_b64 exec, exec, s[8:9]
	s_and_b64 exec, exec, s[12:13]
	s_cbranch_execz .LBB86_38
; %bb.36:
	v_mov_b32_e32 v10, 0x100
	v_lshl_add_u32 v10, v3, 2, v10
	s_mov_b64 s[8:9], 0
.LBB86_37:                              ; =>This Inner Loop Header: Depth=1
	ds_read_b32 v11, v10
	v_add_u32_e32 v3, 0x80, v3
	v_cmp_le_i32_e32 vcc, s16, v3
	s_or_b64 s[8:9], vcc, s[8:9]
	s_waitcnt lgkmcnt(0)
	v_mul_f32_e32 v11, v2, v11
	ds_write_b32 v10, v11
	v_add_u32_e32 v10, 0x200, v10
	s_andn2_b64 exec, exec, s[8:9]
	s_cbranch_execnz .LBB86_37
.LBB86_38:
	s_or_b64 exec, exec, s[0:1]
	s_mul_i32 s0, s15, s26
	v_cmp_eq_u32_e32 vcc, 0, v0
	s_mul_i32 s8, s0, s5
	s_waitcnt lgkmcnt(0)
	s_barrier
	s_and_saveexec_b64 s[0:1], vcc
	s_cbranch_execz .LBB86_40
; %bb.39:
	s_ashr_i32 s9, s8, 31
	s_lshl_b64 s[12:13], s[8:9], 2
	s_add_u32 s5, s22, s12
	s_mul_i32 s22, s15, s2
	s_addc_u32 s9, s23, s13
	s_ashr_i32 s23, s22, 31
	s_lshl_b64 s[22:23], s[22:23], 2
	s_add_u32 s2, s5, s22
	s_addc_u32 s9, s9, s23
	s_ashr_i32 s5, s4, 31
	s_lshl_b64 s[36:37], s[4:5], 2
	s_add_u32 s38, s2, s36
	s_addc_u32 s39, s9, s37
	s_add_u32 s2, s20, s12
	s_addc_u32 s5, s21, s13
	;; [unrolled: 2-line block ×3, first 2 shown]
	s_add_u32 s12, s2, s36
	v_mov_b32_e32 v2, 0
	s_addc_u32 s13, s5, s37
	global_store_dword v2, v4, s[38:39]
	global_store_dword v2, v5, s[12:13]
.LBB86_40:
	s_or_b64 exec, exec, s[0:1]
	v_mov_b32_e32 v19, 0
	v_mov_b32_e32 v18, 0
	s_and_saveexec_b64 s[12:13], s[6:7]
	s_cbranch_execz .LBB86_50
; %bb.41:
	s_ashr_i32 s19, s18, 31
	s_lshl_b64 s[0:1], s[18:19], 1
	s_add_u32 s6, s34, s0
	v_or_b32_e32 v3, 64, v7
	s_movk_i32 s0, 0x78
	s_addc_u32 s7, s35, s1
	s_add_i32 s9, s3, -1
	v_cmp_gt_u32_e32 vcc, s0, v3
	s_lshl_b64 s[0:1], s[30:31], 2
	s_add_u32 s0, s28, s0
	v_lshlrev_b32_e32 v2, 3, v7
	v_mov_b32_e32 v11, 0
	v_lshlrev_b32_e32 v4, 3, v3
	v_mov_b32_e32 v3, 0x100
	s_addc_u32 s1, s29, s1
	s_mov_b32 s5, s17
	s_mov_b32 s20, s27
	s_mov_b32 s21, s27
	s_mov_b32 s22, s27
	s_mov_b32 s23, s27
	s_mov_b32 s26, s27
	s_mov_b32 s34, s27
	s_mov_b32 s35, s27
	v_lshl_add_u32 v20, v1, 3, s42
	v_lshl_add_u32 v1, v1, 5, v3
	v_lshl_add_u64 v[12:13], v[8:9], 2, s[0:1]
	s_mov_b64 s[16:17], 0
	v_lshlrev_b32_e32 v14, 1, v2
	v_mov_b32_e32 v15, v11
	s_mov_b32 s28, 0x5040100
	v_lshlrev_b32_e32 v10, 1, v4
	v_mov_b32_e32 v18, v11
	v_mov_b32_e32 v19, v11
	s_branch .LBB86_44
.LBB86_42:                              ;   in Loop: Header=BB86_44 Depth=1
	s_or_b64 exec, exec, s[18:19]
	s_waitcnt vmcnt(0)
	;;#ASMSTART
	v_pk_mul_f16 v2, v25, v2;

	;;#ASMEND
	;;#ASMSTART
	v_pk_mul_f16 v3, v24, v3;

	;;#ASMEND
	;;#ASMSTART
	v_pk_mul_f16 v4, v23, v4;

	;;#ASMEND
	;;#ASMSTART
	v_pk_mul_f16 v5, v22, v5;

	;;#ASMEND
	s_nop 0
	;;#ASMSTART
	v_pk_add_f16 v2, v2, v3;

	;;#ASMEND
	s_nop 0
	;;#ASMSTART
	v_pk_add_f16 v2, v2, v4;

	;;#ASMEND
	;; [unrolled: 5-line block ×3, first 2 shown]
	s_nop 0
	v_lshrrev_b32_e32 v3, 16, v2
	v_and_b32_e32 v2, 0xffff, v2
	;;#ASMSTART
	v_cvt_f32_f16 v2, v2;
	;;#ASMEND
	;;#ASMSTART
	v_cvt_f32_f16 v3, v3;
	;;#ASMEND
	s_nop 0
	v_add_f32_e32 v2, v2, v3
	v_add_f32_e32 v18, v18, v2
.LBB86_43:                              ;   in Loop: Header=BB86_44 Depth=1
	s_or_b64 exec, exec, s[2:3]
	v_add_u32_e32 v8, 2, v8
	v_add_f32_e32 v2, v9, v21
	v_cmp_le_i32_e64 s[0:1], s33, v8
	v_add_f32_e32 v19, v19, v2
	v_add_u32_e32 v20, 16, v20
	v_add_u32_e32 v1, 64, v1
	s_or_b64 s[16:17], s[0:1], s[16:17]
	v_lshl_add_u64 v[12:13], v[12:13], 0, 8
	s_andn2_b64 exec, exec, s[16:17]
	s_cbranch_execz .LBB86_49
.LBB86_44:                              ; =>This Inner Loop Header: Depth=1
	global_load_dword v16, v[12:13], off
	ds_read2_b64 v[2:5], v1 offset1:1
	ds_read2_b64 v[26:29], v1 offset0:2 offset1:3
	s_waitcnt lgkmcnt(1)
	;;#ASMSTART
	v_cvt_f16_f32 v9, v2;

	;;#ASMEND
	;;#ASMSTART
	v_cvt_f16_f32 v21, v3;

	;;#ASMEND
	;; [unrolled: 4-line block ×4, first 2 shown]
	s_waitcnt lgkmcnt(0)
	;;#ASMSTART
	v_cvt_f16_f32 v26, v26;

	;;#ASMEND
	;;#ASMSTART
	v_cvt_f16_f32 v27, v27;

	;;#ASMEND
	;; [unrolled: 4-line block ×4, first 2 shown]
	s_waitcnt vmcnt(0)
	v_mad_i64_i32 v[2:3], s[0:1], v16, s5, 0
	v_lshl_add_u64 v[16:17], v[2:3], 1, s[6:7]
	v_lshl_add_u64 v[2:3], v[16:17], 0, v[14:15]
	global_load_dwordx4 v[2:5], v[2:3], off
	v_cmp_eq_u32_e64 s[0:1], s9, v8
	s_and_saveexec_b64 s[18:19], s[0:1]
	s_cbranch_execz .LBB86_46
; %bb.45:                               ;   in Loop: Header=BB86_44 Depth=1
	v_or_b32_e32 v33, 7, v20
	v_or_b32_e32 v34, 6, v20
	s_waitcnt vmcnt(0)
	v_lshrrev_b32_e32 v35, 16, v5
	v_cmp_gt_i32_e64 s[2:3], s35, v33
	v_or_b32_e32 v31, 5, v20
	v_or_b32_e32 v32, 4, v20
	v_cndmask_b32_e64 v33, 0, v35, s[2:3]
	v_cmp_gt_i32_e64 s[2:3], s34, v34
	v_or_b32_e32 v25, 3, v20
	v_or_b32_e32 v30, 2, v20
	v_cndmask_b32_e64 v5, 0, v5, s[2:3]
	v_perm_b32 v5, v33, v5, s28
	v_lshrrev_b32_e32 v33, 16, v4
	v_cmp_gt_i32_e64 s[2:3], s26, v31
	v_add_u32_e32 v24, 1, v20
	s_nop 0
	v_cndmask_b32_e64 v31, 0, v33, s[2:3]
	v_cmp_gt_i32_e64 s[2:3], s23, v32
	s_nop 1
	v_cndmask_b32_e64 v4, 0, v4, s[2:3]
	v_perm_b32 v4, v31, v4, s28
	v_lshrrev_b32_e32 v31, 16, v3
	v_cmp_gt_i32_e64 s[2:3], s22, v25
	s_nop 1
	v_cndmask_b32_e64 v25, 0, v31, s[2:3]
	v_cmp_gt_i32_e64 s[2:3], s21, v30
	s_nop 1
	v_cndmask_b32_e64 v3, 0, v3, s[2:3]
	v_perm_b32 v3, v25, v3, s28
	v_lshrrev_b32_e32 v25, 16, v2
	v_cmp_gt_i32_e64 s[2:3], s20, v24
	s_nop 1
	v_cndmask_b32_e64 v24, 0, v25, s[2:3]
	v_cmp_gt_i32_e64 s[2:3], s27, v20
	s_nop 1
	v_cndmask_b32_e64 v2, 0, v2, s[2:3]
	v_perm_b32 v2, v24, v2, s28
.LBB86_46:                              ;   in Loop: Header=BB86_44 Depth=1
	s_or_b64 exec, exec, s[18:19]
	v_and_b32_e32 v9, 0xffff, v9
	v_lshl_or_b32 v25, v21, 16, v9
	v_and_b32_e32 v9, 0xffff, v22
	v_lshl_or_b32 v24, v23, 16, v9
	;; [unrolled: 2-line block ×3, first 2 shown]
	v_and_b32_e32 v9, 0xffff, v28
	s_waitcnt vmcnt(0)
	;;#ASMSTART
	v_pk_mul_f16 v2, v25, v2;

	;;#ASMEND
	v_lshl_or_b32 v22, v29, 16, v9
	;;#ASMSTART
	v_pk_mul_f16 v3, v24, v3;

	;;#ASMEND
	;;#ASMSTART
	v_pk_mul_f16 v4, v23, v4;

	;;#ASMEND
	;; [unrolled: 4-line block ×3, first 2 shown]
	s_nop 0
	;;#ASMSTART
	v_pk_add_f16 v2, v2, v3;

	;;#ASMEND
	s_nop 0
	;;#ASMSTART
	v_pk_add_f16 v2, v2, v4;

	;;#ASMEND
	;; [unrolled: 5-line block ×3, first 2 shown]
	s_nop 0
	v_lshrrev_b32_e32 v3, 16, v2
	v_and_b32_e32 v2, 0xffff, v2
	;;#ASMSTART
	v_cvt_f32_f16 v9, v2;
	;;#ASMEND
	;;#ASMSTART
	v_cvt_f32_f16 v21, v3;
	;;#ASMEND
	s_and_saveexec_b64 s[2:3], vcc
	s_cbranch_execz .LBB86_43
; %bb.47:                               ;   in Loop: Header=BB86_44 Depth=1
	v_lshl_add_u64 v[2:3], v[16:17], 0, v[10:11]
	global_load_dwordx4 v[2:5], v[2:3], off
	s_and_saveexec_b64 s[18:19], s[0:1]
	s_cbranch_execz .LBB86_42
; %bb.48:                               ;   in Loop: Header=BB86_44 Depth=1
	v_or_b32_e32 v29, 7, v20
	v_or_b32_e32 v30, 6, v20
	s_waitcnt vmcnt(0)
	v_lshrrev_b32_e32 v31, 16, v5
	v_cmp_gt_i32_e64 s[0:1], s35, v29
	v_or_b32_e32 v27, 5, v20
	v_or_b32_e32 v28, 4, v20
	v_cndmask_b32_e64 v29, 0, v31, s[0:1]
	v_cmp_gt_i32_e64 s[0:1], s34, v30
	v_or_b32_e32 v17, 3, v20
	v_or_b32_e32 v26, 2, v20
	v_cndmask_b32_e64 v5, 0, v5, s[0:1]
	v_perm_b32 v5, v29, v5, s28
	v_lshrrev_b32_e32 v29, 16, v4
	v_cmp_gt_i32_e64 s[0:1], s26, v27
	v_add_u32_e32 v16, 1, v20
	s_nop 0
	v_cndmask_b32_e64 v27, 0, v29, s[0:1]
	v_cmp_gt_i32_e64 s[0:1], s23, v28
	s_nop 1
	v_cndmask_b32_e64 v4, 0, v4, s[0:1]
	v_perm_b32 v4, v27, v4, s28
	v_lshrrev_b32_e32 v27, 16, v3
	v_cmp_gt_i32_e64 s[0:1], s22, v17
	s_nop 1
	v_cndmask_b32_e64 v17, 0, v27, s[0:1]
	v_cmp_gt_i32_e64 s[0:1], s21, v26
	s_nop 1
	v_cndmask_b32_e64 v3, 0, v3, s[0:1]
	v_perm_b32 v3, v17, v3, s28
	v_lshrrev_b32_e32 v17, 16, v2
	v_cmp_gt_i32_e64 s[0:1], s20, v16
	s_nop 1
	v_cndmask_b32_e64 v16, 0, v17, s[0:1]
	v_cmp_gt_i32_e64 s[0:1], s27, v20
	s_nop 1
	v_cndmask_b32_e64 v2, 0, v2, s[0:1]
	v_perm_b32 v2, v16, v2, s28
	s_branch .LBB86_42
.LBB86_49:
	s_or_b64 exec, exec, s[16:17]
.LBB86_50:
	s_or_b64 exec, exec, s[12:13]
	v_and_b32_e32 v1, 0x3c0, v0
	v_cmp_eq_u32_e32 vcc, 64, v1
	s_barrier
	s_and_saveexec_b64 s[0:1], vcc
	s_cbranch_execz .LBB86_53
; %bb.51:
	v_mov_b32_e32 v1, 0x100
	v_lshl_add_u32 v2, v7, 2, v1
	ds_write_b32 v2, v19
	s_and_b64 exec, exec, s[10:11]
	s_cbranch_execz .LBB86_53
; %bb.52:
	v_lshl_add_u32 v1, v0, 2, v1
	ds_write_b32 v1, v18
.LBB86_53:
	s_or_b64 exec, exec, s[0:1]
	v_cmp_gt_u32_e32 vcc, 64, v0
	v_or_b32_e32 v1, 64, v0
	s_waitcnt lgkmcnt(0)
	s_barrier
	s_and_saveexec_b64 s[2:3], vcc
	s_cbranch_execz .LBB86_57
; %bb.54:
	v_mov_b32_e32 v2, 0x100
	v_lshl_add_u32 v2, v0, 2, v2
	ds_read_b32 v0, v2
	s_movk_i32 s0, 0x78
	v_cmp_gt_u32_e64 s[0:1], s0, v1
	s_and_saveexec_b64 s[6:7], s[0:1]
	s_cbranch_execz .LBB86_56
; %bb.55:
	ds_read_b32 v2, v2 offset:256
	s_waitcnt lgkmcnt(0)
	v_add_f32_e32 v18, v18, v2
.LBB86_56:
	s_or_b64 exec, exec, s[6:7]
	s_waitcnt lgkmcnt(0)
	v_add_f32_e32 v19, v19, v0
.LBB86_57:
	s_or_b64 exec, exec, s[2:3]
	s_barrier
	s_and_saveexec_b64 s[0:1], vcc
	s_cbranch_execz .LBB86_60
; %bb.58:
	s_mul_i32 s0, s8, 0x78
	s_ashr_i32 s1, s0, 31
	s_lshl_b64 s[0:1], s[0:1], 1
	s_add_u32 s3, s24, s0
	s_mul_i32 s0, s15, s14
	s_addc_u32 s5, s25, s1
	s_ashr_i32 s1, s0, 31
	s_lshl_b64 s[0:1], s[0:1], 1
	s_add_u32 s3, s3, s0
	s_mul_i32 s0, s4, 0x78
	s_addc_u32 s5, s5, s1
	s_ashr_i32 s1, s0, 31
	s_lshl_b64 s[0:1], s[0:1], 1
	s_movk_i32 s2, 0x78
	s_add_u32 s0, s3, s0
	s_addc_u32 s1, s5, s1
	v_cmp_gt_u32_e32 vcc, s2, v1
	;;#ASMSTART
	v_cvt_f16_f32 v0, v19;

	;;#ASMEND
	global_store_short v6, v0, s[0:1]
	s_and_b64 exec, exec, vcc
	s_cbranch_execz .LBB86_60
; %bb.59:
	v_mov_b32_e32 v7, 0
	v_lshl_add_u64 v[0:1], s[0:1], 0, v[6:7]
	;;#ASMSTART
	v_cvt_f16_f32 v2, v18;

	;;#ASMEND
	global_store_short v[0:1], v2, off offset:128
.LBB86_60:
	s_endpgm
	.section	.rodata,"a",@progbits
	.p2align	6, 0x0
	.amdhsa_kernel _ZN4vllm25paged_attention_v2_kernelIttLi120ELi8ELi128ELNS_18Fp8KVCacheDataTypeE0ELb0ELi512EEEvPfS2_PT_PKS3_PKT0_S9_ifPKiSB_iPKfiiiSD_SD_iiiii
		.amdhsa_group_segment_fixed_size 256
		.amdhsa_private_segment_fixed_size 0
		.amdhsa_kernarg_size 400
		.amdhsa_user_sgpr_count 2
		.amdhsa_user_sgpr_dispatch_ptr 0
		.amdhsa_user_sgpr_queue_ptr 0
		.amdhsa_user_sgpr_kernarg_segment_ptr 1
		.amdhsa_user_sgpr_dispatch_id 0
		.amdhsa_user_sgpr_kernarg_preload_length 0
		.amdhsa_user_sgpr_kernarg_preload_offset 0
		.amdhsa_user_sgpr_private_segment_size 0
		.amdhsa_uses_dynamic_stack 0
		.amdhsa_enable_private_segment 0
		.amdhsa_system_sgpr_workgroup_id_x 1
		.amdhsa_system_sgpr_workgroup_id_y 1
		.amdhsa_system_sgpr_workgroup_id_z 1
		.amdhsa_system_sgpr_workgroup_info 0
		.amdhsa_system_vgpr_workitem_id 0
		.amdhsa_next_free_vgpr 47
		.amdhsa_next_free_sgpr 44
		.amdhsa_accum_offset 48
		.amdhsa_reserve_vcc 1
		.amdhsa_float_round_mode_32 0
		.amdhsa_float_round_mode_16_64 0
		.amdhsa_float_denorm_mode_32 3
		.amdhsa_float_denorm_mode_16_64 3
		.amdhsa_dx10_clamp 1
		.amdhsa_ieee_mode 1
		.amdhsa_fp16_overflow 0
		.amdhsa_tg_split 0
		.amdhsa_exception_fp_ieee_invalid_op 0
		.amdhsa_exception_fp_denorm_src 0
		.amdhsa_exception_fp_ieee_div_zero 0
		.amdhsa_exception_fp_ieee_overflow 0
		.amdhsa_exception_fp_ieee_underflow 0
		.amdhsa_exception_fp_ieee_inexact 0
		.amdhsa_exception_int_div_zero 0
	.end_amdhsa_kernel
	.section	.text._ZN4vllm25paged_attention_v2_kernelIttLi120ELi8ELi128ELNS_18Fp8KVCacheDataTypeE0ELb0ELi512EEEvPfS2_PT_PKS3_PKT0_S9_ifPKiSB_iPKfiiiSD_SD_iiiii,"axG",@progbits,_ZN4vllm25paged_attention_v2_kernelIttLi120ELi8ELi128ELNS_18Fp8KVCacheDataTypeE0ELb0ELi512EEEvPfS2_PT_PKS3_PKT0_S9_ifPKiSB_iPKfiiiSD_SD_iiiii,comdat
.Lfunc_end86:
	.size	_ZN4vllm25paged_attention_v2_kernelIttLi120ELi8ELi128ELNS_18Fp8KVCacheDataTypeE0ELb0ELi512EEEvPfS2_PT_PKS3_PKT0_S9_ifPKiSB_iPKfiiiSD_SD_iiiii, .Lfunc_end86-_ZN4vllm25paged_attention_v2_kernelIttLi120ELi8ELi128ELNS_18Fp8KVCacheDataTypeE0ELb0ELi512EEEvPfS2_PT_PKS3_PKT0_S9_ifPKiSB_iPKfiiiSD_SD_iiiii
                                        ; -- End function
	.section	.AMDGPU.csdata,"",@progbits
; Kernel info:
; codeLenInByte = 4736
; NumSgprs: 50
; NumVgprs: 47
; NumAgprs: 0
; TotalNumVgprs: 47
; ScratchSize: 0
; MemoryBound: 0
; FloatMode: 240
; IeeeMode: 1
; LDSByteSize: 256 bytes/workgroup (compile time only)
; SGPRBlocks: 6
; VGPRBlocks: 5
; NumSGPRsForWavesPerEU: 50
; NumVGPRsForWavesPerEU: 47
; AccumOffset: 48
; Occupancy: 8
; WaveLimiterHint : 1
; COMPUTE_PGM_RSRC2:SCRATCH_EN: 0
; COMPUTE_PGM_RSRC2:USER_SGPR: 2
; COMPUTE_PGM_RSRC2:TRAP_HANDLER: 0
; COMPUTE_PGM_RSRC2:TGID_X_EN: 1
; COMPUTE_PGM_RSRC2:TGID_Y_EN: 1
; COMPUTE_PGM_RSRC2:TGID_Z_EN: 1
; COMPUTE_PGM_RSRC2:TIDIG_COMP_CNT: 0
; COMPUTE_PGM_RSRC3_GFX90A:ACCUM_OFFSET: 11
; COMPUTE_PGM_RSRC3_GFX90A:TG_SPLIT: 0
	.section	.text._ZN4vllm25paged_attention_v2_kernelIttLi128ELi8ELi128ELNS_18Fp8KVCacheDataTypeE0ELb0ELi512EEEvPfS2_PT_PKS3_PKT0_S9_ifPKiSB_iPKfiiiSD_SD_iiiii,"axG",@progbits,_ZN4vllm25paged_attention_v2_kernelIttLi128ELi8ELi128ELNS_18Fp8KVCacheDataTypeE0ELb0ELi512EEEvPfS2_PT_PKS3_PKT0_S9_ifPKiSB_iPKfiiiSD_SD_iiiii,comdat
	.protected	_ZN4vllm25paged_attention_v2_kernelIttLi128ELi8ELi128ELNS_18Fp8KVCacheDataTypeE0ELb0ELi512EEEvPfS2_PT_PKS3_PKT0_S9_ifPKiSB_iPKfiiiSD_SD_iiiii ; -- Begin function _ZN4vllm25paged_attention_v2_kernelIttLi128ELi8ELi128ELNS_18Fp8KVCacheDataTypeE0ELb0ELi512EEEvPfS2_PT_PKS3_PKT0_S9_ifPKiSB_iPKfiiiSD_SD_iiiii
	.globl	_ZN4vllm25paged_attention_v2_kernelIttLi128ELi8ELi128ELNS_18Fp8KVCacheDataTypeE0ELb0ELi512EEEvPfS2_PT_PKS3_PKT0_S9_ifPKiSB_iPKfiiiSD_SD_iiiii
	.p2align	8
	.type	_ZN4vllm25paged_attention_v2_kernelIttLi128ELi8ELi128ELNS_18Fp8KVCacheDataTypeE0ELb0ELi512EEEvPfS2_PT_PKS3_PKT0_S9_ifPKiSB_iPKfiiiSD_SD_iiiii,@function
_ZN4vllm25paged_attention_v2_kernelIttLi128ELi8ELi128ELNS_18Fp8KVCacheDataTypeE0ELb0ELi512EEEvPfS2_PT_PKS3_PKT0_S9_ifPKiSB_iPKfiiiSD_SD_iiiii: ; @_ZN4vllm25paged_attention_v2_kernelIttLi128ELi8ELi128ELNS_18Fp8KVCacheDataTypeE0ELb0ELi512EEEvPfS2_PT_PKS3_PKT0_S9_ifPKiSB_iPKfiiiSD_SD_iiiii
; %bb.0:
	s_load_dwordx2 s[6:7], s[0:1], 0x40
	s_mov_b32 s24, s3
	s_ashr_i32 s25, s3, 31
	s_lshl_b64 s[8:9], s[24:25], 2
	s_waitcnt lgkmcnt(0)
	s_add_u32 s6, s6, s8
	s_addc_u32 s7, s7, s9
	s_load_dword s25, s[6:7], 0x0
	s_lshl_b32 s33, s4, 9
	s_waitcnt lgkmcnt(0)
	s_cmp_ge_i32 s33, s25
	s_cbranch_scc1 .LBB87_54
; %bb.1:
	s_load_dword s5, s[0:1], 0x90
	s_load_dwordx2 s[10:11], s[0:1], 0x30
	s_waitcnt lgkmcnt(0)
	s_abs_i32 s7, s5
	s_abs_i32 s3, s10
	v_cvt_f32_u32_e32 v1, s3
	s_sub_i32 s8, 0, s3
	s_xor_b32 s6, s5, s10
	s_ashr_i32 s6, s6, 31
	v_rcp_iflag_f32_e32 v1, v1
	s_nop 0
	v_mul_f32_e32 v1, 0x4f7ffffe, v1
	v_cvt_u32_f32_e32 v1, v1
	s_nop 0
	v_readfirstlane_b32 s9, v1
	s_mul_i32 s8, s8, s9
	s_mul_hi_u32 s8, s9, s8
	s_add_i32 s9, s9, s8
	s_mul_hi_u32 s8, s7, s9
	s_mul_i32 s9, s8, s3
	s_sub_i32 s7, s7, s9
	s_add_i32 s10, s8, 1
	s_sub_i32 s9, s7, s3
	s_cmp_ge_u32 s7, s3
	s_cselect_b32 s8, s10, s8
	s_cselect_b32 s7, s9, s7
	s_add_i32 s9, s8, 1
	s_cmp_ge_u32 s7, s3
	s_cselect_b32 s3, s9, s8
	s_xor_b32 s3, s3, s6
	s_sub_i32 s12, s3, s6
	s_abs_i32 s8, s12
	v_cvt_f32_u32_e32 v1, s8
	s_load_dwordx2 s[6:7], s[0:1], 0x50
	s_sub_i32 s3, 0, s8
	s_abs_i32 s9, s2
	v_rcp_iflag_f32_e32 v1, v1
	s_mov_b32 s10, 0
	v_mul_f32_e32 v1, 0x4f7ffffe, v1
	v_cvt_u32_f32_e32 v1, v1
	s_nop 0
	v_readfirstlane_b32 s13, v1
	s_mul_i32 s3, s3, s13
	s_mul_hi_u32 s3, s13, s3
	s_add_i32 s13, s13, s3
	s_waitcnt lgkmcnt(0)
	s_cmp_eq_u64 s[6:7], 0
	s_mul_hi_u32 s16, s9, s13
	s_cbranch_scc1 .LBB87_3
; %bb.2:
	s_ashr_i32 s3, s2, 31
	s_lshl_b64 s[14:15], s[2:3], 2
	s_add_u32 s6, s6, s14
	s_addc_u32 s7, s7, s15
	s_load_dword s10, s[6:7], 0x0
.LBB87_3:
	s_ashr_i32 s18, s12, 31
	s_load_dwordx4 s[12:15], s[0:1], 0x58
	s_movk_i32 s3, 0x80
	s_ashr_i32 s17, s2, 31
	v_and_b32_e32 v4, 7, v0
	s_lshl_b32 s20, s2, 7
	v_cmp_gt_u32_e32 vcc, s3, v0
	v_lshlrev_b32_e32 v1, 1, v0
	s_and_saveexec_b64 s[6:7], vcc
	s_cbranch_execz .LBB87_5
; %bb.4:
	s_load_dwordx2 s[22:23], s[0:1], 0x18
	s_waitcnt lgkmcnt(0)
	s_mul_i32 s26, s24, s12
	s_ashr_i32 s27, s26, 31
	s_lshl_b64 s[26:27], s[26:27], 1
	v_lshrrev_b32_e32 v3, 2, v0
	s_add_u32 s3, s22, s26
	s_addc_u32 s12, s23, s27
	s_ashr_i32 s21, s20, 31
	s_lshl_b64 s[22:23], s[20:21], 1
	s_add_u32 s22, s3, s22
	s_addc_u32 s23, s12, s23
	global_load_ushort v2, v1, s[22:23]
	v_and_b32_e32 v3, 0xfe, v3
	v_lshl_add_u32 v3, v4, 5, v3
	s_waitcnt vmcnt(0)
	ds_write_b16 v3, v2
.LBB87_5:
	s_or_b64 exec, exec, s[6:7]
	s_add_i32 s3, s25, 7
	s_ashr_i32 s6, s3, 31
	s_lshr_b32 s6, s6, 29
	s_add_i32 s3, s3, s6
	s_ashr_i32 s40, s3, 3
	s_lshl_b32 s3, s4, 6
	s_mul_i32 s7, s16, s8
	s_add_i32 s6, s3, 64
	s_sub_i32 s7, s9, s7
	s_min_i32 s21, s6, s40
	s_xor_b32 s6, s17, s18
	s_add_i32 s9, s16, 1
	s_waitcnt lgkmcnt(0)
	s_sub_i32 s12, s7, s8
	s_cmp_ge_u32 s7, s8
	s_cselect_b32 s9, s9, s16
	s_cselect_b32 s7, s12, s7
	s_add_i32 s12, s9, 1
	s_cmp_ge_u32 s7, s8
	s_load_dwordx2 s[26:27], s[0:1], 0x38
	s_load_dword s8, s[0:1], 0x48
	v_lshrrev_b32_e32 v12, 6, v0
	s_cselect_b32 s7, s12, s9
	s_xor_b32 s7, s7, s6
	v_or_b32_e32 v6, s3, v12
	s_waitcnt lgkmcnt(0)
	s_mul_i32 s28, s24, s8
	s_sub_i32 s15, s7, s6
	s_ashr_i32 s29, s28, 31
	v_cmp_gt_i32_e64 s[8:9], s21, v6
	v_cmp_le_i32_e32 vcc, s21, v6
	v_mbcnt_lo_u32_b32 v15, -1, 0
	s_barrier
	s_waitcnt lgkmcnt(0)
                                        ; implicit-def: $sgpr36
                                        ; implicit-def: $vgpr8
                                        ; implicit-def: $vgpr9
	s_and_saveexec_b64 s[6:7], vcc
	s_xor_b64 s[6:7], exec, s[6:7]
; %bb.6:
	v_mbcnt_hi_u32_b32 v8, -1, v15
	v_and_b32_e32 v2, 64, v8
	v_add_u32_e32 v9, 64, v2
	s_mov_b32 s36, 0xff7fffff
                                        ; implicit-def: $vgpr4
                                        ; implicit-def: $vgpr15
; %bb.7:
	s_or_saveexec_b64 s[34:35], s[6:7]
	s_load_dwordx4 s[16:19], s[0:1], 0x0
	s_load_dwordx2 s[22:23], s[0:1], 0x10
	s_load_dwordx2 s[30:31], s[0:1], 0x28
	s_load_dword s12, s[0:1], 0x98
	v_mov_b32_e32 v10, s36
	s_mul_i32 s14, s15, s14
	v_ashrrev_i32_e32 v7, 31, v6
	s_xor_b64 exec, exec, s[34:35]
	s_cbranch_execz .LBB87_13
; %bb.8:
	s_load_dwordx2 s[0:1], s[0:1], 0x20
	s_ashr_i32 s15, s14, 31
	s_lshl_b64 s[6:7], s[14:15], 1
	v_bfe_u32 v5, v0, 3, 3
	v_lshlrev_b32_e32 v2, 4, v5
	s_waitcnt lgkmcnt(0)
	s_add_u32 s0, s0, s6
	s_addc_u32 s1, s1, s7
	v_mov_b32_e32 v3, 0
	v_lshl_add_u64 v[8:9], s[0:1], 0, v[2:3]
	v_lshlrev_b32_e32 v2, 1, v4
	v_lshlrev_b32_e32 v11, 5, v4
	v_cmp_eq_u32_e32 vcc, 0, v4
	s_sub_i32 s15, 1, s25
	v_lshlrev_b32_e32 v4, 3, v12
	s_lshl_b64 s[0:1], s[28:29], 2
	v_lshl_add_u64 v[2:3], v[8:9], 0, v[2:3]
	v_add3_u32 v13, s33, v4, v5
	v_lshlrev_b32_e32 v4, 2, v5
	s_add_u32 s0, s26, s0
	v_mbcnt_hi_u32_b32 v8, -1, v15
	v_lshl_or_b32 v4, v12, 5, v4
	s_addc_u32 s1, s27, s1
	v_and_b32_e32 v9, 64, v8
	s_mov_b32 s41, s13
	v_cmp_neq_f32_e64 s[6:7], s10, 0
	v_add_u32_e32 v14, 0x110, v4
	v_lshl_add_u64 v[4:5], v[6:7], 2, s[0:1]
	s_mov_b64 s[36:37], 0
	v_mov_b32_e32 v10, 0xff7fffff
	v_add_u32_e32 v9, 64, v9
	v_xor_b32_e32 v15, 4, v8
	v_xor_b32_e32 v16, 2, v8
	;; [unrolled: 1-line block ×3, first 2 shown]
	v_mov_b32_e32 v18, v6
	s_branch .LBB87_10
.LBB87_9:                               ;   in Loop: Header=BB87_10 Depth=1
	s_or_b64 exec, exec, s[38:39]
	v_add_u32_e32 v18, 2, v18
	v_cmp_le_i32_e64 s[0:1], s21, v18
	v_add_u32_e32 v13, 16, v13
	v_add_u32_e32 v14, 64, v14
	s_or_b64 s[36:37], s[0:1], s[36:37]
	v_lshl_add_u64 v[4:5], v[4:5], 0, 8
	s_andn2_b64 exec, exec, s[36:37]
	s_cbranch_execz .LBB87_12
.LBB87_10:                              ; =>This Inner Loop Header: Depth=1
	global_load_dword v19, v[4:5], off
	s_waitcnt vmcnt(0) lgkmcnt(0)
	v_mad_i64_i32 v[20:21], s[0:1], v19, s41, 0
	v_lshl_add_u64 v[20:21], v[20:21], 1, v[2:3]
	global_load_ushort v19, v[20:21], off
	global_load_ushort v22, v[20:21], off offset:128
	global_load_ushort v23, v[20:21], off offset:256
	;; [unrolled: 1-line block ×10, first 2 shown]
	ds_read_u16 v32, v11
	global_load_ushort v33, v[20:21], off offset:1408
	global_load_ushort v34, v[20:21], off offset:1536
	global_load_ushort v35, v[20:21], off offset:1664
	global_load_ushort v36, v[20:21], off offset:1792
	global_load_ushort v37, v[20:21], off offset:1920
	s_waitcnt lgkmcnt(0)
	;;#ASMSTART
	v_cvt_f32_f16 v20, v32;
	;;#ASMEND
	v_cmp_lt_i32_e64 s[0:1], v15, v9
	s_waitcnt vmcnt(15)
	;;#ASMSTART
	v_cvt_f32_f16 v19, v19;
	;;#ASMEND
	ds_read_u16 v21, v11 offset:2
	s_waitcnt lgkmcnt(0)
	;;#ASMSTART
	v_cvt_f32_f16 v21, v21;
	;;#ASMEND
	s_waitcnt vmcnt(14)
	;;#ASMSTART
	v_cvt_f32_f16 v22, v22;
	;;#ASMEND
	ds_read_u16 v32, v11 offset:4
	v_mul_f32_e32 v21, v21, v22
	v_fmac_f32_e32 v21, v20, v19
	s_waitcnt lgkmcnt(0)
	;;#ASMSTART
	v_cvt_f32_f16 v32, v32;
	;;#ASMEND
	s_waitcnt vmcnt(13)
	;;#ASMSTART
	v_cvt_f32_f16 v23, v23;
	;;#ASMEND
	ds_read_u16 v38, v11 offset:6
	v_fmac_f32_e32 v21, v32, v23
	s_waitcnt lgkmcnt(0)
	;;#ASMSTART
	v_cvt_f32_f16 v38, v38;
	;;#ASMEND
	s_waitcnt vmcnt(12)
	;;#ASMSTART
	v_cvt_f32_f16 v24, v24;
	;;#ASMEND
	ds_read_u16 v39, v11 offset:8
	;; [unrolled: 10-line block ×12, first 2 shown]
	v_fmac_f32_e32 v21, v22, v23
	v_cndmask_b32_e64 v47, v8, v15, s[0:1]
	s_waitcnt lgkmcnt(0)
	;;#ASMSTART
	v_cvt_f32_f16 v24, v24;
	;;#ASMEND
	s_waitcnt vmcnt(1)
	;;#ASMSTART
	v_cvt_f32_f16 v25, v36;
	;;#ASMEND
	v_lshlrev_b32_e32 v47, 2, v47
	v_fmac_f32_e32 v21, v24, v25
	ds_read_u16 v26, v11 offset:30
	s_waitcnt lgkmcnt(0)
	;;#ASMSTART
	v_cvt_f32_f16 v19, v26;
	;;#ASMEND
	s_waitcnt vmcnt(0)
	;;#ASMSTART
	v_cvt_f32_f16 v20, v37;
	;;#ASMEND
	v_cmp_lt_i32_e64 s[0:1], v16, v9
	v_fmac_f32_e32 v21, v19, v20
	ds_bpermute_b32 v19, v47, v21
	v_cndmask_b32_e64 v20, v8, v16, s[0:1]
	v_lshlrev_b32_e32 v20, 2, v20
	v_cmp_lt_i32_e64 s[0:1], v17, v9
	s_waitcnt lgkmcnt(0)
	v_add_f32_e32 v19, v21, v19
	ds_bpermute_b32 v20, v20, v19
	v_cndmask_b32_e64 v21, v8, v17, s[0:1]
	s_waitcnt lgkmcnt(0)
	v_add_f32_e32 v19, v19, v20
	v_lshlrev_b32_e32 v20, 2, v21
	ds_bpermute_b32 v20, v20, v19
	s_and_saveexec_b64 s[38:39], vcc
	s_cbranch_execz .LBB87_9
; %bb.11:                               ;   in Loop: Header=BB87_10 Depth=1
	v_add_u32_e32 v21, s15, v13
	v_cvt_f32_i32_e32 v21, v21
	s_waitcnt lgkmcnt(0)
	v_add_f32_e32 v19, v19, v20
	v_cmp_gt_i32_e64 s[0:1], s25, v13
	v_max_f32_e32 v20, v10, v10
	v_mul_f32_e32 v21, s10, v21
	v_cndmask_b32_e64 v21, 0, v21, s[6:7]
	v_fmac_f32_e32 v21, s11, v19
	v_cndmask_b32_e64 v19, 0, v21, s[0:1]
	ds_write_b32 v14, v19
	v_max_f32_e32 v19, v20, v21
	v_cndmask_b32_e64 v10, v10, v19, s[0:1]
	s_branch .LBB87_9
.LBB87_12:
	s_or_b64 exec, exec, s[36:37]
.LBB87_13:
	s_or_b64 exec, exec, s[34:35]
	v_xor_b32_e32 v2, 32, v8
	v_cmp_lt_i32_e32 vcc, v2, v9
	v_xor_b32_e32 v5, 16, v8
	v_max_f32_e32 v4, v10, v10
	v_cndmask_b32_e32 v2, v8, v2, vcc
	v_lshlrev_b32_e32 v3, 2, v2
	ds_bpermute_b32 v2, v3, v10
	v_cmp_lt_i32_e32 vcc, v5, v9
	v_and_b32_e32 v16, 63, v0
	s_waitcnt lgkmcnt(0)
	v_max_f32_e32 v2, v2, v2
	v_max_f32_e32 v2, v4, v2
	v_cndmask_b32_e32 v4, v8, v5, vcc
	v_lshlrev_b32_e32 v10, 2, v4
	ds_bpermute_b32 v4, v10, v2
	v_xor_b32_e32 v5, 8, v8
	v_cmp_lt_i32_e32 vcc, v5, v9
	s_waitcnt lgkmcnt(0)
	v_max_f32_e32 v4, v4, v4
	v_max_f32_e32 v4, v2, v4
	v_cndmask_b32_e32 v2, v8, v5, vcc
	v_lshlrev_b32_e32 v11, 2, v2
	ds_bpermute_b32 v5, v11, v4
	v_cmp_eq_u32_e32 vcc, 0, v16
	v_lshlrev_b32_e32 v2, 2, v12
	s_and_saveexec_b64 s[0:1], vcc
	s_cbranch_execz .LBB87_15
; %bb.14:
	s_waitcnt lgkmcnt(0)
	v_max_f32_e32 v5, v5, v5
	v_max_f32_e32 v4, v4, v4
	;; [unrolled: 1-line block ×3, first 2 shown]
	ds_write_b32 v2, v4 offset:256
.LBB87_15:
	s_or_b64 exec, exec, s[0:1]
	v_cmp_gt_u32_e64 s[0:1], 2, v16
	v_mov_b32_e32 v4, 0xff7fffff
	s_waitcnt lgkmcnt(0)
	v_lshlrev_b32_e32 v5, 2, v16
	s_barrier
	s_and_saveexec_b64 s[6:7], s[0:1]
	s_cbranch_execz .LBB87_17
; %bb.16:
	ds_read_b32 v4, v5 offset:256
.LBB87_17:
	s_or_b64 exec, exec, s[6:7]
	v_xor_b32_e32 v13, 1, v8
	v_cmp_lt_i32_e64 s[6:7], v13, v9
	s_sub_i32 s3, s21, s3
	s_lshl_b32 s3, s3, 3
	v_cndmask_b32_e64 v13, v8, v13, s[6:7]
	v_lshlrev_b32_e32 v13, 2, v13
	s_waitcnt lgkmcnt(0)
	ds_bpermute_b32 v14, v13, v4
	v_max_f32_e32 v4, v4, v4
	s_add_i32 s3, s3, s33
	s_min_i32 s15, s3, s25
	s_sub_i32 s3, s15, s33
	s_waitcnt lgkmcnt(0)
	v_max_f32_e32 v14, v14, v14
	v_max_f32_e32 v4, v4, v14
	v_lshlrev_b32_e32 v14, 2, v8
	v_and_b32_e32 v14, 0xffffff00, v14
	ds_bpermute_b32 v4, v14, v4
	v_cmp_gt_i32_e64 s[6:7], s3, v0
	v_mov_b32_e32 v15, 0
	s_and_saveexec_b64 s[34:35], s[6:7]
	s_cbranch_execz .LBB87_21
; %bb.18:
	v_mov_b32_e32 v15, 0x110
	v_lshl_add_u32 v17, v0, 2, v15
	s_mov_b64 s[36:37], 0
	v_mov_b32_e32 v15, 0
	v_mov_b32_e32 v18, v0
.LBB87_19:                              ; =>This Inner Loop Header: Depth=1
	ds_read_b32 v19, v17
	v_add_u32_e32 v18, 0x80, v18
	v_cmp_le_i32_e64 s[10:11], s3, v18
	s_or_b64 s[36:37], s[10:11], s[36:37]
	s_waitcnt lgkmcnt(0)
	v_sub_f32_e32 v19, v19, v4
	v_mul_f32_e32 v19, 0x3fb8aa3b, v19
	v_exp_f32_e32 v19, v19
	ds_write_b32 v17, v19
	v_add_f32_e32 v15, v15, v19
	v_add_u32_e32 v17, 0x200, v17
	s_andn2_b64 exec, exec, s[36:37]
	s_cbranch_execnz .LBB87_19
; %bb.20:
	s_or_b64 exec, exec, s[36:37]
.LBB87_21:
	s_or_b64 exec, exec, s[34:35]
	ds_bpermute_b32 v3, v3, v15
	s_waitcnt lgkmcnt(0)
	v_add_f32_e32 v3, v15, v3
	ds_bpermute_b32 v10, v10, v3
	s_waitcnt lgkmcnt(0)
	v_add_f32_e32 v3, v3, v10
	ds_bpermute_b32 v10, v11, v3
	v_xor_b32_e32 v11, 4, v8
	v_cmp_lt_i32_e64 s[10:11], v11, v9
	s_waitcnt lgkmcnt(0)
	v_add_f32_e32 v3, v3, v10
	v_cndmask_b32_e64 v11, v8, v11, s[10:11]
	v_lshlrev_b32_e32 v11, 2, v11
	ds_bpermute_b32 v10, v11, v3
	v_xor_b32_e32 v11, 2, v8
	v_cmp_lt_i32_e64 s[10:11], v11, v9
	s_waitcnt lgkmcnt(0)
	v_add_f32_e32 v3, v3, v10
	v_cndmask_b32_e64 v8, v8, v11, s[10:11]
	v_lshlrev_b32_e32 v8, 2, v8
	ds_bpermute_b32 v8, v8, v3
	s_waitcnt lgkmcnt(0)
	v_add_f32_e32 v3, v3, v8
	ds_bpermute_b32 v8, v13, v3
	s_waitcnt lgkmcnt(0)
	v_add_f32_e32 v3, v3, v8
	s_and_saveexec_b64 s[10:11], vcc
	s_cbranch_execz .LBB87_23
; %bb.22:
	ds_write_b32 v2, v3 offset:264
.LBB87_23:
	s_or_b64 exec, exec, s[10:11]
	s_waitcnt lgkmcnt(0)
	s_barrier
	s_and_saveexec_b64 s[10:11], s[0:1]
	s_cbranch_execz .LBB87_25
; %bb.24:
	ds_read_b32 v3, v5 offset:264
.LBB87_25:
	s_or_b64 exec, exec, s[10:11]
	s_waitcnt lgkmcnt(0)
	ds_bpermute_b32 v2, v13, v3
	s_waitcnt lgkmcnt(0)
	v_add_f32_e32 v2, v3, v2
	ds_bpermute_b32 v5, v14, v2
	s_and_saveexec_b64 s[0:1], s[6:7]
	s_cbranch_execz .LBB87_38
; %bb.26:
	s_waitcnt lgkmcnt(0)
	v_add_f32_e32 v2, 0x358637bd, v5
	v_div_scale_f32 v3, s[6:7], v2, v2, 1.0
	v_rcp_f32_e32 v8, v3
	v_div_scale_f32 v9, vcc, 1.0, v2, 1.0
	s_movk_i32 s6, 0x7f
	v_fma_f32 v10, -v3, v8, 1.0
	v_fmac_f32_e32 v8, v10, v8
	v_mul_f32_e32 v10, v9, v8
	v_fma_f32 v11, -v3, v10, v9
	v_fmac_f32_e32 v10, v11, v8
	v_fma_f32 v3, -v3, v10, v9
	v_div_fmas_f32 v3, v3, v8, v10
	v_div_fixup_f32 v2, v3, v2, 1.0
	v_xad_u32 v3, v0, -1, s15
	v_subrev_u32_e32 v8, s33, v3
	v_cmp_lt_u32_e32 vcc, s6, v8
	s_mov_b64 s[10:11], -1
	v_mov_b32_e32 v3, v0
	s_and_saveexec_b64 s[6:7], vcc
	s_cbranch_execz .LBB87_35
; %bb.27:
	v_lshrrev_b32_e32 v8, 7, v8
	v_add_u32_e32 v10, -1, v8
	v_lshrrev_b32_e32 v9, 1, v10
	v_mov_b32_e32 v3, v2
	v_add_u32_e32 v9, 1, v9
	v_cmp_lt_u32_e32 vcc, 13, v10
	v_mov_b32_e32 v13, 0
	s_and_saveexec_b64 s[10:11], vcc
	s_cbranch_execz .LBB87_31
; %bb.28:
	v_mov_b32_e32 v11, 0x110
	v_and_b32_e32 v10, -8, v9
	v_lshl_add_u32 v11, v0, 2, v11
	s_mov_b32 s15, 0
	s_mov_b64 s[34:35], 0
.LBB87_29:                              ; =>This Inner Loop Header: Depth=1
	ds_read2st64_b32 v[14:15], v11 offset1:2
	ds_read2st64_b32 v[18:19], v11 offset0:4 offset1:6
	ds_read2st64_b32 v[20:21], v11 offset0:8 offset1:10
	ds_read2st64_b32 v[22:23], v11 offset0:12 offset1:14
	v_add_u32_e32 v10, -8, v10
	s_waitcnt lgkmcnt(3)
	v_pk_mul_f32 v[14:15], v[2:3], v[14:15]
	s_waitcnt lgkmcnt(2)
	v_pk_mul_f32 v[18:19], v[2:3], v[18:19]
	ds_write2st64_b32 v11, v14, v15 offset1:2
	ds_write2st64_b32 v11, v18, v19 offset0:4 offset1:6
	ds_read2st64_b32 v[18:19], v11 offset0:16 offset1:18
	s_waitcnt lgkmcnt(4)
	v_pk_mul_f32 v[14:15], v[2:3], v[20:21]
	ds_write2st64_b32 v11, v14, v15 offset0:8 offset1:10
	s_waitcnt lgkmcnt(4)
	v_pk_mul_f32 v[14:15], v[2:3], v[22:23]
	ds_write2st64_b32 v11, v14, v15 offset0:12 offset1:14
	ds_read2st64_b32 v[14:15], v11 offset0:20 offset1:22
	s_waitcnt lgkmcnt(3)
	v_pk_mul_f32 v[18:19], v[2:3], v[18:19]
	ds_read2st64_b32 v[20:21], v11 offset0:24 offset1:26
	ds_write2st64_b32 v11, v18, v19 offset0:16 offset1:18
	ds_read2st64_b32 v[18:19], v11 offset0:28 offset1:30
	s_waitcnt lgkmcnt(3)
	v_pk_mul_f32 v[14:15], v[2:3], v[14:15]
	ds_write2st64_b32 v11, v14, v15 offset0:20 offset1:22
	s_waitcnt lgkmcnt(3)
	v_pk_mul_f32 v[14:15], v[2:3], v[20:21]
	ds_write2st64_b32 v11, v14, v15 offset0:24 offset1:26
	s_waitcnt lgkmcnt(2)
	v_pk_mul_f32 v[14:15], v[2:3], v[18:19]
	s_add_i32 s15, s15, 16
	v_cmp_eq_u32_e32 vcc, 0, v10
	ds_write2st64_b32 v11, v14, v15 offset0:28 offset1:30
	v_add_u32_e32 v11, 0x2000, v11
	s_or_b64 s[34:35], vcc, s[34:35]
	v_mov_b32_e32 v13, s15
	s_andn2_b64 exec, exec, s[34:35]
	s_cbranch_execnz .LBB87_29
; %bb.30:
	s_or_b64 exec, exec, s[34:35]
.LBB87_31:
	s_or_b64 exec, exec, s[10:11]
	v_and_b32_e32 v9, 7, v9
	v_cmp_ne_u32_e32 vcc, 0, v9
	s_and_saveexec_b64 s[10:11], vcc
	s_cbranch_execz .LBB87_34
; %bb.32:
	v_lshlrev_b32_e32 v10, 9, v13
	v_lshlrev_b32_e32 v11, 2, v0
	s_movk_i32 s15, 0x110
	v_add3_u32 v10, v10, v11, s15
	s_mov_b64 s[34:35], 0
.LBB87_33:                              ; =>This Inner Loop Header: Depth=1
	ds_read2st64_b32 v[14:15], v10 offset1:2
	v_add_u32_e32 v9, -1, v9
	v_cmp_eq_u32_e32 vcc, 0, v9
	s_or_b64 s[34:35], vcc, s[34:35]
	s_waitcnt lgkmcnt(0)
	v_pk_mul_f32 v[14:15], v[2:3], v[14:15]
	ds_write2st64_b32 v10, v14, v15 offset1:2
	v_add_u32_e32 v10, 0x400, v10
	s_andn2_b64 exec, exec, s[34:35]
	s_cbranch_execnz .LBB87_33
.LBB87_34:
	s_or_b64 exec, exec, s[10:11]
	v_add_u32_e32 v8, 1, v8
	v_and_b32_e32 v9, 0x3fffffe, v8
	v_cmp_ne_u32_e32 vcc, v8, v9
	v_lshl_add_u32 v3, v9, 7, v0
	s_orn2_b64 s[10:11], vcc, exec
.LBB87_35:
	s_or_b64 exec, exec, s[6:7]
	s_and_b64 exec, exec, s[10:11]
	s_cbranch_execz .LBB87_38
; %bb.36:
	v_mov_b32_e32 v8, 0x110
	v_lshl_add_u32 v8, v3, 2, v8
	s_mov_b64 s[6:7], 0
.LBB87_37:                              ; =>This Inner Loop Header: Depth=1
	ds_read_b32 v9, v8
	v_add_u32_e32 v3, 0x80, v3
	v_cmp_le_i32_e32 vcc, s3, v3
	s_or_b64 s[6:7], vcc, s[6:7]
	s_waitcnt lgkmcnt(0)
	v_mul_f32_e32 v9, v2, v9
	ds_write_b32 v8, v9
	v_add_u32_e32 v8, 0x200, v8
	s_andn2_b64 exec, exec, s[6:7]
	s_cbranch_execnz .LBB87_37
.LBB87_38:
	s_or_b64 exec, exec, s[0:1]
	s_mul_i32 s1, s12, s24
	s_mov_b32 s0, 0
	v_cmp_eq_u32_e32 vcc, 0, v0
	s_mul_i32 s6, s1, s5
	s_waitcnt lgkmcnt(0)
	s_barrier
	s_and_saveexec_b64 s[10:11], vcc
	s_cbranch_execz .LBB87_40
; %bb.39:
	s_ashr_i32 s7, s6, 31
	s_lshl_b64 s[34:35], s[6:7], 2
	s_add_u32 s1, s18, s34
	s_mul_i32 s2, s12, s2
	s_addc_u32 s5, s19, s35
	s_ashr_i32 s3, s2, 31
	s_lshl_b64 s[2:3], s[2:3], 2
	s_add_u32 s1, s1, s2
	s_addc_u32 s7, s5, s3
	s_ashr_i32 s5, s4, 31
	s_lshl_b64 s[18:19], s[4:5], 2
	s_add_u32 s36, s1, s18
	s_addc_u32 s37, s7, s19
	s_add_u32 s1, s16, s34
	s_addc_u32 s5, s17, s35
	;; [unrolled: 2-line block ×3, first 2 shown]
	s_add_u32 s2, s1, s18
	v_mov_b32_e32 v2, 0
	s_addc_u32 s3, s3, s19
	global_store_dword v2, v4, s[36:37]
	global_store_dword v2, v5, s[2:3]
.LBB87_40:
	s_or_b64 exec, exec, s[10:11]
	s_mov_b32 s1, s0
	v_mov_b64_e32 v[8:9], s[0:1]
	s_and_saveexec_b64 s[2:3], s[8:9]
	s_cbranch_execz .LBB87_48
; %bb.41:
	s_ashr_i32 s15, s14, 31
	s_lshl_b64 s[0:1], s[14:15], 1
	s_add_u32 s0, s30, s0
	s_addc_u32 s1, s31, s1
	v_lshlrev_b32_e32 v8, 4, v16
	v_mov_b32_e32 v9, 0
	s_add_i32 s40, s40, -1
	v_lshl_add_u64 v[10:11], s[0:1], 0, v[8:9]
	s_lshl_b64 s[0:1], s[28:29], 2
	s_add_u32 s0, s26, s0
	v_mov_b32_e32 v2, 0x110
	s_addc_u32 s1, s27, s1
	s_mov_b32 s5, s13
	s_mov_b32 s7, s25
	;; [unrolled: 1-line block ×8, first 2 shown]
	v_lshl_add_u32 v17, v12, 3, s33
	v_lshl_add_u32 v18, v12, 5, v2
	v_lshl_add_u64 v[12:13], v[6:7], 2, s[0:1]
	s_mov_b64 s[8:9], 0
	s_mov_b32 s19, 0x5040100
	v_mov_b32_e32 v8, v9
	s_branch .LBB87_43
.LBB87_42:                              ;   in Loop: Header=BB87_43 Depth=1
	s_or_b64 exec, exec, s[0:1]
	s_waitcnt vmcnt(0)
	;;#ASMSTART
	v_pk_mul_f16 v2, v28, v2;

	;;#ASMEND
	;;#ASMSTART
	v_pk_mul_f16 v3, v27, v3;

	;;#ASMEND
	;; [unrolled: 4-line block ×4, first 2 shown]
	v_add_u32_e32 v6, 2, v6
	;;#ASMSTART
	v_pk_add_f16 v2, v2, v3;

	;;#ASMEND
	v_add_f32_e32 v7, v29, v30
	;;#ASMSTART
	v_pk_add_f16 v2, v2, v4;

	;;#ASMEND
	v_cmp_le_i32_e32 vcc, s21, v6
	;;#ASMSTART
	v_pk_add_f16 v2, v2, v5;

	;;#ASMEND
	v_add_f32_e32 v8, v8, v7
	v_lshrrev_b32_e32 v3, 16, v2
	v_and_b32_e32 v2, 0xffff, v2
	;;#ASMSTART
	v_cvt_f32_f16 v2, v2;
	;;#ASMEND
	;;#ASMSTART
	v_cvt_f32_f16 v3, v3;
	;;#ASMEND
	v_add_u32_e32 v17, 16, v17
	v_add_f32_e32 v2, v2, v3
	v_add_f32_e32 v9, v9, v2
	v_add_u32_e32 v18, 64, v18
	s_or_b64 s[8:9], vcc, s[8:9]
	v_lshl_add_u64 v[12:13], v[12:13], 0, 8
	s_andn2_b64 exec, exec, s[8:9]
	s_cbranch_execz .LBB87_47
.LBB87_43:                              ; =>This Inner Loop Header: Depth=1
	global_load_dword v7, v[12:13], off
	ds_read2_b64 v[2:5], v18 offset1:1
	ds_read2_b64 v[20:23], v18 offset0:2 offset1:3
	v_cmp_eq_u32_e32 vcc, s40, v6
	v_or_b32_e32 v19, 2, v17
	s_waitcnt lgkmcnt(1)
	;;#ASMSTART
	v_cvt_f16_f32 v25, v2;

	;;#ASMEND
	;;#ASMSTART
	v_cvt_f16_f32 v26, v3;

	;;#ASMEND
	;; [unrolled: 4-line block ×4, first 2 shown]
	s_waitcnt lgkmcnt(0)
	;;#ASMSTART
	v_cvt_f16_f32 v30, v20;

	;;#ASMEND
	;;#ASMSTART
	v_cvt_f16_f32 v31, v21;

	;;#ASMEND
	;; [unrolled: 4-line block ×4, first 2 shown]
	v_or_b32_e32 v20, 3, v17
	v_or_b32_e32 v22, 5, v17
	;; [unrolled: 1-line block ×5, first 2 shown]
	s_waitcnt vmcnt(0)
	v_mad_i64_i32 v[2:3], s[0:1], v7, s5, 0
	v_lshl_add_u64 v[14:15], v[2:3], 1, v[10:11]
	global_load_dwordx4 v[2:5], v[14:15], off
	v_add_u32_e32 v7, 1, v17
	s_and_saveexec_b64 s[10:11], vcc
	s_cbranch_execz .LBB87_45
; %bb.44:                               ;   in Loop: Header=BB87_43 Depth=1
	s_waitcnt vmcnt(0)
	v_lshrrev_b32_e32 v28, 16, v5
	v_cmp_gt_i32_e64 s[0:1], s18, v24
	s_nop 1
	v_cndmask_b32_e64 v28, 0, v28, s[0:1]
	v_cmp_gt_i32_e64 s[0:1], s17, v23
	s_nop 1
	v_cndmask_b32_e64 v5, 0, v5, s[0:1]
	v_perm_b32 v5, v28, v5, s19
	v_lshrrev_b32_e32 v28, 16, v4
	v_cmp_gt_i32_e64 s[0:1], s16, v22
	s_nop 1
	v_cndmask_b32_e64 v28, 0, v28, s[0:1]
	v_cmp_gt_i32_e64 s[0:1], s15, v21
	s_nop 1
	v_cndmask_b32_e64 v4, 0, v4, s[0:1]
	v_perm_b32 v4, v28, v4, s19
	;; [unrolled: 8-line block ×4, first 2 shown]
.LBB87_45:                              ;   in Loop: Header=BB87_43 Depth=1
	s_or_b64 exec, exec, s[10:11]
	v_and_b32_e32 v25, 0xffff, v25
	v_lshl_or_b32 v28, v26, 16, v25
	v_and_b32_e32 v25, 0xffff, v27
	v_lshl_or_b32 v27, v29, 16, v25
	;; [unrolled: 2-line block ×3, first 2 shown]
	v_and_b32_e32 v25, 0xffff, v32
	s_waitcnt vmcnt(0)
	;;#ASMSTART
	v_pk_mul_f16 v2, v28, v2;

	;;#ASMEND
	v_lshl_or_b32 v25, v33, 16, v25
	;;#ASMSTART
	v_pk_mul_f16 v3, v27, v3;

	;;#ASMEND
	;;#ASMSTART
	v_pk_mul_f16 v4, v26, v4;

	;;#ASMEND
	;; [unrolled: 4-line block ×3, first 2 shown]
	s_nop 0
	;;#ASMSTART
	v_pk_add_f16 v2, v2, v3;

	;;#ASMEND
	s_nop 0
	;;#ASMSTART
	v_pk_add_f16 v2, v2, v4;

	;;#ASMEND
	;; [unrolled: 5-line block ×3, first 2 shown]
	s_nop 0
	v_lshrrev_b32_e32 v3, 16, v2
	v_and_b32_e32 v2, 0xffff, v2
	;;#ASMSTART
	v_cvt_f32_f16 v29, v2;
	;;#ASMEND
	;;#ASMSTART
	v_cvt_f32_f16 v30, v3;
	;;#ASMEND
	global_load_dwordx4 v[2:5], v[14:15], off offset:1024
	s_and_saveexec_b64 s[0:1], vcc
	s_cbranch_execz .LBB87_42
; %bb.46:                               ;   in Loop: Header=BB87_43 Depth=1
	s_waitcnt vmcnt(0)
	v_lshrrev_b32_e32 v14, 16, v5
	v_cmp_gt_i32_e32 vcc, s18, v24
	s_nop 1
	v_cndmask_b32_e32 v14, 0, v14, vcc
	v_cmp_gt_i32_e32 vcc, s17, v23
	s_nop 1
	v_cndmask_b32_e32 v5, 0, v5, vcc
	v_perm_b32 v5, v14, v5, s19
	v_lshrrev_b32_e32 v14, 16, v4
	v_cmp_gt_i32_e32 vcc, s16, v22
	s_nop 1
	v_cndmask_b32_e32 v14, 0, v14, vcc
	v_cmp_gt_i32_e32 vcc, s15, v21
	s_nop 1
	v_cndmask_b32_e32 v4, 0, v4, vcc
	v_perm_b32 v4, v14, v4, s19
	;; [unrolled: 8-line block ×4, first 2 shown]
	s_branch .LBB87_42
.LBB87_47:
	s_or_b64 exec, exec, s[8:9]
.LBB87_48:
	s_or_b64 exec, exec, s[2:3]
	v_and_b32_e32 v2, 0x3c0, v0
	v_cmp_eq_u32_e32 vcc, 64, v2
	s_barrier
	s_and_saveexec_b64 s[0:1], vcc
	s_cbranch_execz .LBB87_50
; %bb.49:
	v_mov_b32_e32 v2, 0x110
	v_lshl_add_u32 v3, v0, 2, v2
	v_lshl_add_u32 v2, v16, 2, v2
	ds_write_b32 v2, v8
	ds_write_b32 v3, v9
.LBB87_50:
	s_or_b64 exec, exec, s[0:1]
	v_cmp_gt_u32_e32 vcc, 64, v0
	s_waitcnt lgkmcnt(0)
	s_barrier
	s_and_saveexec_b64 s[0:1], vcc
	s_cbranch_execz .LBB87_52
; %bb.51:
	v_mov_b32_e32 v2, 0x110
	v_lshl_add_u32 v0, v0, 2, v2
	ds_read2st64_b32 v[2:3], v0 offset1:1
	s_waitcnt lgkmcnt(0)
	v_pk_add_f32 v[8:9], v[8:9], v[2:3]
.LBB87_52:
	s_or_b64 exec, exec, s[0:1]
	s_barrier
	s_and_saveexec_b64 s[0:1], vcc
	s_cbranch_execz .LBB87_54
; %bb.53:
	s_lshl_b32 s0, s6, 7
	s_ashr_i32 s1, s0, 31
	s_lshl_b64 s[0:1], s[0:1], 1
	s_add_u32 s2, s22, s0
	s_mul_i32 s0, s12, s20
	s_addc_u32 s3, s23, s1
	s_ashr_i32 s1, s0, 31
	s_lshl_b64 s[0:1], s[0:1], 1
	s_add_u32 s2, s2, s0
	s_addc_u32 s3, s3, s1
	s_lshl_b32 s0, s4, 7
	s_ashr_i32 s1, s0, 31
	s_lshl_b64 s[0:1], s[0:1], 1
	s_add_u32 s0, s2, s0
	s_addc_u32 s1, s3, s1
	;;#ASMSTART
	v_cvt_f16_f32 v0, v8;

	;;#ASMEND
	global_store_short v1, v0, s[0:1]
	;;#ASMSTART
	v_cvt_f16_f32 v0, v9;

	;;#ASMEND
	global_store_short v1, v0, s[0:1] offset:128
.LBB87_54:
	s_endpgm
	.section	.rodata,"a",@progbits
	.p2align	6, 0x0
	.amdhsa_kernel _ZN4vllm25paged_attention_v2_kernelIttLi128ELi8ELi128ELNS_18Fp8KVCacheDataTypeE0ELb0ELi512EEEvPfS2_PT_PKS3_PKT0_S9_ifPKiSB_iPKfiiiSD_SD_iiiii
		.amdhsa_group_segment_fixed_size 272
		.amdhsa_private_segment_fixed_size 0
		.amdhsa_kernarg_size 400
		.amdhsa_user_sgpr_count 2
		.amdhsa_user_sgpr_dispatch_ptr 0
		.amdhsa_user_sgpr_queue_ptr 0
		.amdhsa_user_sgpr_kernarg_segment_ptr 1
		.amdhsa_user_sgpr_dispatch_id 0
		.amdhsa_user_sgpr_kernarg_preload_length 0
		.amdhsa_user_sgpr_kernarg_preload_offset 0
		.amdhsa_user_sgpr_private_segment_size 0
		.amdhsa_uses_dynamic_stack 0
		.amdhsa_enable_private_segment 0
		.amdhsa_system_sgpr_workgroup_id_x 1
		.amdhsa_system_sgpr_workgroup_id_y 1
		.amdhsa_system_sgpr_workgroup_id_z 1
		.amdhsa_system_sgpr_workgroup_info 0
		.amdhsa_system_vgpr_workitem_id 0
		.amdhsa_next_free_vgpr 49
		.amdhsa_next_free_sgpr 42
		.amdhsa_accum_offset 52
		.amdhsa_reserve_vcc 1
		.amdhsa_float_round_mode_32 0
		.amdhsa_float_round_mode_16_64 0
		.amdhsa_float_denorm_mode_32 3
		.amdhsa_float_denorm_mode_16_64 3
		.amdhsa_dx10_clamp 1
		.amdhsa_ieee_mode 1
		.amdhsa_fp16_overflow 0
		.amdhsa_tg_split 0
		.amdhsa_exception_fp_ieee_invalid_op 0
		.amdhsa_exception_fp_denorm_src 0
		.amdhsa_exception_fp_ieee_div_zero 0
		.amdhsa_exception_fp_ieee_overflow 0
		.amdhsa_exception_fp_ieee_underflow 0
		.amdhsa_exception_fp_ieee_inexact 0
		.amdhsa_exception_int_div_zero 0
	.end_amdhsa_kernel
	.section	.text._ZN4vllm25paged_attention_v2_kernelIttLi128ELi8ELi128ELNS_18Fp8KVCacheDataTypeE0ELb0ELi512EEEvPfS2_PT_PKS3_PKT0_S9_ifPKiSB_iPKfiiiSD_SD_iiiii,"axG",@progbits,_ZN4vllm25paged_attention_v2_kernelIttLi128ELi8ELi128ELNS_18Fp8KVCacheDataTypeE0ELb0ELi512EEEvPfS2_PT_PKS3_PKT0_S9_ifPKiSB_iPKfiiiSD_SD_iiiii,comdat
.Lfunc_end87:
	.size	_ZN4vllm25paged_attention_v2_kernelIttLi128ELi8ELi128ELNS_18Fp8KVCacheDataTypeE0ELb0ELi512EEEvPfS2_PT_PKS3_PKT0_S9_ifPKiSB_iPKfiiiSD_SD_iiiii, .Lfunc_end87-_ZN4vllm25paged_attention_v2_kernelIttLi128ELi8ELi128ELNS_18Fp8KVCacheDataTypeE0ELb0ELi512EEEvPfS2_PT_PKS3_PKT0_S9_ifPKiSB_iPKfiiiSD_SD_iiiii
                                        ; -- End function
	.section	.AMDGPU.csdata,"",@progbits
; Kernel info:
; codeLenInByte = 4532
; NumSgprs: 48
; NumVgprs: 49
; NumAgprs: 0
; TotalNumVgprs: 49
; ScratchSize: 0
; MemoryBound: 0
; FloatMode: 240
; IeeeMode: 1
; LDSByteSize: 272 bytes/workgroup (compile time only)
; SGPRBlocks: 5
; VGPRBlocks: 6
; NumSGPRsForWavesPerEU: 48
; NumVGPRsForWavesPerEU: 49
; AccumOffset: 52
; Occupancy: 8
; WaveLimiterHint : 1
; COMPUTE_PGM_RSRC2:SCRATCH_EN: 0
; COMPUTE_PGM_RSRC2:USER_SGPR: 2
; COMPUTE_PGM_RSRC2:TRAP_HANDLER: 0
; COMPUTE_PGM_RSRC2:TGID_X_EN: 1
; COMPUTE_PGM_RSRC2:TGID_Y_EN: 1
; COMPUTE_PGM_RSRC2:TGID_Z_EN: 1
; COMPUTE_PGM_RSRC2:TIDIG_COMP_CNT: 0
; COMPUTE_PGM_RSRC3_GFX90A:ACCUM_OFFSET: 12
; COMPUTE_PGM_RSRC3_GFX90A:TG_SPLIT: 0
	.section	.text._ZN4vllm25paged_attention_v2_kernelIttLi192ELi8ELi128ELNS_18Fp8KVCacheDataTypeE0ELb0ELi512EEEvPfS2_PT_PKS3_PKT0_S9_ifPKiSB_iPKfiiiSD_SD_iiiii,"axG",@progbits,_ZN4vllm25paged_attention_v2_kernelIttLi192ELi8ELi128ELNS_18Fp8KVCacheDataTypeE0ELb0ELi512EEEvPfS2_PT_PKS3_PKT0_S9_ifPKiSB_iPKfiiiSD_SD_iiiii,comdat
	.protected	_ZN4vllm25paged_attention_v2_kernelIttLi192ELi8ELi128ELNS_18Fp8KVCacheDataTypeE0ELb0ELi512EEEvPfS2_PT_PKS3_PKT0_S9_ifPKiSB_iPKfiiiSD_SD_iiiii ; -- Begin function _ZN4vllm25paged_attention_v2_kernelIttLi192ELi8ELi128ELNS_18Fp8KVCacheDataTypeE0ELb0ELi512EEEvPfS2_PT_PKS3_PKT0_S9_ifPKiSB_iPKfiiiSD_SD_iiiii
	.globl	_ZN4vllm25paged_attention_v2_kernelIttLi192ELi8ELi128ELNS_18Fp8KVCacheDataTypeE0ELb0ELi512EEEvPfS2_PT_PKS3_PKT0_S9_ifPKiSB_iPKfiiiSD_SD_iiiii
	.p2align	8
	.type	_ZN4vllm25paged_attention_v2_kernelIttLi192ELi8ELi128ELNS_18Fp8KVCacheDataTypeE0ELb0ELi512EEEvPfS2_PT_PKS3_PKT0_S9_ifPKiSB_iPKfiiiSD_SD_iiiii,@function
_ZN4vllm25paged_attention_v2_kernelIttLi192ELi8ELi128ELNS_18Fp8KVCacheDataTypeE0ELb0ELi512EEEvPfS2_PT_PKS3_PKT0_S9_ifPKiSB_iPKfiiiSD_SD_iiiii: ; @_ZN4vllm25paged_attention_v2_kernelIttLi192ELi8ELi128ELNS_18Fp8KVCacheDataTypeE0ELb0ELi512EEEvPfS2_PT_PKS3_PKT0_S9_ifPKiSB_iPKfiiiSD_SD_iiiii
; %bb.0:
	s_load_dwordx2 s[6:7], s[0:1], 0x40
	s_mov_b32 s28, s3
	s_ashr_i32 s29, s3, 31
	s_lshl_b64 s[8:9], s[28:29], 2
	s_waitcnt lgkmcnt(0)
	s_add_u32 s6, s6, s8
	s_addc_u32 s7, s7, s9
	s_load_dword s33, s[6:7], 0x0
	s_lshl_b32 s40, s4, 9
	s_waitcnt lgkmcnt(0)
	s_cmp_ge_i32 s40, s33
	s_cbranch_scc1 .LBB88_57
; %bb.1:
	s_load_dword s5, s[0:1], 0x90
	s_load_dwordx2 s[10:11], s[0:1], 0x30
	s_waitcnt lgkmcnt(0)
	s_abs_i32 s7, s5
	s_abs_i32 s3, s10
	v_cvt_f32_u32_e32 v1, s3
	s_sub_i32 s8, 0, s3
	s_xor_b32 s6, s5, s10
	s_ashr_i32 s6, s6, 31
	v_rcp_iflag_f32_e32 v1, v1
	s_nop 0
	v_mul_f32_e32 v1, 0x4f7ffffe, v1
	v_cvt_u32_f32_e32 v1, v1
	s_nop 0
	v_readfirstlane_b32 s9, v1
	s_mul_i32 s8, s8, s9
	s_mul_hi_u32 s8, s9, s8
	s_add_i32 s9, s9, s8
	s_mul_hi_u32 s8, s7, s9
	s_mul_i32 s9, s8, s3
	s_sub_i32 s7, s7, s9
	s_add_i32 s10, s8, 1
	s_sub_i32 s9, s7, s3
	s_cmp_ge_u32 s7, s3
	s_cselect_b32 s8, s10, s8
	s_cselect_b32 s7, s9, s7
	s_add_i32 s9, s8, 1
	s_cmp_ge_u32 s7, s3
	s_cselect_b32 s3, s9, s8
	s_xor_b32 s3, s3, s6
	s_sub_i32 s10, s3, s6
	s_abs_i32 s36, s10
	v_cvt_f32_u32_e32 v1, s36
	s_load_dwordx2 s[6:7], s[0:1], 0x50
	s_sub_i32 s3, 0, s36
	s_abs_i32 s37, s2
	v_rcp_iflag_f32_e32 v1, v1
	s_nop 0
	v_mul_f32_e32 v1, 0x4f7ffffe, v1
	v_cvt_u32_f32_e32 v1, v1
	s_nop 0
	v_readfirstlane_b32 s8, v1
	s_mul_i32 s3, s3, s8
	s_mul_hi_u32 s3, s8, s3
	s_add_i32 s8, s8, s3
	s_waitcnt lgkmcnt(0)
	s_cmp_eq_u64 s[6:7], 0
	s_mov_b32 s3, 0
	s_cbranch_scc1 .LBB88_3
; %bb.2:
	s_ashr_i32 s3, s2, 31
	s_lshl_b64 s[12:13], s[2:3], 2
	s_add_u32 s6, s6, s12
	s_addc_u32 s7, s7, s13
	s_load_dword s3, s[6:7], 0x0
.LBB88_3:
	s_load_dwordx4 s[20:23], s[0:1], 0x0
	s_load_dwordx2 s[24:25], s[0:1], 0x10
	s_load_dwordx4 s[12:15], s[0:1], 0x20
	s_load_dwordx2 s[30:31], s[0:1], 0x38
	s_load_dword s29, s[0:1], 0x98
	s_load_dwordx4 s[16:19], s[0:1], 0x58
	v_and_b32_e32 v12, 7, v0
	s_movk_i32 s6, 0xc0
	s_mul_i32 s26, s2, 0xc0
	s_mul_hi_u32 s38, s37, s8
	s_ashr_i32 s27, s26, 31
	v_cmp_gt_u32_e32 vcc, s6, v0
	v_lshlrev_b32_e32 v2, 1, v12
	s_and_saveexec_b64 s[6:7], vcc
	s_cbranch_execz .LBB88_6
; %bb.4:
	s_load_dwordx2 s[8:9], s[0:1], 0x18
	s_waitcnt lgkmcnt(0)
	s_mul_i32 s34, s28, s16
	s_ashr_i32 s35, s34, 31
	s_lshl_b64 s[34:35], s[34:35], 1
	s_lshl_b64 s[42:43], s[26:27], 1
	s_add_u32 s16, s34, s42
	s_addc_u32 s19, s35, s43
	v_lshrrev_b32_e32 v4, 3, v0
	s_add_u32 s8, s8, s16
	v_add_u32_e32 v1, -16, v4
	v_lshlrev_b32_e32 v3, 1, v4
	v_lshl_or_b32 v4, v4, 4, v2
	v_mov_b32_e32 v5, 0
	s_addc_u32 s9, s9, s19
	v_mad_u32_u24 v3, v12, 48, v3
	v_lshl_add_u64 v[4:5], s[8:9], 0, v[4:5]
	s_mov_b64 s[8:9], 0
	s_mov_b64 s[34:35], 0x100
.LBB88_5:                               ; =>This Inner Loop Header: Depth=1
	global_load_ushort v6, v[4:5], off
	v_add_u32_e32 v1, 16, v1
	v_cmp_lt_u32_e32 vcc, 7, v1
	v_lshl_add_u64 v[4:5], v[4:5], 0, s[34:35]
	s_or_b64 s[8:9], vcc, s[8:9]
	s_waitcnt vmcnt(0)
	ds_write_b16 v3, v6
	v_add_u32_e32 v3, 32, v3
	s_andn2_b64 exec, exec, s[8:9]
	s_cbranch_execnz .LBB88_5
.LBB88_6:
	s_or_b64 exec, exec, s[6:7]
	s_add_i32 s8, s33, 7
	s_ashr_i32 s9, s8, 31
	s_ashr_i32 s6, s2, 31
	s_ashr_i32 s7, s10, 31
	s_lshr_b32 s9, s9, 29
	s_add_i32 s8, s8, s9
	s_lshl_b32 s10, s4, 6
	s_xor_b32 s6, s6, s7
	s_mul_i32 s7, s38, s36
	s_ashr_i32 s27, s8, 3
	s_add_i32 s8, s10, 64
	s_sub_i32 s7, s37, s7
	s_waitcnt lgkmcnt(0)
	s_min_i32 s16, s8, s27
	s_add_i32 s8, s38, 1
	s_sub_i32 s9, s7, s36
	s_cmp_ge_u32 s7, s36
	s_load_dword s0, s[0:1], 0x48
	s_cselect_b32 s8, s8, s38
	s_cselect_b32 s7, s9, s7
	s_add_i32 s9, s8, 1
	s_cmp_ge_u32 s7, s36
	v_lshrrev_b32_e32 v1, 6, v0
	s_cselect_b32 s7, s9, s8
	s_xor_b32 s7, s7, s6
	s_waitcnt lgkmcnt(0)
	s_mul_i32 s34, s28, s0
	v_or_b32_e32 v6, s10, v1
	s_sub_i32 s8, s7, s6
	s_ashr_i32 s35, s34, 31
	v_cmp_gt_i32_e64 s[0:1], s16, v6
	v_cmp_le_i32_e32 vcc, s16, v6
	v_mbcnt_lo_u32_b32 v14, -1, 0
	s_barrier
	s_waitcnt lgkmcnt(0)
                                        ; implicit-def: $sgpr9
                                        ; implicit-def: $vgpr8
                                        ; implicit-def: $vgpr9
	s_and_saveexec_b64 s[6:7], vcc
	s_xor_b64 s[6:7], exec, s[6:7]
; %bb.7:
	v_mbcnt_hi_u32_b32 v8, -1, v14
	v_and_b32_e32 v2, 64, v8
	v_add_u32_e32 v9, 64, v2
	s_mov_b32 s9, 0xff7fffff
                                        ; implicit-def: $vgpr2
                                        ; implicit-def: $vgpr12
                                        ; implicit-def: $vgpr14
; %bb.8:
	s_or_saveexec_b64 s[36:37], s[6:7]
	v_mov_b32_e32 v10, s9
	s_mul_i32 s18, s8, s18
	v_ashrrev_i32_e32 v7, 31, v6
	s_xor_b64 exec, exec, s[36:37]
	s_cbranch_execz .LBB88_14
; %bb.9:
	s_ashr_i32 s19, s18, 31
	s_lshl_b64 s[6:7], s[18:19], 1
	v_bfe_u32 v10, v0, 3, 3
	s_add_u32 s6, s12, s6
	s_addc_u32 s7, s13, s7
	v_lshlrev_b32_e32 v4, 4, v10
	v_mov_b32_e32 v5, 0
	v_lshl_add_u64 v[8:9], s[6:7], 0, v[4:5]
	v_mov_b32_e32 v3, v5
	s_sub_i32 s19, 1, s33
	v_lshlrev_b32_e32 v4, 3, v1
	s_lshl_b64 s[8:9], s[34:35], 2
	v_lshl_add_u64 v[2:3], v[8:9], 0, v[2:3]
	v_mul_u32_u24_e32 v11, 48, v12
	v_cmp_eq_u32_e32 vcc, 0, v12
	v_add3_u32 v12, s40, v4, v10
	v_lshlrev_b32_e32 v4, 2, v10
	s_add_u32 s8, s30, s8
	v_mbcnt_hi_u32_b32 v8, -1, v14
	v_lshl_or_b32 v4, v1, 5, v4
	s_addc_u32 s9, s31, s9
	v_and_b32_e32 v9, 64, v8
	s_mov_b32 s41, s17
	v_cmp_neq_f32_e64 s[6:7], s3, 0
	v_add_u32_e32 v13, 0x190, v4
	v_lshl_add_u64 v[4:5], v[6:7], 2, s[8:9]
	s_mov_b64 s[12:13], 0
	v_mov_b32_e32 v10, 0xff7fffff
	v_add_u32_e32 v9, 64, v9
	v_xor_b32_e32 v14, 4, v8
	v_xor_b32_e32 v15, 2, v8
	;; [unrolled: 1-line block ×3, first 2 shown]
	v_mov_b32_e32 v17, v6
	s_branch .LBB88_11
.LBB88_10:                              ;   in Loop: Header=BB88_11 Depth=1
	s_or_b64 exec, exec, s[38:39]
	v_add_u32_e32 v17, 2, v17
	v_cmp_le_i32_e64 s[8:9], s16, v17
	v_add_u32_e32 v12, 16, v12
	v_add_u32_e32 v13, 64, v13
	s_or_b64 s[12:13], s[8:9], s[12:13]
	v_lshl_add_u64 v[4:5], v[4:5], 0, 8
	s_andn2_b64 exec, exec, s[12:13]
	s_cbranch_execz .LBB88_13
.LBB88_11:                              ; =>This Inner Loop Header: Depth=1
	global_load_dword v18, v[4:5], off
	s_waitcnt vmcnt(0) lgkmcnt(0)
	v_mad_i64_i32 v[18:19], s[8:9], v18, s41, 0
	v_lshl_add_u64 v[18:19], v[18:19], 1, v[2:3]
	global_load_ushort v20, v[18:19], off
	global_load_ushort v21, v[18:19], off offset:128
	global_load_ushort v22, v[18:19], off offset:256
	;; [unrolled: 1-line block ×9, first 2 shown]
	ds_read_u16 v30, v11
	global_load_ushort v31, v[18:19], off offset:1280
	global_load_ushort v32, v[18:19], off offset:1408
	;; [unrolled: 1-line block ×14, first 2 shown]
	s_waitcnt lgkmcnt(0)
	;;#ASMSTART
	v_cvt_f32_f16 v18, v30;
	;;#ASMEND
	v_cmp_lt_i32_e64 s[8:9], v14, v9
	s_waitcnt vmcnt(23)
	;;#ASMSTART
	v_cvt_f32_f16 v19, v20;
	;;#ASMEND
	ds_read_u16 v20, v11 offset:2
	s_waitcnt lgkmcnt(0)
	;;#ASMSTART
	v_cvt_f32_f16 v20, v20;
	;;#ASMEND
	s_waitcnt vmcnt(22)
	;;#ASMSTART
	v_cvt_f32_f16 v21, v21;
	;;#ASMEND
	ds_read_u16 v30, v11 offset:4
	v_mul_f32_e32 v20, v20, v21
	v_fmac_f32_e32 v20, v18, v19
	s_waitcnt lgkmcnt(0)
	;;#ASMSTART
	v_cvt_f32_f16 v30, v30;
	;;#ASMEND
	s_waitcnt vmcnt(21)
	;;#ASMSTART
	v_cvt_f32_f16 v22, v22;
	;;#ASMEND
	ds_read_u16 v45, v11 offset:6
	v_fmac_f32_e32 v20, v30, v22
	s_waitcnt lgkmcnt(0)
	;;#ASMSTART
	v_cvt_f32_f16 v45, v45;
	;;#ASMEND
	s_waitcnt vmcnt(20)
	;;#ASMSTART
	v_cvt_f32_f16 v23, v23;
	;;#ASMEND
	ds_read_u16 v46, v11 offset:8
	;; [unrolled: 10-line block ×19, first 2 shown]
	v_fmac_f32_e32 v20, v23, v24
	s_waitcnt lgkmcnt(0)
	;;#ASMSTART
	v_cvt_f32_f16 v25, v25;
	;;#ASMEND
	s_waitcnt vmcnt(2)
	;;#ASMSTART
	v_cvt_f32_f16 v26, v42;
	;;#ASMEND
	v_cndmask_b32_e64 v60, v8, v14, s[8:9]
	v_fmac_f32_e32 v20, v25, v26
	ds_read_u16 v27, v11 offset:44
	s_waitcnt lgkmcnt(0)
	;;#ASMSTART
	v_cvt_f32_f16 v18, v27;
	;;#ASMEND
	s_waitcnt vmcnt(1)
	;;#ASMSTART
	v_cvt_f32_f16 v19, v43;
	;;#ASMEND
	v_lshlrev_b32_e32 v60, 2, v60
	v_fmac_f32_e32 v20, v18, v19
	ds_read_u16 v27, v11 offset:46
	s_waitcnt lgkmcnt(0)
	;;#ASMSTART
	v_cvt_f32_f16 v18, v27;
	;;#ASMEND
	s_waitcnt vmcnt(0)
	;;#ASMSTART
	v_cvt_f32_f16 v19, v44;
	;;#ASMEND
	v_cmp_lt_i32_e64 s[8:9], v15, v9
	v_fmac_f32_e32 v20, v18, v19
	ds_bpermute_b32 v18, v60, v20
	v_cndmask_b32_e64 v19, v8, v15, s[8:9]
	v_lshlrev_b32_e32 v19, 2, v19
	v_cmp_lt_i32_e64 s[8:9], v16, v9
	s_waitcnt lgkmcnt(0)
	v_add_f32_e32 v18, v20, v18
	ds_bpermute_b32 v19, v19, v18
	v_cndmask_b32_e64 v20, v8, v16, s[8:9]
	s_waitcnt lgkmcnt(0)
	v_add_f32_e32 v18, v18, v19
	v_lshlrev_b32_e32 v19, 2, v20
	ds_bpermute_b32 v19, v19, v18
	s_and_saveexec_b64 s[38:39], vcc
	s_cbranch_execz .LBB88_10
; %bb.12:                               ;   in Loop: Header=BB88_11 Depth=1
	v_add_u32_e32 v20, s19, v12
	v_cvt_f32_i32_e32 v20, v20
	s_waitcnt lgkmcnt(0)
	v_add_f32_e32 v18, v18, v19
	v_cmp_gt_i32_e64 s[8:9], s33, v12
	v_max_f32_e32 v19, v10, v10
	v_mul_f32_e32 v20, s3, v20
	v_cndmask_b32_e64 v20, 0, v20, s[6:7]
	v_fmac_f32_e32 v20, s11, v18
	v_cndmask_b32_e64 v18, 0, v20, s[8:9]
	ds_write_b32 v13, v18
	v_max_f32_e32 v18, v19, v20
	v_cndmask_b32_e64 v10, v10, v18, s[8:9]
	s_branch .LBB88_10
.LBB88_13:
	s_or_b64 exec, exec, s[12:13]
.LBB88_14:
	s_or_b64 exec, exec, s[36:37]
	v_xor_b32_e32 v2, 32, v8
	v_cmp_lt_i32_e32 vcc, v2, v9
	v_xor_b32_e32 v5, 16, v8
	v_max_f32_e32 v4, v10, v10
	v_cndmask_b32_e32 v2, v8, v2, vcc
	v_lshlrev_b32_e32 v3, 2, v2
	ds_bpermute_b32 v2, v3, v10
	v_cmp_lt_i32_e32 vcc, v5, v9
	v_and_b32_e32 v10, 63, v0
	s_waitcnt lgkmcnt(0)
	v_max_f32_e32 v2, v2, v2
	v_max_f32_e32 v2, v4, v2
	v_cndmask_b32_e32 v4, v8, v5, vcc
	v_lshlrev_b32_e32 v11, 2, v4
	ds_bpermute_b32 v4, v11, v2
	v_xor_b32_e32 v5, 8, v8
	v_cmp_lt_i32_e32 vcc, v5, v9
	s_waitcnt lgkmcnt(0)
	v_max_f32_e32 v4, v4, v4
	v_max_f32_e32 v4, v2, v4
	v_cndmask_b32_e32 v2, v8, v5, vcc
	v_lshlrev_b32_e32 v12, 2, v2
	ds_bpermute_b32 v5, v12, v4
	v_cmp_eq_u32_e32 vcc, 0, v10
	v_lshlrev_b32_e32 v2, 2, v1
	s_and_saveexec_b64 s[6:7], vcc
	s_cbranch_execz .LBB88_16
; %bb.15:
	s_waitcnt lgkmcnt(0)
	v_max_f32_e32 v5, v5, v5
	v_max_f32_e32 v4, v4, v4
	;; [unrolled: 1-line block ×3, first 2 shown]
	ds_write_b32 v2, v4 offset:384
.LBB88_16:
	s_or_b64 exec, exec, s[6:7]
	v_cmp_gt_u32_e64 s[6:7], 2, v10
	v_mov_b32_e32 v4, 0xff7fffff
	s_waitcnt lgkmcnt(0)
	v_lshlrev_b32_e32 v5, 2, v10
	s_barrier
	s_and_saveexec_b64 s[8:9], s[6:7]
	s_cbranch_execz .LBB88_18
; %bb.17:
	ds_read_b32 v4, v5 offset:384
.LBB88_18:
	s_or_b64 exec, exec, s[8:9]
	v_xor_b32_e32 v13, 1, v8
	v_cmp_lt_i32_e64 s[8:9], v13, v9
	s_sub_i32 s3, s16, s10
	s_lshl_b32 s3, s3, 3
	v_cndmask_b32_e64 v13, v8, v13, s[8:9]
	v_lshlrev_b32_e32 v13, 2, v13
	s_waitcnt lgkmcnt(0)
	ds_bpermute_b32 v14, v13, v4
	v_max_f32_e32 v4, v4, v4
	s_add_i32 s3, s3, s40
	s_min_i32 s19, s3, s33
	s_sub_i32 s3, s19, s40
	s_waitcnt lgkmcnt(0)
	v_max_f32_e32 v14, v14, v14
	v_max_f32_e32 v4, v4, v14
	v_lshlrev_b32_e32 v14, 2, v8
	v_and_b32_e32 v14, 0xffffff00, v14
	ds_bpermute_b32 v4, v14, v4
	v_cmp_gt_i32_e64 s[8:9], s3, v0
	v_mov_b32_e32 v15, 0
	s_and_saveexec_b64 s[12:13], s[8:9]
	s_cbranch_execz .LBB88_22
; %bb.19:
	v_mov_b32_e32 v15, 0x190
	v_lshl_add_u32 v16, v0, 2, v15
	s_mov_b64 s[36:37], 0
	v_mov_b32_e32 v15, 0
	v_mov_b32_e32 v17, v0
.LBB88_20:                              ; =>This Inner Loop Header: Depth=1
	ds_read_b32 v18, v16
	v_add_u32_e32 v17, 0x80, v17
	v_cmp_le_i32_e64 s[10:11], s3, v17
	s_or_b64 s[36:37], s[10:11], s[36:37]
	s_waitcnt lgkmcnt(0)
	v_sub_f32_e32 v18, v18, v4
	v_mul_f32_e32 v18, 0x3fb8aa3b, v18
	v_exp_f32_e32 v18, v18
	ds_write_b32 v16, v18
	v_add_f32_e32 v15, v15, v18
	v_add_u32_e32 v16, 0x200, v16
	s_andn2_b64 exec, exec, s[36:37]
	s_cbranch_execnz .LBB88_20
; %bb.21:
	s_or_b64 exec, exec, s[36:37]
.LBB88_22:
	s_or_b64 exec, exec, s[12:13]
	ds_bpermute_b32 v3, v3, v15
	s_waitcnt lgkmcnt(0)
	v_add_f32_e32 v3, v15, v3
	ds_bpermute_b32 v11, v11, v3
	s_waitcnt lgkmcnt(0)
	v_add_f32_e32 v3, v3, v11
	ds_bpermute_b32 v11, v12, v3
	v_xor_b32_e32 v12, 4, v8
	v_cmp_lt_i32_e64 s[10:11], v12, v9
	s_waitcnt lgkmcnt(0)
	v_add_f32_e32 v3, v3, v11
	v_cndmask_b32_e64 v12, v8, v12, s[10:11]
	v_lshlrev_b32_e32 v12, 2, v12
	ds_bpermute_b32 v11, v12, v3
	v_xor_b32_e32 v12, 2, v8
	v_cmp_lt_i32_e64 s[10:11], v12, v9
	s_waitcnt lgkmcnt(0)
	v_add_f32_e32 v3, v3, v11
	v_cndmask_b32_e64 v8, v8, v12, s[10:11]
	v_lshlrev_b32_e32 v8, 2, v8
	ds_bpermute_b32 v8, v8, v3
	s_waitcnt lgkmcnt(0)
	v_add_f32_e32 v3, v3, v8
	ds_bpermute_b32 v8, v13, v3
	s_waitcnt lgkmcnt(0)
	v_add_f32_e32 v3, v3, v8
	s_and_saveexec_b64 s[10:11], vcc
	s_cbranch_execz .LBB88_24
; %bb.23:
	ds_write_b32 v2, v3 offset:392
.LBB88_24:
	s_or_b64 exec, exec, s[10:11]
	s_waitcnt lgkmcnt(0)
	s_barrier
	s_and_saveexec_b64 s[10:11], s[6:7]
	s_cbranch_execz .LBB88_26
; %bb.25:
	ds_read_b32 v3, v5 offset:392
.LBB88_26:
	s_or_b64 exec, exec, s[10:11]
	s_waitcnt lgkmcnt(0)
	ds_bpermute_b32 v2, v13, v3
	s_waitcnt lgkmcnt(0)
	v_add_f32_e32 v2, v3, v2
	ds_bpermute_b32 v5, v14, v2
	s_and_saveexec_b64 s[6:7], s[8:9]
	s_cbranch_execz .LBB88_39
; %bb.27:
	s_waitcnt lgkmcnt(0)
	v_add_f32_e32 v2, 0x358637bd, v5
	v_div_scale_f32 v3, s[8:9], v2, v2, 1.0
	v_rcp_f32_e32 v8, v3
	v_div_scale_f32 v9, vcc, 1.0, v2, 1.0
	s_movk_i32 s8, 0x7f
	v_fma_f32 v11, -v3, v8, 1.0
	v_fmac_f32_e32 v8, v11, v8
	v_mul_f32_e32 v11, v9, v8
	v_fma_f32 v12, -v3, v11, v9
	v_fmac_f32_e32 v11, v12, v8
	v_fma_f32 v3, -v3, v11, v9
	v_div_fmas_f32 v3, v3, v8, v11
	v_div_fixup_f32 v2, v3, v2, 1.0
	v_xad_u32 v3, v0, -1, s19
	v_subrev_u32_e32 v8, s40, v3
	v_cmp_lt_u32_e32 vcc, s8, v8
	s_mov_b64 s[10:11], -1
	v_mov_b32_e32 v3, v0
	s_and_saveexec_b64 s[8:9], vcc
	s_cbranch_execz .LBB88_36
; %bb.28:
	v_lshrrev_b32_e32 v8, 7, v8
	v_add_u32_e32 v11, -1, v8
	v_lshrrev_b32_e32 v9, 1, v11
	v_mov_b32_e32 v3, v2
	v_add_u32_e32 v9, 1, v9
	v_cmp_lt_u32_e32 vcc, 13, v11
	v_mov_b32_e32 v13, 0
	s_and_saveexec_b64 s[10:11], vcc
	s_cbranch_execz .LBB88_32
; %bb.29:
	v_mov_b32_e32 v12, 0x190
	v_and_b32_e32 v11, -8, v9
	v_lshl_add_u32 v12, v0, 2, v12
	s_mov_b32 s19, 0
	s_mov_b64 s[12:13], 0
.LBB88_30:                              ; =>This Inner Loop Header: Depth=1
	ds_read2st64_b32 v[14:15], v12 offset1:2
	ds_read2st64_b32 v[16:17], v12 offset0:4 offset1:6
	ds_read2st64_b32 v[18:19], v12 offset0:8 offset1:10
	;; [unrolled: 1-line block ×3, first 2 shown]
	v_add_u32_e32 v11, -8, v11
	s_waitcnt lgkmcnt(3)
	v_pk_mul_f32 v[14:15], v[2:3], v[14:15]
	s_waitcnt lgkmcnt(2)
	v_pk_mul_f32 v[16:17], v[2:3], v[16:17]
	ds_write2st64_b32 v12, v14, v15 offset1:2
	ds_write2st64_b32 v12, v16, v17 offset0:4 offset1:6
	ds_read2st64_b32 v[16:17], v12 offset0:16 offset1:18
	s_waitcnt lgkmcnt(4)
	v_pk_mul_f32 v[14:15], v[2:3], v[18:19]
	ds_write2st64_b32 v12, v14, v15 offset0:8 offset1:10
	s_waitcnt lgkmcnt(4)
	v_pk_mul_f32 v[14:15], v[2:3], v[20:21]
	ds_write2st64_b32 v12, v14, v15 offset0:12 offset1:14
	ds_read2st64_b32 v[14:15], v12 offset0:20 offset1:22
	s_waitcnt lgkmcnt(3)
	v_pk_mul_f32 v[16:17], v[2:3], v[16:17]
	ds_read2st64_b32 v[18:19], v12 offset0:24 offset1:26
	ds_write2st64_b32 v12, v16, v17 offset0:16 offset1:18
	ds_read2st64_b32 v[16:17], v12 offset0:28 offset1:30
	s_waitcnt lgkmcnt(3)
	v_pk_mul_f32 v[14:15], v[2:3], v[14:15]
	ds_write2st64_b32 v12, v14, v15 offset0:20 offset1:22
	s_waitcnt lgkmcnt(3)
	v_pk_mul_f32 v[14:15], v[2:3], v[18:19]
	ds_write2st64_b32 v12, v14, v15 offset0:24 offset1:26
	s_waitcnt lgkmcnt(2)
	v_pk_mul_f32 v[14:15], v[2:3], v[16:17]
	s_add_i32 s19, s19, 16
	v_cmp_eq_u32_e32 vcc, 0, v11
	ds_write2st64_b32 v12, v14, v15 offset0:28 offset1:30
	v_add_u32_e32 v12, 0x2000, v12
	s_or_b64 s[12:13], vcc, s[12:13]
	v_mov_b32_e32 v13, s19
	s_andn2_b64 exec, exec, s[12:13]
	s_cbranch_execnz .LBB88_30
; %bb.31:
	s_or_b64 exec, exec, s[12:13]
.LBB88_32:
	s_or_b64 exec, exec, s[10:11]
	v_and_b32_e32 v9, 7, v9
	v_cmp_ne_u32_e32 vcc, 0, v9
	s_and_saveexec_b64 s[10:11], vcc
	s_cbranch_execz .LBB88_35
; %bb.33:
	v_lshlrev_b32_e32 v11, 9, v13
	v_lshlrev_b32_e32 v12, 2, v0
	s_movk_i32 s12, 0x190
	v_add3_u32 v11, v11, v12, s12
	s_mov_b64 s[12:13], 0
.LBB88_34:                              ; =>This Inner Loop Header: Depth=1
	ds_read2st64_b32 v[12:13], v11 offset1:2
	v_add_u32_e32 v9, -1, v9
	v_cmp_eq_u32_e32 vcc, 0, v9
	s_or_b64 s[12:13], vcc, s[12:13]
	s_waitcnt lgkmcnt(0)
	v_pk_mul_f32 v[12:13], v[2:3], v[12:13]
	ds_write2st64_b32 v11, v12, v13 offset1:2
	v_add_u32_e32 v11, 0x400, v11
	s_andn2_b64 exec, exec, s[12:13]
	s_cbranch_execnz .LBB88_34
.LBB88_35:
	s_or_b64 exec, exec, s[10:11]
	v_add_u32_e32 v8, 1, v8
	v_and_b32_e32 v9, 0x3fffffe, v8
	v_cmp_ne_u32_e32 vcc, v8, v9
	v_lshl_add_u32 v3, v9, 7, v0
	s_orn2_b64 s[10:11], vcc, exec
.LBB88_36:
	s_or_b64 exec, exec, s[8:9]
	s_and_b64 exec, exec, s[10:11]
	s_cbranch_execz .LBB88_39
; %bb.37:
	v_mov_b32_e32 v8, 0x190
	v_lshl_add_u32 v8, v3, 2, v8
	s_mov_b64 s[8:9], 0
.LBB88_38:                              ; =>This Inner Loop Header: Depth=1
	ds_read_b32 v9, v8
	v_add_u32_e32 v3, 0x80, v3
	v_cmp_le_i32_e32 vcc, s3, v3
	s_or_b64 s[8:9], vcc, s[8:9]
	s_waitcnt lgkmcnt(0)
	v_mul_f32_e32 v9, v2, v9
	ds_write_b32 v8, v9
	v_add_u32_e32 v8, 0x200, v8
	s_andn2_b64 exec, exec, s[8:9]
	s_cbranch_execnz .LBB88_38
.LBB88_39:
	s_or_b64 exec, exec, s[6:7]
	s_mul_i32 s3, s29, s28
	v_cmp_eq_u32_e32 vcc, 0, v0
	s_mul_i32 s6, s3, s5
	s_waitcnt lgkmcnt(0)
	s_barrier
	s_and_saveexec_b64 s[8:9], vcc
	s_cbranch_execz .LBB88_41
; %bb.40:
	s_ashr_i32 s7, s6, 31
	s_lshl_b64 s[10:11], s[6:7], 2
	s_add_u32 s5, s22, s10
	s_mul_i32 s2, s29, s2
	s_addc_u32 s7, s23, s11
	s_ashr_i32 s3, s2, 31
	s_lshl_b64 s[2:3], s[2:3], 2
	s_add_u32 s19, s5, s2
	s_addc_u32 s7, s7, s3
	s_ashr_i32 s5, s4, 31
	s_lshl_b64 s[12:13], s[4:5], 2
	s_add_u32 s22, s19, s12
	s_addc_u32 s23, s7, s13
	s_add_u32 s5, s20, s10
	s_addc_u32 s7, s21, s11
	;; [unrolled: 2-line block ×3, first 2 shown]
	s_add_u32 s2, s2, s12
	v_mov_b32_e32 v2, 0
	s_addc_u32 s3, s3, s13
	global_store_dword v2, v4, s[22:23]
	global_store_dword v2, v5, s[2:3]
.LBB88_41:
	s_or_b64 exec, exec, s[8:9]
	v_mov_b32_e32 v8, 0
	v_mov_b32_e32 v11, 0
	;; [unrolled: 1-line block ×3, first 2 shown]
	s_and_saveexec_b64 s[2:3], s[0:1]
	s_cbranch_execz .LBB88_51
; %bb.42:
	s_ashr_i32 s19, s18, 31
	s_lshl_b64 s[0:1], s[18:19], 1
	s_add_u32 s0, s14, s0
	s_addc_u32 s1, s15, s1
	v_lshlrev_b32_e32 v8, 4, v10
	v_mov_b32_e32 v9, 0
	s_add_i32 s27, s27, -1
	v_lshl_add_u64 v[12:13], s[0:1], 0, v[8:9]
	s_lshl_b64 s[0:1], s[34:35], 2
	s_add_u32 s0, s30, s0
	v_mov_b32_e32 v2, 0x190
	s_addc_u32 s1, s31, s1
	s_mov_b32 s5, s17
	s_mov_b32 s7, s33
	;; [unrolled: 1-line block ×8, first 2 shown]
	v_lshl_add_u32 v18, v1, 3, s40
	v_lshl_add_u32 v1, v1, 5, v2
	v_lshl_add_u64 v[14:15], v[6:7], 2, s[0:1]
	s_mov_b64 s[8:9], 0
	s_mov_b32 s19, 0x5040100
	v_mov_b32_e32 v11, v9
	v_mov_b32_e32 v8, v9
	s_branch .LBB88_44
.LBB88_43:                              ;   in Loop: Header=BB88_44 Depth=1
	s_or_b64 exec, exec, s[0:1]
	s_waitcnt vmcnt(0)
	;;#ASMSTART
	v_pk_mul_f16 v2, v28, v2;

	;;#ASMEND
	;;#ASMSTART
	v_pk_mul_f16 v3, v27, v3;

	;;#ASMEND
	;; [unrolled: 4-line block ×4, first 2 shown]
	v_add_f32_e32 v7, v29, v30
	;;#ASMSTART
	v_pk_add_f16 v2, v2, v3;

	;;#ASMEND
	v_add_u32_e32 v6, 2, v6
	;;#ASMSTART
	v_pk_add_f16 v2, v2, v4;

	;;#ASMEND
	v_add_f32_e32 v9, v9, v7
	;;#ASMSTART
	v_pk_add_f16 v2, v2, v5;

	;;#ASMEND
	v_add_f32_e32 v7, v31, v32
	v_lshrrev_b32_e32 v3, 16, v2
	v_and_b32_e32 v2, 0xffff, v2
	;;#ASMSTART
	v_cvt_f32_f16 v2, v2;
	;;#ASMEND
	;;#ASMSTART
	v_cvt_f32_f16 v3, v3;
	;;#ASMEND
	v_cmp_le_i32_e32 vcc, s16, v6
	v_add_f32_e32 v2, v2, v3
	v_add_f32_e32 v11, v11, v7
	;; [unrolled: 1-line block ×3, first 2 shown]
	v_add_u32_e32 v18, 16, v18
	v_add_u32_e32 v1, 64, v1
	s_or_b64 s[8:9], vcc, s[8:9]
	v_lshl_add_u64 v[14:15], v[14:15], 0, 8
	s_andn2_b64 exec, exec, s[8:9]
	s_cbranch_execz .LBB88_50
.LBB88_44:                              ; =>This Inner Loop Header: Depth=1
	global_load_dword v7, v[14:15], off
	ds_read2_b64 v[2:5], v1 offset1:1
	ds_read2_b64 v[20:23], v1 offset0:2 offset1:3
	v_cmp_eq_u32_e32 vcc, s27, v6
	v_or_b32_e32 v19, 2, v18
	s_waitcnt lgkmcnt(1)
	;;#ASMSTART
	v_cvt_f16_f32 v25, v2;

	;;#ASMEND
	;;#ASMSTART
	v_cvt_f16_f32 v26, v3;

	;;#ASMEND
	;; [unrolled: 4-line block ×4, first 2 shown]
	s_waitcnt lgkmcnt(0)
	;;#ASMSTART
	v_cvt_f16_f32 v30, v20;

	;;#ASMEND
	;;#ASMSTART
	v_cvt_f16_f32 v31, v21;

	;;#ASMEND
	;; [unrolled: 4-line block ×4, first 2 shown]
	v_or_b32_e32 v20, 3, v18
	v_or_b32_e32 v22, 5, v18
	;; [unrolled: 1-line block ×5, first 2 shown]
	s_waitcnt vmcnt(0)
	v_mad_i64_i32 v[2:3], s[0:1], v7, s5, 0
	v_lshl_add_u64 v[16:17], v[2:3], 1, v[12:13]
	global_load_dwordx4 v[2:5], v[16:17], off
	v_add_u32_e32 v7, 1, v18
	s_and_saveexec_b64 s[10:11], vcc
	s_cbranch_execz .LBB88_46
; %bb.45:                               ;   in Loop: Header=BB88_44 Depth=1
	s_waitcnt vmcnt(0)
	v_lshrrev_b32_e32 v28, 16, v5
	v_cmp_gt_i32_e64 s[0:1], s18, v24
	s_nop 1
	v_cndmask_b32_e64 v28, 0, v28, s[0:1]
	v_cmp_gt_i32_e64 s[0:1], s17, v23
	s_nop 1
	v_cndmask_b32_e64 v5, 0, v5, s[0:1]
	v_perm_b32 v5, v28, v5, s19
	v_lshrrev_b32_e32 v28, 16, v4
	v_cmp_gt_i32_e64 s[0:1], s15, v22
	s_nop 1
	v_cndmask_b32_e64 v28, 0, v28, s[0:1]
	v_cmp_gt_i32_e64 s[0:1], s14, v21
	s_nop 1
	v_cndmask_b32_e64 v4, 0, v4, s[0:1]
	v_perm_b32 v4, v28, v4, s19
	;; [unrolled: 8-line block ×4, first 2 shown]
.LBB88_46:                              ;   in Loop: Header=BB88_44 Depth=1
	s_or_b64 exec, exec, s[10:11]
	v_and_b32_e32 v25, 0xffff, v25
	v_lshl_or_b32 v28, v26, 16, v25
	v_and_b32_e32 v25, 0xffff, v27
	v_lshl_or_b32 v27, v29, 16, v25
	;; [unrolled: 2-line block ×3, first 2 shown]
	v_and_b32_e32 v25, 0xffff, v32
	s_waitcnt vmcnt(0)
	;;#ASMSTART
	v_pk_mul_f16 v2, v28, v2;

	;;#ASMEND
	v_lshl_or_b32 v25, v33, 16, v25
	;;#ASMSTART
	v_pk_mul_f16 v3, v27, v3;

	;;#ASMEND
	;;#ASMSTART
	v_pk_mul_f16 v4, v26, v4;

	;;#ASMEND
	;; [unrolled: 4-line block ×3, first 2 shown]
	s_nop 0
	;;#ASMSTART
	v_pk_add_f16 v2, v2, v3;

	;;#ASMEND
	s_nop 0
	;;#ASMSTART
	v_pk_add_f16 v2, v2, v4;

	;;#ASMEND
	;; [unrolled: 5-line block ×3, first 2 shown]
	s_nop 0
	v_lshrrev_b32_e32 v3, 16, v2
	v_and_b32_e32 v2, 0xffff, v2
	;;#ASMSTART
	v_cvt_f32_f16 v29, v2;
	;;#ASMEND
	;;#ASMSTART
	v_cvt_f32_f16 v30, v3;
	;;#ASMEND
	global_load_dwordx4 v[2:5], v[16:17], off offset:1024
	s_and_saveexec_b64 s[10:11], vcc
	s_cbranch_execz .LBB88_48
; %bb.47:                               ;   in Loop: Header=BB88_44 Depth=1
	s_waitcnt vmcnt(0)
	v_lshrrev_b32_e32 v31, 16, v5
	v_cmp_gt_i32_e64 s[0:1], s18, v24
	s_nop 1
	v_cndmask_b32_e64 v31, 0, v31, s[0:1]
	v_cmp_gt_i32_e64 s[0:1], s17, v23
	s_nop 1
	v_cndmask_b32_e64 v5, 0, v5, s[0:1]
	v_perm_b32 v5, v31, v5, s19
	v_lshrrev_b32_e32 v31, 16, v4
	v_cmp_gt_i32_e64 s[0:1], s15, v22
	s_nop 1
	v_cndmask_b32_e64 v31, 0, v31, s[0:1]
	v_cmp_gt_i32_e64 s[0:1], s14, v21
	s_nop 1
	v_cndmask_b32_e64 v4, 0, v4, s[0:1]
	v_perm_b32 v4, v31, v4, s19
	;; [unrolled: 8-line block ×4, first 2 shown]
.LBB88_48:                              ;   in Loop: Header=BB88_44 Depth=1
	s_or_b64 exec, exec, s[10:11]
	s_waitcnt vmcnt(0)
	;;#ASMSTART
	v_pk_mul_f16 v2, v28, v2;

	;;#ASMEND
	;;#ASMSTART
	v_pk_mul_f16 v3, v27, v3;

	;;#ASMEND
	;; [unrolled: 4-line block ×4, first 2 shown]
	s_nop 0
	;;#ASMSTART
	v_pk_add_f16 v2, v2, v3;

	;;#ASMEND
	s_nop 0
	;;#ASMSTART
	v_pk_add_f16 v2, v2, v4;

	;;#ASMEND
	;; [unrolled: 5-line block ×3, first 2 shown]
	s_nop 0
	v_lshrrev_b32_e32 v3, 16, v2
	v_and_b32_e32 v2, 0xffff, v2
	;;#ASMSTART
	v_cvt_f32_f16 v31, v2;
	;;#ASMEND
	;;#ASMSTART
	v_cvt_f32_f16 v32, v3;
	;;#ASMEND
	global_load_dwordx4 v[2:5], v[16:17], off offset:2048
	s_and_saveexec_b64 s[0:1], vcc
	s_cbranch_execz .LBB88_43
; %bb.49:                               ;   in Loop: Header=BB88_44 Depth=1
	s_waitcnt vmcnt(0)
	v_lshrrev_b32_e32 v16, 16, v5
	v_cmp_gt_i32_e32 vcc, s18, v24
	s_nop 1
	v_cndmask_b32_e32 v16, 0, v16, vcc
	v_cmp_gt_i32_e32 vcc, s17, v23
	s_nop 1
	v_cndmask_b32_e32 v5, 0, v5, vcc
	v_perm_b32 v5, v16, v5, s19
	v_lshrrev_b32_e32 v16, 16, v4
	v_cmp_gt_i32_e32 vcc, s15, v22
	s_nop 1
	v_cndmask_b32_e32 v16, 0, v16, vcc
	v_cmp_gt_i32_e32 vcc, s14, v21
	s_nop 1
	v_cndmask_b32_e32 v4, 0, v4, vcc
	v_perm_b32 v4, v16, v4, s19
	;; [unrolled: 8-line block ×4, first 2 shown]
	s_branch .LBB88_43
.LBB88_50:
	s_or_b64 exec, exec, s[8:9]
.LBB88_51:
	s_or_b64 exec, exec, s[2:3]
	v_and_b32_e32 v1, 0x3c0, v0
	v_cmp_eq_u32_e32 vcc, 64, v1
	s_barrier
	s_and_saveexec_b64 s[0:1], vcc
	s_cbranch_execz .LBB88_53
; %bb.52:
	v_mov_b32_e32 v1, 0x190
	v_lshl_add_u32 v2, v10, 2, v1
	v_lshl_add_u32 v1, v0, 2, v1
	ds_write_b32 v2, v9
	ds_write_b32 v1, v11
	ds_write_b32 v2, v8 offset:512
.LBB88_53:
	s_or_b64 exec, exec, s[0:1]
	v_cmp_gt_u32_e32 vcc, 64, v0
	s_waitcnt lgkmcnt(0)
	s_barrier
	s_and_saveexec_b64 s[0:1], vcc
	s_cbranch_execz .LBB88_55
; %bb.54:
	v_mov_b32_e32 v1, 0x190
	v_lshl_add_u32 v1, v0, 2, v1
	ds_read2st64_b32 v[2:3], v1 offset1:1
	ds_read_b32 v1, v1 offset:512
	v_mov_b32_e32 v10, v9
	s_waitcnt lgkmcnt(1)
	v_pk_add_f32 v[10:11], v[10:11], v[2:3]
	s_waitcnt lgkmcnt(0)
	v_add_f32_e32 v8, v8, v1
	v_mov_b32_e32 v9, v10
.LBB88_55:
	s_or_b64 exec, exec, s[0:1]
	s_barrier
	s_and_saveexec_b64 s[0:1], vcc
	s_cbranch_execz .LBB88_57
; %bb.56:
	s_mul_i32 s0, s6, 0xc0
	s_ashr_i32 s1, s0, 31
	s_lshl_b64 s[0:1], s[0:1], 1
	s_add_u32 s2, s24, s0
	s_mul_i32 s0, s29, s26
	s_addc_u32 s3, s25, s1
	s_ashr_i32 s1, s0, 31
	s_lshl_b64 s[0:1], s[0:1], 1
	s_add_u32 s2, s2, s0
	s_mul_i32 s0, s4, 0xc0
	s_addc_u32 s3, s3, s1
	s_ashr_i32 s1, s0, 31
	s_lshl_b64 s[0:1], s[0:1], 1
	s_add_u32 s0, s2, s0
	s_addc_u32 s1, s3, s1
	v_lshlrev_b32_e32 v0, 1, v0
	;;#ASMSTART
	v_cvt_f16_f32 v1, v9;

	;;#ASMEND
	global_store_short v0, v1, s[0:1]
	;;#ASMSTART
	v_cvt_f16_f32 v1, v11;

	;;#ASMEND
	global_store_short v0, v1, s[0:1] offset:128
	;;#ASMSTART
	v_cvt_f16_f32 v1, v8;

	;;#ASMEND
	global_store_short v0, v1, s[0:1] offset:256
.LBB88_57:
	s_endpgm
	.section	.rodata,"a",@progbits
	.p2align	6, 0x0
	.amdhsa_kernel _ZN4vllm25paged_attention_v2_kernelIttLi192ELi8ELi128ELNS_18Fp8KVCacheDataTypeE0ELb0ELi512EEEvPfS2_PT_PKS3_PKT0_S9_ifPKiSB_iPKfiiiSD_SD_iiiii
		.amdhsa_group_segment_fixed_size 400
		.amdhsa_private_segment_fixed_size 0
		.amdhsa_kernarg_size 400
		.amdhsa_user_sgpr_count 2
		.amdhsa_user_sgpr_dispatch_ptr 0
		.amdhsa_user_sgpr_queue_ptr 0
		.amdhsa_user_sgpr_kernarg_segment_ptr 1
		.amdhsa_user_sgpr_dispatch_id 0
		.amdhsa_user_sgpr_kernarg_preload_length 0
		.amdhsa_user_sgpr_kernarg_preload_offset 0
		.amdhsa_user_sgpr_private_segment_size 0
		.amdhsa_uses_dynamic_stack 0
		.amdhsa_enable_private_segment 0
		.amdhsa_system_sgpr_workgroup_id_x 1
		.amdhsa_system_sgpr_workgroup_id_y 1
		.amdhsa_system_sgpr_workgroup_id_z 1
		.amdhsa_system_sgpr_workgroup_info 0
		.amdhsa_system_vgpr_workitem_id 0
		.amdhsa_next_free_vgpr 62
		.amdhsa_next_free_sgpr 44
		.amdhsa_accum_offset 64
		.amdhsa_reserve_vcc 1
		.amdhsa_float_round_mode_32 0
		.amdhsa_float_round_mode_16_64 0
		.amdhsa_float_denorm_mode_32 3
		.amdhsa_float_denorm_mode_16_64 3
		.amdhsa_dx10_clamp 1
		.amdhsa_ieee_mode 1
		.amdhsa_fp16_overflow 0
		.amdhsa_tg_split 0
		.amdhsa_exception_fp_ieee_invalid_op 0
		.amdhsa_exception_fp_denorm_src 0
		.amdhsa_exception_fp_ieee_div_zero 0
		.amdhsa_exception_fp_ieee_overflow 0
		.amdhsa_exception_fp_ieee_underflow 0
		.amdhsa_exception_fp_ieee_inexact 0
		.amdhsa_exception_int_div_zero 0
	.end_amdhsa_kernel
	.section	.text._ZN4vllm25paged_attention_v2_kernelIttLi192ELi8ELi128ELNS_18Fp8KVCacheDataTypeE0ELb0ELi512EEEvPfS2_PT_PKS3_PKT0_S9_ifPKiSB_iPKfiiiSD_SD_iiiii,"axG",@progbits,_ZN4vllm25paged_attention_v2_kernelIttLi192ELi8ELi128ELNS_18Fp8KVCacheDataTypeE0ELb0ELi512EEEvPfS2_PT_PKS3_PKT0_S9_ifPKiSB_iPKfiiiSD_SD_iiiii,comdat
.Lfunc_end88:
	.size	_ZN4vllm25paged_attention_v2_kernelIttLi192ELi8ELi128ELNS_18Fp8KVCacheDataTypeE0ELb0ELi512EEEvPfS2_PT_PKS3_PKT0_S9_ifPKiSB_iPKfiiiSD_SD_iiiii, .Lfunc_end88-_ZN4vllm25paged_attention_v2_kernelIttLi192ELi8ELi128ELNS_18Fp8KVCacheDataTypeE0ELb0ELi512EEEvPfS2_PT_PKS3_PKT0_S9_ifPKiSB_iPKfiiiSD_SD_iiiii
                                        ; -- End function
	.section	.AMDGPU.csdata,"",@progbits
; Kernel info:
; codeLenInByte = 5352
; NumSgprs: 50
; NumVgprs: 62
; NumAgprs: 0
; TotalNumVgprs: 62
; ScratchSize: 0
; MemoryBound: 0
; FloatMode: 240
; IeeeMode: 1
; LDSByteSize: 400 bytes/workgroup (compile time only)
; SGPRBlocks: 6
; VGPRBlocks: 7
; NumSGPRsForWavesPerEU: 50
; NumVGPRsForWavesPerEU: 62
; AccumOffset: 64
; Occupancy: 8
; WaveLimiterHint : 1
; COMPUTE_PGM_RSRC2:SCRATCH_EN: 0
; COMPUTE_PGM_RSRC2:USER_SGPR: 2
; COMPUTE_PGM_RSRC2:TRAP_HANDLER: 0
; COMPUTE_PGM_RSRC2:TGID_X_EN: 1
; COMPUTE_PGM_RSRC2:TGID_Y_EN: 1
; COMPUTE_PGM_RSRC2:TGID_Z_EN: 1
; COMPUTE_PGM_RSRC2:TIDIG_COMP_CNT: 0
; COMPUTE_PGM_RSRC3_GFX90A:ACCUM_OFFSET: 15
; COMPUTE_PGM_RSRC3_GFX90A:TG_SPLIT: 0
	.section	.text._ZN4vllm25paged_attention_v2_kernelIttLi256ELi8ELi128ELNS_18Fp8KVCacheDataTypeE0ELb0ELi512EEEvPfS2_PT_PKS3_PKT0_S9_ifPKiSB_iPKfiiiSD_SD_iiiii,"axG",@progbits,_ZN4vllm25paged_attention_v2_kernelIttLi256ELi8ELi128ELNS_18Fp8KVCacheDataTypeE0ELb0ELi512EEEvPfS2_PT_PKS3_PKT0_S9_ifPKiSB_iPKfiiiSD_SD_iiiii,comdat
	.protected	_ZN4vllm25paged_attention_v2_kernelIttLi256ELi8ELi128ELNS_18Fp8KVCacheDataTypeE0ELb0ELi512EEEvPfS2_PT_PKS3_PKT0_S9_ifPKiSB_iPKfiiiSD_SD_iiiii ; -- Begin function _ZN4vllm25paged_attention_v2_kernelIttLi256ELi8ELi128ELNS_18Fp8KVCacheDataTypeE0ELb0ELi512EEEvPfS2_PT_PKS3_PKT0_S9_ifPKiSB_iPKfiiiSD_SD_iiiii
	.globl	_ZN4vllm25paged_attention_v2_kernelIttLi256ELi8ELi128ELNS_18Fp8KVCacheDataTypeE0ELb0ELi512EEEvPfS2_PT_PKS3_PKT0_S9_ifPKiSB_iPKfiiiSD_SD_iiiii
	.p2align	8
	.type	_ZN4vllm25paged_attention_v2_kernelIttLi256ELi8ELi128ELNS_18Fp8KVCacheDataTypeE0ELb0ELi512EEEvPfS2_PT_PKS3_PKT0_S9_ifPKiSB_iPKfiiiSD_SD_iiiii,@function
_ZN4vllm25paged_attention_v2_kernelIttLi256ELi8ELi128ELNS_18Fp8KVCacheDataTypeE0ELb0ELi512EEEvPfS2_PT_PKS3_PKT0_S9_ifPKiSB_iPKfiiiSD_SD_iiiii: ; @_ZN4vllm25paged_attention_v2_kernelIttLi256ELi8ELi128ELNS_18Fp8KVCacheDataTypeE0ELb0ELi512EEEvPfS2_PT_PKS3_PKT0_S9_ifPKiSB_iPKfiiiSD_SD_iiiii
; %bb.0:
	s_load_dwordx2 s[6:7], s[0:1], 0x40
	s_mov_b32 s28, s3
	s_ashr_i32 s29, s3, 31
	s_lshl_b64 s[8:9], s[28:29], 2
	s_waitcnt lgkmcnt(0)
	s_add_u32 s6, s6, s8
	s_addc_u32 s7, s7, s9
	s_load_dword s33, s[6:7], 0x0
	s_lshl_b32 s40, s4, 9
	s_waitcnt lgkmcnt(0)
	s_cmp_ge_i32 s40, s33
	s_cbranch_scc1 .LBB89_59
; %bb.1:
	s_load_dword s5, s[0:1], 0x90
	s_load_dwordx2 s[10:11], s[0:1], 0x30
	s_waitcnt lgkmcnt(0)
	s_abs_i32 s7, s5
	s_abs_i32 s3, s10
	v_cvt_f32_u32_e32 v1, s3
	s_sub_i32 s8, 0, s3
	s_xor_b32 s6, s5, s10
	s_ashr_i32 s6, s6, 31
	v_rcp_iflag_f32_e32 v1, v1
	s_nop 0
	v_mul_f32_e32 v1, 0x4f7ffffe, v1
	v_cvt_u32_f32_e32 v1, v1
	s_nop 0
	v_readfirstlane_b32 s9, v1
	s_mul_i32 s8, s8, s9
	s_mul_hi_u32 s8, s9, s8
	s_add_i32 s9, s9, s8
	s_mul_hi_u32 s8, s7, s9
	s_mul_i32 s9, s8, s3
	s_sub_i32 s7, s7, s9
	s_add_i32 s10, s8, 1
	s_sub_i32 s9, s7, s3
	s_cmp_ge_u32 s7, s3
	s_cselect_b32 s8, s10, s8
	s_cselect_b32 s7, s9, s7
	s_add_i32 s9, s8, 1
	s_cmp_ge_u32 s7, s3
	s_cselect_b32 s3, s9, s8
	s_xor_b32 s3, s3, s6
	s_sub_i32 s10, s3, s6
	s_abs_i32 s36, s10
	v_cvt_f32_u32_e32 v1, s36
	s_load_dwordx2 s[6:7], s[0:1], 0x50
	s_sub_i32 s3, 0, s36
	s_abs_i32 s37, s2
	v_rcp_iflag_f32_e32 v1, v1
	s_nop 0
	v_mul_f32_e32 v1, 0x4f7ffffe, v1
	v_cvt_u32_f32_e32 v1, v1
	s_nop 0
	v_readfirstlane_b32 s8, v1
	s_mul_i32 s3, s3, s8
	s_mul_hi_u32 s3, s8, s3
	s_add_i32 s8, s8, s3
	s_waitcnt lgkmcnt(0)
	s_cmp_eq_u64 s[6:7], 0
	s_mov_b32 s3, 0
	s_cbranch_scc1 .LBB89_3
; %bb.2:
	s_ashr_i32 s3, s2, 31
	s_lshl_b64 s[12:13], s[2:3], 2
	s_add_u32 s6, s6, s12
	s_addc_u32 s7, s7, s13
	s_load_dword s3, s[6:7], 0x0
.LBB89_3:
	s_load_dwordx4 s[20:23], s[0:1], 0x0
	s_load_dwordx2 s[24:25], s[0:1], 0x10
	s_load_dwordx4 s[12:15], s[0:1], 0x20
	s_load_dwordx2 s[30:31], s[0:1], 0x38
	s_load_dword s29, s[0:1], 0x98
	s_load_dwordx4 s[16:19], s[0:1], 0x58
	v_and_b32_e32 v12, 7, v0
	s_lshl_b32 s26, s2, 8
	s_movk_i32 s6, 0x100
	s_mul_hi_u32 s38, s37, s8
	s_ashr_i32 s27, s26, 31
	v_cmp_gt_u32_e32 vcc, s6, v0
	v_lshlrev_b32_e32 v2, 1, v12
	s_and_saveexec_b64 s[6:7], vcc
	s_cbranch_execz .LBB89_6
; %bb.4:
	s_load_dwordx2 s[8:9], s[0:1], 0x18
	s_waitcnt lgkmcnt(0)
	s_mul_i32 s34, s28, s16
	s_ashr_i32 s35, s34, 31
	s_lshl_b64 s[34:35], s[34:35], 1
	s_lshl_b64 s[42:43], s[26:27], 1
	s_add_u32 s16, s34, s42
	s_addc_u32 s19, s35, s43
	v_lshrrev_b32_e32 v4, 3, v0
	s_add_u32 s8, s8, s16
	v_add_u32_e32 v1, -16, v4
	v_lshlrev_b32_e32 v3, 1, v4
	v_lshl_or_b32 v4, v4, 4, v2
	v_mov_b32_e32 v5, 0
	s_addc_u32 s9, s9, s19
	v_lshl_add_u32 v3, v12, 6, v3
	v_lshl_add_u64 v[4:5], s[8:9], 0, v[4:5]
	s_mov_b64 s[8:9], 0
	s_mov_b64 s[34:35], 0x100
.LBB89_5:                               ; =>This Inner Loop Header: Depth=1
	global_load_ushort v6, v[4:5], off
	v_add_co_u32_e32 v1, vcc, 16, v1
	s_xor_b64 s[42:43], vcc, -1
	s_and_b64 s[42:43], exec, s[42:43]
	v_lshl_add_u64 v[4:5], v[4:5], 0, s[34:35]
	s_or_b64 s[8:9], s[42:43], s[8:9]
	s_waitcnt vmcnt(0)
	ds_write_b16 v3, v6
	v_add_u32_e32 v3, 32, v3
	s_andn2_b64 exec, exec, s[8:9]
	s_cbranch_execnz .LBB89_5
.LBB89_6:
	s_or_b64 exec, exec, s[6:7]
	s_add_i32 s8, s33, 7
	s_ashr_i32 s9, s8, 31
	s_ashr_i32 s6, s2, 31
	s_ashr_i32 s7, s10, 31
	s_lshr_b32 s9, s9, 29
	s_add_i32 s8, s8, s9
	s_lshl_b32 s10, s4, 6
	s_xor_b32 s6, s6, s7
	s_mul_i32 s7, s38, s36
	s_ashr_i32 s27, s8, 3
	s_add_i32 s8, s10, 64
	s_sub_i32 s7, s37, s7
	s_waitcnt lgkmcnt(0)
	s_min_i32 s16, s8, s27
	s_add_i32 s8, s38, 1
	s_sub_i32 s9, s7, s36
	s_cmp_ge_u32 s7, s36
	s_load_dword s0, s[0:1], 0x48
	s_cselect_b32 s8, s8, s38
	s_cselect_b32 s7, s9, s7
	s_add_i32 s9, s8, 1
	s_cmp_ge_u32 s7, s36
	v_lshrrev_b32_e32 v1, 6, v0
	s_cselect_b32 s7, s9, s8
	s_xor_b32 s7, s7, s6
	s_waitcnt lgkmcnt(0)
	s_mul_i32 s34, s28, s0
	v_or_b32_e32 v10, s10, v1
	s_sub_i32 s8, s7, s6
	s_ashr_i32 s35, s34, 31
	v_cmp_gt_i32_e64 s[0:1], s16, v10
	v_cmp_le_i32_e32 vcc, s16, v10
	v_mbcnt_lo_u32_b32 v14, -1, 0
	s_barrier
	s_waitcnt lgkmcnt(0)
                                        ; implicit-def: $sgpr9
                                        ; implicit-def: $vgpr6
                                        ; implicit-def: $vgpr7
	s_and_saveexec_b64 s[6:7], vcc
	s_xor_b64 s[6:7], exec, s[6:7]
; %bb.7:
	v_mbcnt_hi_u32_b32 v6, -1, v14
	v_and_b32_e32 v2, 64, v6
	v_add_u32_e32 v7, 64, v2
	s_mov_b32 s9, 0xff7fffff
                                        ; implicit-def: $vgpr2
                                        ; implicit-def: $vgpr12
                                        ; implicit-def: $vgpr14
; %bb.8:
	s_or_saveexec_b64 s[36:37], s[6:7]
	v_mov_b32_e32 v8, s9
	s_mul_i32 s18, s8, s18
	v_ashrrev_i32_e32 v11, 31, v10
	s_xor_b64 exec, exec, s[36:37]
	s_cbranch_execz .LBB89_14
; %bb.9:
	s_ashr_i32 s19, s18, 31
	s_lshl_b64 s[6:7], s[18:19], 1
	v_bfe_u32 v8, v0, 3, 3
	s_add_u32 s6, s12, s6
	s_addc_u32 s7, s13, s7
	v_lshlrev_b32_e32 v4, 4, v8
	v_mov_b32_e32 v5, 0
	v_lshl_add_u64 v[6:7], s[6:7], 0, v[4:5]
	v_mov_b32_e32 v3, v5
	s_sub_i32 s19, 1, s33
	v_lshlrev_b32_e32 v4, 3, v1
	s_lshl_b64 s[8:9], s[34:35], 2
	v_lshl_add_u64 v[2:3], v[6:7], 0, v[2:3]
	v_lshlrev_b32_e32 v9, 6, v12
	v_cmp_eq_u32_e32 vcc, 0, v12
	v_add3_u32 v12, s40, v4, v8
	v_lshlrev_b32_e32 v4, 2, v8
	s_add_u32 s8, s30, s8
	v_mbcnt_hi_u32_b32 v6, -1, v14
	v_lshl_or_b32 v4, v1, 5, v4
	s_addc_u32 s9, s31, s9
	v_and_b32_e32 v7, 64, v6
	s_mov_b32 s41, s17
	v_cmp_neq_f32_e64 s[6:7], s3, 0
	v_add_u32_e32 v13, 0x210, v4
	v_lshl_add_u64 v[4:5], v[10:11], 2, s[8:9]
	s_mov_b64 s[12:13], 0
	v_mov_b32_e32 v8, 0xff7fffff
	v_add_u32_e32 v7, 64, v7
	v_xor_b32_e32 v14, 4, v6
	v_xor_b32_e32 v15, 2, v6
	;; [unrolled: 1-line block ×3, first 2 shown]
	v_mov_b32_e32 v17, v10
	s_branch .LBB89_11
.LBB89_10:                              ;   in Loop: Header=BB89_11 Depth=1
	s_or_b64 exec, exec, s[38:39]
	v_add_u32_e32 v17, 2, v17
	v_cmp_le_i32_e64 s[8:9], s16, v17
	v_add_u32_e32 v12, 16, v12
	v_add_u32_e32 v13, 64, v13
	s_or_b64 s[12:13], s[8:9], s[12:13]
	v_lshl_add_u64 v[4:5], v[4:5], 0, 8
	s_andn2_b64 exec, exec, s[12:13]
	s_cbranch_execz .LBB89_13
.LBB89_11:                              ; =>This Inner Loop Header: Depth=1
	global_load_dword v18, v[4:5], off
	s_waitcnt vmcnt(0) lgkmcnt(0)
	v_mad_i64_i32 v[18:19], s[8:9], v18, s41, 0
	v_lshl_add_u64 v[20:21], v[18:19], 1, v[2:3]
	global_load_ushort v22, v[20:21], off
	global_load_ushort v23, v[20:21], off offset:128
	global_load_ushort v24, v[20:21], off offset:256
	;; [unrolled: 1-line block ×7, first 2 shown]
	ds_read_u16 v30, v9
	global_load_ushort v31, v[20:21], off offset:1024
	global_load_ushort v32, v[20:21], off offset:1152
	;; [unrolled: 1-line block ×24, first 2 shown]
	s_waitcnt lgkmcnt(0)
	;;#ASMSTART
	v_cvt_f32_f16 v20, v30;
	;;#ASMEND
	v_cmp_lt_i32_e64 s[8:9], v14, v7
	s_waitcnt vmcnt(31)
	;;#ASMSTART
	v_cvt_f32_f16 v21, v22;
	;;#ASMEND
	ds_read_u16 v22, v9 offset:2
	s_waitcnt lgkmcnt(0)
	;;#ASMSTART
	v_cvt_f32_f16 v22, v22;
	;;#ASMEND
	s_waitcnt vmcnt(30)
	;;#ASMSTART
	v_cvt_f32_f16 v23, v23;
	;;#ASMEND
	ds_read_u16 v30, v9 offset:4
	v_mul_f32_e32 v22, v22, v23
	v_fmac_f32_e32 v22, v20, v21
	s_waitcnt lgkmcnt(0)
	;;#ASMSTART
	v_cvt_f32_f16 v30, v30;
	;;#ASMEND
	s_waitcnt vmcnt(29)
	;;#ASMSTART
	v_cvt_f32_f16 v24, v24;
	;;#ASMEND
	ds_read_u16 v53, v9 offset:6
	v_fmac_f32_e32 v22, v30, v24
	s_waitcnt lgkmcnt(0)
	;;#ASMSTART
	v_cvt_f32_f16 v53, v53;
	;;#ASMEND
	s_waitcnt vmcnt(28)
	;;#ASMSTART
	v_cvt_f32_f16 v25, v25;
	;;#ASMEND
	ds_read_u16 v54, v9 offset:8
	;; [unrolled: 10-line block ×27, first 2 shown]
	v_fmac_f32_e32 v22, v24, v25
	s_waitcnt lgkmcnt(0)
	;;#ASMSTART
	v_cvt_f32_f16 v26, v26;
	;;#ASMEND
	s_waitcnt vmcnt(2)
	;;#ASMSTART
	v_cvt_f32_f16 v27, v52;
	;;#ASMEND
	v_cndmask_b32_e64 v60, v6, v14, s[8:9]
	v_fmac_f32_e32 v22, v26, v27
	ds_read_u16 v28, v9 offset:60
	s_waitcnt lgkmcnt(0)
	;;#ASMSTART
	v_cvt_f32_f16 v23, v28;
	;;#ASMEND
	s_waitcnt vmcnt(1)
	;;#ASMSTART
	v_cvt_f32_f16 v19, v19;
	;;#ASMEND
	v_lshlrev_b32_e32 v60, 2, v60
	v_fmac_f32_e32 v22, v23, v19
	ds_read_u16 v28, v9 offset:62
	s_waitcnt lgkmcnt(0)
	;;#ASMSTART
	v_cvt_f32_f16 v19, v28;
	;;#ASMEND
	s_waitcnt vmcnt(0)
	;;#ASMSTART
	v_cvt_f32_f16 v18, v18;
	;;#ASMEND
	v_cmp_lt_i32_e64 s[8:9], v15, v7
	v_fmac_f32_e32 v22, v19, v18
	ds_bpermute_b32 v18, v60, v22
	v_cndmask_b32_e64 v19, v6, v15, s[8:9]
	v_lshlrev_b32_e32 v19, 2, v19
	v_cmp_lt_i32_e64 s[8:9], v16, v7
	s_waitcnt lgkmcnt(0)
	v_add_f32_e32 v18, v22, v18
	ds_bpermute_b32 v19, v19, v18
	v_cndmask_b32_e64 v20, v6, v16, s[8:9]
	s_waitcnt lgkmcnt(0)
	v_add_f32_e32 v18, v18, v19
	v_lshlrev_b32_e32 v19, 2, v20
	ds_bpermute_b32 v19, v19, v18
	s_and_saveexec_b64 s[38:39], vcc
	s_cbranch_execz .LBB89_10
; %bb.12:                               ;   in Loop: Header=BB89_11 Depth=1
	v_add_u32_e32 v20, s19, v12
	v_cvt_f32_i32_e32 v20, v20
	s_waitcnt lgkmcnt(0)
	v_add_f32_e32 v18, v18, v19
	v_cmp_gt_i32_e64 s[8:9], s33, v12
	v_max_f32_e32 v19, v8, v8
	v_mul_f32_e32 v20, s3, v20
	v_cndmask_b32_e64 v20, 0, v20, s[6:7]
	v_fmac_f32_e32 v20, s11, v18
	v_cndmask_b32_e64 v18, 0, v20, s[8:9]
	ds_write_b32 v13, v18
	v_max_f32_e32 v18, v19, v20
	v_cndmask_b32_e64 v8, v8, v18, s[8:9]
	s_branch .LBB89_10
.LBB89_13:
	s_or_b64 exec, exec, s[12:13]
.LBB89_14:
	s_or_b64 exec, exec, s[36:37]
	v_xor_b32_e32 v2, 32, v6
	v_cmp_lt_i32_e32 vcc, v2, v7
	v_xor_b32_e32 v5, 16, v6
	v_max_f32_e32 v4, v8, v8
	v_cndmask_b32_e32 v2, v6, v2, vcc
	v_lshlrev_b32_e32 v3, 2, v2
	ds_bpermute_b32 v2, v3, v8
	v_cmp_lt_i32_e32 vcc, v5, v7
	v_and_b32_e32 v20, 63, v0
	s_waitcnt lgkmcnt(0)
	v_max_f32_e32 v2, v2, v2
	v_max_f32_e32 v2, v4, v2
	v_cndmask_b32_e32 v4, v6, v5, vcc
	v_lshlrev_b32_e32 v8, 2, v4
	ds_bpermute_b32 v4, v8, v2
	v_xor_b32_e32 v5, 8, v6
	v_cmp_lt_i32_e32 vcc, v5, v7
	s_waitcnt lgkmcnt(0)
	v_max_f32_e32 v4, v4, v4
	v_max_f32_e32 v4, v2, v4
	v_cndmask_b32_e32 v2, v6, v5, vcc
	v_lshlrev_b32_e32 v9, 2, v2
	ds_bpermute_b32 v5, v9, v4
	v_cmp_eq_u32_e32 vcc, 0, v20
	v_lshlrev_b32_e32 v2, 2, v1
	s_and_saveexec_b64 s[6:7], vcc
	s_cbranch_execz .LBB89_16
; %bb.15:
	s_waitcnt lgkmcnt(0)
	v_max_f32_e32 v5, v5, v5
	v_max_f32_e32 v4, v4, v4
	;; [unrolled: 1-line block ×3, first 2 shown]
	ds_write_b32 v2, v4 offset:512
.LBB89_16:
	s_or_b64 exec, exec, s[6:7]
	v_cmp_gt_u32_e64 s[6:7], 2, v20
	v_mov_b32_e32 v4, 0xff7fffff
	s_waitcnt lgkmcnt(0)
	v_lshlrev_b32_e32 v5, 2, v20
	s_barrier
	s_and_saveexec_b64 s[8:9], s[6:7]
	s_cbranch_execz .LBB89_18
; %bb.17:
	ds_read_b32 v4, v5 offset:512
.LBB89_18:
	s_or_b64 exec, exec, s[8:9]
	v_xor_b32_e32 v12, 1, v6
	v_cmp_lt_i32_e64 s[8:9], v12, v7
	s_sub_i32 s3, s16, s10
	s_lshl_b32 s3, s3, 3
	v_cndmask_b32_e64 v12, v6, v12, s[8:9]
	v_lshlrev_b32_e32 v12, 2, v12
	s_waitcnt lgkmcnt(0)
	ds_bpermute_b32 v13, v12, v4
	v_max_f32_e32 v4, v4, v4
	s_add_i32 s3, s3, s40
	s_min_i32 s19, s3, s33
	s_sub_i32 s3, s19, s40
	s_waitcnt lgkmcnt(0)
	v_max_f32_e32 v13, v13, v13
	v_max_f32_e32 v4, v4, v13
	v_lshlrev_b32_e32 v13, 2, v6
	v_and_b32_e32 v13, 0xffffff00, v13
	ds_bpermute_b32 v4, v13, v4
	v_cmp_gt_i32_e64 s[8:9], s3, v0
	v_mov_b32_e32 v14, 0
	s_and_saveexec_b64 s[12:13], s[8:9]
	s_cbranch_execz .LBB89_22
; %bb.19:
	v_mov_b32_e32 v14, 0x210
	v_lshl_add_u32 v15, v0, 2, v14
	s_mov_b64 s[36:37], 0
	v_mov_b32_e32 v14, 0
	v_mov_b32_e32 v16, v0
.LBB89_20:                              ; =>This Inner Loop Header: Depth=1
	ds_read_b32 v17, v15
	v_add_u32_e32 v16, 0x80, v16
	v_cmp_le_i32_e64 s[10:11], s3, v16
	s_or_b64 s[36:37], s[10:11], s[36:37]
	s_waitcnt lgkmcnt(0)
	v_sub_f32_e32 v17, v17, v4
	v_mul_f32_e32 v17, 0x3fb8aa3b, v17
	v_exp_f32_e32 v17, v17
	ds_write_b32 v15, v17
	v_add_f32_e32 v14, v14, v17
	v_add_u32_e32 v15, 0x200, v15
	s_andn2_b64 exec, exec, s[36:37]
	s_cbranch_execnz .LBB89_20
; %bb.21:
	s_or_b64 exec, exec, s[36:37]
.LBB89_22:
	s_or_b64 exec, exec, s[12:13]
	ds_bpermute_b32 v3, v3, v14
	s_waitcnt lgkmcnt(0)
	v_add_f32_e32 v3, v14, v3
	ds_bpermute_b32 v8, v8, v3
	s_waitcnt lgkmcnt(0)
	v_add_f32_e32 v3, v3, v8
	ds_bpermute_b32 v8, v9, v3
	v_xor_b32_e32 v9, 4, v6
	v_cmp_lt_i32_e64 s[10:11], v9, v7
	s_waitcnt lgkmcnt(0)
	v_add_f32_e32 v3, v3, v8
	v_cndmask_b32_e64 v9, v6, v9, s[10:11]
	v_lshlrev_b32_e32 v9, 2, v9
	ds_bpermute_b32 v8, v9, v3
	v_xor_b32_e32 v9, 2, v6
	v_cmp_lt_i32_e64 s[10:11], v9, v7
	s_waitcnt lgkmcnt(0)
	v_add_f32_e32 v3, v3, v8
	v_cndmask_b32_e64 v6, v6, v9, s[10:11]
	v_lshlrev_b32_e32 v6, 2, v6
	ds_bpermute_b32 v6, v6, v3
	s_waitcnt lgkmcnt(0)
	v_add_f32_e32 v3, v3, v6
	ds_bpermute_b32 v6, v12, v3
	s_waitcnt lgkmcnt(0)
	v_add_f32_e32 v3, v3, v6
	s_and_saveexec_b64 s[10:11], vcc
	s_cbranch_execz .LBB89_24
; %bb.23:
	ds_write_b32 v2, v3 offset:520
.LBB89_24:
	s_or_b64 exec, exec, s[10:11]
	s_waitcnt lgkmcnt(0)
	s_barrier
	s_and_saveexec_b64 s[10:11], s[6:7]
	s_cbranch_execz .LBB89_26
; %bb.25:
	ds_read_b32 v3, v5 offset:520
.LBB89_26:
	s_or_b64 exec, exec, s[10:11]
	s_waitcnt lgkmcnt(0)
	ds_bpermute_b32 v2, v12, v3
	s_waitcnt lgkmcnt(0)
	v_add_f32_e32 v2, v3, v2
	ds_bpermute_b32 v5, v13, v2
	s_and_saveexec_b64 s[6:7], s[8:9]
	s_cbranch_execz .LBB89_39
; %bb.27:
	s_waitcnt lgkmcnt(0)
	v_add_f32_e32 v2, 0x358637bd, v5
	v_div_scale_f32 v3, s[8:9], v2, v2, 1.0
	v_rcp_f32_e32 v6, v3
	v_div_scale_f32 v7, vcc, 1.0, v2, 1.0
	s_movk_i32 s8, 0x7f
	v_fma_f32 v8, -v3, v6, 1.0
	v_fmac_f32_e32 v6, v8, v6
	v_mul_f32_e32 v8, v7, v6
	v_fma_f32 v9, -v3, v8, v7
	v_fmac_f32_e32 v8, v9, v6
	v_fma_f32 v3, -v3, v8, v7
	v_div_fmas_f32 v3, v3, v6, v8
	v_div_fixup_f32 v2, v3, v2, 1.0
	v_xad_u32 v3, v0, -1, s19
	v_subrev_u32_e32 v6, s40, v3
	v_cmp_lt_u32_e32 vcc, s8, v6
	s_mov_b64 s[10:11], -1
	v_mov_b32_e32 v3, v0
	s_and_saveexec_b64 s[8:9], vcc
	s_cbranch_execz .LBB89_36
; %bb.28:
	v_lshrrev_b32_e32 v6, 7, v6
	v_add_u32_e32 v8, -1, v6
	v_lshrrev_b32_e32 v7, 1, v8
	v_mov_b32_e32 v3, v2
	v_add_u32_e32 v7, 1, v7
	v_cmp_lt_u32_e32 vcc, 13, v8
	v_mov_b32_e32 v12, 0
	s_and_saveexec_b64 s[10:11], vcc
	s_cbranch_execz .LBB89_32
; %bb.29:
	v_mov_b32_e32 v9, 0x210
	v_and_b32_e32 v8, -8, v7
	v_lshl_add_u32 v9, v0, 2, v9
	s_mov_b32 s19, 0
	s_mov_b64 s[12:13], 0
.LBB89_30:                              ; =>This Inner Loop Header: Depth=1
	ds_read2st64_b32 v[12:13], v9 offset1:2
	ds_read2st64_b32 v[14:15], v9 offset0:4 offset1:6
	ds_read2st64_b32 v[16:17], v9 offset0:8 offset1:10
	;; [unrolled: 1-line block ×3, first 2 shown]
	v_add_u32_e32 v8, -8, v8
	s_waitcnt lgkmcnt(3)
	v_pk_mul_f32 v[12:13], v[2:3], v[12:13]
	s_waitcnt lgkmcnt(2)
	v_pk_mul_f32 v[14:15], v[2:3], v[14:15]
	ds_write2st64_b32 v9, v12, v13 offset1:2
	ds_write2st64_b32 v9, v14, v15 offset0:4 offset1:6
	ds_read2st64_b32 v[14:15], v9 offset0:16 offset1:18
	s_waitcnt lgkmcnt(4)
	v_pk_mul_f32 v[12:13], v[2:3], v[16:17]
	ds_write2st64_b32 v9, v12, v13 offset0:8 offset1:10
	s_waitcnt lgkmcnt(4)
	v_pk_mul_f32 v[12:13], v[2:3], v[18:19]
	ds_write2st64_b32 v9, v12, v13 offset0:12 offset1:14
	ds_read2st64_b32 v[12:13], v9 offset0:20 offset1:22
	s_waitcnt lgkmcnt(3)
	v_pk_mul_f32 v[14:15], v[2:3], v[14:15]
	ds_read2st64_b32 v[16:17], v9 offset0:24 offset1:26
	ds_write2st64_b32 v9, v14, v15 offset0:16 offset1:18
	ds_read2st64_b32 v[14:15], v9 offset0:28 offset1:30
	s_waitcnt lgkmcnt(3)
	v_pk_mul_f32 v[12:13], v[2:3], v[12:13]
	ds_write2st64_b32 v9, v12, v13 offset0:20 offset1:22
	s_waitcnt lgkmcnt(3)
	v_pk_mul_f32 v[12:13], v[2:3], v[16:17]
	ds_write2st64_b32 v9, v12, v13 offset0:24 offset1:26
	s_waitcnt lgkmcnt(2)
	v_pk_mul_f32 v[12:13], v[2:3], v[14:15]
	s_add_i32 s19, s19, 16
	v_cmp_eq_u32_e32 vcc, 0, v8
	ds_write2st64_b32 v9, v12, v13 offset0:28 offset1:30
	v_add_u32_e32 v9, 0x2000, v9
	s_or_b64 s[12:13], vcc, s[12:13]
	v_mov_b32_e32 v12, s19
	s_andn2_b64 exec, exec, s[12:13]
	s_cbranch_execnz .LBB89_30
; %bb.31:
	s_or_b64 exec, exec, s[12:13]
.LBB89_32:
	s_or_b64 exec, exec, s[10:11]
	v_and_b32_e32 v7, 7, v7
	v_cmp_ne_u32_e32 vcc, 0, v7
	s_and_saveexec_b64 s[10:11], vcc
	s_cbranch_execz .LBB89_35
; %bb.33:
	v_lshlrev_b32_e32 v8, 9, v12
	v_lshlrev_b32_e32 v9, 2, v0
	s_movk_i32 s12, 0x210
	v_add3_u32 v8, v8, v9, s12
	s_mov_b64 s[12:13], 0
.LBB89_34:                              ; =>This Inner Loop Header: Depth=1
	ds_read2st64_b32 v[12:13], v8 offset1:2
	v_add_u32_e32 v7, -1, v7
	v_cmp_eq_u32_e32 vcc, 0, v7
	s_or_b64 s[12:13], vcc, s[12:13]
	s_waitcnt lgkmcnt(0)
	v_pk_mul_f32 v[12:13], v[2:3], v[12:13]
	ds_write2st64_b32 v8, v12, v13 offset1:2
	v_add_u32_e32 v8, 0x400, v8
	s_andn2_b64 exec, exec, s[12:13]
	s_cbranch_execnz .LBB89_34
.LBB89_35:
	s_or_b64 exec, exec, s[10:11]
	v_add_u32_e32 v6, 1, v6
	v_and_b32_e32 v7, 0x3fffffe, v6
	v_cmp_ne_u32_e32 vcc, v6, v7
	v_lshl_add_u32 v3, v7, 7, v0
	s_orn2_b64 s[10:11], vcc, exec
.LBB89_36:
	s_or_b64 exec, exec, s[8:9]
	s_and_b64 exec, exec, s[10:11]
	s_cbranch_execz .LBB89_39
; %bb.37:
	v_mov_b32_e32 v6, 0x210
	v_lshl_add_u32 v6, v3, 2, v6
	s_mov_b64 s[8:9], 0
.LBB89_38:                              ; =>This Inner Loop Header: Depth=1
	ds_read_b32 v7, v6
	v_add_u32_e32 v3, 0x80, v3
	v_cmp_le_i32_e32 vcc, s3, v3
	s_or_b64 s[8:9], vcc, s[8:9]
	s_waitcnt lgkmcnt(0)
	v_mul_f32_e32 v7, v2, v7
	ds_write_b32 v6, v7
	v_add_u32_e32 v6, 0x200, v6
	s_andn2_b64 exec, exec, s[8:9]
	s_cbranch_execnz .LBB89_38
.LBB89_39:
	s_or_b64 exec, exec, s[6:7]
	s_mul_i32 s3, s29, s28
	s_mov_b32 s8, 0
	v_cmp_eq_u32_e32 vcc, 0, v0
	s_mul_i32 s6, s3, s5
	s_waitcnt lgkmcnt(0)
	s_barrier
	s_and_saveexec_b64 s[10:11], vcc
	s_cbranch_execz .LBB89_41
; %bb.40:
	s_ashr_i32 s7, s6, 31
	s_lshl_b64 s[12:13], s[6:7], 2
	s_add_u32 s5, s22, s12
	s_mul_i32 s2, s29, s2
	s_addc_u32 s7, s23, s13
	s_ashr_i32 s3, s2, 31
	s_lshl_b64 s[2:3], s[2:3], 2
	s_add_u32 s9, s5, s2
	s_addc_u32 s7, s7, s3
	s_ashr_i32 s5, s4, 31
	s_lshl_b64 s[22:23], s[4:5], 2
	s_add_u32 s36, s9, s22
	s_addc_u32 s37, s7, s23
	s_add_u32 s5, s20, s12
	s_addc_u32 s7, s21, s13
	;; [unrolled: 2-line block ×3, first 2 shown]
	s_add_u32 s2, s2, s22
	v_mov_b32_e32 v2, 0
	s_addc_u32 s3, s3, s23
	global_store_dword v2, v4, s[36:37]
	global_store_dword v2, v5, s[2:3]
.LBB89_41:
	s_or_b64 exec, exec, s[10:11]
	s_mov_b32 s9, s8
	s_mov_b32 s10, s8
	;; [unrolled: 1-line block ×3, first 2 shown]
	v_mov_b64_e32 v[2:3], s[8:9]
	v_mov_b64_e32 v[4:5], s[10:11]
	s_and_saveexec_b64 s[2:3], s[0:1]
	s_cbranch_execz .LBB89_53
; %bb.42:
	s_ashr_i32 s19, s18, 31
	s_lshl_b64 s[0:1], s[18:19], 1
	s_add_u32 s0, s14, s0
	s_addc_u32 s1, s15, s1
	v_lshlrev_b32_e32 v12, 4, v20
	v_mov_b32_e32 v13, 0
	s_add_i32 s27, s27, -1
	v_lshl_add_u64 v[14:15], s[0:1], 0, v[12:13]
	s_lshl_b64 s[0:1], s[34:35], 2
	s_add_u32 s0, s30, s0
	v_mov_b32_e32 v3, 0x210
	s_addc_u32 s1, s31, s1
	s_mov_b32 s5, s17
	s_mov_b32 s7, s33
	;; [unrolled: 1-line block ×8, first 2 shown]
	v_lshl_add_u32 v2, v1, 3, s40
	v_lshl_add_u32 v1, v1, 5, v3
	v_lshl_add_u64 v[16:17], v[10:11], 2, s[0:1]
	s_mov_b64 s[8:9], 0
	s_mov_b32 s19, 0x5040100
	v_mov_b32_e32 v3, v13
	v_mov_b32_e32 v4, v13
	;; [unrolled: 1-line block ×3, first 2 shown]
	s_branch .LBB89_44
.LBB89_43:                              ;   in Loop: Header=BB89_44 Depth=1
	s_or_b64 exec, exec, s[0:1]
	s_waitcnt vmcnt(0)
	;;#ASMSTART
	v_pk_mul_f16 v6, v29, v6;

	;;#ASMEND
	;;#ASMSTART
	v_pk_mul_f16 v7, v28, v7;

	;;#ASMEND
	;; [unrolled: 4-line block ×4, first 2 shown]
	v_add_f32_e32 v11, v30, v31
	;;#ASMSTART
	v_pk_add_f16 v6, v6, v7;

	;;#ASMEND
	v_add_f32_e32 v13, v13, v11
	;;#ASMSTART
	v_pk_add_f16 v6, v6, v8;

	;;#ASMEND
	;; [unrolled: 5-line block ×3, first 2 shown]
	v_add_u32_e32 v10, 2, v10
	v_lshrrev_b32_e32 v7, 16, v6
	v_and_b32_e32 v6, 0xffff, v6
	;;#ASMSTART
	v_cvt_f32_f16 v6, v6;
	;;#ASMEND
	v_add_f32_e32 v3, v3, v11
	v_add_f32_e32 v11, v34, v35
	;;#ASMSTART
	v_cvt_f32_f16 v7, v7;
	;;#ASMEND
	v_cmp_le_i32_e32 vcc, s16, v10
	v_add_f32_e32 v6, v6, v7
	v_add_f32_e32 v4, v4, v11
	;; [unrolled: 1-line block ×3, first 2 shown]
	v_add_u32_e32 v2, 16, v2
	v_add_u32_e32 v1, 64, v1
	s_or_b64 s[8:9], vcc, s[8:9]
	v_lshl_add_u64 v[16:17], v[16:17], 0, 8
	s_andn2_b64 exec, exec, s[8:9]
	s_cbranch_execz .LBB89_52
.LBB89_44:                              ; =>This Inner Loop Header: Depth=1
	global_load_dword v11, v[16:17], off
	ds_read2_b64 v[6:9], v1 offset1:1
	ds_read2_b64 v[22:25], v1 offset0:2 offset1:3
	v_cmp_eq_u32_e32 vcc, s27, v10
	v_or_b32_e32 v21, 3, v2
	s_waitcnt lgkmcnt(1)
	;;#ASMSTART
	v_cvt_f16_f32 v26, v6;

	;;#ASMEND
	;;#ASMSTART
	v_cvt_f16_f32 v27, v7;

	;;#ASMEND
	;; [unrolled: 4-line block ×4, first 2 shown]
	s_waitcnt lgkmcnt(0)
	;;#ASMSTART
	v_cvt_f16_f32 v31, v22;

	;;#ASMEND
	;;#ASMSTART
	v_cvt_f16_f32 v32, v23;

	;;#ASMEND
	;; [unrolled: 4-line block ×4, first 2 shown]
	v_or_b32_e32 v12, 2, v2
	v_or_b32_e32 v23, 5, v2
	;; [unrolled: 1-line block ×5, first 2 shown]
	s_waitcnt vmcnt(0)
	v_mad_i64_i32 v[6:7], s[0:1], v11, s5, 0
	v_lshl_add_u64 v[18:19], v[6:7], 1, v[14:15]
	global_load_dwordx4 v[6:9], v[18:19], off
	v_add_u32_e32 v11, 1, v2
	s_and_saveexec_b64 s[10:11], vcc
	s_cbranch_execz .LBB89_46
; %bb.45:                               ;   in Loop: Header=BB89_44 Depth=1
	s_waitcnt vmcnt(0)
	v_lshrrev_b32_e32 v29, 16, v9
	v_cmp_gt_i32_e64 s[0:1], s18, v25
	s_nop 1
	v_cndmask_b32_e64 v29, 0, v29, s[0:1]
	v_cmp_gt_i32_e64 s[0:1], s17, v24
	s_nop 1
	v_cndmask_b32_e64 v9, 0, v9, s[0:1]
	v_perm_b32 v9, v29, v9, s19
	v_lshrrev_b32_e32 v29, 16, v8
	v_cmp_gt_i32_e64 s[0:1], s15, v23
	s_nop 1
	v_cndmask_b32_e64 v29, 0, v29, s[0:1]
	v_cmp_gt_i32_e64 s[0:1], s14, v22
	s_nop 1
	v_cndmask_b32_e64 v8, 0, v8, s[0:1]
	v_perm_b32 v8, v29, v8, s19
	;; [unrolled: 8-line block ×4, first 2 shown]
.LBB89_46:                              ;   in Loop: Header=BB89_44 Depth=1
	s_or_b64 exec, exec, s[10:11]
	v_and_b32_e32 v26, 0xffff, v26
	v_lshl_or_b32 v29, v27, 16, v26
	v_and_b32_e32 v26, 0xffff, v28
	v_lshl_or_b32 v28, v30, 16, v26
	v_and_b32_e32 v26, 0xffff, v31
	v_lshl_or_b32 v27, v32, 16, v26
	v_and_b32_e32 v26, 0xffff, v33
	s_waitcnt vmcnt(0)
	;;#ASMSTART
	v_pk_mul_f16 v6, v29, v6;

	;;#ASMEND
	v_lshl_or_b32 v26, v34, 16, v26
	;;#ASMSTART
	v_pk_mul_f16 v7, v28, v7;

	;;#ASMEND
	;;#ASMSTART
	v_pk_mul_f16 v8, v27, v8;

	;;#ASMEND
	;; [unrolled: 4-line block ×3, first 2 shown]
	s_nop 0
	;;#ASMSTART
	v_pk_add_f16 v6, v6, v7;

	;;#ASMEND
	s_nop 0
	;;#ASMSTART
	v_pk_add_f16 v6, v6, v8;

	;;#ASMEND
	;; [unrolled: 5-line block ×3, first 2 shown]
	s_nop 0
	v_lshrrev_b32_e32 v7, 16, v6
	v_and_b32_e32 v6, 0xffff, v6
	;;#ASMSTART
	v_cvt_f32_f16 v30, v6;
	;;#ASMEND
	;;#ASMSTART
	v_cvt_f32_f16 v31, v7;
	;;#ASMEND
	global_load_dwordx4 v[6:9], v[18:19], off offset:1024
	s_and_saveexec_b64 s[10:11], vcc
	s_cbranch_execz .LBB89_48
; %bb.47:                               ;   in Loop: Header=BB89_44 Depth=1
	s_waitcnt vmcnt(0)
	v_lshrrev_b32_e32 v32, 16, v9
	v_cmp_gt_i32_e64 s[0:1], s18, v25
	s_nop 1
	v_cndmask_b32_e64 v32, 0, v32, s[0:1]
	v_cmp_gt_i32_e64 s[0:1], s17, v24
	s_nop 1
	v_cndmask_b32_e64 v9, 0, v9, s[0:1]
	v_perm_b32 v9, v32, v9, s19
	v_lshrrev_b32_e32 v32, 16, v8
	v_cmp_gt_i32_e64 s[0:1], s15, v23
	s_nop 1
	v_cndmask_b32_e64 v32, 0, v32, s[0:1]
	v_cmp_gt_i32_e64 s[0:1], s14, v22
	s_nop 1
	v_cndmask_b32_e64 v8, 0, v8, s[0:1]
	v_perm_b32 v8, v32, v8, s19
	;; [unrolled: 8-line block ×4, first 2 shown]
.LBB89_48:                              ;   in Loop: Header=BB89_44 Depth=1
	s_or_b64 exec, exec, s[10:11]
	s_waitcnt vmcnt(0)
	;;#ASMSTART
	v_pk_mul_f16 v6, v29, v6;

	;;#ASMEND
	;;#ASMSTART
	v_pk_mul_f16 v7, v28, v7;

	;;#ASMEND
	;; [unrolled: 4-line block ×4, first 2 shown]
	s_nop 0
	;;#ASMSTART
	v_pk_add_f16 v6, v6, v7;

	;;#ASMEND
	s_nop 0
	;;#ASMSTART
	v_pk_add_f16 v6, v6, v8;

	;;#ASMEND
	;; [unrolled: 5-line block ×3, first 2 shown]
	s_nop 0
	v_lshrrev_b32_e32 v7, 16, v6
	v_and_b32_e32 v6, 0xffff, v6
	;;#ASMSTART
	v_cvt_f32_f16 v32, v6;
	;;#ASMEND
	;;#ASMSTART
	v_cvt_f32_f16 v33, v7;
	;;#ASMEND
	global_load_dwordx4 v[6:9], v[18:19], off offset:2048
	s_and_saveexec_b64 s[10:11], vcc
	s_cbranch_execz .LBB89_50
; %bb.49:                               ;   in Loop: Header=BB89_44 Depth=1
	s_waitcnt vmcnt(0)
	v_lshrrev_b32_e32 v34, 16, v9
	v_cmp_gt_i32_e64 s[0:1], s18, v25
	s_nop 1
	v_cndmask_b32_e64 v34, 0, v34, s[0:1]
	v_cmp_gt_i32_e64 s[0:1], s17, v24
	s_nop 1
	v_cndmask_b32_e64 v9, 0, v9, s[0:1]
	v_perm_b32 v9, v34, v9, s19
	v_lshrrev_b32_e32 v34, 16, v8
	v_cmp_gt_i32_e64 s[0:1], s15, v23
	s_nop 1
	v_cndmask_b32_e64 v34, 0, v34, s[0:1]
	v_cmp_gt_i32_e64 s[0:1], s14, v22
	s_nop 1
	v_cndmask_b32_e64 v8, 0, v8, s[0:1]
	v_perm_b32 v8, v34, v8, s19
	;; [unrolled: 8-line block ×4, first 2 shown]
.LBB89_50:                              ;   in Loop: Header=BB89_44 Depth=1
	s_or_b64 exec, exec, s[10:11]
	s_waitcnt vmcnt(0)
	;;#ASMSTART
	v_pk_mul_f16 v6, v29, v6;

	;;#ASMEND
	;;#ASMSTART
	v_pk_mul_f16 v7, v28, v7;

	;;#ASMEND
	;; [unrolled: 4-line block ×4, first 2 shown]
	s_nop 0
	;;#ASMSTART
	v_pk_add_f16 v6, v6, v7;

	;;#ASMEND
	s_nop 0
	;;#ASMSTART
	v_pk_add_f16 v6, v6, v8;

	;;#ASMEND
	;; [unrolled: 5-line block ×3, first 2 shown]
	s_nop 0
	v_lshrrev_b32_e32 v7, 16, v6
	v_and_b32_e32 v6, 0xffff, v6
	;;#ASMSTART
	v_cvt_f32_f16 v34, v6;
	;;#ASMEND
	;;#ASMSTART
	v_cvt_f32_f16 v35, v7;
	;;#ASMEND
	global_load_dwordx4 v[6:9], v[18:19], off offset:3072
	s_and_saveexec_b64 s[0:1], vcc
	s_cbranch_execz .LBB89_43
; %bb.51:                               ;   in Loop: Header=BB89_44 Depth=1
	s_waitcnt vmcnt(0)
	v_lshrrev_b32_e32 v18, 16, v9
	v_cmp_gt_i32_e32 vcc, s18, v25
	s_nop 1
	v_cndmask_b32_e32 v18, 0, v18, vcc
	v_cmp_gt_i32_e32 vcc, s17, v24
	s_nop 1
	v_cndmask_b32_e32 v9, 0, v9, vcc
	v_perm_b32 v9, v18, v9, s19
	v_lshrrev_b32_e32 v18, 16, v8
	v_cmp_gt_i32_e32 vcc, s15, v23
	s_nop 1
	v_cndmask_b32_e32 v18, 0, v18, vcc
	v_cmp_gt_i32_e32 vcc, s14, v22
	s_nop 1
	v_cndmask_b32_e32 v8, 0, v8, vcc
	v_perm_b32 v8, v18, v8, s19
	v_lshrrev_b32_e32 v18, 16, v7
	v_cmp_gt_i32_e32 vcc, s13, v21
	s_nop 1
	v_cndmask_b32_e32 v18, 0, v18, vcc
	v_cmp_gt_i32_e32 vcc, s12, v12
	v_lshrrev_b32_e32 v12, 16, v6
	s_nop 0
	v_cndmask_b32_e32 v7, 0, v7, vcc
	v_cmp_gt_i32_e32 vcc, s7, v11
	v_perm_b32 v7, v18, v7, s19
	s_nop 0
	v_cndmask_b32_e32 v11, 0, v12, vcc
	v_cmp_gt_i32_e32 vcc, s33, v2
	s_nop 1
	v_cndmask_b32_e32 v6, 0, v6, vcc
	v_perm_b32 v6, v11, v6, s19
	s_branch .LBB89_43
.LBB89_52:
	s_or_b64 exec, exec, s[8:9]
	v_mov_b32_e32 v2, v13
.LBB89_53:
	s_or_b64 exec, exec, s[2:3]
	v_and_b32_e32 v1, 0x3c0, v0
	v_cmp_eq_u32_e32 vcc, 64, v1
	s_barrier
	s_and_saveexec_b64 s[0:1], vcc
	s_cbranch_execz .LBB89_55
; %bb.54:
	v_lshlrev_b32_e32 v1, 2, v0
	v_mov_b32_e32 v7, 0x210
	v_or_b32_e32 v6, 0x300, v1
	v_lshl_add_u32 v7, v20, 2, v7
	v_add_u32_e32 v6, 0x210, v6
	v_add_u32_e32 v1, 0x210, v1
	ds_write_b32 v7, v2
	ds_write_b32 v1, v3
	ds_write_b32 v7, v4 offset:512
	ds_write_b32 v6, v5
.LBB89_55:
	s_or_b64 exec, exec, s[0:1]
	v_cmp_gt_u32_e32 vcc, 64, v0
	s_waitcnt lgkmcnt(0)
	s_barrier
	s_and_saveexec_b64 s[0:1], vcc
	s_cbranch_execz .LBB89_57
; %bb.56:
	v_mov_b32_e32 v1, 0x210
	v_lshl_add_u32 v1, v0, 2, v1
	ds_read2st64_b32 v[6:7], v1 offset0:2 offset1:3
	ds_read2st64_b32 v[8:9], v1 offset1:1
	s_waitcnt lgkmcnt(1)
	v_pk_add_f32 v[4:5], v[4:5], v[6:7]
	s_waitcnt lgkmcnt(0)
	v_pk_add_f32 v[2:3], v[2:3], v[8:9]
.LBB89_57:
	s_or_b64 exec, exec, s[0:1]
	s_barrier
	s_and_saveexec_b64 s[0:1], vcc
	s_cbranch_execz .LBB89_59
; %bb.58:
	s_lshl_b32 s0, s6, 8
	s_ashr_i32 s1, s0, 31
	s_lshl_b64 s[0:1], s[0:1], 1
	s_add_u32 s2, s24, s0
	s_mul_i32 s0, s29, s26
	s_addc_u32 s3, s25, s1
	s_ashr_i32 s1, s0, 31
	s_lshl_b64 s[0:1], s[0:1], 1
	s_add_u32 s2, s2, s0
	s_addc_u32 s3, s3, s1
	s_lshl_b32 s0, s4, 8
	s_ashr_i32 s1, s0, 31
	s_lshl_b64 s[0:1], s[0:1], 1
	s_add_u32 s0, s2, s0
	s_addc_u32 s1, s3, s1
	v_lshlrev_b32_e32 v0, 1, v0
	;;#ASMSTART
	v_cvt_f16_f32 v1, v2;

	;;#ASMEND
	global_store_short v0, v1, s[0:1]
	;;#ASMSTART
	v_cvt_f16_f32 v1, v3;

	;;#ASMEND
	global_store_short v0, v1, s[0:1] offset:128
	;;#ASMSTART
	v_cvt_f16_f32 v1, v4;

	;;#ASMEND
	global_store_short v0, v1, s[0:1] offset:256
	;; [unrolled: 5-line block ×3, first 2 shown]
.LBB89_59:
	s_endpgm
	.section	.rodata,"a",@progbits
	.p2align	6, 0x0
	.amdhsa_kernel _ZN4vllm25paged_attention_v2_kernelIttLi256ELi8ELi128ELNS_18Fp8KVCacheDataTypeE0ELb0ELi512EEEvPfS2_PT_PKS3_PKT0_S9_ifPKiSB_iPKfiiiSD_SD_iiiii
		.amdhsa_group_segment_fixed_size 528
		.amdhsa_private_segment_fixed_size 0
		.amdhsa_kernarg_size 400
		.amdhsa_user_sgpr_count 2
		.amdhsa_user_sgpr_dispatch_ptr 0
		.amdhsa_user_sgpr_queue_ptr 0
		.amdhsa_user_sgpr_kernarg_segment_ptr 1
		.amdhsa_user_sgpr_dispatch_id 0
		.amdhsa_user_sgpr_kernarg_preload_length 0
		.amdhsa_user_sgpr_kernarg_preload_offset 0
		.amdhsa_user_sgpr_private_segment_size 0
		.amdhsa_uses_dynamic_stack 0
		.amdhsa_enable_private_segment 0
		.amdhsa_system_sgpr_workgroup_id_x 1
		.amdhsa_system_sgpr_workgroup_id_y 1
		.amdhsa_system_sgpr_workgroup_id_z 1
		.amdhsa_system_sgpr_workgroup_info 0
		.amdhsa_system_vgpr_workitem_id 0
		.amdhsa_next_free_vgpr 61
		.amdhsa_next_free_sgpr 44
		.amdhsa_accum_offset 64
		.amdhsa_reserve_vcc 1
		.amdhsa_float_round_mode_32 0
		.amdhsa_float_round_mode_16_64 0
		.amdhsa_float_denorm_mode_32 3
		.amdhsa_float_denorm_mode_16_64 3
		.amdhsa_dx10_clamp 1
		.amdhsa_ieee_mode 1
		.amdhsa_fp16_overflow 0
		.amdhsa_tg_split 0
		.amdhsa_exception_fp_ieee_invalid_op 0
		.amdhsa_exception_fp_denorm_src 0
		.amdhsa_exception_fp_ieee_div_zero 0
		.amdhsa_exception_fp_ieee_overflow 0
		.amdhsa_exception_fp_ieee_underflow 0
		.amdhsa_exception_fp_ieee_inexact 0
		.amdhsa_exception_int_div_zero 0
	.end_amdhsa_kernel
	.section	.text._ZN4vllm25paged_attention_v2_kernelIttLi256ELi8ELi128ELNS_18Fp8KVCacheDataTypeE0ELb0ELi512EEEvPfS2_PT_PKS3_PKT0_S9_ifPKiSB_iPKfiiiSD_SD_iiiii,"axG",@progbits,_ZN4vllm25paged_attention_v2_kernelIttLi256ELi8ELi128ELNS_18Fp8KVCacheDataTypeE0ELb0ELi512EEEvPfS2_PT_PKS3_PKT0_S9_ifPKiSB_iPKfiiiSD_SD_iiiii,comdat
.Lfunc_end89:
	.size	_ZN4vllm25paged_attention_v2_kernelIttLi256ELi8ELi128ELNS_18Fp8KVCacheDataTypeE0ELb0ELi512EEEvPfS2_PT_PKS3_PKT0_S9_ifPKiSB_iPKfiiiSD_SD_iiiii, .Lfunc_end89-_ZN4vllm25paged_attention_v2_kernelIttLi256ELi8ELi128ELNS_18Fp8KVCacheDataTypeE0ELb0ELi512EEEvPfS2_PT_PKS3_PKT0_S9_ifPKiSB_iPKfiiiSD_SD_iiiii
                                        ; -- End function
	.section	.AMDGPU.csdata,"",@progbits
; Kernel info:
; codeLenInByte = 6100
; NumSgprs: 50
; NumVgprs: 61
; NumAgprs: 0
; TotalNumVgprs: 61
; ScratchSize: 0
; MemoryBound: 0
; FloatMode: 240
; IeeeMode: 1
; LDSByteSize: 528 bytes/workgroup (compile time only)
; SGPRBlocks: 6
; VGPRBlocks: 7
; NumSGPRsForWavesPerEU: 50
; NumVGPRsForWavesPerEU: 61
; AccumOffset: 64
; Occupancy: 8
; WaveLimiterHint : 1
; COMPUTE_PGM_RSRC2:SCRATCH_EN: 0
; COMPUTE_PGM_RSRC2:USER_SGPR: 2
; COMPUTE_PGM_RSRC2:TRAP_HANDLER: 0
; COMPUTE_PGM_RSRC2:TGID_X_EN: 1
; COMPUTE_PGM_RSRC2:TGID_Y_EN: 1
; COMPUTE_PGM_RSRC2:TGID_Z_EN: 1
; COMPUTE_PGM_RSRC2:TIDIG_COMP_CNT: 0
; COMPUTE_PGM_RSRC3_GFX90A:ACCUM_OFFSET: 15
; COMPUTE_PGM_RSRC3_GFX90A:TG_SPLIT: 0
	.section	.text._ZN4vllm25paged_attention_v2_kernelIttLi32ELi16ELi128ELNS_18Fp8KVCacheDataTypeE0ELb1ELi512EEEvPfS2_PT_PKS3_PKT0_S9_ifPKiSB_iPKfiiiSD_SD_iiiii,"axG",@progbits,_ZN4vllm25paged_attention_v2_kernelIttLi32ELi16ELi128ELNS_18Fp8KVCacheDataTypeE0ELb1ELi512EEEvPfS2_PT_PKS3_PKT0_S9_ifPKiSB_iPKfiiiSD_SD_iiiii,comdat
	.protected	_ZN4vllm25paged_attention_v2_kernelIttLi32ELi16ELi128ELNS_18Fp8KVCacheDataTypeE0ELb1ELi512EEEvPfS2_PT_PKS3_PKT0_S9_ifPKiSB_iPKfiiiSD_SD_iiiii ; -- Begin function _ZN4vllm25paged_attention_v2_kernelIttLi32ELi16ELi128ELNS_18Fp8KVCacheDataTypeE0ELb1ELi512EEEvPfS2_PT_PKS3_PKT0_S9_ifPKiSB_iPKfiiiSD_SD_iiiii
	.globl	_ZN4vllm25paged_attention_v2_kernelIttLi32ELi16ELi128ELNS_18Fp8KVCacheDataTypeE0ELb1ELi512EEEvPfS2_PT_PKS3_PKT0_S9_ifPKiSB_iPKfiiiSD_SD_iiiii
	.p2align	8
	.type	_ZN4vllm25paged_attention_v2_kernelIttLi32ELi16ELi128ELNS_18Fp8KVCacheDataTypeE0ELb1ELi512EEEvPfS2_PT_PKS3_PKT0_S9_ifPKiSB_iPKfiiiSD_SD_iiiii,@function
_ZN4vllm25paged_attention_v2_kernelIttLi32ELi16ELi128ELNS_18Fp8KVCacheDataTypeE0ELb1ELi512EEEvPfS2_PT_PKS3_PKT0_S9_ifPKiSB_iPKfiiiSD_SD_iiiii: ; @_ZN4vllm25paged_attention_v2_kernelIttLi32ELi16ELi128ELNS_18Fp8KVCacheDataTypeE0ELb1ELi512EEEvPfS2_PT_PKS3_PKT0_S9_ifPKiSB_iPKfiiiSD_SD_iiiii
; %bb.0:
	s_load_dwordx2 s[6:7], s[0:1], 0x40
	s_mov_b32 s28, s3
	s_ashr_i32 s29, s3, 31
	s_lshl_b64 s[8:9], s[28:29], 2
	s_waitcnt lgkmcnt(0)
	s_add_u32 s6, s6, s8
	s_addc_u32 s7, s7, s9
	s_load_dword s29, s[6:7], 0x0
	s_lshl_b32 s50, s4, 9
	s_waitcnt lgkmcnt(0)
	s_cmp_ge_i32 s50, s29
	s_cbranch_scc1 .LBB90_61
; %bb.1:
	s_load_dword s5, s[0:1], 0x90
	s_load_dwordx2 s[38:39], s[0:1], 0x30
	s_waitcnt lgkmcnt(0)
	s_abs_i32 s7, s5
	s_abs_i32 s3, s38
	v_cvt_f32_u32_e32 v1, s3
	s_sub_i32 s8, 0, s3
	s_xor_b32 s6, s5, s38
	s_ashr_i32 s6, s6, 31
	v_rcp_iflag_f32_e32 v1, v1
	s_nop 0
	v_mul_f32_e32 v1, 0x4f7ffffe, v1
	v_cvt_u32_f32_e32 v1, v1
	s_nop 0
	v_readfirstlane_b32 s9, v1
	s_mul_i32 s8, s8, s9
	s_mul_hi_u32 s8, s9, s8
	s_add_i32 s9, s9, s8
	s_mul_hi_u32 s8, s7, s9
	s_mul_i32 s9, s8, s3
	s_sub_i32 s7, s7, s9
	s_add_i32 s10, s8, 1
	s_sub_i32 s9, s7, s3
	s_cmp_ge_u32 s7, s3
	s_cselect_b32 s8, s10, s8
	s_cselect_b32 s7, s9, s7
	s_add_i32 s9, s8, 1
	s_cmp_ge_u32 s7, s3
	s_cselect_b32 s3, s9, s8
	s_xor_b32 s3, s3, s6
	s_sub_i32 s11, s3, s6
	s_abs_i32 s8, s11
	v_cvt_f32_u32_e32 v1, s8
	s_load_dwordx2 s[6:7], s[0:1], 0x50
	s_sub_i32 s10, 0, s8
	s_abs_i32 s9, s2
	v_rcp_iflag_f32_e32 v1, v1
	s_mov_b32 s3, 0
	v_mul_f32_e32 v1, 0x4f7ffffe, v1
	v_cvt_u32_f32_e32 v1, v1
	s_nop 0
	v_readfirstlane_b32 s12, v1
	s_mul_i32 s10, s10, s12
	s_mul_hi_u32 s10, s12, s10
	s_add_i32 s12, s12, s10
	s_waitcnt lgkmcnt(0)
	s_cmp_eq_u64 s[6:7], 0
	s_mul_hi_u32 s10, s9, s12
	s_cbranch_scc1 .LBB90_3
; %bb.2:
	s_ashr_i32 s3, s2, 31
	s_lshl_b64 s[12:13], s[2:3], 2
	s_add_u32 s6, s6, s12
	s_addc_u32 s7, s7, s13
	s_load_dword s3, s[6:7], 0x0
.LBB90_3:
	s_load_dwordx4 s[12:15], s[0:1], 0x58
	s_ashr_i32 s16, s2, 31
	s_ashr_i32 s11, s11, 31
	v_and_b32_e32 v4, 3, v0
	s_lshl_b32 s24, s2, 5
	v_cmp_gt_u32_e32 vcc, 16, v0
	s_and_saveexec_b64 s[6:7], vcc
	s_cbranch_execz .LBB90_5
; %bb.4:
	s_load_dwordx2 s[18:19], s[0:1], 0x18
	s_waitcnt lgkmcnt(0)
	s_mul_i32 s20, s28, s12
	s_ashr_i32 s21, s20, 31
	s_lshl_b64 s[20:21], s[20:21], 1
	v_lshlrev_b32_e32 v1, 2, v0
	s_add_u32 s12, s18, s20
	s_addc_u32 s15, s19, s21
	s_ashr_i32 s25, s24, 31
	s_lshl_b64 s[18:19], s[24:25], 1
	s_add_u32 s18, s12, s18
	s_addc_u32 s19, s15, s19
	global_load_dword v1, v1, s[18:19]
	v_and_b32_e32 v2, 0x3fc, v0
	v_lshl_add_u32 v2, v4, 4, v2
	s_waitcnt vmcnt(0)
	ds_write_b32 v2, v1
.LBB90_5:
	s_or_b64 exec, exec, s[6:7]
	s_mul_i32 s7, s10, s8
	s_sub_i32 s7, s9, s7
	s_xor_b32 s6, s16, s11
	s_add_i32 s9, s10, 1
	s_sub_i32 s11, s7, s8
	s_load_dwordx4 s[16:19], s[0:1], 0x78
	s_cmp_ge_u32 s7, s8
	s_cselect_b32 s9, s9, s10
	s_cselect_b32 s7, s11, s7
	s_load_dword s11, s[0:1], 0x88
	s_add_i32 s10, s9, 1
	s_cmp_ge_u32 s7, s8
	s_cselect_b32 s7, s10, s9
	s_waitcnt lgkmcnt(0)
	s_abs_i32 s25, s19
	v_cvt_f32_u32_e32 v1, s25
	s_xor_b32 s7, s7, s6
	s_sub_i32 s10, s7, s6
	s_sub_i32 s6, 0, s25
	v_rcp_iflag_f32_e32 v1, v1
	s_add_i32 s12, s29, -1
	s_abs_i32 s8, s12
	v_mul_f32_e32 v1, 0x4f7ffffe, v1
	v_cvt_u32_f32_e32 v1, v1
	s_barrier
	v_readfirstlane_b32 s33, v1
	s_mul_i32 s6, s6, s33
	s_mul_hi_u32 s6, s33, s6
	s_add_i32 s33, s33, s6
	s_cmp_lt_i32 s11, 0
	s_mul_hi_u32 s9, s8, s33
	s_cbranch_scc0 .LBB90_7
; %bb.6:
	s_mul_i32 s6, s16, s38
	s_add_i32 s6, s10, s6
	s_mul_i32 s6, s6, s11
	s_sub_i32 s46, 1, s6
	s_mov_b64 s[6:7], 0
	s_branch .LBB90_8
.LBB90_7:
	s_mov_b64 s[6:7], -1
                                        ; implicit-def: $sgpr46
.LBB90_8:
	s_load_dwordx2 s[30:31], s[0:1], 0x38
	s_ashr_i32 s12, s12, 31
	s_andn2_b64 vcc, exec, s[6:7]
	s_ashr_i32 s19, s19, 31
	s_cbranch_vccnz .LBB90_10
; %bb.9:
	s_mul_i32 s6, s5, s16
	s_add_i32 s6, s6, s2
	s_mul_i32 s6, s6, s11
	s_add_i32 s46, s6, 1
.LBB90_10:
	s_load_dword s6, s[0:1], 0x48
	s_load_dwordx2 s[36:37], s[0:1], 0x28
	s_load_dword s16, s[0:1], 0x98
	s_load_dwordx4 s[20:23], s[0:1], 0x0
	s_load_dwordx2 s[26:27], s[0:1], 0x10
	s_mul_i32 s7, s9, s25
	s_waitcnt lgkmcnt(0)
	s_mul_i32 s34, s28, s6
	s_sub_i32 s7, s8, s7
	s_ashr_i32 s35, s34, 31
	s_xor_b32 s6, s12, s19
	s_add_i32 s8, s9, 1
	s_sub_i32 s11, s7, s25
	s_cmp_ge_u32 s7, s25
	s_cselect_b32 s8, s8, s9
	s_cselect_b32 s7, s11, s7
	s_add_i32 s9, s8, 1
	s_cmp_ge_u32 s7, s25
	s_cselect_b32 s7, s9, s8
	s_xor_b32 s7, s7, s6
	s_sub_i32 s49, s7, s6
	s_add_i32 s6, s29, 15
	s_ashr_i32 s7, s6, 31
	s_lshr_b32 s7, s7, 28
	s_add_i32 s6, s6, s7
	s_lshl_b32 s12, s4, 5
	s_ashr_i32 s48, s6, 4
	s_add_i32 s6, s12, 32
	v_lshrrev_b32_e32 v14, 6, v0
	s_min_i32 s47, s6, s48
	v_or_b32_e32 v6, s12, v14
	v_cmp_gt_i32_e64 s[8:9], s47, v6
	v_mov_b32_e32 v11, 0xff7fffff
	s_mul_i32 s14, s10, s14
	v_ashrrev_i32_e32 v7, 31, v6
	v_lshl_add_u32 v1, v14, 4, s50
	v_mbcnt_lo_u32_b32 v8, -1, 0
	s_and_saveexec_b64 s[40:41], s[8:9]
	s_cbranch_execz .LBB90_20
; %bb.11:
	s_load_dwordx2 s[0:1], s[0:1], 0x20
	s_ashr_i32 s15, s14, 31
	s_sub_i32 s38, s49, s17
	s_lshl_b64 s[6:7], s[14:15], 1
	v_bfe_u32 v9, v0, 2, 4
	s_waitcnt lgkmcnt(0)
	s_add_u32 s0, s0, s6
	s_addc_u32 s1, s1, s7
	s_abs_i32 s15, s18
	v_cvt_f32_u32_e32 v5, s15
	v_lshlrev_b32_e32 v2, 4, v9
	v_mov_b32_e32 v3, 0
	v_lshl_add_u64 v[10:11], s[0:1], 0, v[2:3]
	v_rcp_iflag_f32_e32 v5, v5
	v_lshlrev_b32_e32 v2, 2, v0
	v_and_b32_e32 v2, 12, v2
	v_lshl_add_u64 v[2:3], v[10:11], 0, v[2:3]
	v_mul_f32_e32 v5, 0x4f7ffffe, v5
	v_cvt_u32_f32_e32 v5, v5
	s_sub_i32 s0, 0, s15
	v_lshlrev_b32_e32 v11, 2, v9
	v_cmp_eq_u32_e32 vcc, 0, v4
	v_lshlrev_b32_e32 v10, 4, v4
	v_mul_lo_u32 v4, s0, v5
	s_lshl_b64 s[0:1], s[34:35], 2
	v_lshl_or_b32 v11, v14, 6, v11
	s_add_u32 s0, s30, s0
	v_add_u32_e32 v15, 0x50, v11
	v_subrev_u32_e32 v11, s29, v9
	v_mbcnt_hi_u32_b32 v18, -1, v8
	v_mul_hi_u32 v4, v5, v4
	s_addc_u32 s1, s31, s1
	v_add_u32_e32 v16, 1, v11
	v_and_b32_e32 v11, 64, v18
	s_mov_b32 s51, s13
	v_cmp_neq_f32_e64 s[6:7], s3, 0
	v_add_u32_e32 v12, v5, v4
	v_lshl_add_u64 v[4:5], v[6:7], 2, s[0:1]
	v_lshl_add_u32 v13, v14, 4, s50
	s_mov_b64 s[42:43], 0
	v_mov_b32_e32 v17, 0xff7fffff
	v_add_u32_e32 v19, 64, v11
	v_xor_b32_e32 v20, 2, v18
	v_xor_b32_e32 v21, 1, v18
	v_mov_b32_e32 v11, 0xff7fffff
	v_mov_b32_e32 v22, v6
	s_branch .LBB90_14
.LBB90_12:                              ;   in Loop: Header=BB90_14 Depth=1
	s_or_b64 exec, exec, s[44:45]
.LBB90_13:                              ;   in Loop: Header=BB90_14 Depth=1
	s_or_b64 exec, exec, s[10:11]
	v_add_u32_e32 v22, 2, v22
	v_cmp_le_i32_e64 s[0:1], s47, v22
	v_lshl_add_u64 v[4:5], v[4:5], 0, 8
	v_add_u32_e32 v13, 32, v13
	s_or_b64 s[42:43], s[0:1], s[42:43]
	v_add_u32_e32 v15, 0x80, v15
	s_andn2_b64 exec, exec, s[42:43]
	s_cbranch_execz .LBB90_19
.LBB90_14:                              ; =>This Inner Loop Header: Depth=1
	s_waitcnt lgkmcnt(0)
	v_sub_u32_e32 v24, 0, v13
	v_max_i32_e32 v24, v13, v24
	v_mul_hi_u32 v25, v24, s33
	v_mul_lo_u32 v26, v25, s25
	v_sub_u32_e32 v24, v24, v26
	v_add_u32_e32 v26, 1, v25
	v_cmp_le_u32_e64 s[0:1], s25, v24
	v_ashrrev_i32_e32 v23, 31, v13
	v_xor_b32_e32 v23, s19, v23
	v_cndmask_b32_e64 v25, v25, v26, s[0:1]
	v_subrev_u32_e32 v26, s25, v24
	v_cndmask_b32_e64 v24, v24, v26, s[0:1]
	v_add_u32_e32 v26, 1, v25
	v_cmp_le_u32_e64 s[0:1], s25, v24
	s_nop 1
	v_cndmask_b32_e64 v24, v25, v26, s[0:1]
	v_xor_b32_e32 v24, v24, v23
	v_sub_u32_e32 v23, v24, v23
	v_add_u32_e32 v24, s46, v23
	v_sub_u32_e32 v26, 0, v24
	v_ashrrev_i32_e32 v25, 31, v24
	v_max_i32_e32 v24, v24, v26
	v_mul_hi_u32 v26, v24, v12
	v_mul_lo_u32 v26, v26, s15
	v_sub_u32_e32 v24, v24, v26
	v_subrev_u32_e32 v26, s15, v24
	v_cmp_le_u32_e64 s[0:1], s15, v24
	v_cmp_ge_i32_e64 s[10:11], s38, v23
	s_nop 0
	v_cndmask_b32_e64 v24, v24, v26, s[0:1]
	v_subrev_u32_e32 v26, s15, v24
	v_cmp_le_u32_e64 s[0:1], s15, v24
	s_nop 1
	v_cndmask_b32_e64 v24, v24, v26, s[0:1]
	v_xor_b32_e32 v24, v24, v25
	v_sub_u32_e32 v24, v24, v25
	v_cmp_ne_u32_e64 s[0:1], 0, v24
	s_and_b64 s[0:1], s[0:1], s[10:11]
	s_and_b64 s[44:45], vcc, s[0:1]
	s_and_saveexec_b64 s[10:11], s[44:45]
	s_cbranch_execz .LBB90_16
; %bb.15:                               ;   in Loop: Header=BB90_14 Depth=1
	ds_write_b32 v15, v17
.LBB90_16:                              ;   in Loop: Header=BB90_14 Depth=1
	s_or_b64 exec, exec, s[10:11]
	s_xor_b64 s[0:1], s[0:1], -1
	s_and_saveexec_b64 s[10:11], s[0:1]
	s_cbranch_execz .LBB90_13
; %bb.17:                               ;   in Loop: Header=BB90_14 Depth=1
	global_load_dword v23, v[4:5], off
	s_waitcnt vmcnt(0)
	v_mad_i64_i32 v[24:25], s[0:1], v23, s51, 0
	v_lshl_add_u64 v[24:25], v[24:25], 1, v[2:3]
	global_load_dword v23, v[24:25], off
	global_load_dword v26, v[24:25], off offset:256
	global_load_dword v27, v[24:25], off offset:512
	;; [unrolled: 1-line block ×3, first 2 shown]
	ds_read_b32 v24, v10
	v_cmp_lt_i32_e64 s[0:1], v20, v19
	s_waitcnt lgkmcnt(0)
	v_lshrrev_b32_e32 v29, 16, v24
	v_and_b32_e32 v24, 0xffff, v24
	;;#ASMSTART
	v_cvt_f32_f16 v24, v24;
	;;#ASMEND
	;;#ASMSTART
	v_cvt_f32_f16 v29, v29;
	;;#ASMEND
	v_cndmask_b32_e64 v25, v18, v20, s[0:1]
	v_lshlrev_b32_e32 v25, 2, v25
	v_cmp_lt_i32_e64 s[0:1], v21, v19
	s_waitcnt vmcnt(3)
	v_lshrrev_b32_e32 v30, 16, v23
	v_and_b32_e32 v23, 0xffff, v23
	;;#ASMSTART
	v_cvt_f32_f16 v23, v23;
	;;#ASMEND
	;;#ASMSTART
	v_cvt_f32_f16 v30, v30;
	;;#ASMEND
	ds_read_b32 v31, v10 offset:4
	s_waitcnt vmcnt(2)
	v_lshrrev_b32_e32 v32, 16, v26
	v_and_b32_e32 v26, 0xffff, v26
	s_waitcnt vmcnt(1)
	v_lshrrev_b32_e32 v33, 16, v27
	v_and_b32_e32 v27, 0xffff, v27
	s_waitcnt lgkmcnt(0)
	v_lshrrev_b32_e32 v34, 16, v31
	v_and_b32_e32 v31, 0xffff, v31
	;;#ASMSTART
	v_cvt_f32_f16 v31, v31;
	;;#ASMEND
	;;#ASMSTART
	v_cvt_f32_f16 v34, v34;
	;;#ASMEND
	;; [unrolled: 3-line block ×4, first 2 shown]
	ds_read_b32 v35, v10 offset:8
	v_mul_f32_e32 v26, v31, v26
	v_mul_f32_e32 v31, v34, v32
	v_fmac_f32_e32 v26, v24, v23
	v_fmac_f32_e32 v31, v29, v30
	s_waitcnt lgkmcnt(0)
	v_lshrrev_b32_e32 v32, 16, v35
	v_and_b32_e32 v34, 0xffff, v35
	;;#ASMSTART
	v_cvt_f32_f16 v34, v34;
	;;#ASMEND
	;;#ASMSTART
	v_cvt_f32_f16 v32, v32;
	;;#ASMEND
	;;#ASMSTART
	v_cvt_f32_f16 v27, v27;
	;;#ASMEND
	;;#ASMSTART
	v_cvt_f32_f16 v33, v33;
	;;#ASMEND
	ds_read_b32 v35, v10 offset:12
	s_waitcnt vmcnt(0)
	v_lshrrev_b32_e32 v36, 16, v28
	v_and_b32_e32 v28, 0xffff, v28
	v_fmac_f32_e32 v26, v34, v27
	v_fmac_f32_e32 v31, v32, v33
	s_waitcnt lgkmcnt(0)
	v_lshrrev_b32_e32 v23, 16, v35
	v_and_b32_e32 v24, 0xffff, v35
	;;#ASMSTART
	v_cvt_f32_f16 v24, v24;
	;;#ASMEND
	;;#ASMSTART
	v_cvt_f32_f16 v23, v23;
	;;#ASMEND
	;; [unrolled: 3-line block ×4, first 2 shown]
	s_nop 0
	v_fmac_f32_e32 v26, v24, v27
	v_fmac_f32_e32 v31, v23, v28
	v_add_f32_e32 v23, v26, v31
	ds_bpermute_b32 v24, v25, v23
	v_cndmask_b32_e64 v25, v18, v21, s[0:1]
	s_waitcnt lgkmcnt(0)
	v_add_f32_e32 v23, v23, v24
	v_lshlrev_b32_e32 v24, 2, v25
	ds_bpermute_b32 v24, v24, v23
	s_and_saveexec_b64 s[44:45], vcc
	s_cbranch_execz .LBB90_12
; %bb.18:                               ;   in Loop: Header=BB90_14 Depth=1
	v_add_u32_e32 v25, v16, v13
	v_cvt_f32_i32_e32 v25, v25
	s_waitcnt lgkmcnt(0)
	v_add_f32_e32 v23, v23, v24
	v_add_u32_e32 v26, v9, v13
	v_cmp_gt_i32_e64 s[0:1], s29, v26
	v_mul_f32_e32 v24, s3, v25
	v_cndmask_b32_e64 v24, 0, v24, s[6:7]
	v_fmac_f32_e32 v24, s39, v23
	v_cndmask_b32_e64 v23, 0, v24, s[0:1]
	ds_write_b32 v15, v23
	v_max_f32_e32 v23, v11, v11
	v_max_f32_e32 v23, v23, v24
	v_cndmask_b32_e64 v11, v11, v23, s[0:1]
	s_branch .LBB90_12
.LBB90_19:
	s_or_b64 exec, exec, s[42:43]
.LBB90_20:
	s_or_b64 exec, exec, s[40:41]
	v_mbcnt_hi_u32_b32 v2, -1, v8
	v_and_b32_e32 v3, 64, v2
	v_add_u32_e32 v3, 64, v3
	v_xor_b32_e32 v4, 32, v2
	v_cmp_lt_i32_e32 vcc, v4, v3
	v_xor_b32_e32 v9, 16, v2
	v_max_f32_e32 v8, v11, v11
	v_cndmask_b32_e32 v4, v2, v4, vcc
	v_lshlrev_b32_e32 v5, 2, v4
	ds_bpermute_b32 v4, v5, v11
	v_cmp_lt_i32_e32 vcc, v9, v3
	v_xor_b32_e32 v10, 8, v2
	v_and_b32_e32 v15, 63, v0
	s_waitcnt lgkmcnt(0)
	v_max_f32_e32 v4, v4, v4
	v_max_f32_e32 v4, v8, v4
	v_cndmask_b32_e32 v8, v2, v9, vcc
	v_lshlrev_b32_e32 v8, 2, v8
	ds_bpermute_b32 v9, v8, v4
	v_cmp_lt_i32_e32 vcc, v10, v3
	s_waitcnt lgkmcnt(0)
	v_max_f32_e32 v9, v9, v9
	v_max_f32_e32 v4, v4, v9
	v_cndmask_b32_e32 v9, v2, v10, vcc
	v_lshlrev_b32_e32 v11, 2, v9
	ds_bpermute_b32 v9, v11, v4
	v_xor_b32_e32 v10, 4, v2
	v_cmp_lt_i32_e32 vcc, v10, v3
	s_waitcnt lgkmcnt(0)
	v_max_f32_e32 v9, v9, v9
	v_max_f32_e32 v4, v4, v9
	v_cndmask_b32_e32 v9, v2, v10, vcc
	v_lshlrev_b32_e32 v12, 2, v9
	ds_bpermute_b32 v10, v12, v4
	v_cmp_eq_u32_e32 vcc, 0, v15
	v_lshlrev_b32_e32 v9, 2, v14
	s_and_saveexec_b64 s[0:1], vcc
	s_cbranch_execz .LBB90_22
; %bb.21:
	s_waitcnt lgkmcnt(0)
	v_max_f32_e32 v10, v10, v10
	v_max_f32_e32 v4, v4, v4
	;; [unrolled: 1-line block ×3, first 2 shown]
	ds_write_b32 v9, v4 offset:64
.LBB90_22:
	s_or_b64 exec, exec, s[0:1]
	v_cmp_gt_u32_e64 s[0:1], 2, v15
	v_mov_b32_e32 v4, 0xff7fffff
	s_waitcnt lgkmcnt(0)
	v_lshlrev_b32_e32 v10, 2, v15
	s_barrier
	s_and_saveexec_b64 s[6:7], s[0:1]
	s_cbranch_execz .LBB90_24
; %bb.23:
	ds_read_b32 v4, v10 offset:64
.LBB90_24:
	s_or_b64 exec, exec, s[6:7]
	v_xor_b32_e32 v13, 1, v2
	v_cmp_lt_i32_e64 s[6:7], v13, v3
	s_sub_i32 s3, s47, s12
	s_lshl_b32 s3, s3, 4
	v_cndmask_b32_e64 v13, v2, v13, s[6:7]
	v_lshlrev_b32_e32 v16, 2, v13
	s_waitcnt lgkmcnt(0)
	ds_bpermute_b32 v13, v16, v4
	v_max_f32_e32 v4, v4, v4
	s_add_i32 s3, s3, s50
	s_min_i32 s15, s3, s29
	s_sub_i32 s3, s15, s50
	s_waitcnt lgkmcnt(0)
	v_max_f32_e32 v13, v13, v13
	v_max_f32_e32 v4, v4, v13
	v_lshlrev_b32_e32 v13, 2, v2
	v_and_b32_e32 v13, 0x100, v13
	ds_bpermute_b32 v4, v13, v4
	v_cmp_gt_i32_e64 s[6:7], s3, v0
	v_mov_b32_e32 v17, 0
	s_and_saveexec_b64 s[38:39], s[6:7]
	s_cbranch_execz .LBB90_28
; %bb.25:
	v_mov_b32_e32 v17, 0x50
	v_lshl_add_u32 v18, v0, 2, v17
	s_mov_b64 s[40:41], 0
	v_mov_b32_e32 v17, 0
	v_mov_b32_e32 v19, v0
.LBB90_26:                              ; =>This Inner Loop Header: Depth=1
	ds_read_b32 v20, v18
	v_add_u32_e32 v19, 0x80, v19
	v_cmp_le_i32_e64 s[10:11], s3, v19
	s_or_b64 s[40:41], s[10:11], s[40:41]
	s_waitcnt lgkmcnt(0)
	v_sub_f32_e32 v20, v20, v4
	v_mul_f32_e32 v20, 0x3fb8aa3b, v20
	v_exp_f32_e32 v20, v20
	ds_write_b32 v18, v20
	v_add_f32_e32 v17, v17, v20
	v_add_u32_e32 v18, 0x200, v18
	s_andn2_b64 exec, exec, s[40:41]
	s_cbranch_execnz .LBB90_26
; %bb.27:
	s_or_b64 exec, exec, s[40:41]
.LBB90_28:
	s_or_b64 exec, exec, s[38:39]
	ds_bpermute_b32 v5, v5, v17
	s_waitcnt lgkmcnt(0)
	v_add_f32_e32 v5, v17, v5
	ds_bpermute_b32 v8, v8, v5
	s_waitcnt lgkmcnt(0)
	v_add_f32_e32 v5, v5, v8
	ds_bpermute_b32 v8, v11, v5
	v_xor_b32_e32 v11, 2, v2
	v_cmp_lt_i32_e64 s[10:11], v11, v3
	s_waitcnt lgkmcnt(0)
	v_add_f32_e32 v5, v5, v8
	ds_bpermute_b32 v8, v12, v5
	v_cndmask_b32_e64 v2, v2, v11, s[10:11]
	v_lshlrev_b32_e32 v2, 2, v2
	s_waitcnt lgkmcnt(0)
	v_add_f32_e32 v3, v5, v8
	ds_bpermute_b32 v2, v2, v3
	s_waitcnt lgkmcnt(0)
	v_add_f32_e32 v2, v3, v2
	ds_bpermute_b32 v3, v16, v2
	s_waitcnt lgkmcnt(0)
	v_add_f32_e32 v2, v2, v3
	s_and_saveexec_b64 s[10:11], vcc
	s_cbranch_execz .LBB90_30
; %bb.29:
	ds_write_b32 v9, v2 offset:72
.LBB90_30:
	s_or_b64 exec, exec, s[10:11]
	s_waitcnt lgkmcnt(0)
	s_barrier
	s_and_saveexec_b64 s[10:11], s[0:1]
	s_cbranch_execz .LBB90_32
; %bb.31:
	ds_read_b32 v2, v10 offset:72
.LBB90_32:
	s_or_b64 exec, exec, s[10:11]
	s_waitcnt lgkmcnt(0)
	ds_bpermute_b32 v3, v16, v2
	s_waitcnt lgkmcnt(0)
	v_add_f32_e32 v2, v2, v3
	ds_bpermute_b32 v5, v13, v2
	s_and_saveexec_b64 s[0:1], s[6:7]
	s_cbranch_execz .LBB90_45
; %bb.33:
	s_waitcnt lgkmcnt(0)
	v_add_f32_e32 v2, 0x358637bd, v5
	v_div_scale_f32 v3, s[6:7], v2, v2, 1.0
	v_rcp_f32_e32 v8, v3
	v_div_scale_f32 v9, vcc, 1.0, v2, 1.0
	s_movk_i32 s6, 0x7f
	v_fma_f32 v10, -v3, v8, 1.0
	v_fmac_f32_e32 v8, v10, v8
	v_mul_f32_e32 v10, v9, v8
	v_fma_f32 v11, -v3, v10, v9
	v_fmac_f32_e32 v10, v11, v8
	v_fma_f32 v3, -v3, v10, v9
	v_div_fmas_f32 v3, v3, v8, v10
	v_div_fixup_f32 v2, v3, v2, 1.0
	v_xad_u32 v3, v0, -1, s15
	v_subrev_u32_e32 v8, s50, v3
	v_cmp_lt_u32_e32 vcc, s6, v8
	s_mov_b64 s[10:11], -1
	v_mov_b32_e32 v3, v0
	s_and_saveexec_b64 s[6:7], vcc
	s_cbranch_execz .LBB90_42
; %bb.34:
	v_lshrrev_b32_e32 v8, 7, v8
	v_add_u32_e32 v10, -1, v8
	v_lshrrev_b32_e32 v9, 1, v10
	v_mov_b32_e32 v3, v2
	v_add_u32_e32 v9, 1, v9
	v_cmp_lt_u32_e32 vcc, 13, v10
	v_mov_b32_e32 v12, 0
	s_and_saveexec_b64 s[10:11], vcc
	s_cbranch_execz .LBB90_38
; %bb.35:
	v_mov_b32_e32 v11, 0x50
	v_and_b32_e32 v10, -8, v9
	v_lshl_add_u32 v11, v0, 2, v11
	s_mov_b32 s15, 0
	s_mov_b64 s[38:39], 0
.LBB90_36:                              ; =>This Inner Loop Header: Depth=1
	ds_read2st64_b32 v[12:13], v11 offset1:2
	ds_read2st64_b32 v[18:19], v11 offset0:4 offset1:6
	ds_read2st64_b32 v[20:21], v11 offset0:8 offset1:10
	;; [unrolled: 1-line block ×3, first 2 shown]
	v_add_u32_e32 v10, -8, v10
	s_waitcnt lgkmcnt(3)
	v_pk_mul_f32 v[12:13], v[2:3], v[12:13]
	s_waitcnt lgkmcnt(2)
	v_pk_mul_f32 v[18:19], v[2:3], v[18:19]
	ds_write2st64_b32 v11, v12, v13 offset1:2
	ds_write2st64_b32 v11, v18, v19 offset0:4 offset1:6
	ds_read2st64_b32 v[18:19], v11 offset0:16 offset1:18
	s_waitcnt lgkmcnt(4)
	v_pk_mul_f32 v[12:13], v[2:3], v[20:21]
	ds_write2st64_b32 v11, v12, v13 offset0:8 offset1:10
	s_waitcnt lgkmcnt(4)
	v_pk_mul_f32 v[12:13], v[2:3], v[22:23]
	ds_write2st64_b32 v11, v12, v13 offset0:12 offset1:14
	ds_read2st64_b32 v[12:13], v11 offset0:20 offset1:22
	s_waitcnt lgkmcnt(3)
	v_pk_mul_f32 v[18:19], v[2:3], v[18:19]
	ds_read2st64_b32 v[20:21], v11 offset0:24 offset1:26
	ds_write2st64_b32 v11, v18, v19 offset0:16 offset1:18
	ds_read2st64_b32 v[18:19], v11 offset0:28 offset1:30
	s_waitcnt lgkmcnt(3)
	v_pk_mul_f32 v[12:13], v[2:3], v[12:13]
	ds_write2st64_b32 v11, v12, v13 offset0:20 offset1:22
	s_waitcnt lgkmcnt(3)
	v_pk_mul_f32 v[12:13], v[2:3], v[20:21]
	ds_write2st64_b32 v11, v12, v13 offset0:24 offset1:26
	s_waitcnt lgkmcnt(2)
	v_pk_mul_f32 v[12:13], v[2:3], v[18:19]
	s_add_i32 s15, s15, 16
	v_cmp_eq_u32_e32 vcc, 0, v10
	ds_write2st64_b32 v11, v12, v13 offset0:28 offset1:30
	v_add_u32_e32 v11, 0x2000, v11
	s_or_b64 s[38:39], vcc, s[38:39]
	v_mov_b32_e32 v12, s15
	s_andn2_b64 exec, exec, s[38:39]
	s_cbranch_execnz .LBB90_36
; %bb.37:
	s_or_b64 exec, exec, s[38:39]
.LBB90_38:
	s_or_b64 exec, exec, s[10:11]
	v_and_b32_e32 v9, 7, v9
	v_cmp_ne_u32_e32 vcc, 0, v9
	s_and_saveexec_b64 s[10:11], vcc
	s_cbranch_execz .LBB90_41
; %bb.39:
	v_lshlrev_b32_e32 v10, 9, v12
	v_lshlrev_b32_e32 v11, 2, v0
	s_movk_i32 s15, 0x50
	v_add3_u32 v10, v10, v11, s15
	s_mov_b64 s[38:39], 0
.LBB90_40:                              ; =>This Inner Loop Header: Depth=1
	ds_read2st64_b32 v[12:13], v10 offset1:2
	v_add_u32_e32 v9, -1, v9
	v_cmp_eq_u32_e32 vcc, 0, v9
	s_or_b64 s[38:39], vcc, s[38:39]
	s_waitcnt lgkmcnt(0)
	v_pk_mul_f32 v[12:13], v[2:3], v[12:13]
	ds_write2st64_b32 v10, v12, v13 offset1:2
	v_add_u32_e32 v10, 0x400, v10
	s_andn2_b64 exec, exec, s[38:39]
	s_cbranch_execnz .LBB90_40
.LBB90_41:
	s_or_b64 exec, exec, s[10:11]
	v_add_u32_e32 v8, 1, v8
	v_and_b32_e32 v9, 0x3fffffe, v8
	v_cmp_ne_u32_e32 vcc, v8, v9
	v_lshl_add_u32 v3, v9, 7, v0
	s_orn2_b64 s[10:11], vcc, exec
.LBB90_42:
	s_or_b64 exec, exec, s[6:7]
	s_and_b64 exec, exec, s[10:11]
	s_cbranch_execz .LBB90_45
; %bb.43:
	v_mov_b32_e32 v8, 0x50
	v_lshl_add_u32 v8, v3, 2, v8
	s_mov_b64 s[6:7], 0
.LBB90_44:                              ; =>This Inner Loop Header: Depth=1
	ds_read_b32 v9, v8
	v_add_u32_e32 v3, 0x80, v3
	v_cmp_le_i32_e32 vcc, s3, v3
	s_or_b64 s[6:7], vcc, s[6:7]
	s_waitcnt lgkmcnt(0)
	v_mul_f32_e32 v9, v2, v9
	ds_write_b32 v8, v9
	v_add_u32_e32 v8, 0x200, v8
	s_andn2_b64 exec, exec, s[6:7]
	s_cbranch_execnz .LBB90_44
.LBB90_45:
	s_or_b64 exec, exec, s[0:1]
	s_mul_i32 s0, s16, s28
	v_cmp_eq_u32_e32 vcc, 0, v0
	s_mul_i32 s6, s0, s5
	s_waitcnt lgkmcnt(0)
	s_barrier
	s_and_saveexec_b64 s[0:1], vcc
	s_cbranch_execz .LBB90_47
; %bb.46:
	s_ashr_i32 s7, s6, 31
	s_lshl_b64 s[10:11], s[6:7], 2
	s_add_u32 s5, s22, s10
	s_mul_i32 s2, s16, s2
	s_addc_u32 s7, s23, s11
	s_ashr_i32 s3, s2, 31
	s_lshl_b64 s[2:3], s[2:3], 2
	s_add_u32 s15, s5, s2
	s_addc_u32 s7, s7, s3
	s_ashr_i32 s5, s4, 31
	s_lshl_b64 s[4:5], s[4:5], 2
	s_add_u32 s22, s15, s4
	s_addc_u32 s23, s7, s5
	s_add_u32 s7, s20, s10
	s_addc_u32 s10, s21, s11
	;; [unrolled: 2-line block ×3, first 2 shown]
	s_add_u32 s2, s2, s4
	v_mov_b32_e32 v2, 0
	s_addc_u32 s3, s3, s5
	global_store_dword v2, v4, s[22:23]
	global_store_dword v2, v5, s[2:3]
.LBB90_47:
	s_or_b64 exec, exec, s[0:1]
	v_mov_b32_e32 v9, 0
	s_and_saveexec_b64 s[2:3], s[8:9]
	s_cbranch_execz .LBB90_55
; %bb.48:
	s_ashr_i32 s15, s14, 31
	s_sub_i32 s7, s49, s17
	s_lshl_b64 s[0:1], s[14:15], 1
	v_lshlrev_b32_e32 v2, 3, v0
	s_add_u32 s0, s36, s0
	v_and_b32_e32 v17, 8, v2
	s_addc_u32 s1, s37, s1
	v_lshlrev_b32_e32 v2, 4, v0
	s_abs_i32 s11, s18
	v_and_b32_e32 v8, 0x3f0, v2
	v_cvt_f32_u32_e32 v2, s11
	v_mov_b32_e32 v9, 0
	v_lshl_add_u64 v[10:11], s[0:1], 0, v[8:9]
	s_sub_i32 s0, 0, s11
	v_rcp_iflag_f32_e32 v2, v2
	s_add_i32 s48, s48, -1
	s_mov_b32 s10, s13
	s_mov_b32 s13, s29
	v_mul_f32_e32 v2, 0x4f7ffffe, v2
	v_cvt_u32_f32_e32 v2, v2
	s_mov_b32 s14, s29
	s_mov_b32 s15, s29
	s_mov_b32 s17, s29
	v_mul_lo_u32 v3, s0, v2
	v_mul_hi_u32 v3, v2, v3
	v_add_u32_e32 v8, v2, v3
	s_lshl_b64 s[0:1], s[34:35], 2
	v_and_b32_e32 v2, 1, v0
	s_add_u32 s0, s30, s0
	v_lshlrev_b32_e32 v2, 5, v2
	s_addc_u32 s1, s31, s1
	v_lshl_or_b32 v2, v14, 6, v2
	s_mov_b32 s18, s29
	s_mov_b32 s20, s29
	;; [unrolled: 1-line block ×3, first 2 shown]
	v_lshl_add_u64 v[12:13], v[6:7], 2, s[0:1]
	v_add_u32_e32 v7, 0x50, v2
	s_mov_b64 s[4:5], 0
	s_mov_b32 s22, 0x5040100
	s_branch .LBB90_51
.LBB90_49:                              ;   in Loop: Header=BB90_51 Depth=1
	s_or_b64 exec, exec, s[8:9]
	v_and_b32_e32 v14, 0xffff, v14
	v_lshl_or_b32 v14, v18, 16, v14
	v_and_b32_e32 v18, 0xffff, v19
	v_lshl_or_b32 v18, v20, 16, v18
	v_and_b32_e32 v19, 0xffff, v21
	v_and_b32_e32 v20, 0xffff, v23
	s_waitcnt vmcnt(0)
	;;#ASMSTART
	v_pk_mul_f16 v2, v14, v2;

	;;#ASMEND
	v_lshl_or_b32 v19, v22, 16, v19
	v_lshl_or_b32 v20, v24, 16, v20
	;;#ASMSTART
	v_pk_mul_f16 v3, v18, v3;

	;;#ASMEND
	;;#ASMSTART
	v_pk_mul_f16 v4, v19, v4;

	;;#ASMEND
	;; [unrolled: 4-line block ×3, first 2 shown]
	s_nop 0
	;;#ASMSTART
	v_pk_add_f16 v2, v2, v3;

	;;#ASMEND
	s_nop 0
	;;#ASMSTART
	v_pk_add_f16 v2, v2, v4;

	;;#ASMEND
	;; [unrolled: 5-line block ×3, first 2 shown]
	s_nop 0
	v_lshrrev_b32_e32 v3, 16, v2
	v_and_b32_e32 v2, 0xffff, v2
	;;#ASMSTART
	v_cvt_f32_f16 v2, v2;
	;;#ASMEND
	;;#ASMSTART
	v_cvt_f32_f16 v3, v3;
	;;#ASMEND
	s_nop 0
	v_add_f32_e32 v2, v2, v3
	v_add_f32_e32 v9, v9, v2
.LBB90_50:                              ;   in Loop: Header=BB90_51 Depth=1
	s_or_b64 exec, exec, s[0:1]
	v_add_u32_e32 v6, 2, v6
	v_cmp_le_i32_e32 vcc, s47, v6
	v_lshl_add_u64 v[12:13], v[12:13], 0, 8
	v_add_u32_e32 v1, 32, v1
	s_or_b64 s[4:5], vcc, s[4:5]
	v_add_u32_e32 v7, 0x80, v7
	s_andn2_b64 exec, exec, s[4:5]
	s_cbranch_execz .LBB90_54
.LBB90_51:                              ; =>This Inner Loop Header: Depth=1
	v_sub_u32_e32 v3, 0, v1
	v_max_i32_e32 v3, v1, v3
	v_mul_hi_u32 v4, v3, s33
	v_mul_lo_u32 v5, v4, s25
	v_sub_u32_e32 v3, v3, v5
	v_add_u32_e32 v5, 1, v4
	v_cmp_le_u32_e32 vcc, s25, v3
	v_ashrrev_i32_e32 v2, 31, v1
	v_xor_b32_e32 v2, s19, v2
	v_cndmask_b32_e32 v4, v4, v5, vcc
	v_subrev_u32_e32 v5, s25, v3
	v_cndmask_b32_e32 v3, v3, v5, vcc
	v_add_u32_e32 v5, 1, v4
	v_cmp_le_u32_e32 vcc, s25, v3
	s_nop 1
	v_cndmask_b32_e32 v3, v4, v5, vcc
	v_xor_b32_e32 v3, v3, v2
	v_sub_u32_e32 v2, v3, v2
	v_add_u32_e32 v3, s46, v2
	v_sub_u32_e32 v5, 0, v3
	v_ashrrev_i32_e32 v4, 31, v3
	v_max_i32_e32 v3, v3, v5
	v_mul_hi_u32 v5, v3, v8
	v_mul_lo_u32 v5, v5, s11
	v_sub_u32_e32 v3, v3, v5
	v_subrev_u32_e32 v5, s11, v3
	v_cmp_le_u32_e32 vcc, s11, v3
	v_cmp_lt_i32_e64 s[0:1], s7, v2
	s_nop 0
	v_cndmask_b32_e32 v3, v3, v5, vcc
	v_subrev_u32_e32 v5, s11, v3
	v_cmp_le_u32_e32 vcc, s11, v3
	s_nop 1
	v_cndmask_b32_e32 v3, v3, v5, vcc
	v_xor_b32_e32 v3, v3, v4
	v_sub_u32_e32 v3, v3, v4
	v_cmp_eq_u32_e32 vcc, 0, v3
	s_or_b64 s[8:9], vcc, s[0:1]
	s_and_saveexec_b64 s[0:1], s[8:9]
	s_cbranch_execz .LBB90_50
; %bb.52:                               ;   in Loop: Header=BB90_51 Depth=1
	global_load_dword v26, v[12:13], off
	ds_read2_b64 v[2:5], v7 offset1:1
	ds_read2_b64 v[22:25], v7 offset0:2 offset1:3
	v_cmp_eq_u32_e32 vcc, s48, v6
	s_waitcnt lgkmcnt(1)
	;;#ASMSTART
	v_cvt_f16_f32 v14, v2;

	;;#ASMEND
	;;#ASMSTART
	v_cvt_f16_f32 v18, v3;

	;;#ASMEND
	;; [unrolled: 4-line block ×4, first 2 shown]
	s_waitcnt lgkmcnt(0)
	;;#ASMSTART
	v_cvt_f16_f32 v21, v22;

	;;#ASMEND
	;;#ASMSTART
	v_cvt_f16_f32 v22, v23;

	;;#ASMEND
	;; [unrolled: 4-line block ×4, first 2 shown]
	s_waitcnt vmcnt(0)
	v_mad_i64_i32 v[2:3], s[8:9], v26, s10, 0
	v_lshl_add_u64 v[2:3], v[2:3], 1, v[10:11]
	global_load_dwordx4 v[2:5], v[2:3], off
	s_and_saveexec_b64 s[8:9], vcc
	s_cbranch_execz .LBB90_49
; %bb.53:                               ;   in Loop: Header=BB90_51 Depth=1
	v_add_u32_e32 v25, v17, v1
	v_or_b32_e32 v31, 7, v25
	v_or_b32_e32 v32, 6, v25
	s_waitcnt vmcnt(0)
	v_lshrrev_b32_e32 v33, 16, v5
	v_cmp_gt_i32_e32 vcc, s21, v31
	v_or_b32_e32 v29, 5, v25
	v_or_b32_e32 v30, 4, v25
	v_cndmask_b32_e32 v31, 0, v33, vcc
	v_cmp_gt_i32_e32 vcc, s20, v32
	v_or_b32_e32 v27, 3, v25
	v_or_b32_e32 v28, 2, v25
	v_cndmask_b32_e32 v5, 0, v5, vcc
	v_perm_b32 v5, v31, v5, s22
	v_lshrrev_b32_e32 v31, 16, v4
	v_cmp_gt_i32_e32 vcc, s18, v29
	v_add_u32_e32 v26, 1, v25
	s_nop 0
	v_cndmask_b32_e32 v29, 0, v31, vcc
	v_cmp_gt_i32_e32 vcc, s17, v30
	s_nop 1
	v_cndmask_b32_e32 v4, 0, v4, vcc
	v_perm_b32 v4, v29, v4, s22
	v_lshrrev_b32_e32 v29, 16, v3
	v_cmp_gt_i32_e32 vcc, s15, v27
	s_nop 1
	v_cndmask_b32_e32 v27, 0, v29, vcc
	v_cmp_gt_i32_e32 vcc, s14, v28
	s_nop 1
	v_cndmask_b32_e32 v3, 0, v3, vcc
	v_perm_b32 v3, v27, v3, s22
	v_lshrrev_b32_e32 v27, 16, v2
	v_cmp_gt_i32_e32 vcc, s13, v26
	s_nop 1
	v_cndmask_b32_e32 v26, 0, v27, vcc
	v_cmp_gt_i32_e32 vcc, s29, v25
	s_nop 1
	v_cndmask_b32_e32 v2, 0, v2, vcc
	v_perm_b32 v2, v26, v2, s22
	s_branch .LBB90_49
.LBB90_54:
	s_or_b64 exec, exec, s[4:5]
.LBB90_55:
	s_or_b64 exec, exec, s[2:3]
	ds_bpermute_b32 v1, v16, v9
	v_and_b32_e32 v2, 0x3c1, v0
	v_cmp_eq_u32_e32 vcc, 64, v2
	s_waitcnt lgkmcnt(0)
	s_barrier
	v_add_f32_e32 v1, v9, v1
	s_and_saveexec_b64 s[0:1], vcc
	s_cbranch_execz .LBB90_57
; %bb.56:
	v_mov_b32_e32 v3, 0x50
	v_lshl_add_u32 v3, v15, 1, v3
	ds_write_b32 v3, v1
.LBB90_57:
	s_or_b64 exec, exec, s[0:1]
	v_cmp_eq_u32_e32 vcc, 0, v2
	s_waitcnt lgkmcnt(0)
	s_barrier
	s_and_saveexec_b64 s[0:1], vcc
	s_cbranch_execz .LBB90_59
; %bb.58:
	v_mov_b32_e32 v2, 0x50
	v_lshl_add_u32 v2, v0, 1, v2
	ds_read_b32 v2, v2
	s_waitcnt lgkmcnt(0)
	v_add_f32_e32 v1, v1, v2
.LBB90_59:
	s_or_b64 exec, exec, s[0:1]
	s_barrier
	s_and_saveexec_b64 s[0:1], vcc
	s_cbranch_execz .LBB90_61
; %bb.60:
	s_lshl_b32 s0, s6, 5
	s_ashr_i32 s1, s0, 31
	s_lshl_b64 s[0:1], s[0:1], 1
	s_add_u32 s2, s26, s0
	s_mul_i32 s0, s16, s24
	s_addc_u32 s3, s27, s1
	s_ashr_i32 s1, s0, 31
	s_lshl_b64 s[0:1], s[0:1], 1
	s_add_u32 s2, s2, s0
	s_addc_u32 s3, s3, s1
	s_ashr_i32 s13, s12, 31
	s_lshl_b64 s[0:1], s[12:13], 1
	s_add_u32 s0, s2, s0
	s_addc_u32 s1, s3, s1
	;;#ASMSTART
	v_cvt_f16_f32 v1, v1;

	;;#ASMEND
	global_store_short v0, v1, s[0:1]
.LBB90_61:
	s_endpgm
	.section	.rodata,"a",@progbits
	.p2align	6, 0x0
	.amdhsa_kernel _ZN4vllm25paged_attention_v2_kernelIttLi32ELi16ELi128ELNS_18Fp8KVCacheDataTypeE0ELb1ELi512EEEvPfS2_PT_PKS3_PKT0_S9_ifPKiSB_iPKfiiiSD_SD_iiiii
		.amdhsa_group_segment_fixed_size 80
		.amdhsa_private_segment_fixed_size 0
		.amdhsa_kernarg_size 400
		.amdhsa_user_sgpr_count 2
		.amdhsa_user_sgpr_dispatch_ptr 0
		.amdhsa_user_sgpr_queue_ptr 0
		.amdhsa_user_sgpr_kernarg_segment_ptr 1
		.amdhsa_user_sgpr_dispatch_id 0
		.amdhsa_user_sgpr_kernarg_preload_length 0
		.amdhsa_user_sgpr_kernarg_preload_offset 0
		.amdhsa_user_sgpr_private_segment_size 0
		.amdhsa_uses_dynamic_stack 0
		.amdhsa_enable_private_segment 0
		.amdhsa_system_sgpr_workgroup_id_x 1
		.amdhsa_system_sgpr_workgroup_id_y 1
		.amdhsa_system_sgpr_workgroup_id_z 1
		.amdhsa_system_sgpr_workgroup_info 0
		.amdhsa_system_vgpr_workitem_id 0
		.amdhsa_next_free_vgpr 37
		.amdhsa_next_free_sgpr 52
		.amdhsa_accum_offset 40
		.amdhsa_reserve_vcc 1
		.amdhsa_float_round_mode_32 0
		.amdhsa_float_round_mode_16_64 0
		.amdhsa_float_denorm_mode_32 3
		.amdhsa_float_denorm_mode_16_64 3
		.amdhsa_dx10_clamp 1
		.amdhsa_ieee_mode 1
		.amdhsa_fp16_overflow 0
		.amdhsa_tg_split 0
		.amdhsa_exception_fp_ieee_invalid_op 0
		.amdhsa_exception_fp_denorm_src 0
		.amdhsa_exception_fp_ieee_div_zero 0
		.amdhsa_exception_fp_ieee_overflow 0
		.amdhsa_exception_fp_ieee_underflow 0
		.amdhsa_exception_fp_ieee_inexact 0
		.amdhsa_exception_int_div_zero 0
	.end_amdhsa_kernel
	.section	.text._ZN4vllm25paged_attention_v2_kernelIttLi32ELi16ELi128ELNS_18Fp8KVCacheDataTypeE0ELb1ELi512EEEvPfS2_PT_PKS3_PKT0_S9_ifPKiSB_iPKfiiiSD_SD_iiiii,"axG",@progbits,_ZN4vllm25paged_attention_v2_kernelIttLi32ELi16ELi128ELNS_18Fp8KVCacheDataTypeE0ELb1ELi512EEEvPfS2_PT_PKS3_PKT0_S9_ifPKiSB_iPKfiiiSD_SD_iiiii,comdat
.Lfunc_end90:
	.size	_ZN4vllm25paged_attention_v2_kernelIttLi32ELi16ELi128ELNS_18Fp8KVCacheDataTypeE0ELb1ELi512EEEvPfS2_PT_PKS3_PKT0_S9_ifPKiSB_iPKfiiiSD_SD_iiiii, .Lfunc_end90-_ZN4vllm25paged_attention_v2_kernelIttLi32ELi16ELi128ELNS_18Fp8KVCacheDataTypeE0ELb1ELi512EEEvPfS2_PT_PKS3_PKT0_S9_ifPKiSB_iPKfiiiSD_SD_iiiii
                                        ; -- End function
	.section	.AMDGPU.csdata,"",@progbits
; Kernel info:
; codeLenInByte = 4548
; NumSgprs: 58
; NumVgprs: 37
; NumAgprs: 0
; TotalNumVgprs: 37
; ScratchSize: 0
; MemoryBound: 0
; FloatMode: 240
; IeeeMode: 1
; LDSByteSize: 80 bytes/workgroup (compile time only)
; SGPRBlocks: 7
; VGPRBlocks: 4
; NumSGPRsForWavesPerEU: 58
; NumVGPRsForWavesPerEU: 37
; AccumOffset: 40
; Occupancy: 8
; WaveLimiterHint : 1
; COMPUTE_PGM_RSRC2:SCRATCH_EN: 0
; COMPUTE_PGM_RSRC2:USER_SGPR: 2
; COMPUTE_PGM_RSRC2:TRAP_HANDLER: 0
; COMPUTE_PGM_RSRC2:TGID_X_EN: 1
; COMPUTE_PGM_RSRC2:TGID_Y_EN: 1
; COMPUTE_PGM_RSRC2:TGID_Z_EN: 1
; COMPUTE_PGM_RSRC2:TIDIG_COMP_CNT: 0
; COMPUTE_PGM_RSRC3_GFX90A:ACCUM_OFFSET: 9
; COMPUTE_PGM_RSRC3_GFX90A:TG_SPLIT: 0
	.section	.text._ZN4vllm25paged_attention_v2_kernelIttLi64ELi16ELi128ELNS_18Fp8KVCacheDataTypeE0ELb1ELi512EEEvPfS2_PT_PKS3_PKT0_S9_ifPKiSB_iPKfiiiSD_SD_iiiii,"axG",@progbits,_ZN4vllm25paged_attention_v2_kernelIttLi64ELi16ELi128ELNS_18Fp8KVCacheDataTypeE0ELb1ELi512EEEvPfS2_PT_PKS3_PKT0_S9_ifPKiSB_iPKfiiiSD_SD_iiiii,comdat
	.protected	_ZN4vllm25paged_attention_v2_kernelIttLi64ELi16ELi128ELNS_18Fp8KVCacheDataTypeE0ELb1ELi512EEEvPfS2_PT_PKS3_PKT0_S9_ifPKiSB_iPKfiiiSD_SD_iiiii ; -- Begin function _ZN4vllm25paged_attention_v2_kernelIttLi64ELi16ELi128ELNS_18Fp8KVCacheDataTypeE0ELb1ELi512EEEvPfS2_PT_PKS3_PKT0_S9_ifPKiSB_iPKfiiiSD_SD_iiiii
	.globl	_ZN4vllm25paged_attention_v2_kernelIttLi64ELi16ELi128ELNS_18Fp8KVCacheDataTypeE0ELb1ELi512EEEvPfS2_PT_PKS3_PKT0_S9_ifPKiSB_iPKfiiiSD_SD_iiiii
	.p2align	8
	.type	_ZN4vllm25paged_attention_v2_kernelIttLi64ELi16ELi128ELNS_18Fp8KVCacheDataTypeE0ELb1ELi512EEEvPfS2_PT_PKS3_PKT0_S9_ifPKiSB_iPKfiiiSD_SD_iiiii,@function
_ZN4vllm25paged_attention_v2_kernelIttLi64ELi16ELi128ELNS_18Fp8KVCacheDataTypeE0ELb1ELi512EEEvPfS2_PT_PKS3_PKT0_S9_ifPKiSB_iPKfiiiSD_SD_iiiii: ; @_ZN4vllm25paged_attention_v2_kernelIttLi64ELi16ELi128ELNS_18Fp8KVCacheDataTypeE0ELb1ELi512EEEvPfS2_PT_PKS3_PKT0_S9_ifPKiSB_iPKfiiiSD_SD_iiiii
; %bb.0:
	s_load_dwordx2 s[6:7], s[0:1], 0x40
	s_mov_b32 s28, s3
	s_ashr_i32 s29, s3, 31
	s_lshl_b64 s[8:9], s[28:29], 2
	s_waitcnt lgkmcnt(0)
	s_add_u32 s6, s6, s8
	s_addc_u32 s7, s7, s9
	s_load_dword s29, s[6:7], 0x0
	s_lshl_b32 s49, s4, 9
	s_waitcnt lgkmcnt(0)
	s_cmp_ge_i32 s49, s29
	s_cbranch_scc1 .LBB91_67
; %bb.1:
	s_load_dword s5, s[0:1], 0x90
	s_load_dwordx2 s[38:39], s[0:1], 0x30
	s_waitcnt lgkmcnt(0)
	s_abs_i32 s7, s5
	s_abs_i32 s3, s38
	v_cvt_f32_u32_e32 v1, s3
	s_sub_i32 s8, 0, s3
	s_xor_b32 s6, s5, s38
	s_ashr_i32 s6, s6, 31
	v_rcp_iflag_f32_e32 v1, v1
	s_nop 0
	v_mul_f32_e32 v1, 0x4f7ffffe, v1
	v_cvt_u32_f32_e32 v1, v1
	s_nop 0
	v_readfirstlane_b32 s9, v1
	s_mul_i32 s8, s8, s9
	s_mul_hi_u32 s8, s9, s8
	s_add_i32 s9, s9, s8
	s_mul_hi_u32 s8, s7, s9
	s_mul_i32 s9, s8, s3
	s_sub_i32 s7, s7, s9
	s_add_i32 s10, s8, 1
	s_sub_i32 s9, s7, s3
	s_cmp_ge_u32 s7, s3
	s_cselect_b32 s8, s10, s8
	s_cselect_b32 s7, s9, s7
	s_add_i32 s9, s8, 1
	s_cmp_ge_u32 s7, s3
	s_cselect_b32 s3, s9, s8
	s_xor_b32 s3, s3, s6
	s_sub_i32 s11, s3, s6
	s_abs_i32 s8, s11
	v_cvt_f32_u32_e32 v1, s8
	s_load_dwordx2 s[6:7], s[0:1], 0x50
	s_sub_i32 s10, 0, s8
	s_abs_i32 s9, s2
	v_rcp_iflag_f32_e32 v1, v1
	s_mov_b32 s3, 0
	v_mul_f32_e32 v1, 0x4f7ffffe, v1
	v_cvt_u32_f32_e32 v1, v1
	s_nop 0
	v_readfirstlane_b32 s12, v1
	s_mul_i32 s10, s10, s12
	s_mul_hi_u32 s10, s12, s10
	s_add_i32 s12, s12, s10
	s_waitcnt lgkmcnt(0)
	s_cmp_eq_u64 s[6:7], 0
	s_mul_hi_u32 s10, s9, s12
	s_cbranch_scc1 .LBB91_3
; %bb.2:
	s_ashr_i32 s3, s2, 31
	s_lshl_b64 s[12:13], s[2:3], 2
	s_add_u32 s6, s6, s12
	s_addc_u32 s7, s7, s13
	s_load_dword s3, s[6:7], 0x0
.LBB91_3:
	s_load_dwordx4 s[12:15], s[0:1], 0x58
	s_ashr_i32 s16, s2, 31
	s_ashr_i32 s11, s11, 31
	v_and_b32_e32 v4, 3, v0
	s_lshl_b32 s24, s2, 6
	v_cmp_gt_u32_e32 vcc, 32, v0
	s_and_saveexec_b64 s[6:7], vcc
	s_cbranch_execz .LBB91_5
; %bb.4:
	s_load_dwordx2 s[18:19], s[0:1], 0x18
	s_waitcnt lgkmcnt(0)
	s_mul_i32 s20, s28, s12
	s_ashr_i32 s21, s20, 31
	s_lshl_b64 s[20:21], s[20:21], 1
	v_lshlrev_b32_e32 v1, 2, v0
	s_add_u32 s12, s18, s20
	s_addc_u32 s15, s19, s21
	s_ashr_i32 s25, s24, 31
	s_lshl_b64 s[18:19], s[24:25], 1
	s_add_u32 s18, s12, s18
	s_addc_u32 s19, s15, s19
	global_load_dword v1, v1, s[18:19]
	v_and_b32_e32 v2, 0x3fc, v0
	v_lshl_add_u32 v2, v4, 5, v2
	s_waitcnt vmcnt(0)
	ds_write_b32 v2, v1
.LBB91_5:
	s_or_b64 exec, exec, s[6:7]
	s_mul_i32 s7, s10, s8
	s_sub_i32 s7, s9, s7
	s_xor_b32 s6, s16, s11
	s_add_i32 s9, s10, 1
	s_sub_i32 s11, s7, s8
	s_load_dwordx4 s[16:19], s[0:1], 0x78
	s_cmp_ge_u32 s7, s8
	s_cselect_b32 s9, s9, s10
	s_cselect_b32 s7, s11, s7
	s_load_dword s11, s[0:1], 0x88
	s_add_i32 s10, s9, 1
	s_cmp_ge_u32 s7, s8
	s_cselect_b32 s7, s10, s9
	s_waitcnt lgkmcnt(0)
	s_abs_i32 s25, s19
	v_cvt_f32_u32_e32 v1, s25
	s_xor_b32 s7, s7, s6
	s_sub_i32 s10, s7, s6
	s_sub_i32 s6, 0, s25
	v_rcp_iflag_f32_e32 v1, v1
	s_add_i32 s12, s29, -1
	s_abs_i32 s8, s12
	v_mul_f32_e32 v1, 0x4f7ffffe, v1
	v_cvt_u32_f32_e32 v1, v1
	s_barrier
	v_readfirstlane_b32 s33, v1
	s_mul_i32 s6, s6, s33
	s_mul_hi_u32 s6, s33, s6
	s_add_i32 s33, s33, s6
	s_cmp_lt_i32 s11, 0
	s_mul_hi_u32 s9, s8, s33
	s_cbranch_scc0 .LBB91_7
; %bb.6:
	s_mul_i32 s6, s16, s38
	s_add_i32 s6, s10, s6
	s_mul_i32 s6, s6, s11
	s_sub_i32 s46, 1, s6
	s_mov_b64 s[6:7], 0
	s_branch .LBB91_8
.LBB91_7:
	s_mov_b64 s[6:7], -1
                                        ; implicit-def: $sgpr46
.LBB91_8:
	s_load_dwordx2 s[30:31], s[0:1], 0x38
	s_ashr_i32 s12, s12, 31
	s_andn2_b64 vcc, exec, s[6:7]
	s_ashr_i32 s19, s19, 31
	s_cbranch_vccnz .LBB91_10
; %bb.9:
	s_mul_i32 s6, s5, s16
	s_add_i32 s6, s6, s2
	s_mul_i32 s6, s6, s11
	s_add_i32 s46, s6, 1
.LBB91_10:
	s_load_dword s6, s[0:1], 0x48
	s_load_dwordx2 s[36:37], s[0:1], 0x28
	s_load_dword s16, s[0:1], 0x98
	s_load_dwordx4 s[20:23], s[0:1], 0x0
	s_load_dwordx2 s[26:27], s[0:1], 0x10
	s_mul_i32 s7, s9, s25
	s_waitcnt lgkmcnt(0)
	s_mul_i32 s34, s28, s6
	s_sub_i32 s7, s8, s7
	s_ashr_i32 s35, s34, 31
	s_xor_b32 s6, s12, s19
	s_add_i32 s8, s9, 1
	s_sub_i32 s11, s7, s25
	s_cmp_ge_u32 s7, s25
	s_cselect_b32 s8, s8, s9
	s_cselect_b32 s7, s11, s7
	s_add_i32 s9, s8, 1
	s_cmp_ge_u32 s7, s25
	s_cselect_b32 s7, s9, s8
	s_xor_b32 s7, s7, s6
	s_sub_i32 s48, s7, s6
	s_add_i32 s6, s29, 15
	s_ashr_i32 s7, s6, 31
	s_lshr_b32 s7, s7, 28
	s_add_i32 s6, s6, s7
	s_lshl_b32 s38, s4, 5
	s_ashr_i32 s12, s6, 4
	s_add_i32 s6, s38, 32
	v_lshrrev_b32_e32 v14, 6, v0
	s_min_i32 s47, s6, s12
	v_or_b32_e32 v6, s38, v14
	v_cmp_gt_i32_e64 s[8:9], s47, v6
	v_mov_b32_e32 v11, 0xff7fffff
	s_mul_i32 s14, s10, s14
	v_ashrrev_i32_e32 v7, 31, v6
	v_lshl_add_u32 v1, v14, 4, s49
	v_mbcnt_lo_u32_b32 v8, -1, 0
	s_and_saveexec_b64 s[40:41], s[8:9]
	s_cbranch_execz .LBB91_20
; %bb.11:
	s_load_dwordx2 s[0:1], s[0:1], 0x20
	s_ashr_i32 s15, s14, 31
	s_sub_i32 s50, s48, s17
	s_lshl_b64 s[6:7], s[14:15], 1
	v_bfe_u32 v9, v0, 2, 4
	s_waitcnt lgkmcnt(0)
	s_add_u32 s0, s0, s6
	s_addc_u32 s1, s1, s7
	s_abs_i32 s15, s18
	v_cvt_f32_u32_e32 v5, s15
	v_lshlrev_b32_e32 v2, 4, v9
	v_mov_b32_e32 v3, 0
	v_lshl_add_u64 v[10:11], s[0:1], 0, v[2:3]
	v_rcp_iflag_f32_e32 v5, v5
	v_lshlrev_b32_e32 v2, 2, v0
	v_and_b32_e32 v2, 12, v2
	v_lshl_add_u64 v[2:3], v[10:11], 0, v[2:3]
	v_mul_f32_e32 v5, 0x4f7ffffe, v5
	v_cvt_u32_f32_e32 v5, v5
	s_sub_i32 s0, 0, s15
	v_lshlrev_b32_e32 v11, 2, v9
	v_cmp_eq_u32_e32 vcc, 0, v4
	v_lshlrev_b32_e32 v10, 5, v4
	v_mul_lo_u32 v4, s0, v5
	s_lshl_b64 s[0:1], s[34:35], 2
	v_lshl_or_b32 v11, v14, 6, v11
	s_add_u32 s0, s30, s0
	v_add_u32_e32 v15, 0x90, v11
	v_subrev_u32_e32 v11, s29, v9
	v_mbcnt_hi_u32_b32 v18, -1, v8
	v_mul_hi_u32 v4, v5, v4
	s_addc_u32 s1, s31, s1
	v_add_u32_e32 v16, 1, v11
	v_and_b32_e32 v11, 64, v18
	s_mov_b32 s51, s13
	v_cmp_neq_f32_e64 s[6:7], s3, 0
	v_add_u32_e32 v12, v5, v4
	v_lshl_add_u64 v[4:5], v[6:7], 2, s[0:1]
	v_lshl_add_u32 v13, v14, 4, s49
	s_mov_b64 s[42:43], 0
	v_mov_b32_e32 v17, 0xff7fffff
	v_add_u32_e32 v19, 64, v11
	v_xor_b32_e32 v20, 2, v18
	v_xor_b32_e32 v21, 1, v18
	v_mov_b32_e32 v11, 0xff7fffff
	v_mov_b32_e32 v22, v6
	s_branch .LBB91_14
.LBB91_12:                              ;   in Loop: Header=BB91_14 Depth=1
	s_or_b64 exec, exec, s[44:45]
.LBB91_13:                              ;   in Loop: Header=BB91_14 Depth=1
	s_or_b64 exec, exec, s[10:11]
	v_add_u32_e32 v22, 2, v22
	v_cmp_le_i32_e64 s[0:1], s47, v22
	v_lshl_add_u64 v[4:5], v[4:5], 0, 8
	v_add_u32_e32 v13, 32, v13
	s_or_b64 s[42:43], s[0:1], s[42:43]
	v_add_u32_e32 v15, 0x80, v15
	s_andn2_b64 exec, exec, s[42:43]
	s_cbranch_execz .LBB91_19
.LBB91_14:                              ; =>This Inner Loop Header: Depth=1
	s_waitcnt lgkmcnt(0)
	v_sub_u32_e32 v24, 0, v13
	v_max_i32_e32 v24, v13, v24
	v_mul_hi_u32 v25, v24, s33
	v_mul_lo_u32 v26, v25, s25
	v_sub_u32_e32 v24, v24, v26
	v_add_u32_e32 v26, 1, v25
	v_cmp_le_u32_e64 s[0:1], s25, v24
	v_ashrrev_i32_e32 v23, 31, v13
	v_xor_b32_e32 v23, s19, v23
	v_cndmask_b32_e64 v25, v25, v26, s[0:1]
	v_subrev_u32_e32 v26, s25, v24
	v_cndmask_b32_e64 v24, v24, v26, s[0:1]
	v_add_u32_e32 v26, 1, v25
	v_cmp_le_u32_e64 s[0:1], s25, v24
	s_nop 1
	v_cndmask_b32_e64 v24, v25, v26, s[0:1]
	v_xor_b32_e32 v24, v24, v23
	v_sub_u32_e32 v23, v24, v23
	v_add_u32_e32 v24, s46, v23
	v_sub_u32_e32 v26, 0, v24
	v_ashrrev_i32_e32 v25, 31, v24
	v_max_i32_e32 v24, v24, v26
	v_mul_hi_u32 v26, v24, v12
	v_mul_lo_u32 v26, v26, s15
	v_sub_u32_e32 v24, v24, v26
	v_subrev_u32_e32 v26, s15, v24
	v_cmp_le_u32_e64 s[0:1], s15, v24
	v_cmp_ge_i32_e64 s[10:11], s50, v23
	s_nop 0
	v_cndmask_b32_e64 v24, v24, v26, s[0:1]
	v_subrev_u32_e32 v26, s15, v24
	v_cmp_le_u32_e64 s[0:1], s15, v24
	s_nop 1
	v_cndmask_b32_e64 v24, v24, v26, s[0:1]
	v_xor_b32_e32 v24, v24, v25
	v_sub_u32_e32 v24, v24, v25
	v_cmp_ne_u32_e64 s[0:1], 0, v24
	s_and_b64 s[0:1], s[0:1], s[10:11]
	s_and_b64 s[44:45], vcc, s[0:1]
	s_and_saveexec_b64 s[10:11], s[44:45]
	s_cbranch_execz .LBB91_16
; %bb.15:                               ;   in Loop: Header=BB91_14 Depth=1
	ds_write_b32 v15, v17
.LBB91_16:                              ;   in Loop: Header=BB91_14 Depth=1
	s_or_b64 exec, exec, s[10:11]
	s_xor_b64 s[0:1], s[0:1], -1
	s_and_saveexec_b64 s[10:11], s[0:1]
	s_cbranch_execz .LBB91_13
; %bb.17:                               ;   in Loop: Header=BB91_14 Depth=1
	global_load_dword v23, v[4:5], off
	s_waitcnt vmcnt(0)
	v_mad_i64_i32 v[24:25], s[0:1], v23, s51, 0
	v_lshl_add_u64 v[24:25], v[24:25], 1, v[2:3]
	global_load_dword v23, v[24:25], off
	global_load_dword v26, v[24:25], off offset:256
	global_load_dword v27, v[24:25], off offset:512
	;; [unrolled: 1-line block ×7, first 2 shown]
	ds_read_b32 v24, v10
	v_cmp_lt_i32_e64 s[0:1], v20, v19
	s_waitcnt lgkmcnt(0)
	v_lshrrev_b32_e32 v33, 16, v24
	v_and_b32_e32 v24, 0xffff, v24
	;;#ASMSTART
	v_cvt_f32_f16 v24, v24;
	;;#ASMEND
	;;#ASMSTART
	v_cvt_f32_f16 v33, v33;
	;;#ASMEND
	v_cndmask_b32_e64 v25, v18, v20, s[0:1]
	v_lshlrev_b32_e32 v25, 2, v25
	v_cmp_lt_i32_e64 s[0:1], v21, v19
	s_waitcnt vmcnt(7)
	v_lshrrev_b32_e32 v34, 16, v23
	v_and_b32_e32 v23, 0xffff, v23
	;;#ASMSTART
	v_cvt_f32_f16 v23, v23;
	;;#ASMEND
	;;#ASMSTART
	v_cvt_f32_f16 v34, v34;
	;;#ASMEND
	ds_read_b32 v35, v10 offset:4
	s_waitcnt vmcnt(6)
	v_lshrrev_b32_e32 v36, 16, v26
	v_and_b32_e32 v26, 0xffff, v26
	s_waitcnt vmcnt(5)
	v_lshrrev_b32_e32 v37, 16, v27
	v_and_b32_e32 v27, 0xffff, v27
	s_waitcnt lgkmcnt(0)
	v_lshrrev_b32_e32 v38, 16, v35
	v_and_b32_e32 v35, 0xffff, v35
	;;#ASMSTART
	v_cvt_f32_f16 v35, v35;
	;;#ASMEND
	;;#ASMSTART
	v_cvt_f32_f16 v38, v38;
	;;#ASMEND
	;; [unrolled: 3-line block ×4, first 2 shown]
	ds_read_b32 v39, v10 offset:8
	s_waitcnt vmcnt(4)
	v_lshrrev_b32_e32 v40, 16, v28
	v_and_b32_e32 v28, 0xffff, v28
	s_waitcnt vmcnt(3)
	v_lshrrev_b32_e32 v41, 16, v29
	v_and_b32_e32 v29, 0xffff, v29
	s_waitcnt lgkmcnt(0)
	v_lshrrev_b32_e32 v42, 16, v39
	v_and_b32_e32 v39, 0xffff, v39
	;;#ASMSTART
	v_cvt_f32_f16 v39, v39;
	;;#ASMEND
	;;#ASMSTART
	v_cvt_f32_f16 v42, v42;
	;;#ASMEND
	;;#ASMSTART
	v_cvt_f32_f16 v27, v27;
	;;#ASMEND
	;;#ASMSTART
	v_cvt_f32_f16 v37, v37;
	;;#ASMEND
	ds_read_b32 v43, v10 offset:12
	v_mul_f32_e32 v26, v35, v26
	v_mul_f32_e32 v35, v38, v36
	s_waitcnt vmcnt(2)
	v_lshrrev_b32_e32 v44, 16, v30
	v_and_b32_e32 v30, 0xffff, v30
	s_waitcnt lgkmcnt(0)
	v_lshrrev_b32_e32 v46, 16, v43
	v_and_b32_e32 v43, 0xffff, v43
	;;#ASMSTART
	v_cvt_f32_f16 v43, v43;
	;;#ASMEND
	;;#ASMSTART
	v_cvt_f32_f16 v46, v46;
	;;#ASMEND
	;; [unrolled: 3-line block ×4, first 2 shown]
	ds_read_b32 v47, v10 offset:16
	v_fmac_f32_e32 v26, v24, v23
	v_fmac_f32_e32 v35, v33, v34
	;; [unrolled: 1-line block ×4, first 2 shown]
	s_waitcnt lgkmcnt(0)
	v_lshrrev_b32_e32 v36, 16, v47
	v_and_b32_e32 v38, 0xffff, v47
	;;#ASMSTART
	v_cvt_f32_f16 v38, v38;
	;;#ASMEND
	;;#ASMSTART
	v_cvt_f32_f16 v36, v36;
	;;#ASMEND
	;;#ASMSTART
	v_cvt_f32_f16 v29, v29;
	;;#ASMEND
	;;#ASMSTART
	v_cvt_f32_f16 v41, v41;
	;;#ASMEND
	ds_read_b32 v47, v10 offset:20
	s_waitcnt vmcnt(1)
	v_lshrrev_b32_e32 v45, 16, v31
	v_and_b32_e32 v31, 0xffff, v31
	v_fmac_f32_e32 v26, v38, v29
	v_fmac_f32_e32 v35, v42, v37
	s_waitcnt lgkmcnt(0)
	v_lshrrev_b32_e32 v23, 16, v47
	v_and_b32_e32 v24, 0xffff, v47
	;;#ASMSTART
	v_cvt_f32_f16 v24, v24;
	;;#ASMEND
	;;#ASMSTART
	v_cvt_f32_f16 v23, v23;
	;;#ASMEND
	;; [unrolled: 3-line block ×4, first 2 shown]
	ds_read_b32 v33, v10 offset:24
	v_fmac_f32_e32 v35, v46, v40
	v_fmac_f32_e32 v35, v36, v41
	;; [unrolled: 1-line block ×4, first 2 shown]
	s_waitcnt lgkmcnt(0)
	v_lshrrev_b32_e32 v28, 16, v33
	v_and_b32_e32 v29, 0xffff, v33
	;;#ASMSTART
	v_cvt_f32_f16 v29, v29;
	;;#ASMEND
	;;#ASMSTART
	v_cvt_f32_f16 v28, v28;
	;;#ASMEND
	;;#ASMSTART
	v_cvt_f32_f16 v31, v31;
	;;#ASMEND
	;;#ASMSTART
	v_cvt_f32_f16 v33, v45;
	;;#ASMEND
	ds_read_b32 v34, v10 offset:28
	v_fmac_f32_e32 v26, v29, v31
	v_fmac_f32_e32 v35, v28, v33
	s_waitcnt vmcnt(0)
	v_lshrrev_b32_e32 v48, 16, v32
	v_and_b32_e32 v32, 0xffff, v32
	s_waitcnt lgkmcnt(0)
	v_lshrrev_b32_e32 v23, 16, v34
	v_and_b32_e32 v24, 0xffff, v34
	;;#ASMSTART
	v_cvt_f32_f16 v24, v24;
	;;#ASMEND
	;;#ASMSTART
	v_cvt_f32_f16 v23, v23;
	;;#ASMEND
	;; [unrolled: 3-line block ×4, first 2 shown]
	s_nop 0
	v_fmac_f32_e32 v26, v24, v27
	v_fmac_f32_e32 v35, v23, v28
	v_add_f32_e32 v23, v26, v35
	ds_bpermute_b32 v24, v25, v23
	v_cndmask_b32_e64 v25, v18, v21, s[0:1]
	s_waitcnt lgkmcnt(0)
	v_add_f32_e32 v23, v23, v24
	v_lshlrev_b32_e32 v24, 2, v25
	ds_bpermute_b32 v24, v24, v23
	s_and_saveexec_b64 s[44:45], vcc
	s_cbranch_execz .LBB91_12
; %bb.18:                               ;   in Loop: Header=BB91_14 Depth=1
	v_add_u32_e32 v25, v16, v13
	v_cvt_f32_i32_e32 v25, v25
	s_waitcnt lgkmcnt(0)
	v_add_f32_e32 v23, v23, v24
	v_add_u32_e32 v26, v9, v13
	v_cmp_gt_i32_e64 s[0:1], s29, v26
	v_mul_f32_e32 v24, s3, v25
	v_cndmask_b32_e64 v24, 0, v24, s[6:7]
	v_fmac_f32_e32 v24, s39, v23
	v_cndmask_b32_e64 v23, 0, v24, s[0:1]
	ds_write_b32 v15, v23
	v_max_f32_e32 v23, v11, v11
	v_max_f32_e32 v23, v23, v24
	v_cndmask_b32_e64 v11, v11, v23, s[0:1]
	s_branch .LBB91_12
.LBB91_19:
	s_or_b64 exec, exec, s[42:43]
.LBB91_20:
	s_or_b64 exec, exec, s[40:41]
	v_mbcnt_hi_u32_b32 v2, -1, v8
	v_and_b32_e32 v3, 64, v2
	v_add_u32_e32 v3, 64, v3
	v_xor_b32_e32 v4, 32, v2
	v_cmp_lt_i32_e32 vcc, v4, v3
	v_xor_b32_e32 v9, 16, v2
	v_max_f32_e32 v8, v11, v11
	v_cndmask_b32_e32 v4, v2, v4, vcc
	v_lshlrev_b32_e32 v5, 2, v4
	ds_bpermute_b32 v4, v5, v11
	v_cmp_lt_i32_e32 vcc, v9, v3
	v_xor_b32_e32 v10, 8, v2
	v_and_b32_e32 v16, 63, v0
	s_waitcnt lgkmcnt(0)
	v_max_f32_e32 v4, v4, v4
	v_max_f32_e32 v4, v8, v4
	v_cndmask_b32_e32 v8, v2, v9, vcc
	v_lshlrev_b32_e32 v8, 2, v8
	ds_bpermute_b32 v9, v8, v4
	v_cmp_lt_i32_e32 vcc, v10, v3
	s_waitcnt lgkmcnt(0)
	v_max_f32_e32 v9, v9, v9
	v_max_f32_e32 v4, v4, v9
	v_cndmask_b32_e32 v9, v2, v10, vcc
	v_lshlrev_b32_e32 v11, 2, v9
	ds_bpermute_b32 v9, v11, v4
	v_xor_b32_e32 v10, 4, v2
	v_cmp_lt_i32_e32 vcc, v10, v3
	s_waitcnt lgkmcnt(0)
	v_max_f32_e32 v9, v9, v9
	v_max_f32_e32 v4, v4, v9
	v_cndmask_b32_e32 v9, v2, v10, vcc
	v_lshlrev_b32_e32 v12, 2, v9
	ds_bpermute_b32 v10, v12, v4
	v_cmp_eq_u32_e32 vcc, 0, v16
	v_lshlrev_b32_e32 v9, 2, v14
	s_and_saveexec_b64 s[0:1], vcc
	s_cbranch_execz .LBB91_22
; %bb.21:
	s_waitcnt lgkmcnt(0)
	v_max_f32_e32 v10, v10, v10
	v_max_f32_e32 v4, v4, v4
	;; [unrolled: 1-line block ×3, first 2 shown]
	ds_write_b32 v9, v4 offset:128
.LBB91_22:
	s_or_b64 exec, exec, s[0:1]
	v_cmp_gt_u32_e64 s[0:1], 2, v16
	v_mov_b32_e32 v4, 0xff7fffff
	s_waitcnt lgkmcnt(0)
	v_lshlrev_b32_e32 v10, 2, v16
	s_barrier
	s_and_saveexec_b64 s[6:7], s[0:1]
	s_cbranch_execz .LBB91_24
; %bb.23:
	ds_read_b32 v4, v10 offset:128
.LBB91_24:
	s_or_b64 exec, exec, s[6:7]
	v_xor_b32_e32 v13, 1, v2
	v_cmp_lt_i32_e64 s[6:7], v13, v3
	s_sub_i32 s3, s47, s38
	s_lshl_b32 s3, s3, 4
	v_cndmask_b32_e64 v13, v2, v13, s[6:7]
	v_lshlrev_b32_e32 v17, 2, v13
	s_waitcnt lgkmcnt(0)
	ds_bpermute_b32 v13, v17, v4
	v_max_f32_e32 v4, v4, v4
	s_add_i32 s3, s3, s49
	s_min_i32 s15, s3, s29
	s_sub_i32 s3, s15, s49
	s_waitcnt lgkmcnt(0)
	v_max_f32_e32 v13, v13, v13
	v_max_f32_e32 v4, v4, v13
	v_lshlrev_b32_e32 v13, 2, v2
	v_and_b32_e32 v13, 0x100, v13
	ds_bpermute_b32 v4, v13, v4
	v_cmp_gt_i32_e64 s[6:7], s3, v0
	v_mov_b32_e32 v15, 0
	s_and_saveexec_b64 s[38:39], s[6:7]
	s_cbranch_execz .LBB91_28
; %bb.25:
	v_mov_b32_e32 v15, 0x90
	v_lshl_add_u32 v18, v0, 2, v15
	s_mov_b64 s[40:41], 0
	v_mov_b32_e32 v15, 0
	v_mov_b32_e32 v19, v0
.LBB91_26:                              ; =>This Inner Loop Header: Depth=1
	ds_read_b32 v20, v18
	v_add_u32_e32 v19, 0x80, v19
	v_cmp_le_i32_e64 s[10:11], s3, v19
	s_or_b64 s[40:41], s[10:11], s[40:41]
	s_waitcnt lgkmcnt(0)
	v_sub_f32_e32 v20, v20, v4
	v_mul_f32_e32 v20, 0x3fb8aa3b, v20
	v_exp_f32_e32 v20, v20
	ds_write_b32 v18, v20
	v_add_f32_e32 v15, v15, v20
	v_add_u32_e32 v18, 0x200, v18
	s_andn2_b64 exec, exec, s[40:41]
	s_cbranch_execnz .LBB91_26
; %bb.27:
	s_or_b64 exec, exec, s[40:41]
.LBB91_28:
	s_or_b64 exec, exec, s[38:39]
	ds_bpermute_b32 v5, v5, v15
	s_waitcnt lgkmcnt(0)
	v_add_f32_e32 v5, v15, v5
	ds_bpermute_b32 v8, v8, v5
	s_waitcnt lgkmcnt(0)
	v_add_f32_e32 v5, v5, v8
	ds_bpermute_b32 v8, v11, v5
	v_xor_b32_e32 v11, 2, v2
	v_cmp_lt_i32_e64 s[10:11], v11, v3
	s_waitcnt lgkmcnt(0)
	v_add_f32_e32 v5, v5, v8
	ds_bpermute_b32 v8, v12, v5
	v_cndmask_b32_e64 v2, v2, v11, s[10:11]
	v_lshlrev_b32_e32 v2, 2, v2
	s_waitcnt lgkmcnt(0)
	v_add_f32_e32 v3, v5, v8
	ds_bpermute_b32 v2, v2, v3
	s_waitcnt lgkmcnt(0)
	v_add_f32_e32 v2, v3, v2
	ds_bpermute_b32 v3, v17, v2
	s_waitcnt lgkmcnt(0)
	v_add_f32_e32 v2, v2, v3
	s_and_saveexec_b64 s[10:11], vcc
	s_cbranch_execz .LBB91_30
; %bb.29:
	ds_write_b32 v9, v2 offset:136
.LBB91_30:
	s_or_b64 exec, exec, s[10:11]
	s_waitcnt lgkmcnt(0)
	s_barrier
	s_and_saveexec_b64 s[10:11], s[0:1]
	s_cbranch_execz .LBB91_32
; %bb.31:
	ds_read_b32 v2, v10 offset:136
.LBB91_32:
	s_or_b64 exec, exec, s[10:11]
	s_waitcnt lgkmcnt(0)
	ds_bpermute_b32 v3, v17, v2
	s_waitcnt lgkmcnt(0)
	v_add_f32_e32 v2, v2, v3
	ds_bpermute_b32 v5, v13, v2
	s_and_saveexec_b64 s[0:1], s[6:7]
	s_cbranch_execz .LBB91_45
; %bb.33:
	s_waitcnt lgkmcnt(0)
	v_add_f32_e32 v2, 0x358637bd, v5
	v_div_scale_f32 v3, s[6:7], v2, v2, 1.0
	v_rcp_f32_e32 v8, v3
	v_div_scale_f32 v9, vcc, 1.0, v2, 1.0
	s_movk_i32 s6, 0x7f
	v_fma_f32 v10, -v3, v8, 1.0
	v_fmac_f32_e32 v8, v10, v8
	v_mul_f32_e32 v10, v9, v8
	v_fma_f32 v11, -v3, v10, v9
	v_fmac_f32_e32 v10, v11, v8
	v_fma_f32 v3, -v3, v10, v9
	v_div_fmas_f32 v3, v3, v8, v10
	v_div_fixup_f32 v2, v3, v2, 1.0
	v_xad_u32 v3, v0, -1, s15
	v_subrev_u32_e32 v8, s49, v3
	v_cmp_lt_u32_e32 vcc, s6, v8
	s_mov_b64 s[10:11], -1
	v_mov_b32_e32 v3, v0
	s_and_saveexec_b64 s[6:7], vcc
	s_cbranch_execz .LBB91_42
; %bb.34:
	v_lshrrev_b32_e32 v8, 7, v8
	v_add_u32_e32 v10, -1, v8
	v_lshrrev_b32_e32 v9, 1, v10
	v_mov_b32_e32 v3, v2
	v_add_u32_e32 v9, 1, v9
	v_cmp_lt_u32_e32 vcc, 13, v10
	v_mov_b32_e32 v12, 0
	s_and_saveexec_b64 s[10:11], vcc
	s_cbranch_execz .LBB91_38
; %bb.35:
	v_mov_b32_e32 v11, 0x90
	v_and_b32_e32 v10, -8, v9
	v_lshl_add_u32 v11, v0, 2, v11
	s_mov_b32 s15, 0
	s_mov_b64 s[38:39], 0
.LBB91_36:                              ; =>This Inner Loop Header: Depth=1
	ds_read2st64_b32 v[12:13], v11 offset1:2
	ds_read2st64_b32 v[18:19], v11 offset0:4 offset1:6
	ds_read2st64_b32 v[20:21], v11 offset0:8 offset1:10
	ds_read2st64_b32 v[22:23], v11 offset0:12 offset1:14
	v_add_u32_e32 v10, -8, v10
	s_waitcnt lgkmcnt(3)
	v_pk_mul_f32 v[12:13], v[2:3], v[12:13]
	s_waitcnt lgkmcnt(2)
	v_pk_mul_f32 v[18:19], v[2:3], v[18:19]
	ds_write2st64_b32 v11, v12, v13 offset1:2
	ds_write2st64_b32 v11, v18, v19 offset0:4 offset1:6
	ds_read2st64_b32 v[18:19], v11 offset0:16 offset1:18
	s_waitcnt lgkmcnt(4)
	v_pk_mul_f32 v[12:13], v[2:3], v[20:21]
	ds_write2st64_b32 v11, v12, v13 offset0:8 offset1:10
	s_waitcnt lgkmcnt(4)
	v_pk_mul_f32 v[12:13], v[2:3], v[22:23]
	ds_write2st64_b32 v11, v12, v13 offset0:12 offset1:14
	ds_read2st64_b32 v[12:13], v11 offset0:20 offset1:22
	s_waitcnt lgkmcnt(3)
	v_pk_mul_f32 v[18:19], v[2:3], v[18:19]
	ds_read2st64_b32 v[20:21], v11 offset0:24 offset1:26
	ds_write2st64_b32 v11, v18, v19 offset0:16 offset1:18
	ds_read2st64_b32 v[18:19], v11 offset0:28 offset1:30
	s_waitcnt lgkmcnt(3)
	v_pk_mul_f32 v[12:13], v[2:3], v[12:13]
	ds_write2st64_b32 v11, v12, v13 offset0:20 offset1:22
	s_waitcnt lgkmcnt(3)
	v_pk_mul_f32 v[12:13], v[2:3], v[20:21]
	ds_write2st64_b32 v11, v12, v13 offset0:24 offset1:26
	s_waitcnt lgkmcnt(2)
	v_pk_mul_f32 v[12:13], v[2:3], v[18:19]
	s_add_i32 s15, s15, 16
	v_cmp_eq_u32_e32 vcc, 0, v10
	ds_write2st64_b32 v11, v12, v13 offset0:28 offset1:30
	v_add_u32_e32 v11, 0x2000, v11
	s_or_b64 s[38:39], vcc, s[38:39]
	v_mov_b32_e32 v12, s15
	s_andn2_b64 exec, exec, s[38:39]
	s_cbranch_execnz .LBB91_36
; %bb.37:
	s_or_b64 exec, exec, s[38:39]
.LBB91_38:
	s_or_b64 exec, exec, s[10:11]
	v_and_b32_e32 v9, 7, v9
	v_cmp_ne_u32_e32 vcc, 0, v9
	s_and_saveexec_b64 s[10:11], vcc
	s_cbranch_execz .LBB91_41
; %bb.39:
	v_lshlrev_b32_e32 v10, 9, v12
	v_lshlrev_b32_e32 v11, 2, v0
	s_movk_i32 s15, 0x90
	v_add3_u32 v10, v10, v11, s15
	s_mov_b64 s[38:39], 0
.LBB91_40:                              ; =>This Inner Loop Header: Depth=1
	ds_read2st64_b32 v[12:13], v10 offset1:2
	v_add_u32_e32 v9, -1, v9
	v_cmp_eq_u32_e32 vcc, 0, v9
	s_or_b64 s[38:39], vcc, s[38:39]
	s_waitcnt lgkmcnt(0)
	v_pk_mul_f32 v[12:13], v[2:3], v[12:13]
	ds_write2st64_b32 v10, v12, v13 offset1:2
	v_add_u32_e32 v10, 0x400, v10
	s_andn2_b64 exec, exec, s[38:39]
	s_cbranch_execnz .LBB91_40
.LBB91_41:
	s_or_b64 exec, exec, s[10:11]
	v_add_u32_e32 v8, 1, v8
	v_and_b32_e32 v9, 0x3fffffe, v8
	v_cmp_ne_u32_e32 vcc, v8, v9
	v_lshl_add_u32 v3, v9, 7, v0
	s_orn2_b64 s[10:11], vcc, exec
.LBB91_42:
	s_or_b64 exec, exec, s[6:7]
	s_and_b64 exec, exec, s[10:11]
	s_cbranch_execz .LBB91_45
; %bb.43:
	v_mov_b32_e32 v8, 0x90
	v_lshl_add_u32 v8, v3, 2, v8
	s_mov_b64 s[6:7], 0
.LBB91_44:                              ; =>This Inner Loop Header: Depth=1
	ds_read_b32 v9, v8
	v_add_u32_e32 v3, 0x80, v3
	v_cmp_le_i32_e32 vcc, s3, v3
	s_or_b64 s[6:7], vcc, s[6:7]
	s_waitcnt lgkmcnt(0)
	v_mul_f32_e32 v9, v2, v9
	ds_write_b32 v8, v9
	v_add_u32_e32 v8, 0x200, v8
	s_andn2_b64 exec, exec, s[6:7]
	s_cbranch_execnz .LBB91_44
.LBB91_45:
	s_or_b64 exec, exec, s[0:1]
	s_mul_i32 s0, s16, s28
	v_cmp_eq_u32_e32 vcc, 0, v0
	s_mul_i32 s6, s0, s5
	s_waitcnt lgkmcnt(0)
	s_barrier
	s_and_saveexec_b64 s[0:1], vcc
	s_cbranch_execz .LBB91_47
; %bb.46:
	s_ashr_i32 s7, s6, 31
	s_lshl_b64 s[10:11], s[6:7], 2
	s_add_u32 s5, s22, s10
	s_mul_i32 s2, s16, s2
	s_addc_u32 s7, s23, s11
	s_ashr_i32 s3, s2, 31
	s_lshl_b64 s[2:3], s[2:3], 2
	s_add_u32 s15, s5, s2
	s_addc_u32 s7, s7, s3
	s_ashr_i32 s5, s4, 31
	s_lshl_b64 s[22:23], s[4:5], 2
	s_add_u32 s38, s15, s22
	s_addc_u32 s39, s7, s23
	s_add_u32 s5, s20, s10
	s_addc_u32 s7, s21, s11
	s_add_u32 s2, s5, s2
	s_addc_u32 s3, s7, s3
	s_add_u32 s2, s2, s22
	v_mov_b32_e32 v2, 0
	s_addc_u32 s3, s3, s23
	global_store_dword v2, v4, s[38:39]
	global_store_dword v2, v5, s[2:3]
.LBB91_47:
	s_or_b64 exec, exec, s[0:1]
	v_mov_b32_e32 v9, 0
	v_and_b32_e32 v18, 1, v0
	v_mov_b32_e32 v8, 0
	s_and_saveexec_b64 s[2:3], s[8:9]
	s_cbranch_execz .LBB91_57
; %bb.48:
	s_ashr_i32 s15, s14, 31
	s_sub_i32 s5, s48, s17
	s_lshl_b64 s[0:1], s[14:15], 1
	s_add_u32 s0, s36, s0
	v_lshlrev_b32_e32 v2, 3, v0
	s_addc_u32 s1, s37, s1
	s_abs_i32 s14, s18
	v_and_b32_e32 v19, 8, v2
	v_cvt_f32_u32_e32 v2, s14
	s_sub_i32 s8, 0, s14
	v_mov_b32_e32 v9, 0
	s_add_i32 s15, s12, -1
	v_rcp_iflag_f32_e32 v2, v2
	s_mov_b32 s7, s13
	s_mov_b32 s17, s29
	;; [unrolled: 1-line block ×3, first 2 shown]
	v_mul_f32_e32 v2, 0x4f7ffffe, v2
	v_cvt_u32_f32_e32 v2, v2
	s_mov_b32 s20, s29
	s_mov_b32 s21, s29
	;; [unrolled: 1-line block ×3, first 2 shown]
	v_mul_lo_u32 v3, s8, v2
	v_mul_hi_u32 v3, v2, v3
	v_add_u32_e32 v20, v2, v3
	v_lshlrev_b32_e32 v2, 4, v0
	v_and_b32_e32 v8, 0x3f0, v2
	v_lshl_add_u64 v[10:11], s[0:1], 0, v[8:9]
	s_lshl_b64 s[0:1], s[34:35], 2
	s_add_u32 s0, s30, s0
	v_lshlrev_b32_e32 v2, 5, v18
	s_addc_u32 s1, s31, s1
	v_lshl_or_b32 v2, v14, 6, v2
	s_mov_b32 s23, s29
	s_mov_b32 s28, s29
	v_lshl_add_u64 v[12:13], v[6:7], 2, s[0:1]
	v_add_u32_e32 v7, 0x90, v2
	s_mov_b64 s[8:9], 0
	s_mov_b32 s30, 0x5040100
	v_mov_b32_e32 v8, v9
	s_branch .LBB91_51
.LBB91_49:                              ;   in Loop: Header=BB91_51 Depth=1
	s_or_b64 exec, exec, s[0:1]
	s_waitcnt vmcnt(0)
	;;#ASMSTART
	v_pk_mul_f16 v2, v32, v2;

	;;#ASMEND
	;;#ASMSTART
	v_pk_mul_f16 v3, v31, v3;

	;;#ASMEND
	;; [unrolled: 4-line block ×4, first 2 shown]
	v_add_f32_e32 v14, v33, v34
	;;#ASMSTART
	v_pk_add_f16 v2, v2, v3;

	;;#ASMEND
	v_add_f32_e32 v8, v8, v14
	;;#ASMSTART
	v_pk_add_f16 v2, v2, v4;

	;;#ASMEND
	s_nop 0
	;;#ASMSTART
	v_pk_add_f16 v2, v2, v5;

	;;#ASMEND
	s_nop 0
	v_lshrrev_b32_e32 v3, 16, v2
	v_and_b32_e32 v2, 0xffff, v2
	;;#ASMSTART
	v_cvt_f32_f16 v2, v2;
	;;#ASMEND
	;;#ASMSTART
	v_cvt_f32_f16 v3, v3;
	;;#ASMEND
	s_nop 0
	v_add_f32_e32 v2, v2, v3
	v_add_f32_e32 v9, v9, v2
.LBB91_50:                              ;   in Loop: Header=BB91_51 Depth=1
	s_or_b64 exec, exec, s[10:11]
	v_add_u32_e32 v6, 2, v6
	v_cmp_le_i32_e32 vcc, s47, v6
	v_lshl_add_u64 v[12:13], v[12:13], 0, 8
	v_add_u32_e32 v1, 32, v1
	s_or_b64 s[8:9], vcc, s[8:9]
	v_add_u32_e32 v7, 0x80, v7
	s_andn2_b64 exec, exec, s[8:9]
	s_cbranch_execz .LBB91_56
.LBB91_51:                              ; =>This Inner Loop Header: Depth=1
	v_sub_u32_e32 v3, 0, v1
	v_max_i32_e32 v3, v1, v3
	v_mul_hi_u32 v4, v3, s33
	v_mul_lo_u32 v5, v4, s25
	v_sub_u32_e32 v3, v3, v5
	v_add_u32_e32 v5, 1, v4
	v_cmp_le_u32_e32 vcc, s25, v3
	v_ashrrev_i32_e32 v2, 31, v1
	v_xor_b32_e32 v2, s19, v2
	v_cndmask_b32_e32 v4, v4, v5, vcc
	v_subrev_u32_e32 v5, s25, v3
	v_cndmask_b32_e32 v3, v3, v5, vcc
	v_add_u32_e32 v5, 1, v4
	v_cmp_le_u32_e32 vcc, s25, v3
	s_nop 1
	v_cndmask_b32_e32 v3, v4, v5, vcc
	v_xor_b32_e32 v3, v3, v2
	v_sub_u32_e32 v2, v3, v2
	v_add_u32_e32 v3, s46, v2
	v_sub_u32_e32 v5, 0, v3
	v_ashrrev_i32_e32 v4, 31, v3
	v_max_i32_e32 v3, v3, v5
	v_mul_hi_u32 v5, v3, v20
	v_mul_lo_u32 v5, v5, s14
	v_sub_u32_e32 v3, v3, v5
	v_subrev_u32_e32 v5, s14, v3
	v_cmp_le_u32_e32 vcc, s14, v3
	v_cmp_lt_i32_e64 s[0:1], s5, v2
	s_nop 0
	v_cndmask_b32_e32 v3, v3, v5, vcc
	v_subrev_u32_e32 v5, s14, v3
	v_cmp_le_u32_e32 vcc, s14, v3
	s_nop 1
	v_cndmask_b32_e32 v3, v3, v5, vcc
	v_xor_b32_e32 v3, v3, v4
	v_sub_u32_e32 v3, v3, v4
	v_cmp_eq_u32_e32 vcc, 0, v3
	s_or_b64 s[0:1], vcc, s[0:1]
	s_and_saveexec_b64 s[10:11], s[0:1]
	s_cbranch_execz .LBB91_50
; %bb.52:                               ;   in Loop: Header=BB91_51 Depth=1
	global_load_dword v14, v[12:13], off
	ds_read2_b64 v[2:5], v7 offset1:1
	ds_read2_b64 v[22:25], v7 offset0:2 offset1:3
	v_add_u32_e32 v21, v19, v1
	v_cmp_eq_u32_e32 vcc, s15, v6
	s_waitcnt lgkmcnt(1)
	;;#ASMSTART
	v_cvt_f16_f32 v29, v2;

	;;#ASMEND
	;;#ASMSTART
	v_cvt_f16_f32 v30, v3;

	;;#ASMEND
	;; [unrolled: 4-line block ×4, first 2 shown]
	s_waitcnt lgkmcnt(0)
	;;#ASMSTART
	v_cvt_f16_f32 v34, v22;

	;;#ASMEND
	;;#ASMSTART
	v_cvt_f16_f32 v35, v23;

	;;#ASMEND
	;; [unrolled: 4-line block ×4, first 2 shown]
	v_add_u32_e32 v22, 1, v21
	v_or_b32_e32 v24, 3, v21
	v_or_b32_e32 v23, 2, v21
	;; [unrolled: 1-line block ×6, first 2 shown]
	s_waitcnt vmcnt(0)
	v_mad_i64_i32 v[2:3], s[0:1], v14, s7, 0
	v_lshl_add_u64 v[14:15], v[2:3], 1, v[10:11]
	global_load_dwordx4 v[2:5], v[14:15], off
	s_and_saveexec_b64 s[12:13], vcc
	s_cbranch_execz .LBB91_54
; %bb.53:                               ;   in Loop: Header=BB91_51 Depth=1
	s_waitcnt vmcnt(0)
	v_lshrrev_b32_e32 v32, 16, v5
	v_cmp_gt_i32_e64 s[0:1], s28, v28
	s_nop 1
	v_cndmask_b32_e64 v32, 0, v32, s[0:1]
	v_cmp_gt_i32_e64 s[0:1], s23, v27
	s_nop 1
	v_cndmask_b32_e64 v5, 0, v5, s[0:1]
	v_perm_b32 v5, v32, v5, s30
	v_lshrrev_b32_e32 v32, 16, v4
	v_cmp_gt_i32_e64 s[0:1], s22, v26
	s_nop 1
	v_cndmask_b32_e64 v32, 0, v32, s[0:1]
	v_cmp_gt_i32_e64 s[0:1], s21, v25
	s_nop 1
	v_cndmask_b32_e64 v4, 0, v4, s[0:1]
	v_perm_b32 v4, v32, v4, s30
	;; [unrolled: 8-line block ×4, first 2 shown]
.LBB91_54:                              ;   in Loop: Header=BB91_51 Depth=1
	s_or_b64 exec, exec, s[12:13]
	v_and_b32_e32 v29, 0xffff, v29
	v_lshl_or_b32 v32, v30, 16, v29
	v_and_b32_e32 v29, 0xffff, v31
	v_lshl_or_b32 v31, v33, 16, v29
	;; [unrolled: 2-line block ×3, first 2 shown]
	v_and_b32_e32 v29, 0xffff, v36
	s_waitcnt vmcnt(0)
	;;#ASMSTART
	v_pk_mul_f16 v2, v32, v2;

	;;#ASMEND
	v_lshl_or_b32 v29, v37, 16, v29
	;;#ASMSTART
	v_pk_mul_f16 v3, v31, v3;

	;;#ASMEND
	;;#ASMSTART
	v_pk_mul_f16 v4, v30, v4;

	;;#ASMEND
	;; [unrolled: 4-line block ×3, first 2 shown]
	s_nop 0
	;;#ASMSTART
	v_pk_add_f16 v2, v2, v3;

	;;#ASMEND
	s_nop 0
	;;#ASMSTART
	v_pk_add_f16 v2, v2, v4;

	;;#ASMEND
	;; [unrolled: 5-line block ×3, first 2 shown]
	s_nop 0
	v_lshrrev_b32_e32 v3, 16, v2
	v_and_b32_e32 v2, 0xffff, v2
	;;#ASMSTART
	v_cvt_f32_f16 v33, v2;
	;;#ASMEND
	;;#ASMSTART
	v_cvt_f32_f16 v34, v3;
	;;#ASMEND
	global_load_dwordx4 v[2:5], v[14:15], off offset:1024
	s_and_saveexec_b64 s[0:1], vcc
	s_cbranch_execz .LBB91_49
; %bb.55:                               ;   in Loop: Header=BB91_51 Depth=1
	s_waitcnt vmcnt(0)
	v_lshrrev_b32_e32 v14, 16, v5
	v_cmp_gt_i32_e32 vcc, s28, v28
	s_nop 1
	v_cndmask_b32_e32 v14, 0, v14, vcc
	v_cmp_gt_i32_e32 vcc, s23, v27
	s_nop 1
	v_cndmask_b32_e32 v5, 0, v5, vcc
	v_perm_b32 v5, v14, v5, s30
	v_lshrrev_b32_e32 v14, 16, v4
	v_cmp_gt_i32_e32 vcc, s22, v26
	s_nop 1
	v_cndmask_b32_e32 v14, 0, v14, vcc
	v_cmp_gt_i32_e32 vcc, s21, v25
	s_nop 1
	v_cndmask_b32_e32 v4, 0, v4, vcc
	v_perm_b32 v4, v14, v4, s30
	;; [unrolled: 8-line block ×4, first 2 shown]
	s_branch .LBB91_49
.LBB91_56:
	s_or_b64 exec, exec, s[8:9]
.LBB91_57:
	s_or_b64 exec, exec, s[2:3]
	ds_bpermute_b32 v2, v17, v8
	ds_bpermute_b32 v3, v17, v9
	v_and_b32_e32 v1, 0x3c1, v0
	v_cmp_eq_u32_e32 vcc, 64, v1
	s_waitcnt lgkmcnt(0)
	s_barrier
	v_pk_add_f32 v[2:3], v[8:9], v[2:3]
	s_and_saveexec_b64 s[0:1], vcc
	s_cbranch_execz .LBB91_59
; %bb.58:
	v_mov_b32_e32 v4, 0x90
	v_lshl_add_u32 v4, v16, 1, v4
	ds_write2_b32 v4, v2, v3 offset1:32
.LBB91_59:
	s_or_b64 exec, exec, s[0:1]
	v_cmp_gt_u32_e32 vcc, 64, v0
	s_waitcnt lgkmcnt(0)
	s_barrier
	s_and_saveexec_b64 s[0:1], vcc
	s_cbranch_execz .LBB91_65
; %bb.60:
	v_cmp_eq_u32_e32 vcc, 0, v18
	v_lshrrev_b32_e32 v4, 1, v0
	s_and_saveexec_b64 s[2:3], vcc
	s_cbranch_execz .LBB91_62
; %bb.61:
	v_mov_b32_e32 v5, 0x90
	v_lshl_add_u32 v5, v4, 2, v5
	ds_read_b32 v5, v5
	s_waitcnt lgkmcnt(0)
	v_add_f32_e32 v2, v2, v5
.LBB91_62:
	s_or_b64 exec, exec, s[2:3]
	s_and_saveexec_b64 s[2:3], vcc
	s_cbranch_execz .LBB91_64
; %bb.63:
	v_mov_b32_e32 v5, 0x90
	v_lshl_add_u32 v4, v4, 2, v5
	ds_read_b32 v4, v4 offset:128
	s_waitcnt lgkmcnt(0)
	v_add_f32_e32 v3, v3, v4
.LBB91_64:
	s_or_b64 exec, exec, s[2:3]
.LBB91_65:
	s_or_b64 exec, exec, s[0:1]
	v_cmp_eq_u32_e32 vcc, 0, v1
	s_barrier
	s_and_saveexec_b64 s[0:1], vcc
	s_cbranch_execz .LBB91_67
; %bb.66:
	s_lshl_b32 s0, s6, 6
	s_ashr_i32 s1, s0, 31
	s_lshl_b64 s[0:1], s[0:1], 1
	s_add_u32 s2, s26, s0
	s_mul_i32 s0, s16, s24
	s_addc_u32 s3, s27, s1
	s_ashr_i32 s1, s0, 31
	s_lshl_b64 s[0:1], s[0:1], 1
	s_add_u32 s2, s2, s0
	s_addc_u32 s3, s3, s1
	s_lshl_b32 s0, s4, 6
	s_ashr_i32 s1, s0, 31
	s_lshl_b64 s[0:1], s[0:1], 1
	s_add_u32 s0, s2, s0
	s_addc_u32 s1, s3, s1
	;;#ASMSTART
	v_cvt_f16_f32 v1, v2;

	;;#ASMEND
	global_store_short v0, v1, s[0:1]
	;;#ASMSTART
	v_cvt_f16_f32 v1, v3;

	;;#ASMEND
	global_store_short v0, v1, s[0:1] offset:64
.LBB91_67:
	s_endpgm
	.section	.rodata,"a",@progbits
	.p2align	6, 0x0
	.amdhsa_kernel _ZN4vllm25paged_attention_v2_kernelIttLi64ELi16ELi128ELNS_18Fp8KVCacheDataTypeE0ELb1ELi512EEEvPfS2_PT_PKS3_PKT0_S9_ifPKiSB_iPKfiiiSD_SD_iiiii
		.amdhsa_group_segment_fixed_size 144
		.amdhsa_private_segment_fixed_size 0
		.amdhsa_kernarg_size 400
		.amdhsa_user_sgpr_count 2
		.amdhsa_user_sgpr_dispatch_ptr 0
		.amdhsa_user_sgpr_queue_ptr 0
		.amdhsa_user_sgpr_kernarg_segment_ptr 1
		.amdhsa_user_sgpr_dispatch_id 0
		.amdhsa_user_sgpr_kernarg_preload_length 0
		.amdhsa_user_sgpr_kernarg_preload_offset 0
		.amdhsa_user_sgpr_private_segment_size 0
		.amdhsa_uses_dynamic_stack 0
		.amdhsa_enable_private_segment 0
		.amdhsa_system_sgpr_workgroup_id_x 1
		.amdhsa_system_sgpr_workgroup_id_y 1
		.amdhsa_system_sgpr_workgroup_id_z 1
		.amdhsa_system_sgpr_workgroup_info 0
		.amdhsa_system_vgpr_workitem_id 0
		.amdhsa_next_free_vgpr 49
		.amdhsa_next_free_sgpr 52
		.amdhsa_accum_offset 52
		.amdhsa_reserve_vcc 1
		.amdhsa_float_round_mode_32 0
		.amdhsa_float_round_mode_16_64 0
		.amdhsa_float_denorm_mode_32 3
		.amdhsa_float_denorm_mode_16_64 3
		.amdhsa_dx10_clamp 1
		.amdhsa_ieee_mode 1
		.amdhsa_fp16_overflow 0
		.amdhsa_tg_split 0
		.amdhsa_exception_fp_ieee_invalid_op 0
		.amdhsa_exception_fp_denorm_src 0
		.amdhsa_exception_fp_ieee_div_zero 0
		.amdhsa_exception_fp_ieee_overflow 0
		.amdhsa_exception_fp_ieee_underflow 0
		.amdhsa_exception_fp_ieee_inexact 0
		.amdhsa_exception_int_div_zero 0
	.end_amdhsa_kernel
	.section	.text._ZN4vllm25paged_attention_v2_kernelIttLi64ELi16ELi128ELNS_18Fp8KVCacheDataTypeE0ELb1ELi512EEEvPfS2_PT_PKS3_PKT0_S9_ifPKiSB_iPKfiiiSD_SD_iiiii,"axG",@progbits,_ZN4vllm25paged_attention_v2_kernelIttLi64ELi16ELi128ELNS_18Fp8KVCacheDataTypeE0ELb1ELi512EEEvPfS2_PT_PKS3_PKT0_S9_ifPKiSB_iPKfiiiSD_SD_iiiii,comdat
.Lfunc_end91:
	.size	_ZN4vllm25paged_attention_v2_kernelIttLi64ELi16ELi128ELNS_18Fp8KVCacheDataTypeE0ELb1ELi512EEEvPfS2_PT_PKS3_PKT0_S9_ifPKiSB_iPKfiiiSD_SD_iiiii, .Lfunc_end91-_ZN4vllm25paged_attention_v2_kernelIttLi64ELi16ELi128ELNS_18Fp8KVCacheDataTypeE0ELb1ELi512EEEvPfS2_PT_PKS3_PKT0_S9_ifPKiSB_iPKfiiiSD_SD_iiiii
                                        ; -- End function
	.section	.AMDGPU.csdata,"",@progbits
; Kernel info:
; codeLenInByte = 5352
; NumSgprs: 58
; NumVgprs: 49
; NumAgprs: 0
; TotalNumVgprs: 49
; ScratchSize: 0
; MemoryBound: 0
; FloatMode: 240
; IeeeMode: 1
; LDSByteSize: 144 bytes/workgroup (compile time only)
; SGPRBlocks: 7
; VGPRBlocks: 6
; NumSGPRsForWavesPerEU: 58
; NumVGPRsForWavesPerEU: 49
; AccumOffset: 52
; Occupancy: 8
; WaveLimiterHint : 1
; COMPUTE_PGM_RSRC2:SCRATCH_EN: 0
; COMPUTE_PGM_RSRC2:USER_SGPR: 2
; COMPUTE_PGM_RSRC2:TRAP_HANDLER: 0
; COMPUTE_PGM_RSRC2:TGID_X_EN: 1
; COMPUTE_PGM_RSRC2:TGID_Y_EN: 1
; COMPUTE_PGM_RSRC2:TGID_Z_EN: 1
; COMPUTE_PGM_RSRC2:TIDIG_COMP_CNT: 0
; COMPUTE_PGM_RSRC3_GFX90A:ACCUM_OFFSET: 12
; COMPUTE_PGM_RSRC3_GFX90A:TG_SPLIT: 0
	.section	.text._ZN4vllm25paged_attention_v2_kernelIttLi80ELi16ELi128ELNS_18Fp8KVCacheDataTypeE0ELb1ELi512EEEvPfS2_PT_PKS3_PKT0_S9_ifPKiSB_iPKfiiiSD_SD_iiiii,"axG",@progbits,_ZN4vllm25paged_attention_v2_kernelIttLi80ELi16ELi128ELNS_18Fp8KVCacheDataTypeE0ELb1ELi512EEEvPfS2_PT_PKS3_PKT0_S9_ifPKiSB_iPKfiiiSD_SD_iiiii,comdat
	.protected	_ZN4vllm25paged_attention_v2_kernelIttLi80ELi16ELi128ELNS_18Fp8KVCacheDataTypeE0ELb1ELi512EEEvPfS2_PT_PKS3_PKT0_S9_ifPKiSB_iPKfiiiSD_SD_iiiii ; -- Begin function _ZN4vllm25paged_attention_v2_kernelIttLi80ELi16ELi128ELNS_18Fp8KVCacheDataTypeE0ELb1ELi512EEEvPfS2_PT_PKS3_PKT0_S9_ifPKiSB_iPKfiiiSD_SD_iiiii
	.globl	_ZN4vllm25paged_attention_v2_kernelIttLi80ELi16ELi128ELNS_18Fp8KVCacheDataTypeE0ELb1ELi512EEEvPfS2_PT_PKS3_PKT0_S9_ifPKiSB_iPKfiiiSD_SD_iiiii
	.p2align	8
	.type	_ZN4vllm25paged_attention_v2_kernelIttLi80ELi16ELi128ELNS_18Fp8KVCacheDataTypeE0ELb1ELi512EEEvPfS2_PT_PKS3_PKT0_S9_ifPKiSB_iPKfiiiSD_SD_iiiii,@function
_ZN4vllm25paged_attention_v2_kernelIttLi80ELi16ELi128ELNS_18Fp8KVCacheDataTypeE0ELb1ELi512EEEvPfS2_PT_PKS3_PKT0_S9_ifPKiSB_iPKfiiiSD_SD_iiiii: ; @_ZN4vllm25paged_attention_v2_kernelIttLi80ELi16ELi128ELNS_18Fp8KVCacheDataTypeE0ELb1ELi512EEEvPfS2_PT_PKS3_PKT0_S9_ifPKiSB_iPKfiiiSD_SD_iiiii
; %bb.0:
	s_load_dwordx2 s[6:7], s[0:1], 0x40
	s_mov_b32 s28, s3
	s_ashr_i32 s29, s3, 31
	s_lshl_b64 s[8:9], s[28:29], 2
	s_waitcnt lgkmcnt(0)
	s_add_u32 s6, s6, s8
	s_addc_u32 s7, s7, s9
	s_load_dword s29, s[6:7], 0x0
	s_lshl_b32 s49, s4, 9
	s_waitcnt lgkmcnt(0)
	s_cmp_ge_i32 s49, s29
	s_cbranch_scc1 .LBB92_79
; %bb.1:
	s_load_dword s5, s[0:1], 0x90
	s_load_dwordx2 s[38:39], s[0:1], 0x30
	s_mov_b32 s50, 0
	s_waitcnt lgkmcnt(0)
	s_abs_i32 s7, s5
	s_abs_i32 s3, s38
	v_cvt_f32_u32_e32 v1, s3
	s_sub_i32 s8, 0, s3
	s_xor_b32 s6, s5, s38
	s_ashr_i32 s6, s6, 31
	v_rcp_iflag_f32_e32 v1, v1
	s_nop 0
	v_mul_f32_e32 v1, 0x4f7ffffe, v1
	v_cvt_u32_f32_e32 v1, v1
	s_nop 0
	v_readfirstlane_b32 s9, v1
	s_mul_i32 s8, s8, s9
	s_mul_hi_u32 s8, s9, s8
	s_add_i32 s9, s9, s8
	s_mul_hi_u32 s8, s7, s9
	s_mul_i32 s9, s8, s3
	s_sub_i32 s7, s7, s9
	s_add_i32 s10, s8, 1
	s_sub_i32 s9, s7, s3
	s_cmp_ge_u32 s7, s3
	s_cselect_b32 s8, s10, s8
	s_cselect_b32 s7, s9, s7
	s_add_i32 s9, s8, 1
	s_cmp_ge_u32 s7, s3
	s_cselect_b32 s3, s9, s8
	s_xor_b32 s3, s3, s6
	s_sub_i32 s11, s3, s6
	s_abs_i32 s8, s11
	v_cvt_f32_u32_e32 v1, s8
	s_load_dwordx2 s[6:7], s[0:1], 0x50
	s_sub_i32 s3, 0, s8
	s_abs_i32 s9, s2
	v_rcp_iflag_f32_e32 v1, v1
	s_nop 0
	v_mul_f32_e32 v1, 0x4f7ffffe, v1
	v_cvt_u32_f32_e32 v1, v1
	s_nop 0
	v_readfirstlane_b32 s10, v1
	s_mul_i32 s3, s3, s10
	s_mul_hi_u32 s3, s10, s3
	s_add_i32 s10, s10, s3
	s_waitcnt lgkmcnt(0)
	s_cmp_eq_u64 s[6:7], 0
	s_mul_hi_u32 s10, s9, s10
	s_cbranch_scc1 .LBB92_3
; %bb.2:
	s_ashr_i32 s3, s2, 31
	s_lshl_b64 s[12:13], s[2:3], 2
	s_add_u32 s6, s6, s12
	s_addc_u32 s7, s7, s13
	s_load_dword s50, s[6:7], 0x0
.LBB92_3:
	s_load_dwordx4 s[12:15], s[0:1], 0x58
	s_ashr_i32 s3, s2, 31
	s_ashr_i32 s11, s11, 31
	v_and_b32_e32 v4, 3, v0
	s_mul_i32 s24, s2, 0x50
	v_cmp_gt_u32_e32 vcc, 40, v0
	s_and_saveexec_b64 s[6:7], vcc
	s_cbranch_execz .LBB92_5
; %bb.4:
	s_load_dwordx2 s[16:17], s[0:1], 0x18
	s_waitcnt lgkmcnt(0)
	s_mul_i32 s18, s28, s12
	s_ashr_i32 s19, s18, 31
	s_lshl_b64 s[18:19], s[18:19], 1
	v_lshlrev_b32_e32 v1, 2, v0
	s_add_u32 s12, s16, s18
	s_addc_u32 s15, s17, s19
	s_ashr_i32 s25, s24, 31
	s_lshl_b64 s[16:17], s[24:25], 1
	s_add_u32 s16, s12, s16
	s_addc_u32 s17, s15, s17
	global_load_dword v1, v1, s[16:17]
	v_and_b32_e32 v2, 0x3fc, v0
	v_mad_u32_u24 v2, v4, 40, v2
	s_waitcnt vmcnt(0)
	ds_write_b32 v2, v1
.LBB92_5:
	s_or_b64 exec, exec, s[6:7]
	s_mul_i32 s6, s10, s8
	s_sub_i32 s6, s9, s6
	s_xor_b32 s3, s3, s11
	s_add_i32 s7, s10, 1
	s_sub_i32 s9, s6, s8
	s_load_dwordx4 s[16:19], s[0:1], 0x78
	s_cmp_ge_u32 s6, s8
	s_cselect_b32 s7, s7, s10
	s_cselect_b32 s6, s9, s6
	s_add_i32 s9, s7, 1
	s_cmp_ge_u32 s6, s8
	s_cselect_b32 s6, s9, s7
	s_load_dword s9, s[0:1], 0x88
	s_waitcnt lgkmcnt(0)
	s_abs_i32 s25, s19
	v_cvt_f32_u32_e32 v1, s25
	s_xor_b32 s6, s6, s3
	s_sub_i32 s10, s6, s3
	s_sub_i32 s6, 0, s25
	v_rcp_iflag_f32_e32 v1, v1
	s_add_i32 s11, s29, -1
	s_abs_i32 s3, s11
	v_mul_f32_e32 v1, 0x4f7ffffe, v1
	v_cvt_u32_f32_e32 v1, v1
	s_barrier
	v_readfirstlane_b32 s33, v1
	s_mul_i32 s6, s6, s33
	s_mul_hi_u32 s6, s33, s6
	s_add_i32 s33, s33, s6
	s_cmp_lt_i32 s9, 0
	s_mul_hi_u32 s8, s3, s33
	s_cbranch_scc0 .LBB92_7
; %bb.6:
	s_mul_i32 s6, s16, s38
	s_add_i32 s6, s10, s6
	s_mul_i32 s6, s6, s9
	s_sub_i32 s46, 1, s6
	s_mov_b64 s[6:7], 0
	s_branch .LBB92_8
.LBB92_7:
	s_mov_b64 s[6:7], -1
                                        ; implicit-def: $sgpr46
.LBB92_8:
	s_load_dwordx2 s[30:31], s[0:1], 0x38
	s_ashr_i32 s11, s11, 31
	s_andn2_b64 vcc, exec, s[6:7]
	s_ashr_i32 s47, s19, 31
	s_cbranch_vccnz .LBB92_10
; %bb.9:
	s_mul_i32 s6, s5, s16
	s_add_i32 s6, s6, s2
	s_mul_i32 s6, s6, s9
	s_add_i32 s46, s6, 1
.LBB92_10:
	s_load_dword s6, s[0:1], 0x48
	s_load_dwordx2 s[36:37], s[0:1], 0x28
	s_load_dword s19, s[0:1], 0x98
	s_load_dwordx4 s[20:23], s[0:1], 0x0
	s_load_dwordx2 s[26:27], s[0:1], 0x10
	s_mul_i32 s7, s8, s25
	s_waitcnt lgkmcnt(0)
	s_mul_i32 s34, s28, s6
	s_sub_i32 s3, s3, s7
	s_ashr_i32 s35, s34, 31
	s_xor_b32 s6, s11, s47
	s_add_i32 s7, s8, 1
	s_sub_i32 s9, s3, s25
	s_cmp_ge_u32 s3, s25
	s_cselect_b32 s7, s7, s8
	s_cselect_b32 s3, s9, s3
	s_add_i32 s8, s7, 1
	s_cmp_ge_u32 s3, s25
	s_cselect_b32 s3, s8, s7
	s_xor_b32 s3, s3, s6
	s_sub_i32 s12, s3, s6
	s_add_i32 s3, s29, 15
	s_ashr_i32 s6, s3, 31
	s_lshr_b32 s6, s6, 28
	s_add_i32 s3, s3, s6
	s_lshl_b32 s16, s4, 5
	s_ashr_i32 s3, s3, 4
	s_add_i32 s6, s16, 32
	v_lshrrev_b32_e32 v9, 6, v0
	s_min_i32 s48, s6, s3
	v_or_b32_e32 v10, s16, v9
	v_cmp_gt_i32_e64 s[8:9], s48, v10
	v_mov_b32_e32 v12, 0xff7fffff
	s_mul_i32 s14, s10, s14
	v_ashrrev_i32_e32 v11, 31, v10
	v_lshl_add_u32 v1, v9, 4, s49
	v_mbcnt_lo_u32_b32 v6, -1, 0
	s_and_saveexec_b64 s[40:41], s[8:9]
	s_cbranch_execz .LBB92_20
; %bb.11:
	s_load_dwordx2 s[0:1], s[0:1], 0x20
	s_ashr_i32 s15, s14, 31
	s_sub_i32 s38, s12, s17
	s_lshl_b64 s[6:7], s[14:15], 1
	v_bfe_u32 v7, v0, 2, 4
	s_waitcnt lgkmcnt(0)
	s_add_u32 s0, s0, s6
	s_addc_u32 s1, s1, s7
	s_abs_i32 s15, s18
	v_cvt_f32_u32_e32 v5, s15
	v_lshlrev_b32_e32 v2, 4, v7
	v_mov_b32_e32 v3, 0
	v_lshl_add_u64 v[12:13], s[0:1], 0, v[2:3]
	v_rcp_iflag_f32_e32 v5, v5
	v_lshlrev_b32_e32 v2, 2, v0
	v_and_b32_e32 v2, 12, v2
	v_lshl_add_u64 v[2:3], v[12:13], 0, v[2:3]
	v_mul_f32_e32 v5, 0x4f7ffffe, v5
	v_cvt_u32_f32_e32 v5, v5
	s_sub_i32 s0, 0, s15
	v_lshlrev_b32_e32 v12, 2, v7
	v_cmp_eq_u32_e32 vcc, 0, v4
	v_mul_u32_u24_e32 v8, 40, v4
	v_mul_lo_u32 v4, s0, v5
	s_lshl_b64 s[0:1], s[34:35], 2
	v_lshl_or_b32 v12, v9, 6, v12
	s_add_u32 s0, s30, s0
	v_add_u32_e32 v15, 0xb0, v12
	v_subrev_u32_e32 v12, s29, v7
	v_mbcnt_hi_u32_b32 v18, -1, v6
	v_mul_hi_u32 v4, v5, v4
	s_addc_u32 s1, s31, s1
	v_add_u32_e32 v16, 1, v12
	v_and_b32_e32 v12, 64, v18
	s_mov_b32 s51, s13
	v_cmp_neq_f32_e64 s[6:7], s50, 0
	v_add_u32_e32 v13, v5, v4
	v_lshl_add_u64 v[4:5], v[10:11], 2, s[0:1]
	v_lshl_add_u32 v14, v9, 4, s49
	s_mov_b64 s[42:43], 0
	v_mov_b32_e32 v17, 0xff7fffff
	v_add_u32_e32 v19, 64, v12
	v_xor_b32_e32 v20, 2, v18
	v_xor_b32_e32 v21, 1, v18
	v_mov_b32_e32 v12, 0xff7fffff
	v_mov_b32_e32 v22, v10
	s_branch .LBB92_14
.LBB92_12:                              ;   in Loop: Header=BB92_14 Depth=1
	s_or_b64 exec, exec, s[44:45]
.LBB92_13:                              ;   in Loop: Header=BB92_14 Depth=1
	s_or_b64 exec, exec, s[10:11]
	v_add_u32_e32 v22, 2, v22
	v_cmp_le_i32_e64 s[0:1], s48, v22
	v_lshl_add_u64 v[4:5], v[4:5], 0, 8
	v_add_u32_e32 v14, 32, v14
	s_or_b64 s[42:43], s[0:1], s[42:43]
	v_add_u32_e32 v15, 0x80, v15
	s_andn2_b64 exec, exec, s[42:43]
	s_cbranch_execz .LBB92_19
.LBB92_14:                              ; =>This Inner Loop Header: Depth=1
	s_waitcnt lgkmcnt(0)
	v_sub_u32_e32 v24, 0, v14
	v_max_i32_e32 v24, v14, v24
	v_mul_hi_u32 v25, v24, s33
	v_mul_lo_u32 v26, v25, s25
	v_sub_u32_e32 v24, v24, v26
	v_add_u32_e32 v26, 1, v25
	v_cmp_le_u32_e64 s[0:1], s25, v24
	v_ashrrev_i32_e32 v23, 31, v14
	v_xor_b32_e32 v23, s47, v23
	v_cndmask_b32_e64 v25, v25, v26, s[0:1]
	v_subrev_u32_e32 v26, s25, v24
	v_cndmask_b32_e64 v24, v24, v26, s[0:1]
	v_add_u32_e32 v26, 1, v25
	v_cmp_le_u32_e64 s[0:1], s25, v24
	s_nop 1
	v_cndmask_b32_e64 v24, v25, v26, s[0:1]
	v_xor_b32_e32 v24, v24, v23
	v_sub_u32_e32 v23, v24, v23
	v_add_u32_e32 v24, s46, v23
	v_sub_u32_e32 v26, 0, v24
	v_ashrrev_i32_e32 v25, 31, v24
	v_max_i32_e32 v24, v24, v26
	v_mul_hi_u32 v26, v24, v13
	v_mul_lo_u32 v26, v26, s15
	v_sub_u32_e32 v24, v24, v26
	v_subrev_u32_e32 v26, s15, v24
	v_cmp_le_u32_e64 s[0:1], s15, v24
	v_cmp_ge_i32_e64 s[10:11], s38, v23
	s_nop 0
	v_cndmask_b32_e64 v24, v24, v26, s[0:1]
	v_subrev_u32_e32 v26, s15, v24
	v_cmp_le_u32_e64 s[0:1], s15, v24
	s_nop 1
	v_cndmask_b32_e64 v24, v24, v26, s[0:1]
	v_xor_b32_e32 v24, v24, v25
	v_sub_u32_e32 v24, v24, v25
	v_cmp_ne_u32_e64 s[0:1], 0, v24
	s_and_b64 s[0:1], s[0:1], s[10:11]
	s_and_b64 s[44:45], vcc, s[0:1]
	s_and_saveexec_b64 s[10:11], s[44:45]
	s_cbranch_execz .LBB92_16
; %bb.15:                               ;   in Loop: Header=BB92_14 Depth=1
	ds_write_b32 v15, v17
.LBB92_16:                              ;   in Loop: Header=BB92_14 Depth=1
	s_or_b64 exec, exec, s[10:11]
	s_xor_b64 s[0:1], s[0:1], -1
	s_and_saveexec_b64 s[10:11], s[0:1]
	s_cbranch_execz .LBB92_13
; %bb.17:                               ;   in Loop: Header=BB92_14 Depth=1
	global_load_dword v23, v[4:5], off
	s_waitcnt vmcnt(0)
	v_mad_i64_i32 v[24:25], s[0:1], v23, s51, 0
	v_lshl_add_u64 v[24:25], v[24:25], 1, v[2:3]
	global_load_dword v23, v[24:25], off
	global_load_dword v26, v[24:25], off offset:256
	global_load_dword v27, v[24:25], off offset:512
	;; [unrolled: 1-line block ×9, first 2 shown]
	ds_read_b32 v24, v8
	v_cmp_lt_i32_e64 s[0:1], v20, v19
	s_waitcnt lgkmcnt(0)
	v_lshrrev_b32_e32 v35, 16, v24
	v_and_b32_e32 v24, 0xffff, v24
	;;#ASMSTART
	v_cvt_f32_f16 v24, v24;
	;;#ASMEND
	;;#ASMSTART
	v_cvt_f32_f16 v35, v35;
	;;#ASMEND
	v_cndmask_b32_e64 v25, v18, v20, s[0:1]
	v_lshlrev_b32_e32 v25, 2, v25
	v_cmp_lt_i32_e64 s[0:1], v21, v19
	s_waitcnt vmcnt(9)
	v_lshrrev_b32_e32 v36, 16, v23
	v_and_b32_e32 v23, 0xffff, v23
	;;#ASMSTART
	v_cvt_f32_f16 v23, v23;
	;;#ASMEND
	;;#ASMSTART
	v_cvt_f32_f16 v36, v36;
	;;#ASMEND
	ds_read_b32 v37, v8 offset:4
	s_waitcnt vmcnt(8)
	v_lshrrev_b32_e32 v38, 16, v26
	v_and_b32_e32 v26, 0xffff, v26
	s_waitcnt vmcnt(7)
	v_lshrrev_b32_e32 v39, 16, v27
	v_and_b32_e32 v27, 0xffff, v27
	s_waitcnt lgkmcnt(0)
	v_lshrrev_b32_e32 v40, 16, v37
	v_and_b32_e32 v37, 0xffff, v37
	;;#ASMSTART
	v_cvt_f32_f16 v37, v37;
	;;#ASMEND
	;;#ASMSTART
	v_cvt_f32_f16 v40, v40;
	;;#ASMEND
	;; [unrolled: 3-line block ×4, first 2 shown]
	ds_read_b32 v41, v8 offset:8
	s_waitcnt vmcnt(6)
	v_lshrrev_b32_e32 v42, 16, v28
	v_and_b32_e32 v28, 0xffff, v28
	s_waitcnt vmcnt(5)
	v_lshrrev_b32_e32 v43, 16, v29
	v_and_b32_e32 v29, 0xffff, v29
	s_waitcnt lgkmcnt(0)
	v_lshrrev_b32_e32 v44, 16, v41
	v_and_b32_e32 v41, 0xffff, v41
	;;#ASMSTART
	v_cvt_f32_f16 v41, v41;
	;;#ASMEND
	;;#ASMSTART
	v_cvt_f32_f16 v44, v44;
	;;#ASMEND
	;;#ASMSTART
	v_cvt_f32_f16 v27, v27;
	;;#ASMEND
	;;#ASMSTART
	v_cvt_f32_f16 v39, v39;
	;;#ASMEND
	ds_read_b32 v45, v8 offset:12
	s_waitcnt vmcnt(4)
	v_lshrrev_b32_e32 v46, 16, v30
	v_and_b32_e32 v30, 0xffff, v30
	v_mul_f32_e32 v26, v37, v26
	v_mul_f32_e32 v37, v40, v38
	s_waitcnt lgkmcnt(0)
	v_lshrrev_b32_e32 v48, 16, v45
	v_and_b32_e32 v45, 0xffff, v45
	;;#ASMSTART
	v_cvt_f32_f16 v45, v45;
	;;#ASMEND
	;;#ASMSTART
	v_cvt_f32_f16 v48, v48;
	;;#ASMEND
	;; [unrolled: 3-line block ×4, first 2 shown]
	ds_read_b32 v49, v8 offset:16
	s_waitcnt vmcnt(3)
	v_lshrrev_b32_e32 v47, 16, v31
	v_and_b32_e32 v31, 0xffff, v31
	v_fmac_f32_e32 v26, v24, v23
	v_fmac_f32_e32 v37, v35, v36
	s_waitcnt lgkmcnt(0)
	v_lshrrev_b32_e32 v52, 16, v49
	v_and_b32_e32 v49, 0xffff, v49
	;;#ASMSTART
	v_cvt_f32_f16 v49, v49;
	;;#ASMEND
	;;#ASMSTART
	v_cvt_f32_f16 v52, v52;
	;;#ASMEND
	;; [unrolled: 3-line block ×4, first 2 shown]
	ds_read_b32 v53, v8 offset:20
	v_fmac_f32_e32 v26, v41, v27
	v_fmac_f32_e32 v26, v45, v28
	s_waitcnt vmcnt(2)
	v_lshrrev_b32_e32 v50, 16, v32
	v_and_b32_e32 v32, 0xffff, v32
	s_waitcnt lgkmcnt(0)
	v_lshrrev_b32_e32 v38, 16, v53
	v_and_b32_e32 v40, 0xffff, v53
	;;#ASMSTART
	v_cvt_f32_f16 v40, v40;
	;;#ASMEND
	;;#ASMSTART
	v_cvt_f32_f16 v38, v38;
	;;#ASMEND
	;; [unrolled: 3-line block ×4, first 2 shown]
	ds_read_b32 v53, v8 offset:24
	v_fmac_f32_e32 v26, v49, v29
	v_fmac_f32_e32 v37, v44, v39
	;; [unrolled: 1-line block ×4, first 2 shown]
	s_waitcnt lgkmcnt(0)
	v_lshrrev_b32_e32 v23, 16, v53
	v_and_b32_e32 v24, 0xffff, v53
	;;#ASMSTART
	v_cvt_f32_f16 v24, v24;
	;;#ASMEND
	;;#ASMSTART
	v_cvt_f32_f16 v23, v23;
	;;#ASMEND
	;; [unrolled: 3-line block ×4, first 2 shown]
	ds_read_b32 v35, v8 offset:28
	v_fmac_f32_e32 v26, v40, v30
	v_fmac_f32_e32 v37, v38, v46
	v_fmac_f32_e32 v26, v24, v27
	v_fmac_f32_e32 v37, v23, v31
	s_waitcnt lgkmcnt(0)
	v_lshrrev_b32_e32 v28, 16, v35
	v_and_b32_e32 v29, 0xffff, v35
	;;#ASMSTART
	v_cvt_f32_f16 v29, v29;
	;;#ASMEND
	;;#ASMSTART
	v_cvt_f32_f16 v28, v28;
	;;#ASMEND
	;; [unrolled: 3-line block ×4, first 2 shown]
	ds_read_b32 v36, v8 offset:32
	s_waitcnt vmcnt(1)
	v_lshrrev_b32_e32 v51, 16, v33
	v_and_b32_e32 v33, 0xffff, v33
	v_fmac_f32_e32 v26, v29, v32
	v_fmac_f32_e32 v37, v28, v35
	s_waitcnt lgkmcnt(0)
	v_lshrrev_b32_e32 v23, 16, v36
	v_and_b32_e32 v24, 0xffff, v36
	;;#ASMSTART
	v_cvt_f32_f16 v24, v24;
	;;#ASMEND
	;;#ASMSTART
	v_cvt_f32_f16 v23, v23;
	;;#ASMEND
	;; [unrolled: 3-line block ×4, first 2 shown]
	ds_read_b32 v31, v8 offset:36
	v_fmac_f32_e32 v26, v24, v27
	v_fmac_f32_e32 v37, v23, v30
	s_waitcnt vmcnt(0)
	v_lshrrev_b32_e32 v54, 16, v34
	v_and_b32_e32 v34, 0xffff, v34
	s_waitcnt lgkmcnt(0)
	v_lshrrev_b32_e32 v23, 16, v31
	v_and_b32_e32 v24, 0xffff, v31
	;;#ASMSTART
	v_cvt_f32_f16 v24, v24;
	;;#ASMEND
	;;#ASMSTART
	v_cvt_f32_f16 v23, v23;
	;;#ASMEND
	;; [unrolled: 3-line block ×4, first 2 shown]
	s_nop 0
	v_fmac_f32_e32 v26, v24, v27
	v_fmac_f32_e32 v37, v23, v28
	v_add_f32_e32 v23, v26, v37
	ds_bpermute_b32 v24, v25, v23
	v_cndmask_b32_e64 v25, v18, v21, s[0:1]
	s_waitcnt lgkmcnt(0)
	v_add_f32_e32 v23, v23, v24
	v_lshlrev_b32_e32 v24, 2, v25
	ds_bpermute_b32 v24, v24, v23
	s_and_saveexec_b64 s[44:45], vcc
	s_cbranch_execz .LBB92_12
; %bb.18:                               ;   in Loop: Header=BB92_14 Depth=1
	v_add_u32_e32 v25, v16, v14
	v_cvt_f32_i32_e32 v25, v25
	s_waitcnt lgkmcnt(0)
	v_add_f32_e32 v23, v23, v24
	v_add_u32_e32 v26, v7, v14
	v_cmp_gt_i32_e64 s[0:1], s29, v26
	v_mul_f32_e32 v24, s50, v25
	v_cndmask_b32_e64 v24, 0, v24, s[6:7]
	v_fmac_f32_e32 v24, s39, v23
	v_cndmask_b32_e64 v23, 0, v24, s[0:1]
	ds_write_b32 v15, v23
	v_max_f32_e32 v23, v12, v12
	v_max_f32_e32 v23, v23, v24
	v_cndmask_b32_e64 v12, v12, v23, s[0:1]
	s_branch .LBB92_12
.LBB92_19:
	s_or_b64 exec, exec, s[42:43]
.LBB92_20:
	s_or_b64 exec, exec, s[40:41]
	v_mbcnt_hi_u32_b32 v2, -1, v6
	v_and_b32_e32 v3, 64, v2
	v_add_u32_e32 v3, 64, v3
	v_xor_b32_e32 v4, 32, v2
	v_cmp_lt_i32_e32 vcc, v4, v3
	v_xor_b32_e32 v7, 16, v2
	v_max_f32_e32 v5, v12, v12
	v_cndmask_b32_e32 v4, v2, v4, vcc
	v_lshlrev_b32_e32 v6, 2, v4
	ds_bpermute_b32 v4, v6, v12
	v_cmp_lt_i32_e32 vcc, v7, v3
	v_xor_b32_e32 v8, 8, v2
	s_waitcnt lgkmcnt(0)
	v_max_f32_e32 v4, v4, v4
	v_max_f32_e32 v4, v5, v4
	v_cndmask_b32_e32 v5, v2, v7, vcc
	v_lshlrev_b32_e32 v7, 2, v5
	ds_bpermute_b32 v5, v7, v4
	v_cmp_lt_i32_e32 vcc, v8, v3
	s_waitcnt lgkmcnt(0)
	v_max_f32_e32 v5, v5, v5
	v_max_f32_e32 v4, v4, v5
	v_cndmask_b32_e32 v5, v2, v8, vcc
	v_lshlrev_b32_e32 v13, 2, v5
	ds_bpermute_b32 v5, v13, v4
	v_xor_b32_e32 v8, 4, v2
	v_cmp_lt_i32_e32 vcc, v8, v3
	s_waitcnt lgkmcnt(0)
	v_max_f32_e32 v5, v5, v5
	v_max_f32_e32 v5, v4, v5
	v_cndmask_b32_e32 v4, v2, v8, vcc
	v_lshlrev_b32_e32 v14, 2, v4
	ds_bpermute_b32 v12, v14, v5
	v_and_b32_e32 v4, 63, v0
	v_cmp_eq_u32_e32 vcc, 0, v4
	v_lshlrev_b32_e32 v8, 2, v9
	s_and_saveexec_b64 s[0:1], vcc
	s_cbranch_execz .LBB92_22
; %bb.21:
	s_waitcnt lgkmcnt(0)
	v_max_f32_e32 v12, v12, v12
	v_max_f32_e32 v5, v5, v5
	;; [unrolled: 1-line block ×3, first 2 shown]
	ds_write_b32 v8, v5 offset:160
.LBB92_22:
	s_or_b64 exec, exec, s[0:1]
	v_cmp_gt_u32_e64 s[0:1], 2, v4
	v_mov_b32_e32 v5, 0xff7fffff
	s_waitcnt lgkmcnt(0)
	v_lshlrev_b32_e32 v12, 2, v4
	s_barrier
	s_and_saveexec_b64 s[6:7], s[0:1]
	s_cbranch_execz .LBB92_24
; %bb.23:
	ds_read_b32 v5, v12 offset:160
.LBB92_24:
	s_or_b64 exec, exec, s[6:7]
	v_xor_b32_e32 v15, 1, v2
	v_cmp_lt_i32_e64 s[6:7], v15, v3
	v_mov_b32_e32 v16, 0
	s_nop 0
	v_cndmask_b32_e64 v15, v2, v15, s[6:7]
	v_lshlrev_b32_e32 v22, 2, v15
	s_waitcnt lgkmcnt(0)
	ds_bpermute_b32 v15, v22, v5
	v_max_f32_e32 v5, v5, v5
	s_sub_i32 s6, s48, s16
	s_lshl_b32 s6, s6, 4
	s_add_i32 s6, s6, s49
	s_waitcnt lgkmcnt(0)
	v_max_f32_e32 v15, v15, v15
	v_max_f32_e32 v5, v5, v15
	v_lshlrev_b32_e32 v15, 2, v2
	v_and_b32_e32 v15, 0x100, v15
	ds_bpermute_b32 v5, v15, v5
	s_min_i32 s16, s6, s29
	s_sub_i32 s15, s16, s49
	v_cmp_gt_i32_e64 s[6:7], s15, v0
	s_and_saveexec_b64 s[38:39], s[6:7]
	s_cbranch_execz .LBB92_28
; %bb.25:
	v_mov_b32_e32 v16, 0xb0
	v_lshl_add_u32 v17, v0, 2, v16
	s_mov_b64 s[40:41], 0
	v_mov_b32_e32 v16, 0
	v_mov_b32_e32 v18, v0
.LBB92_26:                              ; =>This Inner Loop Header: Depth=1
	ds_read_b32 v19, v17
	v_add_u32_e32 v18, 0x80, v18
	v_cmp_le_i32_e64 s[10:11], s15, v18
	s_or_b64 s[40:41], s[10:11], s[40:41]
	s_waitcnt lgkmcnt(0)
	v_sub_f32_e32 v19, v19, v5
	v_mul_f32_e32 v19, 0x3fb8aa3b, v19
	v_exp_f32_e32 v19, v19
	ds_write_b32 v17, v19
	v_add_f32_e32 v16, v16, v19
	v_add_u32_e32 v17, 0x200, v17
	s_andn2_b64 exec, exec, s[40:41]
	s_cbranch_execnz .LBB92_26
; %bb.27:
	s_or_b64 exec, exec, s[40:41]
.LBB92_28:
	s_or_b64 exec, exec, s[38:39]
	ds_bpermute_b32 v6, v6, v16
	s_waitcnt lgkmcnt(0)
	v_add_f32_e32 v6, v16, v6
	ds_bpermute_b32 v7, v7, v6
	s_waitcnt lgkmcnt(0)
	v_add_f32_e32 v6, v6, v7
	ds_bpermute_b32 v7, v13, v6
	v_xor_b32_e32 v13, 2, v2
	v_cmp_lt_i32_e64 s[10:11], v13, v3
	s_waitcnt lgkmcnt(0)
	v_add_f32_e32 v6, v6, v7
	ds_bpermute_b32 v7, v14, v6
	v_cndmask_b32_e64 v2, v2, v13, s[10:11]
	v_lshlrev_b32_e32 v2, 2, v2
	s_waitcnt lgkmcnt(0)
	v_add_f32_e32 v3, v6, v7
	ds_bpermute_b32 v2, v2, v3
	s_waitcnt lgkmcnt(0)
	v_add_f32_e32 v2, v3, v2
	ds_bpermute_b32 v3, v22, v2
	s_waitcnt lgkmcnt(0)
	v_add_f32_e32 v2, v2, v3
	s_and_saveexec_b64 s[10:11], vcc
	s_cbranch_execz .LBB92_30
; %bb.29:
	ds_write_b32 v8, v2 offset:168
.LBB92_30:
	s_or_b64 exec, exec, s[10:11]
	s_waitcnt lgkmcnt(0)
	s_barrier
	s_and_saveexec_b64 s[10:11], s[0:1]
	s_cbranch_execz .LBB92_32
; %bb.31:
	ds_read_b32 v2, v12 offset:168
.LBB92_32:
	s_or_b64 exec, exec, s[10:11]
	s_waitcnt lgkmcnt(0)
	ds_bpermute_b32 v3, v22, v2
	s_waitcnt lgkmcnt(0)
	v_add_f32_e32 v2, v2, v3
	ds_bpermute_b32 v6, v15, v2
	s_and_saveexec_b64 s[0:1], s[6:7]
	s_cbranch_execz .LBB92_45
; %bb.33:
	s_waitcnt lgkmcnt(0)
	v_add_f32_e32 v2, 0x358637bd, v6
	v_div_scale_f32 v3, s[6:7], v2, v2, 1.0
	v_rcp_f32_e32 v7, v3
	v_div_scale_f32 v8, vcc, 1.0, v2, 1.0
	s_movk_i32 s6, 0x7f
	v_fma_f32 v12, -v3, v7, 1.0
	v_fmac_f32_e32 v7, v12, v7
	v_mul_f32_e32 v12, v8, v7
	v_fma_f32 v13, -v3, v12, v8
	v_fmac_f32_e32 v12, v13, v7
	v_fma_f32 v3, -v3, v12, v8
	v_div_fmas_f32 v3, v3, v7, v12
	v_div_fixup_f32 v2, v3, v2, 1.0
	v_xad_u32 v3, v0, -1, s16
	v_subrev_u32_e32 v7, s49, v3
	v_cmp_lt_u32_e32 vcc, s6, v7
	s_mov_b64 s[10:11], -1
	v_mov_b32_e32 v3, v0
	s_and_saveexec_b64 s[6:7], vcc
	s_cbranch_execz .LBB92_42
; %bb.34:
	v_lshrrev_b32_e32 v7, 7, v7
	v_add_u32_e32 v12, -1, v7
	v_lshrrev_b32_e32 v8, 1, v12
	v_mov_b32_e32 v3, v2
	v_add_u32_e32 v8, 1, v8
	v_cmp_lt_u32_e32 vcc, 13, v12
	v_mov_b32_e32 v14, 0
	s_and_saveexec_b64 s[10:11], vcc
	s_cbranch_execz .LBB92_38
; %bb.35:
	v_mov_b32_e32 v13, 0xb0
	v_and_b32_e32 v12, -8, v8
	v_lshl_add_u32 v13, v0, 2, v13
	s_mov_b32 s16, 0
	s_mov_b64 s[38:39], 0
.LBB92_36:                              ; =>This Inner Loop Header: Depth=1
	ds_read2st64_b32 v[14:15], v13 offset1:2
	ds_read2st64_b32 v[16:17], v13 offset0:4 offset1:6
	ds_read2st64_b32 v[18:19], v13 offset0:8 offset1:10
	;; [unrolled: 1-line block ×3, first 2 shown]
	v_add_u32_e32 v12, -8, v12
	s_waitcnt lgkmcnt(3)
	v_pk_mul_f32 v[14:15], v[2:3], v[14:15]
	s_waitcnt lgkmcnt(2)
	v_pk_mul_f32 v[16:17], v[2:3], v[16:17]
	ds_write2st64_b32 v13, v14, v15 offset1:2
	ds_write2st64_b32 v13, v16, v17 offset0:4 offset1:6
	ds_read2st64_b32 v[16:17], v13 offset0:16 offset1:18
	s_waitcnt lgkmcnt(4)
	v_pk_mul_f32 v[14:15], v[2:3], v[18:19]
	ds_write2st64_b32 v13, v14, v15 offset0:8 offset1:10
	s_waitcnt lgkmcnt(4)
	v_pk_mul_f32 v[14:15], v[2:3], v[20:21]
	ds_write2st64_b32 v13, v14, v15 offset0:12 offset1:14
	ds_read2st64_b32 v[14:15], v13 offset0:20 offset1:22
	s_waitcnt lgkmcnt(3)
	v_pk_mul_f32 v[16:17], v[2:3], v[16:17]
	ds_read2st64_b32 v[18:19], v13 offset0:24 offset1:26
	ds_write2st64_b32 v13, v16, v17 offset0:16 offset1:18
	ds_read2st64_b32 v[16:17], v13 offset0:28 offset1:30
	s_waitcnt lgkmcnt(3)
	v_pk_mul_f32 v[14:15], v[2:3], v[14:15]
	ds_write2st64_b32 v13, v14, v15 offset0:20 offset1:22
	s_waitcnt lgkmcnt(3)
	v_pk_mul_f32 v[14:15], v[2:3], v[18:19]
	ds_write2st64_b32 v13, v14, v15 offset0:24 offset1:26
	s_waitcnt lgkmcnt(2)
	v_pk_mul_f32 v[14:15], v[2:3], v[16:17]
	s_add_i32 s16, s16, 16
	v_cmp_eq_u32_e32 vcc, 0, v12
	ds_write2st64_b32 v13, v14, v15 offset0:28 offset1:30
	v_add_u32_e32 v13, 0x2000, v13
	s_or_b64 s[38:39], vcc, s[38:39]
	v_mov_b32_e32 v14, s16
	s_andn2_b64 exec, exec, s[38:39]
	s_cbranch_execnz .LBB92_36
; %bb.37:
	s_or_b64 exec, exec, s[38:39]
.LBB92_38:
	s_or_b64 exec, exec, s[10:11]
	v_and_b32_e32 v8, 7, v8
	v_cmp_ne_u32_e32 vcc, 0, v8
	s_and_saveexec_b64 s[10:11], vcc
	s_cbranch_execz .LBB92_41
; %bb.39:
	v_lshlrev_b32_e32 v12, 9, v14
	v_lshlrev_b32_e32 v13, 2, v0
	s_movk_i32 s16, 0xb0
	v_add3_u32 v12, v12, v13, s16
	s_mov_b64 s[38:39], 0
.LBB92_40:                              ; =>This Inner Loop Header: Depth=1
	ds_read2st64_b32 v[14:15], v12 offset1:2
	v_add_u32_e32 v8, -1, v8
	v_cmp_eq_u32_e32 vcc, 0, v8
	s_or_b64 s[38:39], vcc, s[38:39]
	s_waitcnt lgkmcnt(0)
	v_pk_mul_f32 v[14:15], v[2:3], v[14:15]
	ds_write2st64_b32 v12, v14, v15 offset1:2
	v_add_u32_e32 v12, 0x400, v12
	s_andn2_b64 exec, exec, s[38:39]
	s_cbranch_execnz .LBB92_40
.LBB92_41:
	s_or_b64 exec, exec, s[10:11]
	v_add_u32_e32 v7, 1, v7
	v_and_b32_e32 v8, 0x3fffffe, v7
	v_cmp_ne_u32_e32 vcc, v7, v8
	v_lshl_add_u32 v3, v8, 7, v0
	s_orn2_b64 s[10:11], vcc, exec
.LBB92_42:
	s_or_b64 exec, exec, s[6:7]
	s_and_b64 exec, exec, s[10:11]
	s_cbranch_execz .LBB92_45
; %bb.43:
	v_mov_b32_e32 v7, 0xb0
	v_lshl_add_u32 v7, v3, 2, v7
	s_mov_b64 s[6:7], 0
.LBB92_44:                              ; =>This Inner Loop Header: Depth=1
	ds_read_b32 v8, v7
	v_add_u32_e32 v3, 0x80, v3
	v_cmp_le_i32_e32 vcc, s15, v3
	s_or_b64 s[6:7], vcc, s[6:7]
	s_waitcnt lgkmcnt(0)
	v_mul_f32_e32 v8, v2, v8
	ds_write_b32 v7, v8
	v_add_u32_e32 v7, 0x200, v7
	s_andn2_b64 exec, exec, s[6:7]
	s_cbranch_execnz .LBB92_44
.LBB92_45:
	s_or_b64 exec, exec, s[0:1]
	s_mul_i32 s0, s19, s28
	v_cmp_eq_u32_e32 vcc, 0, v0
	s_mul_i32 s6, s0, s5
	s_waitcnt lgkmcnt(0)
	s_barrier
	s_and_saveexec_b64 s[0:1], vcc
	s_cbranch_execz .LBB92_47
; %bb.46:
	s_ashr_i32 s7, s6, 31
	s_lshl_b64 s[10:11], s[6:7], 2
	s_add_u32 s5, s22, s10
	s_mul_i32 s22, s19, s2
	s_addc_u32 s7, s23, s11
	s_ashr_i32 s23, s22, 31
	s_lshl_b64 s[22:23], s[22:23], 2
	s_add_u32 s2, s5, s22
	s_addc_u32 s7, s7, s23
	s_ashr_i32 s5, s4, 31
	s_lshl_b64 s[38:39], s[4:5], 2
	s_add_u32 s40, s2, s38
	s_addc_u32 s41, s7, s39
	s_add_u32 s2, s20, s10
	s_addc_u32 s5, s21, s11
	;; [unrolled: 2-line block ×3, first 2 shown]
	s_add_u32 s10, s2, s38
	v_mov_b32_e32 v2, 0
	s_addc_u32 s11, s5, s39
	global_store_dword v2, v5, s[40:41]
	global_store_dword v2, v6, s[10:11]
.LBB92_47:
	s_or_b64 exec, exec, s[0:1]
	s_mov_b32 s0, 0
	v_mov_b32_e32 v8, 0
	v_lshrrev_b32_e32 v24, 1, v4
	v_and_b32_e32 v23, 1, v0
	v_mov_b32_e32 v7, 0
	v_mov_b32_e32 v6, 0
	s_and_saveexec_b64 s[10:11], s[8:9]
	s_cbranch_execz .LBB92_61
; %bb.48:
	s_ashr_i32 s15, s14, 31
	s_sub_i32 s5, s12, s17
	s_lshl_b64 s[8:9], s[14:15], 1
	s_add_u32 s8, s36, s8
	s_addc_u32 s9, s37, s9
	s_abs_i32 s18, s18
	v_cvt_f32_u32_e32 v5, s18
	v_lshlrev_b32_e32 v2, 3, v0
	v_and_b32_e32 v25, 8, v2
	v_or_b32_e32 v3, 64, v24
	s_movk_i32 s1, 0x50
	v_cmp_gt_u32_e32 vcc, s1, v3
	v_lshl_or_b32 v4, v3, 4, v25
	v_rcp_iflag_f32_e32 v3, v5
	s_add_i32 s20, s3, -1
	s_sub_i32 s1, 0, s18
	s_lshl_b64 s[2:3], s[34:35], 2
	v_mul_f32_e32 v3, 0x4f7ffffe, v3
	v_cvt_u32_f32_e32 v3, v3
	s_add_u32 s2, s30, s2
	s_addc_u32 s3, s31, s3
	v_lshl_add_u64 v[14:15], v[10:11], 2, s[2:3]
	v_mul_lo_u32 v5, s1, v3
	v_mul_hi_u32 v5, v3, v5
	v_add_u32_e32 v26, v3, v5
	v_lshlrev_b32_e32 v3, 5, v23
	s_mov_b32 s2, s0
	v_lshl_or_b32 v2, v24, 4, v25
	v_lshl_or_b32 v3, v9, 6, v3
	s_mov_b32 s1, s0
	v_mov_b32_e32 v8, s2
	s_mov_b32 s7, s13
	v_mov_b32_e32 v13, 0
	s_mov_b32 s21, s29
	s_mov_b32 s22, s29
	;; [unrolled: 1-line block ×7, first 2 shown]
	v_add_u32_e32 v9, 0xb0, v3
	s_mov_b64 s[12:13], 0
	v_mov_b32_e32 v7, s1
	v_mov_b32_e32 v6, s0
	v_lshlrev_b32_e32 v12, 1, v2
	s_mov_b32 s30, 0x5040100
	v_lshlrev_b32_e32 v16, 1, v4
	s_branch .LBB92_52
.LBB92_49:                              ;   in Loop: Header=BB92_52 Depth=1
	s_or_b64 exec, exec, s[16:17]
	s_waitcnt vmcnt(0)
	;;#ASMSTART
	v_pk_mul_f16 v2, v30, v2;

	;;#ASMEND
	;;#ASMSTART
	v_pk_mul_f16 v3, v29, v3;

	;;#ASMEND
	;; [unrolled: 4-line block ×4, first 2 shown]
	s_nop 0
	;;#ASMSTART
	v_pk_add_f16 v2, v2, v3;

	;;#ASMEND
	s_nop 0
	;;#ASMSTART
	v_pk_add_f16 v2, v2, v4;

	;;#ASMEND
	;; [unrolled: 5-line block ×3, first 2 shown]
	s_nop 0
	v_lshrrev_b32_e32 v3, 16, v2
	v_and_b32_e32 v2, 0xffff, v2
	;;#ASMSTART
	v_cvt_f32_f16 v2, v2;
	;;#ASMEND
	;;#ASMSTART
	v_cvt_f32_f16 v3, v3;
	;;#ASMEND
	s_nop 0
	v_add_f32_e32 v2, v2, v3
	v_add_f32_e32 v8, v8, v2
.LBB92_50:                              ;   in Loop: Header=BB92_52 Depth=1
	s_or_b64 exec, exec, s[2:3]
.LBB92_51:                              ;   in Loop: Header=BB92_52 Depth=1
	s_or_b64 exec, exec, s[14:15]
	v_add_u32_e32 v10, 2, v10
	v_cmp_le_i32_e64 s[0:1], s48, v10
	v_lshl_add_u64 v[14:15], v[14:15], 0, 8
	v_add_u32_e32 v1, 32, v1
	s_or_b64 s[12:13], s[0:1], s[12:13]
	v_add_u32_e32 v9, 0x80, v9
	s_andn2_b64 exec, exec, s[12:13]
	s_cbranch_execz .LBB92_60
.LBB92_52:                              ; =>This Inner Loop Header: Depth=1
	v_sub_u32_e32 v3, 0, v1
	v_max_i32_e32 v3, v1, v3
	v_mul_hi_u32 v4, v3, s33
	v_mul_lo_u32 v5, v4, s25
	v_sub_u32_e32 v3, v3, v5
	v_add_u32_e32 v5, 1, v4
	v_cmp_le_u32_e64 s[0:1], s25, v3
	v_ashrrev_i32_e32 v2, 31, v1
	v_xor_b32_e32 v2, s47, v2
	v_cndmask_b32_e64 v4, v4, v5, s[0:1]
	v_subrev_u32_e32 v5, s25, v3
	v_cndmask_b32_e64 v3, v3, v5, s[0:1]
	v_add_u32_e32 v5, 1, v4
	v_cmp_le_u32_e64 s[0:1], s25, v3
	s_nop 1
	v_cndmask_b32_e64 v3, v4, v5, s[0:1]
	v_xor_b32_e32 v3, v3, v2
	v_sub_u32_e32 v2, v3, v2
	v_add_u32_e32 v3, s46, v2
	v_sub_u32_e32 v5, 0, v3
	v_ashrrev_i32_e32 v4, 31, v3
	v_max_i32_e32 v3, v3, v5
	v_mul_hi_u32 v5, v3, v26
	v_mul_lo_u32 v5, v5, s18
	v_sub_u32_e32 v3, v3, v5
	v_subrev_u32_e32 v5, s18, v3
	v_cmp_le_u32_e64 s[0:1], s18, v3
	v_cmp_lt_i32_e64 s[2:3], s5, v2
	s_nop 0
	v_cndmask_b32_e64 v3, v3, v5, s[0:1]
	v_subrev_u32_e32 v5, s18, v3
	v_cmp_le_u32_e64 s[0:1], s18, v3
	s_nop 1
	v_cndmask_b32_e64 v3, v3, v5, s[0:1]
	v_xor_b32_e32 v3, v3, v4
	v_sub_u32_e32 v3, v3, v4
	v_cmp_eq_u32_e64 s[0:1], 0, v3
	s_or_b64 s[0:1], s[0:1], s[2:3]
	s_and_saveexec_b64 s[14:15], s[0:1]
	s_cbranch_execz .LBB92_51
; %bb.53:                               ;   in Loop: Header=BB92_52 Depth=1
	global_load_dword v11, v[14:15], off
	ds_read2_b64 v[2:5], v9 offset1:1
	ds_read2_b64 v[18:21], v9 offset0:2 offset1:3
	s_waitcnt lgkmcnt(1)
	;;#ASMSTART
	v_cvt_f16_f32 v17, v2;

	;;#ASMEND
	;;#ASMSTART
	v_cvt_f16_f32 v27, v3;

	;;#ASMEND
	;; [unrolled: 4-line block ×4, first 2 shown]
	s_waitcnt lgkmcnt(0)
	;;#ASMSTART
	v_cvt_f16_f32 v31, v18;

	;;#ASMEND
	;;#ASMSTART
	v_cvt_f16_f32 v32, v19;

	;;#ASMEND
	;; [unrolled: 4-line block ×4, first 2 shown]
	s_waitcnt vmcnt(0)
	v_mad_i64_i32 v[2:3], s[0:1], v11, s7, 0
	v_lshl_add_u64 v[18:19], v[2:3], 1, s[8:9]
	v_lshl_add_u64 v[20:21], v[18:19], 0, v[12:13]
	global_load_dwordx4 v[2:5], v[20:21], off
	v_add_u32_e32 v11, v25, v1
	v_cmp_eq_u32_e64 s[0:1], s20, v10
	s_and_saveexec_b64 s[16:17], s[0:1]
	s_cbranch_execz .LBB92_55
; %bb.54:                               ;   in Loop: Header=BB92_52 Depth=1
	v_or_b32_e32 v39, 7, v11
	v_or_b32_e32 v40, 6, v11
	s_waitcnt vmcnt(0)
	v_lshrrev_b32_e32 v41, 16, v5
	v_cmp_gt_i32_e64 s[2:3], s38, v39
	v_or_b32_e32 v37, 5, v11
	v_or_b32_e32 v38, 4, v11
	v_cndmask_b32_e64 v39, 0, v41, s[2:3]
	v_cmp_gt_i32_e64 s[2:3], s37, v40
	v_or_b32_e32 v35, 3, v11
	v_or_b32_e32 v36, 2, v11
	v_cndmask_b32_e64 v5, 0, v5, s[2:3]
	v_perm_b32 v5, v39, v5, s30
	v_lshrrev_b32_e32 v39, 16, v4
	v_cmp_gt_i32_e64 s[2:3], s36, v37
	v_add_u32_e32 v30, 1, v11
	s_nop 0
	v_cndmask_b32_e64 v37, 0, v39, s[2:3]
	v_cmp_gt_i32_e64 s[2:3], s28, v38
	s_nop 1
	v_cndmask_b32_e64 v4, 0, v4, s[2:3]
	v_perm_b32 v4, v37, v4, s30
	v_lshrrev_b32_e32 v37, 16, v3
	v_cmp_gt_i32_e64 s[2:3], s23, v35
	s_nop 1
	v_cndmask_b32_e64 v35, 0, v37, s[2:3]
	v_cmp_gt_i32_e64 s[2:3], s22, v36
	s_nop 1
	v_cndmask_b32_e64 v3, 0, v3, s[2:3]
	v_perm_b32 v3, v35, v3, s30
	v_lshrrev_b32_e32 v35, 16, v2
	v_cmp_gt_i32_e64 s[2:3], s21, v30
	s_nop 1
	v_cndmask_b32_e64 v30, 0, v35, s[2:3]
	v_cmp_gt_i32_e64 s[2:3], s29, v11
	s_nop 1
	v_cndmask_b32_e64 v2, 0, v2, s[2:3]
	v_perm_b32 v2, v30, v2, s30
.LBB92_55:                              ;   in Loop: Header=BB92_52 Depth=1
	s_or_b64 exec, exec, s[16:17]
	v_and_b32_e32 v17, 0xffff, v17
	v_lshl_or_b32 v30, v27, 16, v17
	v_and_b32_e32 v17, 0xffff, v28
	v_lshl_or_b32 v29, v29, 16, v17
	;; [unrolled: 2-line block ×3, first 2 shown]
	v_and_b32_e32 v17, 0xffff, v33
	s_waitcnt vmcnt(0)
	;;#ASMSTART
	v_pk_mul_f16 v2, v30, v2;

	;;#ASMEND
	v_lshl_or_b32 v27, v34, 16, v17
	;;#ASMSTART
	v_pk_mul_f16 v3, v29, v3;

	;;#ASMEND
	;;#ASMSTART
	v_pk_mul_f16 v4, v28, v4;

	;;#ASMEND
	;; [unrolled: 4-line block ×3, first 2 shown]
	s_nop 0
	;;#ASMSTART
	v_pk_add_f16 v2, v2, v3;

	;;#ASMEND
	s_nop 0
	;;#ASMSTART
	v_pk_add_f16 v2, v2, v4;

	;;#ASMEND
	;; [unrolled: 5-line block ×3, first 2 shown]
	s_nop 0
	v_lshrrev_b32_e32 v3, 16, v2
	v_and_b32_e32 v2, 0xffff, v2
	;;#ASMSTART
	v_cvt_f32_f16 v17, v2;
	;;#ASMEND
	;;#ASMSTART
	v_cvt_f32_f16 v31, v3;
	;;#ASMEND
	global_load_dwordx4 v[2:5], v[20:21], off offset:1024
	s_and_saveexec_b64 s[16:17], s[0:1]
	s_cbranch_execz .LBB92_57
; %bb.56:                               ;   in Loop: Header=BB92_52 Depth=1
	v_or_b32_e32 v35, 7, v11
	v_or_b32_e32 v36, 6, v11
	s_waitcnt vmcnt(0)
	v_lshrrev_b32_e32 v37, 16, v5
	v_cmp_gt_i32_e64 s[2:3], s38, v35
	v_or_b32_e32 v33, 5, v11
	v_or_b32_e32 v34, 4, v11
	v_cndmask_b32_e64 v35, 0, v37, s[2:3]
	v_cmp_gt_i32_e64 s[2:3], s37, v36
	v_or_b32_e32 v21, 3, v11
	v_or_b32_e32 v32, 2, v11
	v_cndmask_b32_e64 v5, 0, v5, s[2:3]
	v_perm_b32 v5, v35, v5, s30
	v_lshrrev_b32_e32 v35, 16, v4
	v_cmp_gt_i32_e64 s[2:3], s36, v33
	v_add_u32_e32 v20, 1, v11
	s_nop 0
	v_cndmask_b32_e64 v33, 0, v35, s[2:3]
	v_cmp_gt_i32_e64 s[2:3], s28, v34
	s_nop 1
	v_cndmask_b32_e64 v4, 0, v4, s[2:3]
	v_perm_b32 v4, v33, v4, s30
	v_lshrrev_b32_e32 v33, 16, v3
	v_cmp_gt_i32_e64 s[2:3], s23, v21
	s_nop 1
	v_cndmask_b32_e64 v21, 0, v33, s[2:3]
	v_cmp_gt_i32_e64 s[2:3], s22, v32
	s_nop 1
	v_cndmask_b32_e64 v3, 0, v3, s[2:3]
	v_perm_b32 v3, v21, v3, s30
	v_lshrrev_b32_e32 v21, 16, v2
	v_cmp_gt_i32_e64 s[2:3], s21, v20
	s_nop 1
	v_cndmask_b32_e64 v20, 0, v21, s[2:3]
	v_cmp_gt_i32_e64 s[2:3], s29, v11
	s_nop 1
	v_cndmask_b32_e64 v2, 0, v2, s[2:3]
	v_perm_b32 v2, v20, v2, s30
.LBB92_57:                              ;   in Loop: Header=BB92_52 Depth=1
	s_or_b64 exec, exec, s[16:17]
	s_waitcnt vmcnt(0)
	;;#ASMSTART
	v_pk_mul_f16 v2, v30, v2;

	;;#ASMEND
	;;#ASMSTART
	v_pk_mul_f16 v3, v29, v3;

	;;#ASMEND
	;; [unrolled: 4-line block ×4, first 2 shown]
	v_add_f32_e32 v17, v17, v31
	;;#ASMSTART
	v_pk_add_f16 v2, v2, v3;

	;;#ASMEND
	v_add_f32_e32 v6, v6, v17
	;;#ASMSTART
	v_pk_add_f16 v2, v2, v4;

	;;#ASMEND
	s_nop 0
	;;#ASMSTART
	v_pk_add_f16 v2, v2, v5;

	;;#ASMEND
	s_nop 0
	v_lshrrev_b32_e32 v3, 16, v2
	v_and_b32_e32 v2, 0xffff, v2
	;;#ASMSTART
	v_cvt_f32_f16 v2, v2;
	;;#ASMEND
	;;#ASMSTART
	v_cvt_f32_f16 v3, v3;
	;;#ASMEND
	s_nop 0
	v_add_f32_e32 v2, v2, v3
	v_add_f32_e32 v7, v7, v2
	s_and_saveexec_b64 s[2:3], vcc
	s_cbranch_execz .LBB92_50
; %bb.58:                               ;   in Loop: Header=BB92_52 Depth=1
	v_mov_b32_e32 v17, v13
	v_lshl_add_u64 v[2:3], v[18:19], 0, v[16:17]
	global_load_dwordx4 v[2:5], v[2:3], off
	s_and_saveexec_b64 s[16:17], s[0:1]
	s_cbranch_execz .LBB92_49
; %bb.59:                               ;   in Loop: Header=BB92_52 Depth=1
	v_or_b32_e32 v31, 7, v11
	v_or_b32_e32 v32, 6, v11
	s_waitcnt vmcnt(0)
	v_lshrrev_b32_e32 v33, 16, v5
	v_cmp_gt_i32_e64 s[0:1], s38, v31
	v_or_b32_e32 v20, 5, v11
	v_or_b32_e32 v21, 4, v11
	v_cndmask_b32_e64 v31, 0, v33, s[0:1]
	v_cmp_gt_i32_e64 s[0:1], s37, v32
	v_or_b32_e32 v18, 3, v11
	v_or_b32_e32 v19, 2, v11
	v_cndmask_b32_e64 v5, 0, v5, s[0:1]
	v_perm_b32 v5, v31, v5, s30
	v_lshrrev_b32_e32 v31, 16, v4
	v_cmp_gt_i32_e64 s[0:1], s36, v20
	v_add_u32_e32 v17, 1, v11
	s_nop 0
	v_cndmask_b32_e64 v20, 0, v31, s[0:1]
	v_cmp_gt_i32_e64 s[0:1], s28, v21
	s_nop 1
	v_cndmask_b32_e64 v4, 0, v4, s[0:1]
	v_perm_b32 v4, v20, v4, s30
	v_lshrrev_b32_e32 v20, 16, v3
	v_cmp_gt_i32_e64 s[0:1], s23, v18
	s_nop 1
	v_cndmask_b32_e64 v18, 0, v20, s[0:1]
	v_cmp_gt_i32_e64 s[0:1], s22, v19
	s_nop 1
	v_cndmask_b32_e64 v3, 0, v3, s[0:1]
	v_perm_b32 v3, v18, v3, s30
	v_lshrrev_b32_e32 v18, 16, v2
	v_cmp_gt_i32_e64 s[0:1], s21, v17
	s_nop 1
	v_cndmask_b32_e64 v17, 0, v18, s[0:1]
	v_cmp_gt_i32_e64 s[0:1], s29, v11
	s_nop 1
	v_cndmask_b32_e64 v2, 0, v2, s[0:1]
	v_perm_b32 v2, v17, v2, s30
	s_branch .LBB92_49
.LBB92_60:
	s_or_b64 exec, exec, s[12:13]
.LBB92_61:
	s_or_b64 exec, exec, s[10:11]
	ds_bpermute_b32 v2, v22, v6
	ds_bpermute_b32 v3, v22, v7
	;; [unrolled: 1-line block ×3, first 2 shown]
	v_and_b32_e32 v4, 0x3c0, v0
	v_cmp_eq_u32_e32 vcc, 64, v4
	s_waitcnt lgkmcnt(0)
	v_pk_add_f32 v[2:3], v[6:7], v[2:3]
	v_add_f32_e32 v1, v8, v1
	s_barrier
	s_and_saveexec_b64 s[2:3], vcc
	s_cbranch_execz .LBB92_66
; %bb.62:
	v_cmp_eq_u32_e32 vcc, 0, v23
	s_and_saveexec_b64 s[0:1], vcc
	s_cbranch_execz .LBB92_64
; %bb.63:
	v_mov_b32_e32 v4, 0xb0
	v_lshl_add_u32 v4, v24, 2, v4
	ds_write2_b32 v4, v2, v3 offset1:32
.LBB92_64:
	s_or_b64 exec, exec, s[0:1]
	v_or_b32_e32 v4, 64, v24
	s_movk_i32 s0, 0x50
	v_cmp_gt_u32_e64 s[0:1], s0, v4
	s_and_b64 s[0:1], vcc, s[0:1]
	s_and_b64 exec, exec, s[0:1]
	s_cbranch_execz .LBB92_66
; %bb.65:
	v_mov_b32_e32 v4, 0xb0
	v_lshl_add_u32 v4, v24, 2, v4
	ds_write_b32 v4, v1 offset:256
.LBB92_66:
	s_or_b64 exec, exec, s[2:3]
	v_cmp_gt_u32_e32 vcc, 64, v0
	v_lshrrev_b32_e32 v0, 1, v0
	s_waitcnt lgkmcnt(0)
	s_barrier
	s_and_saveexec_b64 s[8:9], vcc
	s_cbranch_execz .LBB92_74
; %bb.67:
	v_cmp_eq_u32_e64 s[0:1], 0, v23
	s_and_saveexec_b64 s[2:3], s[0:1]
	s_cbranch_execz .LBB92_69
; %bb.68:
	v_mov_b32_e32 v4, 0xb0
	v_lshl_add_u32 v4, v0, 2, v4
	ds_read_b32 v4, v4
	s_waitcnt lgkmcnt(0)
	v_add_f32_e32 v2, v2, v4
.LBB92_69:
	s_or_b64 exec, exec, s[2:3]
	s_and_saveexec_b64 s[2:3], s[0:1]
	s_cbranch_execz .LBB92_71
; %bb.70:
	v_mov_b32_e32 v4, 0xb0
	v_lshl_add_u32 v4, v0, 2, v4
	ds_read_b32 v4, v4 offset:128
	s_waitcnt lgkmcnt(0)
	v_add_f32_e32 v3, v3, v4
.LBB92_71:
	s_or_b64 exec, exec, s[2:3]
	v_or_b32_e32 v4, 64, v0
	s_movk_i32 s2, 0x50
	v_cmp_gt_u32_e64 s[2:3], s2, v4
	s_and_b64 s[2:3], s[0:1], s[2:3]
	s_and_saveexec_b64 s[0:1], s[2:3]
	s_cbranch_execz .LBB92_73
; %bb.72:
	v_mov_b32_e32 v4, 0xb0
	v_lshl_add_u32 v4, v0, 2, v4
	ds_read_b32 v4, v4 offset:256
	s_waitcnt lgkmcnt(0)
	v_add_f32_e32 v1, v1, v4
.LBB92_73:
	s_or_b64 exec, exec, s[0:1]
.LBB92_74:
	s_or_b64 exec, exec, s[8:9]
	s_barrier
	s_and_saveexec_b64 s[0:1], vcc
	s_cbranch_execz .LBB92_79
; %bb.75:
	s_mul_i32 s0, s6, 0x50
	s_ashr_i32 s1, s0, 31
	s_lshl_b64 s[0:1], s[0:1], 1
	s_add_u32 s2, s26, s0
	s_mul_i32 s0, s19, s24
	s_addc_u32 s3, s27, s1
	s_ashr_i32 s1, s0, 31
	s_lshl_b64 s[0:1], s[0:1], 1
	s_add_u32 s2, s2, s0
	s_mul_i32 s0, s4, 0x50
	s_addc_u32 s3, s3, s1
	s_ashr_i32 s1, s0, 31
	s_lshl_b64 s[0:1], s[0:1], 1
	s_add_u32 s2, s2, s0
	s_movk_i32 s5, 0x50
	s_addc_u32 s3, s3, s1
	v_cmp_eq_u32_e32 vcc, 0, v23
	v_lshlrev_b32_e32 v4, 1, v0
	s_and_saveexec_b64 s[0:1], vcc
	s_cbranch_execz .LBB92_77
; %bb.76:
	;;#ASMSTART
	v_cvt_f16_f32 v2, v2;

	;;#ASMEND
	global_store_short v4, v2, s[2:3]
	;;#ASMSTART
	v_cvt_f16_f32 v2, v3;

	;;#ASMEND
	global_store_short v4, v2, s[2:3] offset:64
.LBB92_77:
	s_or_b64 exec, exec, s[0:1]
	v_or_b32_e32 v0, 64, v0
	v_cmp_gt_u32_e64 s[0:1], s5, v0
	s_and_b64 s[0:1], vcc, s[0:1]
	s_and_b64 exec, exec, s[0:1]
	s_cbranch_execz .LBB92_79
; %bb.78:
	;;#ASMSTART
	v_cvt_f16_f32 v0, v1;

	;;#ASMEND
	global_store_short v4, v0, s[2:3] offset:128
.LBB92_79:
	s_endpgm
	.section	.rodata,"a",@progbits
	.p2align	6, 0x0
	.amdhsa_kernel _ZN4vllm25paged_attention_v2_kernelIttLi80ELi16ELi128ELNS_18Fp8KVCacheDataTypeE0ELb1ELi512EEEvPfS2_PT_PKS3_PKT0_S9_ifPKiSB_iPKfiiiSD_SD_iiiii
		.amdhsa_group_segment_fixed_size 176
		.amdhsa_private_segment_fixed_size 0
		.amdhsa_kernarg_size 400
		.amdhsa_user_sgpr_count 2
		.amdhsa_user_sgpr_dispatch_ptr 0
		.amdhsa_user_sgpr_queue_ptr 0
		.amdhsa_user_sgpr_kernarg_segment_ptr 1
		.amdhsa_user_sgpr_dispatch_id 0
		.amdhsa_user_sgpr_kernarg_preload_length 0
		.amdhsa_user_sgpr_kernarg_preload_offset 0
		.amdhsa_user_sgpr_private_segment_size 0
		.amdhsa_uses_dynamic_stack 0
		.amdhsa_enable_private_segment 0
		.amdhsa_system_sgpr_workgroup_id_x 1
		.amdhsa_system_sgpr_workgroup_id_y 1
		.amdhsa_system_sgpr_workgroup_id_z 1
		.amdhsa_system_sgpr_workgroup_info 0
		.amdhsa_system_vgpr_workitem_id 0
		.amdhsa_next_free_vgpr 55
		.amdhsa_next_free_sgpr 52
		.amdhsa_accum_offset 56
		.amdhsa_reserve_vcc 1
		.amdhsa_float_round_mode_32 0
		.amdhsa_float_round_mode_16_64 0
		.amdhsa_float_denorm_mode_32 3
		.amdhsa_float_denorm_mode_16_64 3
		.amdhsa_dx10_clamp 1
		.amdhsa_ieee_mode 1
		.amdhsa_fp16_overflow 0
		.amdhsa_tg_split 0
		.amdhsa_exception_fp_ieee_invalid_op 0
		.amdhsa_exception_fp_denorm_src 0
		.amdhsa_exception_fp_ieee_div_zero 0
		.amdhsa_exception_fp_ieee_overflow 0
		.amdhsa_exception_fp_ieee_underflow 0
		.amdhsa_exception_fp_ieee_inexact 0
		.amdhsa_exception_int_div_zero 0
	.end_amdhsa_kernel
	.section	.text._ZN4vllm25paged_attention_v2_kernelIttLi80ELi16ELi128ELNS_18Fp8KVCacheDataTypeE0ELb1ELi512EEEvPfS2_PT_PKS3_PKT0_S9_ifPKiSB_iPKfiiiSD_SD_iiiii,"axG",@progbits,_ZN4vllm25paged_attention_v2_kernelIttLi80ELi16ELi128ELNS_18Fp8KVCacheDataTypeE0ELb1ELi512EEEvPfS2_PT_PKS3_PKT0_S9_ifPKiSB_iPKfiiiSD_SD_iiiii,comdat
.Lfunc_end92:
	.size	_ZN4vllm25paged_attention_v2_kernelIttLi80ELi16ELi128ELNS_18Fp8KVCacheDataTypeE0ELb1ELi512EEEvPfS2_PT_PKS3_PKT0_S9_ifPKiSB_iPKfiiiSD_SD_iiiii, .Lfunc_end92-_ZN4vllm25paged_attention_v2_kernelIttLi80ELi16ELi128ELNS_18Fp8KVCacheDataTypeE0ELb1ELi512EEEvPfS2_PT_PKS3_PKT0_S9_ifPKiSB_iPKfiiiSD_SD_iiiii
                                        ; -- End function
	.section	.AMDGPU.csdata,"",@progbits
; Kernel info:
; codeLenInByte = 6324
; NumSgprs: 58
; NumVgprs: 55
; NumAgprs: 0
; TotalNumVgprs: 55
; ScratchSize: 0
; MemoryBound: 0
; FloatMode: 240
; IeeeMode: 1
; LDSByteSize: 176 bytes/workgroup (compile time only)
; SGPRBlocks: 7
; VGPRBlocks: 6
; NumSGPRsForWavesPerEU: 58
; NumVGPRsForWavesPerEU: 55
; AccumOffset: 56
; Occupancy: 8
; WaveLimiterHint : 1
; COMPUTE_PGM_RSRC2:SCRATCH_EN: 0
; COMPUTE_PGM_RSRC2:USER_SGPR: 2
; COMPUTE_PGM_RSRC2:TRAP_HANDLER: 0
; COMPUTE_PGM_RSRC2:TGID_X_EN: 1
; COMPUTE_PGM_RSRC2:TGID_Y_EN: 1
; COMPUTE_PGM_RSRC2:TGID_Z_EN: 1
; COMPUTE_PGM_RSRC2:TIDIG_COMP_CNT: 0
; COMPUTE_PGM_RSRC3_GFX90A:ACCUM_OFFSET: 13
; COMPUTE_PGM_RSRC3_GFX90A:TG_SPLIT: 0
	.section	.text._ZN4vllm25paged_attention_v2_kernelIttLi96ELi16ELi128ELNS_18Fp8KVCacheDataTypeE0ELb1ELi512EEEvPfS2_PT_PKS3_PKT0_S9_ifPKiSB_iPKfiiiSD_SD_iiiii,"axG",@progbits,_ZN4vllm25paged_attention_v2_kernelIttLi96ELi16ELi128ELNS_18Fp8KVCacheDataTypeE0ELb1ELi512EEEvPfS2_PT_PKS3_PKT0_S9_ifPKiSB_iPKfiiiSD_SD_iiiii,comdat
	.protected	_ZN4vllm25paged_attention_v2_kernelIttLi96ELi16ELi128ELNS_18Fp8KVCacheDataTypeE0ELb1ELi512EEEvPfS2_PT_PKS3_PKT0_S9_ifPKiSB_iPKfiiiSD_SD_iiiii ; -- Begin function _ZN4vllm25paged_attention_v2_kernelIttLi96ELi16ELi128ELNS_18Fp8KVCacheDataTypeE0ELb1ELi512EEEvPfS2_PT_PKS3_PKT0_S9_ifPKiSB_iPKfiiiSD_SD_iiiii
	.globl	_ZN4vllm25paged_attention_v2_kernelIttLi96ELi16ELi128ELNS_18Fp8KVCacheDataTypeE0ELb1ELi512EEEvPfS2_PT_PKS3_PKT0_S9_ifPKiSB_iPKfiiiSD_SD_iiiii
	.p2align	8
	.type	_ZN4vllm25paged_attention_v2_kernelIttLi96ELi16ELi128ELNS_18Fp8KVCacheDataTypeE0ELb1ELi512EEEvPfS2_PT_PKS3_PKT0_S9_ifPKiSB_iPKfiiiSD_SD_iiiii,@function
_ZN4vllm25paged_attention_v2_kernelIttLi96ELi16ELi128ELNS_18Fp8KVCacheDataTypeE0ELb1ELi512EEEvPfS2_PT_PKS3_PKT0_S9_ifPKiSB_iPKfiiiSD_SD_iiiii: ; @_ZN4vllm25paged_attention_v2_kernelIttLi96ELi16ELi128ELNS_18Fp8KVCacheDataTypeE0ELb1ELi512EEEvPfS2_PT_PKS3_PKT0_S9_ifPKiSB_iPKfiiiSD_SD_iiiii
; %bb.0:
	s_load_dwordx2 s[6:7], s[0:1], 0x40
	s_mov_b32 s28, s3
	s_ashr_i32 s29, s3, 31
	s_lshl_b64 s[8:9], s[28:29], 2
	s_waitcnt lgkmcnt(0)
	s_add_u32 s6, s6, s8
	s_addc_u32 s7, s7, s9
	s_load_dword s29, s[6:7], 0x0
	s_lshl_b32 s49, s4, 9
	s_waitcnt lgkmcnt(0)
	s_cmp_ge_i32 s49, s29
	s_cbranch_scc1 .LBB93_69
; %bb.1:
	s_load_dword s5, s[0:1], 0x90
	s_load_dwordx2 s[38:39], s[0:1], 0x30
	s_waitcnt lgkmcnt(0)
	s_abs_i32 s7, s5
	s_abs_i32 s3, s38
	v_cvt_f32_u32_e32 v1, s3
	s_sub_i32 s8, 0, s3
	s_xor_b32 s6, s5, s38
	s_ashr_i32 s6, s6, 31
	v_rcp_iflag_f32_e32 v1, v1
	s_nop 0
	v_mul_f32_e32 v1, 0x4f7ffffe, v1
	v_cvt_u32_f32_e32 v1, v1
	s_nop 0
	v_readfirstlane_b32 s9, v1
	s_mul_i32 s8, s8, s9
	s_mul_hi_u32 s8, s9, s8
	s_add_i32 s9, s9, s8
	s_mul_hi_u32 s8, s7, s9
	s_mul_i32 s9, s8, s3
	s_sub_i32 s7, s7, s9
	s_add_i32 s10, s8, 1
	s_sub_i32 s9, s7, s3
	s_cmp_ge_u32 s7, s3
	s_cselect_b32 s8, s10, s8
	s_cselect_b32 s7, s9, s7
	s_add_i32 s9, s8, 1
	s_cmp_ge_u32 s7, s3
	s_cselect_b32 s3, s9, s8
	s_xor_b32 s3, s3, s6
	s_sub_i32 s11, s3, s6
	s_abs_i32 s8, s11
	v_cvt_f32_u32_e32 v1, s8
	s_load_dwordx2 s[6:7], s[0:1], 0x50
	s_sub_i32 s10, 0, s8
	s_abs_i32 s9, s2
	v_rcp_iflag_f32_e32 v1, v1
	s_mov_b32 s3, 0
	v_mul_f32_e32 v1, 0x4f7ffffe, v1
	v_cvt_u32_f32_e32 v1, v1
	s_nop 0
	v_readfirstlane_b32 s12, v1
	s_mul_i32 s10, s10, s12
	s_mul_hi_u32 s10, s12, s10
	s_add_i32 s12, s12, s10
	s_waitcnt lgkmcnt(0)
	s_cmp_eq_u64 s[6:7], 0
	s_mul_hi_u32 s10, s9, s12
	s_cbranch_scc1 .LBB93_3
; %bb.2:
	s_ashr_i32 s3, s2, 31
	s_lshl_b64 s[12:13], s[2:3], 2
	s_add_u32 s6, s6, s12
	s_addc_u32 s7, s7, s13
	s_load_dword s3, s[6:7], 0x0
.LBB93_3:
	s_load_dwordx4 s[12:15], s[0:1], 0x58
	s_ashr_i32 s16, s2, 31
	s_ashr_i32 s11, s11, 31
	v_and_b32_e32 v4, 3, v0
	s_mul_i32 s24, s2, 0x60
	v_cmp_gt_u32_e32 vcc, 48, v0
	s_and_saveexec_b64 s[6:7], vcc
	s_cbranch_execz .LBB93_5
; %bb.4:
	s_load_dwordx2 s[18:19], s[0:1], 0x18
	s_waitcnt lgkmcnt(0)
	s_mul_i32 s20, s28, s12
	s_ashr_i32 s21, s20, 31
	s_lshl_b64 s[20:21], s[20:21], 1
	v_lshlrev_b32_e32 v1, 2, v0
	s_add_u32 s12, s18, s20
	s_addc_u32 s15, s19, s21
	s_ashr_i32 s25, s24, 31
	s_lshl_b64 s[18:19], s[24:25], 1
	s_add_u32 s18, s12, s18
	s_addc_u32 s19, s15, s19
	global_load_dword v1, v1, s[18:19]
	v_and_b32_e32 v2, 0x3fc, v0
	v_mad_u32_u24 v2, v4, 48, v2
	s_waitcnt vmcnt(0)
	ds_write_b32 v2, v1
.LBB93_5:
	s_or_b64 exec, exec, s[6:7]
	s_mul_i32 s7, s10, s8
	s_sub_i32 s7, s9, s7
	s_xor_b32 s6, s16, s11
	s_add_i32 s9, s10, 1
	s_sub_i32 s11, s7, s8
	s_load_dwordx4 s[16:19], s[0:1], 0x78
	s_cmp_ge_u32 s7, s8
	s_cselect_b32 s9, s9, s10
	s_cselect_b32 s7, s11, s7
	s_load_dword s11, s[0:1], 0x88
	s_add_i32 s10, s9, 1
	s_cmp_ge_u32 s7, s8
	s_cselect_b32 s7, s10, s9
	s_waitcnt lgkmcnt(0)
	s_abs_i32 s25, s19
	v_cvt_f32_u32_e32 v1, s25
	s_xor_b32 s7, s7, s6
	s_sub_i32 s10, s7, s6
	s_sub_i32 s6, 0, s25
	v_rcp_iflag_f32_e32 v1, v1
	s_add_i32 s12, s29, -1
	s_abs_i32 s8, s12
	v_mul_f32_e32 v1, 0x4f7ffffe, v1
	v_cvt_u32_f32_e32 v1, v1
	s_barrier
	v_readfirstlane_b32 s33, v1
	s_mul_i32 s6, s6, s33
	s_mul_hi_u32 s6, s33, s6
	s_add_i32 s33, s33, s6
	s_cmp_lt_i32 s11, 0
	s_mul_hi_u32 s9, s8, s33
	s_cbranch_scc0 .LBB93_7
; %bb.6:
	s_mul_i32 s6, s16, s38
	s_add_i32 s6, s10, s6
	s_mul_i32 s6, s6, s11
	s_sub_i32 s46, 1, s6
	s_mov_b64 s[6:7], 0
	s_branch .LBB93_8
.LBB93_7:
	s_mov_b64 s[6:7], -1
                                        ; implicit-def: $sgpr46
.LBB93_8:
	s_load_dwordx2 s[30:31], s[0:1], 0x38
	s_ashr_i32 s12, s12, 31
	s_andn2_b64 vcc, exec, s[6:7]
	s_ashr_i32 s19, s19, 31
	s_cbranch_vccnz .LBB93_10
; %bb.9:
	s_mul_i32 s6, s5, s16
	s_add_i32 s6, s6, s2
	s_mul_i32 s6, s6, s11
	s_add_i32 s46, s6, 1
.LBB93_10:
	s_load_dword s6, s[0:1], 0x48
	s_load_dwordx2 s[36:37], s[0:1], 0x28
	s_load_dword s16, s[0:1], 0x98
	s_load_dwordx4 s[20:23], s[0:1], 0x0
	s_load_dwordx2 s[26:27], s[0:1], 0x10
	s_mul_i32 s7, s9, s25
	s_waitcnt lgkmcnt(0)
	s_mul_i32 s34, s28, s6
	s_sub_i32 s7, s8, s7
	s_ashr_i32 s35, s34, 31
	s_xor_b32 s6, s12, s19
	s_add_i32 s8, s9, 1
	s_sub_i32 s11, s7, s25
	s_cmp_ge_u32 s7, s25
	s_cselect_b32 s8, s8, s9
	s_cselect_b32 s7, s11, s7
	s_add_i32 s9, s8, 1
	s_cmp_ge_u32 s7, s25
	s_cselect_b32 s7, s9, s8
	s_xor_b32 s7, s7, s6
	s_sub_i32 s48, s7, s6
	s_add_i32 s6, s29, 15
	s_ashr_i32 s7, s6, 31
	s_lshr_b32 s7, s7, 28
	s_add_i32 s6, s6, s7
	s_lshl_b32 s38, s4, 5
	s_ashr_i32 s12, s6, 4
	s_add_i32 s6, s38, 32
	v_lshrrev_b32_e32 v9, 6, v0
	s_min_i32 s47, s6, s12
	v_or_b32_e32 v10, s38, v9
	v_cmp_gt_i32_e64 s[8:9], s47, v10
	v_mov_b32_e32 v12, 0xff7fffff
	s_mul_i32 s14, s10, s14
	v_ashrrev_i32_e32 v11, 31, v10
	v_lshl_add_u32 v1, v9, 4, s49
	v_mbcnt_lo_u32_b32 v6, -1, 0
	s_and_saveexec_b64 s[40:41], s[8:9]
	s_cbranch_execz .LBB93_20
; %bb.11:
	s_load_dwordx2 s[0:1], s[0:1], 0x20
	s_ashr_i32 s15, s14, 31
	s_sub_i32 s50, s48, s17
	s_lshl_b64 s[6:7], s[14:15], 1
	v_bfe_u32 v7, v0, 2, 4
	s_waitcnt lgkmcnt(0)
	s_add_u32 s0, s0, s6
	s_addc_u32 s1, s1, s7
	s_abs_i32 s15, s18
	v_cvt_f32_u32_e32 v5, s15
	v_lshlrev_b32_e32 v2, 4, v7
	v_mov_b32_e32 v3, 0
	v_lshl_add_u64 v[12:13], s[0:1], 0, v[2:3]
	v_rcp_iflag_f32_e32 v5, v5
	v_lshlrev_b32_e32 v2, 2, v0
	v_and_b32_e32 v2, 12, v2
	v_lshl_add_u64 v[2:3], v[12:13], 0, v[2:3]
	v_mul_f32_e32 v5, 0x4f7ffffe, v5
	v_cvt_u32_f32_e32 v5, v5
	s_sub_i32 s0, 0, s15
	v_lshlrev_b32_e32 v12, 2, v7
	v_cmp_eq_u32_e32 vcc, 0, v4
	v_mul_u32_u24_e32 v8, 48, v4
	v_mul_lo_u32 v4, s0, v5
	s_lshl_b64 s[0:1], s[34:35], 2
	v_lshl_or_b32 v12, v9, 6, v12
	s_add_u32 s0, s30, s0
	v_add_u32_e32 v15, 0xd0, v12
	v_subrev_u32_e32 v12, s29, v7
	v_mbcnt_hi_u32_b32 v18, -1, v6
	v_mul_hi_u32 v4, v5, v4
	s_addc_u32 s1, s31, s1
	v_add_u32_e32 v16, 1, v12
	v_and_b32_e32 v12, 64, v18
	s_mov_b32 s51, s13
	v_cmp_neq_f32_e64 s[6:7], s3, 0
	v_add_u32_e32 v13, v5, v4
	v_lshl_add_u64 v[4:5], v[10:11], 2, s[0:1]
	v_lshl_add_u32 v14, v9, 4, s49
	s_mov_b64 s[42:43], 0
	v_mov_b32_e32 v17, 0xff7fffff
	v_add_u32_e32 v19, 64, v12
	v_xor_b32_e32 v20, 2, v18
	v_xor_b32_e32 v21, 1, v18
	v_mov_b32_e32 v12, 0xff7fffff
	v_mov_b32_e32 v22, v10
	s_branch .LBB93_14
.LBB93_12:                              ;   in Loop: Header=BB93_14 Depth=1
	s_or_b64 exec, exec, s[44:45]
.LBB93_13:                              ;   in Loop: Header=BB93_14 Depth=1
	s_or_b64 exec, exec, s[10:11]
	v_add_u32_e32 v22, 2, v22
	v_cmp_le_i32_e64 s[0:1], s47, v22
	v_lshl_add_u64 v[4:5], v[4:5], 0, 8
	v_add_u32_e32 v14, 32, v14
	s_or_b64 s[42:43], s[0:1], s[42:43]
	v_add_u32_e32 v15, 0x80, v15
	s_andn2_b64 exec, exec, s[42:43]
	s_cbranch_execz .LBB93_19
.LBB93_14:                              ; =>This Inner Loop Header: Depth=1
	s_waitcnt lgkmcnt(0)
	v_sub_u32_e32 v24, 0, v14
	v_max_i32_e32 v24, v14, v24
	v_mul_hi_u32 v25, v24, s33
	v_mul_lo_u32 v26, v25, s25
	v_sub_u32_e32 v24, v24, v26
	v_add_u32_e32 v26, 1, v25
	v_cmp_le_u32_e64 s[0:1], s25, v24
	v_ashrrev_i32_e32 v23, 31, v14
	v_xor_b32_e32 v23, s19, v23
	v_cndmask_b32_e64 v25, v25, v26, s[0:1]
	v_subrev_u32_e32 v26, s25, v24
	v_cndmask_b32_e64 v24, v24, v26, s[0:1]
	v_add_u32_e32 v26, 1, v25
	v_cmp_le_u32_e64 s[0:1], s25, v24
	s_nop 1
	v_cndmask_b32_e64 v24, v25, v26, s[0:1]
	v_xor_b32_e32 v24, v24, v23
	v_sub_u32_e32 v23, v24, v23
	v_add_u32_e32 v24, s46, v23
	v_sub_u32_e32 v26, 0, v24
	v_ashrrev_i32_e32 v25, 31, v24
	v_max_i32_e32 v24, v24, v26
	v_mul_hi_u32 v26, v24, v13
	v_mul_lo_u32 v26, v26, s15
	v_sub_u32_e32 v24, v24, v26
	v_subrev_u32_e32 v26, s15, v24
	v_cmp_le_u32_e64 s[0:1], s15, v24
	v_cmp_ge_i32_e64 s[10:11], s50, v23
	s_nop 0
	v_cndmask_b32_e64 v24, v24, v26, s[0:1]
	v_subrev_u32_e32 v26, s15, v24
	v_cmp_le_u32_e64 s[0:1], s15, v24
	s_nop 1
	v_cndmask_b32_e64 v24, v24, v26, s[0:1]
	v_xor_b32_e32 v24, v24, v25
	v_sub_u32_e32 v24, v24, v25
	v_cmp_ne_u32_e64 s[0:1], 0, v24
	s_and_b64 s[0:1], s[0:1], s[10:11]
	s_and_b64 s[44:45], vcc, s[0:1]
	s_and_saveexec_b64 s[10:11], s[44:45]
	s_cbranch_execz .LBB93_16
; %bb.15:                               ;   in Loop: Header=BB93_14 Depth=1
	ds_write_b32 v15, v17
.LBB93_16:                              ;   in Loop: Header=BB93_14 Depth=1
	s_or_b64 exec, exec, s[10:11]
	s_xor_b64 s[0:1], s[0:1], -1
	s_and_saveexec_b64 s[10:11], s[0:1]
	s_cbranch_execz .LBB93_13
; %bb.17:                               ;   in Loop: Header=BB93_14 Depth=1
	global_load_dword v23, v[4:5], off
	s_waitcnt vmcnt(0)
	v_mad_i64_i32 v[24:25], s[0:1], v23, s51, 0
	v_lshl_add_u64 v[24:25], v[24:25], 1, v[2:3]
	global_load_dword v23, v[24:25], off
	global_load_dword v26, v[24:25], off offset:256
	global_load_dword v27, v[24:25], off offset:512
	;; [unrolled: 1-line block ×11, first 2 shown]
	ds_read_b32 v24, v8
	v_cmp_lt_i32_e64 s[0:1], v20, v19
	s_waitcnt lgkmcnt(0)
	v_lshrrev_b32_e32 v37, 16, v24
	v_and_b32_e32 v24, 0xffff, v24
	;;#ASMSTART
	v_cvt_f32_f16 v24, v24;
	;;#ASMEND
	;;#ASMSTART
	v_cvt_f32_f16 v37, v37;
	;;#ASMEND
	v_cndmask_b32_e64 v25, v18, v20, s[0:1]
	v_lshlrev_b32_e32 v25, 2, v25
	v_cmp_lt_i32_e64 s[0:1], v21, v19
	s_waitcnt vmcnt(11)
	v_lshrrev_b32_e32 v38, 16, v23
	v_and_b32_e32 v23, 0xffff, v23
	;;#ASMSTART
	v_cvt_f32_f16 v23, v23;
	;;#ASMEND
	;;#ASMSTART
	v_cvt_f32_f16 v38, v38;
	;;#ASMEND
	ds_read_b32 v39, v8 offset:4
	s_waitcnt vmcnt(10)
	v_lshrrev_b32_e32 v40, 16, v26
	v_and_b32_e32 v26, 0xffff, v26
	s_waitcnt vmcnt(9)
	v_lshrrev_b32_e32 v41, 16, v27
	v_and_b32_e32 v27, 0xffff, v27
	s_waitcnt lgkmcnt(0)
	v_lshrrev_b32_e32 v42, 16, v39
	v_and_b32_e32 v39, 0xffff, v39
	;;#ASMSTART
	v_cvt_f32_f16 v39, v39;
	;;#ASMEND
	;;#ASMSTART
	v_cvt_f32_f16 v42, v42;
	;;#ASMEND
	;;#ASMSTART
	v_cvt_f32_f16 v26, v26;
	;;#ASMEND
	;;#ASMSTART
	v_cvt_f32_f16 v40, v40;
	;;#ASMEND
	ds_read_b32 v43, v8 offset:8
	s_waitcnt vmcnt(8)
	v_lshrrev_b32_e32 v44, 16, v28
	v_and_b32_e32 v28, 0xffff, v28
	s_waitcnt vmcnt(7)
	v_lshrrev_b32_e32 v45, 16, v29
	v_and_b32_e32 v29, 0xffff, v29
	s_waitcnt lgkmcnt(0)
	v_lshrrev_b32_e32 v46, 16, v43
	v_and_b32_e32 v43, 0xffff, v43
	;;#ASMSTART
	v_cvt_f32_f16 v43, v43;
	;;#ASMEND
	;;#ASMSTART
	v_cvt_f32_f16 v46, v46;
	;;#ASMEND
	;; [unrolled: 22-line block ×3, first 2 shown]
	;;#ASMSTART
	v_cvt_f32_f16 v28, v28;
	;;#ASMEND
	;;#ASMSTART
	v_cvt_f32_f16 v44, v44;
	;;#ASMEND
	ds_read_b32 v51, v8 offset:16
	v_mul_f32_e32 v26, v39, v26
	v_mul_f32_e32 v39, v42, v40
	s_waitcnt vmcnt(4)
	v_lshrrev_b32_e32 v52, 16, v32
	v_and_b32_e32 v32, 0xffff, v32
	s_waitcnt lgkmcnt(0)
	v_lshrrev_b32_e32 v54, 16, v51
	v_and_b32_e32 v51, 0xffff, v51
	;;#ASMSTART
	v_cvt_f32_f16 v51, v51;
	;;#ASMEND
	;;#ASMSTART
	v_cvt_f32_f16 v54, v54;
	;;#ASMEND
	;; [unrolled: 3-line block ×4, first 2 shown]
	ds_read_b32 v55, v8 offset:20
	v_fmac_f32_e32 v26, v24, v23
	v_fmac_f32_e32 v39, v37, v38
	v_fmac_f32_e32 v26, v43, v27
	v_fmac_f32_e32 v26, v47, v28
	s_waitcnt lgkmcnt(0)
	v_lshrrev_b32_e32 v58, 16, v55
	v_and_b32_e32 v55, 0xffff, v55
	;;#ASMSTART
	v_cvt_f32_f16 v55, v55;
	;;#ASMEND
	;;#ASMSTART
	v_cvt_f32_f16 v58, v58;
	;;#ASMEND
	;; [unrolled: 3-line block ×4, first 2 shown]
	ds_read_b32 v59, v8 offset:24
	s_waitcnt vmcnt(3)
	v_lshrrev_b32_e32 v53, 16, v33
	v_and_b32_e32 v33, 0xffff, v33
	v_fmac_f32_e32 v26, v51, v29
	v_fmac_f32_e32 v39, v46, v41
	s_waitcnt lgkmcnt(0)
	v_lshrrev_b32_e32 v40, 16, v59
	v_and_b32_e32 v42, 0xffff, v59
	;;#ASMSTART
	v_cvt_f32_f16 v42, v42;
	;;#ASMEND
	;;#ASMSTART
	v_cvt_f32_f16 v40, v40;
	;;#ASMEND
	;; [unrolled: 3-line block ×4, first 2 shown]
	ds_read_b32 v59, v8 offset:28
	v_fmac_f32_e32 v39, v50, v44
	v_fmac_f32_e32 v39, v54, v45
	;; [unrolled: 1-line block ×3, first 2 shown]
	s_waitcnt vmcnt(2)
	v_lshrrev_b32_e32 v56, 16, v34
	s_waitcnt lgkmcnt(0)
	v_lshrrev_b32_e32 v23, 16, v59
	v_and_b32_e32 v24, 0xffff, v59
	;;#ASMSTART
	v_cvt_f32_f16 v24, v24;
	;;#ASMEND
	;;#ASMSTART
	v_cvt_f32_f16 v23, v23;
	;;#ASMEND
	;; [unrolled: 3-line block ×4, first 2 shown]
	ds_read_b32 v37, v8 offset:32
	v_and_b32_e32 v34, 0xffff, v34
	v_fmac_f32_e32 v39, v58, v48
	v_fmac_f32_e32 v26, v42, v31
	;; [unrolled: 1-line block ×3, first 2 shown]
	s_waitcnt lgkmcnt(0)
	v_lshrrev_b32_e32 v28, 16, v37
	v_and_b32_e32 v29, 0xffff, v37
	;;#ASMSTART
	v_cvt_f32_f16 v29, v29;
	;;#ASMEND
	;;#ASMSTART
	v_cvt_f32_f16 v28, v28;
	;;#ASMEND
	;; [unrolled: 3-line block ×4, first 2 shown]
	ds_read_b32 v38, v8 offset:36
	v_fmac_f32_e32 v26, v24, v27
	v_fmac_f32_e32 v39, v23, v32
	s_waitcnt vmcnt(1)
	v_lshrrev_b32_e32 v57, 16, v35
	v_and_b32_e32 v35, 0xffff, v35
	s_waitcnt lgkmcnt(0)
	v_lshrrev_b32_e32 v30, 16, v38
	v_and_b32_e32 v31, 0xffff, v38
	;;#ASMSTART
	v_cvt_f32_f16 v31, v31;
	;;#ASMEND
	;;#ASMSTART
	v_cvt_f32_f16 v30, v30;
	;;#ASMEND
	;; [unrolled: 3-line block ×4, first 2 shown]
	ds_read_b32 v40, v8 offset:40
	v_fmac_f32_e32 v26, v29, v33
	v_fmac_f32_e32 v39, v28, v37
	v_fmac_f32_e32 v26, v31, v34
	v_fmac_f32_e32 v39, v30, v38
	s_waitcnt lgkmcnt(0)
	v_lshrrev_b32_e32 v23, 16, v40
	v_and_b32_e32 v24, 0xffff, v40
	;;#ASMSTART
	v_cvt_f32_f16 v24, v24;
	;;#ASMEND
	;;#ASMSTART
	v_cvt_f32_f16 v23, v23;
	;;#ASMEND
	;; [unrolled: 3-line block ×4, first 2 shown]
	ds_read_b32 v29, v8 offset:44
	v_fmac_f32_e32 v26, v24, v27
	v_fmac_f32_e32 v39, v23, v28
	s_waitcnt vmcnt(0)
	v_lshrrev_b32_e32 v60, 16, v36
	v_and_b32_e32 v36, 0xffff, v36
	s_waitcnt lgkmcnt(0)
	v_lshrrev_b32_e32 v23, 16, v29
	v_and_b32_e32 v24, 0xffff, v29
	;;#ASMSTART
	v_cvt_f32_f16 v24, v24;
	;;#ASMEND
	;;#ASMSTART
	v_cvt_f32_f16 v23, v23;
	;;#ASMEND
	;; [unrolled: 3-line block ×4, first 2 shown]
	s_nop 0
	v_fmac_f32_e32 v26, v24, v27
	v_fmac_f32_e32 v39, v23, v28
	v_add_f32_e32 v23, v26, v39
	ds_bpermute_b32 v24, v25, v23
	v_cndmask_b32_e64 v25, v18, v21, s[0:1]
	s_waitcnt lgkmcnt(0)
	v_add_f32_e32 v23, v23, v24
	v_lshlrev_b32_e32 v24, 2, v25
	ds_bpermute_b32 v24, v24, v23
	s_and_saveexec_b64 s[44:45], vcc
	s_cbranch_execz .LBB93_12
; %bb.18:                               ;   in Loop: Header=BB93_14 Depth=1
	v_add_u32_e32 v25, v16, v14
	v_cvt_f32_i32_e32 v25, v25
	s_waitcnt lgkmcnt(0)
	v_add_f32_e32 v23, v23, v24
	v_add_u32_e32 v26, v7, v14
	v_cmp_gt_i32_e64 s[0:1], s29, v26
	v_mul_f32_e32 v24, s3, v25
	v_cndmask_b32_e64 v24, 0, v24, s[6:7]
	v_fmac_f32_e32 v24, s39, v23
	v_cndmask_b32_e64 v23, 0, v24, s[0:1]
	ds_write_b32 v15, v23
	v_max_f32_e32 v23, v12, v12
	v_max_f32_e32 v23, v23, v24
	v_cndmask_b32_e64 v12, v12, v23, s[0:1]
	s_branch .LBB93_12
.LBB93_19:
	s_or_b64 exec, exec, s[42:43]
.LBB93_20:
	s_or_b64 exec, exec, s[40:41]
	v_mbcnt_hi_u32_b32 v2, -1, v6
	v_and_b32_e32 v3, 64, v2
	v_add_u32_e32 v3, 64, v3
	v_xor_b32_e32 v4, 32, v2
	v_cmp_lt_i32_e32 vcc, v4, v3
	v_xor_b32_e32 v7, 16, v2
	v_max_f32_e32 v6, v12, v12
	v_cndmask_b32_e32 v4, v2, v4, vcc
	v_lshlrev_b32_e32 v5, 2, v4
	ds_bpermute_b32 v4, v5, v12
	v_cmp_lt_i32_e32 vcc, v7, v3
	v_xor_b32_e32 v8, 8, v2
	v_and_b32_e32 v18, 63, v0
	s_waitcnt lgkmcnt(0)
	v_max_f32_e32 v4, v4, v4
	v_max_f32_e32 v4, v6, v4
	v_cndmask_b32_e32 v6, v2, v7, vcc
	v_lshlrev_b32_e32 v6, 2, v6
	ds_bpermute_b32 v7, v6, v4
	v_cmp_lt_i32_e32 vcc, v8, v3
	s_waitcnt lgkmcnt(0)
	v_max_f32_e32 v7, v7, v7
	v_max_f32_e32 v4, v4, v7
	v_cndmask_b32_e32 v7, v2, v8, vcc
	v_lshlrev_b32_e32 v12, 2, v7
	ds_bpermute_b32 v7, v12, v4
	v_xor_b32_e32 v8, 4, v2
	v_cmp_lt_i32_e32 vcc, v8, v3
	s_waitcnt lgkmcnt(0)
	v_max_f32_e32 v7, v7, v7
	v_max_f32_e32 v4, v4, v7
	v_cndmask_b32_e32 v7, v2, v8, vcc
	v_lshlrev_b32_e32 v13, 2, v7
	ds_bpermute_b32 v8, v13, v4
	v_cmp_eq_u32_e32 vcc, 0, v18
	v_lshlrev_b32_e32 v7, 2, v9
	s_and_saveexec_b64 s[0:1], vcc
	s_cbranch_execz .LBB93_22
; %bb.21:
	s_waitcnt lgkmcnt(0)
	v_max_f32_e32 v8, v8, v8
	v_max_f32_e32 v4, v4, v4
	;; [unrolled: 1-line block ×3, first 2 shown]
	ds_write_b32 v7, v4 offset:192
.LBB93_22:
	s_or_b64 exec, exec, s[0:1]
	v_cmp_gt_u32_e64 s[0:1], 2, v18
	v_mov_b32_e32 v4, 0xff7fffff
	s_waitcnt lgkmcnt(0)
	v_lshlrev_b32_e32 v8, 2, v18
	s_barrier
	s_and_saveexec_b64 s[6:7], s[0:1]
	s_cbranch_execz .LBB93_24
; %bb.23:
	ds_read_b32 v4, v8 offset:192
.LBB93_24:
	s_or_b64 exec, exec, s[6:7]
	v_xor_b32_e32 v14, 1, v2
	v_cmp_lt_i32_e64 s[6:7], v14, v3
	s_sub_i32 s3, s47, s38
	s_lshl_b32 s3, s3, 4
	v_cndmask_b32_e64 v14, v2, v14, s[6:7]
	v_lshlrev_b32_e32 v19, 2, v14
	s_waitcnt lgkmcnt(0)
	ds_bpermute_b32 v14, v19, v4
	v_max_f32_e32 v4, v4, v4
	s_add_i32 s3, s3, s49
	s_min_i32 s15, s3, s29
	s_sub_i32 s3, s15, s49
	s_waitcnt lgkmcnt(0)
	v_max_f32_e32 v14, v14, v14
	v_max_f32_e32 v4, v4, v14
	v_lshlrev_b32_e32 v14, 2, v2
	v_and_b32_e32 v14, 0x100, v14
	ds_bpermute_b32 v4, v14, v4
	v_cmp_gt_i32_e64 s[6:7], s3, v0
	v_mov_b32_e32 v15, 0
	s_and_saveexec_b64 s[38:39], s[6:7]
	s_cbranch_execz .LBB93_28
; %bb.25:
	v_mov_b32_e32 v15, 0xd0
	v_lshl_add_u32 v16, v0, 2, v15
	s_mov_b64 s[40:41], 0
	v_mov_b32_e32 v15, 0
	v_mov_b32_e32 v17, v0
.LBB93_26:                              ; =>This Inner Loop Header: Depth=1
	ds_read_b32 v20, v16
	v_add_u32_e32 v17, 0x80, v17
	v_cmp_le_i32_e64 s[10:11], s3, v17
	s_or_b64 s[40:41], s[10:11], s[40:41]
	s_waitcnt lgkmcnt(0)
	v_sub_f32_e32 v20, v20, v4
	v_mul_f32_e32 v20, 0x3fb8aa3b, v20
	v_exp_f32_e32 v20, v20
	ds_write_b32 v16, v20
	v_add_f32_e32 v15, v15, v20
	v_add_u32_e32 v16, 0x200, v16
	s_andn2_b64 exec, exec, s[40:41]
	s_cbranch_execnz .LBB93_26
; %bb.27:
	s_or_b64 exec, exec, s[40:41]
.LBB93_28:
	s_or_b64 exec, exec, s[38:39]
	ds_bpermute_b32 v5, v5, v15
	s_waitcnt lgkmcnt(0)
	v_add_f32_e32 v5, v15, v5
	ds_bpermute_b32 v6, v6, v5
	s_waitcnt lgkmcnt(0)
	v_add_f32_e32 v5, v5, v6
	ds_bpermute_b32 v6, v12, v5
	v_xor_b32_e32 v12, 2, v2
	v_cmp_lt_i32_e64 s[10:11], v12, v3
	s_waitcnt lgkmcnt(0)
	v_add_f32_e32 v5, v5, v6
	ds_bpermute_b32 v6, v13, v5
	v_cndmask_b32_e64 v2, v2, v12, s[10:11]
	v_lshlrev_b32_e32 v2, 2, v2
	s_waitcnt lgkmcnt(0)
	v_add_f32_e32 v3, v5, v6
	ds_bpermute_b32 v2, v2, v3
	s_waitcnt lgkmcnt(0)
	v_add_f32_e32 v2, v3, v2
	ds_bpermute_b32 v3, v19, v2
	s_waitcnt lgkmcnt(0)
	v_add_f32_e32 v2, v2, v3
	s_and_saveexec_b64 s[10:11], vcc
	s_cbranch_execz .LBB93_30
; %bb.29:
	ds_write_b32 v7, v2 offset:200
.LBB93_30:
	s_or_b64 exec, exec, s[10:11]
	s_waitcnt lgkmcnt(0)
	s_barrier
	s_and_saveexec_b64 s[10:11], s[0:1]
	s_cbranch_execz .LBB93_32
; %bb.31:
	ds_read_b32 v2, v8 offset:200
.LBB93_32:
	s_or_b64 exec, exec, s[10:11]
	s_waitcnt lgkmcnt(0)
	ds_bpermute_b32 v3, v19, v2
	s_waitcnt lgkmcnt(0)
	v_add_f32_e32 v2, v2, v3
	ds_bpermute_b32 v5, v14, v2
	s_and_saveexec_b64 s[0:1], s[6:7]
	s_cbranch_execz .LBB93_45
; %bb.33:
	s_waitcnt lgkmcnt(0)
	v_add_f32_e32 v2, 0x358637bd, v5
	v_div_scale_f32 v3, s[6:7], v2, v2, 1.0
	v_rcp_f32_e32 v6, v3
	v_div_scale_f32 v7, vcc, 1.0, v2, 1.0
	s_movk_i32 s6, 0x7f
	v_fma_f32 v8, -v3, v6, 1.0
	v_fmac_f32_e32 v6, v8, v6
	v_mul_f32_e32 v8, v7, v6
	v_fma_f32 v12, -v3, v8, v7
	v_fmac_f32_e32 v8, v12, v6
	v_fma_f32 v3, -v3, v8, v7
	v_div_fmas_f32 v3, v3, v6, v8
	v_div_fixup_f32 v2, v3, v2, 1.0
	v_xad_u32 v3, v0, -1, s15
	v_subrev_u32_e32 v6, s49, v3
	v_cmp_lt_u32_e32 vcc, s6, v6
	s_mov_b64 s[10:11], -1
	v_mov_b32_e32 v3, v0
	s_and_saveexec_b64 s[6:7], vcc
	s_cbranch_execz .LBB93_42
; %bb.34:
	v_lshrrev_b32_e32 v6, 7, v6
	v_add_u32_e32 v8, -1, v6
	v_lshrrev_b32_e32 v7, 1, v8
	v_mov_b32_e32 v3, v2
	v_add_u32_e32 v7, 1, v7
	v_cmp_lt_u32_e32 vcc, 13, v8
	v_mov_b32_e32 v13, 0
	s_and_saveexec_b64 s[10:11], vcc
	s_cbranch_execz .LBB93_38
; %bb.35:
	v_mov_b32_e32 v12, 0xd0
	v_and_b32_e32 v8, -8, v7
	v_lshl_add_u32 v12, v0, 2, v12
	s_mov_b32 s15, 0
	s_mov_b64 s[38:39], 0
.LBB93_36:                              ; =>This Inner Loop Header: Depth=1
	ds_read2st64_b32 v[14:15], v12 offset1:2
	ds_read2st64_b32 v[16:17], v12 offset0:4 offset1:6
	ds_read2st64_b32 v[20:21], v12 offset0:8 offset1:10
	;; [unrolled: 1-line block ×3, first 2 shown]
	v_add_u32_e32 v8, -8, v8
	s_waitcnt lgkmcnt(3)
	v_pk_mul_f32 v[14:15], v[2:3], v[14:15]
	s_waitcnt lgkmcnt(2)
	v_pk_mul_f32 v[16:17], v[2:3], v[16:17]
	ds_write2st64_b32 v12, v14, v15 offset1:2
	ds_write2st64_b32 v12, v16, v17 offset0:4 offset1:6
	ds_read2st64_b32 v[16:17], v12 offset0:16 offset1:18
	s_waitcnt lgkmcnt(4)
	v_pk_mul_f32 v[14:15], v[2:3], v[20:21]
	ds_write2st64_b32 v12, v14, v15 offset0:8 offset1:10
	s_waitcnt lgkmcnt(4)
	v_pk_mul_f32 v[14:15], v[2:3], v[22:23]
	ds_write2st64_b32 v12, v14, v15 offset0:12 offset1:14
	ds_read2st64_b32 v[14:15], v12 offset0:20 offset1:22
	s_waitcnt lgkmcnt(3)
	v_pk_mul_f32 v[16:17], v[2:3], v[16:17]
	ds_read2st64_b32 v[20:21], v12 offset0:24 offset1:26
	ds_write2st64_b32 v12, v16, v17 offset0:16 offset1:18
	ds_read2st64_b32 v[16:17], v12 offset0:28 offset1:30
	s_waitcnt lgkmcnt(3)
	v_pk_mul_f32 v[14:15], v[2:3], v[14:15]
	ds_write2st64_b32 v12, v14, v15 offset0:20 offset1:22
	s_waitcnt lgkmcnt(3)
	v_pk_mul_f32 v[14:15], v[2:3], v[20:21]
	ds_write2st64_b32 v12, v14, v15 offset0:24 offset1:26
	s_waitcnt lgkmcnt(2)
	v_pk_mul_f32 v[14:15], v[2:3], v[16:17]
	s_add_i32 s15, s15, 16
	v_cmp_eq_u32_e32 vcc, 0, v8
	ds_write2st64_b32 v12, v14, v15 offset0:28 offset1:30
	v_add_u32_e32 v12, 0x2000, v12
	s_or_b64 s[38:39], vcc, s[38:39]
	v_mov_b32_e32 v13, s15
	s_andn2_b64 exec, exec, s[38:39]
	s_cbranch_execnz .LBB93_36
; %bb.37:
	s_or_b64 exec, exec, s[38:39]
.LBB93_38:
	s_or_b64 exec, exec, s[10:11]
	v_and_b32_e32 v7, 7, v7
	v_cmp_ne_u32_e32 vcc, 0, v7
	s_and_saveexec_b64 s[10:11], vcc
	s_cbranch_execz .LBB93_41
; %bb.39:
	v_lshlrev_b32_e32 v8, 9, v13
	v_lshlrev_b32_e32 v12, 2, v0
	s_movk_i32 s15, 0xd0
	v_add3_u32 v8, v8, v12, s15
	s_mov_b64 s[38:39], 0
.LBB93_40:                              ; =>This Inner Loop Header: Depth=1
	ds_read2st64_b32 v[12:13], v8 offset1:2
	v_add_u32_e32 v7, -1, v7
	v_cmp_eq_u32_e32 vcc, 0, v7
	s_or_b64 s[38:39], vcc, s[38:39]
	s_waitcnt lgkmcnt(0)
	v_pk_mul_f32 v[12:13], v[2:3], v[12:13]
	ds_write2st64_b32 v8, v12, v13 offset1:2
	v_add_u32_e32 v8, 0x400, v8
	s_andn2_b64 exec, exec, s[38:39]
	s_cbranch_execnz .LBB93_40
.LBB93_41:
	s_or_b64 exec, exec, s[10:11]
	v_add_u32_e32 v6, 1, v6
	v_and_b32_e32 v7, 0x3fffffe, v6
	v_cmp_ne_u32_e32 vcc, v6, v7
	v_lshl_add_u32 v3, v7, 7, v0
	s_orn2_b64 s[10:11], vcc, exec
.LBB93_42:
	s_or_b64 exec, exec, s[6:7]
	s_and_b64 exec, exec, s[10:11]
	s_cbranch_execz .LBB93_45
; %bb.43:
	v_mov_b32_e32 v6, 0xd0
	v_lshl_add_u32 v6, v3, 2, v6
	s_mov_b64 s[6:7], 0
.LBB93_44:                              ; =>This Inner Loop Header: Depth=1
	ds_read_b32 v7, v6
	v_add_u32_e32 v3, 0x80, v3
	v_cmp_le_i32_e32 vcc, s3, v3
	s_or_b64 s[6:7], vcc, s[6:7]
	s_waitcnt lgkmcnt(0)
	v_mul_f32_e32 v7, v2, v7
	ds_write_b32 v6, v7
	v_add_u32_e32 v6, 0x200, v6
	s_andn2_b64 exec, exec, s[6:7]
	s_cbranch_execnz .LBB93_44
.LBB93_45:
	s_or_b64 exec, exec, s[0:1]
	s_mul_i32 s0, s16, s28
	v_cmp_eq_u32_e32 vcc, 0, v0
	s_mul_i32 s6, s0, s5
	s_waitcnt lgkmcnt(0)
	s_barrier
	s_and_saveexec_b64 s[0:1], vcc
	s_cbranch_execz .LBB93_47
; %bb.46:
	s_ashr_i32 s7, s6, 31
	s_lshl_b64 s[10:11], s[6:7], 2
	s_add_u32 s5, s22, s10
	s_mul_i32 s2, s16, s2
	s_addc_u32 s7, s23, s11
	s_ashr_i32 s3, s2, 31
	s_lshl_b64 s[2:3], s[2:3], 2
	s_add_u32 s15, s5, s2
	s_addc_u32 s7, s7, s3
	s_ashr_i32 s5, s4, 31
	s_lshl_b64 s[22:23], s[4:5], 2
	s_add_u32 s38, s15, s22
	s_addc_u32 s39, s7, s23
	s_add_u32 s5, s20, s10
	s_addc_u32 s7, s21, s11
	;; [unrolled: 2-line block ×3, first 2 shown]
	s_add_u32 s2, s2, s22
	v_mov_b32_e32 v2, 0
	s_addc_u32 s3, s3, s23
	global_store_dword v2, v4, s[38:39]
	global_store_dword v2, v5, s[2:3]
.LBB93_47:
	s_or_b64 exec, exec, s[0:1]
	v_mov_b32_e32 v8, 0
	v_and_b32_e32 v20, 1, v0
	v_mov_b32_e32 v7, 0
	v_mov_b32_e32 v6, 0
	s_and_saveexec_b64 s[2:3], s[8:9]
	s_cbranch_execz .LBB93_59
; %bb.48:
	s_ashr_i32 s15, s14, 31
	s_sub_i32 s5, s48, s17
	s_lshl_b64 s[0:1], s[14:15], 1
	s_add_u32 s0, s36, s0
	v_lshlrev_b32_e32 v2, 3, v0
	s_addc_u32 s1, s37, s1
	s_abs_i32 s14, s18
	v_and_b32_e32 v21, 8, v2
	v_cvt_f32_u32_e32 v2, s14
	s_sub_i32 s8, 0, s14
	s_add_i32 s15, s12, -1
	s_mov_b32 s36, 0
	v_rcp_iflag_f32_e32 v2, v2
	s_mov_b32 s37, s36
	s_mov_b32 s38, s36
	v_mov_b32_e32 v6, s36
	v_mul_f32_e32 v2, 0x4f7ffffe, v2
	v_cvt_u32_f32_e32 v2, v2
	s_mov_b32 s7, s13
	s_mov_b32 s17, s29
	;; [unrolled: 1-line block ×3, first 2 shown]
	v_mul_lo_u32 v3, s8, v2
	v_mul_hi_u32 v3, v2, v3
	v_add_u32_e32 v22, v2, v3
	v_lshlrev_b32_e32 v2, 4, v0
	v_mov_b32_e32 v3, 0
	v_and_b32_e32 v2, 0x3f0, v2
	v_lshl_add_u64 v[12:13], s[0:1], 0, v[2:3]
	s_lshl_b64 s[0:1], s[34:35], 2
	s_add_u32 s0, s30, s0
	v_lshlrev_b32_e32 v2, 5, v20
	s_addc_u32 s1, s31, s1
	v_lshl_or_b32 v2, v9, 6, v2
	s_mov_b32 s20, s29
	s_mov_b32 s21, s29
	;; [unrolled: 1-line block ×5, first 2 shown]
	v_lshl_add_u64 v[14:15], v[10:11], 2, s[0:1]
	v_add_u32_e32 v9, 0xd0, v2
	s_mov_b64 s[8:9], 0
	v_mov_b32_e32 v7, s37
	v_mov_b32_e32 v8, s38
	s_mov_b32 s30, 0x5040100
	s_branch .LBB93_51
.LBB93_49:                              ;   in Loop: Header=BB93_51 Depth=1
	s_or_b64 exec, exec, s[0:1]
	s_waitcnt vmcnt(0)
	;;#ASMSTART
	v_pk_mul_f16 v2, v33, v2;

	;;#ASMEND
	;;#ASMSTART
	v_pk_mul_f16 v3, v32, v3;

	;;#ASMEND
	;; [unrolled: 4-line block ×4, first 2 shown]
	v_add_f32_e32 v11, v34, v35
	;;#ASMSTART
	v_pk_add_f16 v2, v2, v3;

	;;#ASMEND
	v_add_f32_e32 v6, v6, v11
	;;#ASMSTART
	v_pk_add_f16 v2, v2, v4;

	;;#ASMEND
	;; [unrolled: 5-line block ×3, first 2 shown]
	v_add_f32_e32 v7, v7, v11
	v_lshrrev_b32_e32 v3, 16, v2
	v_and_b32_e32 v2, 0xffff, v2
	;;#ASMSTART
	v_cvt_f32_f16 v2, v2;
	;;#ASMEND
	;;#ASMSTART
	v_cvt_f32_f16 v3, v3;
	;;#ASMEND
	s_nop 0
	v_add_f32_e32 v2, v2, v3
	v_add_f32_e32 v8, v8, v2
.LBB93_50:                              ;   in Loop: Header=BB93_51 Depth=1
	s_or_b64 exec, exec, s[10:11]
	v_add_u32_e32 v10, 2, v10
	v_cmp_le_i32_e32 vcc, s47, v10
	v_lshl_add_u64 v[14:15], v[14:15], 0, 8
	v_add_u32_e32 v1, 32, v1
	s_or_b64 s[8:9], vcc, s[8:9]
	v_add_u32_e32 v9, 0x80, v9
	s_andn2_b64 exec, exec, s[8:9]
	s_cbranch_execz .LBB93_58
.LBB93_51:                              ; =>This Inner Loop Header: Depth=1
	v_sub_u32_e32 v3, 0, v1
	v_max_i32_e32 v3, v1, v3
	v_mul_hi_u32 v4, v3, s33
	v_mul_lo_u32 v5, v4, s25
	v_sub_u32_e32 v3, v3, v5
	v_add_u32_e32 v5, 1, v4
	v_cmp_le_u32_e32 vcc, s25, v3
	v_ashrrev_i32_e32 v2, 31, v1
	v_xor_b32_e32 v2, s19, v2
	v_cndmask_b32_e32 v4, v4, v5, vcc
	v_subrev_u32_e32 v5, s25, v3
	v_cndmask_b32_e32 v3, v3, v5, vcc
	v_add_u32_e32 v5, 1, v4
	v_cmp_le_u32_e32 vcc, s25, v3
	s_nop 1
	v_cndmask_b32_e32 v3, v4, v5, vcc
	v_xor_b32_e32 v3, v3, v2
	v_sub_u32_e32 v2, v3, v2
	v_add_u32_e32 v3, s46, v2
	v_sub_u32_e32 v5, 0, v3
	v_ashrrev_i32_e32 v4, 31, v3
	v_max_i32_e32 v3, v3, v5
	v_mul_hi_u32 v5, v3, v22
	v_mul_lo_u32 v5, v5, s14
	v_sub_u32_e32 v3, v3, v5
	v_subrev_u32_e32 v5, s14, v3
	v_cmp_le_u32_e32 vcc, s14, v3
	v_cmp_lt_i32_e64 s[0:1], s5, v2
	s_nop 0
	v_cndmask_b32_e32 v3, v3, v5, vcc
	v_subrev_u32_e32 v5, s14, v3
	v_cmp_le_u32_e32 vcc, s14, v3
	s_nop 1
	v_cndmask_b32_e32 v3, v3, v5, vcc
	v_xor_b32_e32 v3, v3, v4
	v_sub_u32_e32 v3, v3, v4
	v_cmp_eq_u32_e32 vcc, 0, v3
	s_or_b64 s[0:1], vcc, s[0:1]
	s_and_saveexec_b64 s[10:11], s[0:1]
	s_cbranch_execz .LBB93_50
; %bb.52:                               ;   in Loop: Header=BB93_51 Depth=1
	global_load_dword v11, v[14:15], off
	ds_read2_b64 v[2:5], v9 offset1:1
	ds_read2_b64 v[24:27], v9 offset0:2 offset1:3
	v_cmp_eq_u32_e32 vcc, s15, v10
	s_waitcnt lgkmcnt(1)
	;;#ASMSTART
	v_cvt_f16_f32 v30, v2;

	;;#ASMEND
	;;#ASMSTART
	v_cvt_f16_f32 v31, v3;

	;;#ASMEND
	;; [unrolled: 4-line block ×4, first 2 shown]
	s_waitcnt lgkmcnt(0)
	;;#ASMSTART
	v_cvt_f16_f32 v35, v24;

	;;#ASMEND
	;;#ASMSTART
	v_cvt_f16_f32 v36, v25;

	;;#ASMEND
	;;#ASMSTART
	v_cvt_f16_f32 v37, v26;

	;;#ASMEND
	;;#ASMSTART
	v_cvt_f16_f32 v38, v27;

	;;#ASMEND
	s_waitcnt vmcnt(0)
	v_mad_i64_i32 v[2:3], s[0:1], v11, s7, 0
	v_lshl_add_u64 v[16:17], v[2:3], 1, v[12:13]
	global_load_dwordx4 v[2:5], v[16:17], off
	v_add_u32_e32 v11, v21, v1
	v_add_u32_e32 v23, 1, v11
	v_or_b32_e32 v25, 3, v11
	v_or_b32_e32 v24, 2, v11
	;; [unrolled: 1-line block ×6, first 2 shown]
	s_and_saveexec_b64 s[12:13], vcc
	s_cbranch_execz .LBB93_54
; %bb.53:                               ;   in Loop: Header=BB93_51 Depth=1
	s_waitcnt vmcnt(0)
	v_lshrrev_b32_e32 v33, 16, v5
	v_cmp_gt_i32_e64 s[0:1], s28, v29
	s_nop 1
	v_cndmask_b32_e64 v33, 0, v33, s[0:1]
	v_cmp_gt_i32_e64 s[0:1], s23, v28
	s_nop 1
	v_cndmask_b32_e64 v5, 0, v5, s[0:1]
	v_perm_b32 v5, v33, v5, s30
	v_lshrrev_b32_e32 v33, 16, v4
	v_cmp_gt_i32_e64 s[0:1], s22, v27
	s_nop 1
	v_cndmask_b32_e64 v33, 0, v33, s[0:1]
	v_cmp_gt_i32_e64 s[0:1], s21, v26
	s_nop 1
	v_cndmask_b32_e64 v4, 0, v4, s[0:1]
	v_perm_b32 v4, v33, v4, s30
	;; [unrolled: 8-line block ×4, first 2 shown]
.LBB93_54:                              ;   in Loop: Header=BB93_51 Depth=1
	s_or_b64 exec, exec, s[12:13]
	v_and_b32_e32 v30, 0xffff, v30
	v_lshl_or_b32 v33, v31, 16, v30
	v_and_b32_e32 v30, 0xffff, v32
	v_lshl_or_b32 v32, v34, 16, v30
	;; [unrolled: 2-line block ×3, first 2 shown]
	v_and_b32_e32 v30, 0xffff, v37
	s_waitcnt vmcnt(0)
	;;#ASMSTART
	v_pk_mul_f16 v2, v33, v2;

	;;#ASMEND
	v_lshl_or_b32 v30, v38, 16, v30
	;;#ASMSTART
	v_pk_mul_f16 v3, v32, v3;

	;;#ASMEND
	;;#ASMSTART
	v_pk_mul_f16 v4, v31, v4;

	;;#ASMEND
	;; [unrolled: 4-line block ×3, first 2 shown]
	s_nop 0
	;;#ASMSTART
	v_pk_add_f16 v2, v2, v3;

	;;#ASMEND
	s_nop 0
	;;#ASMSTART
	v_pk_add_f16 v2, v2, v4;

	;;#ASMEND
	;; [unrolled: 5-line block ×3, first 2 shown]
	s_nop 0
	v_lshrrev_b32_e32 v3, 16, v2
	v_and_b32_e32 v2, 0xffff, v2
	;;#ASMSTART
	v_cvt_f32_f16 v34, v2;
	;;#ASMEND
	;;#ASMSTART
	v_cvt_f32_f16 v35, v3;
	;;#ASMEND
	global_load_dwordx4 v[2:5], v[16:17], off offset:1024
	s_and_saveexec_b64 s[12:13], vcc
	s_cbranch_execz .LBB93_56
; %bb.55:                               ;   in Loop: Header=BB93_51 Depth=1
	s_waitcnt vmcnt(0)
	v_lshrrev_b32_e32 v36, 16, v5
	v_cmp_gt_i32_e64 s[0:1], s28, v29
	s_nop 1
	v_cndmask_b32_e64 v36, 0, v36, s[0:1]
	v_cmp_gt_i32_e64 s[0:1], s23, v28
	s_nop 1
	v_cndmask_b32_e64 v5, 0, v5, s[0:1]
	v_perm_b32 v5, v36, v5, s30
	v_lshrrev_b32_e32 v36, 16, v4
	v_cmp_gt_i32_e64 s[0:1], s22, v27
	s_nop 1
	v_cndmask_b32_e64 v36, 0, v36, s[0:1]
	v_cmp_gt_i32_e64 s[0:1], s21, v26
	s_nop 1
	v_cndmask_b32_e64 v4, 0, v4, s[0:1]
	v_perm_b32 v4, v36, v4, s30
	;; [unrolled: 8-line block ×4, first 2 shown]
.LBB93_56:                              ;   in Loop: Header=BB93_51 Depth=1
	s_or_b64 exec, exec, s[12:13]
	s_waitcnt vmcnt(0)
	;;#ASMSTART
	v_pk_mul_f16 v2, v33, v2;

	;;#ASMEND
	;;#ASMSTART
	v_pk_mul_f16 v3, v32, v3;

	;;#ASMEND
	;; [unrolled: 4-line block ×4, first 2 shown]
	s_nop 0
	;;#ASMSTART
	v_pk_add_f16 v2, v2, v3;

	;;#ASMEND
	s_nop 0
	;;#ASMSTART
	v_pk_add_f16 v2, v2, v4;

	;;#ASMEND
	;; [unrolled: 5-line block ×3, first 2 shown]
	s_nop 0
	v_lshrrev_b32_e32 v3, 16, v2
	v_and_b32_e32 v2, 0xffff, v2
	;;#ASMSTART
	v_cvt_f32_f16 v36, v2;
	;;#ASMEND
	;;#ASMSTART
	v_cvt_f32_f16 v37, v3;
	;;#ASMEND
	global_load_dwordx4 v[2:5], v[16:17], off offset:2048
	s_and_saveexec_b64 s[0:1], vcc
	s_cbranch_execz .LBB93_49
; %bb.57:                               ;   in Loop: Header=BB93_51 Depth=1
	s_waitcnt vmcnt(0)
	v_lshrrev_b32_e32 v16, 16, v5
	v_cmp_gt_i32_e32 vcc, s28, v29
	s_nop 1
	v_cndmask_b32_e32 v16, 0, v16, vcc
	v_cmp_gt_i32_e32 vcc, s23, v28
	s_nop 1
	v_cndmask_b32_e32 v5, 0, v5, vcc
	v_perm_b32 v5, v16, v5, s30
	v_lshrrev_b32_e32 v16, 16, v4
	v_cmp_gt_i32_e32 vcc, s22, v27
	s_nop 1
	v_cndmask_b32_e32 v16, 0, v16, vcc
	v_cmp_gt_i32_e32 vcc, s21, v26
	s_nop 1
	v_cndmask_b32_e32 v4, 0, v4, vcc
	v_perm_b32 v4, v16, v4, s30
	;; [unrolled: 8-line block ×4, first 2 shown]
	s_branch .LBB93_49
.LBB93_58:
	s_or_b64 exec, exec, s[8:9]
.LBB93_59:
	s_or_b64 exec, exec, s[2:3]
	ds_bpermute_b32 v2, v19, v6
	ds_bpermute_b32 v3, v19, v7
	;; [unrolled: 1-line block ×3, first 2 shown]
	v_and_b32_e32 v4, 0x3c1, v0
	v_cmp_eq_u32_e32 vcc, 64, v4
	s_waitcnt lgkmcnt(0)
	v_pk_add_f32 v[2:3], v[6:7], v[2:3]
	v_add_f32_e32 v1, v8, v1
	s_barrier
	s_and_saveexec_b64 s[0:1], vcc
	s_cbranch_execz .LBB93_61
; %bb.60:
	v_mov_b32_e32 v5, 0xd0
	v_lshl_add_u32 v5, v18, 1, v5
	ds_write2_b32 v5, v2, v3 offset1:32
	ds_write_b32 v5, v1 offset:256
.LBB93_61:
	s_or_b64 exec, exec, s[0:1]
	v_cmp_gt_u32_e32 vcc, 64, v0
	s_waitcnt lgkmcnt(0)
	s_barrier
	s_and_saveexec_b64 s[0:1], vcc
	s_cbranch_execz .LBB93_67
; %bb.62:
	v_cmp_eq_u32_e32 vcc, 0, v20
	v_lshrrev_b32_e32 v5, 1, v0
	s_and_saveexec_b64 s[2:3], vcc
	s_cbranch_execnz .LBB93_70
; %bb.63:
	s_or_b64 exec, exec, s[2:3]
	s_and_saveexec_b64 s[2:3], vcc
	s_cbranch_execnz .LBB93_71
.LBB93_64:
	s_or_b64 exec, exec, s[2:3]
	s_and_saveexec_b64 s[2:3], vcc
	s_cbranch_execz .LBB93_66
.LBB93_65:
	v_mov_b32_e32 v6, 0xd0
	v_lshl_add_u32 v5, v5, 2, v6
	ds_read_b32 v5, v5 offset:256
	s_waitcnt lgkmcnt(0)
	v_add_f32_e32 v1, v1, v5
.LBB93_66:
	s_or_b64 exec, exec, s[2:3]
.LBB93_67:
	s_or_b64 exec, exec, s[0:1]
	v_cmp_eq_u32_e32 vcc, 0, v4
	s_barrier
	s_and_saveexec_b64 s[0:1], vcc
	s_cbranch_execz .LBB93_69
; %bb.68:
	s_mul_i32 s0, s6, 0x60
	s_ashr_i32 s1, s0, 31
	s_lshl_b64 s[0:1], s[0:1], 1
	s_add_u32 s2, s26, s0
	s_mul_i32 s0, s16, s24
	s_addc_u32 s3, s27, s1
	s_ashr_i32 s1, s0, 31
	s_lshl_b64 s[0:1], s[0:1], 1
	s_add_u32 s2, s2, s0
	s_mul_i32 s0, s4, 0x60
	s_addc_u32 s3, s3, s1
	s_ashr_i32 s1, s0, 31
	s_lshl_b64 s[0:1], s[0:1], 1
	s_add_u32 s0, s2, s0
	s_addc_u32 s1, s3, s1
	;;#ASMSTART
	v_cvt_f16_f32 v2, v2;

	;;#ASMEND
	global_store_short v0, v2, s[0:1]
	;;#ASMSTART
	v_cvt_f16_f32 v2, v3;

	;;#ASMEND
	global_store_short v0, v2, s[0:1] offset:64
	;;#ASMSTART
	v_cvt_f16_f32 v1, v1;

	;;#ASMEND
	global_store_short v0, v1, s[0:1] offset:128
.LBB93_69:
	s_endpgm
.LBB93_70:
	v_mov_b32_e32 v6, 0xd0
	v_lshl_add_u32 v6, v5, 2, v6
	ds_read_b32 v6, v6
	s_waitcnt lgkmcnt(0)
	v_add_f32_e32 v2, v2, v6
	s_or_b64 exec, exec, s[2:3]
	s_and_saveexec_b64 s[2:3], vcc
	s_cbranch_execz .LBB93_64
.LBB93_71:
	v_mov_b32_e32 v6, 0xd0
	v_lshl_add_u32 v6, v5, 2, v6
	ds_read_b32 v6, v6 offset:128
	s_waitcnt lgkmcnt(0)
	v_add_f32_e32 v3, v3, v6
	s_or_b64 exec, exec, s[2:3]
	s_and_saveexec_b64 s[2:3], vcc
	s_cbranch_execnz .LBB93_65
	s_branch .LBB93_66
	.section	.rodata,"a",@progbits
	.p2align	6, 0x0
	.amdhsa_kernel _ZN4vllm25paged_attention_v2_kernelIttLi96ELi16ELi128ELNS_18Fp8KVCacheDataTypeE0ELb1ELi512EEEvPfS2_PT_PKS3_PKT0_S9_ifPKiSB_iPKfiiiSD_SD_iiiii
		.amdhsa_group_segment_fixed_size 208
		.amdhsa_private_segment_fixed_size 0
		.amdhsa_kernarg_size 400
		.amdhsa_user_sgpr_count 2
		.amdhsa_user_sgpr_dispatch_ptr 0
		.amdhsa_user_sgpr_queue_ptr 0
		.amdhsa_user_sgpr_kernarg_segment_ptr 1
		.amdhsa_user_sgpr_dispatch_id 0
		.amdhsa_user_sgpr_kernarg_preload_length 0
		.amdhsa_user_sgpr_kernarg_preload_offset 0
		.amdhsa_user_sgpr_private_segment_size 0
		.amdhsa_uses_dynamic_stack 0
		.amdhsa_enable_private_segment 0
		.amdhsa_system_sgpr_workgroup_id_x 1
		.amdhsa_system_sgpr_workgroup_id_y 1
		.amdhsa_system_sgpr_workgroup_id_z 1
		.amdhsa_system_sgpr_workgroup_info 0
		.amdhsa_system_vgpr_workitem_id 0
		.amdhsa_next_free_vgpr 61
		.amdhsa_next_free_sgpr 52
		.amdhsa_accum_offset 64
		.amdhsa_reserve_vcc 1
		.amdhsa_float_round_mode_32 0
		.amdhsa_float_round_mode_16_64 0
		.amdhsa_float_denorm_mode_32 3
		.amdhsa_float_denorm_mode_16_64 3
		.amdhsa_dx10_clamp 1
		.amdhsa_ieee_mode 1
		.amdhsa_fp16_overflow 0
		.amdhsa_tg_split 0
		.amdhsa_exception_fp_ieee_invalid_op 0
		.amdhsa_exception_fp_denorm_src 0
		.amdhsa_exception_fp_ieee_div_zero 0
		.amdhsa_exception_fp_ieee_overflow 0
		.amdhsa_exception_fp_ieee_underflow 0
		.amdhsa_exception_fp_ieee_inexact 0
		.amdhsa_exception_int_div_zero 0
	.end_amdhsa_kernel
	.section	.text._ZN4vllm25paged_attention_v2_kernelIttLi96ELi16ELi128ELNS_18Fp8KVCacheDataTypeE0ELb1ELi512EEEvPfS2_PT_PKS3_PKT0_S9_ifPKiSB_iPKfiiiSD_SD_iiiii,"axG",@progbits,_ZN4vllm25paged_attention_v2_kernelIttLi96ELi16ELi128ELNS_18Fp8KVCacheDataTypeE0ELb1ELi512EEEvPfS2_PT_PKS3_PKT0_S9_ifPKiSB_iPKfiiiSD_SD_iiiii,comdat
.Lfunc_end93:
	.size	_ZN4vllm25paged_attention_v2_kernelIttLi96ELi16ELi128ELNS_18Fp8KVCacheDataTypeE0ELb1ELi512EEEvPfS2_PT_PKS3_PKT0_S9_ifPKiSB_iPKfiiiSD_SD_iiiii, .Lfunc_end93-_ZN4vllm25paged_attention_v2_kernelIttLi96ELi16ELi128ELNS_18Fp8KVCacheDataTypeE0ELb1ELi512EEEvPfS2_PT_PKS3_PKT0_S9_ifPKiSB_iPKfiiiSD_SD_iiiii
                                        ; -- End function
	.section	.AMDGPU.csdata,"",@progbits
; Kernel info:
; codeLenInByte = 6184
; NumSgprs: 58
; NumVgprs: 61
; NumAgprs: 0
; TotalNumVgprs: 61
; ScratchSize: 0
; MemoryBound: 0
; FloatMode: 240
; IeeeMode: 1
; LDSByteSize: 208 bytes/workgroup (compile time only)
; SGPRBlocks: 7
; VGPRBlocks: 7
; NumSGPRsForWavesPerEU: 58
; NumVGPRsForWavesPerEU: 61
; AccumOffset: 64
; Occupancy: 8
; WaveLimiterHint : 1
; COMPUTE_PGM_RSRC2:SCRATCH_EN: 0
; COMPUTE_PGM_RSRC2:USER_SGPR: 2
; COMPUTE_PGM_RSRC2:TRAP_HANDLER: 0
; COMPUTE_PGM_RSRC2:TGID_X_EN: 1
; COMPUTE_PGM_RSRC2:TGID_Y_EN: 1
; COMPUTE_PGM_RSRC2:TGID_Z_EN: 1
; COMPUTE_PGM_RSRC2:TIDIG_COMP_CNT: 0
; COMPUTE_PGM_RSRC3_GFX90A:ACCUM_OFFSET: 15
; COMPUTE_PGM_RSRC3_GFX90A:TG_SPLIT: 0
	.section	.text._ZN4vllm25paged_attention_v2_kernelIttLi112ELi16ELi128ELNS_18Fp8KVCacheDataTypeE0ELb1ELi512EEEvPfS2_PT_PKS3_PKT0_S9_ifPKiSB_iPKfiiiSD_SD_iiiii,"axG",@progbits,_ZN4vllm25paged_attention_v2_kernelIttLi112ELi16ELi128ELNS_18Fp8KVCacheDataTypeE0ELb1ELi512EEEvPfS2_PT_PKS3_PKT0_S9_ifPKiSB_iPKfiiiSD_SD_iiiii,comdat
	.protected	_ZN4vllm25paged_attention_v2_kernelIttLi112ELi16ELi128ELNS_18Fp8KVCacheDataTypeE0ELb1ELi512EEEvPfS2_PT_PKS3_PKT0_S9_ifPKiSB_iPKfiiiSD_SD_iiiii ; -- Begin function _ZN4vllm25paged_attention_v2_kernelIttLi112ELi16ELi128ELNS_18Fp8KVCacheDataTypeE0ELb1ELi512EEEvPfS2_PT_PKS3_PKT0_S9_ifPKiSB_iPKfiiiSD_SD_iiiii
	.globl	_ZN4vllm25paged_attention_v2_kernelIttLi112ELi16ELi128ELNS_18Fp8KVCacheDataTypeE0ELb1ELi512EEEvPfS2_PT_PKS3_PKT0_S9_ifPKiSB_iPKfiiiSD_SD_iiiii
	.p2align	8
	.type	_ZN4vllm25paged_attention_v2_kernelIttLi112ELi16ELi128ELNS_18Fp8KVCacheDataTypeE0ELb1ELi512EEEvPfS2_PT_PKS3_PKT0_S9_ifPKiSB_iPKfiiiSD_SD_iiiii,@function
_ZN4vllm25paged_attention_v2_kernelIttLi112ELi16ELi128ELNS_18Fp8KVCacheDataTypeE0ELb1ELi512EEEvPfS2_PT_PKS3_PKT0_S9_ifPKiSB_iPKfiiiSD_SD_iiiii: ; @_ZN4vllm25paged_attention_v2_kernelIttLi112ELi16ELi128ELNS_18Fp8KVCacheDataTypeE0ELb1ELi512EEEvPfS2_PT_PKS3_PKT0_S9_ifPKiSB_iPKfiiiSD_SD_iiiii
; %bb.0:
	s_load_dwordx2 s[6:7], s[0:1], 0x40
	s_mov_b32 s28, s3
	s_ashr_i32 s29, s3, 31
	s_lshl_b64 s[8:9], s[28:29], 2
	s_waitcnt lgkmcnt(0)
	s_add_u32 s6, s6, s8
	s_addc_u32 s7, s7, s9
	s_load_dword s29, s[6:7], 0x0
	s_lshl_b32 s49, s4, 9
	s_waitcnt lgkmcnt(0)
	s_cmp_ge_i32 s49, s29
	s_cbranch_scc1 .LBB94_81
; %bb.1:
	s_load_dword s5, s[0:1], 0x90
	s_load_dwordx2 s[38:39], s[0:1], 0x30
	s_mov_b32 s50, 0
	s_waitcnt lgkmcnt(0)
	s_abs_i32 s7, s5
	s_abs_i32 s3, s38
	v_cvt_f32_u32_e32 v1, s3
	s_sub_i32 s8, 0, s3
	s_xor_b32 s6, s5, s38
	s_ashr_i32 s6, s6, 31
	v_rcp_iflag_f32_e32 v1, v1
	s_nop 0
	v_mul_f32_e32 v1, 0x4f7ffffe, v1
	v_cvt_u32_f32_e32 v1, v1
	s_nop 0
	v_readfirstlane_b32 s9, v1
	s_mul_i32 s8, s8, s9
	s_mul_hi_u32 s8, s9, s8
	s_add_i32 s9, s9, s8
	s_mul_hi_u32 s8, s7, s9
	s_mul_i32 s9, s8, s3
	s_sub_i32 s7, s7, s9
	s_add_i32 s10, s8, 1
	s_sub_i32 s9, s7, s3
	s_cmp_ge_u32 s7, s3
	s_cselect_b32 s8, s10, s8
	s_cselect_b32 s7, s9, s7
	s_add_i32 s9, s8, 1
	s_cmp_ge_u32 s7, s3
	s_cselect_b32 s3, s9, s8
	s_xor_b32 s3, s3, s6
	s_sub_i32 s11, s3, s6
	s_abs_i32 s8, s11
	v_cvt_f32_u32_e32 v1, s8
	s_load_dwordx2 s[6:7], s[0:1], 0x50
	s_sub_i32 s3, 0, s8
	s_abs_i32 s9, s2
	v_rcp_iflag_f32_e32 v1, v1
	s_nop 0
	v_mul_f32_e32 v1, 0x4f7ffffe, v1
	v_cvt_u32_f32_e32 v1, v1
	s_nop 0
	v_readfirstlane_b32 s10, v1
	s_mul_i32 s3, s3, s10
	s_mul_hi_u32 s3, s10, s3
	s_add_i32 s10, s10, s3
	s_waitcnt lgkmcnt(0)
	s_cmp_eq_u64 s[6:7], 0
	s_mul_hi_u32 s10, s9, s10
	s_cbranch_scc1 .LBB94_3
; %bb.2:
	s_ashr_i32 s3, s2, 31
	s_lshl_b64 s[12:13], s[2:3], 2
	s_add_u32 s6, s6, s12
	s_addc_u32 s7, s7, s13
	s_load_dword s50, s[6:7], 0x0
.LBB94_3:
	s_load_dwordx4 s[12:15], s[0:1], 0x58
	s_ashr_i32 s3, s2, 31
	s_ashr_i32 s11, s11, 31
	v_and_b32_e32 v4, 3, v0
	s_mul_i32 s24, s2, 0x70
	v_cmp_gt_u32_e32 vcc, 56, v0
	s_and_saveexec_b64 s[6:7], vcc
	s_cbranch_execz .LBB94_5
; %bb.4:
	s_load_dwordx2 s[16:17], s[0:1], 0x18
	s_waitcnt lgkmcnt(0)
	s_mul_i32 s18, s28, s12
	s_ashr_i32 s19, s18, 31
	s_lshl_b64 s[18:19], s[18:19], 1
	v_lshlrev_b32_e32 v1, 2, v0
	s_add_u32 s12, s16, s18
	s_addc_u32 s15, s17, s19
	s_ashr_i32 s25, s24, 31
	s_lshl_b64 s[16:17], s[24:25], 1
	s_add_u32 s16, s12, s16
	s_addc_u32 s17, s15, s17
	global_load_dword v1, v1, s[16:17]
	v_and_b32_e32 v2, 0x3fc, v0
	v_mad_u32_u24 v2, v4, 56, v2
	s_waitcnt vmcnt(0)
	ds_write_b32 v2, v1
.LBB94_5:
	s_or_b64 exec, exec, s[6:7]
	s_mul_i32 s6, s10, s8
	s_sub_i32 s6, s9, s6
	s_xor_b32 s3, s3, s11
	s_add_i32 s7, s10, 1
	s_sub_i32 s9, s6, s8
	s_load_dwordx4 s[16:19], s[0:1], 0x78
	s_cmp_ge_u32 s6, s8
	s_cselect_b32 s7, s7, s10
	s_cselect_b32 s6, s9, s6
	s_add_i32 s9, s7, 1
	s_cmp_ge_u32 s6, s8
	s_cselect_b32 s6, s9, s7
	s_load_dword s9, s[0:1], 0x88
	s_waitcnt lgkmcnt(0)
	s_abs_i32 s25, s19
	v_cvt_f32_u32_e32 v1, s25
	s_xor_b32 s6, s6, s3
	s_sub_i32 s10, s6, s3
	s_sub_i32 s6, 0, s25
	v_rcp_iflag_f32_e32 v1, v1
	s_add_i32 s11, s29, -1
	s_abs_i32 s3, s11
	v_mul_f32_e32 v1, 0x4f7ffffe, v1
	v_cvt_u32_f32_e32 v1, v1
	s_barrier
	v_readfirstlane_b32 s33, v1
	s_mul_i32 s6, s6, s33
	s_mul_hi_u32 s6, s33, s6
	s_add_i32 s33, s33, s6
	s_cmp_lt_i32 s9, 0
	s_mul_hi_u32 s8, s3, s33
	s_cbranch_scc0 .LBB94_7
; %bb.6:
	s_mul_i32 s6, s16, s38
	s_add_i32 s6, s10, s6
	s_mul_i32 s6, s6, s9
	s_sub_i32 s46, 1, s6
	s_mov_b64 s[6:7], 0
	s_branch .LBB94_8
.LBB94_7:
	s_mov_b64 s[6:7], -1
                                        ; implicit-def: $sgpr46
.LBB94_8:
	s_load_dwordx2 s[30:31], s[0:1], 0x38
	s_ashr_i32 s11, s11, 31
	s_andn2_b64 vcc, exec, s[6:7]
	s_ashr_i32 s47, s19, 31
	s_cbranch_vccnz .LBB94_10
; %bb.9:
	s_mul_i32 s6, s5, s16
	s_add_i32 s6, s6, s2
	s_mul_i32 s6, s6, s9
	s_add_i32 s46, s6, 1
.LBB94_10:
	s_load_dword s6, s[0:1], 0x48
	s_load_dwordx2 s[36:37], s[0:1], 0x28
	s_load_dword s19, s[0:1], 0x98
	s_load_dwordx4 s[20:23], s[0:1], 0x0
	s_load_dwordx2 s[26:27], s[0:1], 0x10
	s_mul_i32 s7, s8, s25
	s_waitcnt lgkmcnt(0)
	s_mul_i32 s34, s28, s6
	s_sub_i32 s3, s3, s7
	s_ashr_i32 s35, s34, 31
	s_xor_b32 s6, s11, s47
	s_add_i32 s7, s8, 1
	s_sub_i32 s9, s3, s25
	s_cmp_ge_u32 s3, s25
	s_cselect_b32 s7, s7, s8
	s_cselect_b32 s3, s9, s3
	s_add_i32 s8, s7, 1
	s_cmp_ge_u32 s3, s25
	s_cselect_b32 s3, s8, s7
	s_xor_b32 s3, s3, s6
	s_sub_i32 s12, s3, s6
	s_add_i32 s3, s29, 15
	s_ashr_i32 s6, s3, 31
	s_lshr_b32 s6, s6, 28
	s_add_i32 s3, s3, s6
	s_lshl_b32 s16, s4, 5
	s_ashr_i32 s3, s3, 4
	s_add_i32 s6, s16, 32
	v_lshrrev_b32_e32 v6, 6, v0
	s_min_i32 s48, s6, s3
	v_or_b32_e32 v10, s16, v6
	v_cmp_gt_i32_e64 s[8:9], s48, v10
	v_mov_b32_e32 v12, 0xff7fffff
	s_mul_i32 s14, s10, s14
	v_ashrrev_i32_e32 v11, 31, v10
	v_lshl_add_u32 v1, v6, 4, s49
	v_mbcnt_lo_u32_b32 v7, -1, 0
	s_and_saveexec_b64 s[40:41], s[8:9]
	s_cbranch_execz .LBB94_20
; %bb.11:
	s_load_dwordx2 s[0:1], s[0:1], 0x20
	s_ashr_i32 s15, s14, 31
	s_sub_i32 s38, s12, s17
	s_lshl_b64 s[6:7], s[14:15], 1
	v_bfe_u32 v8, v0, 2, 4
	s_waitcnt lgkmcnt(0)
	s_add_u32 s0, s0, s6
	s_addc_u32 s1, s1, s7
	s_abs_i32 s15, s18
	v_cvt_f32_u32_e32 v5, s15
	v_lshlrev_b32_e32 v2, 4, v8
	v_mov_b32_e32 v3, 0
	v_lshl_add_u64 v[12:13], s[0:1], 0, v[2:3]
	v_rcp_iflag_f32_e32 v5, v5
	v_lshlrev_b32_e32 v2, 2, v0
	v_and_b32_e32 v2, 12, v2
	v_lshl_add_u64 v[2:3], v[12:13], 0, v[2:3]
	v_mul_f32_e32 v5, 0x4f7ffffe, v5
	v_cvt_u32_f32_e32 v5, v5
	s_sub_i32 s0, 0, s15
	v_lshlrev_b32_e32 v12, 2, v8
	v_cmp_eq_u32_e32 vcc, 0, v4
	v_mul_u32_u24_e32 v9, 56, v4
	v_mul_lo_u32 v4, s0, v5
	s_lshl_b64 s[0:1], s[34:35], 2
	v_lshl_or_b32 v12, v6, 6, v12
	s_add_u32 s0, s30, s0
	v_add_u32_e32 v15, 0xf0, v12
	v_subrev_u32_e32 v12, s29, v8
	v_mbcnt_hi_u32_b32 v18, -1, v7
	v_mul_hi_u32 v4, v5, v4
	s_addc_u32 s1, s31, s1
	v_add_u32_e32 v16, 1, v12
	v_and_b32_e32 v12, 64, v18
	s_mov_b32 s51, s13
	v_cmp_neq_f32_e64 s[6:7], s50, 0
	v_add_u32_e32 v13, v5, v4
	v_lshl_add_u64 v[4:5], v[10:11], 2, s[0:1]
	v_lshl_add_u32 v14, v6, 4, s49
	s_mov_b64 s[42:43], 0
	v_mov_b32_e32 v17, 0xff7fffff
	v_add_u32_e32 v19, 64, v12
	v_xor_b32_e32 v20, 2, v18
	v_xor_b32_e32 v21, 1, v18
	v_mov_b32_e32 v12, 0xff7fffff
	v_mov_b32_e32 v22, v10
	s_branch .LBB94_14
.LBB94_12:                              ;   in Loop: Header=BB94_14 Depth=1
	s_or_b64 exec, exec, s[44:45]
.LBB94_13:                              ;   in Loop: Header=BB94_14 Depth=1
	s_or_b64 exec, exec, s[10:11]
	v_add_u32_e32 v22, 2, v22
	v_cmp_le_i32_e64 s[0:1], s48, v22
	v_lshl_add_u64 v[4:5], v[4:5], 0, 8
	v_add_u32_e32 v14, 32, v14
	s_or_b64 s[42:43], s[0:1], s[42:43]
	v_add_u32_e32 v15, 0x80, v15
	s_andn2_b64 exec, exec, s[42:43]
	s_cbranch_execz .LBB94_19
.LBB94_14:                              ; =>This Inner Loop Header: Depth=1
	s_waitcnt lgkmcnt(0)
	v_sub_u32_e32 v24, 0, v14
	v_max_i32_e32 v24, v14, v24
	v_mul_hi_u32 v25, v24, s33
	v_mul_lo_u32 v26, v25, s25
	v_sub_u32_e32 v24, v24, v26
	v_add_u32_e32 v26, 1, v25
	v_cmp_le_u32_e64 s[0:1], s25, v24
	v_ashrrev_i32_e32 v23, 31, v14
	v_xor_b32_e32 v23, s47, v23
	v_cndmask_b32_e64 v25, v25, v26, s[0:1]
	v_subrev_u32_e32 v26, s25, v24
	v_cndmask_b32_e64 v24, v24, v26, s[0:1]
	v_add_u32_e32 v26, 1, v25
	v_cmp_le_u32_e64 s[0:1], s25, v24
	s_nop 1
	v_cndmask_b32_e64 v24, v25, v26, s[0:1]
	v_xor_b32_e32 v24, v24, v23
	v_sub_u32_e32 v23, v24, v23
	v_add_u32_e32 v24, s46, v23
	v_sub_u32_e32 v26, 0, v24
	v_ashrrev_i32_e32 v25, 31, v24
	v_max_i32_e32 v24, v24, v26
	v_mul_hi_u32 v26, v24, v13
	v_mul_lo_u32 v26, v26, s15
	v_sub_u32_e32 v24, v24, v26
	v_subrev_u32_e32 v26, s15, v24
	v_cmp_le_u32_e64 s[0:1], s15, v24
	v_cmp_ge_i32_e64 s[10:11], s38, v23
	s_nop 0
	v_cndmask_b32_e64 v24, v24, v26, s[0:1]
	v_subrev_u32_e32 v26, s15, v24
	v_cmp_le_u32_e64 s[0:1], s15, v24
	s_nop 1
	v_cndmask_b32_e64 v24, v24, v26, s[0:1]
	v_xor_b32_e32 v24, v24, v25
	v_sub_u32_e32 v24, v24, v25
	v_cmp_ne_u32_e64 s[0:1], 0, v24
	s_and_b64 s[0:1], s[0:1], s[10:11]
	s_and_b64 s[44:45], vcc, s[0:1]
	s_and_saveexec_b64 s[10:11], s[44:45]
	s_cbranch_execz .LBB94_16
; %bb.15:                               ;   in Loop: Header=BB94_14 Depth=1
	ds_write_b32 v15, v17
.LBB94_16:                              ;   in Loop: Header=BB94_14 Depth=1
	s_or_b64 exec, exec, s[10:11]
	s_xor_b64 s[0:1], s[0:1], -1
	s_and_saveexec_b64 s[10:11], s[0:1]
	s_cbranch_execz .LBB94_13
; %bb.17:                               ;   in Loop: Header=BB94_14 Depth=1
	global_load_dword v23, v[4:5], off
	s_waitcnt vmcnt(0)
	v_mad_i64_i32 v[24:25], s[0:1], v23, s51, 0
	v_lshl_add_u64 v[24:25], v[24:25], 1, v[2:3]
	global_load_dword v26, v[24:25], off
	global_load_dword v27, v[24:25], off offset:256
	global_load_dword v28, v[24:25], off offset:512
	;; [unrolled: 1-line block ×12, first 2 shown]
	ds_read_b32 v39, v9
	global_load_dword v23, v[24:25], off offset:3328
	v_cmp_lt_i32_e64 s[0:1], v20, v19
	s_waitcnt lgkmcnt(0)
	v_lshrrev_b32_e32 v25, 16, v39
	v_and_b32_e32 v39, 0xffff, v39
	;;#ASMSTART
	v_cvt_f32_f16 v39, v39;
	;;#ASMEND
	;;#ASMSTART
	v_cvt_f32_f16 v25, v25;
	;;#ASMEND
	v_cndmask_b32_e64 v24, v18, v20, s[0:1]
	v_lshlrev_b32_e32 v24, 2, v24
	v_cmp_lt_i32_e64 s[0:1], v21, v19
	s_waitcnt vmcnt(13)
	v_lshrrev_b32_e32 v40, 16, v26
	v_and_b32_e32 v26, 0xffff, v26
	;;#ASMSTART
	v_cvt_f32_f16 v26, v26;
	;;#ASMEND
	;;#ASMSTART
	v_cvt_f32_f16 v40, v40;
	;;#ASMEND
	ds_read_b32 v41, v9 offset:4
	s_waitcnt vmcnt(12)
	v_lshrrev_b32_e32 v42, 16, v27
	v_and_b32_e32 v27, 0xffff, v27
	s_waitcnt vmcnt(11)
	v_lshrrev_b32_e32 v43, 16, v28
	v_and_b32_e32 v28, 0xffff, v28
	s_waitcnt lgkmcnt(0)
	v_lshrrev_b32_e32 v44, 16, v41
	v_and_b32_e32 v41, 0xffff, v41
	;;#ASMSTART
	v_cvt_f32_f16 v41, v41;
	;;#ASMEND
	;;#ASMSTART
	v_cvt_f32_f16 v44, v44;
	;;#ASMEND
	;;#ASMSTART
	v_cvt_f32_f16 v27, v27;
	;;#ASMEND
	;;#ASMSTART
	v_cvt_f32_f16 v42, v42;
	;;#ASMEND
	ds_read_b32 v45, v9 offset:8
	s_waitcnt vmcnt(10)
	v_lshrrev_b32_e32 v46, 16, v29
	v_and_b32_e32 v29, 0xffff, v29
	s_waitcnt vmcnt(9)
	v_lshrrev_b32_e32 v47, 16, v30
	v_and_b32_e32 v30, 0xffff, v30
	s_waitcnt lgkmcnt(0)
	v_lshrrev_b32_e32 v48, 16, v45
	v_and_b32_e32 v45, 0xffff, v45
	;;#ASMSTART
	v_cvt_f32_f16 v45, v45;
	;;#ASMEND
	;;#ASMSTART
	v_cvt_f32_f16 v48, v48;
	;;#ASMEND
	;; [unrolled: 22-line block ×3, first 2 shown]
	;;#ASMSTART
	v_cvt_f32_f16 v29, v29;
	;;#ASMEND
	;;#ASMSTART
	v_cvt_f32_f16 v46, v46;
	;;#ASMEND
	ds_read_b32 v53, v9 offset:16
	s_waitcnt vmcnt(6)
	v_lshrrev_b32_e32 v54, 16, v33
	v_and_b32_e32 v33, 0xffff, v33
	v_mul_f32_e32 v27, v41, v27
	v_mul_f32_e32 v41, v44, v42
	s_waitcnt lgkmcnt(0)
	v_lshrrev_b32_e32 v56, 16, v53
	v_and_b32_e32 v53, 0xffff, v53
	;;#ASMSTART
	v_cvt_f32_f16 v53, v53;
	;;#ASMEND
	;;#ASMSTART
	v_cvt_f32_f16 v56, v56;
	;;#ASMEND
	;; [unrolled: 3-line block ×4, first 2 shown]
	ds_read_b32 v57, v9 offset:20
	s_waitcnt vmcnt(5)
	v_lshrrev_b32_e32 v55, 16, v34
	v_and_b32_e32 v34, 0xffff, v34
	v_fmac_f32_e32 v27, v39, v26
	v_fmac_f32_e32 v41, v25, v40
	s_waitcnt lgkmcnt(0)
	v_lshrrev_b32_e32 v60, 16, v57
	v_and_b32_e32 v57, 0xffff, v57
	;;#ASMSTART
	v_cvt_f32_f16 v57, v57;
	;;#ASMEND
	;;#ASMSTART
	v_cvt_f32_f16 v60, v60;
	;;#ASMEND
	;; [unrolled: 3-line block ×4, first 2 shown]
	ds_read_b32 v61, v9 offset:24
	v_fmac_f32_e32 v27, v45, v28
	v_fmac_f32_e32 v27, v49, v29
	s_waitcnt vmcnt(4)
	v_lshrrev_b32_e32 v58, 16, v35
	v_and_b32_e32 v35, 0xffff, v35
	s_waitcnt lgkmcnt(0)
	v_lshrrev_b32_e32 v64, 16, v61
	v_and_b32_e32 v61, 0xffff, v61
	;;#ASMSTART
	v_cvt_f32_f16 v61, v61;
	;;#ASMEND
	;;#ASMSTART
	v_cvt_f32_f16 v64, v64;
	;;#ASMEND
	;; [unrolled: 3-line block ×4, first 2 shown]
	ds_read_b32 v65, v9 offset:28
	v_fmac_f32_e32 v27, v53, v30
	v_fmac_f32_e32 v27, v57, v31
	s_waitcnt vmcnt(3)
	v_lshrrev_b32_e32 v59, 16, v36
	v_and_b32_e32 v36, 0xffff, v36
	s_waitcnt lgkmcnt(0)
	v_lshrrev_b32_e32 v42, 16, v65
	v_and_b32_e32 v44, 0xffff, v65
	;;#ASMSTART
	v_cvt_f32_f16 v44, v44;
	;;#ASMEND
	;;#ASMSTART
	v_cvt_f32_f16 v42, v42;
	;;#ASMEND
	;; [unrolled: 3-line block ×4, first 2 shown]
	ds_read_b32 v65, v9 offset:32
	v_fmac_f32_e32 v41, v48, v43
	v_fmac_f32_e32 v27, v61, v32
	v_fmac_f32_e32 v41, v52, v46
	v_fmac_f32_e32 v41, v56, v47
	s_waitcnt lgkmcnt(0)
	v_lshrrev_b32_e32 v25, 16, v65
	v_and_b32_e32 v26, 0xffff, v65
	;;#ASMSTART
	v_cvt_f32_f16 v26, v26;
	;;#ASMEND
	;;#ASMSTART
	v_cvt_f32_f16 v25, v25;
	;;#ASMEND
	;; [unrolled: 3-line block ×4, first 2 shown]
	ds_read_b32 v39, v9 offset:36
	v_fmac_f32_e32 v41, v60, v50
	v_fmac_f32_e32 v41, v64, v51
	;; [unrolled: 1-line block ×4, first 2 shown]
	s_waitcnt lgkmcnt(0)
	v_lshrrev_b32_e32 v29, 16, v39
	v_and_b32_e32 v30, 0xffff, v39
	;;#ASMSTART
	v_cvt_f32_f16 v30, v30;
	;;#ASMEND
	;;#ASMSTART
	v_cvt_f32_f16 v29, v29;
	;;#ASMEND
	;; [unrolled: 3-line block ×4, first 2 shown]
	ds_read_b32 v40, v9 offset:40
	v_fmac_f32_e32 v27, v26, v28
	v_fmac_f32_e32 v41, v25, v34
	s_waitcnt vmcnt(2)
	v_lshrrev_b32_e32 v62, 16, v37
	v_and_b32_e32 v37, 0xffff, v37
	s_waitcnt lgkmcnt(0)
	v_lshrrev_b32_e32 v31, 16, v40
	v_and_b32_e32 v32, 0xffff, v40
	;;#ASMSTART
	v_cvt_f32_f16 v32, v32;
	;;#ASMEND
	;;#ASMSTART
	v_cvt_f32_f16 v31, v31;
	;;#ASMEND
	;; [unrolled: 3-line block ×4, first 2 shown]
	ds_read_b32 v43, v9 offset:44
	v_fmac_f32_e32 v27, v30, v35
	v_fmac_f32_e32 v41, v29, v39
	s_waitcnt vmcnt(1)
	v_lshrrev_b32_e32 v63, 16, v38
	v_and_b32_e32 v38, 0xffff, v38
	s_waitcnt lgkmcnt(0)
	v_lshrrev_b32_e32 v25, 16, v43
	v_and_b32_e32 v26, 0xffff, v43
	;;#ASMSTART
	v_cvt_f32_f16 v26, v26;
	;;#ASMEND
	;;#ASMSTART
	v_cvt_f32_f16 v25, v25;
	;;#ASMEND
	;; [unrolled: 3-line block ×4, first 2 shown]
	ds_read_b32 v34, v9 offset:48
	v_fmac_f32_e32 v27, v32, v36
	v_fmac_f32_e32 v41, v31, v40
	;; [unrolled: 1-line block ×4, first 2 shown]
	s_waitcnt lgkmcnt(0)
	v_lshrrev_b32_e32 v29, 16, v34
	v_and_b32_e32 v30, 0xffff, v34
	;;#ASMSTART
	v_cvt_f32_f16 v30, v30;
	;;#ASMEND
	;;#ASMSTART
	v_cvt_f32_f16 v29, v29;
	;;#ASMEND
	;;#ASMSTART
	v_cvt_f32_f16 v31, v38;
	;;#ASMEND
	;;#ASMSTART
	v_cvt_f32_f16 v32, v63;
	;;#ASMEND
	ds_read_b32 v34, v9 offset:52
	s_waitcnt vmcnt(0)
	v_lshrrev_b32_e32 v66, 16, v23
	v_and_b32_e32 v23, 0xffff, v23
	v_fmac_f32_e32 v27, v30, v31
	v_fmac_f32_e32 v41, v29, v32
	s_waitcnt lgkmcnt(0)
	v_lshrrev_b32_e32 v25, 16, v34
	v_and_b32_e32 v26, 0xffff, v34
	;;#ASMSTART
	v_cvt_f32_f16 v26, v26;
	;;#ASMEND
	;;#ASMSTART
	v_cvt_f32_f16 v25, v25;
	;;#ASMEND
	;; [unrolled: 3-line block ×4, first 2 shown]
	s_nop 0
	v_fmac_f32_e32 v27, v26, v23
	v_fmac_f32_e32 v41, v25, v28
	v_add_f32_e32 v23, v27, v41
	ds_bpermute_b32 v24, v24, v23
	v_cndmask_b32_e64 v25, v18, v21, s[0:1]
	s_waitcnt lgkmcnt(0)
	v_add_f32_e32 v23, v23, v24
	v_lshlrev_b32_e32 v24, 2, v25
	ds_bpermute_b32 v24, v24, v23
	s_and_saveexec_b64 s[44:45], vcc
	s_cbranch_execz .LBB94_12
; %bb.18:                               ;   in Loop: Header=BB94_14 Depth=1
	v_add_u32_e32 v25, v16, v14
	v_cvt_f32_i32_e32 v25, v25
	s_waitcnt lgkmcnt(0)
	v_add_f32_e32 v23, v23, v24
	v_add_u32_e32 v26, v8, v14
	v_cmp_gt_i32_e64 s[0:1], s29, v26
	v_mul_f32_e32 v24, s50, v25
	v_cndmask_b32_e64 v24, 0, v24, s[6:7]
	v_fmac_f32_e32 v24, s39, v23
	v_cndmask_b32_e64 v23, 0, v24, s[0:1]
	ds_write_b32 v15, v23
	v_max_f32_e32 v23, v12, v12
	v_max_f32_e32 v23, v23, v24
	v_cndmask_b32_e64 v12, v12, v23, s[0:1]
	s_branch .LBB94_12
.LBB94_19:
	s_or_b64 exec, exec, s[42:43]
.LBB94_20:
	s_or_b64 exec, exec, s[40:41]
	v_mbcnt_hi_u32_b32 v2, -1, v7
	v_and_b32_e32 v3, 64, v2
	v_add_u32_e32 v3, 64, v3
	v_xor_b32_e32 v4, 32, v2
	v_cmp_lt_i32_e32 vcc, v4, v3
	v_xor_b32_e32 v8, 16, v2
	v_max_f32_e32 v5, v12, v12
	v_cndmask_b32_e32 v4, v2, v4, vcc
	v_lshlrev_b32_e32 v7, 2, v4
	ds_bpermute_b32 v4, v7, v12
	v_cmp_lt_i32_e32 vcc, v8, v3
	v_xor_b32_e32 v9, 8, v2
	s_waitcnt lgkmcnt(0)
	v_max_f32_e32 v4, v4, v4
	v_max_f32_e32 v4, v5, v4
	v_cndmask_b32_e32 v5, v2, v8, vcc
	v_lshlrev_b32_e32 v8, 2, v5
	ds_bpermute_b32 v5, v8, v4
	v_cmp_lt_i32_e32 vcc, v9, v3
	s_waitcnt lgkmcnt(0)
	v_max_f32_e32 v5, v5, v5
	v_max_f32_e32 v4, v4, v5
	v_cndmask_b32_e32 v5, v2, v9, vcc
	v_lshlrev_b32_e32 v13, 2, v5
	ds_bpermute_b32 v5, v13, v4
	v_xor_b32_e32 v9, 4, v2
	v_cmp_lt_i32_e32 vcc, v9, v3
	s_waitcnt lgkmcnt(0)
	v_max_f32_e32 v5, v5, v5
	v_max_f32_e32 v5, v4, v5
	v_cndmask_b32_e32 v4, v2, v9, vcc
	v_lshlrev_b32_e32 v14, 2, v4
	ds_bpermute_b32 v12, v14, v5
	v_and_b32_e32 v4, 63, v0
	v_cmp_eq_u32_e32 vcc, 0, v4
	v_lshlrev_b32_e32 v9, 2, v6
	s_and_saveexec_b64 s[0:1], vcc
	s_cbranch_execz .LBB94_22
; %bb.21:
	s_waitcnt lgkmcnt(0)
	v_max_f32_e32 v12, v12, v12
	v_max_f32_e32 v5, v5, v5
	;; [unrolled: 1-line block ×3, first 2 shown]
	ds_write_b32 v9, v5 offset:224
.LBB94_22:
	s_or_b64 exec, exec, s[0:1]
	v_cmp_gt_u32_e64 s[0:1], 2, v4
	v_mov_b32_e32 v5, 0xff7fffff
	s_waitcnt lgkmcnt(0)
	v_lshlrev_b32_e32 v12, 2, v4
	s_barrier
	s_and_saveexec_b64 s[6:7], s[0:1]
	s_cbranch_execz .LBB94_24
; %bb.23:
	ds_read_b32 v5, v12 offset:224
.LBB94_24:
	s_or_b64 exec, exec, s[6:7]
	v_xor_b32_e32 v15, 1, v2
	v_cmp_lt_i32_e64 s[6:7], v15, v3
	v_mov_b32_e32 v16, 0
	s_nop 0
	v_cndmask_b32_e64 v15, v2, v15, s[6:7]
	v_lshlrev_b32_e32 v22, 2, v15
	s_waitcnt lgkmcnt(0)
	ds_bpermute_b32 v15, v22, v5
	v_max_f32_e32 v5, v5, v5
	s_sub_i32 s6, s48, s16
	s_lshl_b32 s6, s6, 4
	s_add_i32 s6, s6, s49
	s_waitcnt lgkmcnt(0)
	v_max_f32_e32 v15, v15, v15
	v_max_f32_e32 v5, v5, v15
	v_lshlrev_b32_e32 v15, 2, v2
	v_and_b32_e32 v15, 0x100, v15
	ds_bpermute_b32 v5, v15, v5
	s_min_i32 s16, s6, s29
	s_sub_i32 s15, s16, s49
	v_cmp_gt_i32_e64 s[6:7], s15, v0
	s_and_saveexec_b64 s[38:39], s[6:7]
	s_cbranch_execz .LBB94_28
; %bb.25:
	v_mov_b32_e32 v16, 0xf0
	v_lshl_add_u32 v17, v0, 2, v16
	s_mov_b64 s[40:41], 0
	v_mov_b32_e32 v16, 0
	v_mov_b32_e32 v18, v0
.LBB94_26:                              ; =>This Inner Loop Header: Depth=1
	ds_read_b32 v19, v17
	v_add_u32_e32 v18, 0x80, v18
	v_cmp_le_i32_e64 s[10:11], s15, v18
	s_or_b64 s[40:41], s[10:11], s[40:41]
	s_waitcnt lgkmcnt(0)
	v_sub_f32_e32 v19, v19, v5
	v_mul_f32_e32 v19, 0x3fb8aa3b, v19
	v_exp_f32_e32 v19, v19
	ds_write_b32 v17, v19
	v_add_f32_e32 v16, v16, v19
	v_add_u32_e32 v17, 0x200, v17
	s_andn2_b64 exec, exec, s[40:41]
	s_cbranch_execnz .LBB94_26
; %bb.27:
	s_or_b64 exec, exec, s[40:41]
.LBB94_28:
	s_or_b64 exec, exec, s[38:39]
	ds_bpermute_b32 v7, v7, v16
	s_waitcnt lgkmcnt(0)
	v_add_f32_e32 v7, v16, v7
	ds_bpermute_b32 v8, v8, v7
	s_waitcnt lgkmcnt(0)
	v_add_f32_e32 v7, v7, v8
	ds_bpermute_b32 v8, v13, v7
	v_xor_b32_e32 v13, 2, v2
	v_cmp_lt_i32_e64 s[10:11], v13, v3
	s_waitcnt lgkmcnt(0)
	v_add_f32_e32 v7, v7, v8
	ds_bpermute_b32 v8, v14, v7
	v_cndmask_b32_e64 v2, v2, v13, s[10:11]
	v_lshlrev_b32_e32 v2, 2, v2
	s_waitcnt lgkmcnt(0)
	v_add_f32_e32 v3, v7, v8
	ds_bpermute_b32 v2, v2, v3
	s_waitcnt lgkmcnt(0)
	v_add_f32_e32 v2, v3, v2
	ds_bpermute_b32 v3, v22, v2
	s_waitcnt lgkmcnt(0)
	v_add_f32_e32 v2, v2, v3
	s_and_saveexec_b64 s[10:11], vcc
	s_cbranch_execz .LBB94_30
; %bb.29:
	ds_write_b32 v9, v2 offset:232
.LBB94_30:
	s_or_b64 exec, exec, s[10:11]
	s_waitcnt lgkmcnt(0)
	s_barrier
	s_and_saveexec_b64 s[10:11], s[0:1]
	s_cbranch_execz .LBB94_32
; %bb.31:
	ds_read_b32 v2, v12 offset:232
.LBB94_32:
	s_or_b64 exec, exec, s[10:11]
	s_waitcnt lgkmcnt(0)
	ds_bpermute_b32 v3, v22, v2
	s_waitcnt lgkmcnt(0)
	v_add_f32_e32 v2, v2, v3
	ds_bpermute_b32 v7, v15, v2
	s_and_saveexec_b64 s[0:1], s[6:7]
	s_cbranch_execz .LBB94_45
; %bb.33:
	s_waitcnt lgkmcnt(0)
	v_add_f32_e32 v2, 0x358637bd, v7
	v_div_scale_f32 v3, s[6:7], v2, v2, 1.0
	v_rcp_f32_e32 v8, v3
	v_div_scale_f32 v9, vcc, 1.0, v2, 1.0
	s_movk_i32 s6, 0x7f
	v_fma_f32 v12, -v3, v8, 1.0
	v_fmac_f32_e32 v8, v12, v8
	v_mul_f32_e32 v12, v9, v8
	v_fma_f32 v13, -v3, v12, v9
	v_fmac_f32_e32 v12, v13, v8
	v_fma_f32 v3, -v3, v12, v9
	v_div_fmas_f32 v3, v3, v8, v12
	v_div_fixup_f32 v2, v3, v2, 1.0
	v_xad_u32 v3, v0, -1, s16
	v_subrev_u32_e32 v8, s49, v3
	v_cmp_lt_u32_e32 vcc, s6, v8
	s_mov_b64 s[10:11], -1
	v_mov_b32_e32 v3, v0
	s_and_saveexec_b64 s[6:7], vcc
	s_cbranch_execz .LBB94_42
; %bb.34:
	v_lshrrev_b32_e32 v8, 7, v8
	v_add_u32_e32 v12, -1, v8
	v_lshrrev_b32_e32 v9, 1, v12
	v_mov_b32_e32 v3, v2
	v_add_u32_e32 v9, 1, v9
	v_cmp_lt_u32_e32 vcc, 13, v12
	v_mov_b32_e32 v14, 0
	s_and_saveexec_b64 s[10:11], vcc
	s_cbranch_execz .LBB94_38
; %bb.35:
	v_mov_b32_e32 v13, 0xf0
	v_and_b32_e32 v12, -8, v9
	v_lshl_add_u32 v13, v0, 2, v13
	s_mov_b32 s16, 0
	s_mov_b64 s[38:39], 0
.LBB94_36:                              ; =>This Inner Loop Header: Depth=1
	ds_read2st64_b32 v[14:15], v13 offset1:2
	ds_read2st64_b32 v[16:17], v13 offset0:4 offset1:6
	ds_read2st64_b32 v[18:19], v13 offset0:8 offset1:10
	;; [unrolled: 1-line block ×3, first 2 shown]
	v_add_u32_e32 v12, -8, v12
	s_waitcnt lgkmcnt(3)
	v_pk_mul_f32 v[14:15], v[2:3], v[14:15]
	s_waitcnt lgkmcnt(2)
	v_pk_mul_f32 v[16:17], v[2:3], v[16:17]
	ds_write2st64_b32 v13, v14, v15 offset1:2
	ds_write2st64_b32 v13, v16, v17 offset0:4 offset1:6
	ds_read2st64_b32 v[16:17], v13 offset0:16 offset1:18
	s_waitcnt lgkmcnt(4)
	v_pk_mul_f32 v[14:15], v[2:3], v[18:19]
	ds_write2st64_b32 v13, v14, v15 offset0:8 offset1:10
	s_waitcnt lgkmcnt(4)
	v_pk_mul_f32 v[14:15], v[2:3], v[20:21]
	ds_write2st64_b32 v13, v14, v15 offset0:12 offset1:14
	ds_read2st64_b32 v[14:15], v13 offset0:20 offset1:22
	s_waitcnt lgkmcnt(3)
	v_pk_mul_f32 v[16:17], v[2:3], v[16:17]
	ds_read2st64_b32 v[18:19], v13 offset0:24 offset1:26
	ds_write2st64_b32 v13, v16, v17 offset0:16 offset1:18
	ds_read2st64_b32 v[16:17], v13 offset0:28 offset1:30
	s_waitcnt lgkmcnt(3)
	v_pk_mul_f32 v[14:15], v[2:3], v[14:15]
	ds_write2st64_b32 v13, v14, v15 offset0:20 offset1:22
	s_waitcnt lgkmcnt(3)
	v_pk_mul_f32 v[14:15], v[2:3], v[18:19]
	ds_write2st64_b32 v13, v14, v15 offset0:24 offset1:26
	s_waitcnt lgkmcnt(2)
	v_pk_mul_f32 v[14:15], v[2:3], v[16:17]
	s_add_i32 s16, s16, 16
	v_cmp_eq_u32_e32 vcc, 0, v12
	ds_write2st64_b32 v13, v14, v15 offset0:28 offset1:30
	v_add_u32_e32 v13, 0x2000, v13
	s_or_b64 s[38:39], vcc, s[38:39]
	v_mov_b32_e32 v14, s16
	s_andn2_b64 exec, exec, s[38:39]
	s_cbranch_execnz .LBB94_36
; %bb.37:
	s_or_b64 exec, exec, s[38:39]
.LBB94_38:
	s_or_b64 exec, exec, s[10:11]
	v_and_b32_e32 v9, 7, v9
	v_cmp_ne_u32_e32 vcc, 0, v9
	s_and_saveexec_b64 s[10:11], vcc
	s_cbranch_execz .LBB94_41
; %bb.39:
	v_lshlrev_b32_e32 v12, 9, v14
	v_lshlrev_b32_e32 v13, 2, v0
	s_movk_i32 s16, 0xf0
	v_add3_u32 v12, v12, v13, s16
	s_mov_b64 s[38:39], 0
.LBB94_40:                              ; =>This Inner Loop Header: Depth=1
	ds_read2st64_b32 v[14:15], v12 offset1:2
	v_add_u32_e32 v9, -1, v9
	v_cmp_eq_u32_e32 vcc, 0, v9
	s_or_b64 s[38:39], vcc, s[38:39]
	s_waitcnt lgkmcnt(0)
	v_pk_mul_f32 v[14:15], v[2:3], v[14:15]
	ds_write2st64_b32 v12, v14, v15 offset1:2
	v_add_u32_e32 v12, 0x400, v12
	s_andn2_b64 exec, exec, s[38:39]
	s_cbranch_execnz .LBB94_40
.LBB94_41:
	s_or_b64 exec, exec, s[10:11]
	v_add_u32_e32 v8, 1, v8
	v_and_b32_e32 v9, 0x3fffffe, v8
	v_cmp_ne_u32_e32 vcc, v8, v9
	v_lshl_add_u32 v3, v9, 7, v0
	s_orn2_b64 s[10:11], vcc, exec
.LBB94_42:
	s_or_b64 exec, exec, s[6:7]
	s_and_b64 exec, exec, s[10:11]
	s_cbranch_execz .LBB94_45
; %bb.43:
	v_mov_b32_e32 v8, 0xf0
	v_lshl_add_u32 v8, v3, 2, v8
	s_mov_b64 s[6:7], 0
.LBB94_44:                              ; =>This Inner Loop Header: Depth=1
	ds_read_b32 v9, v8
	v_add_u32_e32 v3, 0x80, v3
	v_cmp_le_i32_e32 vcc, s15, v3
	s_or_b64 s[6:7], vcc, s[6:7]
	s_waitcnt lgkmcnt(0)
	v_mul_f32_e32 v9, v2, v9
	ds_write_b32 v8, v9
	v_add_u32_e32 v8, 0x200, v8
	s_andn2_b64 exec, exec, s[6:7]
	s_cbranch_execnz .LBB94_44
.LBB94_45:
	s_or_b64 exec, exec, s[0:1]
	s_mul_i32 s0, s19, s28
	v_cmp_eq_u32_e32 vcc, 0, v0
	s_mul_i32 s6, s0, s5
	s_waitcnt lgkmcnt(0)
	s_barrier
	s_and_saveexec_b64 s[0:1], vcc
	s_cbranch_execz .LBB94_47
; %bb.46:
	s_ashr_i32 s7, s6, 31
	s_lshl_b64 s[10:11], s[6:7], 2
	s_add_u32 s5, s22, s10
	s_mul_i32 s22, s19, s2
	s_addc_u32 s7, s23, s11
	s_ashr_i32 s23, s22, 31
	s_lshl_b64 s[22:23], s[22:23], 2
	s_add_u32 s2, s5, s22
	s_addc_u32 s7, s7, s23
	s_ashr_i32 s5, s4, 31
	s_lshl_b64 s[38:39], s[4:5], 2
	s_add_u32 s40, s2, s38
	s_addc_u32 s41, s7, s39
	s_add_u32 s2, s20, s10
	s_addc_u32 s5, s21, s11
	;; [unrolled: 2-line block ×3, first 2 shown]
	s_add_u32 s10, s2, s38
	v_mov_b32_e32 v2, 0
	s_addc_u32 s11, s5, s39
	global_store_dword v2, v5, s[40:41]
	global_store_dword v2, v7, s[10:11]
.LBB94_47:
	s_or_b64 exec, exec, s[0:1]
	s_mov_b32 s0, 0
	v_mov_b32_e32 v5, 0
	v_lshrrev_b32_e32 v24, 1, v4
	v_and_b32_e32 v23, 1, v0
	v_mov_b32_e32 v4, 0
	v_mov_b32_e32 v3, 0
	;; [unrolled: 1-line block ×3, first 2 shown]
	s_and_saveexec_b64 s[10:11], s[8:9]
	s_cbranch_execz .LBB94_63
; %bb.48:
	s_ashr_i32 s15, s14, 31
	s_sub_i32 s5, s12, s17
	s_lshl_b64 s[8:9], s[14:15], 1
	s_add_u32 s8, s36, s8
	s_addc_u32 s9, s37, s9
	s_abs_i32 s18, s18
	v_cvt_f32_u32_e32 v3, s18
	v_lshlrev_b32_e32 v2, 3, v0
	v_and_b32_e32 v25, 8, v2
	v_or_b32_e32 v2, 0x60, v24
	s_movk_i32 s1, 0x70
	v_cmp_gt_u32_e32 vcc, s1, v2
	v_lshl_or_b32 v16, v2, 4, v25
	v_rcp_iflag_f32_e32 v2, v3
	s_sub_i32 s1, 0, s18
	s_add_i32 s20, s3, -1
	s_lshl_b64 s[2:3], s[34:35], 2
	v_mul_f32_e32 v2, 0x4f7ffffe, v2
	v_cvt_u32_f32_e32 v2, v2
	s_add_u32 s2, s30, s2
	s_addc_u32 s3, s31, s3
	v_lshl_add_u64 v[14:15], v[10:11], 2, s[2:3]
	v_mul_lo_u32 v3, s1, v2
	v_mul_hi_u32 v3, v2, v3
	v_add_u32_e32 v26, v2, v3
	v_lshlrev_b32_e32 v2, 5, v23
	v_lshl_or_b32 v2, v6, 6, v2
	s_mov_b32 s2, s0
	s_mov_b32 s3, s0
	v_lshl_or_b32 v8, v24, 4, v25
	v_add_u32_e32 v11, 0xf0, v2
	s_mov_b32 s1, s0
	v_mov_b64_e32 v[4:5], s[2:3]
	s_mov_b32 s7, s13
	v_mov_b32_e32 v13, 0
	s_mov_b32 s21, s29
	s_mov_b32 s22, s29
	;; [unrolled: 1-line block ×7, first 2 shown]
	s_mov_b64 s[12:13], 0
	v_mov_b64_e32 v[2:3], s[0:1]
	v_lshlrev_b32_e32 v12, 1, v8
	s_mov_b32 s30, 0x5040100
	v_lshlrev_b32_e32 v16, 1, v16
	s_branch .LBB94_52
.LBB94_49:                              ;   in Loop: Header=BB94_52 Depth=1
	s_or_b64 exec, exec, s[16:17]
	s_waitcnt vmcnt(0)
	;;#ASMSTART
	v_pk_mul_f16 v6, v31, v6;

	;;#ASMEND
	;;#ASMSTART
	v_pk_mul_f16 v7, v30, v7;

	;;#ASMEND
	;; [unrolled: 4-line block ×4, first 2 shown]
	s_nop 0
	;;#ASMSTART
	v_pk_add_f16 v6, v6, v7;

	;;#ASMEND
	s_nop 0
	;;#ASMSTART
	v_pk_add_f16 v6, v6, v8;

	;;#ASMEND
	;; [unrolled: 5-line block ×3, first 2 shown]
	s_nop 0
	v_lshrrev_b32_e32 v7, 16, v6
	v_and_b32_e32 v6, 0xffff, v6
	;;#ASMSTART
	v_cvt_f32_f16 v6, v6;
	;;#ASMEND
	;;#ASMSTART
	v_cvt_f32_f16 v7, v7;
	;;#ASMEND
	s_nop 0
	v_add_f32_e32 v6, v6, v7
	v_add_f32_e32 v5, v5, v6
.LBB94_50:                              ;   in Loop: Header=BB94_52 Depth=1
	s_or_b64 exec, exec, s[2:3]
.LBB94_51:                              ;   in Loop: Header=BB94_52 Depth=1
	s_or_b64 exec, exec, s[14:15]
	v_add_u32_e32 v10, 2, v10
	v_cmp_le_i32_e64 s[0:1], s48, v10
	v_lshl_add_u64 v[14:15], v[14:15], 0, 8
	v_add_u32_e32 v1, 32, v1
	s_or_b64 s[12:13], s[0:1], s[12:13]
	v_add_u32_e32 v11, 0x80, v11
	s_andn2_b64 exec, exec, s[12:13]
	s_cbranch_execz .LBB94_62
.LBB94_52:                              ; =>This Inner Loop Header: Depth=1
	v_sub_u32_e32 v7, 0, v1
	v_max_i32_e32 v7, v1, v7
	v_mul_hi_u32 v8, v7, s33
	v_mul_lo_u32 v9, v8, s25
	v_sub_u32_e32 v7, v7, v9
	v_add_u32_e32 v9, 1, v8
	v_cmp_le_u32_e64 s[0:1], s25, v7
	v_ashrrev_i32_e32 v6, 31, v1
	v_xor_b32_e32 v6, s47, v6
	v_cndmask_b32_e64 v8, v8, v9, s[0:1]
	v_subrev_u32_e32 v9, s25, v7
	v_cndmask_b32_e64 v7, v7, v9, s[0:1]
	v_add_u32_e32 v9, 1, v8
	v_cmp_le_u32_e64 s[0:1], s25, v7
	s_nop 1
	v_cndmask_b32_e64 v7, v8, v9, s[0:1]
	v_xor_b32_e32 v7, v7, v6
	v_sub_u32_e32 v6, v7, v6
	v_add_u32_e32 v7, s46, v6
	v_sub_u32_e32 v9, 0, v7
	v_ashrrev_i32_e32 v8, 31, v7
	v_max_i32_e32 v7, v7, v9
	v_mul_hi_u32 v9, v7, v26
	v_mul_lo_u32 v9, v9, s18
	v_sub_u32_e32 v7, v7, v9
	v_subrev_u32_e32 v9, s18, v7
	v_cmp_le_u32_e64 s[0:1], s18, v7
	v_cmp_lt_i32_e64 s[2:3], s5, v6
	s_nop 0
	v_cndmask_b32_e64 v7, v7, v9, s[0:1]
	v_subrev_u32_e32 v9, s18, v7
	v_cmp_le_u32_e64 s[0:1], s18, v7
	s_nop 1
	v_cndmask_b32_e64 v7, v7, v9, s[0:1]
	v_xor_b32_e32 v7, v7, v8
	v_sub_u32_e32 v7, v7, v8
	v_cmp_eq_u32_e64 s[0:1], 0, v7
	s_or_b64 s[0:1], s[0:1], s[2:3]
	s_and_saveexec_b64 s[14:15], s[0:1]
	s_cbranch_execz .LBB94_51
; %bb.53:                               ;   in Loop: Header=BB94_52 Depth=1
	global_load_dword v27, v[14:15], off
	ds_read2_b64 v[6:9], v11 offset1:1
	ds_read2_b64 v[18:21], v11 offset0:2 offset1:3
	s_waitcnt lgkmcnt(1)
	;;#ASMSTART
	v_cvt_f16_f32 v17, v6;

	;;#ASMEND
	;;#ASMSTART
	v_cvt_f16_f32 v28, v7;

	;;#ASMEND
	;; [unrolled: 4-line block ×4, first 2 shown]
	s_waitcnt lgkmcnt(0)
	;;#ASMSTART
	v_cvt_f16_f32 v32, v18;

	;;#ASMEND
	;;#ASMSTART
	v_cvt_f16_f32 v33, v19;

	;;#ASMEND
	;; [unrolled: 4-line block ×4, first 2 shown]
	s_waitcnt vmcnt(0)
	v_mad_i64_i32 v[6:7], s[0:1], v27, s7, 0
	v_lshl_add_u64 v[18:19], v[6:7], 1, s[8:9]
	v_lshl_add_u64 v[20:21], v[18:19], 0, v[12:13]
	global_load_dwordx4 v[6:9], v[20:21], off
	v_add_u32_e32 v27, v25, v1
	v_cmp_eq_u32_e64 s[0:1], s20, v10
	s_and_saveexec_b64 s[16:17], s[0:1]
	s_cbranch_execz .LBB94_55
; %bb.54:                               ;   in Loop: Header=BB94_52 Depth=1
	v_or_b32_e32 v40, 7, v27
	v_or_b32_e32 v41, 6, v27
	s_waitcnt vmcnt(0)
	v_lshrrev_b32_e32 v42, 16, v9
	v_cmp_gt_i32_e64 s[2:3], s38, v40
	v_or_b32_e32 v38, 5, v27
	v_or_b32_e32 v39, 4, v27
	v_cndmask_b32_e64 v40, 0, v42, s[2:3]
	v_cmp_gt_i32_e64 s[2:3], s37, v41
	v_or_b32_e32 v36, 3, v27
	v_or_b32_e32 v37, 2, v27
	v_cndmask_b32_e64 v9, 0, v9, s[2:3]
	v_perm_b32 v9, v40, v9, s30
	v_lshrrev_b32_e32 v40, 16, v8
	v_cmp_gt_i32_e64 s[2:3], s36, v38
	v_add_u32_e32 v31, 1, v27
	s_nop 0
	v_cndmask_b32_e64 v38, 0, v40, s[2:3]
	v_cmp_gt_i32_e64 s[2:3], s28, v39
	s_nop 1
	v_cndmask_b32_e64 v8, 0, v8, s[2:3]
	v_perm_b32 v8, v38, v8, s30
	v_lshrrev_b32_e32 v38, 16, v7
	v_cmp_gt_i32_e64 s[2:3], s23, v36
	s_nop 1
	v_cndmask_b32_e64 v36, 0, v38, s[2:3]
	v_cmp_gt_i32_e64 s[2:3], s22, v37
	s_nop 1
	v_cndmask_b32_e64 v7, 0, v7, s[2:3]
	v_perm_b32 v7, v36, v7, s30
	v_lshrrev_b32_e32 v36, 16, v6
	v_cmp_gt_i32_e64 s[2:3], s21, v31
	s_nop 1
	v_cndmask_b32_e64 v31, 0, v36, s[2:3]
	v_cmp_gt_i32_e64 s[2:3], s29, v27
	s_nop 1
	v_cndmask_b32_e64 v6, 0, v6, s[2:3]
	v_perm_b32 v6, v31, v6, s30
.LBB94_55:                              ;   in Loop: Header=BB94_52 Depth=1
	s_or_b64 exec, exec, s[16:17]
	v_and_b32_e32 v17, 0xffff, v17
	v_lshl_or_b32 v31, v28, 16, v17
	v_and_b32_e32 v17, 0xffff, v29
	v_lshl_or_b32 v30, v30, 16, v17
	;; [unrolled: 2-line block ×3, first 2 shown]
	v_and_b32_e32 v17, 0xffff, v34
	s_waitcnt vmcnt(0)
	;;#ASMSTART
	v_pk_mul_f16 v6, v31, v6;

	;;#ASMEND
	v_lshl_or_b32 v28, v35, 16, v17
	;;#ASMSTART
	v_pk_mul_f16 v7, v30, v7;

	;;#ASMEND
	;;#ASMSTART
	v_pk_mul_f16 v8, v29, v8;

	;;#ASMEND
	;; [unrolled: 4-line block ×3, first 2 shown]
	s_nop 0
	;;#ASMSTART
	v_pk_add_f16 v6, v6, v7;

	;;#ASMEND
	s_nop 0
	;;#ASMSTART
	v_pk_add_f16 v6, v6, v8;

	;;#ASMEND
	;; [unrolled: 5-line block ×3, first 2 shown]
	s_nop 0
	v_lshrrev_b32_e32 v7, 16, v6
	v_and_b32_e32 v6, 0xffff, v6
	;;#ASMSTART
	v_cvt_f32_f16 v17, v6;
	;;#ASMEND
	;;#ASMSTART
	v_cvt_f32_f16 v32, v7;
	;;#ASMEND
	global_load_dwordx4 v[6:9], v[20:21], off offset:1024
	s_and_saveexec_b64 s[16:17], s[0:1]
	s_cbranch_execz .LBB94_57
; %bb.56:                               ;   in Loop: Header=BB94_52 Depth=1
	v_or_b32_e32 v38, 7, v27
	v_or_b32_e32 v39, 6, v27
	s_waitcnt vmcnt(0)
	v_lshrrev_b32_e32 v40, 16, v9
	v_cmp_gt_i32_e64 s[2:3], s38, v38
	v_or_b32_e32 v36, 5, v27
	v_or_b32_e32 v37, 4, v27
	v_cndmask_b32_e64 v38, 0, v40, s[2:3]
	v_cmp_gt_i32_e64 s[2:3], s37, v39
	v_or_b32_e32 v34, 3, v27
	v_or_b32_e32 v35, 2, v27
	v_cndmask_b32_e64 v9, 0, v9, s[2:3]
	v_perm_b32 v9, v38, v9, s30
	v_lshrrev_b32_e32 v38, 16, v8
	v_cmp_gt_i32_e64 s[2:3], s36, v36
	v_add_u32_e32 v33, 1, v27
	s_nop 0
	v_cndmask_b32_e64 v36, 0, v38, s[2:3]
	v_cmp_gt_i32_e64 s[2:3], s28, v37
	s_nop 1
	v_cndmask_b32_e64 v8, 0, v8, s[2:3]
	v_perm_b32 v8, v36, v8, s30
	v_lshrrev_b32_e32 v36, 16, v7
	v_cmp_gt_i32_e64 s[2:3], s23, v34
	s_nop 1
	v_cndmask_b32_e64 v34, 0, v36, s[2:3]
	v_cmp_gt_i32_e64 s[2:3], s22, v35
	s_nop 1
	v_cndmask_b32_e64 v7, 0, v7, s[2:3]
	v_perm_b32 v7, v34, v7, s30
	v_lshrrev_b32_e32 v34, 16, v6
	v_cmp_gt_i32_e64 s[2:3], s21, v33
	s_nop 1
	v_cndmask_b32_e64 v33, 0, v34, s[2:3]
	v_cmp_gt_i32_e64 s[2:3], s29, v27
	s_nop 1
	v_cndmask_b32_e64 v6, 0, v6, s[2:3]
	v_perm_b32 v6, v33, v6, s30
.LBB94_57:                              ;   in Loop: Header=BB94_52 Depth=1
	s_or_b64 exec, exec, s[16:17]
	s_waitcnt vmcnt(0)
	;;#ASMSTART
	v_pk_mul_f16 v6, v31, v6;

	;;#ASMEND
	;;#ASMSTART
	v_pk_mul_f16 v7, v30, v7;

	;;#ASMEND
	;; [unrolled: 4-line block ×4, first 2 shown]
	s_nop 0
	;;#ASMSTART
	v_pk_add_f16 v6, v6, v7;

	;;#ASMEND
	s_nop 0
	;;#ASMSTART
	v_pk_add_f16 v6, v6, v8;

	;;#ASMEND
	;; [unrolled: 5-line block ×3, first 2 shown]
	s_nop 0
	v_lshrrev_b32_e32 v7, 16, v6
	v_and_b32_e32 v6, 0xffff, v6
	;;#ASMSTART
	v_cvt_f32_f16 v33, v6;
	;;#ASMEND
	;;#ASMSTART
	v_cvt_f32_f16 v34, v7;
	;;#ASMEND
	global_load_dwordx4 v[6:9], v[20:21], off offset:2048
	s_and_saveexec_b64 s[16:17], s[0:1]
	s_cbranch_execz .LBB94_59
; %bb.58:                               ;   in Loop: Header=BB94_52 Depth=1
	v_or_b32_e32 v38, 7, v27
	v_or_b32_e32 v39, 6, v27
	s_waitcnt vmcnt(0)
	v_lshrrev_b32_e32 v40, 16, v9
	v_cmp_gt_i32_e64 s[2:3], s38, v38
	v_or_b32_e32 v36, 5, v27
	v_or_b32_e32 v37, 4, v27
	v_cndmask_b32_e64 v38, 0, v40, s[2:3]
	v_cmp_gt_i32_e64 s[2:3], s37, v39
	v_or_b32_e32 v21, 3, v27
	v_or_b32_e32 v35, 2, v27
	v_cndmask_b32_e64 v9, 0, v9, s[2:3]
	v_perm_b32 v9, v38, v9, s30
	v_lshrrev_b32_e32 v38, 16, v8
	v_cmp_gt_i32_e64 s[2:3], s36, v36
	v_add_u32_e32 v20, 1, v27
	s_nop 0
	v_cndmask_b32_e64 v36, 0, v38, s[2:3]
	v_cmp_gt_i32_e64 s[2:3], s28, v37
	s_nop 1
	v_cndmask_b32_e64 v8, 0, v8, s[2:3]
	v_perm_b32 v8, v36, v8, s30
	v_lshrrev_b32_e32 v36, 16, v7
	v_cmp_gt_i32_e64 s[2:3], s23, v21
	s_nop 1
	v_cndmask_b32_e64 v21, 0, v36, s[2:3]
	v_cmp_gt_i32_e64 s[2:3], s22, v35
	s_nop 1
	v_cndmask_b32_e64 v7, 0, v7, s[2:3]
	v_perm_b32 v7, v21, v7, s30
	v_lshrrev_b32_e32 v21, 16, v6
	v_cmp_gt_i32_e64 s[2:3], s21, v20
	s_nop 1
	v_cndmask_b32_e64 v20, 0, v21, s[2:3]
	v_cmp_gt_i32_e64 s[2:3], s29, v27
	s_nop 1
	v_cndmask_b32_e64 v6, 0, v6, s[2:3]
	v_perm_b32 v6, v20, v6, s30
.LBB94_59:                              ;   in Loop: Header=BB94_52 Depth=1
	s_or_b64 exec, exec, s[16:17]
	s_waitcnt vmcnt(0)
	;;#ASMSTART
	v_pk_mul_f16 v6, v31, v6;

	;;#ASMEND
	;;#ASMSTART
	v_pk_mul_f16 v7, v30, v7;

	;;#ASMEND
	;; [unrolled: 4-line block ×4, first 2 shown]
	v_add_f32_e32 v17, v17, v32
	;;#ASMSTART
	v_pk_add_f16 v6, v6, v7;

	;;#ASMEND
	v_add_f32_e32 v2, v2, v17
	;;#ASMSTART
	v_pk_add_f16 v6, v6, v8;

	;;#ASMEND
	;; [unrolled: 5-line block ×3, first 2 shown]
	v_add_f32_e32 v3, v3, v17
	v_lshrrev_b32_e32 v7, 16, v6
	v_and_b32_e32 v6, 0xffff, v6
	;;#ASMSTART
	v_cvt_f32_f16 v6, v6;
	;;#ASMEND
	;;#ASMSTART
	v_cvt_f32_f16 v7, v7;
	;;#ASMEND
	s_nop 0
	v_add_f32_e32 v6, v6, v7
	v_add_f32_e32 v4, v4, v6
	s_and_saveexec_b64 s[2:3], vcc
	s_cbranch_execz .LBB94_50
; %bb.60:                               ;   in Loop: Header=BB94_52 Depth=1
	v_mov_b32_e32 v17, v13
	v_lshl_add_u64 v[6:7], v[18:19], 0, v[16:17]
	global_load_dwordx4 v[6:9], v[6:7], off
	s_and_saveexec_b64 s[16:17], s[0:1]
	s_cbranch_execz .LBB94_49
; %bb.61:                               ;   in Loop: Header=BB94_52 Depth=1
	v_or_b32_e32 v32, 7, v27
	v_or_b32_e32 v33, 6, v27
	s_waitcnt vmcnt(0)
	v_lshrrev_b32_e32 v34, 16, v9
	v_cmp_gt_i32_e64 s[0:1], s38, v32
	v_or_b32_e32 v20, 5, v27
	v_or_b32_e32 v21, 4, v27
	v_cndmask_b32_e64 v32, 0, v34, s[0:1]
	v_cmp_gt_i32_e64 s[0:1], s37, v33
	v_or_b32_e32 v18, 3, v27
	v_or_b32_e32 v19, 2, v27
	v_cndmask_b32_e64 v9, 0, v9, s[0:1]
	v_perm_b32 v9, v32, v9, s30
	v_lshrrev_b32_e32 v32, 16, v8
	v_cmp_gt_i32_e64 s[0:1], s36, v20
	v_add_u32_e32 v17, 1, v27
	s_nop 0
	v_cndmask_b32_e64 v20, 0, v32, s[0:1]
	v_cmp_gt_i32_e64 s[0:1], s28, v21
	s_nop 1
	v_cndmask_b32_e64 v8, 0, v8, s[0:1]
	v_perm_b32 v8, v20, v8, s30
	v_lshrrev_b32_e32 v20, 16, v7
	v_cmp_gt_i32_e64 s[0:1], s23, v18
	s_nop 1
	v_cndmask_b32_e64 v18, 0, v20, s[0:1]
	v_cmp_gt_i32_e64 s[0:1], s22, v19
	s_nop 1
	v_cndmask_b32_e64 v7, 0, v7, s[0:1]
	v_perm_b32 v7, v18, v7, s30
	v_lshrrev_b32_e32 v18, 16, v6
	v_cmp_gt_i32_e64 s[0:1], s21, v17
	s_nop 1
	v_cndmask_b32_e64 v17, 0, v18, s[0:1]
	v_cmp_gt_i32_e64 s[0:1], s29, v27
	s_nop 1
	v_cndmask_b32_e64 v6, 0, v6, s[0:1]
	v_perm_b32 v6, v17, v6, s30
	s_branch .LBB94_49
.LBB94_62:
	s_or_b64 exec, exec, s[12:13]
.LBB94_63:
	s_or_b64 exec, exec, s[10:11]
	ds_bpermute_b32 v6, v22, v2
	ds_bpermute_b32 v7, v22, v3
	ds_bpermute_b32 v8, v22, v4
	ds_bpermute_b32 v9, v22, v5
	v_and_b32_e32 v1, 0x3c0, v0
	v_cmp_eq_u32_e32 vcc, 64, v1
	s_waitcnt lgkmcnt(2)
	v_pk_add_f32 v[6:7], v[2:3], v[6:7]
	s_waitcnt lgkmcnt(0)
	v_pk_add_f32 v[2:3], v[4:5], v[8:9]
	s_barrier
	s_and_saveexec_b64 s[2:3], vcc
	s_cbranch_execz .LBB94_68
; %bb.64:
	v_cmp_eq_u32_e32 vcc, 0, v23
	s_and_saveexec_b64 s[0:1], vcc
	s_cbranch_execz .LBB94_66
; %bb.65:
	v_mov_b32_e32 v1, 0xf0
	v_lshl_add_u32 v1, v24, 2, v1
	ds_write2_b32 v1, v6, v7 offset1:32
	ds_write_b32 v1, v2 offset:256
.LBB94_66:
	s_or_b64 exec, exec, s[0:1]
	v_or_b32_e32 v1, 0x60, v24
	s_movk_i32 s0, 0x70
	v_cmp_gt_u32_e64 s[0:1], s0, v1
	s_and_b64 s[0:1], vcc, s[0:1]
	s_and_b64 exec, exec, s[0:1]
	s_cbranch_execz .LBB94_68
; %bb.67:
	v_mov_b32_e32 v1, 0xf0
	v_lshl_add_u32 v1, v24, 2, v1
	ds_write_b32 v1, v3 offset:384
.LBB94_68:
	s_or_b64 exec, exec, s[2:3]
	v_cmp_gt_u32_e32 vcc, 64, v0
	v_lshrrev_b32_e32 v0, 1, v0
	s_waitcnt lgkmcnt(0)
	s_barrier
	s_and_saveexec_b64 s[8:9], vcc
	s_cbranch_execz .LBB94_76
; %bb.69:
	v_cmp_eq_u32_e64 s[0:1], 0, v23
	s_and_saveexec_b64 s[2:3], s[0:1]
	s_cbranch_execnz .LBB94_82
; %bb.70:
	s_or_b64 exec, exec, s[2:3]
	s_and_saveexec_b64 s[2:3], s[0:1]
	s_cbranch_execnz .LBB94_83
.LBB94_71:
	s_or_b64 exec, exec, s[2:3]
	s_and_saveexec_b64 s[2:3], s[0:1]
	s_cbranch_execz .LBB94_73
.LBB94_72:
	v_mov_b32_e32 v1, 0xf0
	v_lshl_add_u32 v1, v0, 2, v1
	ds_read_b32 v1, v1 offset:256
	s_waitcnt lgkmcnt(0)
	v_add_f32_e32 v2, v2, v1
.LBB94_73:
	s_or_b64 exec, exec, s[2:3]
	v_or_b32_e32 v1, 0x60, v0
	s_movk_i32 s2, 0x70
	v_cmp_gt_u32_e64 s[2:3], s2, v1
	s_and_b64 s[2:3], s[0:1], s[2:3]
	s_and_saveexec_b64 s[0:1], s[2:3]
	s_cbranch_execz .LBB94_75
; %bb.74:
	v_mov_b32_e32 v1, 0xf0
	v_lshl_add_u32 v1, v0, 2, v1
	ds_read_b32 v1, v1 offset:384
	s_waitcnt lgkmcnt(0)
	v_add_f32_e32 v3, v3, v1
.LBB94_75:
	s_or_b64 exec, exec, s[0:1]
.LBB94_76:
	s_or_b64 exec, exec, s[8:9]
	s_barrier
	s_and_saveexec_b64 s[0:1], vcc
	s_cbranch_execz .LBB94_81
; %bb.77:
	s_mul_i32 s0, s6, 0x70
	s_ashr_i32 s1, s0, 31
	s_lshl_b64 s[0:1], s[0:1], 1
	s_add_u32 s2, s26, s0
	s_mul_i32 s0, s19, s24
	s_addc_u32 s3, s27, s1
	s_ashr_i32 s1, s0, 31
	s_lshl_b64 s[0:1], s[0:1], 1
	s_add_u32 s2, s2, s0
	s_mul_i32 s0, s4, 0x70
	s_addc_u32 s3, s3, s1
	s_ashr_i32 s1, s0, 31
	s_lshl_b64 s[0:1], s[0:1], 1
	s_add_u32 s2, s2, s0
	s_movk_i32 s5, 0x70
	s_addc_u32 s3, s3, s1
	v_cmp_eq_u32_e32 vcc, 0, v23
	v_lshlrev_b32_e32 v1, 1, v0
	s_and_saveexec_b64 s[0:1], vcc
	s_cbranch_execz .LBB94_79
; %bb.78:
	;;#ASMSTART
	v_cvt_f16_f32 v4, v6;

	;;#ASMEND
	global_store_short v1, v4, s[2:3]
	;;#ASMSTART
	v_cvt_f16_f32 v4, v7;

	;;#ASMEND
	global_store_short v1, v4, s[2:3] offset:64
	;;#ASMSTART
	v_cvt_f16_f32 v2, v2;

	;;#ASMEND
	global_store_short v1, v2, s[2:3] offset:128
.LBB94_79:
	s_or_b64 exec, exec, s[0:1]
	v_or_b32_e32 v0, 0x60, v0
	v_cmp_gt_u32_e64 s[0:1], s5, v0
	s_and_b64 s[0:1], vcc, s[0:1]
	s_and_b64 exec, exec, s[0:1]
	s_cbranch_execz .LBB94_81
; %bb.80:
	;;#ASMSTART
	v_cvt_f16_f32 v0, v3;

	;;#ASMEND
	global_store_short v1, v0, s[2:3] offset:192
.LBB94_81:
	s_endpgm
.LBB94_82:
	v_mov_b32_e32 v1, 0xf0
	v_lshl_add_u32 v1, v0, 2, v1
	ds_read_b32 v1, v1
	s_waitcnt lgkmcnt(0)
	v_add_f32_e32 v6, v6, v1
	s_or_b64 exec, exec, s[2:3]
	s_and_saveexec_b64 s[2:3], s[0:1]
	s_cbranch_execz .LBB94_71
.LBB94_83:
	v_mov_b32_e32 v1, 0xf0
	v_lshl_add_u32 v1, v0, 2, v1
	ds_read_b32 v1, v1 offset:128
	s_waitcnt lgkmcnt(0)
	v_add_f32_e32 v7, v7, v1
	s_or_b64 exec, exec, s[2:3]
	s_and_saveexec_b64 s[2:3], s[0:1]
	s_cbranch_execnz .LBB94_72
	s_branch .LBB94_73
	.section	.rodata,"a",@progbits
	.p2align	6, 0x0
	.amdhsa_kernel _ZN4vllm25paged_attention_v2_kernelIttLi112ELi16ELi128ELNS_18Fp8KVCacheDataTypeE0ELb1ELi512EEEvPfS2_PT_PKS3_PKT0_S9_ifPKiSB_iPKfiiiSD_SD_iiiii
		.amdhsa_group_segment_fixed_size 240
		.amdhsa_private_segment_fixed_size 0
		.amdhsa_kernarg_size 400
		.amdhsa_user_sgpr_count 2
		.amdhsa_user_sgpr_dispatch_ptr 0
		.amdhsa_user_sgpr_queue_ptr 0
		.amdhsa_user_sgpr_kernarg_segment_ptr 1
		.amdhsa_user_sgpr_dispatch_id 0
		.amdhsa_user_sgpr_kernarg_preload_length 0
		.amdhsa_user_sgpr_kernarg_preload_offset 0
		.amdhsa_user_sgpr_private_segment_size 0
		.amdhsa_uses_dynamic_stack 0
		.amdhsa_enable_private_segment 0
		.amdhsa_system_sgpr_workgroup_id_x 1
		.amdhsa_system_sgpr_workgroup_id_y 1
		.amdhsa_system_sgpr_workgroup_id_z 1
		.amdhsa_system_sgpr_workgroup_info 0
		.amdhsa_system_vgpr_workitem_id 0
		.amdhsa_next_free_vgpr 67
		.amdhsa_next_free_sgpr 52
		.amdhsa_accum_offset 68
		.amdhsa_reserve_vcc 1
		.amdhsa_float_round_mode_32 0
		.amdhsa_float_round_mode_16_64 0
		.amdhsa_float_denorm_mode_32 3
		.amdhsa_float_denorm_mode_16_64 3
		.amdhsa_dx10_clamp 1
		.amdhsa_ieee_mode 1
		.amdhsa_fp16_overflow 0
		.amdhsa_tg_split 0
		.amdhsa_exception_fp_ieee_invalid_op 0
		.amdhsa_exception_fp_denorm_src 0
		.amdhsa_exception_fp_ieee_div_zero 0
		.amdhsa_exception_fp_ieee_overflow 0
		.amdhsa_exception_fp_ieee_underflow 0
		.amdhsa_exception_fp_ieee_inexact 0
		.amdhsa_exception_int_div_zero 0
	.end_amdhsa_kernel
	.section	.text._ZN4vllm25paged_attention_v2_kernelIttLi112ELi16ELi128ELNS_18Fp8KVCacheDataTypeE0ELb1ELi512EEEvPfS2_PT_PKS3_PKT0_S9_ifPKiSB_iPKfiiiSD_SD_iiiii,"axG",@progbits,_ZN4vllm25paged_attention_v2_kernelIttLi112ELi16ELi128ELNS_18Fp8KVCacheDataTypeE0ELb1ELi512EEEvPfS2_PT_PKS3_PKT0_S9_ifPKiSB_iPKfiiiSD_SD_iiiii,comdat
.Lfunc_end94:
	.size	_ZN4vllm25paged_attention_v2_kernelIttLi112ELi16ELi128ELNS_18Fp8KVCacheDataTypeE0ELb1ELi512EEEvPfS2_PT_PKS3_PKT0_S9_ifPKiSB_iPKfiiiSD_SD_iiiii, .Lfunc_end94-_ZN4vllm25paged_attention_v2_kernelIttLi112ELi16ELi128ELNS_18Fp8KVCacheDataTypeE0ELb1ELi512EEEvPfS2_PT_PKS3_PKT0_S9_ifPKiSB_iPKfiiiSD_SD_iiiii
                                        ; -- End function
	.section	.AMDGPU.csdata,"",@progbits
; Kernel info:
; codeLenInByte = 7164
; NumSgprs: 58
; NumVgprs: 67
; NumAgprs: 0
; TotalNumVgprs: 67
; ScratchSize: 0
; MemoryBound: 0
; FloatMode: 240
; IeeeMode: 1
; LDSByteSize: 240 bytes/workgroup (compile time only)
; SGPRBlocks: 7
; VGPRBlocks: 8
; NumSGPRsForWavesPerEU: 58
; NumVGPRsForWavesPerEU: 67
; AccumOffset: 68
; Occupancy: 7
; WaveLimiterHint : 1
; COMPUTE_PGM_RSRC2:SCRATCH_EN: 0
; COMPUTE_PGM_RSRC2:USER_SGPR: 2
; COMPUTE_PGM_RSRC2:TRAP_HANDLER: 0
; COMPUTE_PGM_RSRC2:TGID_X_EN: 1
; COMPUTE_PGM_RSRC2:TGID_Y_EN: 1
; COMPUTE_PGM_RSRC2:TGID_Z_EN: 1
; COMPUTE_PGM_RSRC2:TIDIG_COMP_CNT: 0
; COMPUTE_PGM_RSRC3_GFX90A:ACCUM_OFFSET: 16
; COMPUTE_PGM_RSRC3_GFX90A:TG_SPLIT: 0
	.section	.text._ZN4vllm25paged_attention_v2_kernelIttLi120ELi16ELi128ELNS_18Fp8KVCacheDataTypeE0ELb1ELi512EEEvPfS2_PT_PKS3_PKT0_S9_ifPKiSB_iPKfiiiSD_SD_iiiii,"axG",@progbits,_ZN4vllm25paged_attention_v2_kernelIttLi120ELi16ELi128ELNS_18Fp8KVCacheDataTypeE0ELb1ELi512EEEvPfS2_PT_PKS3_PKT0_S9_ifPKiSB_iPKfiiiSD_SD_iiiii,comdat
	.protected	_ZN4vllm25paged_attention_v2_kernelIttLi120ELi16ELi128ELNS_18Fp8KVCacheDataTypeE0ELb1ELi512EEEvPfS2_PT_PKS3_PKT0_S9_ifPKiSB_iPKfiiiSD_SD_iiiii ; -- Begin function _ZN4vllm25paged_attention_v2_kernelIttLi120ELi16ELi128ELNS_18Fp8KVCacheDataTypeE0ELb1ELi512EEEvPfS2_PT_PKS3_PKT0_S9_ifPKiSB_iPKfiiiSD_SD_iiiii
	.globl	_ZN4vllm25paged_attention_v2_kernelIttLi120ELi16ELi128ELNS_18Fp8KVCacheDataTypeE0ELb1ELi512EEEvPfS2_PT_PKS3_PKT0_S9_ifPKiSB_iPKfiiiSD_SD_iiiii
	.p2align	8
	.type	_ZN4vllm25paged_attention_v2_kernelIttLi120ELi16ELi128ELNS_18Fp8KVCacheDataTypeE0ELb1ELi512EEEvPfS2_PT_PKS3_PKT0_S9_ifPKiSB_iPKfiiiSD_SD_iiiii,@function
_ZN4vllm25paged_attention_v2_kernelIttLi120ELi16ELi128ELNS_18Fp8KVCacheDataTypeE0ELb1ELi512EEEvPfS2_PT_PKS3_PKT0_S9_ifPKiSB_iPKfiiiSD_SD_iiiii: ; @_ZN4vllm25paged_attention_v2_kernelIttLi120ELi16ELi128ELNS_18Fp8KVCacheDataTypeE0ELb1ELi512EEEvPfS2_PT_PKS3_PKT0_S9_ifPKiSB_iPKfiiiSD_SD_iiiii
; %bb.0:
	s_load_dwordx2 s[6:7], s[0:1], 0x40
	s_mov_b32 s28, s3
	s_ashr_i32 s29, s3, 31
	s_lshl_b64 s[8:9], s[28:29], 2
	s_waitcnt lgkmcnt(0)
	s_add_u32 s6, s6, s8
	s_addc_u32 s7, s7, s9
	s_load_dword s29, s[6:7], 0x0
	s_lshl_b32 s49, s4, 9
	s_waitcnt lgkmcnt(0)
	s_cmp_ge_i32 s49, s29
	s_cbranch_scc1 .LBB95_81
; %bb.1:
	s_load_dword s5, s[0:1], 0x90
	s_load_dwordx2 s[38:39], s[0:1], 0x30
	s_mov_b32 s50, 0
	s_waitcnt lgkmcnt(0)
	s_abs_i32 s7, s5
	s_abs_i32 s3, s38
	v_cvt_f32_u32_e32 v1, s3
	s_sub_i32 s8, 0, s3
	s_xor_b32 s6, s5, s38
	s_ashr_i32 s6, s6, 31
	v_rcp_iflag_f32_e32 v1, v1
	s_nop 0
	v_mul_f32_e32 v1, 0x4f7ffffe, v1
	v_cvt_u32_f32_e32 v1, v1
	s_nop 0
	v_readfirstlane_b32 s9, v1
	s_mul_i32 s8, s8, s9
	s_mul_hi_u32 s8, s9, s8
	s_add_i32 s9, s9, s8
	s_mul_hi_u32 s8, s7, s9
	s_mul_i32 s9, s8, s3
	s_sub_i32 s7, s7, s9
	s_add_i32 s10, s8, 1
	s_sub_i32 s9, s7, s3
	s_cmp_ge_u32 s7, s3
	s_cselect_b32 s8, s10, s8
	s_cselect_b32 s7, s9, s7
	s_add_i32 s9, s8, 1
	s_cmp_ge_u32 s7, s3
	s_cselect_b32 s3, s9, s8
	s_xor_b32 s3, s3, s6
	s_sub_i32 s11, s3, s6
	s_abs_i32 s8, s11
	v_cvt_f32_u32_e32 v1, s8
	s_load_dwordx2 s[6:7], s[0:1], 0x50
	s_sub_i32 s3, 0, s8
	s_abs_i32 s9, s2
	v_rcp_iflag_f32_e32 v1, v1
	s_nop 0
	v_mul_f32_e32 v1, 0x4f7ffffe, v1
	v_cvt_u32_f32_e32 v1, v1
	s_nop 0
	v_readfirstlane_b32 s10, v1
	s_mul_i32 s3, s3, s10
	s_mul_hi_u32 s3, s10, s3
	s_add_i32 s10, s10, s3
	s_waitcnt lgkmcnt(0)
	s_cmp_eq_u64 s[6:7], 0
	s_mul_hi_u32 s10, s9, s10
	s_cbranch_scc1 .LBB95_3
; %bb.2:
	s_ashr_i32 s3, s2, 31
	s_lshl_b64 s[12:13], s[2:3], 2
	s_add_u32 s6, s6, s12
	s_addc_u32 s7, s7, s13
	s_load_dword s50, s[6:7], 0x0
.LBB95_3:
	s_load_dwordx4 s[12:15], s[0:1], 0x58
	s_ashr_i32 s3, s2, 31
	s_ashr_i32 s11, s11, 31
	v_and_b32_e32 v4, 3, v0
	s_mul_i32 s24, s2, 0x78
	v_cmp_gt_u32_e32 vcc, 60, v0
	s_and_saveexec_b64 s[6:7], vcc
	s_cbranch_execz .LBB95_5
; %bb.4:
	s_load_dwordx2 s[16:17], s[0:1], 0x18
	s_waitcnt lgkmcnt(0)
	s_mul_i32 s18, s28, s12
	s_ashr_i32 s19, s18, 31
	s_lshl_b64 s[18:19], s[18:19], 1
	v_lshlrev_b32_e32 v1, 2, v0
	s_add_u32 s12, s16, s18
	s_addc_u32 s15, s17, s19
	s_ashr_i32 s25, s24, 31
	s_lshl_b64 s[16:17], s[24:25], 1
	s_add_u32 s16, s12, s16
	s_addc_u32 s17, s15, s17
	global_load_dword v1, v1, s[16:17]
	v_and_b32_e32 v2, 0x3fc, v0
	v_mad_u32_u24 v2, v4, 60, v2
	s_waitcnt vmcnt(0)
	ds_write_b32 v2, v1
.LBB95_5:
	s_or_b64 exec, exec, s[6:7]
	s_mul_i32 s6, s10, s8
	s_sub_i32 s6, s9, s6
	s_xor_b32 s3, s3, s11
	s_add_i32 s7, s10, 1
	s_sub_i32 s9, s6, s8
	s_load_dwordx4 s[16:19], s[0:1], 0x78
	s_cmp_ge_u32 s6, s8
	s_cselect_b32 s7, s7, s10
	s_cselect_b32 s6, s9, s6
	s_add_i32 s9, s7, 1
	s_cmp_ge_u32 s6, s8
	s_cselect_b32 s6, s9, s7
	s_load_dword s9, s[0:1], 0x88
	s_waitcnt lgkmcnt(0)
	s_abs_i32 s25, s19
	v_cvt_f32_u32_e32 v1, s25
	s_xor_b32 s6, s6, s3
	s_sub_i32 s10, s6, s3
	s_sub_i32 s6, 0, s25
	v_rcp_iflag_f32_e32 v1, v1
	s_add_i32 s11, s29, -1
	s_abs_i32 s3, s11
	v_mul_f32_e32 v1, 0x4f7ffffe, v1
	v_cvt_u32_f32_e32 v1, v1
	s_barrier
	v_readfirstlane_b32 s33, v1
	s_mul_i32 s6, s6, s33
	s_mul_hi_u32 s6, s33, s6
	s_add_i32 s33, s33, s6
	s_cmp_lt_i32 s9, 0
	s_mul_hi_u32 s8, s3, s33
	s_cbranch_scc0 .LBB95_7
; %bb.6:
	s_mul_i32 s6, s16, s38
	s_add_i32 s6, s10, s6
	s_mul_i32 s6, s6, s9
	s_sub_i32 s46, 1, s6
	s_mov_b64 s[6:7], 0
	s_branch .LBB95_8
.LBB95_7:
	s_mov_b64 s[6:7], -1
                                        ; implicit-def: $sgpr46
.LBB95_8:
	s_load_dwordx2 s[30:31], s[0:1], 0x38
	s_ashr_i32 s11, s11, 31
	s_andn2_b64 vcc, exec, s[6:7]
	s_ashr_i32 s47, s19, 31
	s_cbranch_vccnz .LBB95_10
; %bb.9:
	s_mul_i32 s6, s5, s16
	s_add_i32 s6, s6, s2
	s_mul_i32 s6, s6, s9
	s_add_i32 s46, s6, 1
.LBB95_10:
	s_load_dword s6, s[0:1], 0x48
	s_load_dwordx2 s[36:37], s[0:1], 0x28
	s_load_dword s19, s[0:1], 0x98
	s_load_dwordx4 s[20:23], s[0:1], 0x0
	s_load_dwordx2 s[26:27], s[0:1], 0x10
	s_mul_i32 s7, s8, s25
	s_waitcnt lgkmcnt(0)
	s_mul_i32 s34, s28, s6
	s_sub_i32 s3, s3, s7
	s_ashr_i32 s35, s34, 31
	s_xor_b32 s6, s11, s47
	s_add_i32 s7, s8, 1
	s_sub_i32 s9, s3, s25
	s_cmp_ge_u32 s3, s25
	s_cselect_b32 s7, s7, s8
	s_cselect_b32 s3, s9, s3
	s_add_i32 s8, s7, 1
	s_cmp_ge_u32 s3, s25
	s_cselect_b32 s3, s8, s7
	s_xor_b32 s3, s3, s6
	s_sub_i32 s12, s3, s6
	s_add_i32 s3, s29, 15
	s_ashr_i32 s6, s3, 31
	s_lshr_b32 s6, s6, 28
	s_add_i32 s3, s3, s6
	s_lshl_b32 s16, s4, 5
	s_ashr_i32 s3, s3, 4
	s_add_i32 s6, s16, 32
	v_lshrrev_b32_e32 v6, 6, v0
	s_min_i32 s48, s6, s3
	v_or_b32_e32 v10, s16, v6
	v_cmp_gt_i32_e64 s[8:9], s48, v10
	v_mov_b32_e32 v12, 0xff7fffff
	s_mul_i32 s14, s10, s14
	v_ashrrev_i32_e32 v11, 31, v10
	v_lshl_add_u32 v1, v6, 4, s49
	v_mbcnt_lo_u32_b32 v7, -1, 0
	s_and_saveexec_b64 s[40:41], s[8:9]
	s_cbranch_execz .LBB95_20
; %bb.11:
	s_load_dwordx2 s[0:1], s[0:1], 0x20
	s_ashr_i32 s15, s14, 31
	s_sub_i32 s38, s12, s17
	s_lshl_b64 s[6:7], s[14:15], 1
	v_bfe_u32 v8, v0, 2, 4
	s_waitcnt lgkmcnt(0)
	s_add_u32 s0, s0, s6
	s_addc_u32 s1, s1, s7
	s_abs_i32 s15, s18
	v_cvt_f32_u32_e32 v5, s15
	v_lshlrev_b32_e32 v2, 4, v8
	v_mov_b32_e32 v3, 0
	v_lshl_add_u64 v[12:13], s[0:1], 0, v[2:3]
	v_rcp_iflag_f32_e32 v5, v5
	v_lshlrev_b32_e32 v2, 2, v0
	v_and_b32_e32 v2, 12, v2
	v_lshl_add_u64 v[2:3], v[12:13], 0, v[2:3]
	v_mul_f32_e32 v5, 0x4f7ffffe, v5
	v_cvt_u32_f32_e32 v5, v5
	s_sub_i32 s0, 0, s15
	v_lshlrev_b32_e32 v12, 2, v8
	v_cmp_eq_u32_e32 vcc, 0, v4
	v_mul_u32_u24_e32 v9, 60, v4
	v_mul_lo_u32 v4, s0, v5
	s_lshl_b64 s[0:1], s[34:35], 2
	v_lshl_or_b32 v12, v6, 6, v12
	s_add_u32 s0, s30, s0
	v_add_u32_e32 v15, 0x100, v12
	v_subrev_u32_e32 v12, s29, v8
	v_mbcnt_hi_u32_b32 v18, -1, v7
	v_mul_hi_u32 v4, v5, v4
	s_addc_u32 s1, s31, s1
	v_add_u32_e32 v16, 1, v12
	v_and_b32_e32 v12, 64, v18
	s_mov_b32 s51, s13
	v_cmp_neq_f32_e64 s[6:7], s50, 0
	v_add_u32_e32 v13, v5, v4
	v_lshl_add_u64 v[4:5], v[10:11], 2, s[0:1]
	v_lshl_add_u32 v14, v6, 4, s49
	s_mov_b64 s[42:43], 0
	v_mov_b32_e32 v17, 0xff7fffff
	v_add_u32_e32 v19, 64, v12
	v_xor_b32_e32 v20, 2, v18
	v_xor_b32_e32 v21, 1, v18
	v_mov_b32_e32 v12, 0xff7fffff
	v_mov_b32_e32 v22, v10
	s_branch .LBB95_14
.LBB95_12:                              ;   in Loop: Header=BB95_14 Depth=1
	s_or_b64 exec, exec, s[44:45]
.LBB95_13:                              ;   in Loop: Header=BB95_14 Depth=1
	s_or_b64 exec, exec, s[10:11]
	v_add_u32_e32 v22, 2, v22
	v_cmp_le_i32_e64 s[0:1], s48, v22
	v_lshl_add_u64 v[4:5], v[4:5], 0, 8
	v_add_u32_e32 v14, 32, v14
	s_or_b64 s[42:43], s[0:1], s[42:43]
	v_add_u32_e32 v15, 0x80, v15
	s_andn2_b64 exec, exec, s[42:43]
	s_cbranch_execz .LBB95_19
.LBB95_14:                              ; =>This Inner Loop Header: Depth=1
	s_waitcnt lgkmcnt(0)
	v_sub_u32_e32 v24, 0, v14
	v_max_i32_e32 v24, v14, v24
	v_mul_hi_u32 v25, v24, s33
	v_mul_lo_u32 v26, v25, s25
	v_sub_u32_e32 v24, v24, v26
	v_add_u32_e32 v26, 1, v25
	v_cmp_le_u32_e64 s[0:1], s25, v24
	v_ashrrev_i32_e32 v23, 31, v14
	v_xor_b32_e32 v23, s47, v23
	v_cndmask_b32_e64 v25, v25, v26, s[0:1]
	v_subrev_u32_e32 v26, s25, v24
	v_cndmask_b32_e64 v24, v24, v26, s[0:1]
	v_add_u32_e32 v26, 1, v25
	v_cmp_le_u32_e64 s[0:1], s25, v24
	s_nop 1
	v_cndmask_b32_e64 v24, v25, v26, s[0:1]
	v_xor_b32_e32 v24, v24, v23
	v_sub_u32_e32 v23, v24, v23
	v_add_u32_e32 v24, s46, v23
	v_sub_u32_e32 v26, 0, v24
	v_ashrrev_i32_e32 v25, 31, v24
	v_max_i32_e32 v24, v24, v26
	v_mul_hi_u32 v26, v24, v13
	v_mul_lo_u32 v26, v26, s15
	v_sub_u32_e32 v24, v24, v26
	v_subrev_u32_e32 v26, s15, v24
	v_cmp_le_u32_e64 s[0:1], s15, v24
	v_cmp_ge_i32_e64 s[10:11], s38, v23
	s_nop 0
	v_cndmask_b32_e64 v24, v24, v26, s[0:1]
	v_subrev_u32_e32 v26, s15, v24
	v_cmp_le_u32_e64 s[0:1], s15, v24
	s_nop 1
	v_cndmask_b32_e64 v24, v24, v26, s[0:1]
	v_xor_b32_e32 v24, v24, v25
	v_sub_u32_e32 v24, v24, v25
	v_cmp_ne_u32_e64 s[0:1], 0, v24
	s_and_b64 s[0:1], s[0:1], s[10:11]
	s_and_b64 s[44:45], vcc, s[0:1]
	s_and_saveexec_b64 s[10:11], s[44:45]
	s_cbranch_execz .LBB95_16
; %bb.15:                               ;   in Loop: Header=BB95_14 Depth=1
	ds_write_b32 v15, v17
.LBB95_16:                              ;   in Loop: Header=BB95_14 Depth=1
	s_or_b64 exec, exec, s[10:11]
	s_xor_b64 s[0:1], s[0:1], -1
	s_and_saveexec_b64 s[10:11], s[0:1]
	s_cbranch_execz .LBB95_13
; %bb.17:                               ;   in Loop: Header=BB95_14 Depth=1
	global_load_dword v23, v[4:5], off
	s_waitcnt vmcnt(0)
	v_mad_i64_i32 v[24:25], s[0:1], v23, s51, 0
	v_lshl_add_u64 v[30:31], v[24:25], 1, v[2:3]
	global_load_dword v29, v[30:31], off
	global_load_dword v32, v[30:31], off offset:256
	global_load_dword v33, v[30:31], off offset:512
	;; [unrolled: 1-line block ×12, first 2 shown]
	ds_read_b32 v40, v9
	global_load_dword v24, v[30:31], off offset:3328
	global_load_dword v23, v[30:31], off offset:3584
	v_cmp_lt_i32_e64 s[0:1], v20, v19
	s_waitcnt lgkmcnt(0)
	v_lshrrev_b32_e32 v31, 16, v40
	v_and_b32_e32 v40, 0xffff, v40
	;;#ASMSTART
	v_cvt_f32_f16 v40, v40;
	;;#ASMEND
	;;#ASMSTART
	v_cvt_f32_f16 v31, v31;
	;;#ASMEND
	v_cndmask_b32_e64 v30, v18, v20, s[0:1]
	v_lshlrev_b32_e32 v30, 2, v30
	v_cmp_lt_i32_e64 s[0:1], v21, v19
	s_waitcnt vmcnt(14)
	v_lshrrev_b32_e32 v41, 16, v29
	v_and_b32_e32 v29, 0xffff, v29
	;;#ASMSTART
	v_cvt_f32_f16 v29, v29;
	;;#ASMEND
	;;#ASMSTART
	v_cvt_f32_f16 v41, v41;
	;;#ASMEND
	ds_read_b32 v42, v9 offset:4
	s_waitcnt vmcnt(13)
	v_lshrrev_b32_e32 v43, 16, v32
	v_and_b32_e32 v32, 0xffff, v32
	s_waitcnt vmcnt(12)
	v_lshrrev_b32_e32 v44, 16, v33
	v_and_b32_e32 v33, 0xffff, v33
	s_waitcnt lgkmcnt(0)
	v_lshrrev_b32_e32 v45, 16, v42
	v_and_b32_e32 v42, 0xffff, v42
	;;#ASMSTART
	v_cvt_f32_f16 v42, v42;
	;;#ASMEND
	;;#ASMSTART
	v_cvt_f32_f16 v45, v45;
	;;#ASMEND
	;;#ASMSTART
	v_cvt_f32_f16 v32, v32;
	;;#ASMEND
	;;#ASMSTART
	v_cvt_f32_f16 v43, v43;
	;;#ASMEND
	ds_read_b32 v46, v9 offset:8
	s_waitcnt vmcnt(11)
	v_lshrrev_b32_e32 v47, 16, v34
	v_and_b32_e32 v34, 0xffff, v34
	s_waitcnt vmcnt(10)
	v_lshrrev_b32_e32 v48, 16, v35
	v_and_b32_e32 v35, 0xffff, v35
	s_waitcnt lgkmcnt(0)
	v_lshrrev_b32_e32 v49, 16, v46
	v_and_b32_e32 v46, 0xffff, v46
	;;#ASMSTART
	v_cvt_f32_f16 v46, v46;
	;;#ASMEND
	;;#ASMSTART
	v_cvt_f32_f16 v49, v49;
	;;#ASMEND
	;; [unrolled: 22-line block ×3, first 2 shown]
	;;#ASMSTART
	v_cvt_f32_f16 v34, v34;
	;;#ASMEND
	;;#ASMSTART
	v_cvt_f32_f16 v47, v47;
	;;#ASMEND
	ds_read_b32 v54, v9 offset:16
	s_waitcnt vmcnt(7)
	v_lshrrev_b32_e32 v55, 16, v38
	v_and_b32_e32 v38, 0xffff, v38
	v_mul_f32_e32 v32, v42, v32
	v_mul_f32_e32 v42, v45, v43
	s_waitcnt lgkmcnt(0)
	v_lshrrev_b32_e32 v57, 16, v54
	v_and_b32_e32 v54, 0xffff, v54
	;;#ASMSTART
	v_cvt_f32_f16 v54, v54;
	;;#ASMEND
	;;#ASMSTART
	v_cvt_f32_f16 v57, v57;
	;;#ASMEND
	;; [unrolled: 3-line block ×4, first 2 shown]
	ds_read_b32 v58, v9 offset:20
	s_waitcnt vmcnt(6)
	v_lshrrev_b32_e32 v56, 16, v39
	v_and_b32_e32 v39, 0xffff, v39
	v_fmac_f32_e32 v32, v40, v29
	v_fmac_f32_e32 v42, v31, v41
	s_waitcnt lgkmcnt(0)
	v_lshrrev_b32_e32 v61, 16, v58
	v_and_b32_e32 v58, 0xffff, v58
	;;#ASMSTART
	v_cvt_f32_f16 v58, v58;
	;;#ASMEND
	;;#ASMSTART
	v_cvt_f32_f16 v61, v61;
	;;#ASMEND
	;; [unrolled: 3-line block ×4, first 2 shown]
	ds_read_b32 v62, v9 offset:24
	v_fmac_f32_e32 v32, v46, v33
	s_waitcnt vmcnt(5)
	v_lshrrev_b32_e32 v59, 16, v28
	v_and_b32_e32 v28, 0xffff, v28
	v_fmac_f32_e32 v32, v50, v34
	s_waitcnt lgkmcnt(0)
	v_lshrrev_b32_e32 v65, 16, v62
	v_and_b32_e32 v62, 0xffff, v62
	;;#ASMSTART
	v_cvt_f32_f16 v62, v62;
	;;#ASMEND
	;;#ASMSTART
	v_cvt_f32_f16 v65, v65;
	;;#ASMEND
	;; [unrolled: 3-line block ×4, first 2 shown]
	ds_read_b32 v66, v9 offset:28
	v_fmac_f32_e32 v32, v54, v35
	s_waitcnt vmcnt(4)
	v_lshrrev_b32_e32 v60, 16, v27
	v_and_b32_e32 v27, 0xffff, v27
	v_fmac_f32_e32 v32, v58, v36
	s_waitcnt lgkmcnt(0)
	v_lshrrev_b32_e32 v69, 16, v66
	v_and_b32_e32 v66, 0xffff, v66
	;;#ASMSTART
	v_cvt_f32_f16 v66, v66;
	;;#ASMEND
	;;#ASMSTART
	v_cvt_f32_f16 v69, v69;
	;;#ASMEND
	;; [unrolled: 3-line block ×4, first 2 shown]
	ds_read_b32 v70, v9 offset:32
	v_fmac_f32_e32 v42, v49, v44
	v_fmac_f32_e32 v32, v62, v37
	s_waitcnt vmcnt(3)
	v_lshrrev_b32_e32 v63, 16, v26
	v_and_b32_e32 v26, 0xffff, v26
	s_waitcnt lgkmcnt(0)
	v_lshrrev_b32_e32 v29, 16, v70
	v_and_b32_e32 v31, 0xffff, v70
	;;#ASMSTART
	v_cvt_f32_f16 v31, v31;
	;;#ASMEND
	;;#ASMSTART
	v_cvt_f32_f16 v29, v29;
	;;#ASMEND
	;; [unrolled: 3-line block ×4, first 2 shown]
	ds_read_b32 v41, v9 offset:36
	v_fmac_f32_e32 v32, v66, v38
	v_fmac_f32_e32 v42, v53, v47
	;; [unrolled: 1-line block ×4, first 2 shown]
	s_waitcnt lgkmcnt(0)
	v_lshrrev_b32_e32 v33, 16, v41
	v_and_b32_e32 v34, 0xffff, v41
	;;#ASMSTART
	v_cvt_f32_f16 v34, v34;
	;;#ASMEND
	;;#ASMSTART
	v_cvt_f32_f16 v33, v33;
	;;#ASMEND
	;; [unrolled: 3-line block ×4, first 2 shown]
	ds_read_b32 v43, v9 offset:40
	v_fmac_f32_e32 v42, v65, v52
	v_fmac_f32_e32 v42, v69, v55
	;; [unrolled: 1-line block ×3, first 2 shown]
	s_waitcnt vmcnt(2)
	v_lshrrev_b32_e32 v64, 16, v25
	s_waitcnt lgkmcnt(0)
	v_lshrrev_b32_e32 v35, 16, v43
	v_and_b32_e32 v36, 0xffff, v43
	;;#ASMSTART
	v_cvt_f32_f16 v36, v36;
	;;#ASMEND
	;;#ASMSTART
	v_cvt_f32_f16 v35, v35;
	;;#ASMEND
	;; [unrolled: 3-line block ×4, first 2 shown]
	ds_read_b32 v44, v9 offset:44
	v_and_b32_e32 v25, 0xffff, v25
	v_fmac_f32_e32 v42, v29, v40
	v_fmac_f32_e32 v32, v34, v28
	;; [unrolled: 1-line block ×3, first 2 shown]
	s_waitcnt lgkmcnt(0)
	v_lshrrev_b32_e32 v37, 16, v44
	v_and_b32_e32 v38, 0xffff, v44
	;;#ASMSTART
	v_cvt_f32_f16 v38, v38;
	;;#ASMEND
	;;#ASMSTART
	v_cvt_f32_f16 v37, v37;
	;;#ASMEND
	;; [unrolled: 3-line block ×4, first 2 shown]
	ds_read_b32 v45, v9 offset:48
	v_fmac_f32_e32 v32, v36, v27
	s_waitcnt vmcnt(1)
	v_lshrrev_b32_e32 v67, 16, v24
	v_and_b32_e32 v24, 0xffff, v24
	v_fmac_f32_e32 v32, v38, v26
	s_waitcnt lgkmcnt(0)
	v_lshrrev_b32_e32 v28, 16, v45
	v_and_b32_e32 v29, 0xffff, v45
	;;#ASMSTART
	v_cvt_f32_f16 v29, v29;
	;;#ASMEND
	;;#ASMSTART
	v_cvt_f32_f16 v28, v28;
	;;#ASMEND
	;; [unrolled: 3-line block ×4, first 2 shown]
	ds_read_b32 v33, v9 offset:52
	v_fmac_f32_e32 v42, v35, v43
	v_fmac_f32_e32 v42, v37, v44
	;; [unrolled: 1-line block ×4, first 2 shown]
	s_waitcnt lgkmcnt(0)
	v_lshrrev_b32_e32 v26, 16, v33
	v_and_b32_e32 v27, 0xffff, v33
	;;#ASMSTART
	v_cvt_f32_f16 v27, v27;
	;;#ASMEND
	;;#ASMSTART
	v_cvt_f32_f16 v26, v26;
	;;#ASMEND
	;; [unrolled: 3-line block ×4, first 2 shown]
	ds_read_b32 v34, v9 offset:56
	s_waitcnt vmcnt(0)
	v_lshrrev_b32_e32 v68, 16, v23
	v_and_b32_e32 v23, 0xffff, v23
	v_fmac_f32_e32 v32, v27, v24
	v_fmac_f32_e32 v42, v26, v33
	s_waitcnt lgkmcnt(0)
	v_lshrrev_b32_e32 v24, 16, v34
	v_and_b32_e32 v25, 0xffff, v34
	;;#ASMSTART
	v_cvt_f32_f16 v25, v25;
	;;#ASMEND
	;;#ASMSTART
	v_cvt_f32_f16 v24, v24;
	;;#ASMEND
	;; [unrolled: 3-line block ×4, first 2 shown]
	s_nop 0
	v_fmac_f32_e32 v32, v25, v23
	v_fmac_f32_e32 v42, v24, v26
	v_add_f32_e32 v23, v32, v42
	ds_bpermute_b32 v24, v30, v23
	v_cndmask_b32_e64 v25, v18, v21, s[0:1]
	s_waitcnt lgkmcnt(0)
	v_add_f32_e32 v23, v23, v24
	v_lshlrev_b32_e32 v24, 2, v25
	ds_bpermute_b32 v24, v24, v23
	s_and_saveexec_b64 s[44:45], vcc
	s_cbranch_execz .LBB95_12
; %bb.18:                               ;   in Loop: Header=BB95_14 Depth=1
	v_add_u32_e32 v25, v16, v14
	v_cvt_f32_i32_e32 v25, v25
	s_waitcnt lgkmcnt(0)
	v_add_f32_e32 v23, v23, v24
	v_add_u32_e32 v26, v8, v14
	v_cmp_gt_i32_e64 s[0:1], s29, v26
	v_mul_f32_e32 v24, s50, v25
	v_cndmask_b32_e64 v24, 0, v24, s[6:7]
	v_fmac_f32_e32 v24, s39, v23
	v_cndmask_b32_e64 v23, 0, v24, s[0:1]
	ds_write_b32 v15, v23
	v_max_f32_e32 v23, v12, v12
	v_max_f32_e32 v23, v23, v24
	v_cndmask_b32_e64 v12, v12, v23, s[0:1]
	s_branch .LBB95_12
.LBB95_19:
	s_or_b64 exec, exec, s[42:43]
.LBB95_20:
	s_or_b64 exec, exec, s[40:41]
	v_mbcnt_hi_u32_b32 v2, -1, v7
	v_and_b32_e32 v3, 64, v2
	v_add_u32_e32 v3, 64, v3
	v_xor_b32_e32 v4, 32, v2
	v_cmp_lt_i32_e32 vcc, v4, v3
	v_xor_b32_e32 v8, 16, v2
	v_max_f32_e32 v5, v12, v12
	v_cndmask_b32_e32 v4, v2, v4, vcc
	v_lshlrev_b32_e32 v7, 2, v4
	ds_bpermute_b32 v4, v7, v12
	v_cmp_lt_i32_e32 vcc, v8, v3
	v_xor_b32_e32 v9, 8, v2
	s_waitcnt lgkmcnt(0)
	v_max_f32_e32 v4, v4, v4
	v_max_f32_e32 v4, v5, v4
	v_cndmask_b32_e32 v5, v2, v8, vcc
	v_lshlrev_b32_e32 v8, 2, v5
	ds_bpermute_b32 v5, v8, v4
	v_cmp_lt_i32_e32 vcc, v9, v3
	s_waitcnt lgkmcnt(0)
	v_max_f32_e32 v5, v5, v5
	v_max_f32_e32 v4, v4, v5
	v_cndmask_b32_e32 v5, v2, v9, vcc
	v_lshlrev_b32_e32 v13, 2, v5
	ds_bpermute_b32 v5, v13, v4
	v_xor_b32_e32 v9, 4, v2
	v_cmp_lt_i32_e32 vcc, v9, v3
	s_waitcnt lgkmcnt(0)
	v_max_f32_e32 v5, v5, v5
	v_max_f32_e32 v5, v4, v5
	v_cndmask_b32_e32 v4, v2, v9, vcc
	v_lshlrev_b32_e32 v14, 2, v4
	ds_bpermute_b32 v12, v14, v5
	v_and_b32_e32 v4, 63, v0
	v_cmp_eq_u32_e32 vcc, 0, v4
	v_lshlrev_b32_e32 v9, 2, v6
	s_and_saveexec_b64 s[0:1], vcc
	s_cbranch_execz .LBB95_22
; %bb.21:
	s_waitcnt lgkmcnt(0)
	v_max_f32_e32 v12, v12, v12
	v_max_f32_e32 v5, v5, v5
	;; [unrolled: 1-line block ×3, first 2 shown]
	ds_write_b32 v9, v5 offset:240
.LBB95_22:
	s_or_b64 exec, exec, s[0:1]
	v_cmp_gt_u32_e64 s[0:1], 2, v4
	v_mov_b32_e32 v5, 0xff7fffff
	s_waitcnt lgkmcnt(0)
	v_lshlrev_b32_e32 v12, 2, v4
	s_barrier
	s_and_saveexec_b64 s[6:7], s[0:1]
	s_cbranch_execz .LBB95_24
; %bb.23:
	ds_read_b32 v5, v12 offset:240
.LBB95_24:
	s_or_b64 exec, exec, s[6:7]
	v_xor_b32_e32 v15, 1, v2
	v_cmp_lt_i32_e64 s[6:7], v15, v3
	v_mov_b32_e32 v16, 0
	s_nop 0
	v_cndmask_b32_e64 v15, v2, v15, s[6:7]
	v_lshlrev_b32_e32 v22, 2, v15
	s_waitcnt lgkmcnt(0)
	ds_bpermute_b32 v15, v22, v5
	v_max_f32_e32 v5, v5, v5
	s_sub_i32 s6, s48, s16
	s_lshl_b32 s6, s6, 4
	s_add_i32 s6, s6, s49
	s_waitcnt lgkmcnt(0)
	v_max_f32_e32 v15, v15, v15
	v_max_f32_e32 v5, v5, v15
	v_lshlrev_b32_e32 v15, 2, v2
	v_and_b32_e32 v15, 0x100, v15
	ds_bpermute_b32 v5, v15, v5
	s_min_i32 s16, s6, s29
	s_sub_i32 s15, s16, s49
	v_cmp_gt_i32_e64 s[6:7], s15, v0
	s_and_saveexec_b64 s[38:39], s[6:7]
	s_cbranch_execz .LBB95_28
; %bb.25:
	v_mov_b32_e32 v16, 0x100
	v_lshl_add_u32 v17, v0, 2, v16
	s_mov_b64 s[40:41], 0
	v_mov_b32_e32 v16, 0
	v_mov_b32_e32 v18, v0
.LBB95_26:                              ; =>This Inner Loop Header: Depth=1
	ds_read_b32 v19, v17
	v_add_u32_e32 v18, 0x80, v18
	v_cmp_le_i32_e64 s[10:11], s15, v18
	s_or_b64 s[40:41], s[10:11], s[40:41]
	s_waitcnt lgkmcnt(0)
	v_sub_f32_e32 v19, v19, v5
	v_mul_f32_e32 v19, 0x3fb8aa3b, v19
	v_exp_f32_e32 v19, v19
	ds_write_b32 v17, v19
	v_add_f32_e32 v16, v16, v19
	v_add_u32_e32 v17, 0x200, v17
	s_andn2_b64 exec, exec, s[40:41]
	s_cbranch_execnz .LBB95_26
; %bb.27:
	s_or_b64 exec, exec, s[40:41]
.LBB95_28:
	s_or_b64 exec, exec, s[38:39]
	ds_bpermute_b32 v7, v7, v16
	s_waitcnt lgkmcnt(0)
	v_add_f32_e32 v7, v16, v7
	ds_bpermute_b32 v8, v8, v7
	s_waitcnt lgkmcnt(0)
	v_add_f32_e32 v7, v7, v8
	ds_bpermute_b32 v8, v13, v7
	v_xor_b32_e32 v13, 2, v2
	v_cmp_lt_i32_e64 s[10:11], v13, v3
	s_waitcnt lgkmcnt(0)
	v_add_f32_e32 v7, v7, v8
	ds_bpermute_b32 v8, v14, v7
	v_cndmask_b32_e64 v2, v2, v13, s[10:11]
	v_lshlrev_b32_e32 v2, 2, v2
	s_waitcnt lgkmcnt(0)
	v_add_f32_e32 v3, v7, v8
	ds_bpermute_b32 v2, v2, v3
	s_waitcnt lgkmcnt(0)
	v_add_f32_e32 v2, v3, v2
	ds_bpermute_b32 v3, v22, v2
	s_waitcnt lgkmcnt(0)
	v_add_f32_e32 v2, v2, v3
	s_and_saveexec_b64 s[10:11], vcc
	s_cbranch_execz .LBB95_30
; %bb.29:
	ds_write_b32 v9, v2 offset:248
.LBB95_30:
	s_or_b64 exec, exec, s[10:11]
	s_waitcnt lgkmcnt(0)
	s_barrier
	s_and_saveexec_b64 s[10:11], s[0:1]
	s_cbranch_execz .LBB95_32
; %bb.31:
	ds_read_b32 v2, v12 offset:248
.LBB95_32:
	s_or_b64 exec, exec, s[10:11]
	s_waitcnt lgkmcnt(0)
	ds_bpermute_b32 v3, v22, v2
	s_waitcnt lgkmcnt(0)
	v_add_f32_e32 v2, v2, v3
	ds_bpermute_b32 v7, v15, v2
	s_and_saveexec_b64 s[0:1], s[6:7]
	s_cbranch_execz .LBB95_45
; %bb.33:
	s_waitcnt lgkmcnt(0)
	v_add_f32_e32 v2, 0x358637bd, v7
	v_div_scale_f32 v3, s[6:7], v2, v2, 1.0
	v_rcp_f32_e32 v8, v3
	v_div_scale_f32 v9, vcc, 1.0, v2, 1.0
	s_movk_i32 s6, 0x7f
	v_fma_f32 v12, -v3, v8, 1.0
	v_fmac_f32_e32 v8, v12, v8
	v_mul_f32_e32 v12, v9, v8
	v_fma_f32 v13, -v3, v12, v9
	v_fmac_f32_e32 v12, v13, v8
	v_fma_f32 v3, -v3, v12, v9
	v_div_fmas_f32 v3, v3, v8, v12
	v_div_fixup_f32 v2, v3, v2, 1.0
	v_xad_u32 v3, v0, -1, s16
	v_subrev_u32_e32 v8, s49, v3
	v_cmp_lt_u32_e32 vcc, s6, v8
	s_mov_b64 s[10:11], -1
	v_mov_b32_e32 v3, v0
	s_and_saveexec_b64 s[6:7], vcc
	s_cbranch_execz .LBB95_42
; %bb.34:
	v_lshrrev_b32_e32 v8, 7, v8
	v_add_u32_e32 v12, -1, v8
	v_lshrrev_b32_e32 v9, 1, v12
	v_mov_b32_e32 v3, v2
	v_add_u32_e32 v9, 1, v9
	v_cmp_lt_u32_e32 vcc, 13, v12
	v_mov_b32_e32 v14, 0
	s_and_saveexec_b64 s[10:11], vcc
	s_cbranch_execz .LBB95_38
; %bb.35:
	v_mov_b32_e32 v13, 0x100
	v_and_b32_e32 v12, -8, v9
	v_lshl_add_u32 v13, v0, 2, v13
	s_mov_b32 s16, 0
	s_mov_b64 s[38:39], 0
.LBB95_36:                              ; =>This Inner Loop Header: Depth=1
	ds_read2st64_b32 v[14:15], v13 offset1:2
	ds_read2st64_b32 v[16:17], v13 offset0:4 offset1:6
	ds_read2st64_b32 v[18:19], v13 offset0:8 offset1:10
	ds_read2st64_b32 v[20:21], v13 offset0:12 offset1:14
	v_add_u32_e32 v12, -8, v12
	s_waitcnt lgkmcnt(3)
	v_pk_mul_f32 v[14:15], v[2:3], v[14:15]
	s_waitcnt lgkmcnt(2)
	v_pk_mul_f32 v[16:17], v[2:3], v[16:17]
	ds_write2st64_b32 v13, v14, v15 offset1:2
	ds_write2st64_b32 v13, v16, v17 offset0:4 offset1:6
	ds_read2st64_b32 v[16:17], v13 offset0:16 offset1:18
	s_waitcnt lgkmcnt(4)
	v_pk_mul_f32 v[14:15], v[2:3], v[18:19]
	ds_write2st64_b32 v13, v14, v15 offset0:8 offset1:10
	s_waitcnt lgkmcnt(4)
	v_pk_mul_f32 v[14:15], v[2:3], v[20:21]
	ds_write2st64_b32 v13, v14, v15 offset0:12 offset1:14
	ds_read2st64_b32 v[14:15], v13 offset0:20 offset1:22
	s_waitcnt lgkmcnt(3)
	v_pk_mul_f32 v[16:17], v[2:3], v[16:17]
	ds_read2st64_b32 v[18:19], v13 offset0:24 offset1:26
	ds_write2st64_b32 v13, v16, v17 offset0:16 offset1:18
	ds_read2st64_b32 v[16:17], v13 offset0:28 offset1:30
	s_waitcnt lgkmcnt(3)
	v_pk_mul_f32 v[14:15], v[2:3], v[14:15]
	ds_write2st64_b32 v13, v14, v15 offset0:20 offset1:22
	s_waitcnt lgkmcnt(3)
	v_pk_mul_f32 v[14:15], v[2:3], v[18:19]
	ds_write2st64_b32 v13, v14, v15 offset0:24 offset1:26
	s_waitcnt lgkmcnt(2)
	v_pk_mul_f32 v[14:15], v[2:3], v[16:17]
	s_add_i32 s16, s16, 16
	v_cmp_eq_u32_e32 vcc, 0, v12
	ds_write2st64_b32 v13, v14, v15 offset0:28 offset1:30
	v_add_u32_e32 v13, 0x2000, v13
	s_or_b64 s[38:39], vcc, s[38:39]
	v_mov_b32_e32 v14, s16
	s_andn2_b64 exec, exec, s[38:39]
	s_cbranch_execnz .LBB95_36
; %bb.37:
	s_or_b64 exec, exec, s[38:39]
.LBB95_38:
	s_or_b64 exec, exec, s[10:11]
	v_and_b32_e32 v9, 7, v9
	v_cmp_ne_u32_e32 vcc, 0, v9
	s_and_saveexec_b64 s[10:11], vcc
	s_cbranch_execz .LBB95_41
; %bb.39:
	v_lshlrev_b32_e32 v12, 9, v14
	v_lshlrev_b32_e32 v13, 2, v0
	s_movk_i32 s16, 0x100
	v_add3_u32 v12, v12, v13, s16
	s_mov_b64 s[38:39], 0
.LBB95_40:                              ; =>This Inner Loop Header: Depth=1
	ds_read2st64_b32 v[14:15], v12 offset1:2
	v_add_u32_e32 v9, -1, v9
	v_cmp_eq_u32_e32 vcc, 0, v9
	s_or_b64 s[38:39], vcc, s[38:39]
	s_waitcnt lgkmcnt(0)
	v_pk_mul_f32 v[14:15], v[2:3], v[14:15]
	ds_write2st64_b32 v12, v14, v15 offset1:2
	v_add_u32_e32 v12, 0x400, v12
	s_andn2_b64 exec, exec, s[38:39]
	s_cbranch_execnz .LBB95_40
.LBB95_41:
	s_or_b64 exec, exec, s[10:11]
	v_add_u32_e32 v8, 1, v8
	v_and_b32_e32 v9, 0x3fffffe, v8
	v_cmp_ne_u32_e32 vcc, v8, v9
	v_lshl_add_u32 v3, v9, 7, v0
	s_orn2_b64 s[10:11], vcc, exec
.LBB95_42:
	s_or_b64 exec, exec, s[6:7]
	s_and_b64 exec, exec, s[10:11]
	s_cbranch_execz .LBB95_45
; %bb.43:
	v_mov_b32_e32 v8, 0x100
	v_lshl_add_u32 v8, v3, 2, v8
	s_mov_b64 s[6:7], 0
.LBB95_44:                              ; =>This Inner Loop Header: Depth=1
	ds_read_b32 v9, v8
	v_add_u32_e32 v3, 0x80, v3
	v_cmp_le_i32_e32 vcc, s15, v3
	s_or_b64 s[6:7], vcc, s[6:7]
	s_waitcnt lgkmcnt(0)
	v_mul_f32_e32 v9, v2, v9
	ds_write_b32 v8, v9
	v_add_u32_e32 v8, 0x200, v8
	s_andn2_b64 exec, exec, s[6:7]
	s_cbranch_execnz .LBB95_44
.LBB95_45:
	s_or_b64 exec, exec, s[0:1]
	s_mul_i32 s0, s19, s28
	v_cmp_eq_u32_e32 vcc, 0, v0
	s_mul_i32 s6, s0, s5
	s_waitcnt lgkmcnt(0)
	s_barrier
	s_and_saveexec_b64 s[0:1], vcc
	s_cbranch_execz .LBB95_47
; %bb.46:
	s_ashr_i32 s7, s6, 31
	s_lshl_b64 s[10:11], s[6:7], 2
	s_add_u32 s5, s22, s10
	s_mul_i32 s22, s19, s2
	s_addc_u32 s7, s23, s11
	s_ashr_i32 s23, s22, 31
	s_lshl_b64 s[22:23], s[22:23], 2
	s_add_u32 s2, s5, s22
	s_addc_u32 s7, s7, s23
	s_ashr_i32 s5, s4, 31
	s_lshl_b64 s[38:39], s[4:5], 2
	s_add_u32 s40, s2, s38
	s_addc_u32 s41, s7, s39
	s_add_u32 s2, s20, s10
	s_addc_u32 s5, s21, s11
	;; [unrolled: 2-line block ×3, first 2 shown]
	s_add_u32 s10, s2, s38
	v_mov_b32_e32 v2, 0
	s_addc_u32 s11, s5, s39
	global_store_dword v2, v5, s[40:41]
	global_store_dword v2, v7, s[10:11]
.LBB95_47:
	s_or_b64 exec, exec, s[0:1]
	s_mov_b32 s0, 0
	v_mov_b32_e32 v5, 0
	v_lshrrev_b32_e32 v24, 1, v4
	v_and_b32_e32 v23, 1, v0
	v_mov_b32_e32 v4, 0
	v_mov_b32_e32 v3, 0
	;; [unrolled: 1-line block ×3, first 2 shown]
	s_and_saveexec_b64 s[10:11], s[8:9]
	s_cbranch_execz .LBB95_63
; %bb.48:
	s_ashr_i32 s15, s14, 31
	s_sub_i32 s5, s12, s17
	s_lshl_b64 s[8:9], s[14:15], 1
	s_add_u32 s8, s36, s8
	s_addc_u32 s9, s37, s9
	s_abs_i32 s18, s18
	v_cvt_f32_u32_e32 v3, s18
	v_lshlrev_b32_e32 v2, 3, v0
	v_and_b32_e32 v25, 8, v2
	v_or_b32_e32 v2, 0x60, v24
	s_movk_i32 s1, 0x78
	v_cmp_gt_u32_e32 vcc, s1, v2
	v_lshl_or_b32 v16, v2, 4, v25
	v_rcp_iflag_f32_e32 v2, v3
	s_sub_i32 s1, 0, s18
	s_add_i32 s20, s3, -1
	s_lshl_b64 s[2:3], s[34:35], 2
	v_mul_f32_e32 v2, 0x4f7ffffe, v2
	v_cvt_u32_f32_e32 v2, v2
	s_add_u32 s2, s30, s2
	s_addc_u32 s3, s31, s3
	v_lshl_add_u64 v[14:15], v[10:11], 2, s[2:3]
	v_mul_lo_u32 v3, s1, v2
	v_mul_hi_u32 v3, v2, v3
	v_add_u32_e32 v26, v2, v3
	v_lshlrev_b32_e32 v2, 5, v23
	v_lshl_or_b32 v2, v6, 6, v2
	s_mov_b32 s2, s0
	s_mov_b32 s3, s0
	v_lshl_or_b32 v8, v24, 4, v25
	v_add_u32_e32 v11, 0x100, v2
	s_mov_b32 s1, s0
	v_mov_b64_e32 v[4:5], s[2:3]
	s_mov_b32 s7, s13
	v_mov_b32_e32 v13, 0
	s_mov_b32 s21, s29
	s_mov_b32 s22, s29
	;; [unrolled: 1-line block ×7, first 2 shown]
	s_mov_b64 s[12:13], 0
	v_mov_b64_e32 v[2:3], s[0:1]
	v_lshlrev_b32_e32 v12, 1, v8
	s_mov_b32 s30, 0x5040100
	v_lshlrev_b32_e32 v16, 1, v16
	s_branch .LBB95_52
.LBB95_49:                              ;   in Loop: Header=BB95_52 Depth=1
	s_or_b64 exec, exec, s[16:17]
	s_waitcnt vmcnt(0)
	;;#ASMSTART
	v_pk_mul_f16 v6, v31, v6;

	;;#ASMEND
	;;#ASMSTART
	v_pk_mul_f16 v7, v30, v7;

	;;#ASMEND
	;; [unrolled: 4-line block ×4, first 2 shown]
	s_nop 0
	;;#ASMSTART
	v_pk_add_f16 v6, v6, v7;

	;;#ASMEND
	s_nop 0
	;;#ASMSTART
	v_pk_add_f16 v6, v6, v8;

	;;#ASMEND
	;; [unrolled: 5-line block ×3, first 2 shown]
	s_nop 0
	v_lshrrev_b32_e32 v7, 16, v6
	v_and_b32_e32 v6, 0xffff, v6
	;;#ASMSTART
	v_cvt_f32_f16 v6, v6;
	;;#ASMEND
	;;#ASMSTART
	v_cvt_f32_f16 v7, v7;
	;;#ASMEND
	s_nop 0
	v_add_f32_e32 v6, v6, v7
	v_add_f32_e32 v5, v5, v6
.LBB95_50:                              ;   in Loop: Header=BB95_52 Depth=1
	s_or_b64 exec, exec, s[2:3]
.LBB95_51:                              ;   in Loop: Header=BB95_52 Depth=1
	s_or_b64 exec, exec, s[14:15]
	v_add_u32_e32 v10, 2, v10
	v_cmp_le_i32_e64 s[0:1], s48, v10
	v_lshl_add_u64 v[14:15], v[14:15], 0, 8
	v_add_u32_e32 v1, 32, v1
	s_or_b64 s[12:13], s[0:1], s[12:13]
	v_add_u32_e32 v11, 0x80, v11
	s_andn2_b64 exec, exec, s[12:13]
	s_cbranch_execz .LBB95_62
.LBB95_52:                              ; =>This Inner Loop Header: Depth=1
	v_sub_u32_e32 v7, 0, v1
	v_max_i32_e32 v7, v1, v7
	v_mul_hi_u32 v8, v7, s33
	v_mul_lo_u32 v9, v8, s25
	v_sub_u32_e32 v7, v7, v9
	v_add_u32_e32 v9, 1, v8
	v_cmp_le_u32_e64 s[0:1], s25, v7
	v_ashrrev_i32_e32 v6, 31, v1
	v_xor_b32_e32 v6, s47, v6
	v_cndmask_b32_e64 v8, v8, v9, s[0:1]
	v_subrev_u32_e32 v9, s25, v7
	v_cndmask_b32_e64 v7, v7, v9, s[0:1]
	v_add_u32_e32 v9, 1, v8
	v_cmp_le_u32_e64 s[0:1], s25, v7
	s_nop 1
	v_cndmask_b32_e64 v7, v8, v9, s[0:1]
	v_xor_b32_e32 v7, v7, v6
	v_sub_u32_e32 v6, v7, v6
	v_add_u32_e32 v7, s46, v6
	v_sub_u32_e32 v9, 0, v7
	v_ashrrev_i32_e32 v8, 31, v7
	v_max_i32_e32 v7, v7, v9
	v_mul_hi_u32 v9, v7, v26
	v_mul_lo_u32 v9, v9, s18
	v_sub_u32_e32 v7, v7, v9
	v_subrev_u32_e32 v9, s18, v7
	v_cmp_le_u32_e64 s[0:1], s18, v7
	v_cmp_lt_i32_e64 s[2:3], s5, v6
	s_nop 0
	v_cndmask_b32_e64 v7, v7, v9, s[0:1]
	v_subrev_u32_e32 v9, s18, v7
	v_cmp_le_u32_e64 s[0:1], s18, v7
	s_nop 1
	v_cndmask_b32_e64 v7, v7, v9, s[0:1]
	v_xor_b32_e32 v7, v7, v8
	v_sub_u32_e32 v7, v7, v8
	v_cmp_eq_u32_e64 s[0:1], 0, v7
	s_or_b64 s[0:1], s[0:1], s[2:3]
	s_and_saveexec_b64 s[14:15], s[0:1]
	s_cbranch_execz .LBB95_51
; %bb.53:                               ;   in Loop: Header=BB95_52 Depth=1
	global_load_dword v27, v[14:15], off
	ds_read2_b64 v[6:9], v11 offset1:1
	ds_read2_b64 v[18:21], v11 offset0:2 offset1:3
	s_waitcnt lgkmcnt(1)
	;;#ASMSTART
	v_cvt_f16_f32 v17, v6;

	;;#ASMEND
	;;#ASMSTART
	v_cvt_f16_f32 v28, v7;

	;;#ASMEND
	;; [unrolled: 4-line block ×4, first 2 shown]
	s_waitcnt lgkmcnt(0)
	;;#ASMSTART
	v_cvt_f16_f32 v32, v18;

	;;#ASMEND
	;;#ASMSTART
	v_cvt_f16_f32 v33, v19;

	;;#ASMEND
	;; [unrolled: 4-line block ×4, first 2 shown]
	s_waitcnt vmcnt(0)
	v_mad_i64_i32 v[6:7], s[0:1], v27, s7, 0
	v_lshl_add_u64 v[18:19], v[6:7], 1, s[8:9]
	v_lshl_add_u64 v[20:21], v[18:19], 0, v[12:13]
	global_load_dwordx4 v[6:9], v[20:21], off
	v_add_u32_e32 v27, v25, v1
	v_cmp_eq_u32_e64 s[0:1], s20, v10
	s_and_saveexec_b64 s[16:17], s[0:1]
	s_cbranch_execz .LBB95_55
; %bb.54:                               ;   in Loop: Header=BB95_52 Depth=1
	v_or_b32_e32 v40, 7, v27
	v_or_b32_e32 v41, 6, v27
	s_waitcnt vmcnt(0)
	v_lshrrev_b32_e32 v42, 16, v9
	v_cmp_gt_i32_e64 s[2:3], s38, v40
	v_or_b32_e32 v38, 5, v27
	v_or_b32_e32 v39, 4, v27
	v_cndmask_b32_e64 v40, 0, v42, s[2:3]
	v_cmp_gt_i32_e64 s[2:3], s37, v41
	v_or_b32_e32 v36, 3, v27
	v_or_b32_e32 v37, 2, v27
	v_cndmask_b32_e64 v9, 0, v9, s[2:3]
	v_perm_b32 v9, v40, v9, s30
	v_lshrrev_b32_e32 v40, 16, v8
	v_cmp_gt_i32_e64 s[2:3], s36, v38
	v_add_u32_e32 v31, 1, v27
	s_nop 0
	v_cndmask_b32_e64 v38, 0, v40, s[2:3]
	v_cmp_gt_i32_e64 s[2:3], s28, v39
	s_nop 1
	v_cndmask_b32_e64 v8, 0, v8, s[2:3]
	v_perm_b32 v8, v38, v8, s30
	v_lshrrev_b32_e32 v38, 16, v7
	v_cmp_gt_i32_e64 s[2:3], s23, v36
	s_nop 1
	v_cndmask_b32_e64 v36, 0, v38, s[2:3]
	v_cmp_gt_i32_e64 s[2:3], s22, v37
	s_nop 1
	v_cndmask_b32_e64 v7, 0, v7, s[2:3]
	v_perm_b32 v7, v36, v7, s30
	v_lshrrev_b32_e32 v36, 16, v6
	v_cmp_gt_i32_e64 s[2:3], s21, v31
	s_nop 1
	v_cndmask_b32_e64 v31, 0, v36, s[2:3]
	v_cmp_gt_i32_e64 s[2:3], s29, v27
	s_nop 1
	v_cndmask_b32_e64 v6, 0, v6, s[2:3]
	v_perm_b32 v6, v31, v6, s30
.LBB95_55:                              ;   in Loop: Header=BB95_52 Depth=1
	s_or_b64 exec, exec, s[16:17]
	v_and_b32_e32 v17, 0xffff, v17
	v_lshl_or_b32 v31, v28, 16, v17
	v_and_b32_e32 v17, 0xffff, v29
	v_lshl_or_b32 v30, v30, 16, v17
	;; [unrolled: 2-line block ×3, first 2 shown]
	v_and_b32_e32 v17, 0xffff, v34
	s_waitcnt vmcnt(0)
	;;#ASMSTART
	v_pk_mul_f16 v6, v31, v6;

	;;#ASMEND
	v_lshl_or_b32 v28, v35, 16, v17
	;;#ASMSTART
	v_pk_mul_f16 v7, v30, v7;

	;;#ASMEND
	;;#ASMSTART
	v_pk_mul_f16 v8, v29, v8;

	;;#ASMEND
	;; [unrolled: 4-line block ×3, first 2 shown]
	s_nop 0
	;;#ASMSTART
	v_pk_add_f16 v6, v6, v7;

	;;#ASMEND
	s_nop 0
	;;#ASMSTART
	v_pk_add_f16 v6, v6, v8;

	;;#ASMEND
	;; [unrolled: 5-line block ×3, first 2 shown]
	s_nop 0
	v_lshrrev_b32_e32 v7, 16, v6
	v_and_b32_e32 v6, 0xffff, v6
	;;#ASMSTART
	v_cvt_f32_f16 v17, v6;
	;;#ASMEND
	;;#ASMSTART
	v_cvt_f32_f16 v32, v7;
	;;#ASMEND
	global_load_dwordx4 v[6:9], v[20:21], off offset:1024
	s_and_saveexec_b64 s[16:17], s[0:1]
	s_cbranch_execz .LBB95_57
; %bb.56:                               ;   in Loop: Header=BB95_52 Depth=1
	v_or_b32_e32 v38, 7, v27
	v_or_b32_e32 v39, 6, v27
	s_waitcnt vmcnt(0)
	v_lshrrev_b32_e32 v40, 16, v9
	v_cmp_gt_i32_e64 s[2:3], s38, v38
	v_or_b32_e32 v36, 5, v27
	v_or_b32_e32 v37, 4, v27
	v_cndmask_b32_e64 v38, 0, v40, s[2:3]
	v_cmp_gt_i32_e64 s[2:3], s37, v39
	v_or_b32_e32 v34, 3, v27
	v_or_b32_e32 v35, 2, v27
	v_cndmask_b32_e64 v9, 0, v9, s[2:3]
	v_perm_b32 v9, v38, v9, s30
	v_lshrrev_b32_e32 v38, 16, v8
	v_cmp_gt_i32_e64 s[2:3], s36, v36
	v_add_u32_e32 v33, 1, v27
	s_nop 0
	v_cndmask_b32_e64 v36, 0, v38, s[2:3]
	v_cmp_gt_i32_e64 s[2:3], s28, v37
	s_nop 1
	v_cndmask_b32_e64 v8, 0, v8, s[2:3]
	v_perm_b32 v8, v36, v8, s30
	v_lshrrev_b32_e32 v36, 16, v7
	v_cmp_gt_i32_e64 s[2:3], s23, v34
	s_nop 1
	v_cndmask_b32_e64 v34, 0, v36, s[2:3]
	v_cmp_gt_i32_e64 s[2:3], s22, v35
	s_nop 1
	v_cndmask_b32_e64 v7, 0, v7, s[2:3]
	v_perm_b32 v7, v34, v7, s30
	v_lshrrev_b32_e32 v34, 16, v6
	v_cmp_gt_i32_e64 s[2:3], s21, v33
	s_nop 1
	v_cndmask_b32_e64 v33, 0, v34, s[2:3]
	v_cmp_gt_i32_e64 s[2:3], s29, v27
	s_nop 1
	v_cndmask_b32_e64 v6, 0, v6, s[2:3]
	v_perm_b32 v6, v33, v6, s30
.LBB95_57:                              ;   in Loop: Header=BB95_52 Depth=1
	s_or_b64 exec, exec, s[16:17]
	s_waitcnt vmcnt(0)
	;;#ASMSTART
	v_pk_mul_f16 v6, v31, v6;

	;;#ASMEND
	;;#ASMSTART
	v_pk_mul_f16 v7, v30, v7;

	;;#ASMEND
	;;#ASMSTART
	v_pk_mul_f16 v8, v29, v8;

	;;#ASMEND
	;;#ASMSTART
	v_pk_mul_f16 v9, v28, v9;

	;;#ASMEND
	s_nop 0
	;;#ASMSTART
	v_pk_add_f16 v6, v6, v7;

	;;#ASMEND
	s_nop 0
	;;#ASMSTART
	v_pk_add_f16 v6, v6, v8;

	;;#ASMEND
	;; [unrolled: 5-line block ×3, first 2 shown]
	s_nop 0
	v_lshrrev_b32_e32 v7, 16, v6
	v_and_b32_e32 v6, 0xffff, v6
	;;#ASMSTART
	v_cvt_f32_f16 v33, v6;
	;;#ASMEND
	;;#ASMSTART
	v_cvt_f32_f16 v34, v7;
	;;#ASMEND
	global_load_dwordx4 v[6:9], v[20:21], off offset:2048
	s_and_saveexec_b64 s[16:17], s[0:1]
	s_cbranch_execz .LBB95_59
; %bb.58:                               ;   in Loop: Header=BB95_52 Depth=1
	v_or_b32_e32 v38, 7, v27
	v_or_b32_e32 v39, 6, v27
	s_waitcnt vmcnt(0)
	v_lshrrev_b32_e32 v40, 16, v9
	v_cmp_gt_i32_e64 s[2:3], s38, v38
	v_or_b32_e32 v36, 5, v27
	v_or_b32_e32 v37, 4, v27
	v_cndmask_b32_e64 v38, 0, v40, s[2:3]
	v_cmp_gt_i32_e64 s[2:3], s37, v39
	v_or_b32_e32 v21, 3, v27
	v_or_b32_e32 v35, 2, v27
	v_cndmask_b32_e64 v9, 0, v9, s[2:3]
	v_perm_b32 v9, v38, v9, s30
	v_lshrrev_b32_e32 v38, 16, v8
	v_cmp_gt_i32_e64 s[2:3], s36, v36
	v_add_u32_e32 v20, 1, v27
	s_nop 0
	v_cndmask_b32_e64 v36, 0, v38, s[2:3]
	v_cmp_gt_i32_e64 s[2:3], s28, v37
	s_nop 1
	v_cndmask_b32_e64 v8, 0, v8, s[2:3]
	v_perm_b32 v8, v36, v8, s30
	v_lshrrev_b32_e32 v36, 16, v7
	v_cmp_gt_i32_e64 s[2:3], s23, v21
	s_nop 1
	v_cndmask_b32_e64 v21, 0, v36, s[2:3]
	v_cmp_gt_i32_e64 s[2:3], s22, v35
	s_nop 1
	v_cndmask_b32_e64 v7, 0, v7, s[2:3]
	v_perm_b32 v7, v21, v7, s30
	v_lshrrev_b32_e32 v21, 16, v6
	v_cmp_gt_i32_e64 s[2:3], s21, v20
	s_nop 1
	v_cndmask_b32_e64 v20, 0, v21, s[2:3]
	v_cmp_gt_i32_e64 s[2:3], s29, v27
	s_nop 1
	v_cndmask_b32_e64 v6, 0, v6, s[2:3]
	v_perm_b32 v6, v20, v6, s30
.LBB95_59:                              ;   in Loop: Header=BB95_52 Depth=1
	s_or_b64 exec, exec, s[16:17]
	s_waitcnt vmcnt(0)
	;;#ASMSTART
	v_pk_mul_f16 v6, v31, v6;

	;;#ASMEND
	;;#ASMSTART
	v_pk_mul_f16 v7, v30, v7;

	;;#ASMEND
	;; [unrolled: 4-line block ×4, first 2 shown]
	v_add_f32_e32 v17, v17, v32
	;;#ASMSTART
	v_pk_add_f16 v6, v6, v7;

	;;#ASMEND
	v_add_f32_e32 v2, v2, v17
	;;#ASMSTART
	v_pk_add_f16 v6, v6, v8;

	;;#ASMEND
	;; [unrolled: 5-line block ×3, first 2 shown]
	v_add_f32_e32 v3, v3, v17
	v_lshrrev_b32_e32 v7, 16, v6
	v_and_b32_e32 v6, 0xffff, v6
	;;#ASMSTART
	v_cvt_f32_f16 v6, v6;
	;;#ASMEND
	;;#ASMSTART
	v_cvt_f32_f16 v7, v7;
	;;#ASMEND
	s_nop 0
	v_add_f32_e32 v6, v6, v7
	v_add_f32_e32 v4, v4, v6
	s_and_saveexec_b64 s[2:3], vcc
	s_cbranch_execz .LBB95_50
; %bb.60:                               ;   in Loop: Header=BB95_52 Depth=1
	v_mov_b32_e32 v17, v13
	v_lshl_add_u64 v[6:7], v[18:19], 0, v[16:17]
	global_load_dwordx4 v[6:9], v[6:7], off
	s_and_saveexec_b64 s[16:17], s[0:1]
	s_cbranch_execz .LBB95_49
; %bb.61:                               ;   in Loop: Header=BB95_52 Depth=1
	v_or_b32_e32 v32, 7, v27
	v_or_b32_e32 v33, 6, v27
	s_waitcnt vmcnt(0)
	v_lshrrev_b32_e32 v34, 16, v9
	v_cmp_gt_i32_e64 s[0:1], s38, v32
	v_or_b32_e32 v20, 5, v27
	v_or_b32_e32 v21, 4, v27
	v_cndmask_b32_e64 v32, 0, v34, s[0:1]
	v_cmp_gt_i32_e64 s[0:1], s37, v33
	v_or_b32_e32 v18, 3, v27
	v_or_b32_e32 v19, 2, v27
	v_cndmask_b32_e64 v9, 0, v9, s[0:1]
	v_perm_b32 v9, v32, v9, s30
	v_lshrrev_b32_e32 v32, 16, v8
	v_cmp_gt_i32_e64 s[0:1], s36, v20
	v_add_u32_e32 v17, 1, v27
	s_nop 0
	v_cndmask_b32_e64 v20, 0, v32, s[0:1]
	v_cmp_gt_i32_e64 s[0:1], s28, v21
	s_nop 1
	v_cndmask_b32_e64 v8, 0, v8, s[0:1]
	v_perm_b32 v8, v20, v8, s30
	v_lshrrev_b32_e32 v20, 16, v7
	v_cmp_gt_i32_e64 s[0:1], s23, v18
	s_nop 1
	v_cndmask_b32_e64 v18, 0, v20, s[0:1]
	v_cmp_gt_i32_e64 s[0:1], s22, v19
	s_nop 1
	v_cndmask_b32_e64 v7, 0, v7, s[0:1]
	v_perm_b32 v7, v18, v7, s30
	v_lshrrev_b32_e32 v18, 16, v6
	v_cmp_gt_i32_e64 s[0:1], s21, v17
	s_nop 1
	v_cndmask_b32_e64 v17, 0, v18, s[0:1]
	v_cmp_gt_i32_e64 s[0:1], s29, v27
	s_nop 1
	v_cndmask_b32_e64 v6, 0, v6, s[0:1]
	v_perm_b32 v6, v17, v6, s30
	s_branch .LBB95_49
.LBB95_62:
	s_or_b64 exec, exec, s[12:13]
.LBB95_63:
	s_or_b64 exec, exec, s[10:11]
	ds_bpermute_b32 v6, v22, v2
	ds_bpermute_b32 v7, v22, v3
	;; [unrolled: 1-line block ×4, first 2 shown]
	v_and_b32_e32 v1, 0x3c0, v0
	v_cmp_eq_u32_e32 vcc, 64, v1
	s_waitcnt lgkmcnt(2)
	v_pk_add_f32 v[6:7], v[2:3], v[6:7]
	s_waitcnt lgkmcnt(0)
	v_pk_add_f32 v[2:3], v[4:5], v[8:9]
	s_barrier
	s_and_saveexec_b64 s[2:3], vcc
	s_cbranch_execz .LBB95_68
; %bb.64:
	v_cmp_eq_u32_e32 vcc, 0, v23
	s_and_saveexec_b64 s[0:1], vcc
	s_cbranch_execz .LBB95_66
; %bb.65:
	v_mov_b32_e32 v1, 0x100
	v_lshl_add_u32 v1, v24, 2, v1
	ds_write2_b32 v1, v6, v7 offset1:32
	ds_write_b32 v1, v2 offset:256
.LBB95_66:
	s_or_b64 exec, exec, s[0:1]
	v_or_b32_e32 v1, 0x60, v24
	s_movk_i32 s0, 0x78
	v_cmp_gt_u32_e64 s[0:1], s0, v1
	s_and_b64 s[0:1], vcc, s[0:1]
	s_and_b64 exec, exec, s[0:1]
	s_cbranch_execz .LBB95_68
; %bb.67:
	v_mov_b32_e32 v1, 0x100
	v_lshl_add_u32 v1, v24, 2, v1
	ds_write_b32 v1, v3 offset:384
.LBB95_68:
	s_or_b64 exec, exec, s[2:3]
	v_cmp_gt_u32_e32 vcc, 64, v0
	v_lshrrev_b32_e32 v0, 1, v0
	s_waitcnt lgkmcnt(0)
	s_barrier
	s_and_saveexec_b64 s[8:9], vcc
	s_cbranch_execz .LBB95_76
; %bb.69:
	v_cmp_eq_u32_e64 s[0:1], 0, v23
	s_and_saveexec_b64 s[2:3], s[0:1]
	s_cbranch_execnz .LBB95_82
; %bb.70:
	s_or_b64 exec, exec, s[2:3]
	s_and_saveexec_b64 s[2:3], s[0:1]
	s_cbranch_execnz .LBB95_83
.LBB95_71:
	s_or_b64 exec, exec, s[2:3]
	s_and_saveexec_b64 s[2:3], s[0:1]
	s_cbranch_execz .LBB95_73
.LBB95_72:
	v_mov_b32_e32 v1, 0x100
	v_lshl_add_u32 v1, v0, 2, v1
	ds_read_b32 v1, v1 offset:256
	s_waitcnt lgkmcnt(0)
	v_add_f32_e32 v2, v2, v1
.LBB95_73:
	s_or_b64 exec, exec, s[2:3]
	v_or_b32_e32 v1, 0x60, v0
	s_movk_i32 s2, 0x78
	v_cmp_gt_u32_e64 s[2:3], s2, v1
	s_and_b64 s[2:3], s[0:1], s[2:3]
	s_and_saveexec_b64 s[0:1], s[2:3]
	s_cbranch_execz .LBB95_75
; %bb.74:
	v_mov_b32_e32 v1, 0x100
	v_lshl_add_u32 v1, v0, 2, v1
	ds_read_b32 v1, v1 offset:384
	s_waitcnt lgkmcnt(0)
	v_add_f32_e32 v3, v3, v1
.LBB95_75:
	s_or_b64 exec, exec, s[0:1]
.LBB95_76:
	s_or_b64 exec, exec, s[8:9]
	s_barrier
	s_and_saveexec_b64 s[0:1], vcc
	s_cbranch_execz .LBB95_81
; %bb.77:
	s_mul_i32 s0, s6, 0x78
	s_ashr_i32 s1, s0, 31
	s_lshl_b64 s[0:1], s[0:1], 1
	s_add_u32 s2, s26, s0
	s_mul_i32 s0, s19, s24
	s_addc_u32 s3, s27, s1
	s_ashr_i32 s1, s0, 31
	s_lshl_b64 s[0:1], s[0:1], 1
	s_add_u32 s2, s2, s0
	s_mul_i32 s0, s4, 0x78
	s_addc_u32 s3, s3, s1
	s_ashr_i32 s1, s0, 31
	s_lshl_b64 s[0:1], s[0:1], 1
	s_add_u32 s2, s2, s0
	s_movk_i32 s5, 0x78
	s_addc_u32 s3, s3, s1
	v_cmp_eq_u32_e32 vcc, 0, v23
	v_lshlrev_b32_e32 v1, 1, v0
	s_and_saveexec_b64 s[0:1], vcc
	s_cbranch_execz .LBB95_79
; %bb.78:
	;;#ASMSTART
	v_cvt_f16_f32 v4, v6;

	;;#ASMEND
	global_store_short v1, v4, s[2:3]
	;;#ASMSTART
	v_cvt_f16_f32 v4, v7;

	;;#ASMEND
	global_store_short v1, v4, s[2:3] offset:64
	;;#ASMSTART
	v_cvt_f16_f32 v2, v2;

	;;#ASMEND
	global_store_short v1, v2, s[2:3] offset:128
.LBB95_79:
	s_or_b64 exec, exec, s[0:1]
	v_or_b32_e32 v0, 0x60, v0
	v_cmp_gt_u32_e64 s[0:1], s5, v0
	s_and_b64 s[0:1], vcc, s[0:1]
	s_and_b64 exec, exec, s[0:1]
	s_cbranch_execz .LBB95_81
; %bb.80:
	;;#ASMSTART
	v_cvt_f16_f32 v0, v3;

	;;#ASMEND
	global_store_short v1, v0, s[2:3] offset:192
.LBB95_81:
	s_endpgm
.LBB95_82:
	v_mov_b32_e32 v1, 0x100
	v_lshl_add_u32 v1, v0, 2, v1
	ds_read_b32 v1, v1
	s_waitcnt lgkmcnt(0)
	v_add_f32_e32 v6, v6, v1
	s_or_b64 exec, exec, s[2:3]
	s_and_saveexec_b64 s[2:3], s[0:1]
	s_cbranch_execz .LBB95_71
.LBB95_83:
	v_mov_b32_e32 v1, 0x100
	v_lshl_add_u32 v1, v0, 2, v1
	ds_read_b32 v1, v1 offset:128
	s_waitcnt lgkmcnt(0)
	v_add_f32_e32 v7, v7, v1
	s_or_b64 exec, exec, s[2:3]
	s_and_saveexec_b64 s[2:3], s[0:1]
	s_cbranch_execnz .LBB95_72
	s_branch .LBB95_73
	.section	.rodata,"a",@progbits
	.p2align	6, 0x0
	.amdhsa_kernel _ZN4vllm25paged_attention_v2_kernelIttLi120ELi16ELi128ELNS_18Fp8KVCacheDataTypeE0ELb1ELi512EEEvPfS2_PT_PKS3_PKT0_S9_ifPKiSB_iPKfiiiSD_SD_iiiii
		.amdhsa_group_segment_fixed_size 256
		.amdhsa_private_segment_fixed_size 0
		.amdhsa_kernarg_size 400
		.amdhsa_user_sgpr_count 2
		.amdhsa_user_sgpr_dispatch_ptr 0
		.amdhsa_user_sgpr_queue_ptr 0
		.amdhsa_user_sgpr_kernarg_segment_ptr 1
		.amdhsa_user_sgpr_dispatch_id 0
		.amdhsa_user_sgpr_kernarg_preload_length 0
		.amdhsa_user_sgpr_kernarg_preload_offset 0
		.amdhsa_user_sgpr_private_segment_size 0
		.amdhsa_uses_dynamic_stack 0
		.amdhsa_enable_private_segment 0
		.amdhsa_system_sgpr_workgroup_id_x 1
		.amdhsa_system_sgpr_workgroup_id_y 1
		.amdhsa_system_sgpr_workgroup_id_z 1
		.amdhsa_system_sgpr_workgroup_info 0
		.amdhsa_system_vgpr_workitem_id 0
		.amdhsa_next_free_vgpr 71
		.amdhsa_next_free_sgpr 52
		.amdhsa_accum_offset 72
		.amdhsa_reserve_vcc 1
		.amdhsa_float_round_mode_32 0
		.amdhsa_float_round_mode_16_64 0
		.amdhsa_float_denorm_mode_32 3
		.amdhsa_float_denorm_mode_16_64 3
		.amdhsa_dx10_clamp 1
		.amdhsa_ieee_mode 1
		.amdhsa_fp16_overflow 0
		.amdhsa_tg_split 0
		.amdhsa_exception_fp_ieee_invalid_op 0
		.amdhsa_exception_fp_denorm_src 0
		.amdhsa_exception_fp_ieee_div_zero 0
		.amdhsa_exception_fp_ieee_overflow 0
		.amdhsa_exception_fp_ieee_underflow 0
		.amdhsa_exception_fp_ieee_inexact 0
		.amdhsa_exception_int_div_zero 0
	.end_amdhsa_kernel
	.section	.text._ZN4vllm25paged_attention_v2_kernelIttLi120ELi16ELi128ELNS_18Fp8KVCacheDataTypeE0ELb1ELi512EEEvPfS2_PT_PKS3_PKT0_S9_ifPKiSB_iPKfiiiSD_SD_iiiii,"axG",@progbits,_ZN4vllm25paged_attention_v2_kernelIttLi120ELi16ELi128ELNS_18Fp8KVCacheDataTypeE0ELb1ELi512EEEvPfS2_PT_PKS3_PKT0_S9_ifPKiSB_iPKfiiiSD_SD_iiiii,comdat
.Lfunc_end95:
	.size	_ZN4vllm25paged_attention_v2_kernelIttLi120ELi16ELi128ELNS_18Fp8KVCacheDataTypeE0ELb1ELi512EEEvPfS2_PT_PKS3_PKT0_S9_ifPKiSB_iPKfiiiSD_SD_iiiii, .Lfunc_end95-_ZN4vllm25paged_attention_v2_kernelIttLi120ELi16ELi128ELNS_18Fp8KVCacheDataTypeE0ELb1ELi512EEEvPfS2_PT_PKS3_PKT0_S9_ifPKiSB_iPKfiiiSD_SD_iiiii
                                        ; -- End function
	.section	.AMDGPU.csdata,"",@progbits
; Kernel info:
; codeLenInByte = 7252
; NumSgprs: 58
; NumVgprs: 71
; NumAgprs: 0
; TotalNumVgprs: 71
; ScratchSize: 0
; MemoryBound: 0
; FloatMode: 240
; IeeeMode: 1
; LDSByteSize: 256 bytes/workgroup (compile time only)
; SGPRBlocks: 7
; VGPRBlocks: 8
; NumSGPRsForWavesPerEU: 58
; NumVGPRsForWavesPerEU: 71
; AccumOffset: 72
; Occupancy: 7
; WaveLimiterHint : 1
; COMPUTE_PGM_RSRC2:SCRATCH_EN: 0
; COMPUTE_PGM_RSRC2:USER_SGPR: 2
; COMPUTE_PGM_RSRC2:TRAP_HANDLER: 0
; COMPUTE_PGM_RSRC2:TGID_X_EN: 1
; COMPUTE_PGM_RSRC2:TGID_Y_EN: 1
; COMPUTE_PGM_RSRC2:TGID_Z_EN: 1
; COMPUTE_PGM_RSRC2:TIDIG_COMP_CNT: 0
; COMPUTE_PGM_RSRC3_GFX90A:ACCUM_OFFSET: 17
; COMPUTE_PGM_RSRC3_GFX90A:TG_SPLIT: 0
	.section	.text._ZN4vllm25paged_attention_v2_kernelIttLi128ELi16ELi128ELNS_18Fp8KVCacheDataTypeE0ELb1ELi512EEEvPfS2_PT_PKS3_PKT0_S9_ifPKiSB_iPKfiiiSD_SD_iiiii,"axG",@progbits,_ZN4vllm25paged_attention_v2_kernelIttLi128ELi16ELi128ELNS_18Fp8KVCacheDataTypeE0ELb1ELi512EEEvPfS2_PT_PKS3_PKT0_S9_ifPKiSB_iPKfiiiSD_SD_iiiii,comdat
	.protected	_ZN4vllm25paged_attention_v2_kernelIttLi128ELi16ELi128ELNS_18Fp8KVCacheDataTypeE0ELb1ELi512EEEvPfS2_PT_PKS3_PKT0_S9_ifPKiSB_iPKfiiiSD_SD_iiiii ; -- Begin function _ZN4vllm25paged_attention_v2_kernelIttLi128ELi16ELi128ELNS_18Fp8KVCacheDataTypeE0ELb1ELi512EEEvPfS2_PT_PKS3_PKT0_S9_ifPKiSB_iPKfiiiSD_SD_iiiii
	.globl	_ZN4vllm25paged_attention_v2_kernelIttLi128ELi16ELi128ELNS_18Fp8KVCacheDataTypeE0ELb1ELi512EEEvPfS2_PT_PKS3_PKT0_S9_ifPKiSB_iPKfiiiSD_SD_iiiii
	.p2align	8
	.type	_ZN4vllm25paged_attention_v2_kernelIttLi128ELi16ELi128ELNS_18Fp8KVCacheDataTypeE0ELb1ELi512EEEvPfS2_PT_PKS3_PKT0_S9_ifPKiSB_iPKfiiiSD_SD_iiiii,@function
_ZN4vllm25paged_attention_v2_kernelIttLi128ELi16ELi128ELNS_18Fp8KVCacheDataTypeE0ELb1ELi512EEEvPfS2_PT_PKS3_PKT0_S9_ifPKiSB_iPKfiiiSD_SD_iiiii: ; @_ZN4vllm25paged_attention_v2_kernelIttLi128ELi16ELi128ELNS_18Fp8KVCacheDataTypeE0ELb1ELi512EEEvPfS2_PT_PKS3_PKT0_S9_ifPKiSB_iPKfiiiSD_SD_iiiii
; %bb.0:
	s_load_dwordx2 s[6:7], s[0:1], 0x40
	s_mov_b32 s30, s3
	s_ashr_i32 s31, s3, 31
	s_lshl_b64 s[8:9], s[30:31], 2
	s_waitcnt lgkmcnt(0)
	s_add_u32 s6, s6, s8
	s_addc_u32 s7, s7, s9
	s_load_dword s31, s[6:7], 0x0
	s_lshl_b32 s51, s4, 9
	s_waitcnt lgkmcnt(0)
	s_cmp_ge_i32 s51, s31
	s_cbranch_scc1 .LBB96_72
; %bb.1:
	s_load_dword s5, s[0:1], 0x90
	s_load_dwordx2 s[40:41], s[0:1], 0x30
	s_waitcnt lgkmcnt(0)
	s_abs_i32 s7, s5
	s_abs_i32 s3, s40
	v_cvt_f32_u32_e32 v1, s3
	s_sub_i32 s8, 0, s3
	s_xor_b32 s6, s5, s40
	s_ashr_i32 s6, s6, 31
	v_rcp_iflag_f32_e32 v1, v1
	s_nop 0
	v_mul_f32_e32 v1, 0x4f7ffffe, v1
	v_cvt_u32_f32_e32 v1, v1
	s_nop 0
	v_readfirstlane_b32 s9, v1
	s_mul_i32 s8, s8, s9
	s_mul_hi_u32 s8, s9, s8
	s_add_i32 s9, s9, s8
	s_mul_hi_u32 s8, s7, s9
	s_mul_i32 s9, s8, s3
	s_sub_i32 s7, s7, s9
	s_add_i32 s10, s8, 1
	s_sub_i32 s9, s7, s3
	s_cmp_ge_u32 s7, s3
	s_cselect_b32 s8, s10, s8
	s_cselect_b32 s7, s9, s7
	s_add_i32 s9, s8, 1
	s_cmp_ge_u32 s7, s3
	s_cselect_b32 s3, s9, s8
	s_xor_b32 s3, s3, s6
	s_sub_i32 s10, s3, s6
	s_abs_i32 s8, s10
	v_cvt_f32_u32_e32 v1, s8
	s_load_dwordx2 s[6:7], s[0:1], 0x50
	s_sub_i32 s11, 0, s8
	s_abs_i32 s9, s2
	v_rcp_iflag_f32_e32 v1, v1
	s_mov_b32 s3, 0
	v_mul_f32_e32 v1, 0x4f7ffffe, v1
	v_cvt_u32_f32_e32 v1, v1
	s_nop 0
	v_readfirstlane_b32 s12, v1
	s_mul_i32 s11, s11, s12
	s_mul_hi_u32 s11, s12, s11
	s_add_i32 s12, s12, s11
	s_waitcnt lgkmcnt(0)
	s_cmp_eq_u64 s[6:7], 0
	s_mul_hi_u32 s12, s9, s12
	s_cbranch_scc1 .LBB96_3
; %bb.2:
	s_ashr_i32 s3, s2, 31
	s_lshl_b64 s[14:15], s[2:3], 2
	s_add_u32 s6, s6, s14
	s_addc_u32 s7, s7, s15
	s_load_dword s3, s[6:7], 0x0
.LBB96_3:
	s_load_dwordx4 s[16:19], s[0:1], 0x58
	s_ashr_i32 s13, s2, 31
	s_waitcnt lgkmcnt(0)
	s_ashr_i32 s19, s10, 31
	v_and_b32_e32 v4, 3, v0
	s_lshl_b32 s14, s2, 7
	v_cmp_gt_u32_e64 s[10:11], 64, v0
	s_and_saveexec_b64 s[6:7], s[10:11]
	s_cbranch_execz .LBB96_5
; %bb.4:
	s_load_dwordx2 s[20:21], s[0:1], 0x18
	s_mul_i32 s22, s30, s16
	s_ashr_i32 s23, s22, 31
	s_lshl_b64 s[22:23], s[22:23], 1
	v_lshlrev_b32_e32 v1, 2, v0
	s_waitcnt lgkmcnt(0)
	s_add_u32 s16, s20, s22
	s_addc_u32 s22, s21, s23
	s_ashr_i32 s15, s14, 31
	s_lshl_b64 s[20:21], s[14:15], 1
	s_add_u32 s20, s16, s20
	s_addc_u32 s21, s22, s21
	global_load_dword v1, v1, s[20:21]
	v_and_b32_e32 v2, 0x3fc, v0
	v_lshl_add_u32 v2, v4, 6, v2
	s_waitcnt vmcnt(0)
	ds_write_b32 v2, v1
.LBB96_5:
	s_or_b64 exec, exec, s[6:7]
	s_mul_i32 s7, s12, s8
	s_sub_i32 s7, s9, s7
	s_xor_b32 s6, s13, s19
	s_add_i32 s9, s12, 1
	s_sub_i32 s13, s7, s8
	s_load_dwordx4 s[20:23], s[0:1], 0x78
	s_cmp_ge_u32 s7, s8
	s_cselect_b32 s9, s9, s12
	s_cselect_b32 s7, s13, s7
	s_load_dword s13, s[0:1], 0x88
	s_add_i32 s12, s9, 1
	s_cmp_ge_u32 s7, s8
	s_cselect_b32 s7, s12, s9
	s_waitcnt lgkmcnt(0)
	s_abs_i32 s33, s23
	v_cvt_f32_u32_e32 v1, s33
	s_xor_b32 s7, s7, s6
	s_sub_i32 s8, s7, s6
	s_sub_i32 s6, 0, s33
	v_rcp_iflag_f32_e32 v1, v1
	s_add_i32 s15, s31, -1
	s_abs_i32 s9, s15
	v_mul_f32_e32 v1, 0x4f7ffffe, v1
	v_cvt_u32_f32_e32 v1, v1
	s_barrier
	v_readfirstlane_b32 s48, v1
	s_mul_i32 s6, s6, s48
	s_mul_hi_u32 s6, s48, s6
	s_add_i32 s48, s48, s6
	s_cmp_lt_i32 s13, 0
	s_mul_hi_u32 s12, s9, s48
	s_cbranch_scc0 .LBB96_7
; %bb.6:
	s_mul_i32 s6, s20, s40
	s_add_i32 s6, s8, s6
	s_mul_i32 s6, s6, s13
	s_sub_i32 s49, 1, s6
	s_mov_b64 s[6:7], 0
	s_branch .LBB96_8
.LBB96_7:
	s_mov_b64 s[6:7], -1
                                        ; implicit-def: $sgpr49
.LBB96_8:
	s_load_dwordx2 s[34:35], s[0:1], 0x38
	s_ashr_i32 s16, s15, 31
	s_andn2_b64 vcc, exec, s[6:7]
	s_ashr_i32 s23, s23, 31
	s_cbranch_vccnz .LBB96_10
; %bb.9:
	s_mul_i32 s6, s5, s20
	s_add_i32 s6, s6, s2
	s_mul_i32 s6, s6, s13
	s_add_i32 s49, s6, 1
.LBB96_10:
	s_load_dword s6, s[0:1], 0x48
	s_load_dwordx2 s[38:39], s[0:1], 0x28
	s_load_dword s15, s[0:1], 0x98
	s_load_dwordx4 s[24:27], s[0:1], 0x0
	s_load_dwordx2 s[28:29], s[0:1], 0x10
	s_mul_i32 s7, s12, s33
	s_waitcnt lgkmcnt(0)
	s_mul_i32 s36, s30, s6
	s_sub_i32 s7, s9, s7
	s_ashr_i32 s37, s36, 31
	s_xor_b32 s6, s16, s23
	s_add_i32 s9, s12, 1
	s_sub_i32 s13, s7, s33
	s_cmp_ge_u32 s7, s33
	s_cselect_b32 s9, s9, s12
	s_cselect_b32 s7, s13, s7
	s_add_i32 s12, s9, 1
	s_cmp_ge_u32 s7, s33
	s_cselect_b32 s7, s12, s9
	s_xor_b32 s7, s7, s6
	s_sub_i32 s50, s7, s6
	s_add_i32 s6, s31, 15
	s_ashr_i32 s7, s6, 31
	s_lshr_b32 s7, s7, 28
	s_add_i32 s6, s6, s7
	s_lshl_b32 s40, s4, 5
	s_ashr_i32 s16, s6, 4
	s_add_i32 s6, s40, 32
	v_lshrrev_b32_e32 v8, 6, v0
	s_min_i32 s20, s6, s16
	v_or_b32_e32 v10, s40, v8
	v_cmp_gt_i32_e64 s[6:7], s20, v10
	v_mov_b32_e32 v14, 0xff7fffff
	s_mul_i32 s18, s8, s18
	v_ashrrev_i32_e32 v11, 31, v10
	v_lshl_add_u32 v1, v8, 4, s51
	v_mbcnt_lo_u32_b32 v9, -1, 0
	s_and_saveexec_b64 s[42:43], s[6:7]
	s_cbranch_execz .LBB96_20
; %bb.11:
	s_load_dwordx2 s[0:1], s[0:1], 0x20
	s_ashr_i32 s19, s18, 31
	s_sub_i32 s52, s50, s21
	s_lshl_b64 s[8:9], s[18:19], 1
	v_bfe_u32 v12, v0, 2, 4
	s_waitcnt lgkmcnt(0)
	s_add_u32 s0, s0, s8
	s_addc_u32 s1, s1, s9
	s_abs_i32 s19, s22
	v_cvt_f32_u32_e32 v5, s19
	v_lshlrev_b32_e32 v2, 4, v12
	v_mov_b32_e32 v3, 0
	v_lshl_add_u64 v[6:7], s[0:1], 0, v[2:3]
	v_rcp_iflag_f32_e32 v5, v5
	v_lshlrev_b32_e32 v2, 2, v0
	v_and_b32_e32 v2, 12, v2
	v_lshl_add_u64 v[2:3], v[6:7], 0, v[2:3]
	v_mul_f32_e32 v5, 0x4f7ffffe, v5
	v_cvt_u32_f32_e32 v5, v5
	s_sub_i32 s0, 0, s19
	v_lshlrev_b32_e32 v6, 2, v12
	v_cmp_eq_u32_e32 vcc, 0, v4
	v_lshlrev_b32_e32 v13, 6, v4
	v_mul_lo_u32 v4, s0, v5
	s_lshl_b64 s[0:1], s[36:37], 2
	v_lshl_or_b32 v6, v8, 6, v6
	s_add_u32 s0, s34, s0
	v_add_u32_e32 v17, 0x110, v6
	v_subrev_u32_e32 v6, s31, v12
	v_mbcnt_hi_u32_b32 v20, -1, v9
	v_mul_hi_u32 v4, v5, v4
	s_addc_u32 s1, s35, s1
	v_add_u32_e32 v18, 1, v6
	v_and_b32_e32 v6, 64, v20
	s_mov_b32 s53, s17
	v_cmp_neq_f32_e64 s[8:9], s3, 0
	v_add_u32_e32 v15, v5, v4
	v_lshl_add_u64 v[4:5], v[10:11], 2, s[0:1]
	v_lshl_add_u32 v16, v8, 4, s51
	s_mov_b64 s[44:45], 0
	v_mov_b32_e32 v19, 0xff7fffff
	v_add_u32_e32 v21, 64, v6
	v_xor_b32_e32 v22, 2, v20
	v_xor_b32_e32 v23, 1, v20
	v_mov_b32_e32 v14, 0xff7fffff
	v_mov_b32_e32 v24, v10
	s_branch .LBB96_14
.LBB96_12:                              ;   in Loop: Header=BB96_14 Depth=1
	s_or_b64 exec, exec, s[46:47]
.LBB96_13:                              ;   in Loop: Header=BB96_14 Depth=1
	s_or_b64 exec, exec, s[12:13]
	v_add_u32_e32 v24, 2, v24
	v_cmp_le_i32_e64 s[0:1], s20, v24
	v_lshl_add_u64 v[4:5], v[4:5], 0, 8
	v_add_u32_e32 v16, 32, v16
	s_or_b64 s[44:45], s[0:1], s[44:45]
	v_add_u32_e32 v17, 0x80, v17
	s_andn2_b64 exec, exec, s[44:45]
	s_cbranch_execz .LBB96_19
.LBB96_14:                              ; =>This Inner Loop Header: Depth=1
	s_waitcnt lgkmcnt(0)
	v_sub_u32_e32 v7, 0, v16
	v_max_i32_e32 v7, v16, v7
	v_mul_hi_u32 v25, v7, s48
	v_mul_lo_u32 v26, v25, s33
	v_sub_u32_e32 v7, v7, v26
	v_add_u32_e32 v26, 1, v25
	v_cmp_le_u32_e64 s[0:1], s33, v7
	v_ashrrev_i32_e32 v6, 31, v16
	v_xor_b32_e32 v6, s23, v6
	v_cndmask_b32_e64 v25, v25, v26, s[0:1]
	v_subrev_u32_e32 v26, s33, v7
	v_cndmask_b32_e64 v7, v7, v26, s[0:1]
	v_add_u32_e32 v26, 1, v25
	v_cmp_le_u32_e64 s[0:1], s33, v7
	s_nop 1
	v_cndmask_b32_e64 v7, v25, v26, s[0:1]
	v_xor_b32_e32 v7, v7, v6
	v_sub_u32_e32 v6, v7, v6
	v_add_u32_e32 v7, s49, v6
	v_sub_u32_e32 v26, 0, v7
	v_ashrrev_i32_e32 v25, 31, v7
	v_max_i32_e32 v7, v7, v26
	v_mul_hi_u32 v26, v7, v15
	v_mul_lo_u32 v26, v26, s19
	v_sub_u32_e32 v7, v7, v26
	v_subrev_u32_e32 v26, s19, v7
	v_cmp_le_u32_e64 s[0:1], s19, v7
	v_cmp_ge_i32_e64 s[12:13], s52, v6
	s_nop 0
	v_cndmask_b32_e64 v7, v7, v26, s[0:1]
	v_subrev_u32_e32 v26, s19, v7
	v_cmp_le_u32_e64 s[0:1], s19, v7
	s_nop 1
	v_cndmask_b32_e64 v7, v7, v26, s[0:1]
	v_xor_b32_e32 v7, v7, v25
	v_sub_u32_e32 v7, v7, v25
	v_cmp_ne_u32_e64 s[0:1], 0, v7
	s_and_b64 s[0:1], s[0:1], s[12:13]
	s_and_b64 s[46:47], vcc, s[0:1]
	s_and_saveexec_b64 s[12:13], s[46:47]
	s_cbranch_execz .LBB96_16
; %bb.15:                               ;   in Loop: Header=BB96_14 Depth=1
	ds_write_b32 v17, v19
.LBB96_16:                              ;   in Loop: Header=BB96_14 Depth=1
	s_or_b64 exec, exec, s[12:13]
	s_xor_b64 s[0:1], s[0:1], -1
	s_and_saveexec_b64 s[12:13], s[0:1]
	s_cbranch_execz .LBB96_13
; %bb.17:                               ;   in Loop: Header=BB96_14 Depth=1
	global_load_dword v6, v[4:5], off
	s_waitcnt vmcnt(0)
	v_mad_i64_i32 v[6:7], s[0:1], v6, s53, 0
	v_lshl_add_u64 v[6:7], v[6:7], 1, v[2:3]
	global_load_dword v33, v[6:7], off
	global_load_dword v34, v[6:7], off offset:256
	global_load_dword v35, v[6:7], off offset:512
	;; [unrolled: 1-line block ×12, first 2 shown]
	ds_read_b32 v39, v13
	global_load_dword v25, v[6:7], off offset:3328
	global_load_dword v41, v[6:7], off offset:3584
	v_cmp_lt_i32_e64 s[0:1], v22, v21
	global_load_dword v6, v[6:7], off offset:3840
	s_waitcnt lgkmcnt(0)
	v_lshrrev_b32_e32 v42, 16, v39
	v_and_b32_e32 v39, 0xffff, v39
	;;#ASMSTART
	v_cvt_f32_f16 v7, v39;
	;;#ASMEND
	;;#ASMSTART
	v_cvt_f32_f16 v39, v42;
	;;#ASMEND
	v_cndmask_b32_e64 v40, v20, v22, s[0:1]
	v_lshlrev_b32_e32 v40, 2, v40
	v_cmp_lt_i32_e64 s[0:1], v23, v21
	s_waitcnt vmcnt(15)
	v_lshrrev_b32_e32 v42, 16, v33
	v_and_b32_e32 v33, 0xffff, v33
	;;#ASMSTART
	v_cvt_f32_f16 v33, v33;
	;;#ASMEND
	;;#ASMSTART
	v_cvt_f32_f16 v42, v42;
	;;#ASMEND
	ds_read_b32 v43, v13 offset:4
	s_waitcnt vmcnt(14)
	v_lshrrev_b32_e32 v44, 16, v34
	v_and_b32_e32 v34, 0xffff, v34
	s_waitcnt vmcnt(13)
	v_lshrrev_b32_e32 v45, 16, v35
	v_and_b32_e32 v35, 0xffff, v35
	s_waitcnt lgkmcnt(0)
	v_lshrrev_b32_e32 v46, 16, v43
	v_and_b32_e32 v43, 0xffff, v43
	;;#ASMSTART
	v_cvt_f32_f16 v43, v43;
	;;#ASMEND
	;;#ASMSTART
	v_cvt_f32_f16 v46, v46;
	;;#ASMEND
	;;#ASMSTART
	v_cvt_f32_f16 v34, v34;
	;;#ASMEND
	;;#ASMSTART
	v_cvt_f32_f16 v44, v44;
	;;#ASMEND
	ds_read_b32 v47, v13 offset:8
	s_waitcnt vmcnt(12)
	v_lshrrev_b32_e32 v48, 16, v36
	v_and_b32_e32 v36, 0xffff, v36
	s_waitcnt vmcnt(11)
	v_lshrrev_b32_e32 v49, 16, v37
	v_and_b32_e32 v37, 0xffff, v37
	s_waitcnt lgkmcnt(0)
	v_lshrrev_b32_e32 v50, 16, v47
	v_and_b32_e32 v47, 0xffff, v47
	;;#ASMSTART
	v_cvt_f32_f16 v47, v47;
	;;#ASMEND
	;;#ASMSTART
	v_cvt_f32_f16 v50, v50;
	;;#ASMEND
	;; [unrolled: 22-line block ×4, first 2 shown]
	;;#ASMSTART
	v_cvt_f32_f16 v37, v37;
	;;#ASMEND
	;;#ASMSTART
	v_cvt_f32_f16 v49, v49;
	;;#ASMEND
	ds_read_b32 v59, v13 offset:20
	v_mul_f32_e32 v34, v43, v34
	v_mul_f32_e32 v43, v46, v44
	s_waitcnt vmcnt(6)
	v_lshrrev_b32_e32 v60, 16, v29
	v_and_b32_e32 v29, 0xffff, v29
	s_waitcnt lgkmcnt(0)
	v_lshrrev_b32_e32 v62, 16, v59
	v_and_b32_e32 v59, 0xffff, v59
	;;#ASMSTART
	v_cvt_f32_f16 v59, v59;
	;;#ASMEND
	;;#ASMSTART
	v_cvt_f32_f16 v62, v62;
	;;#ASMEND
	;; [unrolled: 3-line block ×4, first 2 shown]
	ds_read_b32 v63, v13 offset:24
	v_fmac_f32_e32 v34, v7, v33
	v_fmac_f32_e32 v43, v39, v42
	;; [unrolled: 1-line block ×4, first 2 shown]
	s_waitcnt lgkmcnt(0)
	v_lshrrev_b32_e32 v66, 16, v63
	v_and_b32_e32 v63, 0xffff, v63
	;;#ASMSTART
	v_cvt_f32_f16 v63, v63;
	;;#ASMEND
	;;#ASMSTART
	v_cvt_f32_f16 v66, v66;
	;;#ASMEND
	;; [unrolled: 3-line block ×4, first 2 shown]
	ds_read_b32 v67, v13 offset:28
	s_waitcnt vmcnt(5)
	v_lshrrev_b32_e32 v61, 16, v28
	v_and_b32_e32 v28, 0xffff, v28
	v_fmac_f32_e32 v34, v55, v37
	v_fmac_f32_e32 v34, v59, v38
	s_waitcnt lgkmcnt(0)
	v_lshrrev_b32_e32 v70, 16, v67
	v_and_b32_e32 v67, 0xffff, v67
	;;#ASMSTART
	v_cvt_f32_f16 v67, v67;
	;;#ASMEND
	;;#ASMSTART
	v_cvt_f32_f16 v70, v70;
	;;#ASMEND
	;;#ASMSTART
	v_cvt_f32_f16 v31, v31;
	;;#ASMEND
	;;#ASMSTART
	v_cvt_f32_f16 v56, v56;
	;;#ASMEND
	ds_read_b32 v71, v13 offset:32
	s_waitcnt vmcnt(4)
	v_lshrrev_b32_e32 v64, 16, v27
	v_and_b32_e32 v27, 0xffff, v27
	v_fmac_f32_e32 v34, v63, v32
	v_fmac_f32_e32 v43, v50, v45
	s_waitcnt lgkmcnt(0)
	v_lshrrev_b32_e32 v44, 16, v71
	v_and_b32_e32 v46, 0xffff, v71
	;;#ASMSTART
	v_cvt_f32_f16 v46, v46;
	;;#ASMEND
	;;#ASMSTART
	v_cvt_f32_f16 v44, v44;
	;;#ASMEND
	;; [unrolled: 3-line block ×4, first 2 shown]
	ds_read_b32 v71, v13 offset:36
	v_fmac_f32_e32 v43, v54, v48
	v_fmac_f32_e32 v43, v58, v49
	;; [unrolled: 1-line block ×4, first 2 shown]
	s_waitcnt lgkmcnt(0)
	v_lshrrev_b32_e32 v7, 16, v71
	v_and_b32_e32 v33, 0xffff, v71
	;;#ASMSTART
	v_cvt_f32_f16 v33, v33;
	;;#ASMEND
	;;#ASMSTART
	v_cvt_f32_f16 v7, v7;
	;;#ASMEND
	;; [unrolled: 3-line block ×4, first 2 shown]
	ds_read_b32 v39, v13 offset:40
	v_fmac_f32_e32 v34, v67, v31
	s_waitcnt vmcnt(3)
	v_lshrrev_b32_e32 v65, 16, v26
	v_and_b32_e32 v26, 0xffff, v26
	v_fmac_f32_e32 v43, v70, v56
	s_waitcnt lgkmcnt(0)
	v_lshrrev_b32_e32 v36, 16, v39
	v_and_b32_e32 v37, 0xffff, v39
	;;#ASMSTART
	v_cvt_f32_f16 v37, v37;
	;;#ASMEND
	;;#ASMSTART
	v_cvt_f32_f16 v36, v36;
	;;#ASMEND
	;; [unrolled: 3-line block ×4, first 2 shown]
	ds_read_b32 v42, v13 offset:44
	v_fmac_f32_e32 v34, v46, v30
	v_fmac_f32_e32 v43, v44, v57
	;; [unrolled: 1-line block ×3, first 2 shown]
	s_waitcnt vmcnt(2)
	v_lshrrev_b32_e32 v68, 16, v25
	s_waitcnt lgkmcnt(0)
	v_lshrrev_b32_e32 v32, 16, v42
	v_and_b32_e32 v38, 0xffff, v42
	;;#ASMSTART
	v_cvt_f32_f16 v38, v38;
	;;#ASMEND
	;;#ASMSTART
	v_cvt_f32_f16 v32, v32;
	;;#ASMEND
	;; [unrolled: 3-line block ×4, first 2 shown]
	ds_read_b32 v45, v13 offset:48
	v_and_b32_e32 v25, 0xffff, v25
	v_fmac_f32_e32 v43, v7, v35
	v_fmac_f32_e32 v34, v37, v28
	;; [unrolled: 1-line block ×3, first 2 shown]
	s_waitcnt lgkmcnt(0)
	v_lshrrev_b32_e32 v30, 16, v45
	v_and_b32_e32 v31, 0xffff, v45
	;;#ASMSTART
	v_cvt_f32_f16 v31, v31;
	;;#ASMEND
	;;#ASMSTART
	v_cvt_f32_f16 v30, v30;
	;;#ASMEND
	;; [unrolled: 3-line block ×4, first 2 shown]
	ds_read_b32 v45, v13 offset:52
	v_fmac_f32_e32 v34, v38, v27
	v_fmac_f32_e32 v43, v32, v42
	;; [unrolled: 1-line block ×3, first 2 shown]
	s_waitcnt vmcnt(1)
	v_lshrrev_b32_e32 v69, 16, v41
	s_waitcnt lgkmcnt(0)
	v_lshrrev_b32_e32 v7, 16, v45
	v_and_b32_e32 v28, 0xffff, v45
	;;#ASMSTART
	v_cvt_f32_f16 v28, v28;
	;;#ASMEND
	;;#ASMSTART
	v_cvt_f32_f16 v7, v7;
	;;#ASMEND
	;; [unrolled: 3-line block ×4, first 2 shown]
	ds_read_b32 v33, v13 offset:56
	v_and_b32_e32 v41, 0xffff, v41
	v_fmac_f32_e32 v43, v30, v44
	v_fmac_f32_e32 v34, v28, v25
	;; [unrolled: 1-line block ×3, first 2 shown]
	s_waitcnt lgkmcnt(0)
	v_lshrrev_b32_e32 v26, 16, v33
	v_and_b32_e32 v27, 0xffff, v33
	;;#ASMSTART
	v_cvt_f32_f16 v27, v27;
	;;#ASMEND
	;;#ASMSTART
	v_cvt_f32_f16 v26, v26;
	;;#ASMEND
	;; [unrolled: 3-line block ×4, first 2 shown]
	ds_read_b32 v32, v13 offset:60
	s_waitcnt vmcnt(0)
	v_lshrrev_b32_e32 v72, 16, v6
	v_and_b32_e32 v6, 0xffff, v6
	v_fmac_f32_e32 v34, v27, v30
	v_fmac_f32_e32 v43, v26, v31
	s_waitcnt lgkmcnt(0)
	v_lshrrev_b32_e32 v7, 16, v32
	v_and_b32_e32 v25, 0xffff, v32
	;;#ASMSTART
	v_cvt_f32_f16 v25, v25;
	;;#ASMEND
	;;#ASMSTART
	v_cvt_f32_f16 v7, v7;
	;;#ASMEND
	;; [unrolled: 3-line block ×4, first 2 shown]
	s_nop 0
	v_fmac_f32_e32 v34, v25, v6
	v_fmac_f32_e32 v43, v7, v26
	v_add_f32_e32 v6, v34, v43
	ds_bpermute_b32 v7, v40, v6
	v_cndmask_b32_e64 v25, v20, v23, s[0:1]
	s_waitcnt lgkmcnt(0)
	v_add_f32_e32 v6, v6, v7
	v_lshlrev_b32_e32 v7, 2, v25
	ds_bpermute_b32 v7, v7, v6
	s_and_saveexec_b64 s[46:47], vcc
	s_cbranch_execz .LBB96_12
; %bb.18:                               ;   in Loop: Header=BB96_14 Depth=1
	v_add_u32_e32 v25, v18, v16
	v_cvt_f32_i32_e32 v25, v25
	s_waitcnt lgkmcnt(0)
	v_add_f32_e32 v6, v6, v7
	v_add_u32_e32 v26, v12, v16
	v_cmp_gt_i32_e64 s[0:1], s31, v26
	v_mul_f32_e32 v7, s3, v25
	v_cndmask_b32_e64 v7, 0, v7, s[8:9]
	v_fmac_f32_e32 v7, s41, v6
	v_cndmask_b32_e64 v6, 0, v7, s[0:1]
	ds_write_b32 v17, v6
	v_max_f32_e32 v6, v14, v14
	v_max_f32_e32 v6, v6, v7
	v_cndmask_b32_e64 v14, v14, v6, s[0:1]
	s_branch .LBB96_12
.LBB96_19:
	s_or_b64 exec, exec, s[44:45]
.LBB96_20:
	s_or_b64 exec, exec, s[42:43]
	v_mbcnt_hi_u32_b32 v2, -1, v9
	v_and_b32_e32 v3, 64, v2
	v_add_u32_e32 v3, 64, v3
	v_xor_b32_e32 v4, 32, v2
	v_cmp_lt_i32_e32 vcc, v4, v3
	s_waitcnt lgkmcnt(0)
	v_xor_b32_e32 v7, 16, v2
	v_max_f32_e32 v6, v14, v14
	v_cndmask_b32_e32 v4, v2, v4, vcc
	v_lshlrev_b32_e32 v5, 2, v4
	ds_bpermute_b32 v4, v5, v14
	v_cmp_lt_i32_e32 vcc, v7, v3
	v_xor_b32_e32 v9, 8, v2
	v_and_b32_e32 v18, 63, v0
	s_waitcnt lgkmcnt(0)
	v_max_f32_e32 v4, v4, v4
	v_max_f32_e32 v4, v6, v4
	v_cndmask_b32_e32 v6, v2, v7, vcc
	v_lshlrev_b32_e32 v6, 2, v6
	ds_bpermute_b32 v7, v6, v4
	v_cmp_lt_i32_e32 vcc, v9, v3
	s_waitcnt lgkmcnt(0)
	v_max_f32_e32 v7, v7, v7
	v_max_f32_e32 v4, v4, v7
	v_cndmask_b32_e32 v7, v2, v9, vcc
	v_lshlrev_b32_e32 v12, 2, v7
	ds_bpermute_b32 v7, v12, v4
	v_xor_b32_e32 v9, 4, v2
	v_cmp_lt_i32_e32 vcc, v9, v3
	s_waitcnt lgkmcnt(0)
	v_max_f32_e32 v7, v7, v7
	v_max_f32_e32 v4, v4, v7
	v_cndmask_b32_e32 v7, v2, v9, vcc
	v_lshlrev_b32_e32 v13, 2, v7
	ds_bpermute_b32 v9, v13, v4
	v_cmp_eq_u32_e32 vcc, 0, v18
	v_lshlrev_b32_e32 v7, 2, v8
	s_and_saveexec_b64 s[0:1], vcc
	s_cbranch_execz .LBB96_22
; %bb.21:
	s_waitcnt lgkmcnt(0)
	v_max_f32_e32 v9, v9, v9
	v_max_f32_e32 v4, v4, v4
	;; [unrolled: 1-line block ×3, first 2 shown]
	ds_write_b32 v7, v4 offset:256
.LBB96_22:
	s_or_b64 exec, exec, s[0:1]
	v_cmp_gt_u32_e64 s[0:1], 2, v18
	v_mov_b32_e32 v4, 0xff7fffff
	s_waitcnt lgkmcnt(0)
	v_lshlrev_b32_e32 v9, 2, v18
	s_barrier
	s_and_saveexec_b64 s[8:9], s[0:1]
	s_cbranch_execz .LBB96_24
; %bb.23:
	ds_read_b32 v4, v9 offset:256
.LBB96_24:
	s_or_b64 exec, exec, s[8:9]
	v_xor_b32_e32 v14, 1, v2
	v_cmp_lt_i32_e64 s[8:9], v14, v3
	s_sub_i32 s3, s20, s40
	s_lshl_b32 s3, s3, 4
	v_cndmask_b32_e64 v14, v2, v14, s[8:9]
	v_lshlrev_b32_e32 v19, 2, v14
	s_waitcnt lgkmcnt(0)
	ds_bpermute_b32 v14, v19, v4
	v_max_f32_e32 v4, v4, v4
	s_add_i32 s3, s3, s51
	s_min_i32 s19, s3, s31
	s_sub_i32 s3, s19, s51
	s_waitcnt lgkmcnt(0)
	v_max_f32_e32 v14, v14, v14
	v_max_f32_e32 v4, v4, v14
	v_lshlrev_b32_e32 v14, 2, v2
	v_and_b32_e32 v14, 0x100, v14
	ds_bpermute_b32 v4, v14, v4
	v_cmp_gt_i32_e64 s[8:9], s3, v0
	v_mov_b32_e32 v15, 0
	s_and_saveexec_b64 s[40:41], s[8:9]
	s_cbranch_execz .LBB96_28
; %bb.25:
	v_mov_b32_e32 v15, 0x110
	v_lshl_add_u32 v16, v0, 2, v15
	s_mov_b64 s[42:43], 0
	v_mov_b32_e32 v15, 0
	v_mov_b32_e32 v17, v0
.LBB96_26:                              ; =>This Inner Loop Header: Depth=1
	ds_read_b32 v20, v16
	v_add_u32_e32 v17, 0x80, v17
	v_cmp_le_i32_e64 s[12:13], s3, v17
	s_or_b64 s[42:43], s[12:13], s[42:43]
	s_waitcnt lgkmcnt(0)
	v_sub_f32_e32 v20, v20, v4
	v_mul_f32_e32 v20, 0x3fb8aa3b, v20
	v_exp_f32_e32 v20, v20
	ds_write_b32 v16, v20
	v_add_f32_e32 v15, v15, v20
	v_add_u32_e32 v16, 0x200, v16
	s_andn2_b64 exec, exec, s[42:43]
	s_cbranch_execnz .LBB96_26
; %bb.27:
	s_or_b64 exec, exec, s[42:43]
.LBB96_28:
	s_or_b64 exec, exec, s[40:41]
	ds_bpermute_b32 v5, v5, v15
	s_waitcnt lgkmcnt(0)
	v_add_f32_e32 v5, v15, v5
	ds_bpermute_b32 v6, v6, v5
	s_waitcnt lgkmcnt(0)
	v_add_f32_e32 v5, v5, v6
	ds_bpermute_b32 v6, v12, v5
	v_xor_b32_e32 v12, 2, v2
	v_cmp_lt_i32_e64 s[12:13], v12, v3
	s_waitcnt lgkmcnt(0)
	v_add_f32_e32 v5, v5, v6
	ds_bpermute_b32 v6, v13, v5
	v_cndmask_b32_e64 v2, v2, v12, s[12:13]
	v_lshlrev_b32_e32 v2, 2, v2
	s_waitcnt lgkmcnt(0)
	v_add_f32_e32 v3, v5, v6
	ds_bpermute_b32 v2, v2, v3
	s_waitcnt lgkmcnt(0)
	v_add_f32_e32 v2, v3, v2
	ds_bpermute_b32 v3, v19, v2
	s_waitcnt lgkmcnt(0)
	v_add_f32_e32 v2, v2, v3
	s_and_saveexec_b64 s[12:13], vcc
	s_cbranch_execz .LBB96_30
; %bb.29:
	ds_write_b32 v7, v2 offset:264
.LBB96_30:
	s_or_b64 exec, exec, s[12:13]
	s_waitcnt lgkmcnt(0)
	s_barrier
	s_and_saveexec_b64 s[12:13], s[0:1]
	s_cbranch_execz .LBB96_32
; %bb.31:
	ds_read_b32 v2, v9 offset:264
.LBB96_32:
	s_or_b64 exec, exec, s[12:13]
	s_waitcnt lgkmcnt(0)
	ds_bpermute_b32 v3, v19, v2
	s_waitcnt lgkmcnt(0)
	v_add_f32_e32 v2, v2, v3
	ds_bpermute_b32 v5, v14, v2
	s_and_saveexec_b64 s[0:1], s[8:9]
	s_cbranch_execz .LBB96_45
; %bb.33:
	s_waitcnt lgkmcnt(0)
	v_add_f32_e32 v2, 0x358637bd, v5
	v_div_scale_f32 v3, s[8:9], v2, v2, 1.0
	v_rcp_f32_e32 v6, v3
	v_div_scale_f32 v7, vcc, 1.0, v2, 1.0
	s_movk_i32 s8, 0x7f
	v_fma_f32 v9, -v3, v6, 1.0
	v_fmac_f32_e32 v6, v9, v6
	v_mul_f32_e32 v9, v7, v6
	v_fma_f32 v12, -v3, v9, v7
	v_fmac_f32_e32 v9, v12, v6
	v_fma_f32 v3, -v3, v9, v7
	v_div_fmas_f32 v3, v3, v6, v9
	v_div_fixup_f32 v2, v3, v2, 1.0
	v_xad_u32 v3, v0, -1, s19
	v_subrev_u32_e32 v6, s51, v3
	v_cmp_lt_u32_e32 vcc, s8, v6
	s_mov_b64 s[12:13], -1
	v_mov_b32_e32 v3, v0
	s_and_saveexec_b64 s[8:9], vcc
	s_cbranch_execz .LBB96_42
; %bb.34:
	v_lshrrev_b32_e32 v6, 7, v6
	v_add_u32_e32 v9, -1, v6
	v_lshrrev_b32_e32 v7, 1, v9
	v_mov_b32_e32 v3, v2
	v_add_u32_e32 v7, 1, v7
	v_cmp_lt_u32_e32 vcc, 13, v9
	v_mov_b32_e32 v13, 0
	s_and_saveexec_b64 s[12:13], vcc
	s_cbranch_execz .LBB96_38
; %bb.35:
	v_mov_b32_e32 v12, 0x110
	v_and_b32_e32 v9, -8, v7
	v_lshl_add_u32 v12, v0, 2, v12
	s_mov_b32 s19, 0
	s_mov_b64 s[40:41], 0
.LBB96_36:                              ; =>This Inner Loop Header: Depth=1
	ds_read2st64_b32 v[14:15], v12 offset1:2
	ds_read2st64_b32 v[16:17], v12 offset0:4 offset1:6
	ds_read2st64_b32 v[20:21], v12 offset0:8 offset1:10
	;; [unrolled: 1-line block ×3, first 2 shown]
	v_add_u32_e32 v9, -8, v9
	s_waitcnt lgkmcnt(3)
	v_pk_mul_f32 v[14:15], v[2:3], v[14:15]
	s_waitcnt lgkmcnt(2)
	v_pk_mul_f32 v[16:17], v[2:3], v[16:17]
	ds_write2st64_b32 v12, v14, v15 offset1:2
	ds_write2st64_b32 v12, v16, v17 offset0:4 offset1:6
	ds_read2st64_b32 v[16:17], v12 offset0:16 offset1:18
	s_waitcnt lgkmcnt(4)
	v_pk_mul_f32 v[14:15], v[2:3], v[20:21]
	ds_write2st64_b32 v12, v14, v15 offset0:8 offset1:10
	s_waitcnt lgkmcnt(4)
	v_pk_mul_f32 v[14:15], v[2:3], v[22:23]
	ds_write2st64_b32 v12, v14, v15 offset0:12 offset1:14
	ds_read2st64_b32 v[14:15], v12 offset0:20 offset1:22
	s_waitcnt lgkmcnt(3)
	v_pk_mul_f32 v[16:17], v[2:3], v[16:17]
	ds_read2st64_b32 v[20:21], v12 offset0:24 offset1:26
	ds_write2st64_b32 v12, v16, v17 offset0:16 offset1:18
	ds_read2st64_b32 v[16:17], v12 offset0:28 offset1:30
	s_waitcnt lgkmcnt(3)
	v_pk_mul_f32 v[14:15], v[2:3], v[14:15]
	ds_write2st64_b32 v12, v14, v15 offset0:20 offset1:22
	s_waitcnt lgkmcnt(3)
	v_pk_mul_f32 v[14:15], v[2:3], v[20:21]
	ds_write2st64_b32 v12, v14, v15 offset0:24 offset1:26
	s_waitcnt lgkmcnt(2)
	v_pk_mul_f32 v[14:15], v[2:3], v[16:17]
	s_add_i32 s19, s19, 16
	v_cmp_eq_u32_e32 vcc, 0, v9
	ds_write2st64_b32 v12, v14, v15 offset0:28 offset1:30
	v_add_u32_e32 v12, 0x2000, v12
	s_or_b64 s[40:41], vcc, s[40:41]
	v_mov_b32_e32 v13, s19
	s_andn2_b64 exec, exec, s[40:41]
	s_cbranch_execnz .LBB96_36
; %bb.37:
	s_or_b64 exec, exec, s[40:41]
.LBB96_38:
	s_or_b64 exec, exec, s[12:13]
	v_and_b32_e32 v7, 7, v7
	v_cmp_ne_u32_e32 vcc, 0, v7
	s_and_saveexec_b64 s[12:13], vcc
	s_cbranch_execz .LBB96_41
; %bb.39:
	v_lshlrev_b32_e32 v9, 9, v13
	v_lshlrev_b32_e32 v12, 2, v0
	s_movk_i32 s19, 0x110
	v_add3_u32 v9, v9, v12, s19
	s_mov_b64 s[40:41], 0
.LBB96_40:                              ; =>This Inner Loop Header: Depth=1
	ds_read2st64_b32 v[12:13], v9 offset1:2
	v_add_u32_e32 v7, -1, v7
	v_cmp_eq_u32_e32 vcc, 0, v7
	s_or_b64 s[40:41], vcc, s[40:41]
	s_waitcnt lgkmcnt(0)
	v_pk_mul_f32 v[12:13], v[2:3], v[12:13]
	ds_write2st64_b32 v9, v12, v13 offset1:2
	v_add_u32_e32 v9, 0x400, v9
	s_andn2_b64 exec, exec, s[40:41]
	s_cbranch_execnz .LBB96_40
.LBB96_41:
	s_or_b64 exec, exec, s[12:13]
	v_add_u32_e32 v6, 1, v6
	v_and_b32_e32 v7, 0x3fffffe, v6
	v_cmp_ne_u32_e32 vcc, v6, v7
	v_lshl_add_u32 v3, v7, 7, v0
	s_orn2_b64 s[12:13], vcc, exec
.LBB96_42:
	s_or_b64 exec, exec, s[8:9]
	s_and_b64 exec, exec, s[12:13]
	s_cbranch_execz .LBB96_45
; %bb.43:
	v_mov_b32_e32 v6, 0x110
	v_lshl_add_u32 v6, v3, 2, v6
	s_mov_b64 s[8:9], 0
.LBB96_44:                              ; =>This Inner Loop Header: Depth=1
	ds_read_b32 v7, v6
	v_add_u32_e32 v3, 0x80, v3
	v_cmp_le_i32_e32 vcc, s3, v3
	s_or_b64 s[8:9], vcc, s[8:9]
	s_waitcnt lgkmcnt(0)
	v_mul_f32_e32 v7, v2, v7
	ds_write_b32 v6, v7
	v_add_u32_e32 v6, 0x200, v6
	s_andn2_b64 exec, exec, s[8:9]
	s_cbranch_execnz .LBB96_44
.LBB96_45:
	s_or_b64 exec, exec, s[0:1]
	s_mul_i32 s0, s15, s30
	v_cmp_eq_u32_e32 vcc, 0, v0
	s_mul_i32 s8, s0, s5
	s_waitcnt lgkmcnt(0)
	s_barrier
	s_and_saveexec_b64 s[0:1], vcc
	s_cbranch_execz .LBB96_47
; %bb.46:
	s_ashr_i32 s9, s8, 31
	s_lshl_b64 s[12:13], s[8:9], 2
	s_add_u32 s5, s26, s12
	s_mul_i32 s2, s15, s2
	s_addc_u32 s9, s27, s13
	s_ashr_i32 s3, s2, 31
	s_lshl_b64 s[2:3], s[2:3], 2
	s_add_u32 s19, s5, s2
	s_addc_u32 s9, s9, s3
	s_ashr_i32 s5, s4, 31
	s_lshl_b64 s[26:27], s[4:5], 2
	s_add_u32 s40, s19, s26
	s_addc_u32 s41, s9, s27
	s_add_u32 s5, s24, s12
	s_addc_u32 s9, s25, s13
	;; [unrolled: 2-line block ×3, first 2 shown]
	s_add_u32 s2, s2, s26
	v_mov_b32_e32 v2, 0
	s_addc_u32 s3, s3, s27
	global_store_dword v2, v4, s[40:41]
	global_store_dword v2, v5, s[2:3]
.LBB96_47:
	s_or_b64 exec, exec, s[0:1]
	v_mov_b32_e32 v5, 0
	v_and_b32_e32 v20, 1, v0
	v_mov_b32_e32 v4, 0
	v_mov_b32_e32 v3, 0
	;; [unrolled: 1-line block ×3, first 2 shown]
	s_and_saveexec_b64 s[2:3], s[6:7]
	s_cbranch_execz .LBB96_61
; %bb.48:
	s_ashr_i32 s19, s18, 31
	s_sub_i32 s5, s50, s21
	s_lshl_b64 s[0:1], s[18:19], 1
	s_add_u32 s0, s38, s0
	v_lshlrev_b32_e32 v2, 3, v0
	s_addc_u32 s1, s39, s1
	s_abs_i32 s18, s22
	v_and_b32_e32 v21, 8, v2
	v_cvt_f32_u32_e32 v2, s18
	s_sub_i32 s6, 0, s18
	s_add_i32 s19, s16, -1
	s_mov_b32 s40, 0
	v_rcp_iflag_f32_e32 v2, v2
	s_mov_b32 s41, s40
	s_mov_b32 s42, s40
	;; [unrolled: 1-line block ×3, first 2 shown]
	v_mul_f32_e32 v2, 0x4f7ffffe, v2
	v_cvt_u32_f32_e32 v2, v2
	s_mov_b32 s9, s17
	s_mov_b32 s21, s31
	;; [unrolled: 1-line block ×3, first 2 shown]
	v_mul_lo_u32 v3, s6, v2
	v_mul_hi_u32 v3, v2, v3
	v_add_u32_e32 v22, v2, v3
	v_lshlrev_b32_e32 v2, 4, v0
	v_mov_b32_e32 v3, 0
	v_and_b32_e32 v2, 0x3f0, v2
	v_lshl_add_u64 v[12:13], s[0:1], 0, v[2:3]
	s_lshl_b64 s[0:1], s[36:37], 2
	s_add_u32 s0, s34, s0
	v_lshlrev_b32_e32 v2, 5, v20
	s_addc_u32 s1, s35, s1
	v_lshl_or_b32 v2, v8, 6, v2
	v_lshl_add_u64 v[14:15], v[10:11], 2, s[0:1]
	v_add_u32_e32 v11, 0x110, v2
	v_mov_b64_e32 v[2:3], s[40:41]
	s_mov_b32 s24, s31
	s_mov_b32 s25, s31
	;; [unrolled: 1-line block ×5, first 2 shown]
	s_mov_b64 s[6:7], 0
	v_mov_b64_e32 v[4:5], s[42:43]
	s_mov_b32 s34, 0x5040100
	s_branch .LBB96_51
.LBB96_49:                              ;   in Loop: Header=BB96_51 Depth=1
	s_or_b64 exec, exec, s[0:1]
	s_waitcnt vmcnt(0)
	;;#ASMSTART
	v_pk_mul_f16 v6, v34, v6;

	;;#ASMEND
	;;#ASMSTART
	v_pk_mul_f16 v7, v33, v7;

	;;#ASMEND
	;; [unrolled: 4-line block ×4, first 2 shown]
	v_add_f32_e32 v16, v35, v36
	;;#ASMSTART
	v_pk_add_f16 v6, v6, v7;

	;;#ASMEND
	v_add_f32_e32 v2, v2, v16
	;;#ASMSTART
	v_pk_add_f16 v6, v6, v8;

	;;#ASMEND
	;; [unrolled: 5-line block ×3, first 2 shown]
	v_add_f32_e32 v3, v3, v16
	v_lshrrev_b32_e32 v7, 16, v6
	v_and_b32_e32 v6, 0xffff, v6
	;;#ASMSTART
	v_cvt_f32_f16 v6, v6;
	;;#ASMEND
	v_add_f32_e32 v16, v39, v40
	;;#ASMSTART
	v_cvt_f32_f16 v7, v7;
	;;#ASMEND
	v_add_f32_e32 v4, v4, v16
	v_add_f32_e32 v6, v6, v7
	v_add_f32_e32 v5, v5, v6
.LBB96_50:                              ;   in Loop: Header=BB96_51 Depth=1
	s_or_b64 exec, exec, s[12:13]
	v_add_u32_e32 v10, 2, v10
	v_cmp_le_i32_e32 vcc, s20, v10
	v_lshl_add_u64 v[14:15], v[14:15], 0, 8
	v_add_u32_e32 v1, 32, v1
	s_or_b64 s[6:7], vcc, s[6:7]
	v_add_u32_e32 v11, 0x80, v11
	s_andn2_b64 exec, exec, s[6:7]
	s_cbranch_execz .LBB96_60
.LBB96_51:                              ; =>This Inner Loop Header: Depth=1
	v_sub_u32_e32 v7, 0, v1
	v_max_i32_e32 v7, v1, v7
	v_mul_hi_u32 v8, v7, s48
	v_mul_lo_u32 v9, v8, s33
	v_sub_u32_e32 v7, v7, v9
	v_add_u32_e32 v9, 1, v8
	v_cmp_le_u32_e32 vcc, s33, v7
	v_ashrrev_i32_e32 v6, 31, v1
	v_xor_b32_e32 v6, s23, v6
	v_cndmask_b32_e32 v8, v8, v9, vcc
	v_subrev_u32_e32 v9, s33, v7
	v_cndmask_b32_e32 v7, v7, v9, vcc
	v_add_u32_e32 v9, 1, v8
	v_cmp_le_u32_e32 vcc, s33, v7
	s_nop 1
	v_cndmask_b32_e32 v7, v8, v9, vcc
	v_xor_b32_e32 v7, v7, v6
	v_sub_u32_e32 v6, v7, v6
	v_add_u32_e32 v7, s49, v6
	v_sub_u32_e32 v9, 0, v7
	v_ashrrev_i32_e32 v8, 31, v7
	v_max_i32_e32 v7, v7, v9
	v_mul_hi_u32 v9, v7, v22
	v_mul_lo_u32 v9, v9, s18
	v_sub_u32_e32 v7, v7, v9
	v_subrev_u32_e32 v9, s18, v7
	v_cmp_le_u32_e32 vcc, s18, v7
	v_cmp_lt_i32_e64 s[0:1], s5, v6
	s_nop 0
	v_cndmask_b32_e32 v7, v7, v9, vcc
	v_subrev_u32_e32 v9, s18, v7
	v_cmp_le_u32_e32 vcc, s18, v7
	s_nop 1
	v_cndmask_b32_e32 v7, v7, v9, vcc
	v_xor_b32_e32 v7, v7, v8
	v_sub_u32_e32 v7, v7, v8
	v_cmp_eq_u32_e32 vcc, 0, v7
	s_or_b64 s[0:1], vcc, s[0:1]
	s_and_saveexec_b64 s[12:13], s[0:1]
	s_cbranch_execz .LBB96_50
; %bb.52:                               ;   in Loop: Header=BB96_51 Depth=1
	global_load_dword v16, v[14:15], off
	ds_read2_b64 v[6:9], v11 offset1:1
	ds_read2_b64 v[24:27], v11 offset0:2 offset1:3
	v_add_u32_e32 v23, v21, v1
	v_cmp_eq_u32_e32 vcc, s19, v10
	s_waitcnt lgkmcnt(1)
	;;#ASMSTART
	v_cvt_f16_f32 v31, v6;

	;;#ASMEND
	;;#ASMSTART
	v_cvt_f16_f32 v32, v7;

	;;#ASMEND
	;; [unrolled: 4-line block ×4, first 2 shown]
	s_waitcnt lgkmcnt(0)
	;;#ASMSTART
	v_cvt_f16_f32 v36, v24;

	;;#ASMEND
	;;#ASMSTART
	v_cvt_f16_f32 v37, v25;

	;;#ASMEND
	;; [unrolled: 4-line block ×4, first 2 shown]
	v_add_u32_e32 v24, 1, v23
	v_or_b32_e32 v26, 3, v23
	v_or_b32_e32 v25, 2, v23
	;; [unrolled: 1-line block ×6, first 2 shown]
	s_waitcnt vmcnt(0)
	v_mad_i64_i32 v[6:7], s[0:1], v16, s9, 0
	v_lshl_add_u64 v[16:17], v[6:7], 1, v[12:13]
	global_load_dwordx4 v[6:9], v[16:17], off
	s_and_saveexec_b64 s[16:17], vcc
	s_cbranch_execz .LBB96_54
; %bb.53:                               ;   in Loop: Header=BB96_51 Depth=1
	s_waitcnt vmcnt(0)
	v_lshrrev_b32_e32 v34, 16, v9
	v_cmp_gt_i32_e64 s[0:1], s30, v30
	s_nop 1
	v_cndmask_b32_e64 v34, 0, v34, s[0:1]
	v_cmp_gt_i32_e64 s[0:1], s27, v29
	s_nop 1
	v_cndmask_b32_e64 v9, 0, v9, s[0:1]
	v_perm_b32 v9, v34, v9, s34
	v_lshrrev_b32_e32 v34, 16, v8
	v_cmp_gt_i32_e64 s[0:1], s26, v28
	s_nop 1
	v_cndmask_b32_e64 v34, 0, v34, s[0:1]
	v_cmp_gt_i32_e64 s[0:1], s25, v27
	s_nop 1
	v_cndmask_b32_e64 v8, 0, v8, s[0:1]
	v_perm_b32 v8, v34, v8, s34
	;; [unrolled: 8-line block ×4, first 2 shown]
.LBB96_54:                              ;   in Loop: Header=BB96_51 Depth=1
	s_or_b64 exec, exec, s[16:17]
	v_and_b32_e32 v31, 0xffff, v31
	v_lshl_or_b32 v34, v32, 16, v31
	v_and_b32_e32 v31, 0xffff, v33
	v_lshl_or_b32 v33, v35, 16, v31
	;; [unrolled: 2-line block ×3, first 2 shown]
	v_and_b32_e32 v31, 0xffff, v38
	s_waitcnt vmcnt(0)
	;;#ASMSTART
	v_pk_mul_f16 v6, v34, v6;

	;;#ASMEND
	v_lshl_or_b32 v31, v39, 16, v31
	;;#ASMSTART
	v_pk_mul_f16 v7, v33, v7;

	;;#ASMEND
	;;#ASMSTART
	v_pk_mul_f16 v8, v32, v8;

	;;#ASMEND
	;; [unrolled: 4-line block ×3, first 2 shown]
	s_nop 0
	;;#ASMSTART
	v_pk_add_f16 v6, v6, v7;

	;;#ASMEND
	s_nop 0
	;;#ASMSTART
	v_pk_add_f16 v6, v6, v8;

	;;#ASMEND
	s_nop 0
	;;#ASMSTART
	v_pk_add_f16 v6, v6, v9;

	;;#ASMEND
	s_nop 0
	v_lshrrev_b32_e32 v7, 16, v6
	v_and_b32_e32 v6, 0xffff, v6
	;;#ASMSTART
	v_cvt_f32_f16 v35, v6;
	;;#ASMEND
	;;#ASMSTART
	v_cvt_f32_f16 v36, v7;
	;;#ASMEND
	global_load_dwordx4 v[6:9], v[16:17], off offset:1024
	s_and_saveexec_b64 s[16:17], vcc
	s_cbranch_execz .LBB96_56
; %bb.55:                               ;   in Loop: Header=BB96_51 Depth=1
	s_waitcnt vmcnt(0)
	v_lshrrev_b32_e32 v37, 16, v9
	v_cmp_gt_i32_e64 s[0:1], s30, v30
	s_nop 1
	v_cndmask_b32_e64 v37, 0, v37, s[0:1]
	v_cmp_gt_i32_e64 s[0:1], s27, v29
	s_nop 1
	v_cndmask_b32_e64 v9, 0, v9, s[0:1]
	v_perm_b32 v9, v37, v9, s34
	v_lshrrev_b32_e32 v37, 16, v8
	v_cmp_gt_i32_e64 s[0:1], s26, v28
	s_nop 1
	v_cndmask_b32_e64 v37, 0, v37, s[0:1]
	v_cmp_gt_i32_e64 s[0:1], s25, v27
	s_nop 1
	v_cndmask_b32_e64 v8, 0, v8, s[0:1]
	v_perm_b32 v8, v37, v8, s34
	;; [unrolled: 8-line block ×4, first 2 shown]
.LBB96_56:                              ;   in Loop: Header=BB96_51 Depth=1
	s_or_b64 exec, exec, s[16:17]
	s_waitcnt vmcnt(0)
	;;#ASMSTART
	v_pk_mul_f16 v6, v34, v6;

	;;#ASMEND
	;;#ASMSTART
	v_pk_mul_f16 v7, v33, v7;

	;;#ASMEND
	;; [unrolled: 4-line block ×4, first 2 shown]
	s_nop 0
	;;#ASMSTART
	v_pk_add_f16 v6, v6, v7;

	;;#ASMEND
	s_nop 0
	;;#ASMSTART
	v_pk_add_f16 v6, v6, v8;

	;;#ASMEND
	;; [unrolled: 5-line block ×3, first 2 shown]
	s_nop 0
	v_lshrrev_b32_e32 v7, 16, v6
	v_and_b32_e32 v6, 0xffff, v6
	;;#ASMSTART
	v_cvt_f32_f16 v37, v6;
	;;#ASMEND
	;;#ASMSTART
	v_cvt_f32_f16 v38, v7;
	;;#ASMEND
	global_load_dwordx4 v[6:9], v[16:17], off offset:2048
	s_and_saveexec_b64 s[16:17], vcc
	s_cbranch_execz .LBB96_58
; %bb.57:                               ;   in Loop: Header=BB96_51 Depth=1
	s_waitcnt vmcnt(0)
	v_lshrrev_b32_e32 v39, 16, v9
	v_cmp_gt_i32_e64 s[0:1], s30, v30
	s_nop 1
	v_cndmask_b32_e64 v39, 0, v39, s[0:1]
	v_cmp_gt_i32_e64 s[0:1], s27, v29
	s_nop 1
	v_cndmask_b32_e64 v9, 0, v9, s[0:1]
	v_perm_b32 v9, v39, v9, s34
	v_lshrrev_b32_e32 v39, 16, v8
	v_cmp_gt_i32_e64 s[0:1], s26, v28
	s_nop 1
	v_cndmask_b32_e64 v39, 0, v39, s[0:1]
	v_cmp_gt_i32_e64 s[0:1], s25, v27
	s_nop 1
	v_cndmask_b32_e64 v8, 0, v8, s[0:1]
	v_perm_b32 v8, v39, v8, s34
	;; [unrolled: 8-line block ×4, first 2 shown]
.LBB96_58:                              ;   in Loop: Header=BB96_51 Depth=1
	s_or_b64 exec, exec, s[16:17]
	s_waitcnt vmcnt(0)
	;;#ASMSTART
	v_pk_mul_f16 v6, v34, v6;

	;;#ASMEND
	;;#ASMSTART
	v_pk_mul_f16 v7, v33, v7;

	;;#ASMEND
	;; [unrolled: 4-line block ×4, first 2 shown]
	s_nop 0
	;;#ASMSTART
	v_pk_add_f16 v6, v6, v7;

	;;#ASMEND
	s_nop 0
	;;#ASMSTART
	v_pk_add_f16 v6, v6, v8;

	;;#ASMEND
	;; [unrolled: 5-line block ×3, first 2 shown]
	s_nop 0
	v_lshrrev_b32_e32 v7, 16, v6
	v_and_b32_e32 v6, 0xffff, v6
	;;#ASMSTART
	v_cvt_f32_f16 v39, v6;
	;;#ASMEND
	;;#ASMSTART
	v_cvt_f32_f16 v40, v7;
	;;#ASMEND
	global_load_dwordx4 v[6:9], v[16:17], off offset:3072
	s_and_saveexec_b64 s[0:1], vcc
	s_cbranch_execz .LBB96_49
; %bb.59:                               ;   in Loop: Header=BB96_51 Depth=1
	s_waitcnt vmcnt(0)
	v_lshrrev_b32_e32 v16, 16, v9
	v_cmp_gt_i32_e32 vcc, s30, v30
	s_nop 1
	v_cndmask_b32_e32 v16, 0, v16, vcc
	v_cmp_gt_i32_e32 vcc, s27, v29
	s_nop 1
	v_cndmask_b32_e32 v9, 0, v9, vcc
	v_perm_b32 v9, v16, v9, s34
	v_lshrrev_b32_e32 v16, 16, v8
	v_cmp_gt_i32_e32 vcc, s26, v28
	s_nop 1
	v_cndmask_b32_e32 v16, 0, v16, vcc
	v_cmp_gt_i32_e32 vcc, s25, v27
	s_nop 1
	v_cndmask_b32_e32 v8, 0, v8, vcc
	v_perm_b32 v8, v16, v8, s34
	;; [unrolled: 8-line block ×4, first 2 shown]
	s_branch .LBB96_49
.LBB96_60:
	s_or_b64 exec, exec, s[6:7]
.LBB96_61:
	s_or_b64 exec, exec, s[2:3]
	ds_bpermute_b32 v6, v19, v2
	ds_bpermute_b32 v7, v19, v3
	;; [unrolled: 1-line block ×4, first 2 shown]
	v_and_b32_e32 v1, 0x3c1, v0
	v_cmp_eq_u32_e32 vcc, 64, v1
	s_waitcnt lgkmcnt(2)
	v_pk_add_f32 v[6:7], v[2:3], v[6:7]
	s_waitcnt lgkmcnt(0)
	v_pk_add_f32 v[2:3], v[4:5], v[8:9]
	s_barrier
	s_and_saveexec_b64 s[0:1], vcc
	s_cbranch_execz .LBB96_63
; %bb.62:
	v_mov_b32_e32 v4, 0x110
	v_lshl_add_u32 v4, v18, 1, v4
	ds_write2_b32 v4, v6, v7 offset1:32
	ds_write2_b32 v4, v2, v3 offset0:64 offset1:96
.LBB96_63:
	s_or_b64 exec, exec, s[0:1]
	s_waitcnt lgkmcnt(0)
	s_barrier
	s_and_saveexec_b64 s[0:1], s[10:11]
	s_cbranch_execz .LBB96_70
; %bb.64:
	v_cmp_eq_u32_e32 vcc, 0, v20
	v_lshrrev_b32_e32 v4, 1, v0
	s_and_saveexec_b64 s[2:3], vcc
	s_cbranch_execnz .LBB96_73
; %bb.65:
	s_or_b64 exec, exec, s[2:3]
	s_and_saveexec_b64 s[2:3], vcc
	s_cbranch_execnz .LBB96_74
.LBB96_66:
	s_or_b64 exec, exec, s[2:3]
	s_and_saveexec_b64 s[2:3], vcc
	s_cbranch_execnz .LBB96_75
.LBB96_67:
	s_or_b64 exec, exec, s[2:3]
	s_and_saveexec_b64 s[2:3], vcc
	s_cbranch_execz .LBB96_69
.LBB96_68:
	v_mov_b32_e32 v5, 0x110
	v_lshl_add_u32 v4, v4, 2, v5
	ds_read_b32 v4, v4 offset:384
	s_waitcnt lgkmcnt(0)
	v_add_f32_e32 v3, v3, v4
.LBB96_69:
	s_or_b64 exec, exec, s[2:3]
.LBB96_70:
	s_or_b64 exec, exec, s[0:1]
	v_cmp_eq_u32_e32 vcc, 0, v1
	s_barrier
	s_and_saveexec_b64 s[0:1], vcc
	s_cbranch_execz .LBB96_72
; %bb.71:
	s_lshl_b32 s0, s8, 7
	s_ashr_i32 s1, s0, 31
	s_lshl_b64 s[0:1], s[0:1], 1
	s_add_u32 s2, s28, s0
	s_mul_i32 s0, s15, s14
	s_addc_u32 s3, s29, s1
	s_ashr_i32 s1, s0, 31
	s_lshl_b64 s[0:1], s[0:1], 1
	s_add_u32 s2, s2, s0
	s_addc_u32 s3, s3, s1
	s_lshl_b32 s0, s4, 7
	s_ashr_i32 s1, s0, 31
	s_lshl_b64 s[0:1], s[0:1], 1
	s_add_u32 s0, s2, s0
	s_addc_u32 s1, s3, s1
	;;#ASMSTART
	v_cvt_f16_f32 v1, v6;

	;;#ASMEND
	global_store_short v0, v1, s[0:1]
	;;#ASMSTART
	v_cvt_f16_f32 v1, v7;

	;;#ASMEND
	global_store_short v0, v1, s[0:1] offset:64
	;;#ASMSTART
	v_cvt_f16_f32 v1, v2;

	;;#ASMEND
	global_store_short v0, v1, s[0:1] offset:128
	;; [unrolled: 5-line block ×3, first 2 shown]
.LBB96_72:
	s_endpgm
.LBB96_73:
	v_mov_b32_e32 v5, 0x110
	v_lshl_add_u32 v5, v4, 2, v5
	ds_read_b32 v5, v5
	s_waitcnt lgkmcnt(0)
	v_add_f32_e32 v6, v6, v5
	s_or_b64 exec, exec, s[2:3]
	s_and_saveexec_b64 s[2:3], vcc
	s_cbranch_execz .LBB96_66
.LBB96_74:
	v_mov_b32_e32 v5, 0x110
	v_lshl_add_u32 v5, v4, 2, v5
	ds_read_b32 v5, v5 offset:128
	s_waitcnt lgkmcnt(0)
	v_add_f32_e32 v7, v7, v5
	s_or_b64 exec, exec, s[2:3]
	s_and_saveexec_b64 s[2:3], vcc
	s_cbranch_execz .LBB96_67
.LBB96_75:
	v_mov_b32_e32 v5, 0x110
	v_lshl_add_u32 v5, v4, 2, v5
	ds_read_b32 v5, v5 offset:256
	s_waitcnt lgkmcnt(0)
	v_add_f32_e32 v2, v2, v5
	s_or_b64 exec, exec, s[2:3]
	s_and_saveexec_b64 s[2:3], vcc
	s_cbranch_execnz .LBB96_68
	s_branch .LBB96_69
	.section	.rodata,"a",@progbits
	.p2align	6, 0x0
	.amdhsa_kernel _ZN4vllm25paged_attention_v2_kernelIttLi128ELi16ELi128ELNS_18Fp8KVCacheDataTypeE0ELb1ELi512EEEvPfS2_PT_PKS3_PKT0_S9_ifPKiSB_iPKfiiiSD_SD_iiiii
		.amdhsa_group_segment_fixed_size 272
		.amdhsa_private_segment_fixed_size 0
		.amdhsa_kernarg_size 400
		.amdhsa_user_sgpr_count 2
		.amdhsa_user_sgpr_dispatch_ptr 0
		.amdhsa_user_sgpr_queue_ptr 0
		.amdhsa_user_sgpr_kernarg_segment_ptr 1
		.amdhsa_user_sgpr_dispatch_id 0
		.amdhsa_user_sgpr_kernarg_preload_length 0
		.amdhsa_user_sgpr_kernarg_preload_offset 0
		.amdhsa_user_sgpr_private_segment_size 0
		.amdhsa_uses_dynamic_stack 0
		.amdhsa_enable_private_segment 0
		.amdhsa_system_sgpr_workgroup_id_x 1
		.amdhsa_system_sgpr_workgroup_id_y 1
		.amdhsa_system_sgpr_workgroup_id_z 1
		.amdhsa_system_sgpr_workgroup_info 0
		.amdhsa_system_vgpr_workitem_id 0
		.amdhsa_next_free_vgpr 73
		.amdhsa_next_free_sgpr 54
		.amdhsa_accum_offset 76
		.amdhsa_reserve_vcc 1
		.amdhsa_float_round_mode_32 0
		.amdhsa_float_round_mode_16_64 0
		.amdhsa_float_denorm_mode_32 3
		.amdhsa_float_denorm_mode_16_64 3
		.amdhsa_dx10_clamp 1
		.amdhsa_ieee_mode 1
		.amdhsa_fp16_overflow 0
		.amdhsa_tg_split 0
		.amdhsa_exception_fp_ieee_invalid_op 0
		.amdhsa_exception_fp_denorm_src 0
		.amdhsa_exception_fp_ieee_div_zero 0
		.amdhsa_exception_fp_ieee_overflow 0
		.amdhsa_exception_fp_ieee_underflow 0
		.amdhsa_exception_fp_ieee_inexact 0
		.amdhsa_exception_int_div_zero 0
	.end_amdhsa_kernel
	.section	.text._ZN4vllm25paged_attention_v2_kernelIttLi128ELi16ELi128ELNS_18Fp8KVCacheDataTypeE0ELb1ELi512EEEvPfS2_PT_PKS3_PKT0_S9_ifPKiSB_iPKfiiiSD_SD_iiiii,"axG",@progbits,_ZN4vllm25paged_attention_v2_kernelIttLi128ELi16ELi128ELNS_18Fp8KVCacheDataTypeE0ELb1ELi512EEEvPfS2_PT_PKS3_PKT0_S9_ifPKiSB_iPKfiiiSD_SD_iiiii,comdat
.Lfunc_end96:
	.size	_ZN4vllm25paged_attention_v2_kernelIttLi128ELi16ELi128ELNS_18Fp8KVCacheDataTypeE0ELb1ELi512EEEvPfS2_PT_PKS3_PKT0_S9_ifPKiSB_iPKfiiiSD_SD_iiiii, .Lfunc_end96-_ZN4vllm25paged_attention_v2_kernelIttLi128ELi16ELi128ELNS_18Fp8KVCacheDataTypeE0ELb1ELi512EEEvPfS2_PT_PKS3_PKT0_S9_ifPKiSB_iPKfiiiSD_SD_iiiii
                                        ; -- End function
	.section	.AMDGPU.csdata,"",@progbits
; Kernel info:
; codeLenInByte = 6964
; NumSgprs: 60
; NumVgprs: 73
; NumAgprs: 0
; TotalNumVgprs: 73
; ScratchSize: 0
; MemoryBound: 0
; FloatMode: 240
; IeeeMode: 1
; LDSByteSize: 272 bytes/workgroup (compile time only)
; SGPRBlocks: 7
; VGPRBlocks: 9
; NumSGPRsForWavesPerEU: 60
; NumVGPRsForWavesPerEU: 73
; AccumOffset: 76
; Occupancy: 6
; WaveLimiterHint : 1
; COMPUTE_PGM_RSRC2:SCRATCH_EN: 0
; COMPUTE_PGM_RSRC2:USER_SGPR: 2
; COMPUTE_PGM_RSRC2:TRAP_HANDLER: 0
; COMPUTE_PGM_RSRC2:TGID_X_EN: 1
; COMPUTE_PGM_RSRC2:TGID_Y_EN: 1
; COMPUTE_PGM_RSRC2:TGID_Z_EN: 1
; COMPUTE_PGM_RSRC2:TIDIG_COMP_CNT: 0
; COMPUTE_PGM_RSRC3_GFX90A:ACCUM_OFFSET: 18
; COMPUTE_PGM_RSRC3_GFX90A:TG_SPLIT: 0
	.section	.text._ZN4vllm25paged_attention_v2_kernelIttLi192ELi16ELi128ELNS_18Fp8KVCacheDataTypeE0ELb1ELi512EEEvPfS2_PT_PKS3_PKT0_S9_ifPKiSB_iPKfiiiSD_SD_iiiii,"axG",@progbits,_ZN4vllm25paged_attention_v2_kernelIttLi192ELi16ELi128ELNS_18Fp8KVCacheDataTypeE0ELb1ELi512EEEvPfS2_PT_PKS3_PKT0_S9_ifPKiSB_iPKfiiiSD_SD_iiiii,comdat
	.protected	_ZN4vllm25paged_attention_v2_kernelIttLi192ELi16ELi128ELNS_18Fp8KVCacheDataTypeE0ELb1ELi512EEEvPfS2_PT_PKS3_PKT0_S9_ifPKiSB_iPKfiiiSD_SD_iiiii ; -- Begin function _ZN4vllm25paged_attention_v2_kernelIttLi192ELi16ELi128ELNS_18Fp8KVCacheDataTypeE0ELb1ELi512EEEvPfS2_PT_PKS3_PKT0_S9_ifPKiSB_iPKfiiiSD_SD_iiiii
	.globl	_ZN4vllm25paged_attention_v2_kernelIttLi192ELi16ELi128ELNS_18Fp8KVCacheDataTypeE0ELb1ELi512EEEvPfS2_PT_PKS3_PKT0_S9_ifPKiSB_iPKfiiiSD_SD_iiiii
	.p2align	8
	.type	_ZN4vllm25paged_attention_v2_kernelIttLi192ELi16ELi128ELNS_18Fp8KVCacheDataTypeE0ELb1ELi512EEEvPfS2_PT_PKS3_PKT0_S9_ifPKiSB_iPKfiiiSD_SD_iiiii,@function
_ZN4vllm25paged_attention_v2_kernelIttLi192ELi16ELi128ELNS_18Fp8KVCacheDataTypeE0ELb1ELi512EEEvPfS2_PT_PKS3_PKT0_S9_ifPKiSB_iPKfiiiSD_SD_iiiii: ; @_ZN4vllm25paged_attention_v2_kernelIttLi192ELi16ELi128ELNS_18Fp8KVCacheDataTypeE0ELb1ELi512EEEvPfS2_PT_PKS3_PKT0_S9_ifPKiSB_iPKfiiiSD_SD_iiiii
; %bb.0:
	s_load_dwordx2 s[6:7], s[0:1], 0x40
	s_mov_b32 s28, s3
	s_ashr_i32 s29, s3, 31
	s_lshl_b64 s[8:9], s[28:29], 2
	s_waitcnt lgkmcnt(0)
	s_add_u32 s6, s6, s8
	s_addc_u32 s7, s7, s9
	s_load_dword s29, s[6:7], 0x0
	s_lshl_b32 s50, s4, 9
	s_waitcnt lgkmcnt(0)
	s_cmp_ge_i32 s50, s29
	s_cbranch_scc1 .LBB97_78
; %bb.1:
	s_load_dword s5, s[0:1], 0x90
	s_load_dwordx2 s[38:39], s[0:1], 0x30
	s_waitcnt lgkmcnt(0)
	s_abs_i32 s7, s5
	s_abs_i32 s3, s38
	v_cvt_f32_u32_e32 v1, s3
	s_sub_i32 s8, 0, s3
	s_xor_b32 s6, s5, s38
	s_ashr_i32 s6, s6, 31
	v_rcp_iflag_f32_e32 v1, v1
	s_nop 0
	v_mul_f32_e32 v1, 0x4f7ffffe, v1
	v_cvt_u32_f32_e32 v1, v1
	s_nop 0
	v_readfirstlane_b32 s9, v1
	s_mul_i32 s8, s8, s9
	s_mul_hi_u32 s8, s9, s8
	s_add_i32 s9, s9, s8
	s_mul_hi_u32 s8, s7, s9
	s_mul_i32 s9, s8, s3
	s_sub_i32 s7, s7, s9
	s_add_i32 s10, s8, 1
	s_sub_i32 s9, s7, s3
	s_cmp_ge_u32 s7, s3
	s_cselect_b32 s8, s10, s8
	s_cselect_b32 s7, s9, s7
	s_add_i32 s9, s8, 1
	s_cmp_ge_u32 s7, s3
	s_cselect_b32 s3, s9, s8
	s_xor_b32 s3, s3, s6
	s_sub_i32 s11, s3, s6
	s_abs_i32 s8, s11
	v_cvt_f32_u32_e32 v1, s8
	s_load_dwordx2 s[6:7], s[0:1], 0x50
	s_sub_i32 s10, 0, s8
	s_abs_i32 s9, s2
	v_rcp_iflag_f32_e32 v1, v1
	s_mov_b32 s3, 0
	v_mul_f32_e32 v1, 0x4f7ffffe, v1
	v_cvt_u32_f32_e32 v1, v1
	s_nop 0
	v_readfirstlane_b32 s12, v1
	s_mul_i32 s10, s10, s12
	s_mul_hi_u32 s10, s12, s10
	s_add_i32 s12, s12, s10
	s_waitcnt lgkmcnt(0)
	s_cmp_eq_u64 s[6:7], 0
	s_mul_hi_u32 s10, s9, s12
	s_cbranch_scc1 .LBB97_3
; %bb.2:
	s_ashr_i32 s3, s2, 31
	s_lshl_b64 s[12:13], s[2:3], 2
	s_add_u32 s6, s6, s12
	s_addc_u32 s7, s7, s13
	s_load_dword s3, s[6:7], 0x0
.LBB97_3:
	s_load_dwordx4 s[12:15], s[0:1], 0x58
	s_waitcnt lgkmcnt(0)
	s_movk_i32 s15, 0x60
	s_ashr_i32 s16, s2, 31
	s_ashr_i32 s11, s11, 31
	v_and_b32_e32 v4, 3, v0
	s_mul_i32 s24, s2, 0xc0
	v_cmp_gt_u32_e32 vcc, s15, v0
	s_and_saveexec_b64 s[6:7], vcc
	s_cbranch_execz .LBB97_5
; %bb.4:
	s_load_dwordx2 s[18:19], s[0:1], 0x18
	s_mul_i32 s20, s28, s12
	s_ashr_i32 s21, s20, 31
	s_lshl_b64 s[20:21], s[20:21], 1
	v_lshlrev_b32_e32 v1, 2, v0
	s_waitcnt lgkmcnt(0)
	s_add_u32 s12, s18, s20
	s_addc_u32 s17, s19, s21
	s_ashr_i32 s25, s24, 31
	s_lshl_b64 s[18:19], s[24:25], 1
	s_add_u32 s18, s12, s18
	s_addc_u32 s19, s17, s19
	global_load_dword v1, v1, s[18:19]
	v_and_b32_e32 v2, 0x3fc, v0
	v_mad_u32_u24 v2, v4, s15, v2
	s_waitcnt vmcnt(0)
	ds_write_b32 v2, v1
.LBB97_5:
	s_or_b64 exec, exec, s[6:7]
	s_mul_i32 s7, s10, s8
	s_sub_i32 s7, s9, s7
	s_xor_b32 s6, s16, s11
	s_add_i32 s9, s10, 1
	s_sub_i32 s11, s7, s8
	s_load_dwordx4 s[16:19], s[0:1], 0x78
	s_cmp_ge_u32 s7, s8
	s_cselect_b32 s9, s9, s10
	s_cselect_b32 s7, s11, s7
	s_load_dword s11, s[0:1], 0x88
	s_add_i32 s10, s9, 1
	s_cmp_ge_u32 s7, s8
	s_cselect_b32 s7, s10, s9
	s_waitcnt lgkmcnt(0)
	s_abs_i32 s25, s19
	v_cvt_f32_u32_e32 v1, s25
	s_xor_b32 s7, s7, s6
	s_sub_i32 s10, s7, s6
	s_sub_i32 s6, 0, s25
	v_rcp_iflag_f32_e32 v1, v1
	s_add_i32 s12, s29, -1
	s_abs_i32 s8, s12
	v_mul_f32_e32 v1, 0x4f7ffffe, v1
	v_cvt_u32_f32_e32 v1, v1
	s_barrier
	v_readfirstlane_b32 s33, v1
	s_mul_i32 s6, s6, s33
	s_mul_hi_u32 s6, s33, s6
	s_add_i32 s33, s33, s6
	s_cmp_lt_i32 s11, 0
	s_mul_hi_u32 s9, s8, s33
	s_cbranch_scc0 .LBB97_7
; %bb.6:
	s_mul_i32 s6, s16, s38
	s_add_i32 s6, s10, s6
	s_mul_i32 s6, s6, s11
	s_sub_i32 s46, 1, s6
	s_mov_b64 s[6:7], 0
	s_branch .LBB97_8
.LBB97_7:
	s_mov_b64 s[6:7], -1
                                        ; implicit-def: $sgpr46
.LBB97_8:
	s_load_dwordx2 s[30:31], s[0:1], 0x38
	s_ashr_i32 s12, s12, 31
	s_andn2_b64 vcc, exec, s[6:7]
	s_ashr_i32 s47, s19, 31
	s_cbranch_vccnz .LBB97_10
; %bb.9:
	s_mul_i32 s6, s5, s16
	s_add_i32 s6, s6, s2
	s_mul_i32 s6, s6, s11
	s_add_i32 s46, s6, 1
.LBB97_10:
	s_load_dword s6, s[0:1], 0x48
	s_load_dwordx2 s[36:37], s[0:1], 0x28
	s_load_dword s19, s[0:1], 0x98
	s_load_dwordx4 s[20:23], s[0:1], 0x0
	s_load_dwordx2 s[26:27], s[0:1], 0x10
	s_mul_i32 s7, s9, s25
	s_waitcnt lgkmcnt(0)
	s_mul_i32 s34, s28, s6
	s_sub_i32 s7, s8, s7
	s_ashr_i32 s35, s34, 31
	s_xor_b32 s6, s12, s47
	s_add_i32 s8, s9, 1
	s_sub_i32 s11, s7, s25
	s_cmp_ge_u32 s7, s25
	s_cselect_b32 s8, s8, s9
	s_cselect_b32 s7, s11, s7
	s_add_i32 s9, s8, 1
	s_cmp_ge_u32 s7, s25
	s_cselect_b32 s7, s9, s8
	s_xor_b32 s7, s7, s6
	s_sub_i32 s49, s7, s6
	s_add_i32 s6, s29, 15
	s_ashr_i32 s7, s6, 31
	s_lshr_b32 s7, s7, 28
	s_add_i32 s6, s6, s7
	s_lshl_b32 s12, s4, 5
	s_ashr_i32 s16, s6, 4
	s_add_i32 s6, s12, 32
	v_lshrrev_b32_e32 v8, 6, v0
	s_min_i32 s48, s6, s16
	v_or_b32_e32 v12, s12, v8
	v_cmp_gt_i32_e64 s[8:9], s48, v12
	v_mov_b32_e32 v14, 0xff7fffff
	s_mul_i32 s14, s10, s14
	v_ashrrev_i32_e32 v13, 31, v12
	v_lshl_add_u32 v1, v8, 4, s50
	v_mbcnt_lo_u32_b32 v9, -1, 0
	s_and_saveexec_b64 s[40:41], s[8:9]
	s_cbranch_execz .LBB97_20
; %bb.11:
	s_load_dwordx2 s[0:1], s[0:1], 0x20
	s_ashr_i32 s15, s14, 31
	s_sub_i32 s38, s49, s17
	s_lshl_b64 s[6:7], s[14:15], 1
	v_bfe_u32 v10, v0, 2, 4
	s_waitcnt lgkmcnt(0)
	s_add_u32 s0, s0, s6
	s_addc_u32 s1, s1, s7
	s_abs_i32 s15, s18
	v_cvt_f32_u32_e32 v5, s15
	v_lshlrev_b32_e32 v2, 4, v10
	v_mov_b32_e32 v3, 0
	v_lshl_add_u64 v[6:7], s[0:1], 0, v[2:3]
	v_rcp_iflag_f32_e32 v5, v5
	v_lshlrev_b32_e32 v2, 2, v0
	v_and_b32_e32 v2, 12, v2
	v_lshl_add_u64 v[2:3], v[6:7], 0, v[2:3]
	v_mul_f32_e32 v5, 0x4f7ffffe, v5
	v_cvt_u32_f32_e32 v5, v5
	s_sub_i32 s0, 0, s15
	v_lshlrev_b32_e32 v6, 2, v10
	v_cmp_eq_u32_e32 vcc, 0, v4
	v_mul_u32_u24_e32 v11, 0x60, v4
	v_mul_lo_u32 v4, s0, v5
	s_lshl_b64 s[0:1], s[34:35], 2
	v_lshl_or_b32 v6, v8, 6, v6
	s_add_u32 s0, s30, s0
	v_add_u32_e32 v17, 0x190, v6
	v_subrev_u32_e32 v6, s29, v10
	v_mbcnt_hi_u32_b32 v20, -1, v9
	v_mul_hi_u32 v4, v5, v4
	s_addc_u32 s1, s31, s1
	v_add_u32_e32 v18, 1, v6
	v_and_b32_e32 v6, 64, v20
	s_mov_b32 s51, s13
	v_cmp_neq_f32_e64 s[6:7], s3, 0
	v_add_u32_e32 v15, v5, v4
	v_lshl_add_u64 v[4:5], v[12:13], 2, s[0:1]
	v_lshl_add_u32 v16, v8, 4, s50
	s_mov_b64 s[42:43], 0
	v_mov_b32_e32 v19, 0xff7fffff
	s_movk_i32 s52, 0x1000
	v_add_u32_e32 v21, 64, v6
	v_xor_b32_e32 v22, 2, v20
	v_xor_b32_e32 v23, 1, v20
	v_mov_b32_e32 v14, 0xff7fffff
	v_mov_b32_e32 v24, v12
	s_branch .LBB97_14
.LBB97_12:                              ;   in Loop: Header=BB97_14 Depth=1
	s_or_b64 exec, exec, s[44:45]
.LBB97_13:                              ;   in Loop: Header=BB97_14 Depth=1
	s_or_b64 exec, exec, s[10:11]
	v_add_u32_e32 v24, 2, v24
	v_cmp_le_i32_e64 s[0:1], s48, v24
	v_lshl_add_u64 v[4:5], v[4:5], 0, 8
	v_add_u32_e32 v16, 32, v16
	s_or_b64 s[42:43], s[0:1], s[42:43]
	v_add_u32_e32 v17, 0x80, v17
	s_andn2_b64 exec, exec, s[42:43]
	s_cbranch_execz .LBB97_19
.LBB97_14:                              ; =>This Inner Loop Header: Depth=1
	s_waitcnt lgkmcnt(0)
	v_sub_u32_e32 v7, 0, v16
	v_max_i32_e32 v7, v16, v7
	v_mul_hi_u32 v25, v7, s33
	v_mul_lo_u32 v26, v25, s25
	v_sub_u32_e32 v7, v7, v26
	v_add_u32_e32 v26, 1, v25
	v_cmp_le_u32_e64 s[0:1], s25, v7
	v_ashrrev_i32_e32 v6, 31, v16
	v_xor_b32_e32 v6, s47, v6
	v_cndmask_b32_e64 v25, v25, v26, s[0:1]
	v_subrev_u32_e32 v26, s25, v7
	v_cndmask_b32_e64 v7, v7, v26, s[0:1]
	v_add_u32_e32 v26, 1, v25
	v_cmp_le_u32_e64 s[0:1], s25, v7
	s_nop 1
	v_cndmask_b32_e64 v7, v25, v26, s[0:1]
	v_xor_b32_e32 v7, v7, v6
	v_sub_u32_e32 v6, v7, v6
	v_add_u32_e32 v7, s46, v6
	v_sub_u32_e32 v26, 0, v7
	v_ashrrev_i32_e32 v25, 31, v7
	v_max_i32_e32 v7, v7, v26
	v_mul_hi_u32 v26, v7, v15
	v_mul_lo_u32 v26, v26, s15
	v_sub_u32_e32 v7, v7, v26
	v_subrev_u32_e32 v26, s15, v7
	v_cmp_le_u32_e64 s[0:1], s15, v7
	v_cmp_ge_i32_e64 s[10:11], s38, v6
	s_nop 0
	v_cndmask_b32_e64 v7, v7, v26, s[0:1]
	v_subrev_u32_e32 v26, s15, v7
	v_cmp_le_u32_e64 s[0:1], s15, v7
	s_nop 1
	v_cndmask_b32_e64 v7, v7, v26, s[0:1]
	v_xor_b32_e32 v7, v7, v25
	v_sub_u32_e32 v7, v7, v25
	v_cmp_ne_u32_e64 s[0:1], 0, v7
	s_and_b64 s[0:1], s[0:1], s[10:11]
	s_and_b64 s[44:45], vcc, s[0:1]
	s_and_saveexec_b64 s[10:11], s[44:45]
	s_cbranch_execz .LBB97_16
; %bb.15:                               ;   in Loop: Header=BB97_14 Depth=1
	ds_write_b32 v17, v19
.LBB97_16:                              ;   in Loop: Header=BB97_14 Depth=1
	s_or_b64 exec, exec, s[10:11]
	s_xor_b64 s[0:1], s[0:1], -1
	s_and_saveexec_b64 s[10:11], s[0:1]
	s_cbranch_execz .LBB97_13
; %bb.17:                               ;   in Loop: Header=BB97_14 Depth=1
	global_load_dword v6, v[4:5], off
	s_waitcnt vmcnt(0)
	v_mad_i64_i32 v[6:7], s[0:1], v6, s51, 0
	v_lshl_add_u64 v[6:7], v[6:7], 1, v[2:3]
	global_load_dword v36, v[6:7], off
	global_load_dword v35, v[6:7], off offset:256
	global_load_dword v34, v[6:7], off offset:512
	;; [unrolled: 1-line block ×11, first 2 shown]
	ds_read_b32 v37, v11
	global_load_dword v42, v[6:7], off offset:3072
	global_load_dword v43, v[6:7], off offset:3328
	;; [unrolled: 1-line block ×4, first 2 shown]
	v_cmp_lt_i32_e64 s[0:1], v22, v21
	s_waitcnt lgkmcnt(0)
	v_lshrrev_b32_e32 v40, 16, v37
	v_cndmask_b32_e64 v25, v20, v22, s[0:1]
	v_add_co_u32_e64 v38, s[0:1], s52, v6
	v_and_b32_e32 v37, 0xffff, v37
	s_nop 0
	v_addc_co_u32_e64 v39, s[0:1], 0, v7, s[0:1]
	global_load_dword v46, v[38:39], off
	global_load_dword v47, v[38:39], off offset:256
	global_load_dword v48, v[38:39], off offset:512
	;; [unrolled: 1-line block ×7, first 2 shown]
	;;#ASMSTART
	v_cvt_f32_f16 v37, v37;
	;;#ASMEND
	;;#ASMSTART
	v_cvt_f32_f16 v38, v40;
	;;#ASMEND
	v_lshlrev_b32_e32 v25, 2, v25
	v_cmp_lt_i32_e64 s[0:1], v23, v21
	s_waitcnt vmcnt(23)
	v_lshrrev_b32_e32 v39, 16, v36
	v_and_b32_e32 v36, 0xffff, v36
	;;#ASMSTART
	v_cvt_f32_f16 v36, v36;
	;;#ASMEND
	;;#ASMSTART
	v_cvt_f32_f16 v39, v39;
	;;#ASMEND
	ds_read_b32 v40, v11 offset:4
	s_waitcnt vmcnt(22)
	v_lshrrev_b32_e32 v52, 16, v35
	v_and_b32_e32 v35, 0xffff, v35
	s_waitcnt vmcnt(21)
	v_lshrrev_b32_e32 v53, 16, v34
	v_and_b32_e32 v34, 0xffff, v34
	s_waitcnt lgkmcnt(0)
	v_lshrrev_b32_e32 v54, 16, v40
	v_and_b32_e32 v40, 0xffff, v40
	;;#ASMSTART
	v_cvt_f32_f16 v40, v40;
	;;#ASMEND
	;;#ASMSTART
	v_cvt_f32_f16 v54, v54;
	;;#ASMEND
	;;#ASMSTART
	v_cvt_f32_f16 v35, v35;
	;;#ASMEND
	;;#ASMSTART
	v_cvt_f32_f16 v52, v52;
	;;#ASMEND
	ds_read_b32 v55, v11 offset:8
	s_waitcnt vmcnt(20)
	v_lshrrev_b32_e32 v56, 16, v33
	v_and_b32_e32 v33, 0xffff, v33
	s_waitcnt vmcnt(19)
	v_lshrrev_b32_e32 v57, 16, v32
	v_and_b32_e32 v32, 0xffff, v32
	s_waitcnt lgkmcnt(0)
	v_lshrrev_b32_e32 v58, 16, v55
	v_and_b32_e32 v55, 0xffff, v55
	;;#ASMSTART
	v_cvt_f32_f16 v55, v55;
	;;#ASMEND
	;;#ASMSTART
	v_cvt_f32_f16 v58, v58;
	;;#ASMEND
	;;#ASMSTART
	v_cvt_f32_f16 v34, v34;
	;;#ASMEND
	;;#ASMSTART
	v_cvt_f32_f16 v53, v53;
	;;#ASMEND
	ds_read_b32 v59, v11 offset:12
	s_waitcnt vmcnt(18)
	v_lshrrev_b32_e32 v60, 16, v31
	v_and_b32_e32 v31, 0xffff, v31
	s_waitcnt vmcnt(17)
	v_lshrrev_b32_e32 v61, 16, v30
	v_and_b32_e32 v30, 0xffff, v30
	s_waitcnt lgkmcnt(0)
	v_lshrrev_b32_e32 v62, 16, v59
	v_and_b32_e32 v59, 0xffff, v59
	;;#ASMSTART
	v_cvt_f32_f16 v59, v59;
	;;#ASMEND
	;;#ASMSTART
	v_cvt_f32_f16 v62, v62;
	;;#ASMEND
	;;#ASMSTART
	v_cvt_f32_f16 v33, v33;
	;;#ASMEND
	;;#ASMSTART
	v_cvt_f32_f16 v56, v56;
	;;#ASMEND
	ds_read_b32 v63, v11 offset:16
	s_waitcnt vmcnt(16)
	v_lshrrev_b32_e32 v64, 16, v29
	v_and_b32_e32 v29, 0xffff, v29
	s_waitcnt vmcnt(15)
	v_lshrrev_b32_e32 v65, 16, v28
	v_and_b32_e32 v28, 0xffff, v28
	s_waitcnt lgkmcnt(0)
	v_lshrrev_b32_e32 v66, 16, v63
	v_and_b32_e32 v63, 0xffff, v63
	;;#ASMSTART
	v_cvt_f32_f16 v63, v63;
	;;#ASMEND
	;;#ASMSTART
	v_cvt_f32_f16 v66, v66;
	;;#ASMEND
	;;#ASMSTART
	v_cvt_f32_f16 v32, v32;
	;;#ASMEND
	;;#ASMSTART
	v_cvt_f32_f16 v57, v57;
	;;#ASMEND
	ds_read_b32 v67, v11 offset:20
	s_waitcnt vmcnt(14)
	v_lshrrev_b32_e32 v68, 16, v27
	v_and_b32_e32 v27, 0xffff, v27
	s_waitcnt vmcnt(13)
	v_lshrrev_b32_e32 v69, 16, v26
	v_and_b32_e32 v26, 0xffff, v26
	s_waitcnt lgkmcnt(0)
	v_lshrrev_b32_e32 v70, 16, v67
	v_and_b32_e32 v67, 0xffff, v67
	;;#ASMSTART
	v_cvt_f32_f16 v67, v67;
	;;#ASMEND
	;;#ASMSTART
	v_cvt_f32_f16 v70, v70;
	;;#ASMEND
	;;#ASMSTART
	v_cvt_f32_f16 v31, v31;
	;;#ASMEND
	;;#ASMSTART
	v_cvt_f32_f16 v60, v60;
	;;#ASMEND
	ds_read_b32 v71, v11 offset:24
	v_mul_f32_e32 v35, v40, v35
	v_mul_f32_e32 v40, v54, v52
	s_waitcnt vmcnt(12)
	v_lshrrev_b32_e32 v72, 16, v41
	v_and_b32_e32 v41, 0xffff, v41
	s_waitcnt lgkmcnt(0)
	v_lshrrev_b32_e32 v74, 16, v71
	v_and_b32_e32 v71, 0xffff, v71
	;;#ASMSTART
	v_cvt_f32_f16 v71, v71;
	;;#ASMEND
	;;#ASMSTART
	v_cvt_f32_f16 v74, v74;
	;;#ASMEND
	;; [unrolled: 3-line block ×4, first 2 shown]
	ds_read_b32 v75, v11 offset:28
	v_fmac_f32_e32 v35, v37, v36
	v_fmac_f32_e32 v40, v38, v39
	s_waitcnt vmcnt(11)
	v_lshrrev_b32_e32 v73, 16, v42
	v_and_b32_e32 v42, 0xffff, v42
	s_waitcnt lgkmcnt(0)
	v_lshrrev_b32_e32 v78, 16, v75
	v_and_b32_e32 v75, 0xffff, v75
	;;#ASMSTART
	v_cvt_f32_f16 v75, v75;
	;;#ASMEND
	;;#ASMSTART
	v_cvt_f32_f16 v78, v78;
	;;#ASMEND
	;; [unrolled: 3-line block ×4, first 2 shown]
	ds_read_b32 v79, v11 offset:32
	v_fmac_f32_e32 v35, v55, v34
	s_waitcnt vmcnt(10)
	v_lshrrev_b32_e32 v76, 16, v43
	v_and_b32_e32 v43, 0xffff, v43
	v_fmac_f32_e32 v40, v58, v53
	s_waitcnt lgkmcnt(0)
	v_lshrrev_b32_e32 v82, 16, v79
	v_and_b32_e32 v79, 0xffff, v79
	;;#ASMSTART
	v_cvt_f32_f16 v79, v79;
	;;#ASMEND
	;;#ASMSTART
	v_cvt_f32_f16 v82, v82;
	;;#ASMEND
	;; [unrolled: 3-line block ×4, first 2 shown]
	ds_read_b32 v83, v11 offset:36
	v_fmac_f32_e32 v35, v59, v33
	s_waitcnt vmcnt(9)
	v_lshrrev_b32_e32 v77, 16, v44
	v_and_b32_e32 v44, 0xffff, v44
	v_fmac_f32_e32 v40, v62, v56
	s_waitcnt lgkmcnt(0)
	v_lshrrev_b32_e32 v86, 16, v83
	v_and_b32_e32 v83, 0xffff, v83
	;;#ASMSTART
	v_cvt_f32_f16 v83, v83;
	;;#ASMEND
	;;#ASMSTART
	v_cvt_f32_f16 v86, v86;
	;;#ASMEND
	;;#ASMSTART
	v_cvt_f32_f16 v27, v27;
	;;#ASMEND
	;;#ASMSTART
	v_cvt_f32_f16 v68, v68;
	;;#ASMEND
	ds_read_b32 v87, v11 offset:40
	v_fmac_f32_e32 v35, v63, v32
	v_fmac_f32_e32 v40, v66, v57
	;; [unrolled: 1-line block ×3, first 2 shown]
	s_waitcnt vmcnt(8)
	v_lshrrev_b32_e32 v80, 16, v45
	s_waitcnt lgkmcnt(0)
	v_lshrrev_b32_e32 v52, 16, v87
	v_and_b32_e32 v54, 0xffff, v87
	;;#ASMSTART
	v_cvt_f32_f16 v54, v54;
	;;#ASMEND
	;;#ASMSTART
	v_cvt_f32_f16 v52, v52;
	;;#ASMEND
	;; [unrolled: 3-line block ×4, first 2 shown]
	ds_read_b32 v87, v11 offset:44
	v_and_b32_e32 v45, 0xffff, v45
	v_fmac_f32_e32 v40, v70, v60
	v_fmac_f32_e32 v35, v71, v30
	;; [unrolled: 1-line block ×3, first 2 shown]
	s_waitcnt lgkmcnt(0)
	v_lshrrev_b32_e32 v36, 16, v87
	v_and_b32_e32 v37, 0xffff, v87
	;;#ASMSTART
	v_cvt_f32_f16 v37, v37;
	;;#ASMEND
	;;#ASMSTART
	v_cvt_f32_f16 v36, v36;
	;;#ASMEND
	;; [unrolled: 3-line block ×4, first 2 shown]
	ds_read_b32 v41, v11 offset:48
	v_fmac_f32_e32 v35, v75, v29
	s_waitcnt vmcnt(7)
	v_lshrrev_b32_e32 v81, 16, v46
	v_and_b32_e32 v46, 0xffff, v46
	v_fmac_f32_e32 v35, v79, v28
	s_waitcnt lgkmcnt(0)
	v_lshrrev_b32_e32 v34, 16, v41
	v_and_b32_e32 v41, 0xffff, v41
	;;#ASMSTART
	v_cvt_f32_f16 v41, v41;
	;;#ASMEND
	;;#ASMSTART
	v_cvt_f32_f16 v34, v34;
	;;#ASMEND
	;; [unrolled: 3-line block ×4, first 2 shown]
	ds_read_b32 v73, v11 offset:52
	v_fmac_f32_e32 v40, v78, v64
	v_fmac_f32_e32 v40, v82, v65
	;; [unrolled: 1-line block ×3, first 2 shown]
	s_waitcnt vmcnt(6)
	v_lshrrev_b32_e32 v84, 16, v47
	s_waitcnt lgkmcnt(0)
	v_lshrrev_b32_e32 v33, 16, v73
	v_and_b32_e32 v58, 0xffff, v73
	;;#ASMSTART
	v_cvt_f32_f16 v58, v58;
	;;#ASMEND
	;;#ASMSTART
	v_cvt_f32_f16 v33, v33;
	;;#ASMEND
	;; [unrolled: 3-line block ×4, first 2 shown]
	ds_read_b32 v73, v11 offset:56
	v_and_b32_e32 v47, 0xffff, v47
	v_fmac_f32_e32 v40, v86, v68
	v_fmac_f32_e32 v35, v54, v26
	;; [unrolled: 1-line block ×3, first 2 shown]
	s_waitcnt lgkmcnt(0)
	v_lshrrev_b32_e32 v32, 16, v73
	v_and_b32_e32 v56, 0xffff, v73
	;;#ASMSTART
	v_cvt_f32_f16 v56, v56;
	;;#ASMEND
	;;#ASMSTART
	v_cvt_f32_f16 v32, v32;
	;;#ASMEND
	;; [unrolled: 3-line block ×4, first 2 shown]
	ds_read_b32 v62, v11 offset:60
	v_fmac_f32_e32 v40, v36, v39
	v_fmac_f32_e32 v40, v34, v55
	s_waitcnt vmcnt(5)
	v_lshrrev_b32_e32 v85, 16, v48
	v_and_b32_e32 v48, 0xffff, v48
	s_waitcnt lgkmcnt(0)
	v_lshrrev_b32_e32 v30, 16, v62
	v_and_b32_e32 v31, 0xffff, v62
	;;#ASMSTART
	v_cvt_f32_f16 v31, v31;
	;;#ASMEND
	;;#ASMSTART
	v_cvt_f32_f16 v30, v30;
	;;#ASMEND
	;; [unrolled: 3-line block ×4, first 2 shown]
	ds_read_b32 v61, v11 offset:64
	v_fmac_f32_e32 v35, v37, v38
	v_fmac_f32_e32 v40, v33, v59
	;; [unrolled: 1-line block ×3, first 2 shown]
	s_waitcnt vmcnt(4)
	v_lshrrev_b32_e32 v88, 16, v49
	s_waitcnt lgkmcnt(0)
	v_lshrrev_b32_e32 v28, 16, v61
	v_and_b32_e32 v29, 0xffff, v61
	;;#ASMSTART
	v_cvt_f32_f16 v29, v29;
	;;#ASMEND
	;;#ASMSTART
	v_cvt_f32_f16 v28, v28;
	;;#ASMEND
	;; [unrolled: 3-line block ×4, first 2 shown]
	ds_read_b32 v62, v11 offset:68
	v_and_b32_e32 v49, 0xffff, v49
	v_fmac_f32_e32 v35, v41, v42
	v_fmac_f32_e32 v35, v58, v43
	;; [unrolled: 1-line block ×3, first 2 shown]
	s_waitcnt lgkmcnt(0)
	v_lshrrev_b32_e32 v26, 16, v62
	v_and_b32_e32 v27, 0xffff, v62
	;;#ASMSTART
	v_cvt_f32_f16 v27, v27;
	;;#ASMEND
	;;#ASMSTART
	v_cvt_f32_f16 v26, v26;
	;;#ASMEND
	;; [unrolled: 3-line block ×4, first 2 shown]
	ds_read_b32 v54, v11 offset:72
	v_fmac_f32_e32 v35, v31, v45
	v_fmac_f32_e32 v40, v30, v60
	;; [unrolled: 1-line block ×4, first 2 shown]
	s_waitcnt lgkmcnt(0)
	v_lshrrev_b32_e32 v34, 16, v54
	v_and_b32_e32 v36, 0xffff, v54
	;;#ASMSTART
	v_cvt_f32_f16 v36, v36;
	;;#ASMEND
	;;#ASMSTART
	v_cvt_f32_f16 v34, v34;
	;;#ASMEND
	;; [unrolled: 3-line block ×4, first 2 shown]
	ds_read_b32 v39, v11 offset:76
	s_waitcnt vmcnt(3)
	v_lshrrev_b32_e32 v89, 16, v50
	v_and_b32_e32 v50, 0xffff, v50
	v_fmac_f32_e32 v35, v27, v47
	v_fmac_f32_e32 v40, v26, v52
	s_waitcnt lgkmcnt(0)
	v_lshrrev_b32_e32 v32, 16, v39
	v_and_b32_e32 v33, 0xffff, v39
	;;#ASMSTART
	v_cvt_f32_f16 v33, v33;
	;;#ASMEND
	;;#ASMSTART
	v_cvt_f32_f16 v32, v32;
	;;#ASMEND
	;; [unrolled: 3-line block ×4, first 2 shown]
	ds_read_b32 v42, v11 offset:80
	s_waitcnt vmcnt(2)
	v_lshrrev_b32_e32 v72, 16, v51
	v_and_b32_e32 v51, 0xffff, v51
	v_fmac_f32_e32 v35, v36, v37
	v_fmac_f32_e32 v40, v34, v38
	s_waitcnt lgkmcnt(0)
	v_lshrrev_b32_e32 v28, 16, v42
	v_and_b32_e32 v29, 0xffff, v42
	;;#ASMSTART
	v_cvt_f32_f16 v29, v29;
	;;#ASMEND
	;;#ASMSTART
	v_cvt_f32_f16 v28, v28;
	;;#ASMEND
	;;#ASMSTART
	v_cvt_f32_f16 v30, v50;
	;;#ASMEND
	;;#ASMSTART
	v_cvt_f32_f16 v31, v89;
	;;#ASMEND
	ds_read_b32 v42, v11 offset:84
	v_fmac_f32_e32 v35, v33, v39
	v_fmac_f32_e32 v40, v32, v41
	s_waitcnt vmcnt(1)
	v_lshrrev_b32_e32 v87, 16, v7
	v_and_b32_e32 v7, 0xffff, v7
	s_waitcnt lgkmcnt(0)
	v_lshrrev_b32_e32 v26, 16, v42
	v_and_b32_e32 v27, 0xffff, v42
	;;#ASMSTART
	v_cvt_f32_f16 v27, v27;
	;;#ASMEND
	;;#ASMSTART
	v_cvt_f32_f16 v26, v26;
	;;#ASMEND
	;; [unrolled: 3-line block ×4, first 2 shown]
	ds_read_b32 v37, v11 offset:88
	v_fmac_f32_e32 v35, v29, v30
	v_fmac_f32_e32 v40, v28, v31
	;; [unrolled: 1-line block ×4, first 2 shown]
	s_waitcnt lgkmcnt(0)
	v_lshrrev_b32_e32 v28, 16, v37
	v_and_b32_e32 v29, 0xffff, v37
	;;#ASMSTART
	v_cvt_f32_f16 v29, v29;
	;;#ASMEND
	;;#ASMSTART
	v_cvt_f32_f16 v28, v28;
	;;#ASMEND
	;; [unrolled: 3-line block ×4, first 2 shown]
	ds_read_b32 v31, v11 offset:92
	s_waitcnt vmcnt(0)
	v_lshrrev_b32_e32 v53, 16, v6
	v_and_b32_e32 v6, 0xffff, v6
	v_fmac_f32_e32 v35, v29, v7
	v_fmac_f32_e32 v40, v28, v30
	s_waitcnt lgkmcnt(0)
	v_lshrrev_b32_e32 v7, 16, v31
	v_and_b32_e32 v26, 0xffff, v31
	;;#ASMSTART
	v_cvt_f32_f16 v26, v26;
	;;#ASMEND
	;;#ASMSTART
	v_cvt_f32_f16 v7, v7;
	;;#ASMEND
	;;#ASMSTART
	v_cvt_f32_f16 v6, v6;
	;;#ASMEND
	;;#ASMSTART
	v_cvt_f32_f16 v27, v53;
	;;#ASMEND
	s_nop 0
	v_fmac_f32_e32 v35, v26, v6
	v_fmac_f32_e32 v40, v7, v27
	v_add_f32_e32 v6, v35, v40
	ds_bpermute_b32 v7, v25, v6
	v_cndmask_b32_e64 v25, v20, v23, s[0:1]
	s_waitcnt lgkmcnt(0)
	v_add_f32_e32 v6, v6, v7
	v_lshlrev_b32_e32 v7, 2, v25
	ds_bpermute_b32 v7, v7, v6
	s_and_saveexec_b64 s[44:45], vcc
	s_cbranch_execz .LBB97_12
; %bb.18:                               ;   in Loop: Header=BB97_14 Depth=1
	v_add_u32_e32 v25, v18, v16
	v_cvt_f32_i32_e32 v25, v25
	s_waitcnt lgkmcnt(0)
	v_add_f32_e32 v6, v6, v7
	v_add_u32_e32 v26, v10, v16
	v_cmp_gt_i32_e64 s[0:1], s29, v26
	v_mul_f32_e32 v7, s3, v25
	v_cndmask_b32_e64 v7, 0, v7, s[6:7]
	v_fmac_f32_e32 v7, s39, v6
	v_cndmask_b32_e64 v6, 0, v7, s[0:1]
	ds_write_b32 v17, v6
	v_max_f32_e32 v6, v14, v14
	v_max_f32_e32 v6, v6, v7
	v_cndmask_b32_e64 v14, v14, v6, s[0:1]
	s_branch .LBB97_12
.LBB97_19:
	s_or_b64 exec, exec, s[42:43]
.LBB97_20:
	s_or_b64 exec, exec, s[40:41]
	v_mbcnt_hi_u32_b32 v2, -1, v9
	v_and_b32_e32 v3, 64, v2
	v_add_u32_e32 v3, 64, v3
	v_xor_b32_e32 v4, 32, v2
	v_cmp_lt_i32_e32 vcc, v4, v3
	s_waitcnt lgkmcnt(0)
	v_xor_b32_e32 v7, 16, v2
	v_max_f32_e32 v6, v14, v14
	v_cndmask_b32_e32 v4, v2, v4, vcc
	v_lshlrev_b32_e32 v5, 2, v4
	ds_bpermute_b32 v4, v5, v14
	v_cmp_lt_i32_e32 vcc, v7, v3
	v_xor_b32_e32 v9, 8, v2
	v_and_b32_e32 v26, 63, v0
	s_waitcnt lgkmcnt(0)
	v_max_f32_e32 v4, v4, v4
	v_max_f32_e32 v4, v6, v4
	v_cndmask_b32_e32 v6, v2, v7, vcc
	v_lshlrev_b32_e32 v6, 2, v6
	ds_bpermute_b32 v7, v6, v4
	v_cmp_lt_i32_e32 vcc, v9, v3
	s_waitcnt lgkmcnt(0)
	v_max_f32_e32 v7, v7, v7
	v_max_f32_e32 v4, v4, v7
	v_cndmask_b32_e32 v7, v2, v9, vcc
	v_lshlrev_b32_e32 v10, 2, v7
	ds_bpermute_b32 v7, v10, v4
	v_xor_b32_e32 v9, 4, v2
	v_cmp_lt_i32_e32 vcc, v9, v3
	s_waitcnt lgkmcnt(0)
	v_max_f32_e32 v7, v7, v7
	v_max_f32_e32 v4, v4, v7
	v_cndmask_b32_e32 v7, v2, v9, vcc
	v_lshlrev_b32_e32 v11, 2, v7
	ds_bpermute_b32 v9, v11, v4
	v_cmp_eq_u32_e32 vcc, 0, v26
	v_lshlrev_b32_e32 v7, 2, v8
	s_and_saveexec_b64 s[0:1], vcc
	s_cbranch_execz .LBB97_22
; %bb.21:
	s_waitcnt lgkmcnt(0)
	v_max_f32_e32 v9, v9, v9
	v_max_f32_e32 v4, v4, v4
	;; [unrolled: 1-line block ×3, first 2 shown]
	ds_write_b32 v7, v4 offset:384
.LBB97_22:
	s_or_b64 exec, exec, s[0:1]
	v_cmp_gt_u32_e64 s[0:1], 2, v26
	v_mov_b32_e32 v4, 0xff7fffff
	s_waitcnt lgkmcnt(0)
	v_lshlrev_b32_e32 v9, 2, v26
	s_barrier
	s_and_saveexec_b64 s[6:7], s[0:1]
	s_cbranch_execz .LBB97_24
; %bb.23:
	ds_read_b32 v4, v9 offset:384
.LBB97_24:
	s_or_b64 exec, exec, s[6:7]
	v_xor_b32_e32 v14, 1, v2
	v_cmp_lt_i32_e64 s[6:7], v14, v3
	s_sub_i32 s3, s48, s12
	s_lshl_b32 s3, s3, 4
	v_cndmask_b32_e64 v14, v2, v14, s[6:7]
	v_lshlrev_b32_e32 v27, 2, v14
	s_waitcnt lgkmcnt(0)
	ds_bpermute_b32 v14, v27, v4
	v_max_f32_e32 v4, v4, v4
	s_add_i32 s3, s3, s50
	s_min_i32 s12, s3, s29
	s_sub_i32 s3, s12, s50
	s_waitcnt lgkmcnt(0)
	v_max_f32_e32 v14, v14, v14
	v_max_f32_e32 v4, v4, v14
	v_lshlrev_b32_e32 v14, 2, v2
	v_and_b32_e32 v14, 0x100, v14
	ds_bpermute_b32 v4, v14, v4
	v_cmp_gt_i32_e64 s[6:7], s3, v0
	v_mov_b32_e32 v15, 0
	s_and_saveexec_b64 s[38:39], s[6:7]
	s_cbranch_execz .LBB97_28
; %bb.25:
	v_mov_b32_e32 v15, 0x190
	v_lshl_add_u32 v16, v0, 2, v15
	s_mov_b64 s[40:41], 0
	v_mov_b32_e32 v15, 0
	v_mov_b32_e32 v17, v0
.LBB97_26:                              ; =>This Inner Loop Header: Depth=1
	ds_read_b32 v18, v16
	v_add_u32_e32 v17, 0x80, v17
	v_cmp_le_i32_e64 s[10:11], s3, v17
	s_or_b64 s[40:41], s[10:11], s[40:41]
	s_waitcnt lgkmcnt(0)
	v_sub_f32_e32 v18, v18, v4
	v_mul_f32_e32 v18, 0x3fb8aa3b, v18
	v_exp_f32_e32 v18, v18
	ds_write_b32 v16, v18
	v_add_f32_e32 v15, v15, v18
	v_add_u32_e32 v16, 0x200, v16
	s_andn2_b64 exec, exec, s[40:41]
	s_cbranch_execnz .LBB97_26
; %bb.27:
	s_or_b64 exec, exec, s[40:41]
.LBB97_28:
	s_or_b64 exec, exec, s[38:39]
	ds_bpermute_b32 v5, v5, v15
	s_waitcnt lgkmcnt(0)
	v_add_f32_e32 v5, v15, v5
	ds_bpermute_b32 v6, v6, v5
	s_waitcnt lgkmcnt(0)
	v_add_f32_e32 v5, v5, v6
	ds_bpermute_b32 v6, v10, v5
	v_xor_b32_e32 v10, 2, v2
	v_cmp_lt_i32_e64 s[10:11], v10, v3
	s_waitcnt lgkmcnt(0)
	v_add_f32_e32 v5, v5, v6
	ds_bpermute_b32 v6, v11, v5
	v_cndmask_b32_e64 v2, v2, v10, s[10:11]
	v_lshlrev_b32_e32 v2, 2, v2
	s_waitcnt lgkmcnt(0)
	v_add_f32_e32 v3, v5, v6
	ds_bpermute_b32 v2, v2, v3
	s_waitcnt lgkmcnt(0)
	v_add_f32_e32 v2, v3, v2
	ds_bpermute_b32 v3, v27, v2
	s_waitcnt lgkmcnt(0)
	v_add_f32_e32 v2, v2, v3
	s_and_saveexec_b64 s[10:11], vcc
	s_cbranch_execz .LBB97_30
; %bb.29:
	ds_write_b32 v7, v2 offset:392
.LBB97_30:
	s_or_b64 exec, exec, s[10:11]
	s_waitcnt lgkmcnt(0)
	s_barrier
	s_and_saveexec_b64 s[10:11], s[0:1]
	s_cbranch_execz .LBB97_32
; %bb.31:
	ds_read_b32 v2, v9 offset:392
.LBB97_32:
	s_or_b64 exec, exec, s[10:11]
	s_waitcnt lgkmcnt(0)
	ds_bpermute_b32 v3, v27, v2
	s_waitcnt lgkmcnt(0)
	v_add_f32_e32 v2, v2, v3
	ds_bpermute_b32 v5, v14, v2
	s_and_saveexec_b64 s[0:1], s[6:7]
	s_cbranch_execz .LBB97_45
; %bb.33:
	s_waitcnt lgkmcnt(0)
	v_add_f32_e32 v2, 0x358637bd, v5
	v_div_scale_f32 v3, s[6:7], v2, v2, 1.0
	v_rcp_f32_e32 v6, v3
	v_div_scale_f32 v7, vcc, 1.0, v2, 1.0
	s_movk_i32 s6, 0x7f
	v_fma_f32 v9, -v3, v6, 1.0
	v_fmac_f32_e32 v6, v9, v6
	v_mul_f32_e32 v9, v7, v6
	v_fma_f32 v10, -v3, v9, v7
	v_fmac_f32_e32 v9, v10, v6
	v_fma_f32 v3, -v3, v9, v7
	v_div_fmas_f32 v3, v3, v6, v9
	v_div_fixup_f32 v2, v3, v2, 1.0
	v_xad_u32 v3, v0, -1, s12
	v_subrev_u32_e32 v6, s50, v3
	v_cmp_lt_u32_e32 vcc, s6, v6
	s_mov_b64 s[10:11], -1
	v_mov_b32_e32 v3, v0
	s_and_saveexec_b64 s[6:7], vcc
	s_cbranch_execz .LBB97_42
; %bb.34:
	v_lshrrev_b32_e32 v6, 7, v6
	v_add_u32_e32 v9, -1, v6
	v_lshrrev_b32_e32 v7, 1, v9
	v_mov_b32_e32 v3, v2
	v_add_u32_e32 v7, 1, v7
	v_cmp_lt_u32_e32 vcc, 13, v9
	v_mov_b32_e32 v11, 0
	s_and_saveexec_b64 s[10:11], vcc
	s_cbranch_execz .LBB97_38
; %bb.35:
	v_mov_b32_e32 v10, 0x190
	v_and_b32_e32 v9, -8, v7
	v_lshl_add_u32 v10, v0, 2, v10
	s_mov_b32 s12, 0
	s_mov_b64 s[38:39], 0
.LBB97_36:                              ; =>This Inner Loop Header: Depth=1
	ds_read2st64_b32 v[14:15], v10 offset1:2
	ds_read2st64_b32 v[16:17], v10 offset0:4 offset1:6
	ds_read2st64_b32 v[18:19], v10 offset0:8 offset1:10
	;; [unrolled: 1-line block ×3, first 2 shown]
	v_add_u32_e32 v9, -8, v9
	s_waitcnt lgkmcnt(3)
	v_pk_mul_f32 v[14:15], v[2:3], v[14:15]
	s_waitcnt lgkmcnt(2)
	v_pk_mul_f32 v[16:17], v[2:3], v[16:17]
	ds_write2st64_b32 v10, v14, v15 offset1:2
	ds_write2st64_b32 v10, v16, v17 offset0:4 offset1:6
	ds_read2st64_b32 v[16:17], v10 offset0:16 offset1:18
	s_waitcnt lgkmcnt(4)
	v_pk_mul_f32 v[14:15], v[2:3], v[18:19]
	ds_write2st64_b32 v10, v14, v15 offset0:8 offset1:10
	s_waitcnt lgkmcnt(4)
	v_pk_mul_f32 v[14:15], v[2:3], v[20:21]
	ds_write2st64_b32 v10, v14, v15 offset0:12 offset1:14
	ds_read2st64_b32 v[14:15], v10 offset0:20 offset1:22
	s_waitcnt lgkmcnt(3)
	v_pk_mul_f32 v[16:17], v[2:3], v[16:17]
	ds_read2st64_b32 v[18:19], v10 offset0:24 offset1:26
	ds_write2st64_b32 v10, v16, v17 offset0:16 offset1:18
	ds_read2st64_b32 v[16:17], v10 offset0:28 offset1:30
	s_waitcnt lgkmcnt(3)
	v_pk_mul_f32 v[14:15], v[2:3], v[14:15]
	ds_write2st64_b32 v10, v14, v15 offset0:20 offset1:22
	s_waitcnt lgkmcnt(3)
	v_pk_mul_f32 v[14:15], v[2:3], v[18:19]
	ds_write2st64_b32 v10, v14, v15 offset0:24 offset1:26
	s_waitcnt lgkmcnt(2)
	v_pk_mul_f32 v[14:15], v[2:3], v[16:17]
	s_add_i32 s12, s12, 16
	v_cmp_eq_u32_e32 vcc, 0, v9
	ds_write2st64_b32 v10, v14, v15 offset0:28 offset1:30
	v_add_u32_e32 v10, 0x2000, v10
	s_or_b64 s[38:39], vcc, s[38:39]
	v_mov_b32_e32 v11, s12
	s_andn2_b64 exec, exec, s[38:39]
	s_cbranch_execnz .LBB97_36
; %bb.37:
	s_or_b64 exec, exec, s[38:39]
.LBB97_38:
	s_or_b64 exec, exec, s[10:11]
	v_and_b32_e32 v7, 7, v7
	v_cmp_ne_u32_e32 vcc, 0, v7
	s_and_saveexec_b64 s[10:11], vcc
	s_cbranch_execz .LBB97_41
; %bb.39:
	v_lshlrev_b32_e32 v9, 9, v11
	v_lshlrev_b32_e32 v10, 2, v0
	s_movk_i32 s12, 0x190
	v_add3_u32 v9, v9, v10, s12
	s_mov_b64 s[38:39], 0
.LBB97_40:                              ; =>This Inner Loop Header: Depth=1
	ds_read2st64_b32 v[10:11], v9 offset1:2
	v_add_u32_e32 v7, -1, v7
	v_cmp_eq_u32_e32 vcc, 0, v7
	s_or_b64 s[38:39], vcc, s[38:39]
	s_waitcnt lgkmcnt(0)
	v_pk_mul_f32 v[10:11], v[2:3], v[10:11]
	ds_write2st64_b32 v9, v10, v11 offset1:2
	v_add_u32_e32 v9, 0x400, v9
	s_andn2_b64 exec, exec, s[38:39]
	s_cbranch_execnz .LBB97_40
.LBB97_41:
	s_or_b64 exec, exec, s[10:11]
	v_add_u32_e32 v6, 1, v6
	v_and_b32_e32 v7, 0x3fffffe, v6
	v_cmp_ne_u32_e32 vcc, v6, v7
	v_lshl_add_u32 v3, v7, 7, v0
	s_orn2_b64 s[10:11], vcc, exec
.LBB97_42:
	s_or_b64 exec, exec, s[6:7]
	s_and_b64 exec, exec, s[10:11]
	s_cbranch_execz .LBB97_45
; %bb.43:
	v_mov_b32_e32 v6, 0x190
	v_lshl_add_u32 v6, v3, 2, v6
	s_mov_b64 s[6:7], 0
.LBB97_44:                              ; =>This Inner Loop Header: Depth=1
	ds_read_b32 v7, v6
	v_add_u32_e32 v3, 0x80, v3
	v_cmp_le_i32_e32 vcc, s3, v3
	s_or_b64 s[6:7], vcc, s[6:7]
	s_waitcnt lgkmcnt(0)
	v_mul_f32_e32 v7, v2, v7
	ds_write_b32 v6, v7
	v_add_u32_e32 v6, 0x200, v6
	s_andn2_b64 exec, exec, s[6:7]
	s_cbranch_execnz .LBB97_44
.LBB97_45:
	s_or_b64 exec, exec, s[0:1]
	s_mul_i32 s0, s19, s28
	v_cmp_eq_u32_e32 vcc, 0, v0
	s_mul_i32 s6, s0, s5
	s_waitcnt lgkmcnt(0)
	s_barrier
	s_and_saveexec_b64 s[0:1], vcc
	s_cbranch_execz .LBB97_47
; %bb.46:
	s_ashr_i32 s7, s6, 31
	s_lshl_b64 s[10:11], s[6:7], 2
	s_add_u32 s5, s22, s10
	s_mul_i32 s2, s19, s2
	s_addc_u32 s7, s23, s11
	s_ashr_i32 s3, s2, 31
	s_lshl_b64 s[2:3], s[2:3], 2
	s_add_u32 s12, s5, s2
	s_addc_u32 s7, s7, s3
	s_ashr_i32 s5, s4, 31
	s_lshl_b64 s[22:23], s[4:5], 2
	s_add_u32 s38, s12, s22
	s_addc_u32 s39, s7, s23
	s_add_u32 s5, s20, s10
	s_addc_u32 s7, s21, s11
	;; [unrolled: 2-line block ×3, first 2 shown]
	s_add_u32 s2, s2, s22
	v_mov_b32_e32 v2, 0
	s_addc_u32 s3, s3, s23
	global_store_dword v2, v4, s[38:39]
	global_store_dword v2, v5, s[2:3]
.LBB97_47:
	s_or_b64 exec, exec, s[0:1]
	s_mov_b32 s12, 0
	v_mov_b32_e32 v7, 0
	v_and_b32_e32 v28, 1, v0
	v_mov_b32_e32 v6, 0
	v_mov_b32_e32 v5, 0
	;; [unrolled: 1-line block ×5, first 2 shown]
	s_and_saveexec_b64 s[2:3], s[8:9]
	s_cbranch_execz .LBB97_65
; %bb.48:
	s_ashr_i32 s15, s14, 31
	s_sub_i32 s5, s49, s17
	s_lshl_b64 s[0:1], s[14:15], 1
	s_add_u32 s8, s36, s0
	v_lshlrev_b32_e32 v2, 3, v0
	s_addc_u32 s9, s37, s1
	s_abs_i32 s18, s18
	v_and_b32_e32 v29, 8, v2
	v_and_b32_e32 v10, 0x1f8, v2
	v_cvt_f32_u32_e32 v2, s18
	s_sub_i32 s0, 0, s18
	s_add_i32 s20, s16, -1
	s_mov_b32 s7, s13
	v_rcp_iflag_f32_e32 v2, v2
	s_mov_b32 s13, s12
	v_or_b32_e32 v14, 0x800, v10
	v_or_b32_e32 v20, 0xa00, v10
	v_mul_f32_e32 v2, 0x4f7ffffe, v2
	v_cvt_u32_f32_e32 v2, v2
	s_mov_b32 s14, s12
	s_mov_b32 s15, s12
	;; [unrolled: 1-line block ×3, first 2 shown]
	v_mul_lo_u32 v3, s0, v2
	v_mul_hi_u32 v3, v2, v3
	s_lshl_b64 s[0:1], s[34:35], 2
	v_add_u32_e32 v30, v2, v3
	s_add_u32 s0, s30, s0
	v_lshlrev_b32_e32 v2, 5, v28
	s_addc_u32 s1, s31, s1
	v_lshl_or_b32 v2, v8, 6, v2
	v_lshl_add_u64 v[16:17], v[12:13], 2, s[0:1]
	v_add_u32_e32 v13, 0x190, v2
	s_mov_b32 s17, s12
	v_mov_b64_e32 v[2:3], s[12:13]
	v_mov_b32_e32 v15, 0
	s_mov_b32 s21, s29
	s_mov_b32 s22, s29
	;; [unrolled: 1-line block ×7, first 2 shown]
	s_mov_b64 s[10:11], 0
	v_mov_b64_e32 v[4:5], s[14:15]
	v_mov_b64_e32 v[6:7], s[16:17]
	v_lshlrev_b32_e32 v18, 1, v10
	s_mov_b32 s16, 0x5040100
	v_lshlrev_b32_e32 v14, 1, v14
	v_lshlrev_b32_e32 v20, 1, v20
	s_branch .LBB97_51
.LBB97_49:                              ;   in Loop: Header=BB97_51 Depth=1
	s_or_b64 exec, exec, s[0:1]
	s_waitcnt vmcnt(0)
	;;#ASMSTART
	v_pk_mul_f16 v8, v41, v8;

	;;#ASMEND
	;;#ASMSTART
	v_pk_mul_f16 v9, v40, v9;

	;;#ASMEND
	;; [unrolled: 4-line block ×4, first 2 shown]
	v_add_f32_e32 v19, v42, v43
	;;#ASMSTART
	v_pk_add_f16 v8, v8, v9;

	;;#ASMEND
	v_add_f32_e32 v2, v2, v19
	;;#ASMSTART
	v_pk_add_f16 v8, v8, v10;

	;;#ASMEND
	;; [unrolled: 5-line block ×3, first 2 shown]
	v_add_f32_e32 v3, v3, v19
	v_add_f32_e32 v19, v46, v47
	v_lshrrev_b32_e32 v9, 16, v8
	v_and_b32_e32 v8, 0xffff, v8
	v_add_f32_e32 v4, v4, v19
	v_add_f32_e32 v19, v24, v25
	;;#ASMSTART
	v_cvt_f32_f16 v8, v8;
	;;#ASMEND
	v_add_f32_e32 v5, v5, v19
	v_add_f32_e32 v19, v48, v49
	;;#ASMSTART
	v_cvt_f32_f16 v9, v9;
	;;#ASMEND
	v_add_f32_e32 v6, v6, v19
	v_add_f32_e32 v8, v8, v9
	;; [unrolled: 1-line block ×3, first 2 shown]
.LBB97_50:                              ;   in Loop: Header=BB97_51 Depth=1
	s_or_b64 exec, exec, s[12:13]
	v_add_u32_e32 v12, 2, v12
	v_cmp_le_i32_e32 vcc, s48, v12
	v_lshl_add_u64 v[16:17], v[16:17], 0, 8
	v_add_u32_e32 v1, 32, v1
	s_or_b64 s[10:11], vcc, s[10:11]
	v_add_u32_e32 v13, 0x80, v13
	s_andn2_b64 exec, exec, s[10:11]
	s_cbranch_execz .LBB97_64
.LBB97_51:                              ; =>This Inner Loop Header: Depth=1
	v_sub_u32_e32 v9, 0, v1
	v_max_i32_e32 v9, v1, v9
	v_mul_hi_u32 v10, v9, s33
	v_mul_lo_u32 v11, v10, s25
	v_sub_u32_e32 v9, v9, v11
	v_add_u32_e32 v11, 1, v10
	v_cmp_le_u32_e32 vcc, s25, v9
	v_ashrrev_i32_e32 v8, 31, v1
	v_xor_b32_e32 v8, s47, v8
	v_cndmask_b32_e32 v10, v10, v11, vcc
	v_subrev_u32_e32 v11, s25, v9
	v_cndmask_b32_e32 v9, v9, v11, vcc
	v_add_u32_e32 v11, 1, v10
	v_cmp_le_u32_e32 vcc, s25, v9
	s_nop 1
	v_cndmask_b32_e32 v9, v10, v11, vcc
	v_xor_b32_e32 v9, v9, v8
	v_sub_u32_e32 v8, v9, v8
	v_add_u32_e32 v9, s46, v8
	v_sub_u32_e32 v11, 0, v9
	v_ashrrev_i32_e32 v10, 31, v9
	v_max_i32_e32 v9, v9, v11
	v_mul_hi_u32 v11, v9, v30
	v_mul_lo_u32 v11, v11, s18
	v_sub_u32_e32 v9, v9, v11
	v_subrev_u32_e32 v11, s18, v9
	v_cmp_le_u32_e32 vcc, s18, v9
	v_cmp_lt_i32_e64 s[0:1], s5, v8
	s_nop 0
	v_cndmask_b32_e32 v9, v9, v11, vcc
	v_subrev_u32_e32 v11, s18, v9
	v_cmp_le_u32_e32 vcc, s18, v9
	s_nop 1
	v_cndmask_b32_e32 v9, v9, v11, vcc
	v_xor_b32_e32 v9, v9, v10
	v_sub_u32_e32 v9, v9, v10
	v_cmp_eq_u32_e32 vcc, 0, v9
	s_or_b64 s[0:1], vcc, s[0:1]
	s_and_saveexec_b64 s[12:13], s[0:1]
	s_cbranch_execz .LBB97_50
; %bb.52:                               ;   in Loop: Header=BB97_51 Depth=1
	global_load_dword v19, v[16:17], off
	ds_read2_b64 v[8:11], v13 offset1:1
	ds_read2_b64 v[22:25], v13 offset0:2 offset1:3
	v_cmp_eq_u32_e32 vcc, s20, v12
	s_waitcnt lgkmcnt(1)
	;;#ASMSTART
	v_cvt_f16_f32 v21, v8;

	;;#ASMEND
	;;#ASMSTART
	v_cvt_f16_f32 v38, v9;

	;;#ASMEND
	;;#ASMSTART
	v_cvt_f16_f32 v39, v10;

	;;#ASMEND
	;;#ASMSTART
	v_cvt_f16_f32 v40, v11;

	;;#ASMEND
	s_waitcnt lgkmcnt(0)
	;;#ASMSTART
	v_cvt_f16_f32 v42, v22;

	;;#ASMEND
	;;#ASMSTART
	v_cvt_f16_f32 v43, v23;

	;;#ASMEND
	;; [unrolled: 4-line block ×4, first 2 shown]
	s_waitcnt vmcnt(0)
	v_mad_i64_i32 v[8:9], s[0:1], v19, s7, 0
	v_lshl_add_u64 v[22:23], v[8:9], 1, s[8:9]
	v_mov_b32_e32 v19, v15
	v_lshl_add_u64 v[24:25], v[22:23], 0, v[18:19]
	global_load_dwordx4 v[8:11], v[24:25], off
	v_add_u32_e32 v19, v29, v1
	v_add_u32_e32 v31, 1, v19
	v_or_b32_e32 v33, 3, v19
	v_or_b32_e32 v32, 2, v19
	;; [unrolled: 1-line block ×6, first 2 shown]
	s_and_saveexec_b64 s[14:15], vcc
	s_cbranch_execz .LBB97_54
; %bb.53:                               ;   in Loop: Header=BB97_51 Depth=1
	s_waitcnt vmcnt(0)
	v_lshrrev_b32_e32 v41, 16, v11
	v_cmp_gt_i32_e64 s[0:1], s38, v37
	s_nop 1
	v_cndmask_b32_e64 v41, 0, v41, s[0:1]
	v_cmp_gt_i32_e64 s[0:1], s37, v36
	s_nop 1
	v_cndmask_b32_e64 v11, 0, v11, s[0:1]
	v_perm_b32 v11, v41, v11, s16
	v_lshrrev_b32_e32 v41, 16, v10
	v_cmp_gt_i32_e64 s[0:1], s36, v35
	s_nop 1
	v_cndmask_b32_e64 v41, 0, v41, s[0:1]
	v_cmp_gt_i32_e64 s[0:1], s28, v34
	s_nop 1
	v_cndmask_b32_e64 v10, 0, v10, s[0:1]
	v_perm_b32 v10, v41, v10, s16
	;; [unrolled: 8-line block ×4, first 2 shown]
.LBB97_54:                              ;   in Loop: Header=BB97_51 Depth=1
	s_or_b64 exec, exec, s[14:15]
	v_and_b32_e32 v21, 0xffff, v21
	v_lshl_or_b32 v41, v38, 16, v21
	v_and_b32_e32 v21, 0xffff, v39
	v_lshl_or_b32 v40, v40, 16, v21
	;; [unrolled: 2-line block ×3, first 2 shown]
	v_and_b32_e32 v21, 0xffff, v44
	s_waitcnt vmcnt(0)
	;;#ASMSTART
	v_pk_mul_f16 v8, v41, v8;

	;;#ASMEND
	v_lshl_or_b32 v38, v45, 16, v21
	;;#ASMSTART
	v_pk_mul_f16 v9, v40, v9;

	;;#ASMEND
	;;#ASMSTART
	v_pk_mul_f16 v10, v39, v10;

	;;#ASMEND
	;; [unrolled: 4-line block ×3, first 2 shown]
	s_nop 0
	;;#ASMSTART
	v_pk_add_f16 v8, v8, v9;

	;;#ASMEND
	s_nop 0
	;;#ASMSTART
	v_pk_add_f16 v8, v8, v10;

	;;#ASMEND
	;; [unrolled: 5-line block ×3, first 2 shown]
	s_nop 0
	v_lshrrev_b32_e32 v9, 16, v8
	v_and_b32_e32 v8, 0xffff, v8
	;;#ASMSTART
	v_cvt_f32_f16 v42, v8;
	;;#ASMEND
	;;#ASMSTART
	v_cvt_f32_f16 v43, v9;
	;;#ASMEND
	global_load_dwordx4 v[8:11], v[24:25], off offset:1024
	s_and_saveexec_b64 s[14:15], vcc
	s_cbranch_execz .LBB97_56
; %bb.55:                               ;   in Loop: Header=BB97_51 Depth=1
	s_waitcnt vmcnt(0)
	v_lshrrev_b32_e32 v21, 16, v11
	v_cmp_gt_i32_e64 s[0:1], s38, v37
	s_nop 1
	v_cndmask_b32_e64 v21, 0, v21, s[0:1]
	v_cmp_gt_i32_e64 s[0:1], s37, v36
	s_nop 1
	v_cndmask_b32_e64 v11, 0, v11, s[0:1]
	v_perm_b32 v11, v21, v11, s16
	v_lshrrev_b32_e32 v21, 16, v10
	v_cmp_gt_i32_e64 s[0:1], s36, v35
	s_nop 1
	v_cndmask_b32_e64 v21, 0, v21, s[0:1]
	v_cmp_gt_i32_e64 s[0:1], s28, v34
	s_nop 1
	v_cndmask_b32_e64 v10, 0, v10, s[0:1]
	v_perm_b32 v10, v21, v10, s16
	;; [unrolled: 8-line block ×4, first 2 shown]
.LBB97_56:                              ;   in Loop: Header=BB97_51 Depth=1
	s_or_b64 exec, exec, s[14:15]
	s_waitcnt vmcnt(0)
	;;#ASMSTART
	v_pk_mul_f16 v8, v41, v8;

	;;#ASMEND
	;;#ASMSTART
	v_pk_mul_f16 v9, v40, v9;

	;;#ASMEND
	;; [unrolled: 4-line block ×4, first 2 shown]
	s_nop 0
	;;#ASMSTART
	v_pk_add_f16 v8, v8, v9;

	;;#ASMEND
	s_nop 0
	;;#ASMSTART
	v_pk_add_f16 v8, v8, v10;

	;;#ASMEND
	;; [unrolled: 5-line block ×3, first 2 shown]
	s_nop 0
	v_lshrrev_b32_e32 v9, 16, v8
	v_and_b32_e32 v8, 0xffff, v8
	;;#ASMSTART
	v_cvt_f32_f16 v44, v8;
	;;#ASMEND
	;;#ASMSTART
	v_cvt_f32_f16 v45, v9;
	;;#ASMEND
	global_load_dwordx4 v[8:11], v[24:25], off offset:2048
	s_and_saveexec_b64 s[14:15], vcc
	s_cbranch_execz .LBB97_58
; %bb.57:                               ;   in Loop: Header=BB97_51 Depth=1
	s_waitcnt vmcnt(0)
	v_lshrrev_b32_e32 v21, 16, v11
	v_cmp_gt_i32_e64 s[0:1], s38, v37
	s_nop 1
	v_cndmask_b32_e64 v21, 0, v21, s[0:1]
	v_cmp_gt_i32_e64 s[0:1], s37, v36
	s_nop 1
	v_cndmask_b32_e64 v11, 0, v11, s[0:1]
	v_perm_b32 v11, v21, v11, s16
	v_lshrrev_b32_e32 v21, 16, v10
	v_cmp_gt_i32_e64 s[0:1], s36, v35
	s_nop 1
	v_cndmask_b32_e64 v21, 0, v21, s[0:1]
	v_cmp_gt_i32_e64 s[0:1], s28, v34
	s_nop 1
	v_cndmask_b32_e64 v10, 0, v10, s[0:1]
	v_perm_b32 v10, v21, v10, s16
	;; [unrolled: 8-line block ×4, first 2 shown]
.LBB97_58:                              ;   in Loop: Header=BB97_51 Depth=1
	s_or_b64 exec, exec, s[14:15]
	s_waitcnt vmcnt(0)
	;;#ASMSTART
	v_pk_mul_f16 v8, v41, v8;

	;;#ASMEND
	;;#ASMSTART
	v_pk_mul_f16 v9, v40, v9;

	;;#ASMEND
	;; [unrolled: 4-line block ×4, first 2 shown]
	s_nop 0
	;;#ASMSTART
	v_pk_add_f16 v8, v8, v9;

	;;#ASMEND
	s_nop 0
	;;#ASMSTART
	v_pk_add_f16 v8, v8, v10;

	;;#ASMEND
	;; [unrolled: 5-line block ×3, first 2 shown]
	s_nop 0
	v_lshrrev_b32_e32 v9, 16, v8
	v_and_b32_e32 v8, 0xffff, v8
	;;#ASMSTART
	v_cvt_f32_f16 v46, v8;
	;;#ASMEND
	;;#ASMSTART
	v_cvt_f32_f16 v47, v9;
	;;#ASMEND
	global_load_dwordx4 v[8:11], v[24:25], off offset:3072
	s_and_saveexec_b64 s[14:15], vcc
	s_cbranch_execz .LBB97_60
; %bb.59:                               ;   in Loop: Header=BB97_51 Depth=1
	s_waitcnt vmcnt(0)
	v_lshrrev_b32_e32 v21, 16, v11
	v_cmp_gt_i32_e64 s[0:1], s38, v37
	s_nop 1
	v_cndmask_b32_e64 v21, 0, v21, s[0:1]
	v_cmp_gt_i32_e64 s[0:1], s37, v36
	s_nop 1
	v_cndmask_b32_e64 v11, 0, v11, s[0:1]
	v_perm_b32 v11, v21, v11, s16
	v_lshrrev_b32_e32 v21, 16, v10
	v_cmp_gt_i32_e64 s[0:1], s36, v35
	s_nop 1
	v_cndmask_b32_e64 v21, 0, v21, s[0:1]
	v_cmp_gt_i32_e64 s[0:1], s28, v34
	s_nop 1
	v_cndmask_b32_e64 v10, 0, v10, s[0:1]
	v_perm_b32 v10, v21, v10, s16
	;; [unrolled: 8-line block ×4, first 2 shown]
.LBB97_60:                              ;   in Loop: Header=BB97_51 Depth=1
	s_or_b64 exec, exec, s[14:15]
	s_waitcnt vmcnt(0)
	;;#ASMSTART
	v_pk_mul_f16 v8, v41, v8;

	;;#ASMEND
	;;#ASMSTART
	v_pk_mul_f16 v9, v40, v9;

	;;#ASMEND
	;; [unrolled: 4-line block ×4, first 2 shown]
	s_nop 0
	;;#ASMSTART
	v_pk_add_f16 v8, v8, v9;

	;;#ASMEND
	s_nop 0
	;;#ASMSTART
	v_pk_add_f16 v8, v8, v10;

	;;#ASMEND
	;; [unrolled: 5-line block ×3, first 2 shown]
	s_nop 0
	v_lshrrev_b32_e32 v9, 16, v8
	v_and_b32_e32 v8, 0xffff, v8
	;;#ASMSTART
	v_cvt_f32_f16 v24, v8;
	;;#ASMEND
	;;#ASMSTART
	v_cvt_f32_f16 v25, v9;
	;;#ASMEND
	v_lshl_add_u64 v[8:9], v[22:23], 0, v[14:15]
	global_load_dwordx4 v[8:11], v[8:9], off
	s_and_saveexec_b64 s[14:15], vcc
	s_cbranch_execz .LBB97_62
; %bb.61:                               ;   in Loop: Header=BB97_51 Depth=1
	s_waitcnt vmcnt(0)
	v_lshrrev_b32_e32 v21, 16, v11
	v_cmp_gt_i32_e64 s[0:1], s38, v37
	s_nop 1
	v_cndmask_b32_e64 v21, 0, v21, s[0:1]
	v_cmp_gt_i32_e64 s[0:1], s37, v36
	s_nop 1
	v_cndmask_b32_e64 v11, 0, v11, s[0:1]
	v_perm_b32 v11, v21, v11, s16
	v_lshrrev_b32_e32 v21, 16, v10
	v_cmp_gt_i32_e64 s[0:1], s36, v35
	s_nop 1
	v_cndmask_b32_e64 v21, 0, v21, s[0:1]
	v_cmp_gt_i32_e64 s[0:1], s28, v34
	s_nop 1
	v_cndmask_b32_e64 v10, 0, v10, s[0:1]
	v_perm_b32 v10, v21, v10, s16
	;; [unrolled: 8-line block ×4, first 2 shown]
.LBB97_62:                              ;   in Loop: Header=BB97_51 Depth=1
	s_or_b64 exec, exec, s[14:15]
	s_waitcnt vmcnt(0)
	;;#ASMSTART
	v_pk_mul_f16 v8, v41, v8;

	;;#ASMEND
	;;#ASMSTART
	v_pk_mul_f16 v9, v40, v9;

	;;#ASMEND
	;; [unrolled: 4-line block ×4, first 2 shown]
	v_mov_b32_e32 v21, v15
	;;#ASMSTART
	v_pk_add_f16 v8, v8, v9;

	;;#ASMEND
	s_nop 0
	;;#ASMSTART
	v_pk_add_f16 v8, v8, v10;

	;;#ASMEND
	s_nop 0
	;; [unrolled: 5-line block ×3, first 2 shown]
	v_lshrrev_b32_e32 v9, 16, v8
	v_and_b32_e32 v8, 0xffff, v8
	;;#ASMSTART
	v_cvt_f32_f16 v48, v8;
	;;#ASMEND
	;;#ASMSTART
	v_cvt_f32_f16 v49, v9;
	;;#ASMEND
	v_lshl_add_u64 v[8:9], v[22:23], 0, v[20:21]
	global_load_dwordx4 v[8:11], v[8:9], off
	s_and_saveexec_b64 s[0:1], vcc
	s_cbranch_execz .LBB97_49
; %bb.63:                               ;   in Loop: Header=BB97_51 Depth=1
	s_waitcnt vmcnt(0)
	v_lshrrev_b32_e32 v21, 16, v11
	v_cmp_gt_i32_e32 vcc, s38, v37
	s_nop 1
	v_cndmask_b32_e32 v21, 0, v21, vcc
	v_cmp_gt_i32_e32 vcc, s37, v36
	s_nop 1
	v_cndmask_b32_e32 v11, 0, v11, vcc
	v_perm_b32 v11, v21, v11, s16
	v_lshrrev_b32_e32 v21, 16, v10
	v_cmp_gt_i32_e32 vcc, s36, v35
	s_nop 1
	v_cndmask_b32_e32 v21, 0, v21, vcc
	v_cmp_gt_i32_e32 vcc, s28, v34
	s_nop 1
	v_cndmask_b32_e32 v10, 0, v10, vcc
	v_perm_b32 v10, v21, v10, s16
	;; [unrolled: 8-line block ×4, first 2 shown]
	s_branch .LBB97_49
.LBB97_64:
	s_or_b64 exec, exec, s[10:11]
.LBB97_65:
	s_or_b64 exec, exec, s[2:3]
	ds_bpermute_b32 v8, v27, v2
	ds_bpermute_b32 v9, v27, v3
	;; [unrolled: 1-line block ×6, first 2 shown]
	v_and_b32_e32 v1, 0x3c1, v0
	s_waitcnt lgkmcnt(4)
	v_pk_add_f32 v[8:9], v[2:3], v[8:9]
	s_waitcnt lgkmcnt(2)
	v_pk_add_f32 v[4:5], v[4:5], v[10:11]
	v_cmp_eq_u32_e32 vcc, 64, v1
	s_waitcnt lgkmcnt(0)
	v_pk_add_f32 v[2:3], v[6:7], v[12:13]
	s_barrier
	s_and_saveexec_b64 s[0:1], vcc
	s_cbranch_execz .LBB97_67
; %bb.66:
	v_mov_b32_e32 v6, 0x190
	v_lshl_add_u32 v6, v26, 1, v6
	ds_write2_b32 v6, v8, v9 offset1:32
	ds_write2_b32 v6, v4, v5 offset0:64 offset1:96
	ds_write2_b32 v6, v2, v3 offset0:128 offset1:160
.LBB97_67:
	s_or_b64 exec, exec, s[0:1]
	v_cmp_gt_u32_e32 vcc, 64, v0
	s_waitcnt lgkmcnt(0)
	s_barrier
	s_and_saveexec_b64 s[0:1], vcc
	s_cbranch_execz .LBB97_76
; %bb.68:
	v_cmp_eq_u32_e32 vcc, 0, v28
	v_lshrrev_b32_e32 v6, 1, v0
	s_and_saveexec_b64 s[2:3], vcc
	s_cbranch_execnz .LBB97_79
; %bb.69:
	s_or_b64 exec, exec, s[2:3]
	s_and_saveexec_b64 s[2:3], vcc
	s_cbranch_execnz .LBB97_80
.LBB97_70:
	s_or_b64 exec, exec, s[2:3]
	s_and_saveexec_b64 s[2:3], vcc
	s_cbranch_execnz .LBB97_81
.LBB97_71:
	s_or_b64 exec, exec, s[2:3]
	s_and_saveexec_b64 s[2:3], vcc
	s_cbranch_execnz .LBB97_82
.LBB97_72:
	s_or_b64 exec, exec, s[2:3]
	s_and_saveexec_b64 s[2:3], vcc
	s_cbranch_execnz .LBB97_83
.LBB97_73:
	s_or_b64 exec, exec, s[2:3]
	s_and_saveexec_b64 s[2:3], vcc
	s_cbranch_execz .LBB97_75
.LBB97_74:
	v_mov_b32_e32 v7, 0x190
	v_lshl_add_u32 v6, v6, 2, v7
	ds_read_b32 v6, v6 offset:640
	s_waitcnt lgkmcnt(0)
	v_add_f32_e32 v3, v3, v6
.LBB97_75:
	s_or_b64 exec, exec, s[2:3]
.LBB97_76:
	s_or_b64 exec, exec, s[0:1]
	v_cmp_eq_u32_e32 vcc, 0, v1
	s_barrier
	s_and_saveexec_b64 s[0:1], vcc
	s_cbranch_execz .LBB97_78
; %bb.77:
	s_mul_i32 s0, s6, 0xc0
	s_ashr_i32 s1, s0, 31
	s_lshl_b64 s[0:1], s[0:1], 1
	s_add_u32 s2, s26, s0
	s_mul_i32 s0, s19, s24
	s_addc_u32 s3, s27, s1
	s_ashr_i32 s1, s0, 31
	s_lshl_b64 s[0:1], s[0:1], 1
	s_add_u32 s2, s2, s0
	s_mul_i32 s0, s4, 0xc0
	s_addc_u32 s3, s3, s1
	s_ashr_i32 s1, s0, 31
	s_lshl_b64 s[0:1], s[0:1], 1
	s_add_u32 s0, s2, s0
	s_addc_u32 s1, s3, s1
	;;#ASMSTART
	v_cvt_f16_f32 v1, v8;

	;;#ASMEND
	global_store_short v0, v1, s[0:1]
	;;#ASMSTART
	v_cvt_f16_f32 v1, v9;

	;;#ASMEND
	global_store_short v0, v1, s[0:1] offset:64
	;;#ASMSTART
	v_cvt_f16_f32 v1, v4;

	;;#ASMEND
	global_store_short v0, v1, s[0:1] offset:128
	;; [unrolled: 5-line block ×5, first 2 shown]
.LBB97_78:
	s_endpgm
.LBB97_79:
	v_mov_b32_e32 v7, 0x190
	v_lshl_add_u32 v7, v6, 2, v7
	ds_read_b32 v7, v7
	s_waitcnt lgkmcnt(0)
	v_add_f32_e32 v8, v8, v7
	s_or_b64 exec, exec, s[2:3]
	s_and_saveexec_b64 s[2:3], vcc
	s_cbranch_execz .LBB97_70
.LBB97_80:
	v_mov_b32_e32 v7, 0x190
	v_lshl_add_u32 v7, v6, 2, v7
	ds_read_b32 v7, v7 offset:128
	s_waitcnt lgkmcnt(0)
	v_add_f32_e32 v9, v9, v7
	s_or_b64 exec, exec, s[2:3]
	s_and_saveexec_b64 s[2:3], vcc
	s_cbranch_execz .LBB97_71
.LBB97_81:
	v_mov_b32_e32 v7, 0x190
	v_lshl_add_u32 v7, v6, 2, v7
	ds_read_b32 v7, v7 offset:256
	s_waitcnt lgkmcnt(0)
	v_add_f32_e32 v4, v4, v7
	s_or_b64 exec, exec, s[2:3]
	s_and_saveexec_b64 s[2:3], vcc
	s_cbranch_execz .LBB97_72
.LBB97_82:
	v_mov_b32_e32 v7, 0x190
	v_lshl_add_u32 v7, v6, 2, v7
	ds_read_b32 v7, v7 offset:384
	s_waitcnt lgkmcnt(0)
	v_add_f32_e32 v5, v5, v7
	s_or_b64 exec, exec, s[2:3]
	s_and_saveexec_b64 s[2:3], vcc
	s_cbranch_execz .LBB97_73
.LBB97_83:
	v_mov_b32_e32 v7, 0x190
	v_lshl_add_u32 v7, v6, 2, v7
	ds_read_b32 v7, v7 offset:512
	s_waitcnt lgkmcnt(0)
	v_add_f32_e32 v2, v2, v7
	s_or_b64 exec, exec, s[2:3]
	s_and_saveexec_b64 s[2:3], vcc
	s_cbranch_execnz .LBB97_74
	s_branch .LBB97_75
	.section	.rodata,"a",@progbits
	.p2align	6, 0x0
	.amdhsa_kernel _ZN4vllm25paged_attention_v2_kernelIttLi192ELi16ELi128ELNS_18Fp8KVCacheDataTypeE0ELb1ELi512EEEvPfS2_PT_PKS3_PKT0_S9_ifPKiSB_iPKfiiiSD_SD_iiiii
		.amdhsa_group_segment_fixed_size 400
		.amdhsa_private_segment_fixed_size 0
		.amdhsa_kernarg_size 400
		.amdhsa_user_sgpr_count 2
		.amdhsa_user_sgpr_dispatch_ptr 0
		.amdhsa_user_sgpr_queue_ptr 0
		.amdhsa_user_sgpr_kernarg_segment_ptr 1
		.amdhsa_user_sgpr_dispatch_id 0
		.amdhsa_user_sgpr_kernarg_preload_length 0
		.amdhsa_user_sgpr_kernarg_preload_offset 0
		.amdhsa_user_sgpr_private_segment_size 0
		.amdhsa_uses_dynamic_stack 0
		.amdhsa_enable_private_segment 0
		.amdhsa_system_sgpr_workgroup_id_x 1
		.amdhsa_system_sgpr_workgroup_id_y 1
		.amdhsa_system_sgpr_workgroup_id_z 1
		.amdhsa_system_sgpr_workgroup_info 0
		.amdhsa_system_vgpr_workitem_id 0
		.amdhsa_next_free_vgpr 90
		.amdhsa_next_free_sgpr 53
		.amdhsa_accum_offset 92
		.amdhsa_reserve_vcc 1
		.amdhsa_float_round_mode_32 0
		.amdhsa_float_round_mode_16_64 0
		.amdhsa_float_denorm_mode_32 3
		.amdhsa_float_denorm_mode_16_64 3
		.amdhsa_dx10_clamp 1
		.amdhsa_ieee_mode 1
		.amdhsa_fp16_overflow 0
		.amdhsa_tg_split 0
		.amdhsa_exception_fp_ieee_invalid_op 0
		.amdhsa_exception_fp_denorm_src 0
		.amdhsa_exception_fp_ieee_div_zero 0
		.amdhsa_exception_fp_ieee_overflow 0
		.amdhsa_exception_fp_ieee_underflow 0
		.amdhsa_exception_fp_ieee_inexact 0
		.amdhsa_exception_int_div_zero 0
	.end_amdhsa_kernel
	.section	.text._ZN4vllm25paged_attention_v2_kernelIttLi192ELi16ELi128ELNS_18Fp8KVCacheDataTypeE0ELb1ELi512EEEvPfS2_PT_PKS3_PKT0_S9_ifPKiSB_iPKfiiiSD_SD_iiiii,"axG",@progbits,_ZN4vllm25paged_attention_v2_kernelIttLi192ELi16ELi128ELNS_18Fp8KVCacheDataTypeE0ELb1ELi512EEEvPfS2_PT_PKS3_PKT0_S9_ifPKiSB_iPKfiiiSD_SD_iiiii,comdat
.Lfunc_end97:
	.size	_ZN4vllm25paged_attention_v2_kernelIttLi192ELi16ELi128ELNS_18Fp8KVCacheDataTypeE0ELb1ELi512EEEvPfS2_PT_PKS3_PKT0_S9_ifPKiSB_iPKfiiiSD_SD_iiiii, .Lfunc_end97-_ZN4vllm25paged_attention_v2_kernelIttLi192ELi16ELi128ELNS_18Fp8KVCacheDataTypeE0ELb1ELi512EEEvPfS2_PT_PKS3_PKT0_S9_ifPKiSB_iPKfiiiSD_SD_iiiii
                                        ; -- End function
	.section	.AMDGPU.csdata,"",@progbits
; Kernel info:
; codeLenInByte = 8644
; NumSgprs: 59
; NumVgprs: 90
; NumAgprs: 0
; TotalNumVgprs: 90
; ScratchSize: 0
; MemoryBound: 0
; FloatMode: 240
; IeeeMode: 1
; LDSByteSize: 400 bytes/workgroup (compile time only)
; SGPRBlocks: 7
; VGPRBlocks: 11
; NumSGPRsForWavesPerEU: 59
; NumVGPRsForWavesPerEU: 90
; AccumOffset: 92
; Occupancy: 5
; WaveLimiterHint : 1
; COMPUTE_PGM_RSRC2:SCRATCH_EN: 0
; COMPUTE_PGM_RSRC2:USER_SGPR: 2
; COMPUTE_PGM_RSRC2:TRAP_HANDLER: 0
; COMPUTE_PGM_RSRC2:TGID_X_EN: 1
; COMPUTE_PGM_RSRC2:TGID_Y_EN: 1
; COMPUTE_PGM_RSRC2:TGID_Z_EN: 1
; COMPUTE_PGM_RSRC2:TIDIG_COMP_CNT: 0
; COMPUTE_PGM_RSRC3_GFX90A:ACCUM_OFFSET: 22
; COMPUTE_PGM_RSRC3_GFX90A:TG_SPLIT: 0
	.section	.text._ZN4vllm25paged_attention_v2_kernelIttLi256ELi16ELi128ELNS_18Fp8KVCacheDataTypeE0ELb1ELi512EEEvPfS2_PT_PKS3_PKT0_S9_ifPKiSB_iPKfiiiSD_SD_iiiii,"axG",@progbits,_ZN4vllm25paged_attention_v2_kernelIttLi256ELi16ELi128ELNS_18Fp8KVCacheDataTypeE0ELb1ELi512EEEvPfS2_PT_PKS3_PKT0_S9_ifPKiSB_iPKfiiiSD_SD_iiiii,comdat
	.protected	_ZN4vllm25paged_attention_v2_kernelIttLi256ELi16ELi128ELNS_18Fp8KVCacheDataTypeE0ELb1ELi512EEEvPfS2_PT_PKS3_PKT0_S9_ifPKiSB_iPKfiiiSD_SD_iiiii ; -- Begin function _ZN4vllm25paged_attention_v2_kernelIttLi256ELi16ELi128ELNS_18Fp8KVCacheDataTypeE0ELb1ELi512EEEvPfS2_PT_PKS3_PKT0_S9_ifPKiSB_iPKfiiiSD_SD_iiiii
	.globl	_ZN4vllm25paged_attention_v2_kernelIttLi256ELi16ELi128ELNS_18Fp8KVCacheDataTypeE0ELb1ELi512EEEvPfS2_PT_PKS3_PKT0_S9_ifPKiSB_iPKfiiiSD_SD_iiiii
	.p2align	8
	.type	_ZN4vllm25paged_attention_v2_kernelIttLi256ELi16ELi128ELNS_18Fp8KVCacheDataTypeE0ELb1ELi512EEEvPfS2_PT_PKS3_PKT0_S9_ifPKiSB_iPKfiiiSD_SD_iiiii,@function
_ZN4vllm25paged_attention_v2_kernelIttLi256ELi16ELi128ELNS_18Fp8KVCacheDataTypeE0ELb1ELi512EEEvPfS2_PT_PKS3_PKT0_S9_ifPKiSB_iPKfiiiSD_SD_iiiii: ; @_ZN4vllm25paged_attention_v2_kernelIttLi256ELi16ELi128ELNS_18Fp8KVCacheDataTypeE0ELb1ELi512EEEvPfS2_PT_PKS3_PKT0_S9_ifPKiSB_iPKfiiiSD_SD_iiiii
; %bb.0:
	s_load_dwordx2 s[6:7], s[0:1], 0x40
	s_mov_b32 s28, s3
	s_ashr_i32 s29, s3, 31
	s_lshl_b64 s[8:9], s[28:29], 2
	s_waitcnt lgkmcnt(0)
	s_add_u32 s6, s6, s8
	s_addc_u32 s7, s7, s9
	s_load_dword s29, s[6:7], 0x0
	s_lshl_b32 s50, s4, 9
	s_waitcnt lgkmcnt(0)
	s_cmp_ge_i32 s50, s29
	s_cbranch_scc1 .LBB98_84
; %bb.1:
	s_load_dword s5, s[0:1], 0x90
	s_load_dwordx2 s[38:39], s[0:1], 0x30
	s_waitcnt lgkmcnt(0)
	s_abs_i32 s7, s5
	s_abs_i32 s3, s38
	v_cvt_f32_u32_e32 v1, s3
	s_sub_i32 s8, 0, s3
	s_xor_b32 s6, s5, s38
	s_ashr_i32 s6, s6, 31
	v_rcp_iflag_f32_e32 v1, v1
	s_nop 0
	v_mul_f32_e32 v1, 0x4f7ffffe, v1
	v_cvt_u32_f32_e32 v1, v1
	s_nop 0
	v_readfirstlane_b32 s9, v1
	s_mul_i32 s8, s8, s9
	s_mul_hi_u32 s8, s9, s8
	s_add_i32 s9, s9, s8
	s_mul_hi_u32 s8, s7, s9
	s_mul_i32 s9, s8, s3
	s_sub_i32 s7, s7, s9
	s_add_i32 s10, s8, 1
	s_sub_i32 s9, s7, s3
	s_cmp_ge_u32 s7, s3
	s_cselect_b32 s8, s10, s8
	s_cselect_b32 s7, s9, s7
	s_add_i32 s9, s8, 1
	s_cmp_ge_u32 s7, s3
	s_cselect_b32 s3, s9, s8
	s_xor_b32 s3, s3, s6
	s_sub_i32 s11, s3, s6
	s_abs_i32 s8, s11
	v_cvt_f32_u32_e32 v1, s8
	s_load_dwordx2 s[6:7], s[0:1], 0x50
	s_sub_i32 s10, 0, s8
	s_abs_i32 s9, s2
	v_rcp_iflag_f32_e32 v1, v1
	s_mov_b32 s3, 0
	v_mul_f32_e32 v1, 0x4f7ffffe, v1
	v_cvt_u32_f32_e32 v1, v1
	s_nop 0
	v_readfirstlane_b32 s12, v1
	s_mul_i32 s10, s10, s12
	s_mul_hi_u32 s10, s12, s10
	s_add_i32 s12, s12, s10
	s_waitcnt lgkmcnt(0)
	s_cmp_eq_u64 s[6:7], 0
	s_mul_hi_u32 s10, s9, s12
	s_cbranch_scc1 .LBB98_3
; %bb.2:
	s_ashr_i32 s3, s2, 31
	s_lshl_b64 s[12:13], s[2:3], 2
	s_add_u32 s6, s6, s12
	s_addc_u32 s7, s7, s13
	s_load_dword s3, s[6:7], 0x0
.LBB98_3:
	s_load_dwordx4 s[12:15], s[0:1], 0x58
	s_movk_i32 s6, 0x80
	s_ashr_i32 s16, s2, 31
	s_ashr_i32 s11, s11, 31
	v_and_b32_e32 v4, 3, v0
	s_lshl_b32 s24, s2, 8
	v_cmp_gt_u32_e32 vcc, s6, v0
	s_and_saveexec_b64 s[6:7], vcc
	s_cbranch_execz .LBB98_5
; %bb.4:
	s_load_dwordx2 s[18:19], s[0:1], 0x18
	s_waitcnt lgkmcnt(0)
	s_mul_i32 s20, s28, s12
	s_ashr_i32 s21, s20, 31
	s_lshl_b64 s[20:21], s[20:21], 1
	v_lshlrev_b32_e32 v1, 2, v0
	s_add_u32 s12, s18, s20
	s_addc_u32 s15, s19, s21
	s_ashr_i32 s25, s24, 31
	s_lshl_b64 s[18:19], s[24:25], 1
	s_add_u32 s18, s12, s18
	s_addc_u32 s19, s15, s19
	global_load_dword v1, v1, s[18:19]
	v_and_b32_e32 v2, 0x3fc, v0
	v_lshl_add_u32 v2, v4, 7, v2
	s_waitcnt vmcnt(0)
	ds_write_b32 v2, v1
.LBB98_5:
	s_or_b64 exec, exec, s[6:7]
	s_mul_i32 s7, s10, s8
	s_sub_i32 s7, s9, s7
	s_xor_b32 s6, s16, s11
	s_add_i32 s9, s10, 1
	s_sub_i32 s11, s7, s8
	s_load_dwordx4 s[16:19], s[0:1], 0x78
	s_cmp_ge_u32 s7, s8
	s_cselect_b32 s9, s9, s10
	s_cselect_b32 s7, s11, s7
	s_load_dword s11, s[0:1], 0x88
	s_add_i32 s10, s9, 1
	s_cmp_ge_u32 s7, s8
	s_cselect_b32 s7, s10, s9
	s_waitcnt lgkmcnt(0)
	s_abs_i32 s33, s19
	v_cvt_f32_u32_e32 v1, s33
	s_xor_b32 s7, s7, s6
	s_sub_i32 s10, s7, s6
	s_sub_i32 s6, 0, s33
	v_rcp_iflag_f32_e32 v1, v1
	s_add_i32 s12, s29, -1
	s_abs_i32 s8, s12
	v_mul_f32_e32 v1, 0x4f7ffffe, v1
	v_cvt_u32_f32_e32 v1, v1
	s_barrier
	v_readfirstlane_b32 s46, v1
	s_mul_i32 s6, s6, s46
	s_mul_hi_u32 s6, s46, s6
	s_add_i32 s46, s46, s6
	s_cmp_lt_i32 s11, 0
	s_mul_hi_u32 s9, s8, s46
	s_cbranch_scc0 .LBB98_7
; %bb.6:
	s_mul_i32 s6, s16, s38
	s_add_i32 s6, s10, s6
	s_mul_i32 s6, s6, s11
	s_sub_i32 s47, 1, s6
	s_mov_b64 s[6:7], 0
	s_branch .LBB98_8
.LBB98_7:
	s_mov_b64 s[6:7], -1
                                        ; implicit-def: $sgpr47
.LBB98_8:
	s_load_dwordx2 s[30:31], s[0:1], 0x38
	s_ashr_i32 s12, s12, 31
	s_andn2_b64 vcc, exec, s[6:7]
	s_ashr_i32 s48, s19, 31
	s_cbranch_vccnz .LBB98_10
; %bb.9:
	s_mul_i32 s6, s5, s16
	s_add_i32 s6, s6, s2
	s_mul_i32 s6, s6, s11
	s_add_i32 s47, s6, 1
.LBB98_10:
	s_load_dword s6, s[0:1], 0x48
	s_load_dwordx2 s[36:37], s[0:1], 0x28
	s_load_dword s25, s[0:1], 0x98
	s_load_dwordx4 s[20:23], s[0:1], 0x0
	s_load_dwordx2 s[26:27], s[0:1], 0x10
	s_mul_i32 s7, s9, s33
	s_waitcnt lgkmcnt(0)
	s_mul_i32 s34, s28, s6
	s_sub_i32 s7, s8, s7
	s_ashr_i32 s35, s34, 31
	s_xor_b32 s6, s12, s48
	s_add_i32 s8, s9, 1
	s_sub_i32 s11, s7, s33
	s_cmp_ge_u32 s7, s33
	s_cselect_b32 s8, s8, s9
	s_cselect_b32 s7, s11, s7
	s_add_i32 s9, s8, 1
	s_cmp_ge_u32 s7, s33
	s_cselect_b32 s7, s9, s8
	s_xor_b32 s7, s7, s6
	s_sub_i32 s19, s7, s6
	s_add_i32 s6, s29, 15
	s_ashr_i32 s7, s6, 31
	s_lshr_b32 s7, s7, 28
	s_add_i32 s6, s6, s7
	s_lshl_b32 s12, s4, 5
	s_ashr_i32 s16, s6, 4
	s_add_i32 s6, s12, 32
	v_lshrrev_b32_e32 v10, 6, v0
	s_min_i32 s49, s6, s16
	v_or_b32_e32 v14, s12, v10
	v_cmp_gt_i32_e64 s[8:9], s49, v14
	v_mov_b32_e32 v9, 0xff7fffff
	s_mul_i32 s14, s10, s14
	v_ashrrev_i32_e32 v15, 31, v14
	v_lshl_add_u32 v1, v10, 4, s50
	v_mbcnt_lo_u32_b32 v6, -1, 0
	s_and_saveexec_b64 s[40:41], s[8:9]
	s_cbranch_execz .LBB98_20
; %bb.11:
	s_load_dwordx2 s[0:1], s[0:1], 0x20
	s_ashr_i32 s15, s14, 31
	s_sub_i32 s38, s19, s17
	s_lshl_b64 s[6:7], s[14:15], 1
	v_bfe_u32 v7, v0, 2, 4
	s_waitcnt lgkmcnt(0)
	s_add_u32 s0, s0, s6
	s_addc_u32 s1, s1, s7
	s_abs_i32 s15, s18
	v_cvt_f32_u32_e32 v5, s15
	v_lshlrev_b32_e32 v2, 4, v7
	v_mov_b32_e32 v3, 0
	v_lshl_add_u64 v[8:9], s[0:1], 0, v[2:3]
	v_rcp_iflag_f32_e32 v5, v5
	v_lshlrev_b32_e32 v2, 2, v0
	v_and_b32_e32 v2, 12, v2
	v_lshl_add_u64 v[2:3], v[8:9], 0, v[2:3]
	v_mul_f32_e32 v5, 0x4f7ffffe, v5
	v_cvt_u32_f32_e32 v5, v5
	s_sub_i32 s0, 0, s15
	v_lshlrev_b32_e32 v9, 2, v7
	v_cmp_eq_u32_e32 vcc, 0, v4
	v_lshlrev_b32_e32 v8, 7, v4
	v_mul_lo_u32 v4, s0, v5
	s_lshl_b64 s[0:1], s[34:35], 2
	v_lshl_or_b32 v9, v10, 6, v9
	s_add_u32 s0, s30, s0
	v_add_u32_e32 v13, 0x210, v9
	v_subrev_u32_e32 v9, s29, v7
	v_mbcnt_hi_u32_b32 v18, -1, v6
	v_mul_hi_u32 v4, v5, v4
	s_addc_u32 s1, s31, s1
	v_add_u32_e32 v16, 1, v9
	v_and_b32_e32 v9, 64, v18
	s_mov_b32 s51, s13
	v_cmp_neq_f32_e64 s[6:7], s3, 0
	v_add_u32_e32 v11, v5, v4
	v_lshl_add_u64 v[4:5], v[14:15], 2, s[0:1]
	v_lshl_add_u32 v12, v10, 4, s50
	s_mov_b64 s[42:43], 0
	v_mov_b32_e32 v17, 0xff7fffff
	s_movk_i32 s52, 0x1000
	v_add_u32_e32 v19, 64, v9
	v_xor_b32_e32 v20, 2, v18
	v_xor_b32_e32 v21, 1, v18
	v_mov_b32_e32 v9, 0xff7fffff
	v_mov_b32_e32 v22, v14
	s_branch .LBB98_14
.LBB98_12:                              ;   in Loop: Header=BB98_14 Depth=1
	s_or_b64 exec, exec, s[44:45]
.LBB98_13:                              ;   in Loop: Header=BB98_14 Depth=1
	s_or_b64 exec, exec, s[10:11]
	v_add_u32_e32 v22, 2, v22
	v_cmp_le_i32_e64 s[0:1], s49, v22
	v_lshl_add_u64 v[4:5], v[4:5], 0, 8
	v_add_u32_e32 v12, 32, v12
	s_or_b64 s[42:43], s[0:1], s[42:43]
	v_add_u32_e32 v13, 0x80, v13
	s_andn2_b64 exec, exec, s[42:43]
	s_cbranch_execz .LBB98_19
.LBB98_14:                              ; =>This Inner Loop Header: Depth=1
	s_waitcnt lgkmcnt(0)
	v_sub_u32_e32 v24, 0, v12
	v_max_i32_e32 v24, v12, v24
	v_mul_hi_u32 v25, v24, s46
	v_mul_lo_u32 v26, v25, s33
	v_sub_u32_e32 v24, v24, v26
	v_add_u32_e32 v26, 1, v25
	v_cmp_le_u32_e64 s[0:1], s33, v24
	v_ashrrev_i32_e32 v23, 31, v12
	v_xor_b32_e32 v23, s48, v23
	v_cndmask_b32_e64 v25, v25, v26, s[0:1]
	v_subrev_u32_e32 v26, s33, v24
	v_cndmask_b32_e64 v24, v24, v26, s[0:1]
	v_add_u32_e32 v26, 1, v25
	v_cmp_le_u32_e64 s[0:1], s33, v24
	s_nop 1
	v_cndmask_b32_e64 v24, v25, v26, s[0:1]
	v_xor_b32_e32 v24, v24, v23
	v_sub_u32_e32 v23, v24, v23
	v_add_u32_e32 v24, s47, v23
	v_sub_u32_e32 v26, 0, v24
	v_ashrrev_i32_e32 v25, 31, v24
	v_max_i32_e32 v24, v24, v26
	v_mul_hi_u32 v26, v24, v11
	v_mul_lo_u32 v26, v26, s15
	v_sub_u32_e32 v24, v24, v26
	v_subrev_u32_e32 v26, s15, v24
	v_cmp_le_u32_e64 s[0:1], s15, v24
	v_cmp_ge_i32_e64 s[10:11], s38, v23
	s_nop 0
	v_cndmask_b32_e64 v24, v24, v26, s[0:1]
	v_subrev_u32_e32 v26, s15, v24
	v_cmp_le_u32_e64 s[0:1], s15, v24
	s_nop 1
	v_cndmask_b32_e64 v24, v24, v26, s[0:1]
	v_xor_b32_e32 v24, v24, v25
	v_sub_u32_e32 v24, v24, v25
	v_cmp_ne_u32_e64 s[0:1], 0, v24
	s_and_b64 s[0:1], s[0:1], s[10:11]
	s_and_b64 s[44:45], vcc, s[0:1]
	s_and_saveexec_b64 s[10:11], s[44:45]
	s_cbranch_execz .LBB98_16
; %bb.15:                               ;   in Loop: Header=BB98_14 Depth=1
	ds_write_b32 v13, v17
.LBB98_16:                              ;   in Loop: Header=BB98_14 Depth=1
	s_or_b64 exec, exec, s[10:11]
	s_xor_b64 s[0:1], s[0:1], -1
	s_and_saveexec_b64 s[10:11], s[0:1]
	s_cbranch_execz .LBB98_13
; %bb.17:                               ;   in Loop: Header=BB98_14 Depth=1
	global_load_dword v23, v[4:5], off
	s_waitcnt vmcnt(0)
	v_mad_i64_i32 v[24:25], s[0:1], v23, s51, 0
	v_lshl_add_u64 v[24:25], v[24:25], 1, v[2:3]
	global_load_dword v41, v[24:25], off
	global_load_dword v42, v[24:25], off offset:256
	global_load_dword v43, v[24:25], off offset:512
	;; [unrolled: 1-line block ×4, first 2 shown]
	ds_read_b32 v23, v8
	global_load_dword v48, v[24:25], off offset:1280
	global_load_dword v49, v[24:25], off offset:1536
	;; [unrolled: 1-line block ×11, first 2 shown]
	v_add_co_u32_e64 v38, s[0:1], s52, v24
	s_waitcnt lgkmcnt(0)
	v_lshrrev_b32_e32 v46, 16, v23
	v_addc_co_u32_e64 v39, s[0:1], 0, v25, s[0:1]
	v_and_b32_e32 v47, 0xffff, v23
	global_load_dword v58, v[38:39], off
	global_load_dword v51, v[38:39], off offset:256
	global_load_dword v40, v[38:39], off offset:512
	;; [unrolled: 1-line block ×15, first 2 shown]
	;;#ASMSTART
	v_cvt_f32_f16 v60, v47;
	;;#ASMEND
	;;#ASMSTART
	v_cvt_f32_f16 v68, v46;
	;;#ASMEND
	v_cmp_lt_i32_e64 s[0:1], v20, v19
	s_waitcnt vmcnt(23)
	v_lshrrev_b32_e32 v83, 16, v52
	v_lshrrev_b32_e32 v38, 16, v41
	v_and_b32_e32 v39, 0xffff, v41
	;;#ASMSTART
	v_cvt_f32_f16 v63, v39;
	;;#ASMEND
	;;#ASMSTART
	v_cvt_f32_f16 v69, v38;
	;;#ASMEND
	ds_read_b32 v38, v8 offset:4
	v_lshrrev_b32_e32 v39, 16, v42
	v_and_b32_e32 v41, 0xffff, v42
	s_waitcnt vmcnt(22)
	v_lshrrev_b32_e32 v84, 16, v53
	v_and_b32_e32 v85, 0xffff, v53
	s_waitcnt lgkmcnt(0)
	v_lshrrev_b32_e32 v42, 16, v38
	v_and_b32_e32 v38, 0xffff, v38
	;;#ASMSTART
	v_cvt_f32_f16 v64, v38;
	;;#ASMEND
	;;#ASMSTART
	v_cvt_f32_f16 v71, v42;
	;;#ASMEND
	;; [unrolled: 3-line block ×4, first 2 shown]
	ds_read_b32 v38, v8 offset:8
	v_lshrrev_b32_e32 v39, 16, v43
	v_and_b32_e32 v41, 0xffff, v43
	s_waitcnt vmcnt(21)
	v_lshrrev_b32_e32 v86, 16, v54
	v_and_b32_e32 v87, 0xffff, v54
	s_waitcnt lgkmcnt(0)
	v_lshrrev_b32_e32 v42, 16, v38
	v_and_b32_e32 v38, 0xffff, v38
	;;#ASMSTART
	v_cvt_f32_f16 v78, v38;
	;;#ASMEND
	;;#ASMSTART
	v_cvt_f32_f16 v79, v42;
	;;#ASMEND
	;; [unrolled: 3-line block ×4, first 2 shown]
	ds_read_b32 v38, v8 offset:12
	v_lshrrev_b32_e32 v39, 16, v44
	v_and_b32_e32 v41, 0xffff, v44
	s_waitcnt vmcnt(20)
	v_and_b32_e32 v88, 0xffff, v55
	s_waitcnt vmcnt(19)
	v_lshrrev_b32_e32 v89, 16, v61
	s_waitcnt lgkmcnt(0)
	v_lshrrev_b32_e32 v42, 16, v38
	v_and_b32_e32 v38, 0xffff, v38
	;;#ASMSTART
	v_cvt_f32_f16 v76, v38;
	;;#ASMEND
	;;#ASMSTART
	v_cvt_f32_f16 v74, v42;
	;;#ASMEND
	;; [unrolled: 3-line block ×4, first 2 shown]
	ds_read_b32 v38, v8 offset:16
	v_lshrrev_b32_e32 v39, 16, v45
	v_and_b32_e32 v41, 0xffff, v45
	v_and_b32_e32 v90, 0xffff, v61
	s_waitcnt lgkmcnt(0)
	v_lshrrev_b32_e32 v42, 16, v38
	v_and_b32_e32 v38, 0xffff, v38
	;;#ASMSTART
	v_cvt_f32_f16 v70, v38;
	;;#ASMEND
	;;#ASMSTART
	v_cvt_f32_f16 v59, v42;
	;;#ASMEND
	;; [unrolled: 3-line block ×4, first 2 shown]
	ds_read_b32 v38, v8 offset:20
	v_lshrrev_b32_e32 v39, 16, v48
	v_and_b32_e32 v41, 0xffff, v48
	s_waitcnt lgkmcnt(0)
	v_lshrrev_b32_e32 v42, 16, v38
	v_and_b32_e32 v38, 0xffff, v38
	;;#ASMSTART
	v_cvt_f32_f16 v65, v38;
	;;#ASMEND
	;;#ASMSTART
	v_cvt_f32_f16 v56, v42;
	;;#ASMEND
	;;#ASMSTART
	v_cvt_f32_f16 v66, v41;
	;;#ASMEND
	;;#ASMSTART
	v_cvt_f32_f16 v57, v39;
	;;#ASMEND
	ds_read_b32 v38, v8 offset:24
	v_lshrrev_b32_e32 v39, 16, v49
	v_and_b32_e32 v41, 0xffff, v49
	s_waitcnt lgkmcnt(0)
	v_lshrrev_b32_e32 v42, 16, v38
	v_and_b32_e32 v38, 0xffff, v38
	;;#ASMSTART
	v_cvt_f32_f16 v45, v38;
	;;#ASMEND
	;;#ASMSTART
	v_cvt_f32_f16 v46, v42;
	;;#ASMEND
	;; [unrolled: 3-line block ×4, first 2 shown]
	ds_read_b32 v38, v8 offset:28
	v_and_b32_e32 v42, 0xffff, v50
	v_lshrrev_b32_e32 v39, 16, v50
	v_and_b32_e32 v50, 0xffff, v52
	s_waitcnt lgkmcnt(0)
	v_lshrrev_b32_e32 v41, 16, v38
	v_and_b32_e32 v38, 0xffff, v38
	;;#ASMSTART
	v_cvt_f32_f16 v43, v38;
	;;#ASMEND
	;;#ASMSTART
	v_cvt_f32_f16 v41, v41;
	;;#ASMEND
	;; [unrolled: 3-line block ×4, first 2 shown]
	ds_read_b32 v38, v8 offset:32
	s_waitcnt lgkmcnt(0)
	v_lshrrev_b32_e32 v39, 16, v38
	v_and_b32_e32 v38, 0xffff, v38
	;;#ASMSTART
	v_cvt_f32_f16 v47, v38;
	;;#ASMEND
	;;#ASMSTART
	v_cvt_f32_f16 v38, v39;
	;;#ASMEND
	;; [unrolled: 3-line block ×4, first 2 shown]
	ds_read_b32 v52, v8 offset:36
	v_lshrrev_b32_e32 v83, 16, v55
	s_waitcnt lgkmcnt(0)
	v_lshrrev_b32_e32 v53, 16, v52
	v_and_b32_e32 v52, 0xffff, v52
	;;#ASMSTART
	v_cvt_f32_f16 v52, v52;
	;;#ASMEND
	;;#ASMSTART
	v_cvt_f32_f16 v53, v53;
	;;#ASMEND
	;; [unrolled: 3-line block ×4, first 2 shown]
	ds_read_b32 v61, v8 offset:40
	s_waitcnt vmcnt(18)
	v_lshrrev_b32_e32 v84, 16, v33
	v_and_b32_e32 v85, 0xffff, v33
	v_mul_f32_e32 v33, v64, v82
	v_fmac_f32_e32 v33, v60, v63
	s_waitcnt lgkmcnt(0)
	v_lshrrev_b32_e32 v63, 16, v61
	v_and_b32_e32 v60, 0xffff, v61
	;;#ASMSTART
	v_cvt_f32_f16 v60, v60;
	;;#ASMEND
	;;#ASMSTART
	v_cvt_f32_f16 v61, v63;
	;;#ASMEND
	;; [unrolled: 3-line block ×4, first 2 shown]
	ds_read_b32 v82, v8 offset:44
	s_waitcnt vmcnt(17)
	v_lshrrev_b32_e32 v86, 16, v35
	v_and_b32_e32 v87, 0xffff, v35
	v_mul_f32_e32 v35, v71, v72
	v_fmac_f32_e32 v35, v68, v69
	s_waitcnt lgkmcnt(0)
	v_lshrrev_b32_e32 v69, 16, v82
	v_and_b32_e32 v68, 0xffff, v82
	;;#ASMSTART
	v_cvt_f32_f16 v68, v68;
	;;#ASMEND
	;;#ASMSTART
	v_cvt_f32_f16 v69, v69;
	;;#ASMEND
	;;#ASMSTART
	v_cvt_f32_f16 v71, v88;
	;;#ASMEND
	;;#ASMSTART
	v_cvt_f32_f16 v72, v83;
	;;#ASMEND
	ds_read_b32 v82, v8 offset:48
	s_waitcnt vmcnt(16)
	v_lshrrev_b32_e32 v83, 16, v67
	v_and_b32_e32 v88, 0xffff, v67
	v_fmac_f32_e32 v33, v78, v80
	v_fmac_f32_e32 v35, v79, v81
	s_waitcnt lgkmcnt(0)
	v_lshrrev_b32_e32 v78, 16, v82
	v_and_b32_e32 v67, 0xffff, v82
	;;#ASMSTART
	v_cvt_f32_f16 v67, v67;
	;;#ASMEND
	;;#ASMSTART
	v_cvt_f32_f16 v78, v78;
	;;#ASMEND
	;; [unrolled: 3-line block ×4, first 2 shown]
	ds_read_b32 v81, v8 offset:52
	s_waitcnt vmcnt(15)
	v_lshrrev_b32_e32 v82, 16, v58
	v_and_b32_e32 v89, 0xffff, v58
	v_fmac_f32_e32 v33, v76, v77
	v_fmac_f32_e32 v33, v70, v73
	s_waitcnt lgkmcnt(0)
	v_lshrrev_b32_e32 v76, 16, v81
	v_and_b32_e32 v58, 0xffff, v81
	;;#ASMSTART
	v_cvt_f32_f16 v58, v58;
	;;#ASMEND
	;;#ASMSTART
	v_cvt_f32_f16 v76, v76;
	;;#ASMEND
	;; [unrolled: 3-line block ×4, first 2 shown]
	ds_read_b32 v84, v8 offset:56
	v_fmac_f32_e32 v35, v74, v75
	v_fmac_f32_e32 v35, v59, v62
	;; [unrolled: 1-line block ×4, first 2 shown]
	s_waitcnt lgkmcnt(0)
	v_lshrrev_b32_e32 v70, 16, v84
	v_and_b32_e32 v73, 0xffff, v84
	;;#ASMSTART
	v_cvt_f32_f16 v73, v73;
	;;#ASMEND
	;;#ASMSTART
	v_cvt_f32_f16 v70, v70;
	;;#ASMEND
	;; [unrolled: 3-line block ×4, first 2 shown]
	ds_read_b32 v85, v8 offset:60
	s_waitcnt vmcnt(14)
	v_lshrrev_b32_e32 v90, 16, v51
	v_and_b32_e32 v51, 0xffff, v51
	v_fmac_f32_e32 v33, v45, v48
	v_fmac_f32_e32 v35, v46, v49
	s_waitcnt lgkmcnt(0)
	v_lshrrev_b32_e32 v59, 16, v85
	v_and_b32_e32 v62, 0xffff, v85
	;;#ASMSTART
	v_cvt_f32_f16 v62, v62;
	;;#ASMEND
	;;#ASMSTART
	v_cvt_f32_f16 v59, v59;
	;;#ASMEND
	;; [unrolled: 3-line block ×4, first 2 shown]
	ds_read_b32 v87, v8 offset:64
	s_waitcnt vmcnt(13)
	v_lshrrev_b32_e32 v74, 16, v40
	v_and_b32_e32 v40, 0xffff, v40
	v_fmac_f32_e32 v33, v43, v44
	s_waitcnt vmcnt(12)
	v_lshrrev_b32_e32 v86, 16, v37
	s_waitcnt lgkmcnt(0)
	v_lshrrev_b32_e32 v56, 16, v87
	v_and_b32_e32 v57, 0xffff, v87
	;;#ASMSTART
	v_cvt_f32_f16 v57, v57;
	;;#ASMEND
	;;#ASMSTART
	v_cvt_f32_f16 v56, v56;
	;;#ASMEND
	;; [unrolled: 3-line block ×4, first 2 shown]
	ds_read_b32 v87, v8 offset:68
	v_and_b32_e32 v37, 0xffff, v37
	v_fmac_f32_e32 v35, v41, v42
	v_fmac_f32_e32 v33, v47, v50
	s_waitcnt vmcnt(11)
	v_lshrrev_b32_e32 v65, 16, v36
	s_waitcnt lgkmcnt(0)
	v_lshrrev_b32_e32 v45, 16, v87
	v_and_b32_e32 v46, 0xffff, v87
	;;#ASMSTART
	v_cvt_f32_f16 v46, v46;
	;;#ASMEND
	;;#ASMSTART
	v_cvt_f32_f16 v45, v45;
	;;#ASMEND
	;;#ASMSTART
	v_cvt_f32_f16 v48, v51;
	;;#ASMEND
	;;#ASMSTART
	v_cvt_f32_f16 v49, v90;
	;;#ASMEND
	ds_read_b32 v51, v8 offset:72
	v_and_b32_e32 v36, 0xffff, v36
	v_fmac_f32_e32 v35, v38, v39
	s_waitcnt vmcnt(10)
	v_lshrrev_b32_e32 v88, 16, v34
	v_and_b32_e32 v34, 0xffff, v34
	s_waitcnt lgkmcnt(0)
	v_lshrrev_b32_e32 v43, 16, v51
	v_and_b32_e32 v44, 0xffff, v51
	;;#ASMSTART
	v_cvt_f32_f16 v44, v44;
	;;#ASMEND
	;;#ASMSTART
	v_cvt_f32_f16 v43, v43;
	;;#ASMEND
	;; [unrolled: 3-line block ×4, first 2 shown]
	ds_read_b32 v74, v8 offset:76
	v_fmac_f32_e32 v33, v52, v54
	v_fmac_f32_e32 v35, v53, v55
	s_waitcnt vmcnt(9)
	v_lshrrev_b32_e32 v87, 16, v32
	v_and_b32_e32 v32, 0xffff, v32
	s_waitcnt lgkmcnt(0)
	v_lshrrev_b32_e32 v42, 16, v74
	v_and_b32_e32 v47, 0xffff, v74
	;;#ASMSTART
	v_cvt_f32_f16 v47, v47;
	;;#ASMEND
	;;#ASMSTART
	v_cvt_f32_f16 v42, v42;
	;;#ASMEND
	;; [unrolled: 3-line block ×4, first 2 shown]
	ds_read_b32 v74, v8 offset:80
	v_fmac_f32_e32 v33, v60, v63
	v_fmac_f32_e32 v35, v61, v64
	;; [unrolled: 1-line block ×4, first 2 shown]
	s_waitcnt lgkmcnt(0)
	v_lshrrev_b32_e32 v38, 16, v74
	v_and_b32_e32 v39, 0xffff, v74
	;;#ASMSTART
	v_cvt_f32_f16 v39, v39;
	;;#ASMEND
	;;#ASMSTART
	v_cvt_f32_f16 v38, v38;
	;;#ASMEND
	;; [unrolled: 3-line block ×4, first 2 shown]
	ds_read_b32 v74, v8 offset:84
	s_waitcnt vmcnt(8)
	v_lshrrev_b32_e32 v89, 16, v31
	v_and_b32_e32 v31, 0xffff, v31
	v_fmac_f32_e32 v33, v58, v77
	v_fmac_f32_e32 v35, v69, v72
	s_waitcnt lgkmcnt(0)
	v_lshrrev_b32_e32 v52, 16, v74
	v_and_b32_e32 v53, 0xffff, v74
	;;#ASMSTART
	v_cvt_f32_f16 v53, v53;
	;;#ASMEND
	;;#ASMSTART
	v_cvt_f32_f16 v52, v52;
	;;#ASMEND
	;;#ASMSTART
	v_cvt_f32_f16 v34, v34;
	;;#ASMEND
	;;#ASMSTART
	v_cvt_f32_f16 v54, v88;
	;;#ASMEND
	ds_read_b32 v55, v8 offset:88
	v_fmac_f32_e32 v35, v78, v80
	v_fmac_f32_e32 v35, v76, v81
	;; [unrolled: 1-line block ×4, first 2 shown]
	s_waitcnt lgkmcnt(0)
	v_lshrrev_b32_e32 v60, 16, v55
	v_and_b32_e32 v55, 0xffff, v55
	;;#ASMSTART
	v_cvt_f32_f16 v55, v55;
	;;#ASMEND
	;;#ASMSTART
	v_cvt_f32_f16 v60, v60;
	;;#ASMEND
	;; [unrolled: 3-line block ×4, first 2 shown]
	ds_read_b32 v63, v8 offset:92
	v_fmac_f32_e32 v33, v62, v85
	v_fmac_f32_e32 v35, v59, v83
	s_waitcnt vmcnt(7)
	v_lshrrev_b32_e32 v41, 16, v30
	v_and_b32_e32 v30, 0xffff, v30
	s_waitcnt lgkmcnt(0)
	v_lshrrev_b32_e32 v58, 16, v63
	v_and_b32_e32 v63, 0xffff, v63
	;;#ASMSTART
	v_cvt_f32_f16 v63, v63;
	;;#ASMEND
	;;#ASMSTART
	v_cvt_f32_f16 v58, v58;
	;;#ASMEND
	;; [unrolled: 3-line block ×4, first 2 shown]
	ds_read_b32 v67, v8 offset:96
	v_fmac_f32_e32 v33, v57, v66
	v_fmac_f32_e32 v35, v56, v82
	;; [unrolled: 1-line block ×4, first 2 shown]
	s_waitcnt lgkmcnt(0)
	v_lshrrev_b32_e32 v56, 16, v67
	v_and_b32_e32 v57, 0xffff, v67
	;;#ASMSTART
	v_cvt_f32_f16 v57, v57;
	;;#ASMEND
	;;#ASMSTART
	v_cvt_f32_f16 v56, v56;
	;;#ASMEND
	;; [unrolled: 3-line block ×4, first 2 shown]
	ds_read_b32 v59, v8 offset:100
	s_waitcnt vmcnt(6)
	v_lshrrev_b32_e32 v86, 16, v29
	v_and_b32_e32 v29, 0xffff, v29
	v_fmac_f32_e32 v33, v44, v40
	v_fmac_f32_e32 v35, v43, v51
	s_waitcnt lgkmcnt(0)
	v_lshrrev_b32_e32 v40, 16, v59
	v_and_b32_e32 v43, 0xffff, v59
	;;#ASMSTART
	v_cvt_f32_f16 v43, v43;
	;;#ASMEND
	;;#ASMSTART
	v_cvt_f32_f16 v40, v40;
	;;#ASMEND
	;;#ASMSTART
	v_cvt_f32_f16 v29, v29;
	;;#ASMEND
	;;#ASMSTART
	v_cvt_f32_f16 v44, v86;
	;;#ASMEND
	ds_read_b32 v45, v8 offset:104
	v_fmac_f32_e32 v33, v47, v37
	v_fmac_f32_e32 v35, v42, v50
	v_fmac_f32_e32 v33, v39, v36
	v_fmac_f32_e32 v35, v38, v65
	s_waitcnt lgkmcnt(0)
	v_lshrrev_b32_e32 v36, 16, v45
	v_and_b32_e32 v37, 0xffff, v45
	s_waitcnt vmcnt(5)
	v_lshrrev_b32_e32 v38, 16, v28
	v_and_b32_e32 v28, 0xffff, v28
	;;#ASMSTART
	v_cvt_f32_f16 v37, v37;
	;;#ASMEND
	;;#ASMSTART
	v_cvt_f32_f16 v36, v36;
	;;#ASMEND
	;;#ASMSTART
	v_cvt_f32_f16 v28, v28;
	;;#ASMEND
	;;#ASMSTART
	v_cvt_f32_f16 v38, v38;
	;;#ASMEND
	ds_read_b32 v39, v8 offset:108
	v_fmac_f32_e32 v33, v53, v34
	v_fmac_f32_e32 v33, v55, v32
	v_fmac_f32_e32 v35, v52, v54
	v_fmac_f32_e32 v35, v60, v61
	s_waitcnt lgkmcnt(0)
	v_lshrrev_b32_e32 v32, 16, v39
	v_and_b32_e32 v34, 0xffff, v39
	s_waitcnt vmcnt(4)
	;; [unrolled: 23-line block ×5, first 2 shown]
	v_lshrrev_b32_e32 v30, 16, v24
	v_and_b32_e32 v24, 0xffff, v24
	;;#ASMSTART
	v_cvt_f32_f16 v27, v27;
	;;#ASMEND
	;;#ASMSTART
	v_cvt_f32_f16 v26, v26;
	;;#ASMEND
	;; [unrolled: 3-line block ×4, first 2 shown]
	ds_read_b32 v31, v8 offset:124
	v_fmac_f32_e32 v33, v29, v25
	v_fmac_f32_e32 v35, v28, v36
	;; [unrolled: 1-line block ×4, first 2 shown]
	s_waitcnt lgkmcnt(0)
	v_lshrrev_b32_e32 v24, 16, v31
	v_and_b32_e32 v25, 0xffff, v31
	;;#ASMSTART
	v_cvt_f32_f16 v25, v25;
	;;#ASMEND
	;;#ASMSTART
	v_cvt_f32_f16 v24, v24;
	;;#ASMEND
	s_waitcnt vmcnt(0)
	v_lshrrev_b32_e32 v26, 16, v23
	v_and_b32_e32 v23, 0xffff, v23
	;;#ASMSTART
	v_cvt_f32_f16 v23, v23;
	;;#ASMEND
	;;#ASMSTART
	v_cvt_f32_f16 v26, v26;
	;;#ASMEND
	s_nop 0
	v_fmac_f32_e32 v33, v25, v23
	v_fmac_f32_e32 v35, v24, v26
	v_cndmask_b32_e64 v24, v18, v20, s[0:1]
	v_add_f32_e32 v23, v33, v35
	v_lshlrev_b32_e32 v24, 2, v24
	ds_bpermute_b32 v24, v24, v23
	v_cmp_lt_i32_e64 s[0:1], v21, v19
	s_waitcnt lgkmcnt(0)
	v_add_f32_e32 v23, v23, v24
	v_cndmask_b32_e64 v24, v18, v21, s[0:1]
	v_lshlrev_b32_e32 v24, 2, v24
	ds_bpermute_b32 v24, v24, v23
	s_and_saveexec_b64 s[44:45], vcc
	s_cbranch_execz .LBB98_12
; %bb.18:                               ;   in Loop: Header=BB98_14 Depth=1
	v_add_u32_e32 v25, v16, v12
	v_cvt_f32_i32_e32 v25, v25
	s_waitcnt lgkmcnt(0)
	v_add_f32_e32 v23, v23, v24
	v_add_u32_e32 v26, v7, v12
	v_cmp_gt_i32_e64 s[0:1], s29, v26
	v_mul_f32_e32 v24, s3, v25
	v_cndmask_b32_e64 v24, 0, v24, s[6:7]
	v_fmac_f32_e32 v24, s39, v23
	v_cndmask_b32_e64 v23, 0, v24, s[0:1]
	ds_write_b32 v13, v23
	v_max_f32_e32 v23, v9, v9
	v_max_f32_e32 v23, v23, v24
	v_cndmask_b32_e64 v9, v9, v23, s[0:1]
	s_branch .LBB98_12
.LBB98_19:
	s_or_b64 exec, exec, s[42:43]
.LBB98_20:
	s_or_b64 exec, exec, s[40:41]
	v_mbcnt_hi_u32_b32 v2, -1, v6
	v_and_b32_e32 v3, 64, v2
	v_add_u32_e32 v3, 64, v3
	v_xor_b32_e32 v4, 32, v2
	v_cmp_lt_i32_e32 vcc, v4, v3
	v_xor_b32_e32 v7, 16, v2
	v_max_f32_e32 v6, v9, v9
	v_cndmask_b32_e32 v4, v2, v4, vcc
	v_lshlrev_b32_e32 v5, 2, v4
	ds_bpermute_b32 v4, v5, v9
	v_cmp_lt_i32_e32 vcc, v7, v3
	v_xor_b32_e32 v8, 8, v2
	v_and_b32_e32 v32, 63, v0
	s_waitcnt lgkmcnt(0)
	v_max_f32_e32 v4, v4, v4
	v_max_f32_e32 v4, v6, v4
	v_cndmask_b32_e32 v6, v2, v7, vcc
	v_lshlrev_b32_e32 v6, 2, v6
	ds_bpermute_b32 v7, v6, v4
	v_cmp_lt_i32_e32 vcc, v8, v3
	s_waitcnt lgkmcnt(0)
	v_max_f32_e32 v7, v7, v7
	v_max_f32_e32 v4, v4, v7
	v_cndmask_b32_e32 v7, v2, v8, vcc
	v_lshlrev_b32_e32 v9, 2, v7
	ds_bpermute_b32 v7, v9, v4
	v_xor_b32_e32 v8, 4, v2
	v_cmp_lt_i32_e32 vcc, v8, v3
	s_waitcnt lgkmcnt(0)
	v_max_f32_e32 v7, v7, v7
	v_max_f32_e32 v4, v4, v7
	v_cndmask_b32_e32 v7, v2, v8, vcc
	v_lshlrev_b32_e32 v11, 2, v7
	ds_bpermute_b32 v8, v11, v4
	v_cmp_eq_u32_e32 vcc, 0, v32
	v_lshlrev_b32_e32 v7, 2, v10
	s_and_saveexec_b64 s[0:1], vcc
	s_cbranch_execz .LBB98_22
; %bb.21:
	s_waitcnt lgkmcnt(0)
	v_max_f32_e32 v8, v8, v8
	v_max_f32_e32 v4, v4, v4
	v_max_f32_e32 v4, v4, v8
	ds_write_b32 v7, v4 offset:512
.LBB98_22:
	s_or_b64 exec, exec, s[0:1]
	v_cmp_gt_u32_e64 s[0:1], 2, v32
	v_mov_b32_e32 v4, 0xff7fffff
	s_waitcnt lgkmcnt(0)
	v_lshlrev_b32_e32 v8, 2, v32
	s_barrier
	s_and_saveexec_b64 s[6:7], s[0:1]
	s_cbranch_execz .LBB98_24
; %bb.23:
	ds_read_b32 v4, v8 offset:512
.LBB98_24:
	s_or_b64 exec, exec, s[6:7]
	v_xor_b32_e32 v12, 1, v2
	v_cmp_lt_i32_e64 s[6:7], v12, v3
	s_sub_i32 s3, s49, s12
	s_lshl_b32 s3, s3, 4
	v_cndmask_b32_e64 v12, v2, v12, s[6:7]
	v_lshlrev_b32_e32 v33, 2, v12
	s_waitcnt lgkmcnt(0)
	ds_bpermute_b32 v12, v33, v4
	v_max_f32_e32 v4, v4, v4
	s_add_i32 s3, s3, s50
	s_min_i32 s12, s3, s29
	s_sub_i32 s3, s12, s50
	s_waitcnt lgkmcnt(0)
	v_max_f32_e32 v12, v12, v12
	v_max_f32_e32 v4, v4, v12
	v_lshlrev_b32_e32 v12, 2, v2
	v_and_b32_e32 v12, 0x100, v12
	ds_bpermute_b32 v4, v12, v4
	v_cmp_gt_i32_e64 s[6:7], s3, v0
	v_mov_b32_e32 v13, 0
	s_and_saveexec_b64 s[38:39], s[6:7]
	s_cbranch_execz .LBB98_28
; %bb.25:
	v_mov_b32_e32 v13, 0x210
	v_lshl_add_u32 v16, v0, 2, v13
	s_mov_b64 s[40:41], 0
	v_mov_b32_e32 v13, 0
	v_mov_b32_e32 v17, v0
.LBB98_26:                              ; =>This Inner Loop Header: Depth=1
	ds_read_b32 v18, v16
	v_add_u32_e32 v17, 0x80, v17
	v_cmp_le_i32_e64 s[10:11], s3, v17
	s_or_b64 s[40:41], s[10:11], s[40:41]
	s_waitcnt lgkmcnt(0)
	v_sub_f32_e32 v18, v18, v4
	v_mul_f32_e32 v18, 0x3fb8aa3b, v18
	v_exp_f32_e32 v18, v18
	ds_write_b32 v16, v18
	v_add_f32_e32 v13, v13, v18
	v_add_u32_e32 v16, 0x200, v16
	s_andn2_b64 exec, exec, s[40:41]
	s_cbranch_execnz .LBB98_26
; %bb.27:
	s_or_b64 exec, exec, s[40:41]
.LBB98_28:
	s_or_b64 exec, exec, s[38:39]
	ds_bpermute_b32 v5, v5, v13
	s_waitcnt lgkmcnt(0)
	v_add_f32_e32 v5, v13, v5
	ds_bpermute_b32 v6, v6, v5
	s_waitcnt lgkmcnt(0)
	v_add_f32_e32 v5, v5, v6
	ds_bpermute_b32 v6, v9, v5
	v_xor_b32_e32 v9, 2, v2
	v_cmp_lt_i32_e64 s[10:11], v9, v3
	s_waitcnt lgkmcnt(0)
	v_add_f32_e32 v5, v5, v6
	ds_bpermute_b32 v6, v11, v5
	v_cndmask_b32_e64 v2, v2, v9, s[10:11]
	v_lshlrev_b32_e32 v2, 2, v2
	s_waitcnt lgkmcnt(0)
	v_add_f32_e32 v3, v5, v6
	ds_bpermute_b32 v2, v2, v3
	s_waitcnt lgkmcnt(0)
	v_add_f32_e32 v2, v3, v2
	ds_bpermute_b32 v3, v33, v2
	s_waitcnt lgkmcnt(0)
	v_add_f32_e32 v2, v2, v3
	s_and_saveexec_b64 s[10:11], vcc
	s_cbranch_execz .LBB98_30
; %bb.29:
	ds_write_b32 v7, v2 offset:520
.LBB98_30:
	s_or_b64 exec, exec, s[10:11]
	s_waitcnt lgkmcnt(0)
	s_barrier
	s_and_saveexec_b64 s[10:11], s[0:1]
	s_cbranch_execz .LBB98_32
; %bb.31:
	ds_read_b32 v2, v8 offset:520
.LBB98_32:
	s_or_b64 exec, exec, s[10:11]
	s_waitcnt lgkmcnt(0)
	ds_bpermute_b32 v3, v33, v2
	s_waitcnt lgkmcnt(0)
	v_add_f32_e32 v2, v2, v3
	ds_bpermute_b32 v5, v12, v2
	s_and_saveexec_b64 s[0:1], s[6:7]
	s_cbranch_execz .LBB98_45
; %bb.33:
	s_waitcnt lgkmcnt(0)
	v_add_f32_e32 v2, 0x358637bd, v5
	v_div_scale_f32 v3, s[6:7], v2, v2, 1.0
	v_rcp_f32_e32 v6, v3
	v_div_scale_f32 v7, vcc, 1.0, v2, 1.0
	s_movk_i32 s6, 0x7f
	v_fma_f32 v8, -v3, v6, 1.0
	v_fmac_f32_e32 v6, v8, v6
	v_mul_f32_e32 v8, v7, v6
	v_fma_f32 v9, -v3, v8, v7
	v_fmac_f32_e32 v8, v9, v6
	v_fma_f32 v3, -v3, v8, v7
	v_div_fmas_f32 v3, v3, v6, v8
	v_div_fixup_f32 v2, v3, v2, 1.0
	v_xad_u32 v3, v0, -1, s12
	v_subrev_u32_e32 v6, s50, v3
	v_cmp_lt_u32_e32 vcc, s6, v6
	s_mov_b64 s[10:11], -1
	v_mov_b32_e32 v3, v0
	s_and_saveexec_b64 s[6:7], vcc
	s_cbranch_execz .LBB98_42
; %bb.34:
	v_lshrrev_b32_e32 v6, 7, v6
	v_add_u32_e32 v8, -1, v6
	v_lshrrev_b32_e32 v7, 1, v8
	v_mov_b32_e32 v3, v2
	v_add_u32_e32 v7, 1, v7
	v_cmp_lt_u32_e32 vcc, 13, v8
	v_mov_b32_e32 v11, 0
	s_and_saveexec_b64 s[10:11], vcc
	s_cbranch_execz .LBB98_38
; %bb.35:
	v_mov_b32_e32 v9, 0x210
	v_and_b32_e32 v8, -8, v7
	v_lshl_add_u32 v9, v0, 2, v9
	s_mov_b32 s12, 0
	s_mov_b64 s[38:39], 0
.LBB98_36:                              ; =>This Inner Loop Header: Depth=1
	ds_read2st64_b32 v[12:13], v9 offset1:2
	ds_read2st64_b32 v[16:17], v9 offset0:4 offset1:6
	ds_read2st64_b32 v[18:19], v9 offset0:8 offset1:10
	;; [unrolled: 1-line block ×3, first 2 shown]
	v_add_u32_e32 v8, -8, v8
	s_waitcnt lgkmcnt(3)
	v_pk_mul_f32 v[12:13], v[2:3], v[12:13]
	s_waitcnt lgkmcnt(2)
	v_pk_mul_f32 v[16:17], v[2:3], v[16:17]
	ds_write2st64_b32 v9, v12, v13 offset1:2
	ds_write2st64_b32 v9, v16, v17 offset0:4 offset1:6
	ds_read2st64_b32 v[16:17], v9 offset0:16 offset1:18
	s_waitcnt lgkmcnt(4)
	v_pk_mul_f32 v[12:13], v[2:3], v[18:19]
	ds_write2st64_b32 v9, v12, v13 offset0:8 offset1:10
	s_waitcnt lgkmcnt(4)
	v_pk_mul_f32 v[12:13], v[2:3], v[20:21]
	ds_write2st64_b32 v9, v12, v13 offset0:12 offset1:14
	ds_read2st64_b32 v[12:13], v9 offset0:20 offset1:22
	s_waitcnt lgkmcnt(3)
	v_pk_mul_f32 v[16:17], v[2:3], v[16:17]
	ds_read2st64_b32 v[18:19], v9 offset0:24 offset1:26
	ds_write2st64_b32 v9, v16, v17 offset0:16 offset1:18
	ds_read2st64_b32 v[16:17], v9 offset0:28 offset1:30
	s_waitcnt lgkmcnt(3)
	v_pk_mul_f32 v[12:13], v[2:3], v[12:13]
	ds_write2st64_b32 v9, v12, v13 offset0:20 offset1:22
	s_waitcnt lgkmcnt(3)
	v_pk_mul_f32 v[12:13], v[2:3], v[18:19]
	ds_write2st64_b32 v9, v12, v13 offset0:24 offset1:26
	s_waitcnt lgkmcnt(2)
	v_pk_mul_f32 v[12:13], v[2:3], v[16:17]
	s_add_i32 s12, s12, 16
	v_cmp_eq_u32_e32 vcc, 0, v8
	ds_write2st64_b32 v9, v12, v13 offset0:28 offset1:30
	v_add_u32_e32 v9, 0x2000, v9
	s_or_b64 s[38:39], vcc, s[38:39]
	v_mov_b32_e32 v11, s12
	s_andn2_b64 exec, exec, s[38:39]
	s_cbranch_execnz .LBB98_36
; %bb.37:
	s_or_b64 exec, exec, s[38:39]
.LBB98_38:
	s_or_b64 exec, exec, s[10:11]
	v_and_b32_e32 v7, 7, v7
	v_cmp_ne_u32_e32 vcc, 0, v7
	s_and_saveexec_b64 s[10:11], vcc
	s_cbranch_execz .LBB98_41
; %bb.39:
	v_lshlrev_b32_e32 v8, 9, v11
	v_lshlrev_b32_e32 v9, 2, v0
	s_movk_i32 s12, 0x210
	v_add3_u32 v8, v8, v9, s12
	s_mov_b64 s[38:39], 0
.LBB98_40:                              ; =>This Inner Loop Header: Depth=1
	ds_read2st64_b32 v[12:13], v8 offset1:2
	v_add_u32_e32 v7, -1, v7
	v_cmp_eq_u32_e32 vcc, 0, v7
	s_or_b64 s[38:39], vcc, s[38:39]
	s_waitcnt lgkmcnt(0)
	v_pk_mul_f32 v[12:13], v[2:3], v[12:13]
	ds_write2st64_b32 v8, v12, v13 offset1:2
	v_add_u32_e32 v8, 0x400, v8
	s_andn2_b64 exec, exec, s[38:39]
	s_cbranch_execnz .LBB98_40
.LBB98_41:
	s_or_b64 exec, exec, s[10:11]
	v_add_u32_e32 v6, 1, v6
	v_and_b32_e32 v7, 0x3fffffe, v6
	v_cmp_ne_u32_e32 vcc, v6, v7
	v_lshl_add_u32 v3, v7, 7, v0
	s_orn2_b64 s[10:11], vcc, exec
.LBB98_42:
	s_or_b64 exec, exec, s[6:7]
	s_and_b64 exec, exec, s[10:11]
	s_cbranch_execz .LBB98_45
; %bb.43:
	v_mov_b32_e32 v6, 0x210
	v_lshl_add_u32 v6, v3, 2, v6
	s_mov_b64 s[6:7], 0
.LBB98_44:                              ; =>This Inner Loop Header: Depth=1
	ds_read_b32 v7, v6
	v_add_u32_e32 v3, 0x80, v3
	v_cmp_le_i32_e32 vcc, s3, v3
	s_or_b64 s[6:7], vcc, s[6:7]
	s_waitcnt lgkmcnt(0)
	v_mul_f32_e32 v7, v2, v7
	ds_write_b32 v6, v7
	v_add_u32_e32 v6, 0x200, v6
	s_andn2_b64 exec, exec, s[6:7]
	s_cbranch_execnz .LBB98_44
.LBB98_45:
	s_or_b64 exec, exec, s[0:1]
	s_mul_i32 s0, s25, s28
	v_cmp_eq_u32_e32 vcc, 0, v0
	s_mul_i32 s6, s0, s5
	s_waitcnt lgkmcnt(0)
	s_barrier
	s_and_saveexec_b64 s[0:1], vcc
	s_cbranch_execz .LBB98_47
; %bb.46:
	s_ashr_i32 s7, s6, 31
	s_lshl_b64 s[10:11], s[6:7], 2
	s_add_u32 s5, s22, s10
	s_mul_i32 s2, s25, s2
	s_addc_u32 s7, s23, s11
	s_ashr_i32 s3, s2, 31
	s_lshl_b64 s[2:3], s[2:3], 2
	s_add_u32 s12, s5, s2
	s_addc_u32 s7, s7, s3
	s_ashr_i32 s5, s4, 31
	s_lshl_b64 s[22:23], s[4:5], 2
	s_add_u32 s38, s12, s22
	s_addc_u32 s39, s7, s23
	s_add_u32 s5, s20, s10
	s_addc_u32 s7, s21, s11
	;; [unrolled: 2-line block ×3, first 2 shown]
	s_add_u32 s2, s2, s22
	v_mov_b32_e32 v2, 0
	s_addc_u32 s3, s3, s23
	global_store_dword v2, v4, s[38:39]
	global_store_dword v2, v5, s[2:3]
.LBB98_47:
	s_or_b64 exec, exec, s[0:1]
	s_mov_b32 s12, 0
	v_mov_b32_e32 v9, 0
	v_and_b32_e32 v34, 1, v0
	v_mov_b32_e32 v8, 0
	v_mov_b32_e32 v7, 0
	v_mov_b32_e32 v6, 0
	v_mov_b32_e32 v5, 0
	v_mov_b32_e32 v4, 0
	v_mov_b32_e32 v3, 0
	v_mov_b32_e32 v2, 0
	s_and_saveexec_b64 s[2:3], s[8:9]
	s_cbranch_execz .LBB98_69
; %bb.48:
	s_ashr_i32 s15, s14, 31
	s_sub_i32 s5, s19, s17
	s_lshl_b64 s[0:1], s[14:15], 1
	s_add_u32 s8, s36, s0
	v_lshlrev_b32_e32 v2, 3, v0
	s_addc_u32 s9, s37, s1
	s_abs_i32 s21, s18
	v_and_b32_e32 v35, 8, v2
	v_and_b32_e32 v12, 0x1f8, v2
	v_cvt_f32_u32_e32 v2, s21
	s_sub_i32 s0, 0, s21
	s_add_i32 s20, s16, -1
	s_mov_b32 s7, s13
	v_rcp_iflag_f32_e32 v2, v2
	s_mov_b32 s13, s12
	v_or_b32_e32 v16, 0x800, v12
	v_or_b32_e32 v22, 0xa00, v12
	v_mul_f32_e32 v2, 0x4f7ffffe, v2
	v_cvt_u32_f32_e32 v2, v2
	v_or_b32_e32 v24, 0xc00, v12
	v_or_b32_e32 v26, 0xe00, v12
	s_mov_b32 s14, s12
	v_mul_lo_u32 v3, s0, v2
	v_mul_hi_u32 v3, v2, v3
	s_lshl_b64 s[0:1], s[34:35], 2
	v_add_u32_e32 v36, v2, v3
	s_add_u32 s0, s30, s0
	v_lshlrev_b32_e32 v2, 5, v34
	s_addc_u32 s1, s31, s1
	v_lshl_or_b32 v2, v10, 6, v2
	v_lshl_add_u64 v[18:19], v[14:15], 2, s[0:1]
	v_add_u32_e32 v15, 0x210, v2
	s_mov_b32 s15, s12
	s_mov_b32 s16, s12
	;; [unrolled: 1-line block ×5, first 2 shown]
	v_mov_b64_e32 v[2:3], s[12:13]
	v_mov_b32_e32 v17, 0
	s_mov_b32 s22, s29
	s_mov_b32 s23, s29
	;; [unrolled: 1-line block ×7, first 2 shown]
	s_mov_b64 s[10:11], 0
	v_mov_b64_e32 v[4:5], s[14:15]
	v_mov_b64_e32 v[6:7], s[16:17]
	;; [unrolled: 1-line block ×3, first 2 shown]
	v_lshlrev_b32_e32 v20, 1, v12
	s_mov_b32 s16, 0x5040100
	v_lshlrev_b32_e32 v16, 1, v16
	v_lshlrev_b32_e32 v22, 1, v22
	;; [unrolled: 1-line block ×4, first 2 shown]
	s_branch .LBB98_51
.LBB98_49:                              ;   in Loop: Header=BB98_51 Depth=1
	s_or_b64 exec, exec, s[0:1]
	v_add_f32_e32 v21, v48, v49
	s_waitcnt vmcnt(0)
	;;#ASMSTART
	v_pk_mul_f16 v10, v47, v10;

	;;#ASMEND
	v_add_f32_e32 v2, v2, v21
	v_add_f32_e32 v21, v50, v51
	;;#ASMSTART
	v_pk_mul_f16 v11, v46, v11;

	;;#ASMEND
	;;#ASMSTART
	v_pk_mul_f16 v12, v45, v12;

	;;#ASMEND
	;; [unrolled: 4-line block ×3, first 2 shown]
	v_add_f32_e32 v3, v3, v21
	;;#ASMSTART
	v_pk_add_f16 v10, v10, v11;

	;;#ASMEND
	v_add_f32_e32 v21, v52, v53
	;;#ASMSTART
	v_pk_add_f16 v10, v10, v12;

	;;#ASMEND
	v_add_f32_e32 v4, v4, v21
	v_add_f32_e32 v21, v30, v31
	;;#ASMSTART
	v_pk_add_f16 v10, v10, v13;

	;;#ASMEND
	v_add_f32_e32 v5, v5, v21
	v_add_f32_e32 v21, v54, v55
	v_lshrrev_b32_e32 v11, 16, v10
	v_and_b32_e32 v10, 0xffff, v10
	v_add_f32_e32 v6, v6, v21
	v_add_f32_e32 v21, v23, v56
	;;#ASMSTART
	v_cvt_f32_f16 v10, v10;
	;;#ASMEND
	v_add_f32_e32 v7, v7, v21
	v_add_f32_e32 v21, v25, v57
	;;#ASMSTART
	v_cvt_f32_f16 v11, v11;
	;;#ASMEND
	v_add_f32_e32 v8, v8, v21
	v_add_f32_e32 v10, v10, v11
	;; [unrolled: 1-line block ×3, first 2 shown]
.LBB98_50:                              ;   in Loop: Header=BB98_51 Depth=1
	s_or_b64 exec, exec, s[12:13]
	v_add_u32_e32 v14, 2, v14
	v_cmp_le_i32_e32 vcc, s49, v14
	v_lshl_add_u64 v[18:19], v[18:19], 0, 8
	v_add_u32_e32 v1, 32, v1
	s_or_b64 s[10:11], vcc, s[10:11]
	v_add_u32_e32 v15, 0x80, v15
	s_andn2_b64 exec, exec, s[10:11]
	s_cbranch_execz .LBB98_68
.LBB98_51:                              ; =>This Inner Loop Header: Depth=1
	v_sub_u32_e32 v11, 0, v1
	v_max_i32_e32 v11, v1, v11
	v_mul_hi_u32 v12, v11, s46
	v_mul_lo_u32 v13, v12, s33
	v_sub_u32_e32 v11, v11, v13
	v_add_u32_e32 v13, 1, v12
	v_cmp_le_u32_e32 vcc, s33, v11
	v_ashrrev_i32_e32 v10, 31, v1
	v_xor_b32_e32 v10, s48, v10
	v_cndmask_b32_e32 v12, v12, v13, vcc
	v_subrev_u32_e32 v13, s33, v11
	v_cndmask_b32_e32 v11, v11, v13, vcc
	v_add_u32_e32 v13, 1, v12
	v_cmp_le_u32_e32 vcc, s33, v11
	s_nop 1
	v_cndmask_b32_e32 v11, v12, v13, vcc
	v_xor_b32_e32 v11, v11, v10
	v_sub_u32_e32 v10, v11, v10
	v_add_u32_e32 v11, s47, v10
	v_sub_u32_e32 v13, 0, v11
	v_ashrrev_i32_e32 v12, 31, v11
	v_max_i32_e32 v11, v11, v13
	v_mul_hi_u32 v13, v11, v36
	v_mul_lo_u32 v13, v13, s21
	v_sub_u32_e32 v11, v11, v13
	v_subrev_u32_e32 v13, s21, v11
	v_cmp_le_u32_e32 vcc, s21, v11
	v_cmp_lt_i32_e64 s[0:1], s5, v10
	s_nop 0
	v_cndmask_b32_e32 v11, v11, v13, vcc
	v_subrev_u32_e32 v13, s21, v11
	v_cmp_le_u32_e32 vcc, s21, v11
	s_nop 1
	v_cndmask_b32_e32 v11, v11, v13, vcc
	v_xor_b32_e32 v11, v11, v12
	v_sub_u32_e32 v11, v11, v12
	v_cmp_eq_u32_e32 vcc, 0, v11
	s_or_b64 s[0:1], vcc, s[0:1]
	s_and_saveexec_b64 s[12:13], s[0:1]
	s_cbranch_execz .LBB98_50
; %bb.52:                               ;   in Loop: Header=BB98_51 Depth=1
	global_load_dword v21, v[18:19], off
	ds_read2_b64 v[10:13], v15 offset1:1
	ds_read2_b64 v[28:31], v15 offset0:2 offset1:3
	v_cmp_eq_u32_e32 vcc, s20, v14
	s_waitcnt lgkmcnt(1)
	;;#ASMSTART
	v_cvt_f16_f32 v23, v10;

	;;#ASMEND
	;;#ASMSTART
	v_cvt_f16_f32 v25, v11;

	;;#ASMEND
	;; [unrolled: 4-line block ×4, first 2 shown]
	s_waitcnt lgkmcnt(0)
	;;#ASMSTART
	v_cvt_f16_f32 v45, v28;

	;;#ASMEND
	;;#ASMSTART
	v_cvt_f16_f32 v48, v29;

	;;#ASMEND
	;; [unrolled: 4-line block ×4, first 2 shown]
	s_waitcnt vmcnt(0)
	v_mad_i64_i32 v[10:11], s[0:1], v21, s7, 0
	v_lshl_add_u64 v[28:29], v[10:11], 1, s[8:9]
	v_mov_b32_e32 v21, v17
	v_lshl_add_u64 v[30:31], v[28:29], 0, v[20:21]
	global_load_dwordx4 v[10:13], v[30:31], off
	v_add_u32_e32 v21, v35, v1
	v_add_u32_e32 v37, 1, v21
	v_or_b32_e32 v39, 3, v21
	v_or_b32_e32 v38, 2, v21
	v_or_b32_e32 v41, 5, v21
	v_or_b32_e32 v40, 4, v21
	v_or_b32_e32 v43, 7, v21
	v_or_b32_e32 v42, 6, v21
	s_and_saveexec_b64 s[14:15], vcc
	s_cbranch_execz .LBB98_54
; %bb.53:                               ;   in Loop: Header=BB98_51 Depth=1
	s_waitcnt vmcnt(0)
	v_lshrrev_b32_e32 v46, 16, v13
	v_cmp_gt_i32_e64 s[0:1], s39, v43
	s_nop 1
	v_cndmask_b32_e64 v46, 0, v46, s[0:1]
	v_cmp_gt_i32_e64 s[0:1], s38, v42
	s_nop 1
	v_cndmask_b32_e64 v13, 0, v13, s[0:1]
	v_perm_b32 v13, v46, v13, s16
	v_lshrrev_b32_e32 v46, 16, v12
	v_cmp_gt_i32_e64 s[0:1], s37, v41
	s_nop 1
	v_cndmask_b32_e64 v46, 0, v46, s[0:1]
	v_cmp_gt_i32_e64 s[0:1], s36, v40
	s_nop 1
	v_cndmask_b32_e64 v12, 0, v12, s[0:1]
	v_perm_b32 v12, v46, v12, s16
	;; [unrolled: 8-line block ×4, first 2 shown]
.LBB98_54:                              ;   in Loop: Header=BB98_51 Depth=1
	s_or_b64 exec, exec, s[14:15]
	v_and_b32_e32 v23, 0xffff, v23
	v_lshl_or_b32 v47, v25, 16, v23
	v_and_b32_e32 v23, 0xffff, v27
	v_lshl_or_b32 v46, v44, 16, v23
	;; [unrolled: 2-line block ×3, first 2 shown]
	v_and_b32_e32 v23, 0xffff, v49
	s_waitcnt vmcnt(0)
	;;#ASMSTART
	v_pk_mul_f16 v10, v47, v10;

	;;#ASMEND
	v_lshl_or_b32 v44, v50, 16, v23
	;;#ASMSTART
	v_pk_mul_f16 v11, v46, v11;

	;;#ASMEND
	;;#ASMSTART
	v_pk_mul_f16 v12, v45, v12;

	;;#ASMEND
	;; [unrolled: 4-line block ×3, first 2 shown]
	s_nop 0
	;;#ASMSTART
	v_pk_add_f16 v10, v10, v11;

	;;#ASMEND
	s_nop 0
	;;#ASMSTART
	v_pk_add_f16 v10, v10, v12;

	;;#ASMEND
	;; [unrolled: 5-line block ×3, first 2 shown]
	s_nop 0
	v_lshrrev_b32_e32 v11, 16, v10
	v_and_b32_e32 v10, 0xffff, v10
	;;#ASMSTART
	v_cvt_f32_f16 v48, v10;
	;;#ASMEND
	;;#ASMSTART
	v_cvt_f32_f16 v49, v11;
	;;#ASMEND
	global_load_dwordx4 v[10:13], v[30:31], off offset:1024
	s_and_saveexec_b64 s[14:15], vcc
	s_cbranch_execz .LBB98_56
; %bb.55:                               ;   in Loop: Header=BB98_51 Depth=1
	s_waitcnt vmcnt(0)
	v_lshrrev_b32_e32 v23, 16, v13
	v_cmp_gt_i32_e64 s[0:1], s39, v43
	s_nop 1
	v_cndmask_b32_e64 v23, 0, v23, s[0:1]
	v_cmp_gt_i32_e64 s[0:1], s38, v42
	s_nop 1
	v_cndmask_b32_e64 v13, 0, v13, s[0:1]
	v_perm_b32 v13, v23, v13, s16
	v_lshrrev_b32_e32 v23, 16, v12
	v_cmp_gt_i32_e64 s[0:1], s37, v41
	s_nop 1
	v_cndmask_b32_e64 v23, 0, v23, s[0:1]
	v_cmp_gt_i32_e64 s[0:1], s36, v40
	s_nop 1
	v_cndmask_b32_e64 v12, 0, v12, s[0:1]
	v_perm_b32 v12, v23, v12, s16
	;; [unrolled: 8-line block ×4, first 2 shown]
.LBB98_56:                              ;   in Loop: Header=BB98_51 Depth=1
	s_or_b64 exec, exec, s[14:15]
	s_waitcnt vmcnt(0)
	;;#ASMSTART
	v_pk_mul_f16 v10, v47, v10;

	;;#ASMEND
	;;#ASMSTART
	v_pk_mul_f16 v11, v46, v11;

	;;#ASMEND
	;; [unrolled: 4-line block ×4, first 2 shown]
	s_nop 0
	;;#ASMSTART
	v_pk_add_f16 v10, v10, v11;

	;;#ASMEND
	s_nop 0
	;;#ASMSTART
	v_pk_add_f16 v10, v10, v12;

	;;#ASMEND
	;; [unrolled: 5-line block ×3, first 2 shown]
	s_nop 0
	v_lshrrev_b32_e32 v11, 16, v10
	v_and_b32_e32 v10, 0xffff, v10
	;;#ASMSTART
	v_cvt_f32_f16 v50, v10;
	;;#ASMEND
	;;#ASMSTART
	v_cvt_f32_f16 v51, v11;
	;;#ASMEND
	global_load_dwordx4 v[10:13], v[30:31], off offset:2048
	s_and_saveexec_b64 s[14:15], vcc
	s_cbranch_execz .LBB98_58
; %bb.57:                               ;   in Loop: Header=BB98_51 Depth=1
	s_waitcnt vmcnt(0)
	v_lshrrev_b32_e32 v23, 16, v13
	v_cmp_gt_i32_e64 s[0:1], s39, v43
	s_nop 1
	v_cndmask_b32_e64 v23, 0, v23, s[0:1]
	v_cmp_gt_i32_e64 s[0:1], s38, v42
	s_nop 1
	v_cndmask_b32_e64 v13, 0, v13, s[0:1]
	v_perm_b32 v13, v23, v13, s16
	v_lshrrev_b32_e32 v23, 16, v12
	v_cmp_gt_i32_e64 s[0:1], s37, v41
	s_nop 1
	v_cndmask_b32_e64 v23, 0, v23, s[0:1]
	v_cmp_gt_i32_e64 s[0:1], s36, v40
	s_nop 1
	v_cndmask_b32_e64 v12, 0, v12, s[0:1]
	v_perm_b32 v12, v23, v12, s16
	;; [unrolled: 8-line block ×4, first 2 shown]
.LBB98_58:                              ;   in Loop: Header=BB98_51 Depth=1
	s_or_b64 exec, exec, s[14:15]
	s_waitcnt vmcnt(0)
	;;#ASMSTART
	v_pk_mul_f16 v10, v47, v10;

	;;#ASMEND
	;;#ASMSTART
	v_pk_mul_f16 v11, v46, v11;

	;;#ASMEND
	;;#ASMSTART
	v_pk_mul_f16 v12, v45, v12;

	;;#ASMEND
	;;#ASMSTART
	v_pk_mul_f16 v13, v44, v13;

	;;#ASMEND
	s_nop 0
	;;#ASMSTART
	v_pk_add_f16 v10, v10, v11;

	;;#ASMEND
	s_nop 0
	;;#ASMSTART
	v_pk_add_f16 v10, v10, v12;

	;;#ASMEND
	;; [unrolled: 5-line block ×3, first 2 shown]
	s_nop 0
	v_lshrrev_b32_e32 v11, 16, v10
	v_and_b32_e32 v10, 0xffff, v10
	;;#ASMSTART
	v_cvt_f32_f16 v52, v10;
	;;#ASMEND
	;;#ASMSTART
	v_cvt_f32_f16 v53, v11;
	;;#ASMEND
	global_load_dwordx4 v[10:13], v[30:31], off offset:3072
	s_and_saveexec_b64 s[14:15], vcc
	s_cbranch_execz .LBB98_60
; %bb.59:                               ;   in Loop: Header=BB98_51 Depth=1
	s_waitcnt vmcnt(0)
	v_lshrrev_b32_e32 v23, 16, v13
	v_cmp_gt_i32_e64 s[0:1], s39, v43
	s_nop 1
	v_cndmask_b32_e64 v23, 0, v23, s[0:1]
	v_cmp_gt_i32_e64 s[0:1], s38, v42
	s_nop 1
	v_cndmask_b32_e64 v13, 0, v13, s[0:1]
	v_perm_b32 v13, v23, v13, s16
	v_lshrrev_b32_e32 v23, 16, v12
	v_cmp_gt_i32_e64 s[0:1], s37, v41
	s_nop 1
	v_cndmask_b32_e64 v23, 0, v23, s[0:1]
	v_cmp_gt_i32_e64 s[0:1], s36, v40
	s_nop 1
	v_cndmask_b32_e64 v12, 0, v12, s[0:1]
	v_perm_b32 v12, v23, v12, s16
	;; [unrolled: 8-line block ×4, first 2 shown]
.LBB98_60:                              ;   in Loop: Header=BB98_51 Depth=1
	s_or_b64 exec, exec, s[14:15]
	s_waitcnt vmcnt(0)
	;;#ASMSTART
	v_pk_mul_f16 v10, v47, v10;

	;;#ASMEND
	;;#ASMSTART
	v_pk_mul_f16 v11, v46, v11;

	;;#ASMEND
	;; [unrolled: 4-line block ×4, first 2 shown]
	s_nop 0
	;;#ASMSTART
	v_pk_add_f16 v10, v10, v11;

	;;#ASMEND
	s_nop 0
	;;#ASMSTART
	v_pk_add_f16 v10, v10, v12;

	;;#ASMEND
	;; [unrolled: 5-line block ×3, first 2 shown]
	s_nop 0
	v_lshrrev_b32_e32 v11, 16, v10
	v_and_b32_e32 v10, 0xffff, v10
	;;#ASMSTART
	v_cvt_f32_f16 v30, v10;
	;;#ASMEND
	;;#ASMSTART
	v_cvt_f32_f16 v31, v11;
	;;#ASMEND
	v_lshl_add_u64 v[10:11], v[28:29], 0, v[16:17]
	global_load_dwordx4 v[10:13], v[10:11], off
	s_and_saveexec_b64 s[14:15], vcc
	s_cbranch_execz .LBB98_62
; %bb.61:                               ;   in Loop: Header=BB98_51 Depth=1
	s_waitcnt vmcnt(0)
	v_lshrrev_b32_e32 v23, 16, v13
	v_cmp_gt_i32_e64 s[0:1], s39, v43
	s_nop 1
	v_cndmask_b32_e64 v23, 0, v23, s[0:1]
	v_cmp_gt_i32_e64 s[0:1], s38, v42
	s_nop 1
	v_cndmask_b32_e64 v13, 0, v13, s[0:1]
	v_perm_b32 v13, v23, v13, s16
	v_lshrrev_b32_e32 v23, 16, v12
	v_cmp_gt_i32_e64 s[0:1], s37, v41
	s_nop 1
	v_cndmask_b32_e64 v23, 0, v23, s[0:1]
	v_cmp_gt_i32_e64 s[0:1], s36, v40
	s_nop 1
	v_cndmask_b32_e64 v12, 0, v12, s[0:1]
	v_perm_b32 v12, v23, v12, s16
	;; [unrolled: 8-line block ×4, first 2 shown]
.LBB98_62:                              ;   in Loop: Header=BB98_51 Depth=1
	s_or_b64 exec, exec, s[14:15]
	s_waitcnt vmcnt(0)
	;;#ASMSTART
	v_pk_mul_f16 v10, v47, v10;

	;;#ASMEND
	;;#ASMSTART
	v_pk_mul_f16 v11, v46, v11;

	;;#ASMEND
	;; [unrolled: 4-line block ×4, first 2 shown]
	v_mov_b32_e32 v23, v17
	;;#ASMSTART
	v_pk_add_f16 v10, v10, v11;

	;;#ASMEND
	s_nop 0
	;;#ASMSTART
	v_pk_add_f16 v10, v10, v12;

	;;#ASMEND
	s_nop 0
	;; [unrolled: 5-line block ×3, first 2 shown]
	v_lshrrev_b32_e32 v11, 16, v10
	v_and_b32_e32 v10, 0xffff, v10
	;;#ASMSTART
	v_cvt_f32_f16 v54, v10;
	;;#ASMEND
	;;#ASMSTART
	v_cvt_f32_f16 v55, v11;
	;;#ASMEND
	v_lshl_add_u64 v[10:11], v[28:29], 0, v[22:23]
	global_load_dwordx4 v[10:13], v[10:11], off
	s_and_saveexec_b64 s[14:15], vcc
	s_cbranch_execz .LBB98_64
; %bb.63:                               ;   in Loop: Header=BB98_51 Depth=1
	s_waitcnt vmcnt(0)
	v_lshrrev_b32_e32 v23, 16, v13
	v_cmp_gt_i32_e64 s[0:1], s39, v43
	s_nop 1
	v_cndmask_b32_e64 v23, 0, v23, s[0:1]
	v_cmp_gt_i32_e64 s[0:1], s38, v42
	s_nop 1
	v_cndmask_b32_e64 v13, 0, v13, s[0:1]
	v_perm_b32 v13, v23, v13, s16
	v_lshrrev_b32_e32 v23, 16, v12
	v_cmp_gt_i32_e64 s[0:1], s37, v41
	s_nop 1
	v_cndmask_b32_e64 v23, 0, v23, s[0:1]
	v_cmp_gt_i32_e64 s[0:1], s36, v40
	s_nop 1
	v_cndmask_b32_e64 v12, 0, v12, s[0:1]
	v_perm_b32 v12, v23, v12, s16
	;; [unrolled: 8-line block ×4, first 2 shown]
.LBB98_64:                              ;   in Loop: Header=BB98_51 Depth=1
	s_or_b64 exec, exec, s[14:15]
	s_waitcnt vmcnt(0)
	;;#ASMSTART
	v_pk_mul_f16 v10, v47, v10;

	;;#ASMEND
	;;#ASMSTART
	v_pk_mul_f16 v11, v46, v11;

	;;#ASMEND
	;; [unrolled: 4-line block ×4, first 2 shown]
	v_mov_b32_e32 v25, v17
	;;#ASMSTART
	v_pk_add_f16 v10, v10, v11;

	;;#ASMEND
	s_nop 0
	;;#ASMSTART
	v_pk_add_f16 v10, v10, v12;

	;;#ASMEND
	s_nop 0
	;; [unrolled: 5-line block ×3, first 2 shown]
	v_lshrrev_b32_e32 v11, 16, v10
	v_and_b32_e32 v10, 0xffff, v10
	;;#ASMSTART
	v_cvt_f32_f16 v23, v10;
	;;#ASMEND
	;;#ASMSTART
	v_cvt_f32_f16 v56, v11;
	;;#ASMEND
	v_lshl_add_u64 v[10:11], v[28:29], 0, v[24:25]
	global_load_dwordx4 v[10:13], v[10:11], off
	s_and_saveexec_b64 s[14:15], vcc
	s_cbranch_execz .LBB98_66
; %bb.65:                               ;   in Loop: Header=BB98_51 Depth=1
	s_waitcnt vmcnt(0)
	v_lshrrev_b32_e32 v25, 16, v13
	v_cmp_gt_i32_e64 s[0:1], s39, v43
	s_nop 1
	v_cndmask_b32_e64 v25, 0, v25, s[0:1]
	v_cmp_gt_i32_e64 s[0:1], s38, v42
	s_nop 1
	v_cndmask_b32_e64 v13, 0, v13, s[0:1]
	v_perm_b32 v13, v25, v13, s16
	v_lshrrev_b32_e32 v25, 16, v12
	v_cmp_gt_i32_e64 s[0:1], s37, v41
	s_nop 1
	v_cndmask_b32_e64 v25, 0, v25, s[0:1]
	v_cmp_gt_i32_e64 s[0:1], s36, v40
	s_nop 1
	v_cndmask_b32_e64 v12, 0, v12, s[0:1]
	v_perm_b32 v12, v25, v12, s16
	;; [unrolled: 8-line block ×4, first 2 shown]
.LBB98_66:                              ;   in Loop: Header=BB98_51 Depth=1
	s_or_b64 exec, exec, s[14:15]
	s_waitcnt vmcnt(0)
	;;#ASMSTART
	v_pk_mul_f16 v10, v47, v10;

	;;#ASMEND
	;;#ASMSTART
	v_pk_mul_f16 v11, v46, v11;

	;;#ASMEND
	;; [unrolled: 4-line block ×4, first 2 shown]
	v_mov_b32_e32 v27, v17
	;;#ASMSTART
	v_pk_add_f16 v10, v10, v11;

	;;#ASMEND
	s_nop 0
	;;#ASMSTART
	v_pk_add_f16 v10, v10, v12;

	;;#ASMEND
	s_nop 0
	;; [unrolled: 5-line block ×3, first 2 shown]
	v_lshrrev_b32_e32 v11, 16, v10
	v_and_b32_e32 v10, 0xffff, v10
	;;#ASMSTART
	v_cvt_f32_f16 v25, v10;
	;;#ASMEND
	;;#ASMSTART
	v_cvt_f32_f16 v57, v11;
	;;#ASMEND
	v_lshl_add_u64 v[10:11], v[28:29], 0, v[26:27]
	global_load_dwordx4 v[10:13], v[10:11], off
	s_and_saveexec_b64 s[0:1], vcc
	s_cbranch_execz .LBB98_49
; %bb.67:                               ;   in Loop: Header=BB98_51 Depth=1
	s_waitcnt vmcnt(0)
	v_lshrrev_b32_e32 v27, 16, v13
	v_cmp_gt_i32_e32 vcc, s39, v43
	s_nop 1
	v_cndmask_b32_e32 v27, 0, v27, vcc
	v_cmp_gt_i32_e32 vcc, s38, v42
	s_nop 1
	v_cndmask_b32_e32 v13, 0, v13, vcc
	v_perm_b32 v13, v27, v13, s16
	v_lshrrev_b32_e32 v27, 16, v12
	v_cmp_gt_i32_e32 vcc, s37, v41
	s_nop 1
	v_cndmask_b32_e32 v27, 0, v27, vcc
	v_cmp_gt_i32_e32 vcc, s36, v40
	s_nop 1
	v_cndmask_b32_e32 v12, 0, v12, vcc
	v_perm_b32 v12, v27, v12, s16
	;; [unrolled: 8-line block ×4, first 2 shown]
	s_branch .LBB98_49
.LBB98_68:
	s_or_b64 exec, exec, s[10:11]
.LBB98_69:
	s_or_b64 exec, exec, s[2:3]
	ds_bpermute_b32 v10, v33, v2
	ds_bpermute_b32 v11, v33, v3
	;; [unrolled: 1-line block ×8, first 2 shown]
	v_and_b32_e32 v1, 0x3c1, v0
	s_waitcnt lgkmcnt(6)
	v_pk_add_f32 v[12:13], v[2:3], v[10:11]
	s_waitcnt lgkmcnt(4)
	v_pk_add_f32 v[10:11], v[4:5], v[14:15]
	;; [unrolled: 2-line block ×4, first 2 shown]
	v_cmp_eq_u32_e32 vcc, 64, v1
	s_barrier
	s_and_saveexec_b64 s[0:1], vcc
	s_cbranch_execz .LBB98_71
; %bb.70:
	v_mov_b32_e32 v6, 0x210
	v_lshl_add_u32 v6, v32, 1, v6
	ds_write2_b32 v6, v12, v13 offset1:32
	ds_write2_b32 v6, v10, v11 offset0:64 offset1:96
	ds_write2_b32 v6, v4, v5 offset0:128 offset1:160
	;; [unrolled: 1-line block ×3, first 2 shown]
.LBB98_71:
	s_or_b64 exec, exec, s[0:1]
	v_cmp_gt_u32_e32 vcc, 64, v0
	s_waitcnt lgkmcnt(0)
	s_barrier
	s_and_saveexec_b64 s[0:1], vcc
	s_cbranch_execz .LBB98_82
; %bb.72:
	v_cmp_eq_u32_e32 vcc, 0, v34
	v_lshrrev_b32_e32 v6, 1, v0
	s_and_saveexec_b64 s[2:3], vcc
	s_cbranch_execnz .LBB98_85
; %bb.73:
	s_or_b64 exec, exec, s[2:3]
	s_and_saveexec_b64 s[2:3], vcc
	s_cbranch_execnz .LBB98_86
.LBB98_74:
	s_or_b64 exec, exec, s[2:3]
	s_and_saveexec_b64 s[2:3], vcc
	s_cbranch_execnz .LBB98_87
.LBB98_75:
	s_or_b64 exec, exec, s[2:3]
	s_and_saveexec_b64 s[2:3], vcc
	s_cbranch_execnz .LBB98_88
.LBB98_76:
	s_or_b64 exec, exec, s[2:3]
	s_and_saveexec_b64 s[2:3], vcc
	s_cbranch_execnz .LBB98_89
.LBB98_77:
	s_or_b64 exec, exec, s[2:3]
	s_and_saveexec_b64 s[2:3], vcc
	s_cbranch_execnz .LBB98_90
.LBB98_78:
	s_or_b64 exec, exec, s[2:3]
	s_and_saveexec_b64 s[2:3], vcc
	s_cbranch_execnz .LBB98_91
.LBB98_79:
	s_or_b64 exec, exec, s[2:3]
	s_and_saveexec_b64 s[2:3], vcc
	s_cbranch_execz .LBB98_81
.LBB98_80:
	v_mov_b32_e32 v7, 0x210
	v_lshl_add_u32 v6, v6, 2, v7
	ds_read_b32 v6, v6 offset:896
	s_waitcnt lgkmcnt(0)
	v_add_f32_e32 v3, v3, v6
.LBB98_81:
	s_or_b64 exec, exec, s[2:3]
.LBB98_82:
	s_or_b64 exec, exec, s[0:1]
	v_cmp_eq_u32_e32 vcc, 0, v1
	s_barrier
	s_and_saveexec_b64 s[0:1], vcc
	s_cbranch_execz .LBB98_84
; %bb.83:
	s_lshl_b32 s0, s6, 8
	s_ashr_i32 s1, s0, 31
	s_lshl_b64 s[0:1], s[0:1], 1
	s_add_u32 s2, s26, s0
	s_mul_i32 s0, s25, s24
	s_addc_u32 s3, s27, s1
	s_ashr_i32 s1, s0, 31
	s_lshl_b64 s[0:1], s[0:1], 1
	s_add_u32 s2, s2, s0
	s_addc_u32 s3, s3, s1
	s_lshl_b32 s0, s4, 8
	s_ashr_i32 s1, s0, 31
	s_lshl_b64 s[0:1], s[0:1], 1
	s_add_u32 s0, s2, s0
	s_addc_u32 s1, s3, s1
	;;#ASMSTART
	v_cvt_f16_f32 v1, v12;

	;;#ASMEND
	global_store_short v0, v1, s[0:1]
	;;#ASMSTART
	v_cvt_f16_f32 v1, v13;

	;;#ASMEND
	global_store_short v0, v1, s[0:1] offset:64
	;;#ASMSTART
	v_cvt_f16_f32 v1, v10;

	;;#ASMEND
	global_store_short v0, v1, s[0:1] offset:128
	;; [unrolled: 5-line block ×7, first 2 shown]
.LBB98_84:
	s_endpgm
.LBB98_85:
	v_mov_b32_e32 v7, 0x210
	v_lshl_add_u32 v7, v6, 2, v7
	ds_read_b32 v7, v7
	s_waitcnt lgkmcnt(0)
	v_add_f32_e32 v12, v12, v7
	s_or_b64 exec, exec, s[2:3]
	s_and_saveexec_b64 s[2:3], vcc
	s_cbranch_execz .LBB98_74
.LBB98_86:
	v_mov_b32_e32 v7, 0x210
	v_lshl_add_u32 v7, v6, 2, v7
	ds_read_b32 v7, v7 offset:128
	s_waitcnt lgkmcnt(0)
	v_add_f32_e32 v13, v13, v7
	s_or_b64 exec, exec, s[2:3]
	s_and_saveexec_b64 s[2:3], vcc
	s_cbranch_execz .LBB98_75
.LBB98_87:
	v_mov_b32_e32 v7, 0x210
	v_lshl_add_u32 v7, v6, 2, v7
	ds_read_b32 v7, v7 offset:256
	s_waitcnt lgkmcnt(0)
	v_add_f32_e32 v10, v10, v7
	s_or_b64 exec, exec, s[2:3]
	s_and_saveexec_b64 s[2:3], vcc
	s_cbranch_execz .LBB98_76
.LBB98_88:
	v_mov_b32_e32 v7, 0x210
	v_lshl_add_u32 v7, v6, 2, v7
	ds_read_b32 v7, v7 offset:384
	s_waitcnt lgkmcnt(0)
	v_add_f32_e32 v11, v11, v7
	s_or_b64 exec, exec, s[2:3]
	s_and_saveexec_b64 s[2:3], vcc
	s_cbranch_execz .LBB98_77
.LBB98_89:
	v_mov_b32_e32 v7, 0x210
	v_lshl_add_u32 v7, v6, 2, v7
	ds_read_b32 v7, v7 offset:512
	s_waitcnt lgkmcnt(0)
	v_add_f32_e32 v4, v4, v7
	s_or_b64 exec, exec, s[2:3]
	s_and_saveexec_b64 s[2:3], vcc
	s_cbranch_execz .LBB98_78
.LBB98_90:
	v_mov_b32_e32 v7, 0x210
	v_lshl_add_u32 v7, v6, 2, v7
	ds_read_b32 v7, v7 offset:640
	s_waitcnt lgkmcnt(0)
	v_add_f32_e32 v5, v5, v7
	s_or_b64 exec, exec, s[2:3]
	s_and_saveexec_b64 s[2:3], vcc
	s_cbranch_execz .LBB98_79
.LBB98_91:
	v_mov_b32_e32 v7, 0x210
	v_lshl_add_u32 v7, v6, 2, v7
	ds_read_b32 v7, v7 offset:768
	s_waitcnt lgkmcnt(0)
	v_add_f32_e32 v2, v2, v7
	s_or_b64 exec, exec, s[2:3]
	s_and_saveexec_b64 s[2:3], vcc
	s_cbranch_execnz .LBB98_80
	s_branch .LBB98_81
	.section	.rodata,"a",@progbits
	.p2align	6, 0x0
	.amdhsa_kernel _ZN4vllm25paged_attention_v2_kernelIttLi256ELi16ELi128ELNS_18Fp8KVCacheDataTypeE0ELb1ELi512EEEvPfS2_PT_PKS3_PKT0_S9_ifPKiSB_iPKfiiiSD_SD_iiiii
		.amdhsa_group_segment_fixed_size 528
		.amdhsa_private_segment_fixed_size 0
		.amdhsa_kernarg_size 400
		.amdhsa_user_sgpr_count 2
		.amdhsa_user_sgpr_dispatch_ptr 0
		.amdhsa_user_sgpr_queue_ptr 0
		.amdhsa_user_sgpr_kernarg_segment_ptr 1
		.amdhsa_user_sgpr_dispatch_id 0
		.amdhsa_user_sgpr_kernarg_preload_length 0
		.amdhsa_user_sgpr_kernarg_preload_offset 0
		.amdhsa_user_sgpr_private_segment_size 0
		.amdhsa_uses_dynamic_stack 0
		.amdhsa_enable_private_segment 0
		.amdhsa_system_sgpr_workgroup_id_x 1
		.amdhsa_system_sgpr_workgroup_id_y 1
		.amdhsa_system_sgpr_workgroup_id_z 1
		.amdhsa_system_sgpr_workgroup_info 0
		.amdhsa_system_vgpr_workitem_id 0
		.amdhsa_next_free_vgpr 91
		.amdhsa_next_free_sgpr 53
		.amdhsa_accum_offset 92
		.amdhsa_reserve_vcc 1
		.amdhsa_float_round_mode_32 0
		.amdhsa_float_round_mode_16_64 0
		.amdhsa_float_denorm_mode_32 3
		.amdhsa_float_denorm_mode_16_64 3
		.amdhsa_dx10_clamp 1
		.amdhsa_ieee_mode 1
		.amdhsa_fp16_overflow 0
		.amdhsa_tg_split 0
		.amdhsa_exception_fp_ieee_invalid_op 0
		.amdhsa_exception_fp_denorm_src 0
		.amdhsa_exception_fp_ieee_div_zero 0
		.amdhsa_exception_fp_ieee_overflow 0
		.amdhsa_exception_fp_ieee_underflow 0
		.amdhsa_exception_fp_ieee_inexact 0
		.amdhsa_exception_int_div_zero 0
	.end_amdhsa_kernel
	.section	.text._ZN4vllm25paged_attention_v2_kernelIttLi256ELi16ELi128ELNS_18Fp8KVCacheDataTypeE0ELb1ELi512EEEvPfS2_PT_PKS3_PKT0_S9_ifPKiSB_iPKfiiiSD_SD_iiiii,"axG",@progbits,_ZN4vllm25paged_attention_v2_kernelIttLi256ELi16ELi128ELNS_18Fp8KVCacheDataTypeE0ELb1ELi512EEEvPfS2_PT_PKS3_PKT0_S9_ifPKiSB_iPKfiiiSD_SD_iiiii,comdat
.Lfunc_end98:
	.size	_ZN4vllm25paged_attention_v2_kernelIttLi256ELi16ELi128ELNS_18Fp8KVCacheDataTypeE0ELb1ELi512EEEvPfS2_PT_PKS3_PKT0_S9_ifPKiSB_iPKfiiiSD_SD_iiiii, .Lfunc_end98-_ZN4vllm25paged_attention_v2_kernelIttLi256ELi16ELi128ELNS_18Fp8KVCacheDataTypeE0ELb1ELi512EEEvPfS2_PT_PKS3_PKT0_S9_ifPKiSB_iPKfiiiSD_SD_iiiii
                                        ; -- End function
	.section	.AMDGPU.csdata,"",@progbits
; Kernel info:
; codeLenInByte = 10216
; NumSgprs: 59
; NumVgprs: 91
; NumAgprs: 0
; TotalNumVgprs: 91
; ScratchSize: 0
; MemoryBound: 0
; FloatMode: 240
; IeeeMode: 1
; LDSByteSize: 528 bytes/workgroup (compile time only)
; SGPRBlocks: 7
; VGPRBlocks: 11
; NumSGPRsForWavesPerEU: 59
; NumVGPRsForWavesPerEU: 91
; AccumOffset: 92
; Occupancy: 5
; WaveLimiterHint : 1
; COMPUTE_PGM_RSRC2:SCRATCH_EN: 0
; COMPUTE_PGM_RSRC2:USER_SGPR: 2
; COMPUTE_PGM_RSRC2:TRAP_HANDLER: 0
; COMPUTE_PGM_RSRC2:TGID_X_EN: 1
; COMPUTE_PGM_RSRC2:TGID_Y_EN: 1
; COMPUTE_PGM_RSRC2:TGID_Z_EN: 1
; COMPUTE_PGM_RSRC2:TIDIG_COMP_CNT: 0
; COMPUTE_PGM_RSRC3_GFX90A:ACCUM_OFFSET: 22
; COMPUTE_PGM_RSRC3_GFX90A:TG_SPLIT: 0
	.section	.text._ZN4vllm25paged_attention_v2_kernelIttLi32ELi16ELi128ELNS_18Fp8KVCacheDataTypeE0ELb0ELi512EEEvPfS2_PT_PKS3_PKT0_S9_ifPKiSB_iPKfiiiSD_SD_iiiii,"axG",@progbits,_ZN4vllm25paged_attention_v2_kernelIttLi32ELi16ELi128ELNS_18Fp8KVCacheDataTypeE0ELb0ELi512EEEvPfS2_PT_PKS3_PKT0_S9_ifPKiSB_iPKfiiiSD_SD_iiiii,comdat
	.protected	_ZN4vllm25paged_attention_v2_kernelIttLi32ELi16ELi128ELNS_18Fp8KVCacheDataTypeE0ELb0ELi512EEEvPfS2_PT_PKS3_PKT0_S9_ifPKiSB_iPKfiiiSD_SD_iiiii ; -- Begin function _ZN4vllm25paged_attention_v2_kernelIttLi32ELi16ELi128ELNS_18Fp8KVCacheDataTypeE0ELb0ELi512EEEvPfS2_PT_PKS3_PKT0_S9_ifPKiSB_iPKfiiiSD_SD_iiiii
	.globl	_ZN4vllm25paged_attention_v2_kernelIttLi32ELi16ELi128ELNS_18Fp8KVCacheDataTypeE0ELb0ELi512EEEvPfS2_PT_PKS3_PKT0_S9_ifPKiSB_iPKfiiiSD_SD_iiiii
	.p2align	8
	.type	_ZN4vllm25paged_attention_v2_kernelIttLi32ELi16ELi128ELNS_18Fp8KVCacheDataTypeE0ELb0ELi512EEEvPfS2_PT_PKS3_PKT0_S9_ifPKiSB_iPKfiiiSD_SD_iiiii,@function
_ZN4vllm25paged_attention_v2_kernelIttLi32ELi16ELi128ELNS_18Fp8KVCacheDataTypeE0ELb0ELi512EEEvPfS2_PT_PKS3_PKT0_S9_ifPKiSB_iPKfiiiSD_SD_iiiii: ; @_ZN4vllm25paged_attention_v2_kernelIttLi32ELi16ELi128ELNS_18Fp8KVCacheDataTypeE0ELb0ELi512EEEvPfS2_PT_PKS3_PKT0_S9_ifPKiSB_iPKfiiiSD_SD_iiiii
; %bb.0:
	s_load_dwordx2 s[6:7], s[0:1], 0x40
	s_mov_b32 s24, s3
	s_ashr_i32 s25, s3, 31
	s_lshl_b64 s[8:9], s[24:25], 2
	s_waitcnt lgkmcnt(0)
	s_add_u32 s6, s6, s8
	s_addc_u32 s7, s7, s9
	s_load_dword s25, s[6:7], 0x0
	s_lshl_b32 s40, s4, 9
	s_waitcnt lgkmcnt(0)
	s_cmp_ge_i32 s40, s25
	s_cbranch_scc1 .LBB99_52
; %bb.1:
	s_load_dword s5, s[0:1], 0x90
	s_load_dwordx2 s[10:11], s[0:1], 0x30
	s_waitcnt lgkmcnt(0)
	s_abs_i32 s7, s5
	s_abs_i32 s3, s10
	v_cvt_f32_u32_e32 v1, s3
	s_sub_i32 s8, 0, s3
	s_xor_b32 s6, s5, s10
	s_ashr_i32 s6, s6, 31
	v_rcp_iflag_f32_e32 v1, v1
	s_nop 0
	v_mul_f32_e32 v1, 0x4f7ffffe, v1
	v_cvt_u32_f32_e32 v1, v1
	s_nop 0
	v_readfirstlane_b32 s9, v1
	s_mul_i32 s8, s8, s9
	s_mul_hi_u32 s8, s9, s8
	s_add_i32 s9, s9, s8
	s_mul_hi_u32 s8, s7, s9
	s_mul_i32 s9, s8, s3
	s_sub_i32 s7, s7, s9
	s_add_i32 s10, s8, 1
	s_sub_i32 s9, s7, s3
	s_cmp_ge_u32 s7, s3
	s_cselect_b32 s8, s10, s8
	s_cselect_b32 s7, s9, s7
	s_add_i32 s9, s8, 1
	s_cmp_ge_u32 s7, s3
	s_cselect_b32 s3, s9, s8
	s_xor_b32 s3, s3, s6
	s_sub_i32 s17, s3, s6
	s_abs_i32 s8, s17
	v_cvt_f32_u32_e32 v1, s8
	s_load_dwordx2 s[6:7], s[0:1], 0x50
	s_sub_i32 s10, 0, s8
	s_abs_i32 s9, s2
	v_rcp_iflag_f32_e32 v1, v1
	s_mov_b32 s3, 0
	v_mul_f32_e32 v1, 0x4f7ffffe, v1
	v_cvt_u32_f32_e32 v1, v1
	s_nop 0
	v_readfirstlane_b32 s12, v1
	s_mul_i32 s10, s10, s12
	s_mul_hi_u32 s10, s12, s10
	s_add_i32 s12, s12, s10
	s_waitcnt lgkmcnt(0)
	s_cmp_eq_u64 s[6:7], 0
	s_mul_hi_u32 s10, s9, s12
	s_cbranch_scc1 .LBB99_3
; %bb.2:
	s_ashr_i32 s3, s2, 31
	s_lshl_b64 s[12:13], s[2:3], 2
	s_add_u32 s6, s6, s12
	s_addc_u32 s7, s7, s13
	s_load_dword s3, s[6:7], 0x0
.LBB99_3:
	s_load_dwordx4 s[12:15], s[0:1], 0x58
	s_ashr_i32 s16, s2, 31
	s_waitcnt lgkmcnt(0)
	s_ashr_i32 s15, s17, 31
	v_and_b32_e32 v4, 3, v0
	s_lshl_b32 s20, s2, 5
	v_cmp_gt_u32_e32 vcc, 16, v0
	s_and_saveexec_b64 s[6:7], vcc
	s_cbranch_execz .LBB99_5
; %bb.4:
	s_load_dwordx2 s[18:19], s[0:1], 0x18
	s_mul_i32 s22, s24, s12
	s_ashr_i32 s23, s22, 31
	s_lshl_b64 s[22:23], s[22:23], 1
	v_lshlrev_b32_e32 v1, 2, v0
	s_waitcnt lgkmcnt(0)
	s_add_u32 s12, s18, s22
	s_addc_u32 s17, s19, s23
	s_ashr_i32 s21, s20, 31
	s_lshl_b64 s[18:19], s[20:21], 1
	s_add_u32 s18, s12, s18
	s_addc_u32 s19, s17, s19
	global_load_dword v1, v1, s[18:19]
	v_and_b32_e32 v2, 0x3fc, v0
	v_lshl_add_u32 v2, v4, 4, v2
	s_waitcnt vmcnt(0)
	ds_write_b32 v2, v1
.LBB99_5:
	s_or_b64 exec, exec, s[6:7]
	s_add_i32 s6, s25, 15
	s_ashr_i32 s7, s6, 31
	s_lshr_b32 s7, s7, 28
	s_add_i32 s6, s6, s7
	s_lshl_b32 s12, s4, 5
	s_mul_i32 s7, s10, s8
	s_ashr_i32 s41, s6, 4
	s_add_i32 s6, s12, 32
	s_sub_i32 s7, s9, s7
	s_min_i32 s33, s6, s41
	s_xor_b32 s6, s16, s15
	s_add_i32 s9, s10, 1
	s_sub_i32 s15, s7, s8
	s_cmp_ge_u32 s7, s8
	s_cselect_b32 s9, s9, s10
	s_cselect_b32 s7, s15, s7
	s_add_i32 s10, s9, 1
	s_cmp_ge_u32 s7, s8
	s_load_dwordx2 s[26:27], s[0:1], 0x38
	s_load_dword s8, s[0:1], 0x48
	v_lshrrev_b32_e32 v1, 6, v0
	s_cselect_b32 s7, s10, s9
	s_xor_b32 s7, s7, s6
	v_or_b32_e32 v6, s12, v1
	s_waitcnt lgkmcnt(0)
	s_mul_i32 s28, s24, s8
	s_sub_i32 s10, s7, s6
	s_ashr_i32 s29, s28, 31
	v_cmp_gt_i32_e64 s[6:7], s33, v6
	v_cmp_le_i32_e32 vcc, s33, v6
	v_mbcnt_lo_u32_b32 v15, -1, 0
	s_barrier
	s_waitcnt lgkmcnt(0)
                                        ; implicit-def: $sgpr15
                                        ; implicit-def: $vgpr8
                                        ; implicit-def: $vgpr9
	s_and_saveexec_b64 s[8:9], vcc
	s_xor_b64 s[8:9], exec, s[8:9]
; %bb.6:
	v_mbcnt_hi_u32_b32 v8, -1, v15
	v_and_b32_e32 v2, 64, v8
	v_add_u32_e32 v9, 64, v2
	s_mov_b32 s15, 0xff7fffff
                                        ; implicit-def: $vgpr4
                                        ; implicit-def: $vgpr15
; %bb.7:
	s_or_saveexec_b64 s[34:35], s[8:9]
	s_load_dwordx4 s[16:19], s[0:1], 0x0
	s_load_dwordx2 s[22:23], s[0:1], 0x10
	s_load_dwordx2 s[30:31], s[0:1], 0x28
	s_load_dword s21, s[0:1], 0x98
	v_mov_b32_e32 v10, s15
	s_mul_i32 s14, s10, s14
	v_ashrrev_i32_e32 v7, 31, v6
	v_lshlrev_b32_e32 v12, 4, v1
	s_xor_b64 exec, exec, s[34:35]
	s_cbranch_execz .LBB99_13
; %bb.8:
	s_load_dwordx2 s[0:1], s[0:1], 0x20
	s_ashr_i32 s15, s14, 31
	s_lshl_b64 s[8:9], s[14:15], 1
	v_bfe_u32 v5, v0, 2, 4
	v_lshlrev_b32_e32 v2, 4, v5
	s_waitcnt lgkmcnt(0)
	s_add_u32 s0, s0, s8
	s_addc_u32 s1, s1, s9
	v_mov_b32_e32 v3, 0
	v_lshl_add_u64 v[8:9], s[0:1], 0, v[2:3]
	v_lshlrev_b32_e32 v2, 2, v0
	v_and_b32_e32 v2, 12, v2
	s_sub_i32 s15, 1, s25
	s_lshl_b64 s[8:9], s[28:29], 2
	v_lshl_add_u64 v[2:3], v[8:9], 0, v[2:3]
	v_lshlrev_b32_e32 v11, 4, v4
	v_cmp_eq_u32_e32 vcc, 0, v4
	v_lshlrev_b32_e32 v4, 2, v5
	s_add_u32 s8, s26, s8
	v_mbcnt_hi_u32_b32 v8, -1, v15
	v_lshl_or_b32 v4, v1, 6, v4
	s_addc_u32 s9, s27, s9
	v_and_b32_e32 v9, 64, v8
	s_mov_b32 s10, s13
	v_cmp_neq_f32_e64 s[0:1], s3, 0
	v_add3_u32 v13, s40, v12, v5
	v_add_u32_e32 v14, 0x50, v4
	v_lshl_add_u64 v[4:5], v[6:7], 2, s[8:9]
	s_mov_b64 s[36:37], 0
	v_mov_b32_e32 v10, 0xff7fffff
	v_add_u32_e32 v9, 64, v9
	v_xor_b32_e32 v15, 2, v8
	v_xor_b32_e32 v16, 1, v8
	v_mov_b32_e32 v17, v6
	s_branch .LBB99_10
.LBB99_9:                               ;   in Loop: Header=BB99_10 Depth=1
	s_or_b64 exec, exec, s[38:39]
	v_add_u32_e32 v17, 2, v17
	v_cmp_le_i32_e64 s[8:9], s33, v17
	v_add_u32_e32 v13, 32, v13
	v_add_u32_e32 v14, 0x80, v14
	s_or_b64 s[36:37], s[8:9], s[36:37]
	v_lshl_add_u64 v[4:5], v[4:5], 0, 8
	s_andn2_b64 exec, exec, s[36:37]
	s_cbranch_execz .LBB99_12
.LBB99_10:                              ; =>This Inner Loop Header: Depth=1
	global_load_dword v18, v[4:5], off
	s_waitcnt vmcnt(0) lgkmcnt(0)
	v_mad_i64_i32 v[18:19], s[8:9], v18, s10, 0
	v_lshl_add_u64 v[18:19], v[18:19], 1, v[2:3]
	global_load_dword v20, v[18:19], off
	global_load_dword v21, v[18:19], off offset:256
	global_load_dword v22, v[18:19], off offset:512
	;; [unrolled: 1-line block ×3, first 2 shown]
	ds_read_b32 v18, v11
	v_cmp_lt_i32_e64 s[8:9], v15, v9
	s_waitcnt lgkmcnt(0)
	v_lshrrev_b32_e32 v24, 16, v18
	v_and_b32_e32 v18, 0xffff, v18
	;;#ASMSTART
	v_cvt_f32_f16 v18, v18;
	;;#ASMEND
	;;#ASMSTART
	v_cvt_f32_f16 v24, v24;
	;;#ASMEND
	v_cndmask_b32_e64 v19, v8, v15, s[8:9]
	v_lshlrev_b32_e32 v19, 2, v19
	v_cmp_lt_i32_e64 s[8:9], v16, v9
	s_waitcnt vmcnt(3)
	v_lshrrev_b32_e32 v25, 16, v20
	v_and_b32_e32 v20, 0xffff, v20
	;;#ASMSTART
	v_cvt_f32_f16 v20, v20;
	;;#ASMEND
	;;#ASMSTART
	v_cvt_f32_f16 v25, v25;
	;;#ASMEND
	ds_read_b32 v26, v11 offset:4
	s_waitcnt vmcnt(2)
	v_lshrrev_b32_e32 v27, 16, v21
	v_and_b32_e32 v21, 0xffff, v21
	s_waitcnt vmcnt(1)
	v_lshrrev_b32_e32 v28, 16, v22
	v_and_b32_e32 v22, 0xffff, v22
	s_waitcnt lgkmcnt(0)
	v_lshrrev_b32_e32 v29, 16, v26
	v_and_b32_e32 v26, 0xffff, v26
	;;#ASMSTART
	v_cvt_f32_f16 v26, v26;
	;;#ASMEND
	;;#ASMSTART
	v_cvt_f32_f16 v29, v29;
	;;#ASMEND
	;; [unrolled: 3-line block ×4, first 2 shown]
	ds_read_b32 v30, v11 offset:8
	v_mul_f32_e32 v21, v26, v21
	v_mul_f32_e32 v26, v29, v27
	v_fmac_f32_e32 v21, v18, v20
	v_fmac_f32_e32 v26, v24, v25
	s_waitcnt lgkmcnt(0)
	v_lshrrev_b32_e32 v27, 16, v30
	v_and_b32_e32 v29, 0xffff, v30
	;;#ASMSTART
	v_cvt_f32_f16 v29, v29;
	;;#ASMEND
	;;#ASMSTART
	v_cvt_f32_f16 v27, v27;
	;;#ASMEND
	;; [unrolled: 3-line block ×4, first 2 shown]
	ds_read_b32 v30, v11 offset:12
	s_waitcnt vmcnt(0)
	v_lshrrev_b32_e32 v31, 16, v23
	v_and_b32_e32 v23, 0xffff, v23
	v_fmac_f32_e32 v21, v29, v22
	v_fmac_f32_e32 v26, v27, v28
	s_waitcnt lgkmcnt(0)
	v_lshrrev_b32_e32 v18, 16, v30
	v_and_b32_e32 v20, 0xffff, v30
	;;#ASMSTART
	v_cvt_f32_f16 v20, v20;
	;;#ASMEND
	;;#ASMSTART
	v_cvt_f32_f16 v18, v18;
	;;#ASMEND
	;; [unrolled: 3-line block ×4, first 2 shown]
	s_nop 0
	v_fmac_f32_e32 v21, v20, v22
	v_fmac_f32_e32 v26, v18, v23
	v_add_f32_e32 v18, v21, v26
	ds_bpermute_b32 v19, v19, v18
	v_cndmask_b32_e64 v20, v8, v16, s[8:9]
	s_waitcnt lgkmcnt(0)
	v_add_f32_e32 v18, v18, v19
	v_lshlrev_b32_e32 v19, 2, v20
	ds_bpermute_b32 v19, v19, v18
	s_and_saveexec_b64 s[38:39], vcc
	s_cbranch_execz .LBB99_9
; %bb.11:                               ;   in Loop: Header=BB99_10 Depth=1
	v_add_u32_e32 v20, s15, v13
	v_cvt_f32_i32_e32 v20, v20
	s_waitcnt lgkmcnt(0)
	v_add_f32_e32 v18, v18, v19
	v_cmp_gt_i32_e64 s[8:9], s25, v13
	v_max_f32_e32 v19, v10, v10
	v_mul_f32_e32 v20, s3, v20
	v_cndmask_b32_e64 v20, 0, v20, s[0:1]
	v_fmac_f32_e32 v20, s11, v18
	v_cndmask_b32_e64 v18, 0, v20, s[8:9]
	ds_write_b32 v14, v18
	v_max_f32_e32 v18, v19, v20
	v_cndmask_b32_e64 v10, v10, v18, s[8:9]
	s_branch .LBB99_9
.LBB99_12:
	s_or_b64 exec, exec, s[36:37]
.LBB99_13:
	s_or_b64 exec, exec, s[34:35]
	v_xor_b32_e32 v2, 32, v8
	v_cmp_lt_i32_e32 vcc, v2, v9
	v_xor_b32_e32 v5, 16, v8
	v_max_f32_e32 v4, v10, v10
	v_cndmask_b32_e32 v2, v8, v2, vcc
	v_lshlrev_b32_e32 v2, 2, v2
	ds_bpermute_b32 v3, v2, v10
	v_cmp_lt_i32_e32 vcc, v5, v9
	v_xor_b32_e32 v10, 8, v8
	v_and_b32_e32 v14, 63, v0
	s_waitcnt lgkmcnt(0)
	v_max_f32_e32 v3, v3, v3
	v_max_f32_e32 v4, v4, v3
	v_cndmask_b32_e32 v3, v8, v5, vcc
	v_lshlrev_b32_e32 v3, 2, v3
	ds_bpermute_b32 v5, v3, v4
	v_cmp_lt_i32_e32 vcc, v10, v9
	s_waitcnt lgkmcnt(0)
	v_max_f32_e32 v5, v5, v5
	v_max_f32_e32 v4, v4, v5
	v_cndmask_b32_e32 v5, v8, v10, vcc
	v_lshlrev_b32_e32 v11, 2, v5
	ds_bpermute_b32 v5, v11, v4
	v_xor_b32_e32 v10, 4, v8
	v_cmp_lt_i32_e32 vcc, v10, v9
	s_waitcnt lgkmcnt(0)
	v_max_f32_e32 v5, v5, v5
	v_max_f32_e32 v4, v4, v5
	v_cndmask_b32_e32 v5, v8, v10, vcc
	v_lshlrev_b32_e32 v13, 2, v5
	ds_bpermute_b32 v10, v13, v4
	v_cmp_eq_u32_e32 vcc, 0, v14
	v_lshlrev_b32_e32 v5, 2, v1
	s_and_saveexec_b64 s[0:1], vcc
	s_cbranch_execz .LBB99_15
; %bb.14:
	s_waitcnt lgkmcnt(0)
	v_max_f32_e32 v10, v10, v10
	v_max_f32_e32 v4, v4, v4
	;; [unrolled: 1-line block ×3, first 2 shown]
	ds_write_b32 v5, v4 offset:64
.LBB99_15:
	s_or_b64 exec, exec, s[0:1]
	v_cmp_gt_u32_e64 s[0:1], 2, v14
	v_mov_b32_e32 v4, 0xff7fffff
	s_waitcnt lgkmcnt(0)
	v_lshlrev_b32_e32 v10, 2, v14
	s_barrier
	s_and_saveexec_b64 s[8:9], s[0:1]
	s_cbranch_execz .LBB99_17
; %bb.16:
	ds_read_b32 v4, v10 offset:64
.LBB99_17:
	s_or_b64 exec, exec, s[8:9]
	v_xor_b32_e32 v15, 1, v8
	v_cmp_lt_i32_e64 s[8:9], v15, v9
	s_sub_i32 s3, s33, s12
	s_lshl_b32 s3, s3, 4
	v_cndmask_b32_e64 v15, v8, v15, s[8:9]
	v_lshlrev_b32_e32 v15, 2, v15
	s_waitcnt lgkmcnt(0)
	ds_bpermute_b32 v16, v15, v4
	v_max_f32_e32 v4, v4, v4
	s_add_i32 s3, s3, s40
	s_min_i32 s15, s3, s25
	s_sub_i32 s3, s15, s40
	s_waitcnt lgkmcnt(0)
	v_max_f32_e32 v16, v16, v16
	v_max_f32_e32 v4, v4, v16
	v_lshlrev_b32_e32 v16, 2, v8
	v_and_b32_e32 v16, 0xffffff00, v16
	ds_bpermute_b32 v4, v16, v4
	v_cmp_gt_i32_e64 s[8:9], s3, v0
	v_mov_b32_e32 v17, 0
	s_and_saveexec_b64 s[34:35], s[8:9]
	s_cbranch_execz .LBB99_21
; %bb.18:
	v_mov_b32_e32 v17, 0x50
	v_lshl_add_u32 v18, v0, 2, v17
	s_mov_b64 s[36:37], 0
	v_mov_b32_e32 v17, 0
	v_mov_b32_e32 v19, v0
.LBB99_19:                              ; =>This Inner Loop Header: Depth=1
	ds_read_b32 v20, v18
	v_add_u32_e32 v19, 0x80, v19
	v_cmp_le_i32_e64 s[10:11], s3, v19
	s_or_b64 s[36:37], s[10:11], s[36:37]
	s_waitcnt lgkmcnt(0)
	v_sub_f32_e32 v20, v20, v4
	v_mul_f32_e32 v20, 0x3fb8aa3b, v20
	v_exp_f32_e32 v20, v20
	ds_write_b32 v18, v20
	v_add_f32_e32 v17, v17, v20
	v_add_u32_e32 v18, 0x200, v18
	s_andn2_b64 exec, exec, s[36:37]
	s_cbranch_execnz .LBB99_19
; %bb.20:
	s_or_b64 exec, exec, s[36:37]
.LBB99_21:
	s_or_b64 exec, exec, s[34:35]
	ds_bpermute_b32 v2, v2, v17
	s_waitcnt lgkmcnt(0)
	v_add_f32_e32 v2, v17, v2
	ds_bpermute_b32 v3, v3, v2
	s_waitcnt lgkmcnt(0)
	v_add_f32_e32 v2, v2, v3
	ds_bpermute_b32 v3, v11, v2
	v_xor_b32_e32 v11, 2, v8
	v_cmp_lt_i32_e64 s[10:11], v11, v9
	s_waitcnt lgkmcnt(0)
	v_add_f32_e32 v2, v2, v3
	ds_bpermute_b32 v3, v13, v2
	v_cndmask_b32_e64 v8, v8, v11, s[10:11]
	s_waitcnt lgkmcnt(0)
	v_add_f32_e32 v2, v2, v3
	v_lshlrev_b32_e32 v3, 2, v8
	ds_bpermute_b32 v3, v3, v2
	s_waitcnt lgkmcnt(0)
	v_add_f32_e32 v2, v2, v3
	ds_bpermute_b32 v3, v15, v2
	s_waitcnt lgkmcnt(0)
	v_add_f32_e32 v2, v2, v3
	s_and_saveexec_b64 s[10:11], vcc
	s_cbranch_execz .LBB99_23
; %bb.22:
	ds_write_b32 v5, v2 offset:72
.LBB99_23:
	s_or_b64 exec, exec, s[10:11]
	s_waitcnt lgkmcnt(0)
	s_barrier
	s_and_saveexec_b64 s[10:11], s[0:1]
	s_cbranch_execz .LBB99_25
; %bb.24:
	ds_read_b32 v2, v10 offset:72
.LBB99_25:
	s_or_b64 exec, exec, s[10:11]
	s_waitcnt lgkmcnt(0)
	ds_bpermute_b32 v3, v15, v2
	s_waitcnt lgkmcnt(0)
	v_add_f32_e32 v2, v2, v3
	ds_bpermute_b32 v5, v16, v2
	s_and_saveexec_b64 s[0:1], s[8:9]
	s_cbranch_execz .LBB99_38
; %bb.26:
	s_waitcnt lgkmcnt(0)
	v_add_f32_e32 v2, 0x358637bd, v5
	v_div_scale_f32 v3, s[8:9], v2, v2, 1.0
	v_rcp_f32_e32 v8, v3
	v_div_scale_f32 v9, vcc, 1.0, v2, 1.0
	s_movk_i32 s8, 0x7f
	v_fma_f32 v10, -v3, v8, 1.0
	v_fmac_f32_e32 v8, v10, v8
	v_mul_f32_e32 v10, v9, v8
	v_fma_f32 v11, -v3, v10, v9
	v_fmac_f32_e32 v10, v11, v8
	v_fma_f32 v3, -v3, v10, v9
	v_div_fmas_f32 v3, v3, v8, v10
	v_div_fixup_f32 v2, v3, v2, 1.0
	v_xad_u32 v3, v0, -1, s15
	v_subrev_u32_e32 v8, s40, v3
	v_cmp_lt_u32_e32 vcc, s8, v8
	s_mov_b64 s[10:11], -1
	v_mov_b32_e32 v3, v0
	s_and_saveexec_b64 s[8:9], vcc
	s_cbranch_execz .LBB99_35
; %bb.27:
	v_lshrrev_b32_e32 v8, 7, v8
	v_add_u32_e32 v10, -1, v8
	v_lshrrev_b32_e32 v9, 1, v10
	v_mov_b32_e32 v3, v2
	v_add_u32_e32 v9, 1, v9
	v_cmp_lt_u32_e32 vcc, 13, v10
	v_mov_b32_e32 v13, 0
	s_and_saveexec_b64 s[10:11], vcc
	s_cbranch_execz .LBB99_31
; %bb.28:
	v_mov_b32_e32 v11, 0x50
	v_and_b32_e32 v10, -8, v9
	v_lshl_add_u32 v11, v0, 2, v11
	s_mov_b32 s15, 0
	s_mov_b64 s[34:35], 0
.LBB99_29:                              ; =>This Inner Loop Header: Depth=1
	ds_read2st64_b32 v[16:17], v11 offset1:2
	ds_read2st64_b32 v[18:19], v11 offset0:4 offset1:6
	ds_read2st64_b32 v[20:21], v11 offset0:8 offset1:10
	;; [unrolled: 1-line block ×3, first 2 shown]
	v_add_u32_e32 v10, -8, v10
	s_waitcnt lgkmcnt(3)
	v_pk_mul_f32 v[16:17], v[2:3], v[16:17]
	s_waitcnt lgkmcnt(2)
	v_pk_mul_f32 v[18:19], v[2:3], v[18:19]
	ds_write2st64_b32 v11, v16, v17 offset1:2
	ds_write2st64_b32 v11, v18, v19 offset0:4 offset1:6
	ds_read2st64_b32 v[18:19], v11 offset0:16 offset1:18
	s_waitcnt lgkmcnt(4)
	v_pk_mul_f32 v[16:17], v[2:3], v[20:21]
	ds_write2st64_b32 v11, v16, v17 offset0:8 offset1:10
	s_waitcnt lgkmcnt(4)
	v_pk_mul_f32 v[16:17], v[2:3], v[22:23]
	ds_write2st64_b32 v11, v16, v17 offset0:12 offset1:14
	ds_read2st64_b32 v[16:17], v11 offset0:20 offset1:22
	s_waitcnt lgkmcnt(3)
	v_pk_mul_f32 v[18:19], v[2:3], v[18:19]
	ds_read2st64_b32 v[20:21], v11 offset0:24 offset1:26
	ds_write2st64_b32 v11, v18, v19 offset0:16 offset1:18
	ds_read2st64_b32 v[18:19], v11 offset0:28 offset1:30
	s_waitcnt lgkmcnt(3)
	v_pk_mul_f32 v[16:17], v[2:3], v[16:17]
	ds_write2st64_b32 v11, v16, v17 offset0:20 offset1:22
	s_waitcnt lgkmcnt(3)
	v_pk_mul_f32 v[16:17], v[2:3], v[20:21]
	ds_write2st64_b32 v11, v16, v17 offset0:24 offset1:26
	s_waitcnt lgkmcnt(2)
	v_pk_mul_f32 v[16:17], v[2:3], v[18:19]
	s_add_i32 s15, s15, 16
	v_cmp_eq_u32_e32 vcc, 0, v10
	ds_write2st64_b32 v11, v16, v17 offset0:28 offset1:30
	v_add_u32_e32 v11, 0x2000, v11
	s_or_b64 s[34:35], vcc, s[34:35]
	v_mov_b32_e32 v13, s15
	s_andn2_b64 exec, exec, s[34:35]
	s_cbranch_execnz .LBB99_29
; %bb.30:
	s_or_b64 exec, exec, s[34:35]
.LBB99_31:
	s_or_b64 exec, exec, s[10:11]
	v_and_b32_e32 v9, 7, v9
	v_cmp_ne_u32_e32 vcc, 0, v9
	s_and_saveexec_b64 s[10:11], vcc
	s_cbranch_execz .LBB99_34
; %bb.32:
	v_lshlrev_b32_e32 v10, 9, v13
	v_lshlrev_b32_e32 v11, 2, v0
	s_movk_i32 s15, 0x50
	v_add3_u32 v10, v10, v11, s15
	s_mov_b64 s[34:35], 0
.LBB99_33:                              ; =>This Inner Loop Header: Depth=1
	ds_read2st64_b32 v[16:17], v10 offset1:2
	v_add_u32_e32 v9, -1, v9
	v_cmp_eq_u32_e32 vcc, 0, v9
	s_or_b64 s[34:35], vcc, s[34:35]
	s_waitcnt lgkmcnt(0)
	v_pk_mul_f32 v[16:17], v[2:3], v[16:17]
	ds_write2st64_b32 v10, v16, v17 offset1:2
	v_add_u32_e32 v10, 0x400, v10
	s_andn2_b64 exec, exec, s[34:35]
	s_cbranch_execnz .LBB99_33
.LBB99_34:
	s_or_b64 exec, exec, s[10:11]
	v_add_u32_e32 v8, 1, v8
	v_and_b32_e32 v9, 0x3fffffe, v8
	v_cmp_ne_u32_e32 vcc, v8, v9
	v_lshl_add_u32 v3, v9, 7, v0
	s_orn2_b64 s[10:11], vcc, exec
.LBB99_35:
	s_or_b64 exec, exec, s[8:9]
	s_and_b64 exec, exec, s[10:11]
	s_cbranch_execz .LBB99_38
; %bb.36:
	v_mov_b32_e32 v8, 0x50
	v_lshl_add_u32 v8, v3, 2, v8
	s_mov_b64 s[8:9], 0
.LBB99_37:                              ; =>This Inner Loop Header: Depth=1
	ds_read_b32 v9, v8
	v_add_u32_e32 v3, 0x80, v3
	v_cmp_le_i32_e32 vcc, s3, v3
	s_or_b64 s[8:9], vcc, s[8:9]
	s_waitcnt lgkmcnt(0)
	v_mul_f32_e32 v9, v2, v9
	ds_write_b32 v8, v9
	v_add_u32_e32 v8, 0x200, v8
	s_andn2_b64 exec, exec, s[8:9]
	s_cbranch_execnz .LBB99_37
.LBB99_38:
	s_or_b64 exec, exec, s[0:1]
	s_mul_i32 s0, s21, s24
	v_cmp_eq_u32_e32 vcc, 0, v0
	s_mul_i32 s0, s0, s5
	s_waitcnt lgkmcnt(0)
	s_barrier
	s_and_saveexec_b64 s[8:9], vcc
	s_cbranch_execz .LBB99_40
; %bb.39:
	s_ashr_i32 s1, s0, 31
	s_lshl_b64 s[10:11], s[0:1], 2
	s_add_u32 s1, s18, s10
	s_mul_i32 s2, s21, s2
	s_addc_u32 s5, s19, s11
	s_ashr_i32 s3, s2, 31
	s_lshl_b64 s[2:3], s[2:3], 2
	s_add_u32 s1, s1, s2
	s_addc_u32 s15, s5, s3
	s_ashr_i32 s5, s4, 31
	s_lshl_b64 s[4:5], s[4:5], 2
	s_add_u32 s18, s1, s4
	s_addc_u32 s19, s15, s5
	s_add_u32 s1, s16, s10
	s_addc_u32 s10, s17, s11
	;; [unrolled: 2-line block ×3, first 2 shown]
	s_add_u32 s2, s1, s4
	v_mov_b32_e32 v2, 0
	s_addc_u32 s3, s3, s5
	global_store_dword v2, v4, s[18:19]
	global_store_dword v2, v5, s[2:3]
.LBB99_40:
	s_or_b64 exec, exec, s[8:9]
	v_mov_b32_e32 v9, 0
	s_and_saveexec_b64 s[2:3], s[6:7]
	s_cbranch_execz .LBB99_46
; %bb.41:
	s_ashr_i32 s15, s14, 31
	s_lshl_b64 s[4:5], s[14:15], 1
	v_lshlrev_b32_e32 v2, 3, v0
	s_add_u32 s4, s30, s4
	v_lshlrev_b32_e32 v3, 4, v0
	v_and_b32_e32 v2, 8, v2
	s_addc_u32 s5, s31, s5
	v_and_b32_e32 v8, 0x3f0, v3
	v_mov_b32_e32 v9, 0
	v_lshl_add_u64 v[10:11], s[4:5], 0, v[8:9]
	s_add_i32 s41, s41, -1
	v_add3_u32 v8, s40, v12, v2
	v_and_b32_e32 v2, 1, v0
	s_lshl_b64 s[4:5], s[28:29], 2
	v_lshlrev_b32_e32 v2, 5, v2
	s_add_u32 s4, s26, s4
	v_lshl_or_b32 v1, v1, 6, v2
	s_addc_u32 s5, s27, s5
	s_mov_b32 s1, s13
	s_mov_b32 s8, s25
	;; [unrolled: 1-line block ×8, first 2 shown]
	v_add_u32_e32 v1, 0x50, v1
	v_lshl_add_u64 v[12:13], v[6:7], 2, s[4:5]
	s_mov_b64 s[4:5], 0
	s_mov_b32 s16, 0x5040100
	s_branch .LBB99_43
.LBB99_42:                              ;   in Loop: Header=BB99_43 Depth=1
	s_or_b64 exec, exec, s[6:7]
	v_and_b32_e32 v7, 0xffff, v7
	v_lshl_or_b32 v7, v16, 16, v7
	v_and_b32_e32 v16, 0xffff, v17
	v_lshl_or_b32 v16, v18, 16, v16
	v_and_b32_e32 v17, 0xffff, v19
	v_and_b32_e32 v18, 0xffff, v21
	s_waitcnt vmcnt(0)
	;;#ASMSTART
	v_pk_mul_f16 v2, v7, v2;

	;;#ASMEND
	v_lshl_or_b32 v17, v20, 16, v17
	v_lshl_or_b32 v18, v22, 16, v18
	;;#ASMSTART
	v_pk_mul_f16 v3, v16, v3;

	;;#ASMEND
	;;#ASMSTART
	v_pk_mul_f16 v4, v17, v4;

	;;#ASMEND
	;;#ASMSTART
	v_pk_mul_f16 v5, v18, v5;

	;;#ASMEND
	v_add_u32_e32 v6, 2, v6
	;;#ASMSTART
	v_pk_add_f16 v2, v2, v3;

	;;#ASMEND
	v_cmp_le_i32_e32 vcc, s33, v6
	;;#ASMSTART
	v_pk_add_f16 v2, v2, v4;

	;;#ASMEND
	v_add_u32_e32 v8, 32, v8
	;;#ASMSTART
	v_pk_add_f16 v2, v2, v5;

	;;#ASMEND
	v_add_u32_e32 v1, 0x80, v1
	v_lshrrev_b32_e32 v3, 16, v2
	v_and_b32_e32 v2, 0xffff, v2
	;;#ASMSTART
	v_cvt_f32_f16 v2, v2;
	;;#ASMEND
	;;#ASMSTART
	v_cvt_f32_f16 v3, v3;
	;;#ASMEND
	s_or_b64 s[4:5], vcc, s[4:5]
	v_add_f32_e32 v2, v2, v3
	v_add_f32_e32 v9, v9, v2
	v_lshl_add_u64 v[12:13], v[12:13], 0, 8
	s_andn2_b64 exec, exec, s[4:5]
	s_cbranch_execz .LBB99_45
.LBB99_43:                              ; =>This Inner Loop Header: Depth=1
	global_load_dword v24, v[12:13], off
	ds_read2_b64 v[2:5], v1 offset1:1
	ds_read2_b64 v[20:23], v1 offset0:2 offset1:3
	v_cmp_eq_u32_e32 vcc, s41, v6
	s_waitcnt lgkmcnt(1)
	;;#ASMSTART
	v_cvt_f16_f32 v7, v2;

	;;#ASMEND
	;;#ASMSTART
	v_cvt_f16_f32 v16, v3;

	;;#ASMEND
	;; [unrolled: 4-line block ×4, first 2 shown]
	s_waitcnt lgkmcnt(0)
	;;#ASMSTART
	v_cvt_f16_f32 v19, v20;

	;;#ASMEND
	;;#ASMSTART
	v_cvt_f16_f32 v20, v21;

	;;#ASMEND
	;; [unrolled: 4-line block ×4, first 2 shown]
	s_waitcnt vmcnt(0)
	v_mad_i64_i32 v[2:3], s[6:7], v24, s1, 0
	v_lshl_add_u64 v[2:3], v[2:3], 1, v[10:11]
	global_load_dwordx4 v[2:5], v[2:3], off
	s_and_saveexec_b64 s[6:7], vcc
	s_cbranch_execz .LBB99_42
; %bb.44:                               ;   in Loop: Header=BB99_43 Depth=1
	v_or_b32_e32 v28, 7, v8
	v_or_b32_e32 v29, 6, v8
	s_waitcnt vmcnt(0)
	v_lshrrev_b32_e32 v30, 16, v5
	v_cmp_gt_i32_e32 vcc, s15, v28
	v_or_b32_e32 v26, 5, v8
	v_or_b32_e32 v27, 4, v8
	v_cndmask_b32_e32 v28, 0, v30, vcc
	v_cmp_gt_i32_e32 vcc, s14, v29
	v_or_b32_e32 v24, 3, v8
	v_or_b32_e32 v25, 2, v8
	v_cndmask_b32_e32 v5, 0, v5, vcc
	v_perm_b32 v5, v28, v5, s16
	v_lshrrev_b32_e32 v28, 16, v4
	v_cmp_gt_i32_e32 vcc, s13, v26
	v_add_u32_e32 v23, 1, v8
	s_nop 0
	v_cndmask_b32_e32 v26, 0, v28, vcc
	v_cmp_gt_i32_e32 vcc, s11, v27
	s_nop 1
	v_cndmask_b32_e32 v4, 0, v4, vcc
	v_perm_b32 v4, v26, v4, s16
	v_lshrrev_b32_e32 v26, 16, v3
	v_cmp_gt_i32_e32 vcc, s10, v24
	s_nop 1
	v_cndmask_b32_e32 v24, 0, v26, vcc
	v_cmp_gt_i32_e32 vcc, s9, v25
	s_nop 1
	v_cndmask_b32_e32 v3, 0, v3, vcc
	v_perm_b32 v3, v24, v3, s16
	v_lshrrev_b32_e32 v24, 16, v2
	v_cmp_gt_i32_e32 vcc, s8, v23
	s_nop 1
	v_cndmask_b32_e32 v23, 0, v24, vcc
	v_cmp_gt_i32_e32 vcc, s25, v8
	s_nop 1
	v_cndmask_b32_e32 v2, 0, v2, vcc
	v_perm_b32 v2, v23, v2, s16
	s_branch .LBB99_42
.LBB99_45:
	s_or_b64 exec, exec, s[4:5]
.LBB99_46:
	s_or_b64 exec, exec, s[2:3]
	ds_bpermute_b32 v1, v15, v9
	v_and_b32_e32 v2, 0x3c1, v0
	v_cmp_eq_u32_e32 vcc, 64, v2
	s_waitcnt lgkmcnt(0)
	s_barrier
	v_add_f32_e32 v1, v9, v1
	s_and_saveexec_b64 s[2:3], vcc
	s_cbranch_execz .LBB99_48
; %bb.47:
	v_mov_b32_e32 v3, 0x50
	v_lshl_add_u32 v3, v14, 1, v3
	ds_write_b32 v3, v1
.LBB99_48:
	s_or_b64 exec, exec, s[2:3]
	v_cmp_eq_u32_e32 vcc, 0, v2
	s_waitcnt lgkmcnt(0)
	s_barrier
	s_and_saveexec_b64 s[2:3], vcc
	s_cbranch_execz .LBB99_50
; %bb.49:
	v_mov_b32_e32 v2, 0x50
	v_lshl_add_u32 v2, v0, 1, v2
	ds_read_b32 v2, v2
	s_waitcnt lgkmcnt(0)
	v_add_f32_e32 v1, v1, v2
.LBB99_50:
	s_or_b64 exec, exec, s[2:3]
	s_barrier
	s_and_saveexec_b64 s[2:3], vcc
	s_cbranch_execz .LBB99_52
; %bb.51:
	s_lshl_b32 s0, s0, 5
	s_ashr_i32 s1, s0, 31
	s_lshl_b64 s[0:1], s[0:1], 1
	s_add_u32 s2, s22, s0
	s_mul_i32 s0, s21, s20
	s_addc_u32 s3, s23, s1
	s_ashr_i32 s1, s0, 31
	s_lshl_b64 s[0:1], s[0:1], 1
	s_add_u32 s2, s2, s0
	s_addc_u32 s3, s3, s1
	s_ashr_i32 s13, s12, 31
	s_lshl_b64 s[0:1], s[12:13], 1
	s_add_u32 s0, s2, s0
	s_addc_u32 s1, s3, s1
	;;#ASMSTART
	v_cvt_f16_f32 v1, v1;

	;;#ASMEND
	global_store_short v0, v1, s[0:1]
.LBB99_52:
	s_endpgm
	.section	.rodata,"a",@progbits
	.p2align	6, 0x0
	.amdhsa_kernel _ZN4vllm25paged_attention_v2_kernelIttLi32ELi16ELi128ELNS_18Fp8KVCacheDataTypeE0ELb0ELi512EEEvPfS2_PT_PKS3_PKT0_S9_ifPKiSB_iPKfiiiSD_SD_iiiii
		.amdhsa_group_segment_fixed_size 80
		.amdhsa_private_segment_fixed_size 0
		.amdhsa_kernarg_size 400
		.amdhsa_user_sgpr_count 2
		.amdhsa_user_sgpr_dispatch_ptr 0
		.amdhsa_user_sgpr_queue_ptr 0
		.amdhsa_user_sgpr_kernarg_segment_ptr 1
		.amdhsa_user_sgpr_dispatch_id 0
		.amdhsa_user_sgpr_kernarg_preload_length 0
		.amdhsa_user_sgpr_kernarg_preload_offset 0
		.amdhsa_user_sgpr_private_segment_size 0
		.amdhsa_uses_dynamic_stack 0
		.amdhsa_enable_private_segment 0
		.amdhsa_system_sgpr_workgroup_id_x 1
		.amdhsa_system_sgpr_workgroup_id_y 1
		.amdhsa_system_sgpr_workgroup_id_z 1
		.amdhsa_system_sgpr_workgroup_info 0
		.amdhsa_system_vgpr_workitem_id 0
		.amdhsa_next_free_vgpr 32
		.amdhsa_next_free_sgpr 42
		.amdhsa_accum_offset 32
		.amdhsa_reserve_vcc 1
		.amdhsa_float_round_mode_32 0
		.amdhsa_float_round_mode_16_64 0
		.amdhsa_float_denorm_mode_32 3
		.amdhsa_float_denorm_mode_16_64 3
		.amdhsa_dx10_clamp 1
		.amdhsa_ieee_mode 1
		.amdhsa_fp16_overflow 0
		.amdhsa_tg_split 0
		.amdhsa_exception_fp_ieee_invalid_op 0
		.amdhsa_exception_fp_denorm_src 0
		.amdhsa_exception_fp_ieee_div_zero 0
		.amdhsa_exception_fp_ieee_overflow 0
		.amdhsa_exception_fp_ieee_underflow 0
		.amdhsa_exception_fp_ieee_inexact 0
		.amdhsa_exception_int_div_zero 0
	.end_amdhsa_kernel
	.section	.text._ZN4vllm25paged_attention_v2_kernelIttLi32ELi16ELi128ELNS_18Fp8KVCacheDataTypeE0ELb0ELi512EEEvPfS2_PT_PKS3_PKT0_S9_ifPKiSB_iPKfiiiSD_SD_iiiii,"axG",@progbits,_ZN4vllm25paged_attention_v2_kernelIttLi32ELi16ELi128ELNS_18Fp8KVCacheDataTypeE0ELb0ELi512EEEvPfS2_PT_PKS3_PKT0_S9_ifPKiSB_iPKfiiiSD_SD_iiiii,comdat
.Lfunc_end99:
	.size	_ZN4vllm25paged_attention_v2_kernelIttLi32ELi16ELi128ELNS_18Fp8KVCacheDataTypeE0ELb0ELi512EEEvPfS2_PT_PKS3_PKT0_S9_ifPKiSB_iPKfiiiSD_SD_iiiii, .Lfunc_end99-_ZN4vllm25paged_attention_v2_kernelIttLi32ELi16ELi128ELNS_18Fp8KVCacheDataTypeE0ELb0ELi512EEEvPfS2_PT_PKS3_PKT0_S9_ifPKiSB_iPKfiiiSD_SD_iiiii
                                        ; -- End function
	.section	.AMDGPU.csdata,"",@progbits
; Kernel info:
; codeLenInByte = 3800
; NumSgprs: 48
; NumVgprs: 32
; NumAgprs: 0
; TotalNumVgprs: 32
; ScratchSize: 0
; MemoryBound: 0
; FloatMode: 240
; IeeeMode: 1
; LDSByteSize: 80 bytes/workgroup (compile time only)
; SGPRBlocks: 5
; VGPRBlocks: 3
; NumSGPRsForWavesPerEU: 48
; NumVGPRsForWavesPerEU: 32
; AccumOffset: 32
; Occupancy: 8
; WaveLimiterHint : 1
; COMPUTE_PGM_RSRC2:SCRATCH_EN: 0
; COMPUTE_PGM_RSRC2:USER_SGPR: 2
; COMPUTE_PGM_RSRC2:TRAP_HANDLER: 0
; COMPUTE_PGM_RSRC2:TGID_X_EN: 1
; COMPUTE_PGM_RSRC2:TGID_Y_EN: 1
; COMPUTE_PGM_RSRC2:TGID_Z_EN: 1
; COMPUTE_PGM_RSRC2:TIDIG_COMP_CNT: 0
; COMPUTE_PGM_RSRC3_GFX90A:ACCUM_OFFSET: 7
; COMPUTE_PGM_RSRC3_GFX90A:TG_SPLIT: 0
	.section	.text._ZN4vllm25paged_attention_v2_kernelIttLi64ELi16ELi128ELNS_18Fp8KVCacheDataTypeE0ELb0ELi512EEEvPfS2_PT_PKS3_PKT0_S9_ifPKiSB_iPKfiiiSD_SD_iiiii,"axG",@progbits,_ZN4vllm25paged_attention_v2_kernelIttLi64ELi16ELi128ELNS_18Fp8KVCacheDataTypeE0ELb0ELi512EEEvPfS2_PT_PKS3_PKT0_S9_ifPKiSB_iPKfiiiSD_SD_iiiii,comdat
	.protected	_ZN4vllm25paged_attention_v2_kernelIttLi64ELi16ELi128ELNS_18Fp8KVCacheDataTypeE0ELb0ELi512EEEvPfS2_PT_PKS3_PKT0_S9_ifPKiSB_iPKfiiiSD_SD_iiiii ; -- Begin function _ZN4vllm25paged_attention_v2_kernelIttLi64ELi16ELi128ELNS_18Fp8KVCacheDataTypeE0ELb0ELi512EEEvPfS2_PT_PKS3_PKT0_S9_ifPKiSB_iPKfiiiSD_SD_iiiii
	.globl	_ZN4vllm25paged_attention_v2_kernelIttLi64ELi16ELi128ELNS_18Fp8KVCacheDataTypeE0ELb0ELi512EEEvPfS2_PT_PKS3_PKT0_S9_ifPKiSB_iPKfiiiSD_SD_iiiii
	.p2align	8
	.type	_ZN4vllm25paged_attention_v2_kernelIttLi64ELi16ELi128ELNS_18Fp8KVCacheDataTypeE0ELb0ELi512EEEvPfS2_PT_PKS3_PKT0_S9_ifPKiSB_iPKfiiiSD_SD_iiiii,@function
_ZN4vllm25paged_attention_v2_kernelIttLi64ELi16ELi128ELNS_18Fp8KVCacheDataTypeE0ELb0ELi512EEEvPfS2_PT_PKS3_PKT0_S9_ifPKiSB_iPKfiiiSD_SD_iiiii: ; @_ZN4vllm25paged_attention_v2_kernelIttLi64ELi16ELi128ELNS_18Fp8KVCacheDataTypeE0ELb0ELi512EEEvPfS2_PT_PKS3_PKT0_S9_ifPKiSB_iPKfiiiSD_SD_iiiii
; %bb.0:
	s_load_dwordx2 s[6:7], s[0:1], 0x40
	s_mov_b32 s24, s3
	s_ashr_i32 s25, s3, 31
	s_lshl_b64 s[8:9], s[24:25], 2
	s_waitcnt lgkmcnt(0)
	s_add_u32 s6, s6, s8
	s_addc_u32 s7, s7, s9
	s_load_dword s25, s[6:7], 0x0
	s_lshl_b32 s33, s4, 9
	s_waitcnt lgkmcnt(0)
	s_cmp_ge_i32 s33, s25
	s_cbranch_scc1 .LBB100_58
; %bb.1:
	s_load_dword s5, s[0:1], 0x90
	s_load_dwordx2 s[10:11], s[0:1], 0x30
	s_waitcnt lgkmcnt(0)
	s_abs_i32 s7, s5
	s_abs_i32 s3, s10
	v_cvt_f32_u32_e32 v1, s3
	s_sub_i32 s8, 0, s3
	s_xor_b32 s6, s5, s10
	s_ashr_i32 s6, s6, 31
	v_rcp_iflag_f32_e32 v1, v1
	s_nop 0
	v_mul_f32_e32 v1, 0x4f7ffffe, v1
	v_cvt_u32_f32_e32 v1, v1
	s_nop 0
	v_readfirstlane_b32 s9, v1
	s_mul_i32 s8, s8, s9
	s_mul_hi_u32 s8, s9, s8
	s_add_i32 s9, s9, s8
	s_mul_hi_u32 s8, s7, s9
	s_mul_i32 s9, s8, s3
	s_sub_i32 s7, s7, s9
	s_add_i32 s10, s8, 1
	s_sub_i32 s9, s7, s3
	s_cmp_ge_u32 s7, s3
	s_cselect_b32 s8, s10, s8
	s_cselect_b32 s7, s9, s7
	s_add_i32 s9, s8, 1
	s_cmp_ge_u32 s7, s3
	s_cselect_b32 s3, s9, s8
	s_xor_b32 s3, s3, s6
	s_sub_i32 s18, s3, s6
	s_abs_i32 s8, s18
	v_cvt_f32_u32_e32 v1, s8
	s_load_dwordx2 s[6:7], s[0:1], 0x50
	s_sub_i32 s3, 0, s8
	s_abs_i32 s9, s2
	v_rcp_iflag_f32_e32 v1, v1
	s_mov_b32 s10, 0
	v_mul_f32_e32 v1, 0x4f7ffffe, v1
	v_cvt_u32_f32_e32 v1, v1
	s_nop 0
	v_readfirstlane_b32 s12, v1
	s_mul_i32 s3, s3, s12
	s_mul_hi_u32 s3, s12, s3
	s_add_i32 s12, s12, s3
	s_waitcnt lgkmcnt(0)
	s_cmp_eq_u64 s[6:7], 0
	s_mul_hi_u32 s16, s9, s12
	s_cbranch_scc1 .LBB100_3
; %bb.2:
	s_ashr_i32 s3, s2, 31
	s_lshl_b64 s[12:13], s[2:3], 2
	s_add_u32 s6, s6, s12
	s_addc_u32 s7, s7, s13
	s_load_dword s10, s[6:7], 0x0
.LBB100_3:
	s_load_dwordx4 s[12:15], s[0:1], 0x58
	s_ashr_i32 s17, s2, 31
	s_waitcnt lgkmcnt(0)
	s_ashr_i32 s15, s18, 31
	v_and_b32_e32 v4, 3, v0
	s_lshl_b32 s20, s2, 6
	v_cmp_gt_u32_e32 vcc, 32, v0
	s_and_saveexec_b64 s[6:7], vcc
	s_cbranch_execz .LBB100_5
; %bb.4:
	s_load_dwordx2 s[18:19], s[0:1], 0x18
	s_mul_i32 s22, s24, s12
	s_ashr_i32 s23, s22, 31
	s_lshl_b64 s[22:23], s[22:23], 1
	v_lshlrev_b32_e32 v1, 2, v0
	s_waitcnt lgkmcnt(0)
	s_add_u32 s3, s18, s22
	s_addc_u32 s12, s19, s23
	s_ashr_i32 s21, s20, 31
	s_lshl_b64 s[18:19], s[20:21], 1
	s_add_u32 s18, s3, s18
	s_addc_u32 s19, s12, s19
	global_load_dword v1, v1, s[18:19]
	v_and_b32_e32 v2, 0x3fc, v0
	v_lshl_add_u32 v2, v4, 5, v2
	s_waitcnt vmcnt(0)
	ds_write_b32 v2, v1
.LBB100_5:
	s_or_b64 exec, exec, s[6:7]
	s_add_i32 s3, s25, 15
	s_ashr_i32 s6, s3, 31
	s_lshr_b32 s6, s6, 28
	s_add_i32 s3, s3, s6
	s_ashr_i32 s40, s3, 4
	s_lshl_b32 s3, s4, 5
	s_mul_i32 s7, s16, s8
	s_add_i32 s6, s3, 32
	s_sub_i32 s7, s9, s7
	s_min_i32 s21, s6, s40
	s_xor_b32 s6, s17, s15
	s_add_i32 s9, s16, 1
	s_sub_i32 s12, s7, s8
	s_cmp_ge_u32 s7, s8
	s_cselect_b32 s9, s9, s16
	s_cselect_b32 s7, s12, s7
	s_add_i32 s12, s9, 1
	s_cmp_ge_u32 s7, s8
	s_load_dwordx2 s[26:27], s[0:1], 0x38
	s_load_dword s8, s[0:1], 0x48
	v_lshrrev_b32_e32 v1, 6, v0
	s_cselect_b32 s7, s12, s9
	s_xor_b32 s7, s7, s6
	v_or_b32_e32 v6, s3, v1
	s_waitcnt lgkmcnt(0)
	s_mul_i32 s28, s24, s8
	s_sub_i32 s15, s7, s6
	s_ashr_i32 s29, s28, 31
	v_cmp_gt_i32_e64 s[8:9], s21, v6
	v_cmp_le_i32_e32 vcc, s21, v6
	v_mbcnt_lo_u32_b32 v15, -1, 0
	s_barrier
	s_waitcnt lgkmcnt(0)
                                        ; implicit-def: $sgpr36
                                        ; implicit-def: $vgpr8
                                        ; implicit-def: $vgpr9
	s_and_saveexec_b64 s[6:7], vcc
	s_xor_b64 s[6:7], exec, s[6:7]
; %bb.6:
	v_mbcnt_hi_u32_b32 v8, -1, v15
	v_and_b32_e32 v2, 64, v8
	v_add_u32_e32 v9, 64, v2
	s_mov_b32 s36, 0xff7fffff
                                        ; implicit-def: $vgpr4
                                        ; implicit-def: $vgpr15
; %bb.7:
	s_or_saveexec_b64 s[34:35], s[6:7]
	s_load_dwordx4 s[16:19], s[0:1], 0x0
	s_load_dwordx2 s[22:23], s[0:1], 0x10
	s_load_dwordx2 s[30:31], s[0:1], 0x28
	s_load_dword s12, s[0:1], 0x98
	v_mov_b32_e32 v10, s36
	s_mul_i32 s14, s15, s14
	v_ashrrev_i32_e32 v7, 31, v6
	v_lshlrev_b32_e32 v12, 4, v1
	s_xor_b64 exec, exec, s[34:35]
	s_cbranch_execz .LBB100_13
; %bb.8:
	s_load_dwordx2 s[0:1], s[0:1], 0x20
	s_ashr_i32 s15, s14, 31
	s_lshl_b64 s[6:7], s[14:15], 1
	v_bfe_u32 v5, v0, 2, 4
	v_lshlrev_b32_e32 v2, 4, v5
	s_waitcnt lgkmcnt(0)
	s_add_u32 s0, s0, s6
	s_addc_u32 s1, s1, s7
	v_mov_b32_e32 v3, 0
	v_lshl_add_u64 v[8:9], s[0:1], 0, v[2:3]
	v_lshlrev_b32_e32 v2, 2, v0
	v_and_b32_e32 v2, 12, v2
	s_sub_i32 s15, 1, s25
	s_lshl_b64 s[0:1], s[28:29], 2
	v_lshl_add_u64 v[2:3], v[8:9], 0, v[2:3]
	v_lshlrev_b32_e32 v11, 5, v4
	v_cmp_eq_u32_e32 vcc, 0, v4
	v_lshlrev_b32_e32 v4, 2, v5
	s_add_u32 s0, s26, s0
	v_mbcnt_hi_u32_b32 v8, -1, v15
	v_lshl_or_b32 v4, v1, 6, v4
	s_addc_u32 s1, s27, s1
	v_and_b32_e32 v9, 64, v8
	s_mov_b32 s41, s13
	v_cmp_neq_f32_e64 s[6:7], s10, 0
	v_add3_u32 v13, s33, v12, v5
	v_add_u32_e32 v14, 0x90, v4
	v_lshl_add_u64 v[4:5], v[6:7], 2, s[0:1]
	s_mov_b64 s[36:37], 0
	v_mov_b32_e32 v10, 0xff7fffff
	v_add_u32_e32 v9, 64, v9
	v_xor_b32_e32 v15, 2, v8
	v_xor_b32_e32 v16, 1, v8
	v_mov_b32_e32 v17, v6
	s_branch .LBB100_10
.LBB100_9:                              ;   in Loop: Header=BB100_10 Depth=1
	s_or_b64 exec, exec, s[38:39]
	v_add_u32_e32 v17, 2, v17
	v_cmp_le_i32_e64 s[0:1], s21, v17
	v_add_u32_e32 v13, 32, v13
	v_add_u32_e32 v14, 0x80, v14
	s_or_b64 s[36:37], s[0:1], s[36:37]
	v_lshl_add_u64 v[4:5], v[4:5], 0, 8
	s_andn2_b64 exec, exec, s[36:37]
	s_cbranch_execz .LBB100_12
.LBB100_10:                             ; =>This Inner Loop Header: Depth=1
	global_load_dword v18, v[4:5], off
	s_waitcnt vmcnt(0) lgkmcnt(0)
	v_mad_i64_i32 v[18:19], s[0:1], v18, s41, 0
	v_lshl_add_u64 v[18:19], v[18:19], 1, v[2:3]
	global_load_dword v20, v[18:19], off
	global_load_dword v21, v[18:19], off offset:256
	global_load_dword v22, v[18:19], off offset:512
	;; [unrolled: 1-line block ×7, first 2 shown]
	ds_read_b32 v18, v11
	v_cmp_lt_i32_e64 s[0:1], v15, v9
	s_waitcnt lgkmcnt(0)
	v_lshrrev_b32_e32 v28, 16, v18
	v_and_b32_e32 v18, 0xffff, v18
	;;#ASMSTART
	v_cvt_f32_f16 v18, v18;
	;;#ASMEND
	;;#ASMSTART
	v_cvt_f32_f16 v28, v28;
	;;#ASMEND
	v_cndmask_b32_e64 v19, v8, v15, s[0:1]
	v_lshlrev_b32_e32 v19, 2, v19
	v_cmp_lt_i32_e64 s[0:1], v16, v9
	s_waitcnt vmcnt(7)
	v_lshrrev_b32_e32 v29, 16, v20
	v_and_b32_e32 v20, 0xffff, v20
	;;#ASMSTART
	v_cvt_f32_f16 v20, v20;
	;;#ASMEND
	;;#ASMSTART
	v_cvt_f32_f16 v29, v29;
	;;#ASMEND
	ds_read_b32 v30, v11 offset:4
	s_waitcnt vmcnt(6)
	v_lshrrev_b32_e32 v31, 16, v21
	v_and_b32_e32 v21, 0xffff, v21
	s_waitcnt vmcnt(5)
	v_lshrrev_b32_e32 v32, 16, v22
	v_and_b32_e32 v22, 0xffff, v22
	s_waitcnt lgkmcnt(0)
	v_lshrrev_b32_e32 v33, 16, v30
	v_and_b32_e32 v30, 0xffff, v30
	;;#ASMSTART
	v_cvt_f32_f16 v30, v30;
	;;#ASMEND
	;;#ASMSTART
	v_cvt_f32_f16 v33, v33;
	;;#ASMEND
	;; [unrolled: 3-line block ×4, first 2 shown]
	ds_read_b32 v34, v11 offset:8
	s_waitcnt vmcnt(4)
	v_lshrrev_b32_e32 v35, 16, v23
	v_and_b32_e32 v23, 0xffff, v23
	s_waitcnt vmcnt(3)
	v_lshrrev_b32_e32 v36, 16, v24
	v_and_b32_e32 v24, 0xffff, v24
	s_waitcnt lgkmcnt(0)
	v_lshrrev_b32_e32 v37, 16, v34
	v_and_b32_e32 v34, 0xffff, v34
	;;#ASMSTART
	v_cvt_f32_f16 v34, v34;
	;;#ASMEND
	;;#ASMSTART
	v_cvt_f32_f16 v37, v37;
	;;#ASMEND
	;; [unrolled: 3-line block ×4, first 2 shown]
	ds_read_b32 v38, v11 offset:12
	v_mul_f32_e32 v21, v30, v21
	v_mul_f32_e32 v30, v33, v31
	s_waitcnt vmcnt(2)
	v_lshrrev_b32_e32 v39, 16, v25
	v_and_b32_e32 v25, 0xffff, v25
	s_waitcnt lgkmcnt(0)
	v_lshrrev_b32_e32 v41, 16, v38
	v_and_b32_e32 v38, 0xffff, v38
	;;#ASMSTART
	v_cvt_f32_f16 v38, v38;
	;;#ASMEND
	;;#ASMSTART
	v_cvt_f32_f16 v41, v41;
	;;#ASMEND
	;; [unrolled: 3-line block ×4, first 2 shown]
	ds_read_b32 v42, v11 offset:16
	v_fmac_f32_e32 v21, v18, v20
	v_fmac_f32_e32 v30, v28, v29
	;; [unrolled: 1-line block ×4, first 2 shown]
	s_waitcnt lgkmcnt(0)
	v_lshrrev_b32_e32 v31, 16, v42
	v_and_b32_e32 v33, 0xffff, v42
	;;#ASMSTART
	v_cvt_f32_f16 v33, v33;
	;;#ASMEND
	;;#ASMSTART
	v_cvt_f32_f16 v31, v31;
	;;#ASMEND
	;; [unrolled: 3-line block ×4, first 2 shown]
	ds_read_b32 v42, v11 offset:20
	s_waitcnt vmcnt(1)
	v_lshrrev_b32_e32 v40, 16, v26
	v_and_b32_e32 v26, 0xffff, v26
	v_fmac_f32_e32 v21, v33, v24
	v_fmac_f32_e32 v30, v37, v32
	s_waitcnt lgkmcnt(0)
	v_lshrrev_b32_e32 v18, 16, v42
	v_and_b32_e32 v20, 0xffff, v42
	;;#ASMSTART
	v_cvt_f32_f16 v20, v20;
	;;#ASMEND
	;;#ASMSTART
	v_cvt_f32_f16 v18, v18;
	;;#ASMEND
	;; [unrolled: 3-line block ×4, first 2 shown]
	ds_read_b32 v28, v11 offset:24
	v_fmac_f32_e32 v30, v41, v35
	v_fmac_f32_e32 v30, v31, v36
	v_fmac_f32_e32 v21, v20, v22
	v_fmac_f32_e32 v30, v18, v25
	s_waitcnt lgkmcnt(0)
	v_lshrrev_b32_e32 v23, 16, v28
	v_and_b32_e32 v24, 0xffff, v28
	;;#ASMSTART
	v_cvt_f32_f16 v24, v24;
	;;#ASMEND
	;;#ASMSTART
	v_cvt_f32_f16 v23, v23;
	;;#ASMEND
	;; [unrolled: 3-line block ×4, first 2 shown]
	ds_read_b32 v29, v11 offset:28
	v_fmac_f32_e32 v21, v24, v26
	v_fmac_f32_e32 v30, v23, v28
	s_waitcnt vmcnt(0)
	v_lshrrev_b32_e32 v43, 16, v27
	v_and_b32_e32 v27, 0xffff, v27
	s_waitcnt lgkmcnt(0)
	v_lshrrev_b32_e32 v18, 16, v29
	v_and_b32_e32 v20, 0xffff, v29
	;;#ASMSTART
	v_cvt_f32_f16 v20, v20;
	;;#ASMEND
	;;#ASMSTART
	v_cvt_f32_f16 v18, v18;
	;;#ASMEND
	;; [unrolled: 3-line block ×4, first 2 shown]
	s_nop 0
	v_fmac_f32_e32 v21, v20, v22
	v_fmac_f32_e32 v30, v18, v23
	v_add_f32_e32 v18, v21, v30
	ds_bpermute_b32 v19, v19, v18
	v_cndmask_b32_e64 v20, v8, v16, s[0:1]
	s_waitcnt lgkmcnt(0)
	v_add_f32_e32 v18, v18, v19
	v_lshlrev_b32_e32 v19, 2, v20
	ds_bpermute_b32 v19, v19, v18
	s_and_saveexec_b64 s[38:39], vcc
	s_cbranch_execz .LBB100_9
; %bb.11:                               ;   in Loop: Header=BB100_10 Depth=1
	v_add_u32_e32 v20, s15, v13
	v_cvt_f32_i32_e32 v20, v20
	s_waitcnt lgkmcnt(0)
	v_add_f32_e32 v18, v18, v19
	v_cmp_gt_i32_e64 s[0:1], s25, v13
	v_max_f32_e32 v19, v10, v10
	v_mul_f32_e32 v20, s10, v20
	v_cndmask_b32_e64 v20, 0, v20, s[6:7]
	v_fmac_f32_e32 v20, s11, v18
	v_cndmask_b32_e64 v18, 0, v20, s[0:1]
	ds_write_b32 v14, v18
	v_max_f32_e32 v18, v19, v20
	v_cndmask_b32_e64 v10, v10, v18, s[0:1]
	s_branch .LBB100_9
.LBB100_12:
	s_or_b64 exec, exec, s[36:37]
.LBB100_13:
	s_or_b64 exec, exec, s[34:35]
	v_xor_b32_e32 v2, 32, v8
	v_cmp_lt_i32_e32 vcc, v2, v9
	v_xor_b32_e32 v5, 16, v8
	v_max_f32_e32 v4, v10, v10
	v_cndmask_b32_e32 v2, v8, v2, vcc
	v_lshlrev_b32_e32 v2, 2, v2
	ds_bpermute_b32 v3, v2, v10
	v_cmp_lt_i32_e32 vcc, v5, v9
	v_xor_b32_e32 v10, 8, v8
	v_and_b32_e32 v16, 63, v0
	s_waitcnt lgkmcnt(0)
	v_max_f32_e32 v3, v3, v3
	v_max_f32_e32 v4, v4, v3
	v_cndmask_b32_e32 v3, v8, v5, vcc
	v_lshlrev_b32_e32 v3, 2, v3
	ds_bpermute_b32 v5, v3, v4
	v_cmp_lt_i32_e32 vcc, v10, v9
	s_waitcnt lgkmcnt(0)
	v_max_f32_e32 v5, v5, v5
	v_max_f32_e32 v4, v4, v5
	v_cndmask_b32_e32 v5, v8, v10, vcc
	v_lshlrev_b32_e32 v11, 2, v5
	ds_bpermute_b32 v5, v11, v4
	v_xor_b32_e32 v10, 4, v8
	v_cmp_lt_i32_e32 vcc, v10, v9
	s_waitcnt lgkmcnt(0)
	v_max_f32_e32 v5, v5, v5
	v_max_f32_e32 v4, v4, v5
	v_cndmask_b32_e32 v5, v8, v10, vcc
	v_lshlrev_b32_e32 v13, 2, v5
	ds_bpermute_b32 v10, v13, v4
	v_cmp_eq_u32_e32 vcc, 0, v16
	v_lshlrev_b32_e32 v5, 2, v1
	s_and_saveexec_b64 s[0:1], vcc
	s_cbranch_execz .LBB100_15
; %bb.14:
	s_waitcnt lgkmcnt(0)
	v_max_f32_e32 v10, v10, v10
	v_max_f32_e32 v4, v4, v4
	;; [unrolled: 1-line block ×3, first 2 shown]
	ds_write_b32 v5, v4 offset:128
.LBB100_15:
	s_or_b64 exec, exec, s[0:1]
	v_cmp_gt_u32_e64 s[0:1], 2, v16
	v_mov_b32_e32 v4, 0xff7fffff
	s_waitcnt lgkmcnt(0)
	v_lshlrev_b32_e32 v10, 2, v16
	s_barrier
	s_and_saveexec_b64 s[6:7], s[0:1]
	s_cbranch_execz .LBB100_17
; %bb.16:
	ds_read_b32 v4, v10 offset:128
.LBB100_17:
	s_or_b64 exec, exec, s[6:7]
	v_xor_b32_e32 v14, 1, v8
	v_cmp_lt_i32_e64 s[6:7], v14, v9
	s_sub_i32 s3, s21, s3
	s_lshl_b32 s3, s3, 4
	v_cndmask_b32_e64 v14, v8, v14, s[6:7]
	v_lshlrev_b32_e32 v17, 2, v14
	s_waitcnt lgkmcnt(0)
	ds_bpermute_b32 v14, v17, v4
	v_max_f32_e32 v4, v4, v4
	s_add_i32 s3, s3, s33
	s_min_i32 s15, s3, s25
	s_sub_i32 s3, s15, s33
	s_waitcnt lgkmcnt(0)
	v_max_f32_e32 v14, v14, v14
	v_max_f32_e32 v4, v4, v14
	v_lshlrev_b32_e32 v14, 2, v8
	v_and_b32_e32 v14, 0xffffff00, v14
	ds_bpermute_b32 v4, v14, v4
	v_cmp_gt_i32_e64 s[6:7], s3, v0
	v_mov_b32_e32 v15, 0
	s_and_saveexec_b64 s[34:35], s[6:7]
	s_cbranch_execz .LBB100_21
; %bb.18:
	v_mov_b32_e32 v15, 0x90
	v_lshl_add_u32 v18, v0, 2, v15
	s_mov_b64 s[36:37], 0
	v_mov_b32_e32 v15, 0
	v_mov_b32_e32 v19, v0
.LBB100_19:                             ; =>This Inner Loop Header: Depth=1
	ds_read_b32 v20, v18
	v_add_u32_e32 v19, 0x80, v19
	v_cmp_le_i32_e64 s[10:11], s3, v19
	s_or_b64 s[36:37], s[10:11], s[36:37]
	s_waitcnt lgkmcnt(0)
	v_sub_f32_e32 v20, v20, v4
	v_mul_f32_e32 v20, 0x3fb8aa3b, v20
	v_exp_f32_e32 v20, v20
	ds_write_b32 v18, v20
	v_add_f32_e32 v15, v15, v20
	v_add_u32_e32 v18, 0x200, v18
	s_andn2_b64 exec, exec, s[36:37]
	s_cbranch_execnz .LBB100_19
; %bb.20:
	s_or_b64 exec, exec, s[36:37]
.LBB100_21:
	s_or_b64 exec, exec, s[34:35]
	ds_bpermute_b32 v2, v2, v15
	s_waitcnt lgkmcnt(0)
	v_add_f32_e32 v2, v15, v2
	ds_bpermute_b32 v3, v3, v2
	s_waitcnt lgkmcnt(0)
	v_add_f32_e32 v2, v2, v3
	ds_bpermute_b32 v3, v11, v2
	v_xor_b32_e32 v11, 2, v8
	v_cmp_lt_i32_e64 s[10:11], v11, v9
	s_waitcnt lgkmcnt(0)
	v_add_f32_e32 v2, v2, v3
	ds_bpermute_b32 v3, v13, v2
	v_cndmask_b32_e64 v8, v8, v11, s[10:11]
	s_waitcnt lgkmcnt(0)
	v_add_f32_e32 v2, v2, v3
	v_lshlrev_b32_e32 v3, 2, v8
	ds_bpermute_b32 v3, v3, v2
	s_waitcnt lgkmcnt(0)
	v_add_f32_e32 v2, v2, v3
	ds_bpermute_b32 v3, v17, v2
	s_waitcnt lgkmcnt(0)
	v_add_f32_e32 v2, v2, v3
	s_and_saveexec_b64 s[10:11], vcc
	s_cbranch_execz .LBB100_23
; %bb.22:
	ds_write_b32 v5, v2 offset:136
.LBB100_23:
	s_or_b64 exec, exec, s[10:11]
	s_waitcnt lgkmcnt(0)
	s_barrier
	s_and_saveexec_b64 s[10:11], s[0:1]
	s_cbranch_execz .LBB100_25
; %bb.24:
	ds_read_b32 v2, v10 offset:136
.LBB100_25:
	s_or_b64 exec, exec, s[10:11]
	s_waitcnt lgkmcnt(0)
	ds_bpermute_b32 v3, v17, v2
	s_waitcnt lgkmcnt(0)
	v_add_f32_e32 v2, v2, v3
	ds_bpermute_b32 v5, v14, v2
	s_and_saveexec_b64 s[0:1], s[6:7]
	s_cbranch_execz .LBB100_38
; %bb.26:
	s_waitcnt lgkmcnt(0)
	v_add_f32_e32 v2, 0x358637bd, v5
	v_div_scale_f32 v3, s[6:7], v2, v2, 1.0
	v_rcp_f32_e32 v8, v3
	v_div_scale_f32 v9, vcc, 1.0, v2, 1.0
	s_movk_i32 s6, 0x7f
	v_fma_f32 v10, -v3, v8, 1.0
	v_fmac_f32_e32 v8, v10, v8
	v_mul_f32_e32 v10, v9, v8
	v_fma_f32 v11, -v3, v10, v9
	v_fmac_f32_e32 v10, v11, v8
	v_fma_f32 v3, -v3, v10, v9
	v_div_fmas_f32 v3, v3, v8, v10
	v_div_fixup_f32 v2, v3, v2, 1.0
	v_xad_u32 v3, v0, -1, s15
	v_subrev_u32_e32 v8, s33, v3
	v_cmp_lt_u32_e32 vcc, s6, v8
	s_mov_b64 s[10:11], -1
	v_mov_b32_e32 v3, v0
	s_and_saveexec_b64 s[6:7], vcc
	s_cbranch_execz .LBB100_35
; %bb.27:
	v_lshrrev_b32_e32 v8, 7, v8
	v_add_u32_e32 v10, -1, v8
	v_lshrrev_b32_e32 v9, 1, v10
	v_mov_b32_e32 v3, v2
	v_add_u32_e32 v9, 1, v9
	v_cmp_lt_u32_e32 vcc, 13, v10
	v_mov_b32_e32 v13, 0
	s_and_saveexec_b64 s[10:11], vcc
	s_cbranch_execz .LBB100_31
; %bb.28:
	v_mov_b32_e32 v11, 0x90
	v_and_b32_e32 v10, -8, v9
	v_lshl_add_u32 v11, v0, 2, v11
	s_mov_b32 s15, 0
	s_mov_b64 s[34:35], 0
.LBB100_29:                             ; =>This Inner Loop Header: Depth=1
	ds_read2st64_b32 v[14:15], v11 offset1:2
	ds_read2st64_b32 v[18:19], v11 offset0:4 offset1:6
	ds_read2st64_b32 v[20:21], v11 offset0:8 offset1:10
	;; [unrolled: 1-line block ×3, first 2 shown]
	v_add_u32_e32 v10, -8, v10
	s_waitcnt lgkmcnt(3)
	v_pk_mul_f32 v[14:15], v[2:3], v[14:15]
	s_waitcnt lgkmcnt(2)
	v_pk_mul_f32 v[18:19], v[2:3], v[18:19]
	ds_write2st64_b32 v11, v14, v15 offset1:2
	ds_write2st64_b32 v11, v18, v19 offset0:4 offset1:6
	ds_read2st64_b32 v[18:19], v11 offset0:16 offset1:18
	s_waitcnt lgkmcnt(4)
	v_pk_mul_f32 v[14:15], v[2:3], v[20:21]
	ds_write2st64_b32 v11, v14, v15 offset0:8 offset1:10
	s_waitcnt lgkmcnt(4)
	v_pk_mul_f32 v[14:15], v[2:3], v[22:23]
	ds_write2st64_b32 v11, v14, v15 offset0:12 offset1:14
	ds_read2st64_b32 v[14:15], v11 offset0:20 offset1:22
	s_waitcnt lgkmcnt(3)
	v_pk_mul_f32 v[18:19], v[2:3], v[18:19]
	ds_read2st64_b32 v[20:21], v11 offset0:24 offset1:26
	ds_write2st64_b32 v11, v18, v19 offset0:16 offset1:18
	ds_read2st64_b32 v[18:19], v11 offset0:28 offset1:30
	s_waitcnt lgkmcnt(3)
	v_pk_mul_f32 v[14:15], v[2:3], v[14:15]
	ds_write2st64_b32 v11, v14, v15 offset0:20 offset1:22
	s_waitcnt lgkmcnt(3)
	v_pk_mul_f32 v[14:15], v[2:3], v[20:21]
	ds_write2st64_b32 v11, v14, v15 offset0:24 offset1:26
	s_waitcnt lgkmcnt(2)
	v_pk_mul_f32 v[14:15], v[2:3], v[18:19]
	s_add_i32 s15, s15, 16
	v_cmp_eq_u32_e32 vcc, 0, v10
	ds_write2st64_b32 v11, v14, v15 offset0:28 offset1:30
	v_add_u32_e32 v11, 0x2000, v11
	s_or_b64 s[34:35], vcc, s[34:35]
	v_mov_b32_e32 v13, s15
	s_andn2_b64 exec, exec, s[34:35]
	s_cbranch_execnz .LBB100_29
; %bb.30:
	s_or_b64 exec, exec, s[34:35]
.LBB100_31:
	s_or_b64 exec, exec, s[10:11]
	v_and_b32_e32 v9, 7, v9
	v_cmp_ne_u32_e32 vcc, 0, v9
	s_and_saveexec_b64 s[10:11], vcc
	s_cbranch_execz .LBB100_34
; %bb.32:
	v_lshlrev_b32_e32 v10, 9, v13
	v_lshlrev_b32_e32 v11, 2, v0
	s_movk_i32 s15, 0x90
	v_add3_u32 v10, v10, v11, s15
	s_mov_b64 s[34:35], 0
.LBB100_33:                             ; =>This Inner Loop Header: Depth=1
	ds_read2st64_b32 v[14:15], v10 offset1:2
	v_add_u32_e32 v9, -1, v9
	v_cmp_eq_u32_e32 vcc, 0, v9
	s_or_b64 s[34:35], vcc, s[34:35]
	s_waitcnt lgkmcnt(0)
	v_pk_mul_f32 v[14:15], v[2:3], v[14:15]
	ds_write2st64_b32 v10, v14, v15 offset1:2
	v_add_u32_e32 v10, 0x400, v10
	s_andn2_b64 exec, exec, s[34:35]
	s_cbranch_execnz .LBB100_33
.LBB100_34:
	s_or_b64 exec, exec, s[10:11]
	v_add_u32_e32 v8, 1, v8
	v_and_b32_e32 v9, 0x3fffffe, v8
	v_cmp_ne_u32_e32 vcc, v8, v9
	v_lshl_add_u32 v3, v9, 7, v0
	s_orn2_b64 s[10:11], vcc, exec
.LBB100_35:
	s_or_b64 exec, exec, s[6:7]
	s_and_b64 exec, exec, s[10:11]
	s_cbranch_execz .LBB100_38
; %bb.36:
	v_mov_b32_e32 v8, 0x90
	v_lshl_add_u32 v8, v3, 2, v8
	s_mov_b64 s[6:7], 0
.LBB100_37:                             ; =>This Inner Loop Header: Depth=1
	ds_read_b32 v9, v8
	v_add_u32_e32 v3, 0x80, v3
	v_cmp_le_i32_e32 vcc, s3, v3
	s_or_b64 s[6:7], vcc, s[6:7]
	s_waitcnt lgkmcnt(0)
	v_mul_f32_e32 v9, v2, v9
	ds_write_b32 v8, v9
	v_add_u32_e32 v8, 0x200, v8
	s_andn2_b64 exec, exec, s[6:7]
	s_cbranch_execnz .LBB100_37
.LBB100_38:
	s_or_b64 exec, exec, s[0:1]
	s_mul_i32 s0, s12, s24
	v_cmp_eq_u32_e32 vcc, 0, v0
	s_mul_i32 s6, s0, s5
	s_waitcnt lgkmcnt(0)
	s_barrier
	s_and_saveexec_b64 s[0:1], vcc
	s_cbranch_execz .LBB100_40
; %bb.39:
	s_ashr_i32 s7, s6, 31
	s_lshl_b64 s[10:11], s[6:7], 2
	s_add_u32 s5, s18, s10
	s_mul_i32 s2, s12, s2
	s_addc_u32 s7, s19, s11
	s_ashr_i32 s3, s2, 31
	s_lshl_b64 s[2:3], s[2:3], 2
	s_add_u32 s15, s5, s2
	s_addc_u32 s7, s7, s3
	s_ashr_i32 s5, s4, 31
	s_lshl_b64 s[18:19], s[4:5], 2
	s_add_u32 s34, s15, s18
	s_addc_u32 s35, s7, s19
	s_add_u32 s5, s16, s10
	s_addc_u32 s7, s17, s11
	;; [unrolled: 2-line block ×3, first 2 shown]
	s_add_u32 s2, s2, s18
	v_mov_b32_e32 v2, 0
	s_addc_u32 s3, s3, s19
	global_store_dword v2, v4, s[34:35]
	global_store_dword v2, v5, s[2:3]
.LBB100_40:
	s_or_b64 exec, exec, s[0:1]
	v_mov_b32_e32 v9, 0
	v_and_b32_e32 v18, 1, v0
	v_mov_b32_e32 v8, 0
	s_and_saveexec_b64 s[2:3], s[8:9]
	s_cbranch_execz .LBB100_48
; %bb.41:
	s_ashr_i32 s15, s14, 31
	s_lshl_b64 s[0:1], s[14:15], 1
	s_add_u32 s0, s30, s0
	v_lshlrev_b32_e32 v3, 4, v0
	v_lshlrev_b32_e32 v2, 3, v0
	s_addc_u32 s1, s31, s1
	v_and_b32_e32 v8, 0x3f0, v3
	v_mov_b32_e32 v9, 0
	v_and_b32_e32 v2, 8, v2
	s_add_i32 s40, s40, -1
	v_lshl_add_u64 v[10:11], s[0:1], 0, v[8:9]
	s_lshl_b64 s[0:1], s[28:29], 2
	v_add3_u32 v19, s33, v12, v2
	v_lshlrev_b32_e32 v2, 5, v18
	s_add_u32 s0, s26, s0
	v_lshl_or_b32 v1, v1, 6, v2
	s_addc_u32 s1, s27, s1
	s_mov_b32 s5, s13
	s_mov_b32 s7, s25
	;; [unrolled: 1-line block ×8, first 2 shown]
	v_add_u32_e32 v1, 0x90, v1
	v_lshl_add_u64 v[12:13], v[6:7], 2, s[0:1]
	s_mov_b64 s[8:9], 0
	s_mov_b32 s19, 0x5040100
	v_mov_b32_e32 v8, v9
	s_branch .LBB100_43
.LBB100_42:                             ;   in Loop: Header=BB100_43 Depth=1
	s_or_b64 exec, exec, s[0:1]
	s_waitcnt vmcnt(0)
	;;#ASMSTART
	v_pk_mul_f16 v2, v29, v2;

	;;#ASMEND
	;;#ASMSTART
	v_pk_mul_f16 v3, v28, v3;

	;;#ASMEND
	;; [unrolled: 4-line block ×4, first 2 shown]
	v_add_u32_e32 v6, 2, v6
	;;#ASMSTART
	v_pk_add_f16 v2, v2, v3;

	;;#ASMEND
	v_add_f32_e32 v7, v30, v31
	;;#ASMSTART
	v_pk_add_f16 v2, v2, v4;

	;;#ASMEND
	v_cmp_le_i32_e32 vcc, s21, v6
	;;#ASMSTART
	v_pk_add_f16 v2, v2, v5;

	;;#ASMEND
	v_add_f32_e32 v8, v8, v7
	v_lshrrev_b32_e32 v3, 16, v2
	v_and_b32_e32 v2, 0xffff, v2
	;;#ASMSTART
	v_cvt_f32_f16 v2, v2;
	;;#ASMEND
	;;#ASMSTART
	v_cvt_f32_f16 v3, v3;
	;;#ASMEND
	v_add_u32_e32 v19, 32, v19
	v_add_f32_e32 v2, v2, v3
	v_add_f32_e32 v9, v9, v2
	v_add_u32_e32 v1, 0x80, v1
	s_or_b64 s[8:9], vcc, s[8:9]
	v_lshl_add_u64 v[12:13], v[12:13], 0, 8
	s_andn2_b64 exec, exec, s[8:9]
	s_cbranch_execz .LBB100_47
.LBB100_43:                             ; =>This Inner Loop Header: Depth=1
	global_load_dword v7, v[12:13], off
	ds_read2_b64 v[2:5], v1 offset1:1
	ds_read2_b64 v[20:23], v1 offset0:2 offset1:3
	v_cmp_eq_u32_e32 vcc, s40, v6
	v_or_b32_e32 v25, 7, v19
	s_waitcnt lgkmcnt(1)
	;;#ASMSTART
	v_cvt_f16_f32 v26, v2;

	;;#ASMEND
	;;#ASMSTART
	v_cvt_f16_f32 v27, v3;

	;;#ASMEND
	;; [unrolled: 4-line block ×4, first 2 shown]
	s_waitcnt lgkmcnt(0)
	;;#ASMSTART
	v_cvt_f16_f32 v31, v20;

	;;#ASMEND
	;;#ASMSTART
	v_cvt_f16_f32 v32, v21;

	;;#ASMEND
	;; [unrolled: 4-line block ×4, first 2 shown]
	v_or_b32_e32 v21, 3, v19
	v_or_b32_e32 v20, 2, v19
	;; [unrolled: 1-line block ×5, first 2 shown]
	s_waitcnt vmcnt(0)
	v_mad_i64_i32 v[2:3], s[0:1], v7, s5, 0
	v_lshl_add_u64 v[14:15], v[2:3], 1, v[10:11]
	global_load_dwordx4 v[2:5], v[14:15], off
	v_add_u32_e32 v7, 1, v19
	s_and_saveexec_b64 s[10:11], vcc
	s_cbranch_execz .LBB100_45
; %bb.44:                               ;   in Loop: Header=BB100_43 Depth=1
	s_waitcnt vmcnt(0)
	v_lshrrev_b32_e32 v29, 16, v5
	v_cmp_gt_i32_e64 s[0:1], s18, v25
	s_nop 1
	v_cndmask_b32_e64 v29, 0, v29, s[0:1]
	v_cmp_gt_i32_e64 s[0:1], s17, v24
	s_nop 1
	v_cndmask_b32_e64 v5, 0, v5, s[0:1]
	v_perm_b32 v5, v29, v5, s19
	v_lshrrev_b32_e32 v29, 16, v4
	v_cmp_gt_i32_e64 s[0:1], s16, v23
	s_nop 1
	v_cndmask_b32_e64 v29, 0, v29, s[0:1]
	v_cmp_gt_i32_e64 s[0:1], s15, v22
	s_nop 1
	v_cndmask_b32_e64 v4, 0, v4, s[0:1]
	v_perm_b32 v4, v29, v4, s19
	;; [unrolled: 8-line block ×4, first 2 shown]
.LBB100_45:                             ;   in Loop: Header=BB100_43 Depth=1
	s_or_b64 exec, exec, s[10:11]
	v_and_b32_e32 v26, 0xffff, v26
	v_lshl_or_b32 v29, v27, 16, v26
	v_and_b32_e32 v26, 0xffff, v28
	v_lshl_or_b32 v28, v30, 16, v26
	;; [unrolled: 2-line block ×3, first 2 shown]
	v_and_b32_e32 v26, 0xffff, v33
	s_waitcnt vmcnt(0)
	;;#ASMSTART
	v_pk_mul_f16 v2, v29, v2;

	;;#ASMEND
	v_lshl_or_b32 v26, v34, 16, v26
	;;#ASMSTART
	v_pk_mul_f16 v3, v28, v3;

	;;#ASMEND
	;;#ASMSTART
	v_pk_mul_f16 v4, v27, v4;

	;;#ASMEND
	;; [unrolled: 4-line block ×3, first 2 shown]
	s_nop 0
	;;#ASMSTART
	v_pk_add_f16 v2, v2, v3;

	;;#ASMEND
	s_nop 0
	;;#ASMSTART
	v_pk_add_f16 v2, v2, v4;

	;;#ASMEND
	;; [unrolled: 5-line block ×3, first 2 shown]
	s_nop 0
	v_lshrrev_b32_e32 v3, 16, v2
	v_and_b32_e32 v2, 0xffff, v2
	;;#ASMSTART
	v_cvt_f32_f16 v30, v2;
	;;#ASMEND
	;;#ASMSTART
	v_cvt_f32_f16 v31, v3;
	;;#ASMEND
	global_load_dwordx4 v[2:5], v[14:15], off offset:1024
	s_and_saveexec_b64 s[0:1], vcc
	s_cbranch_execz .LBB100_42
; %bb.46:                               ;   in Loop: Header=BB100_43 Depth=1
	s_waitcnt vmcnt(0)
	v_lshrrev_b32_e32 v14, 16, v5
	v_cmp_gt_i32_e32 vcc, s18, v25
	s_nop 1
	v_cndmask_b32_e32 v14, 0, v14, vcc
	v_cmp_gt_i32_e32 vcc, s17, v24
	s_nop 1
	v_cndmask_b32_e32 v5, 0, v5, vcc
	v_perm_b32 v5, v14, v5, s19
	v_lshrrev_b32_e32 v14, 16, v4
	v_cmp_gt_i32_e32 vcc, s16, v23
	s_nop 1
	v_cndmask_b32_e32 v14, 0, v14, vcc
	v_cmp_gt_i32_e32 vcc, s15, v22
	s_nop 1
	v_cndmask_b32_e32 v4, 0, v4, vcc
	v_perm_b32 v4, v14, v4, s19
	;; [unrolled: 8-line block ×4, first 2 shown]
	s_branch .LBB100_42
.LBB100_47:
	s_or_b64 exec, exec, s[8:9]
.LBB100_48:
	s_or_b64 exec, exec, s[2:3]
	ds_bpermute_b32 v2, v17, v8
	ds_bpermute_b32 v3, v17, v9
	v_and_b32_e32 v1, 0x3c1, v0
	v_cmp_eq_u32_e32 vcc, 64, v1
	s_waitcnt lgkmcnt(0)
	s_barrier
	v_pk_add_f32 v[2:3], v[8:9], v[2:3]
	s_and_saveexec_b64 s[0:1], vcc
	s_cbranch_execz .LBB100_50
; %bb.49:
	v_mov_b32_e32 v4, 0x90
	v_lshl_add_u32 v4, v16, 1, v4
	ds_write2_b32 v4, v2, v3 offset1:32
.LBB100_50:
	s_or_b64 exec, exec, s[0:1]
	v_cmp_gt_u32_e32 vcc, 64, v0
	s_waitcnt lgkmcnt(0)
	s_barrier
	s_and_saveexec_b64 s[0:1], vcc
	s_cbranch_execz .LBB100_56
; %bb.51:
	v_cmp_eq_u32_e32 vcc, 0, v18
	v_lshrrev_b32_e32 v4, 1, v0
	s_and_saveexec_b64 s[2:3], vcc
	s_cbranch_execz .LBB100_53
; %bb.52:
	v_mov_b32_e32 v5, 0x90
	v_lshl_add_u32 v5, v4, 2, v5
	ds_read_b32 v5, v5
	s_waitcnt lgkmcnt(0)
	v_add_f32_e32 v2, v2, v5
.LBB100_53:
	s_or_b64 exec, exec, s[2:3]
	s_and_saveexec_b64 s[2:3], vcc
	s_cbranch_execz .LBB100_55
; %bb.54:
	v_mov_b32_e32 v5, 0x90
	v_lshl_add_u32 v4, v4, 2, v5
	ds_read_b32 v4, v4 offset:128
	s_waitcnt lgkmcnt(0)
	v_add_f32_e32 v3, v3, v4
.LBB100_55:
	s_or_b64 exec, exec, s[2:3]
.LBB100_56:
	s_or_b64 exec, exec, s[0:1]
	v_cmp_eq_u32_e32 vcc, 0, v1
	s_barrier
	s_and_saveexec_b64 s[0:1], vcc
	s_cbranch_execz .LBB100_58
; %bb.57:
	s_lshl_b32 s0, s6, 6
	s_ashr_i32 s1, s0, 31
	s_lshl_b64 s[0:1], s[0:1], 1
	s_add_u32 s2, s22, s0
	s_mul_i32 s0, s12, s20
	s_addc_u32 s3, s23, s1
	s_ashr_i32 s1, s0, 31
	s_lshl_b64 s[0:1], s[0:1], 1
	s_add_u32 s2, s2, s0
	s_addc_u32 s3, s3, s1
	s_lshl_b32 s0, s4, 6
	s_ashr_i32 s1, s0, 31
	s_lshl_b64 s[0:1], s[0:1], 1
	s_add_u32 s0, s2, s0
	s_addc_u32 s1, s3, s1
	;;#ASMSTART
	v_cvt_f16_f32 v1, v2;

	;;#ASMEND
	global_store_short v0, v1, s[0:1]
	;;#ASMSTART
	v_cvt_f16_f32 v1, v3;

	;;#ASMEND
	global_store_short v0, v1, s[0:1] offset:64
.LBB100_58:
	s_endpgm
	.section	.rodata,"a",@progbits
	.p2align	6, 0x0
	.amdhsa_kernel _ZN4vllm25paged_attention_v2_kernelIttLi64ELi16ELi128ELNS_18Fp8KVCacheDataTypeE0ELb0ELi512EEEvPfS2_PT_PKS3_PKT0_S9_ifPKiSB_iPKfiiiSD_SD_iiiii
		.amdhsa_group_segment_fixed_size 144
		.amdhsa_private_segment_fixed_size 0
		.amdhsa_kernarg_size 400
		.amdhsa_user_sgpr_count 2
		.amdhsa_user_sgpr_dispatch_ptr 0
		.amdhsa_user_sgpr_queue_ptr 0
		.amdhsa_user_sgpr_kernarg_segment_ptr 1
		.amdhsa_user_sgpr_dispatch_id 0
		.amdhsa_user_sgpr_kernarg_preload_length 0
		.amdhsa_user_sgpr_kernarg_preload_offset 0
		.amdhsa_user_sgpr_private_segment_size 0
		.amdhsa_uses_dynamic_stack 0
		.amdhsa_enable_private_segment 0
		.amdhsa_system_sgpr_workgroup_id_x 1
		.amdhsa_system_sgpr_workgroup_id_y 1
		.amdhsa_system_sgpr_workgroup_id_z 1
		.amdhsa_system_sgpr_workgroup_info 0
		.amdhsa_system_vgpr_workitem_id 0
		.amdhsa_next_free_vgpr 44
		.amdhsa_next_free_sgpr 42
		.amdhsa_accum_offset 44
		.amdhsa_reserve_vcc 1
		.amdhsa_float_round_mode_32 0
		.amdhsa_float_round_mode_16_64 0
		.amdhsa_float_denorm_mode_32 3
		.amdhsa_float_denorm_mode_16_64 3
		.amdhsa_dx10_clamp 1
		.amdhsa_ieee_mode 1
		.amdhsa_fp16_overflow 0
		.amdhsa_tg_split 0
		.amdhsa_exception_fp_ieee_invalid_op 0
		.amdhsa_exception_fp_denorm_src 0
		.amdhsa_exception_fp_ieee_div_zero 0
		.amdhsa_exception_fp_ieee_overflow 0
		.amdhsa_exception_fp_ieee_underflow 0
		.amdhsa_exception_fp_ieee_inexact 0
		.amdhsa_exception_int_div_zero 0
	.end_amdhsa_kernel
	.section	.text._ZN4vllm25paged_attention_v2_kernelIttLi64ELi16ELi128ELNS_18Fp8KVCacheDataTypeE0ELb0ELi512EEEvPfS2_PT_PKS3_PKT0_S9_ifPKiSB_iPKfiiiSD_SD_iiiii,"axG",@progbits,_ZN4vllm25paged_attention_v2_kernelIttLi64ELi16ELi128ELNS_18Fp8KVCacheDataTypeE0ELb0ELi512EEEvPfS2_PT_PKS3_PKT0_S9_ifPKiSB_iPKfiiiSD_SD_iiiii,comdat
.Lfunc_end100:
	.size	_ZN4vllm25paged_attention_v2_kernelIttLi64ELi16ELi128ELNS_18Fp8KVCacheDataTypeE0ELb0ELi512EEEvPfS2_PT_PKS3_PKT0_S9_ifPKiSB_iPKfiiiSD_SD_iiiii, .Lfunc_end100-_ZN4vllm25paged_attention_v2_kernelIttLi64ELi16ELi128ELNS_18Fp8KVCacheDataTypeE0ELb0ELi512EEEvPfS2_PT_PKS3_PKT0_S9_ifPKiSB_iPKfiiiSD_SD_iiiii
                                        ; -- End function
	.section	.AMDGPU.csdata,"",@progbits
; Kernel info:
; codeLenInByte = 4612
; NumSgprs: 48
; NumVgprs: 44
; NumAgprs: 0
; TotalNumVgprs: 44
; ScratchSize: 0
; MemoryBound: 0
; FloatMode: 240
; IeeeMode: 1
; LDSByteSize: 144 bytes/workgroup (compile time only)
; SGPRBlocks: 5
; VGPRBlocks: 5
; NumSGPRsForWavesPerEU: 48
; NumVGPRsForWavesPerEU: 44
; AccumOffset: 44
; Occupancy: 8
; WaveLimiterHint : 1
; COMPUTE_PGM_RSRC2:SCRATCH_EN: 0
; COMPUTE_PGM_RSRC2:USER_SGPR: 2
; COMPUTE_PGM_RSRC2:TRAP_HANDLER: 0
; COMPUTE_PGM_RSRC2:TGID_X_EN: 1
; COMPUTE_PGM_RSRC2:TGID_Y_EN: 1
; COMPUTE_PGM_RSRC2:TGID_Z_EN: 1
; COMPUTE_PGM_RSRC2:TIDIG_COMP_CNT: 0
; COMPUTE_PGM_RSRC3_GFX90A:ACCUM_OFFSET: 10
; COMPUTE_PGM_RSRC3_GFX90A:TG_SPLIT: 0
	.section	.text._ZN4vllm25paged_attention_v2_kernelIttLi80ELi16ELi128ELNS_18Fp8KVCacheDataTypeE0ELb0ELi512EEEvPfS2_PT_PKS3_PKT0_S9_ifPKiSB_iPKfiiiSD_SD_iiiii,"axG",@progbits,_ZN4vllm25paged_attention_v2_kernelIttLi80ELi16ELi128ELNS_18Fp8KVCacheDataTypeE0ELb0ELi512EEEvPfS2_PT_PKS3_PKT0_S9_ifPKiSB_iPKfiiiSD_SD_iiiii,comdat
	.protected	_ZN4vllm25paged_attention_v2_kernelIttLi80ELi16ELi128ELNS_18Fp8KVCacheDataTypeE0ELb0ELi512EEEvPfS2_PT_PKS3_PKT0_S9_ifPKiSB_iPKfiiiSD_SD_iiiii ; -- Begin function _ZN4vllm25paged_attention_v2_kernelIttLi80ELi16ELi128ELNS_18Fp8KVCacheDataTypeE0ELb0ELi512EEEvPfS2_PT_PKS3_PKT0_S9_ifPKiSB_iPKfiiiSD_SD_iiiii
	.globl	_ZN4vllm25paged_attention_v2_kernelIttLi80ELi16ELi128ELNS_18Fp8KVCacheDataTypeE0ELb0ELi512EEEvPfS2_PT_PKS3_PKT0_S9_ifPKiSB_iPKfiiiSD_SD_iiiii
	.p2align	8
	.type	_ZN4vllm25paged_attention_v2_kernelIttLi80ELi16ELi128ELNS_18Fp8KVCacheDataTypeE0ELb0ELi512EEEvPfS2_PT_PKS3_PKT0_S9_ifPKiSB_iPKfiiiSD_SD_iiiii,@function
_ZN4vllm25paged_attention_v2_kernelIttLi80ELi16ELi128ELNS_18Fp8KVCacheDataTypeE0ELb0ELi512EEEvPfS2_PT_PKS3_PKT0_S9_ifPKiSB_iPKfiiiSD_SD_iiiii: ; @_ZN4vllm25paged_attention_v2_kernelIttLi80ELi16ELi128ELNS_18Fp8KVCacheDataTypeE0ELb0ELi512EEEvPfS2_PT_PKS3_PKT0_S9_ifPKiSB_iPKfiiiSD_SD_iiiii
; %bb.0:
	s_load_dwordx2 s[6:7], s[0:1], 0x40
	s_mov_b32 s24, s3
	s_ashr_i32 s25, s3, 31
	s_lshl_b64 s[8:9], s[24:25], 2
	s_waitcnt lgkmcnt(0)
	s_add_u32 s6, s6, s8
	s_addc_u32 s7, s7, s9
	s_load_dword s25, s[6:7], 0x0
	s_lshl_b32 s40, s4, 9
	s_waitcnt lgkmcnt(0)
	s_cmp_ge_i32 s40, s25
	s_cbranch_scc1 .LBB101_70
; %bb.1:
	s_load_dword s5, s[0:1], 0x90
	s_load_dwordx2 s[10:11], s[0:1], 0x30
	s_mov_b32 s41, 0
	s_waitcnt lgkmcnt(0)
	s_abs_i32 s7, s5
	s_abs_i32 s3, s10
	v_cvt_f32_u32_e32 v1, s3
	s_sub_i32 s8, 0, s3
	s_xor_b32 s6, s5, s10
	s_ashr_i32 s6, s6, 31
	v_rcp_iflag_f32_e32 v1, v1
	s_nop 0
	v_mul_f32_e32 v1, 0x4f7ffffe, v1
	v_cvt_u32_f32_e32 v1, v1
	s_nop 0
	v_readfirstlane_b32 s9, v1
	s_mul_i32 s8, s8, s9
	s_mul_hi_u32 s8, s9, s8
	s_add_i32 s9, s9, s8
	s_mul_hi_u32 s8, s7, s9
	s_mul_i32 s9, s8, s3
	s_sub_i32 s7, s7, s9
	s_add_i32 s10, s8, 1
	s_sub_i32 s9, s7, s3
	s_cmp_ge_u32 s7, s3
	s_cselect_b32 s8, s10, s8
	s_cselect_b32 s7, s9, s7
	s_add_i32 s9, s8, 1
	s_cmp_ge_u32 s7, s3
	s_cselect_b32 s3, s9, s8
	s_xor_b32 s3, s3, s6
	s_sub_i32 s10, s3, s6
	s_abs_i32 s8, s10
	v_cvt_f32_u32_e32 v1, s8
	s_load_dwordx2 s[6:7], s[0:1], 0x50
	s_sub_i32 s3, 0, s8
	s_abs_i32 s9, s2
	v_rcp_iflag_f32_e32 v1, v1
	s_nop 0
	v_mul_f32_e32 v1, 0x4f7ffffe, v1
	v_cvt_u32_f32_e32 v1, v1
	s_nop 0
	v_readfirstlane_b32 s12, v1
	s_mul_i32 s3, s3, s12
	s_mul_hi_u32 s3, s12, s3
	s_add_i32 s12, s12, s3
	s_waitcnt lgkmcnt(0)
	s_cmp_eq_u64 s[6:7], 0
	s_mul_hi_u32 s16, s9, s12
	s_cbranch_scc1 .LBB101_3
; %bb.2:
	s_ashr_i32 s3, s2, 31
	s_lshl_b64 s[12:13], s[2:3], 2
	s_add_u32 s6, s6, s12
	s_addc_u32 s7, s7, s13
	s_load_dword s41, s[6:7], 0x0
.LBB101_3:
	s_load_dwordx4 s[12:15], s[0:1], 0x58
	s_ashr_i32 s17, s2, 31
	s_waitcnt lgkmcnt(0)
	s_ashr_i32 s15, s10, 31
	v_and_b32_e32 v4, 3, v0
	s_mul_i32 s20, s2, 0x50
	v_cmp_gt_u32_e32 vcc, 40, v0
	s_and_saveexec_b64 s[6:7], vcc
	s_cbranch_execz .LBB101_5
; %bb.4:
	s_load_dwordx2 s[18:19], s[0:1], 0x18
	s_mul_i32 s22, s24, s12
	s_ashr_i32 s23, s22, 31
	s_lshl_b64 s[22:23], s[22:23], 1
	v_lshlrev_b32_e32 v1, 2, v0
	s_waitcnt lgkmcnt(0)
	s_add_u32 s3, s18, s22
	s_addc_u32 s10, s19, s23
	s_ashr_i32 s21, s20, 31
	s_lshl_b64 s[18:19], s[20:21], 1
	s_add_u32 s18, s3, s18
	s_addc_u32 s19, s10, s19
	global_load_dword v1, v1, s[18:19]
	v_and_b32_e32 v2, 0x3fc, v0
	v_mad_u32_u24 v2, v4, 40, v2
	s_waitcnt vmcnt(0)
	ds_write_b32 v2, v1
.LBB101_5:
	s_or_b64 exec, exec, s[6:7]
	s_add_i32 s3, s25, 15
	s_ashr_i32 s6, s3, 31
	s_lshr_b32 s6, s6, 28
	s_add_i32 s3, s3, s6
	s_lshl_b32 s10, s4, 5
	s_mul_i32 s7, s16, s8
	s_ashr_i32 s3, s3, 4
	s_add_i32 s6, s10, 32
	s_sub_i32 s7, s9, s7
	s_min_i32 s33, s6, s3
	s_xor_b32 s6, s17, s15
	s_add_i32 s9, s16, 1
	s_sub_i32 s12, s7, s8
	s_cmp_ge_u32 s7, s8
	s_cselect_b32 s9, s9, s16
	s_cselect_b32 s7, s12, s7
	s_add_i32 s12, s9, 1
	s_cmp_ge_u32 s7, s8
	s_load_dwordx2 s[26:27], s[0:1], 0x38
	s_load_dword s8, s[0:1], 0x48
	v_lshrrev_b32_e32 v1, 6, v0
	s_cselect_b32 s7, s12, s9
	s_xor_b32 s7, s7, s6
	v_or_b32_e32 v8, s10, v1
	s_waitcnt lgkmcnt(0)
	s_mul_i32 s28, s24, s8
	s_sub_i32 s12, s7, s6
	s_ashr_i32 s29, s28, 31
	v_cmp_gt_i32_e64 s[8:9], s33, v8
	v_cmp_le_i32_e32 vcc, s33, v8
	v_mbcnt_lo_u32_b32 v15, -1, 0
	s_barrier
	s_waitcnt lgkmcnt(0)
                                        ; implicit-def: $sgpr15
                                        ; implicit-def: $vgpr6
                                        ; implicit-def: $vgpr10
	s_and_saveexec_b64 s[6:7], vcc
	s_xor_b64 s[6:7], exec, s[6:7]
; %bb.6:
	v_mbcnt_hi_u32_b32 v6, -1, v15
	v_and_b32_e32 v2, 64, v6
	v_add_u32_e32 v10, 64, v2
	s_mov_b32 s15, 0xff7fffff
                                        ; implicit-def: $vgpr4
                                        ; implicit-def: $vgpr15
; %bb.7:
	s_or_saveexec_b64 s[34:35], s[6:7]
	s_load_dwordx4 s[16:19], s[0:1], 0x0
	s_load_dwordx2 s[22:23], s[0:1], 0x10
	s_load_dwordx2 s[30:31], s[0:1], 0x28
	s_load_dword s21, s[0:1], 0x98
	v_mov_b32_e32 v11, s15
	s_mul_i32 s14, s12, s14
	v_ashrrev_i32_e32 v9, 31, v8
	v_lshlrev_b32_e32 v7, 4, v1
	s_xor_b64 exec, exec, s[34:35]
	s_cbranch_execz .LBB101_13
; %bb.8:
	s_load_dwordx2 s[0:1], s[0:1], 0x20
	s_ashr_i32 s15, s14, 31
	s_lshl_b64 s[6:7], s[14:15], 1
	v_bfe_u32 v5, v0, 2, 4
	v_lshlrev_b32_e32 v2, 4, v5
	s_waitcnt lgkmcnt(0)
	s_add_u32 s0, s0, s6
	s_addc_u32 s1, s1, s7
	v_mov_b32_e32 v3, 0
	v_lshl_add_u64 v[10:11], s[0:1], 0, v[2:3]
	v_lshlrev_b32_e32 v2, 2, v0
	s_sub_i32 s15, 1, s25
	s_lshl_b64 s[0:1], s[28:29], 2
	v_and_b32_e32 v2, 12, v2
	v_mul_u32_u24_e32 v12, 40, v4
	v_cmp_eq_u32_e32 vcc, 0, v4
	v_lshlrev_b32_e32 v4, 2, v5
	s_add_u32 s0, s26, s0
	v_mbcnt_hi_u32_b32 v6, -1, v15
	v_lshl_add_u64 v[2:3], v[10:11], 0, v[2:3]
	v_lshl_or_b32 v4, v1, 6, v4
	s_addc_u32 s1, s27, s1
	v_and_b32_e32 v10, 64, v6
	s_mov_b32 s12, s13
	v_cmp_neq_f32_e64 s[6:7], s41, 0
	v_add3_u32 v13, s40, v7, v5
	v_add_u32_e32 v14, 0xb0, v4
	v_lshl_add_u64 v[4:5], v[8:9], 2, s[0:1]
	s_mov_b64 s[36:37], 0
	v_mov_b32_e32 v11, 0xff7fffff
	v_add_u32_e32 v10, 64, v10
	v_xor_b32_e32 v15, 2, v6
	v_xor_b32_e32 v16, 1, v6
	v_mov_b32_e32 v17, v8
	s_branch .LBB101_10
.LBB101_9:                              ;   in Loop: Header=BB101_10 Depth=1
	s_or_b64 exec, exec, s[38:39]
	v_add_u32_e32 v17, 2, v17
	v_cmp_le_i32_e64 s[0:1], s33, v17
	v_add_u32_e32 v13, 32, v13
	v_add_u32_e32 v14, 0x80, v14
	s_or_b64 s[36:37], s[0:1], s[36:37]
	v_lshl_add_u64 v[4:5], v[4:5], 0, 8
	s_andn2_b64 exec, exec, s[36:37]
	s_cbranch_execz .LBB101_12
.LBB101_10:                             ; =>This Inner Loop Header: Depth=1
	global_load_dword v18, v[4:5], off
	s_waitcnt vmcnt(0) lgkmcnt(0)
	v_mad_i64_i32 v[18:19], s[0:1], v18, s12, 0
	v_lshl_add_u64 v[18:19], v[18:19], 1, v[2:3]
	global_load_dword v20, v[18:19], off
	global_load_dword v21, v[18:19], off offset:256
	global_load_dword v22, v[18:19], off offset:512
	;; [unrolled: 1-line block ×9, first 2 shown]
	ds_read_b32 v18, v12
	v_cmp_lt_i32_e64 s[0:1], v15, v10
	s_waitcnt lgkmcnt(0)
	v_lshrrev_b32_e32 v30, 16, v18
	v_and_b32_e32 v18, 0xffff, v18
	;;#ASMSTART
	v_cvt_f32_f16 v18, v18;
	;;#ASMEND
	;;#ASMSTART
	v_cvt_f32_f16 v30, v30;
	;;#ASMEND
	v_cndmask_b32_e64 v19, v6, v15, s[0:1]
	v_lshlrev_b32_e32 v19, 2, v19
	v_cmp_lt_i32_e64 s[0:1], v16, v10
	s_waitcnt vmcnt(9)
	v_lshrrev_b32_e32 v31, 16, v20
	v_and_b32_e32 v20, 0xffff, v20
	;;#ASMSTART
	v_cvt_f32_f16 v20, v20;
	;;#ASMEND
	;;#ASMSTART
	v_cvt_f32_f16 v31, v31;
	;;#ASMEND
	ds_read_b32 v32, v12 offset:4
	s_waitcnt vmcnt(8)
	v_lshrrev_b32_e32 v33, 16, v21
	v_and_b32_e32 v21, 0xffff, v21
	s_waitcnt vmcnt(7)
	v_lshrrev_b32_e32 v34, 16, v22
	v_and_b32_e32 v22, 0xffff, v22
	s_waitcnt lgkmcnt(0)
	v_lshrrev_b32_e32 v35, 16, v32
	v_and_b32_e32 v32, 0xffff, v32
	;;#ASMSTART
	v_cvt_f32_f16 v32, v32;
	;;#ASMEND
	;;#ASMSTART
	v_cvt_f32_f16 v35, v35;
	;;#ASMEND
	;; [unrolled: 3-line block ×4, first 2 shown]
	ds_read_b32 v36, v12 offset:8
	s_waitcnt vmcnt(6)
	v_lshrrev_b32_e32 v37, 16, v23
	v_and_b32_e32 v23, 0xffff, v23
	s_waitcnt vmcnt(5)
	v_lshrrev_b32_e32 v38, 16, v24
	v_and_b32_e32 v24, 0xffff, v24
	s_waitcnt lgkmcnt(0)
	v_lshrrev_b32_e32 v39, 16, v36
	v_and_b32_e32 v36, 0xffff, v36
	;;#ASMSTART
	v_cvt_f32_f16 v36, v36;
	;;#ASMEND
	;;#ASMSTART
	v_cvt_f32_f16 v39, v39;
	;;#ASMEND
	;; [unrolled: 3-line block ×4, first 2 shown]
	ds_read_b32 v40, v12 offset:12
	s_waitcnt vmcnt(4)
	v_lshrrev_b32_e32 v41, 16, v25
	v_and_b32_e32 v25, 0xffff, v25
	v_mul_f32_e32 v21, v32, v21
	v_mul_f32_e32 v32, v35, v33
	s_waitcnt lgkmcnt(0)
	v_lshrrev_b32_e32 v43, 16, v40
	v_and_b32_e32 v40, 0xffff, v40
	;;#ASMSTART
	v_cvt_f32_f16 v40, v40;
	;;#ASMEND
	;;#ASMSTART
	v_cvt_f32_f16 v43, v43;
	;;#ASMEND
	;; [unrolled: 3-line block ×4, first 2 shown]
	ds_read_b32 v44, v12 offset:16
	s_waitcnt vmcnt(3)
	v_lshrrev_b32_e32 v42, 16, v26
	v_and_b32_e32 v26, 0xffff, v26
	v_fmac_f32_e32 v21, v18, v20
	v_fmac_f32_e32 v32, v30, v31
	s_waitcnt lgkmcnt(0)
	v_lshrrev_b32_e32 v47, 16, v44
	v_and_b32_e32 v44, 0xffff, v44
	;;#ASMSTART
	v_cvt_f32_f16 v44, v44;
	;;#ASMEND
	;;#ASMSTART
	v_cvt_f32_f16 v47, v47;
	;;#ASMEND
	;; [unrolled: 3-line block ×4, first 2 shown]
	ds_read_b32 v48, v12 offset:20
	v_fmac_f32_e32 v21, v36, v22
	v_fmac_f32_e32 v21, v40, v23
	s_waitcnt vmcnt(2)
	v_lshrrev_b32_e32 v45, 16, v27
	v_and_b32_e32 v27, 0xffff, v27
	s_waitcnt lgkmcnt(0)
	v_lshrrev_b32_e32 v33, 16, v48
	v_and_b32_e32 v35, 0xffff, v48
	;;#ASMSTART
	v_cvt_f32_f16 v35, v35;
	;;#ASMEND
	;;#ASMSTART
	v_cvt_f32_f16 v33, v33;
	;;#ASMEND
	;; [unrolled: 3-line block ×4, first 2 shown]
	ds_read_b32 v48, v12 offset:24
	v_fmac_f32_e32 v21, v44, v24
	v_fmac_f32_e32 v32, v39, v34
	;; [unrolled: 1-line block ×4, first 2 shown]
	s_waitcnt lgkmcnt(0)
	v_lshrrev_b32_e32 v18, 16, v48
	v_and_b32_e32 v20, 0xffff, v48
	;;#ASMSTART
	v_cvt_f32_f16 v20, v20;
	;;#ASMEND
	;;#ASMSTART
	v_cvt_f32_f16 v18, v18;
	;;#ASMEND
	;; [unrolled: 3-line block ×4, first 2 shown]
	ds_read_b32 v30, v12 offset:28
	v_fmac_f32_e32 v21, v35, v25
	v_fmac_f32_e32 v32, v33, v41
	;; [unrolled: 1-line block ×4, first 2 shown]
	s_waitcnt lgkmcnt(0)
	v_lshrrev_b32_e32 v23, 16, v30
	v_and_b32_e32 v24, 0xffff, v30
	;;#ASMSTART
	v_cvt_f32_f16 v24, v24;
	;;#ASMEND
	;;#ASMSTART
	v_cvt_f32_f16 v23, v23;
	;;#ASMEND
	;; [unrolled: 3-line block ×4, first 2 shown]
	ds_read_b32 v31, v12 offset:32
	s_waitcnt vmcnt(1)
	v_lshrrev_b32_e32 v46, 16, v28
	v_and_b32_e32 v28, 0xffff, v28
	v_fmac_f32_e32 v21, v24, v27
	v_fmac_f32_e32 v32, v23, v30
	s_waitcnt lgkmcnt(0)
	v_lshrrev_b32_e32 v18, 16, v31
	v_and_b32_e32 v20, 0xffff, v31
	;;#ASMSTART
	v_cvt_f32_f16 v20, v20;
	;;#ASMEND
	;;#ASMSTART
	v_cvt_f32_f16 v18, v18;
	;;#ASMEND
	;; [unrolled: 3-line block ×4, first 2 shown]
	ds_read_b32 v26, v12 offset:36
	v_fmac_f32_e32 v21, v20, v22
	v_fmac_f32_e32 v32, v18, v25
	s_waitcnt vmcnt(0)
	v_lshrrev_b32_e32 v49, 16, v29
	v_and_b32_e32 v29, 0xffff, v29
	s_waitcnt lgkmcnt(0)
	v_lshrrev_b32_e32 v18, 16, v26
	v_and_b32_e32 v20, 0xffff, v26
	;;#ASMSTART
	v_cvt_f32_f16 v20, v20;
	;;#ASMEND
	;;#ASMSTART
	v_cvt_f32_f16 v18, v18;
	;;#ASMEND
	;; [unrolled: 3-line block ×4, first 2 shown]
	s_nop 0
	v_fmac_f32_e32 v21, v20, v22
	v_fmac_f32_e32 v32, v18, v23
	v_add_f32_e32 v18, v21, v32
	ds_bpermute_b32 v19, v19, v18
	v_cndmask_b32_e64 v20, v6, v16, s[0:1]
	s_waitcnt lgkmcnt(0)
	v_add_f32_e32 v18, v18, v19
	v_lshlrev_b32_e32 v19, 2, v20
	ds_bpermute_b32 v19, v19, v18
	s_and_saveexec_b64 s[38:39], vcc
	s_cbranch_execz .LBB101_9
; %bb.11:                               ;   in Loop: Header=BB101_10 Depth=1
	v_add_u32_e32 v20, s15, v13
	v_cvt_f32_i32_e32 v20, v20
	s_waitcnt lgkmcnt(0)
	v_add_f32_e32 v18, v18, v19
	v_cmp_gt_i32_e64 s[0:1], s25, v13
	v_max_f32_e32 v19, v11, v11
	v_mul_f32_e32 v20, s41, v20
	v_cndmask_b32_e64 v20, 0, v20, s[6:7]
	v_fmac_f32_e32 v20, s11, v18
	v_cndmask_b32_e64 v18, 0, v20, s[0:1]
	ds_write_b32 v14, v18
	v_max_f32_e32 v18, v19, v20
	v_cndmask_b32_e64 v11, v11, v18, s[0:1]
	s_branch .LBB101_9
.LBB101_12:
	s_or_b64 exec, exec, s[36:37]
.LBB101_13:
	s_or_b64 exec, exec, s[34:35]
	v_xor_b32_e32 v2, 32, v6
	v_cmp_lt_i32_e32 vcc, v2, v10
	v_xor_b32_e32 v5, 16, v6
	v_max_f32_e32 v4, v11, v11
	v_cndmask_b32_e32 v2, v6, v2, vcc
	v_lshlrev_b32_e32 v2, 2, v2
	ds_bpermute_b32 v3, v2, v11
	v_cmp_lt_i32_e32 vcc, v5, v10
	v_xor_b32_e32 v11, 8, v6
	s_waitcnt lgkmcnt(0)
	v_max_f32_e32 v3, v3, v3
	v_max_f32_e32 v4, v4, v3
	v_cndmask_b32_e32 v3, v6, v5, vcc
	v_lshlrev_b32_e32 v3, 2, v3
	ds_bpermute_b32 v5, v3, v4
	v_cmp_lt_i32_e32 vcc, v11, v10
	s_waitcnt lgkmcnt(0)
	v_max_f32_e32 v5, v5, v5
	v_max_f32_e32 v4, v4, v5
	v_cndmask_b32_e32 v5, v6, v11, vcc
	v_lshlrev_b32_e32 v13, 2, v5
	ds_bpermute_b32 v5, v13, v4
	v_xor_b32_e32 v11, 4, v6
	v_cmp_lt_i32_e32 vcc, v11, v10
	s_waitcnt lgkmcnt(0)
	v_max_f32_e32 v5, v5, v5
	v_max_f32_e32 v5, v4, v5
	v_cndmask_b32_e32 v4, v6, v11, vcc
	v_lshlrev_b32_e32 v14, 2, v4
	ds_bpermute_b32 v12, v14, v5
	v_and_b32_e32 v4, 63, v0
	v_cmp_eq_u32_e32 vcc, 0, v4
	v_lshlrev_b32_e32 v11, 2, v1
	s_and_saveexec_b64 s[0:1], vcc
	s_cbranch_execz .LBB101_15
; %bb.14:
	s_waitcnt lgkmcnt(0)
	v_max_f32_e32 v12, v12, v12
	v_max_f32_e32 v5, v5, v5
	;; [unrolled: 1-line block ×3, first 2 shown]
	ds_write_b32 v11, v5 offset:160
.LBB101_15:
	s_or_b64 exec, exec, s[0:1]
	v_cmp_gt_u32_e64 s[0:1], 2, v4
	v_mov_b32_e32 v5, 0xff7fffff
	s_waitcnt lgkmcnt(0)
	v_lshlrev_b32_e32 v12, 2, v4
	s_barrier
	s_and_saveexec_b64 s[6:7], s[0:1]
	s_cbranch_execz .LBB101_17
; %bb.16:
	ds_read_b32 v5, v12 offset:160
.LBB101_17:
	s_or_b64 exec, exec, s[6:7]
	v_xor_b32_e32 v15, 1, v6
	v_cmp_lt_i32_e64 s[6:7], v15, v10
	v_mov_b32_e32 v16, 0
	s_nop 0
	v_cndmask_b32_e64 v15, v6, v15, s[6:7]
	v_lshlrev_b32_e32 v22, 2, v15
	s_waitcnt lgkmcnt(0)
	ds_bpermute_b32 v15, v22, v5
	v_max_f32_e32 v5, v5, v5
	s_sub_i32 s6, s33, s10
	s_lshl_b32 s6, s6, 4
	s_add_i32 s6, s6, s40
	s_waitcnt lgkmcnt(0)
	v_max_f32_e32 v15, v15, v15
	v_max_f32_e32 v5, v5, v15
	v_lshlrev_b32_e32 v15, 2, v6
	v_and_b32_e32 v15, 0xffffff00, v15
	ds_bpermute_b32 v5, v15, v5
	s_min_i32 s15, s6, s25
	s_sub_i32 s12, s15, s40
	v_cmp_gt_i32_e64 s[6:7], s12, v0
	s_and_saveexec_b64 s[34:35], s[6:7]
	s_cbranch_execz .LBB101_21
; %bb.18:
	v_mov_b32_e32 v16, 0xb0
	v_lshl_add_u32 v17, v0, 2, v16
	s_mov_b64 s[36:37], 0
	v_mov_b32_e32 v16, 0
	v_mov_b32_e32 v18, v0
.LBB101_19:                             ; =>This Inner Loop Header: Depth=1
	ds_read_b32 v19, v17
	v_add_u32_e32 v18, 0x80, v18
	v_cmp_le_i32_e64 s[10:11], s12, v18
	s_or_b64 s[36:37], s[10:11], s[36:37]
	s_waitcnt lgkmcnt(0)
	v_sub_f32_e32 v19, v19, v5
	v_mul_f32_e32 v19, 0x3fb8aa3b, v19
	v_exp_f32_e32 v19, v19
	ds_write_b32 v17, v19
	v_add_f32_e32 v16, v16, v19
	v_add_u32_e32 v17, 0x200, v17
	s_andn2_b64 exec, exec, s[36:37]
	s_cbranch_execnz .LBB101_19
; %bb.20:
	s_or_b64 exec, exec, s[36:37]
.LBB101_21:
	s_or_b64 exec, exec, s[34:35]
	ds_bpermute_b32 v2, v2, v16
	s_waitcnt lgkmcnt(0)
	v_add_f32_e32 v2, v16, v2
	ds_bpermute_b32 v3, v3, v2
	s_waitcnt lgkmcnt(0)
	v_add_f32_e32 v2, v2, v3
	ds_bpermute_b32 v3, v13, v2
	v_xor_b32_e32 v13, 2, v6
	v_cmp_lt_i32_e64 s[10:11], v13, v10
	s_waitcnt lgkmcnt(0)
	v_add_f32_e32 v2, v2, v3
	ds_bpermute_b32 v3, v14, v2
	v_cndmask_b32_e64 v6, v6, v13, s[10:11]
	s_waitcnt lgkmcnt(0)
	v_add_f32_e32 v2, v2, v3
	v_lshlrev_b32_e32 v3, 2, v6
	ds_bpermute_b32 v3, v3, v2
	s_waitcnt lgkmcnt(0)
	v_add_f32_e32 v2, v2, v3
	ds_bpermute_b32 v3, v22, v2
	s_waitcnt lgkmcnt(0)
	v_add_f32_e32 v2, v2, v3
	s_and_saveexec_b64 s[10:11], vcc
	s_cbranch_execz .LBB101_23
; %bb.22:
	ds_write_b32 v11, v2 offset:168
.LBB101_23:
	s_or_b64 exec, exec, s[10:11]
	s_waitcnt lgkmcnt(0)
	s_barrier
	s_and_saveexec_b64 s[10:11], s[0:1]
	s_cbranch_execz .LBB101_25
; %bb.24:
	ds_read_b32 v2, v12 offset:168
.LBB101_25:
	s_or_b64 exec, exec, s[10:11]
	s_waitcnt lgkmcnt(0)
	ds_bpermute_b32 v3, v22, v2
	s_waitcnt lgkmcnt(0)
	v_add_f32_e32 v2, v2, v3
	ds_bpermute_b32 v6, v15, v2
	s_and_saveexec_b64 s[0:1], s[6:7]
	s_cbranch_execz .LBB101_38
; %bb.26:
	s_waitcnt lgkmcnt(0)
	v_add_f32_e32 v2, 0x358637bd, v6
	v_div_scale_f32 v3, s[6:7], v2, v2, 1.0
	v_rcp_f32_e32 v10, v3
	v_div_scale_f32 v11, vcc, 1.0, v2, 1.0
	s_movk_i32 s6, 0x7f
	v_fma_f32 v12, -v3, v10, 1.0
	v_fmac_f32_e32 v10, v12, v10
	v_mul_f32_e32 v12, v11, v10
	v_fma_f32 v13, -v3, v12, v11
	v_fmac_f32_e32 v12, v13, v10
	v_fma_f32 v3, -v3, v12, v11
	v_div_fmas_f32 v3, v3, v10, v12
	v_div_fixup_f32 v2, v3, v2, 1.0
	v_xad_u32 v3, v0, -1, s15
	v_subrev_u32_e32 v10, s40, v3
	v_cmp_lt_u32_e32 vcc, s6, v10
	s_mov_b64 s[10:11], -1
	v_mov_b32_e32 v3, v0
	s_and_saveexec_b64 s[6:7], vcc
	s_cbranch_execz .LBB101_35
; %bb.27:
	v_lshrrev_b32_e32 v10, 7, v10
	v_add_u32_e32 v12, -1, v10
	v_lshrrev_b32_e32 v11, 1, v12
	v_mov_b32_e32 v3, v2
	v_add_u32_e32 v11, 1, v11
	v_cmp_lt_u32_e32 vcc, 13, v12
	v_mov_b32_e32 v14, 0
	s_and_saveexec_b64 s[10:11], vcc
	s_cbranch_execz .LBB101_31
; %bb.28:
	v_mov_b32_e32 v13, 0xb0
	v_and_b32_e32 v12, -8, v11
	v_lshl_add_u32 v13, v0, 2, v13
	s_mov_b32 s15, 0
	s_mov_b64 s[34:35], 0
.LBB101_29:                             ; =>This Inner Loop Header: Depth=1
	ds_read2st64_b32 v[14:15], v13 offset1:2
	ds_read2st64_b32 v[16:17], v13 offset0:4 offset1:6
	ds_read2st64_b32 v[18:19], v13 offset0:8 offset1:10
	;; [unrolled: 1-line block ×3, first 2 shown]
	v_add_u32_e32 v12, -8, v12
	s_waitcnt lgkmcnt(3)
	v_pk_mul_f32 v[14:15], v[2:3], v[14:15]
	s_waitcnt lgkmcnt(2)
	v_pk_mul_f32 v[16:17], v[2:3], v[16:17]
	ds_write2st64_b32 v13, v14, v15 offset1:2
	ds_write2st64_b32 v13, v16, v17 offset0:4 offset1:6
	ds_read2st64_b32 v[16:17], v13 offset0:16 offset1:18
	s_waitcnt lgkmcnt(4)
	v_pk_mul_f32 v[14:15], v[2:3], v[18:19]
	ds_write2st64_b32 v13, v14, v15 offset0:8 offset1:10
	s_waitcnt lgkmcnt(4)
	v_pk_mul_f32 v[14:15], v[2:3], v[20:21]
	ds_write2st64_b32 v13, v14, v15 offset0:12 offset1:14
	ds_read2st64_b32 v[14:15], v13 offset0:20 offset1:22
	s_waitcnt lgkmcnt(3)
	v_pk_mul_f32 v[16:17], v[2:3], v[16:17]
	ds_read2st64_b32 v[18:19], v13 offset0:24 offset1:26
	ds_write2st64_b32 v13, v16, v17 offset0:16 offset1:18
	ds_read2st64_b32 v[16:17], v13 offset0:28 offset1:30
	s_waitcnt lgkmcnt(3)
	v_pk_mul_f32 v[14:15], v[2:3], v[14:15]
	ds_write2st64_b32 v13, v14, v15 offset0:20 offset1:22
	s_waitcnt lgkmcnt(3)
	v_pk_mul_f32 v[14:15], v[2:3], v[18:19]
	ds_write2st64_b32 v13, v14, v15 offset0:24 offset1:26
	s_waitcnt lgkmcnt(2)
	v_pk_mul_f32 v[14:15], v[2:3], v[16:17]
	s_add_i32 s15, s15, 16
	v_cmp_eq_u32_e32 vcc, 0, v12
	ds_write2st64_b32 v13, v14, v15 offset0:28 offset1:30
	v_add_u32_e32 v13, 0x2000, v13
	s_or_b64 s[34:35], vcc, s[34:35]
	v_mov_b32_e32 v14, s15
	s_andn2_b64 exec, exec, s[34:35]
	s_cbranch_execnz .LBB101_29
; %bb.30:
	s_or_b64 exec, exec, s[34:35]
.LBB101_31:
	s_or_b64 exec, exec, s[10:11]
	v_and_b32_e32 v11, 7, v11
	v_cmp_ne_u32_e32 vcc, 0, v11
	s_and_saveexec_b64 s[10:11], vcc
	s_cbranch_execz .LBB101_34
; %bb.32:
	v_lshlrev_b32_e32 v12, 9, v14
	v_lshlrev_b32_e32 v13, 2, v0
	s_movk_i32 s15, 0xb0
	v_add3_u32 v12, v12, v13, s15
	s_mov_b64 s[34:35], 0
.LBB101_33:                             ; =>This Inner Loop Header: Depth=1
	ds_read2st64_b32 v[14:15], v12 offset1:2
	v_add_u32_e32 v11, -1, v11
	v_cmp_eq_u32_e32 vcc, 0, v11
	s_or_b64 s[34:35], vcc, s[34:35]
	s_waitcnt lgkmcnt(0)
	v_pk_mul_f32 v[14:15], v[2:3], v[14:15]
	ds_write2st64_b32 v12, v14, v15 offset1:2
	v_add_u32_e32 v12, 0x400, v12
	s_andn2_b64 exec, exec, s[34:35]
	s_cbranch_execnz .LBB101_33
.LBB101_34:
	s_or_b64 exec, exec, s[10:11]
	v_add_u32_e32 v10, 1, v10
	v_and_b32_e32 v11, 0x3fffffe, v10
	v_cmp_ne_u32_e32 vcc, v10, v11
	v_lshl_add_u32 v3, v11, 7, v0
	s_orn2_b64 s[10:11], vcc, exec
.LBB101_35:
	s_or_b64 exec, exec, s[6:7]
	s_and_b64 exec, exec, s[10:11]
	s_cbranch_execz .LBB101_38
; %bb.36:
	v_mov_b32_e32 v10, 0xb0
	v_lshl_add_u32 v10, v3, 2, v10
	s_mov_b64 s[6:7], 0
.LBB101_37:                             ; =>This Inner Loop Header: Depth=1
	ds_read_b32 v11, v10
	v_add_u32_e32 v3, 0x80, v3
	v_cmp_le_i32_e32 vcc, s12, v3
	s_or_b64 s[6:7], vcc, s[6:7]
	s_waitcnt lgkmcnt(0)
	v_mul_f32_e32 v11, v2, v11
	ds_write_b32 v10, v11
	v_add_u32_e32 v10, 0x200, v10
	s_andn2_b64 exec, exec, s[6:7]
	s_cbranch_execnz .LBB101_37
.LBB101_38:
	s_or_b64 exec, exec, s[0:1]
	s_mul_i32 s0, s21, s24
	v_cmp_eq_u32_e32 vcc, 0, v0
	s_mul_i32 s6, s0, s5
	s_waitcnt lgkmcnt(0)
	s_barrier
	s_and_saveexec_b64 s[0:1], vcc
	s_cbranch_execz .LBB101_40
; %bb.39:
	s_ashr_i32 s7, s6, 31
	s_lshl_b64 s[10:11], s[6:7], 2
	s_add_u32 s5, s18, s10
	s_mul_i32 s18, s21, s2
	s_addc_u32 s7, s19, s11
	s_ashr_i32 s19, s18, 31
	s_lshl_b64 s[18:19], s[18:19], 2
	s_add_u32 s2, s5, s18
	s_addc_u32 s7, s7, s19
	s_ashr_i32 s5, s4, 31
	s_lshl_b64 s[34:35], s[4:5], 2
	s_add_u32 s36, s2, s34
	s_addc_u32 s37, s7, s35
	s_add_u32 s2, s16, s10
	s_addc_u32 s5, s17, s11
	;; [unrolled: 2-line block ×3, first 2 shown]
	s_add_u32 s10, s2, s34
	v_mov_b32_e32 v2, 0
	s_addc_u32 s11, s5, s35
	global_store_dword v2, v5, s[36:37]
	global_store_dword v2, v6, s[10:11]
.LBB101_40:
	s_or_b64 exec, exec, s[0:1]
	v_mov_b32_e32 v6, 0
	v_lshrrev_b32_e32 v24, 1, v4
	v_and_b32_e32 v23, 1, v0
	v_mov_b32_e32 v13, v6
	v_mov_b32_e32 v12, v6
	s_and_saveexec_b64 s[10:11], s[8:9]
	s_cbranch_execz .LBB101_52
; %bb.41:
	s_ashr_i32 s15, s14, 31
	s_lshl_b64 s[0:1], s[14:15], 1
	v_lshlrev_b32_e32 v2, 3, v0
	s_add_u32 s8, s30, s0
	v_or_b32_e32 v4, 64, v24
	s_movk_i32 s0, 0x50
	v_and_b32_e32 v3, 8, v2
	s_addc_u32 s9, s31, s1
	s_add_i32 s7, s3, -1
	v_cmp_gt_u32_e32 vcc, s0, v4
	s_lshl_b64 s[0:1], s[28:29], 2
	v_lshl_or_b32 v2, v24, 4, v3
	v_lshl_or_b32 v4, v4, 4, v3
	v_add3_u32 v7, s40, v7, v3
	v_lshlrev_b32_e32 v3, 5, v23
	s_add_u32 s0, s26, s0
	v_mov_b32_e32 v11, 0
	v_lshl_or_b32 v1, v1, 6, v3
	s_addc_u32 s1, s27, s1
	s_mov_b32 s5, s13
	s_mov_b32 s16, s25
	;; [unrolled: 1-line block ×8, first 2 shown]
	v_add_u32_e32 v1, 0xb0, v1
	v_lshl_add_u64 v[14:15], v[8:9], 2, s[0:1]
	s_mov_b64 s[12:13], 0
	v_lshlrev_b32_e32 v16, 1, v2
	v_mov_b32_e32 v17, v11
	s_mov_b32 s26, 0x5040100
	v_lshlrev_b32_e32 v10, 1, v4
	v_mov_b32_e32 v12, v11
	v_mov_b32_e32 v13, v11
	;; [unrolled: 1-line block ×3, first 2 shown]
	s_branch .LBB101_44
.LBB101_42:                             ;   in Loop: Header=BB101_44 Depth=1
	s_or_b64 exec, exec, s[14:15]
	s_waitcnt vmcnt(0)
	;;#ASMSTART
	v_pk_mul_f16 v2, v27, v2;

	;;#ASMEND
	;;#ASMSTART
	v_pk_mul_f16 v3, v26, v3;

	;;#ASMEND
	;; [unrolled: 4-line block ×4, first 2 shown]
	s_nop 0
	;;#ASMSTART
	v_pk_add_f16 v2, v2, v3;

	;;#ASMEND
	s_nop 0
	;;#ASMSTART
	v_pk_add_f16 v2, v2, v4;

	;;#ASMEND
	s_nop 0
	;;#ASMSTART
	v_pk_add_f16 v2, v2, v5;

	;;#ASMEND
	s_nop 0
	v_lshrrev_b32_e32 v3, 16, v2
	v_and_b32_e32 v2, 0xffff, v2
	;;#ASMSTART
	v_cvt_f32_f16 v2, v2;
	;;#ASMEND
	;;#ASMSTART
	v_cvt_f32_f16 v3, v3;
	;;#ASMEND
	s_nop 0
	v_add_f32_e32 v2, v2, v3
	v_add_f32_e32 v6, v6, v2
.LBB101_43:                             ;   in Loop: Header=BB101_44 Depth=1
	s_or_b64 exec, exec, s[2:3]
	v_add_u32_e32 v8, 2, v8
	v_cmp_le_i32_e64 s[0:1], s33, v8
	v_add_u32_e32 v7, 32, v7
	v_add_u32_e32 v1, 0x80, v1
	s_or_b64 s[12:13], s[0:1], s[12:13]
	v_lshl_add_u64 v[14:15], v[14:15], 0, 8
	s_andn2_b64 exec, exec, s[12:13]
	s_cbranch_execz .LBB101_51
.LBB101_44:                             ; =>This Inner Loop Header: Depth=1
	global_load_dword v27, v[14:15], off
	ds_read2_b64 v[2:5], v1 offset1:1
	ds_read2_b64 v[18:21], v1 offset0:2 offset1:3
	s_waitcnt lgkmcnt(1)
	;;#ASMSTART
	v_cvt_f16_f32 v9, v2;

	;;#ASMEND
	;;#ASMSTART
	v_cvt_f16_f32 v25, v3;

	;;#ASMEND
	;; [unrolled: 4-line block ×4, first 2 shown]
	s_waitcnt lgkmcnt(0)
	;;#ASMSTART
	v_cvt_f16_f32 v29, v18;

	;;#ASMEND
	;;#ASMSTART
	v_cvt_f16_f32 v30, v19;

	;;#ASMEND
	;; [unrolled: 4-line block ×4, first 2 shown]
	s_waitcnt vmcnt(0)
	v_mad_i64_i32 v[2:3], s[0:1], v27, s5, 0
	v_lshl_add_u64 v[18:19], v[2:3], 1, s[8:9]
	v_lshl_add_u64 v[20:21], v[18:19], 0, v[16:17]
	global_load_dwordx4 v[2:5], v[20:21], off
	v_cmp_eq_u32_e64 s[0:1], s7, v8
	s_and_saveexec_b64 s[14:15], s[0:1]
	s_cbranch_execz .LBB101_46
; %bb.45:                               ;   in Loop: Header=BB101_44 Depth=1
	v_or_b32_e32 v37, 7, v7
	v_or_b32_e32 v38, 6, v7
	s_waitcnt vmcnt(0)
	v_lshrrev_b32_e32 v39, 16, v5
	v_cmp_gt_i32_e64 s[2:3], s31, v37
	v_or_b32_e32 v35, 5, v7
	v_or_b32_e32 v36, 4, v7
	v_cndmask_b32_e64 v37, 0, v39, s[2:3]
	v_cmp_gt_i32_e64 s[2:3], s30, v38
	v_or_b32_e32 v33, 3, v7
	v_or_b32_e32 v34, 2, v7
	v_cndmask_b32_e64 v5, 0, v5, s[2:3]
	v_perm_b32 v5, v37, v5, s26
	v_lshrrev_b32_e32 v37, 16, v4
	v_cmp_gt_i32_e64 s[2:3], s24, v35
	v_add_u32_e32 v27, 1, v7
	s_nop 0
	v_cndmask_b32_e64 v35, 0, v37, s[2:3]
	v_cmp_gt_i32_e64 s[2:3], s19, v36
	s_nop 1
	v_cndmask_b32_e64 v4, 0, v4, s[2:3]
	v_perm_b32 v4, v35, v4, s26
	v_lshrrev_b32_e32 v35, 16, v3
	v_cmp_gt_i32_e64 s[2:3], s18, v33
	s_nop 1
	v_cndmask_b32_e64 v33, 0, v35, s[2:3]
	v_cmp_gt_i32_e64 s[2:3], s17, v34
	s_nop 1
	v_cndmask_b32_e64 v3, 0, v3, s[2:3]
	v_perm_b32 v3, v33, v3, s26
	v_lshrrev_b32_e32 v33, 16, v2
	v_cmp_gt_i32_e64 s[2:3], s16, v27
	s_nop 1
	v_cndmask_b32_e64 v27, 0, v33, s[2:3]
	v_cmp_gt_i32_e64 s[2:3], s25, v7
	s_nop 1
	v_cndmask_b32_e64 v2, 0, v2, s[2:3]
	v_perm_b32 v2, v27, v2, s26
.LBB101_46:                             ;   in Loop: Header=BB101_44 Depth=1
	s_or_b64 exec, exec, s[14:15]
	v_and_b32_e32 v9, 0xffff, v9
	v_lshl_or_b32 v27, v25, 16, v9
	v_and_b32_e32 v9, 0xffff, v26
	v_lshl_or_b32 v26, v28, 16, v9
	;; [unrolled: 2-line block ×3, first 2 shown]
	v_and_b32_e32 v9, 0xffff, v31
	s_waitcnt vmcnt(0)
	;;#ASMSTART
	v_pk_mul_f16 v2, v27, v2;

	;;#ASMEND
	v_lshl_or_b32 v9, v32, 16, v9
	;;#ASMSTART
	v_pk_mul_f16 v3, v26, v3;

	;;#ASMEND
	;;#ASMSTART
	v_pk_mul_f16 v4, v25, v4;

	;;#ASMEND
	;; [unrolled: 4-line block ×3, first 2 shown]
	s_nop 0
	;;#ASMSTART
	v_pk_add_f16 v2, v2, v3;

	;;#ASMEND
	s_nop 0
	;;#ASMSTART
	v_pk_add_f16 v2, v2, v4;

	;;#ASMEND
	;; [unrolled: 5-line block ×3, first 2 shown]
	s_nop 0
	v_lshrrev_b32_e32 v3, 16, v2
	v_and_b32_e32 v2, 0xffff, v2
	;;#ASMSTART
	v_cvt_f32_f16 v28, v2;
	;;#ASMEND
	;;#ASMSTART
	v_cvt_f32_f16 v29, v3;
	;;#ASMEND
	global_load_dwordx4 v[2:5], v[20:21], off offset:1024
	s_and_saveexec_b64 s[14:15], s[0:1]
	s_cbranch_execz .LBB101_48
; %bb.47:                               ;   in Loop: Header=BB101_44 Depth=1
	v_or_b32_e32 v33, 7, v7
	v_or_b32_e32 v34, 6, v7
	s_waitcnt vmcnt(0)
	v_lshrrev_b32_e32 v35, 16, v5
	v_cmp_gt_i32_e64 s[2:3], s31, v33
	v_or_b32_e32 v31, 5, v7
	v_or_b32_e32 v32, 4, v7
	v_cndmask_b32_e64 v33, 0, v35, s[2:3]
	v_cmp_gt_i32_e64 s[2:3], s30, v34
	v_or_b32_e32 v21, 3, v7
	v_or_b32_e32 v30, 2, v7
	v_cndmask_b32_e64 v5, 0, v5, s[2:3]
	v_perm_b32 v5, v33, v5, s26
	v_lshrrev_b32_e32 v33, 16, v4
	v_cmp_gt_i32_e64 s[2:3], s24, v31
	v_add_u32_e32 v20, 1, v7
	s_nop 0
	v_cndmask_b32_e64 v31, 0, v33, s[2:3]
	v_cmp_gt_i32_e64 s[2:3], s19, v32
	s_nop 1
	v_cndmask_b32_e64 v4, 0, v4, s[2:3]
	v_perm_b32 v4, v31, v4, s26
	v_lshrrev_b32_e32 v31, 16, v3
	v_cmp_gt_i32_e64 s[2:3], s18, v21
	s_nop 1
	v_cndmask_b32_e64 v21, 0, v31, s[2:3]
	v_cmp_gt_i32_e64 s[2:3], s17, v30
	s_nop 1
	v_cndmask_b32_e64 v3, 0, v3, s[2:3]
	v_perm_b32 v3, v21, v3, s26
	v_lshrrev_b32_e32 v21, 16, v2
	v_cmp_gt_i32_e64 s[2:3], s16, v20
	s_nop 1
	v_cndmask_b32_e64 v20, 0, v21, s[2:3]
	v_cmp_gt_i32_e64 s[2:3], s25, v7
	s_nop 1
	v_cndmask_b32_e64 v2, 0, v2, s[2:3]
	v_perm_b32 v2, v20, v2, s26
.LBB101_48:                             ;   in Loop: Header=BB101_44 Depth=1
	s_or_b64 exec, exec, s[14:15]
	s_waitcnt vmcnt(0)
	;;#ASMSTART
	v_pk_mul_f16 v2, v27, v2;

	;;#ASMEND
	;;#ASMSTART
	v_pk_mul_f16 v3, v26, v3;

	;;#ASMEND
	;; [unrolled: 4-line block ×4, first 2 shown]
	v_add_f32_e32 v20, v28, v29
	;;#ASMSTART
	v_pk_add_f16 v2, v2, v3;

	;;#ASMEND
	v_add_f32_e32 v12, v12, v20
	;;#ASMSTART
	v_pk_add_f16 v2, v2, v4;

	;;#ASMEND
	s_nop 0
	;;#ASMSTART
	v_pk_add_f16 v2, v2, v5;

	;;#ASMEND
	s_nop 0
	v_lshrrev_b32_e32 v3, 16, v2
	v_and_b32_e32 v2, 0xffff, v2
	;;#ASMSTART
	v_cvt_f32_f16 v2, v2;
	;;#ASMEND
	;;#ASMSTART
	v_cvt_f32_f16 v3, v3;
	;;#ASMEND
	s_nop 0
	v_add_f32_e32 v2, v2, v3
	v_add_f32_e32 v13, v13, v2
	s_and_saveexec_b64 s[2:3], vcc
	s_cbranch_execz .LBB101_43
; %bb.49:                               ;   in Loop: Header=BB101_44 Depth=1
	v_lshl_add_u64 v[2:3], v[18:19], 0, v[10:11]
	global_load_dwordx4 v[2:5], v[2:3], off
	s_and_saveexec_b64 s[14:15], s[0:1]
	s_cbranch_execz .LBB101_42
; %bb.50:                               ;   in Loop: Header=BB101_44 Depth=1
	v_or_b32_e32 v29, 7, v7
	v_or_b32_e32 v30, 6, v7
	s_waitcnt vmcnt(0)
	v_lshrrev_b32_e32 v31, 16, v5
	v_cmp_gt_i32_e64 s[0:1], s31, v29
	v_or_b32_e32 v21, 5, v7
	v_or_b32_e32 v28, 4, v7
	v_cndmask_b32_e64 v29, 0, v31, s[0:1]
	v_cmp_gt_i32_e64 s[0:1], s30, v30
	v_or_b32_e32 v19, 3, v7
	v_or_b32_e32 v20, 2, v7
	v_cndmask_b32_e64 v5, 0, v5, s[0:1]
	v_perm_b32 v5, v29, v5, s26
	v_lshrrev_b32_e32 v29, 16, v4
	v_cmp_gt_i32_e64 s[0:1], s24, v21
	v_add_u32_e32 v18, 1, v7
	s_nop 0
	v_cndmask_b32_e64 v21, 0, v29, s[0:1]
	v_cmp_gt_i32_e64 s[0:1], s19, v28
	s_nop 1
	v_cndmask_b32_e64 v4, 0, v4, s[0:1]
	v_perm_b32 v4, v21, v4, s26
	v_lshrrev_b32_e32 v21, 16, v3
	v_cmp_gt_i32_e64 s[0:1], s18, v19
	s_nop 1
	v_cndmask_b32_e64 v19, 0, v21, s[0:1]
	v_cmp_gt_i32_e64 s[0:1], s17, v20
	s_nop 1
	v_cndmask_b32_e64 v3, 0, v3, s[0:1]
	v_perm_b32 v3, v19, v3, s26
	v_lshrrev_b32_e32 v19, 16, v2
	v_cmp_gt_i32_e64 s[0:1], s16, v18
	s_nop 1
	v_cndmask_b32_e64 v18, 0, v19, s[0:1]
	v_cmp_gt_i32_e64 s[0:1], s25, v7
	s_nop 1
	v_cndmask_b32_e64 v2, 0, v2, s[0:1]
	v_perm_b32 v2, v18, v2, s26
	s_branch .LBB101_42
.LBB101_51:
	s_or_b64 exec, exec, s[12:13]
.LBB101_52:
	s_or_b64 exec, exec, s[10:11]
	ds_bpermute_b32 v2, v22, v12
	ds_bpermute_b32 v3, v22, v13
	;; [unrolled: 1-line block ×3, first 2 shown]
	v_and_b32_e32 v4, 0x3c0, v0
	v_cmp_eq_u32_e32 vcc, 64, v4
	s_waitcnt lgkmcnt(0)
	v_pk_add_f32 v[2:3], v[12:13], v[2:3]
	v_add_f32_e32 v1, v6, v1
	s_barrier
	s_and_saveexec_b64 s[2:3], vcc
	s_cbranch_execz .LBB101_57
; %bb.53:
	v_cmp_eq_u32_e32 vcc, 0, v23
	s_and_saveexec_b64 s[0:1], vcc
	s_cbranch_execz .LBB101_55
; %bb.54:
	v_mov_b32_e32 v4, 0xb0
	v_lshl_add_u32 v4, v24, 2, v4
	ds_write2_b32 v4, v2, v3 offset1:32
.LBB101_55:
	s_or_b64 exec, exec, s[0:1]
	v_or_b32_e32 v4, 64, v24
	s_movk_i32 s0, 0x50
	v_cmp_gt_u32_e64 s[0:1], s0, v4
	s_and_b64 s[0:1], vcc, s[0:1]
	s_and_b64 exec, exec, s[0:1]
	s_cbranch_execz .LBB101_57
; %bb.56:
	v_mov_b32_e32 v4, 0xb0
	v_lshl_add_u32 v4, v24, 2, v4
	ds_write_b32 v4, v1 offset:256
.LBB101_57:
	s_or_b64 exec, exec, s[2:3]
	v_cmp_gt_u32_e32 vcc, 64, v0
	v_lshrrev_b32_e32 v0, 1, v0
	s_waitcnt lgkmcnt(0)
	s_barrier
	s_and_saveexec_b64 s[8:9], vcc
	s_cbranch_execz .LBB101_65
; %bb.58:
	v_cmp_eq_u32_e64 s[0:1], 0, v23
	s_and_saveexec_b64 s[2:3], s[0:1]
	s_cbranch_execz .LBB101_60
; %bb.59:
	v_mov_b32_e32 v4, 0xb0
	v_lshl_add_u32 v4, v0, 2, v4
	ds_read_b32 v4, v4
	s_waitcnt lgkmcnt(0)
	v_add_f32_e32 v2, v2, v4
.LBB101_60:
	s_or_b64 exec, exec, s[2:3]
	s_and_saveexec_b64 s[2:3], s[0:1]
	s_cbranch_execz .LBB101_62
; %bb.61:
	v_mov_b32_e32 v4, 0xb0
	v_lshl_add_u32 v4, v0, 2, v4
	ds_read_b32 v4, v4 offset:128
	s_waitcnt lgkmcnt(0)
	v_add_f32_e32 v3, v3, v4
.LBB101_62:
	s_or_b64 exec, exec, s[2:3]
	v_or_b32_e32 v4, 64, v0
	s_movk_i32 s2, 0x50
	v_cmp_gt_u32_e64 s[2:3], s2, v4
	s_and_b64 s[2:3], s[0:1], s[2:3]
	s_and_saveexec_b64 s[0:1], s[2:3]
	s_cbranch_execz .LBB101_64
; %bb.63:
	v_mov_b32_e32 v4, 0xb0
	v_lshl_add_u32 v4, v0, 2, v4
	ds_read_b32 v4, v4 offset:256
	s_waitcnt lgkmcnt(0)
	v_add_f32_e32 v1, v1, v4
.LBB101_64:
	s_or_b64 exec, exec, s[0:1]
.LBB101_65:
	s_or_b64 exec, exec, s[8:9]
	s_barrier
	s_and_saveexec_b64 s[0:1], vcc
	s_cbranch_execz .LBB101_70
; %bb.66:
	s_mul_i32 s0, s6, 0x50
	s_ashr_i32 s1, s0, 31
	s_lshl_b64 s[0:1], s[0:1], 1
	s_add_u32 s2, s22, s0
	s_mul_i32 s0, s21, s20
	s_addc_u32 s3, s23, s1
	s_ashr_i32 s1, s0, 31
	s_lshl_b64 s[0:1], s[0:1], 1
	s_add_u32 s2, s2, s0
	s_mul_i32 s0, s4, 0x50
	s_addc_u32 s3, s3, s1
	s_ashr_i32 s1, s0, 31
	s_lshl_b64 s[0:1], s[0:1], 1
	s_add_u32 s2, s2, s0
	s_movk_i32 s5, 0x50
	s_addc_u32 s3, s3, s1
	v_cmp_eq_u32_e32 vcc, 0, v23
	v_lshlrev_b32_e32 v4, 1, v0
	s_and_saveexec_b64 s[0:1], vcc
	s_cbranch_execz .LBB101_68
; %bb.67:
	;;#ASMSTART
	v_cvt_f16_f32 v2, v2;

	;;#ASMEND
	global_store_short v4, v2, s[2:3]
	;;#ASMSTART
	v_cvt_f16_f32 v2, v3;

	;;#ASMEND
	global_store_short v4, v2, s[2:3] offset:64
.LBB101_68:
	s_or_b64 exec, exec, s[0:1]
	v_or_b32_e32 v0, 64, v0
	v_cmp_gt_u32_e64 s[0:1], s5, v0
	s_and_b64 s[0:1], vcc, s[0:1]
	s_and_b64 exec, exec, s[0:1]
	s_cbranch_execz .LBB101_70
; %bb.69:
	;;#ASMSTART
	v_cvt_f16_f32 v0, v1;

	;;#ASMEND
	global_store_short v4, v0, s[2:3] offset:128
.LBB101_70:
	s_endpgm
	.section	.rodata,"a",@progbits
	.p2align	6, 0x0
	.amdhsa_kernel _ZN4vllm25paged_attention_v2_kernelIttLi80ELi16ELi128ELNS_18Fp8KVCacheDataTypeE0ELb0ELi512EEEvPfS2_PT_PKS3_PKT0_S9_ifPKiSB_iPKfiiiSD_SD_iiiii
		.amdhsa_group_segment_fixed_size 176
		.amdhsa_private_segment_fixed_size 0
		.amdhsa_kernarg_size 400
		.amdhsa_user_sgpr_count 2
		.amdhsa_user_sgpr_dispatch_ptr 0
		.amdhsa_user_sgpr_queue_ptr 0
		.amdhsa_user_sgpr_kernarg_segment_ptr 1
		.amdhsa_user_sgpr_dispatch_id 0
		.amdhsa_user_sgpr_kernarg_preload_length 0
		.amdhsa_user_sgpr_kernarg_preload_offset 0
		.amdhsa_user_sgpr_private_segment_size 0
		.amdhsa_uses_dynamic_stack 0
		.amdhsa_enable_private_segment 0
		.amdhsa_system_sgpr_workgroup_id_x 1
		.amdhsa_system_sgpr_workgroup_id_y 1
		.amdhsa_system_sgpr_workgroup_id_z 1
		.amdhsa_system_sgpr_workgroup_info 0
		.amdhsa_system_vgpr_workitem_id 0
		.amdhsa_next_free_vgpr 50
		.amdhsa_next_free_sgpr 42
		.amdhsa_accum_offset 52
		.amdhsa_reserve_vcc 1
		.amdhsa_float_round_mode_32 0
		.amdhsa_float_round_mode_16_64 0
		.amdhsa_float_denorm_mode_32 3
		.amdhsa_float_denorm_mode_16_64 3
		.amdhsa_dx10_clamp 1
		.amdhsa_ieee_mode 1
		.amdhsa_fp16_overflow 0
		.amdhsa_tg_split 0
		.amdhsa_exception_fp_ieee_invalid_op 0
		.amdhsa_exception_fp_denorm_src 0
		.amdhsa_exception_fp_ieee_div_zero 0
		.amdhsa_exception_fp_ieee_overflow 0
		.amdhsa_exception_fp_ieee_underflow 0
		.amdhsa_exception_fp_ieee_inexact 0
		.amdhsa_exception_int_div_zero 0
	.end_amdhsa_kernel
	.section	.text._ZN4vllm25paged_attention_v2_kernelIttLi80ELi16ELi128ELNS_18Fp8KVCacheDataTypeE0ELb0ELi512EEEvPfS2_PT_PKS3_PKT0_S9_ifPKiSB_iPKfiiiSD_SD_iiiii,"axG",@progbits,_ZN4vllm25paged_attention_v2_kernelIttLi80ELi16ELi128ELNS_18Fp8KVCacheDataTypeE0ELb0ELi512EEEvPfS2_PT_PKS3_PKT0_S9_ifPKiSB_iPKfiiiSD_SD_iiiii,comdat
.Lfunc_end101:
	.size	_ZN4vllm25paged_attention_v2_kernelIttLi80ELi16ELi128ELNS_18Fp8KVCacheDataTypeE0ELb0ELi512EEEvPfS2_PT_PKS3_PKT0_S9_ifPKiSB_iPKfiiiSD_SD_iiiii, .Lfunc_end101-_ZN4vllm25paged_attention_v2_kernelIttLi80ELi16ELi128ELNS_18Fp8KVCacheDataTypeE0ELb0ELi512EEEvPfS2_PT_PKS3_PKT0_S9_ifPKiSB_iPKfiiiSD_SD_iiiii
                                        ; -- End function
	.section	.AMDGPU.csdata,"",@progbits
; Kernel info:
; codeLenInByte = 5544
; NumSgprs: 48
; NumVgprs: 50
; NumAgprs: 0
; TotalNumVgprs: 50
; ScratchSize: 0
; MemoryBound: 0
; FloatMode: 240
; IeeeMode: 1
; LDSByteSize: 176 bytes/workgroup (compile time only)
; SGPRBlocks: 5
; VGPRBlocks: 6
; NumSGPRsForWavesPerEU: 48
; NumVGPRsForWavesPerEU: 50
; AccumOffset: 52
; Occupancy: 8
; WaveLimiterHint : 1
; COMPUTE_PGM_RSRC2:SCRATCH_EN: 0
; COMPUTE_PGM_RSRC2:USER_SGPR: 2
; COMPUTE_PGM_RSRC2:TRAP_HANDLER: 0
; COMPUTE_PGM_RSRC2:TGID_X_EN: 1
; COMPUTE_PGM_RSRC2:TGID_Y_EN: 1
; COMPUTE_PGM_RSRC2:TGID_Z_EN: 1
; COMPUTE_PGM_RSRC2:TIDIG_COMP_CNT: 0
; COMPUTE_PGM_RSRC3_GFX90A:ACCUM_OFFSET: 12
; COMPUTE_PGM_RSRC3_GFX90A:TG_SPLIT: 0
	.section	.text._ZN4vllm25paged_attention_v2_kernelIttLi96ELi16ELi128ELNS_18Fp8KVCacheDataTypeE0ELb0ELi512EEEvPfS2_PT_PKS3_PKT0_S9_ifPKiSB_iPKfiiiSD_SD_iiiii,"axG",@progbits,_ZN4vllm25paged_attention_v2_kernelIttLi96ELi16ELi128ELNS_18Fp8KVCacheDataTypeE0ELb0ELi512EEEvPfS2_PT_PKS3_PKT0_S9_ifPKiSB_iPKfiiiSD_SD_iiiii,comdat
	.protected	_ZN4vllm25paged_attention_v2_kernelIttLi96ELi16ELi128ELNS_18Fp8KVCacheDataTypeE0ELb0ELi512EEEvPfS2_PT_PKS3_PKT0_S9_ifPKiSB_iPKfiiiSD_SD_iiiii ; -- Begin function _ZN4vllm25paged_attention_v2_kernelIttLi96ELi16ELi128ELNS_18Fp8KVCacheDataTypeE0ELb0ELi512EEEvPfS2_PT_PKS3_PKT0_S9_ifPKiSB_iPKfiiiSD_SD_iiiii
	.globl	_ZN4vllm25paged_attention_v2_kernelIttLi96ELi16ELi128ELNS_18Fp8KVCacheDataTypeE0ELb0ELi512EEEvPfS2_PT_PKS3_PKT0_S9_ifPKiSB_iPKfiiiSD_SD_iiiii
	.p2align	8
	.type	_ZN4vllm25paged_attention_v2_kernelIttLi96ELi16ELi128ELNS_18Fp8KVCacheDataTypeE0ELb0ELi512EEEvPfS2_PT_PKS3_PKT0_S9_ifPKiSB_iPKfiiiSD_SD_iiiii,@function
_ZN4vllm25paged_attention_v2_kernelIttLi96ELi16ELi128ELNS_18Fp8KVCacheDataTypeE0ELb0ELi512EEEvPfS2_PT_PKS3_PKT0_S9_ifPKiSB_iPKfiiiSD_SD_iiiii: ; @_ZN4vllm25paged_attention_v2_kernelIttLi96ELi16ELi128ELNS_18Fp8KVCacheDataTypeE0ELb0ELi512EEEvPfS2_PT_PKS3_PKT0_S9_ifPKiSB_iPKfiiiSD_SD_iiiii
; %bb.0:
	s_load_dwordx2 s[6:7], s[0:1], 0x40
	s_mov_b32 s24, s3
	s_ashr_i32 s25, s3, 31
	s_lshl_b64 s[8:9], s[24:25], 2
	s_waitcnt lgkmcnt(0)
	s_add_u32 s6, s6, s8
	s_addc_u32 s7, s7, s9
	s_load_dword s25, s[6:7], 0x0
	s_lshl_b32 s33, s4, 9
	s_waitcnt lgkmcnt(0)
	s_cmp_ge_i32 s33, s25
	s_cbranch_scc1 .LBB102_60
; %bb.1:
	s_load_dword s5, s[0:1], 0x90
	s_load_dwordx2 s[10:11], s[0:1], 0x30
	s_waitcnt lgkmcnt(0)
	s_abs_i32 s7, s5
	s_abs_i32 s3, s10
	v_cvt_f32_u32_e32 v1, s3
	s_sub_i32 s8, 0, s3
	s_xor_b32 s6, s5, s10
	s_ashr_i32 s6, s6, 31
	v_rcp_iflag_f32_e32 v1, v1
	s_nop 0
	v_mul_f32_e32 v1, 0x4f7ffffe, v1
	v_cvt_u32_f32_e32 v1, v1
	s_nop 0
	v_readfirstlane_b32 s9, v1
	s_mul_i32 s8, s8, s9
	s_mul_hi_u32 s8, s9, s8
	s_add_i32 s9, s9, s8
	s_mul_hi_u32 s8, s7, s9
	s_mul_i32 s9, s8, s3
	s_sub_i32 s7, s7, s9
	s_add_i32 s10, s8, 1
	s_sub_i32 s9, s7, s3
	s_cmp_ge_u32 s7, s3
	s_cselect_b32 s8, s10, s8
	s_cselect_b32 s7, s9, s7
	s_add_i32 s9, s8, 1
	s_cmp_ge_u32 s7, s3
	s_cselect_b32 s3, s9, s8
	s_xor_b32 s3, s3, s6
	s_sub_i32 s18, s3, s6
	s_abs_i32 s8, s18
	v_cvt_f32_u32_e32 v1, s8
	s_load_dwordx2 s[6:7], s[0:1], 0x50
	s_sub_i32 s3, 0, s8
	s_abs_i32 s9, s2
	v_rcp_iflag_f32_e32 v1, v1
	s_mov_b32 s10, 0
	v_mul_f32_e32 v1, 0x4f7ffffe, v1
	v_cvt_u32_f32_e32 v1, v1
	s_nop 0
	v_readfirstlane_b32 s12, v1
	s_mul_i32 s3, s3, s12
	s_mul_hi_u32 s3, s12, s3
	s_add_i32 s12, s12, s3
	s_waitcnt lgkmcnt(0)
	s_cmp_eq_u64 s[6:7], 0
	s_mul_hi_u32 s16, s9, s12
	s_cbranch_scc1 .LBB102_3
; %bb.2:
	s_ashr_i32 s3, s2, 31
	s_lshl_b64 s[12:13], s[2:3], 2
	s_add_u32 s6, s6, s12
	s_addc_u32 s7, s7, s13
	s_load_dword s10, s[6:7], 0x0
.LBB102_3:
	s_load_dwordx4 s[12:15], s[0:1], 0x58
	s_ashr_i32 s17, s2, 31
	s_waitcnt lgkmcnt(0)
	s_ashr_i32 s15, s18, 31
	v_and_b32_e32 v4, 3, v0
	s_mul_i32 s20, s2, 0x60
	v_cmp_gt_u32_e32 vcc, 48, v0
	s_and_saveexec_b64 s[6:7], vcc
	s_cbranch_execz .LBB102_5
; %bb.4:
	s_load_dwordx2 s[18:19], s[0:1], 0x18
	s_mul_i32 s22, s24, s12
	s_ashr_i32 s23, s22, 31
	s_lshl_b64 s[22:23], s[22:23], 1
	v_lshlrev_b32_e32 v1, 2, v0
	s_waitcnt lgkmcnt(0)
	s_add_u32 s3, s18, s22
	s_addc_u32 s12, s19, s23
	s_ashr_i32 s21, s20, 31
	s_lshl_b64 s[18:19], s[20:21], 1
	s_add_u32 s18, s3, s18
	s_addc_u32 s19, s12, s19
	global_load_dword v1, v1, s[18:19]
	v_and_b32_e32 v2, 0x3fc, v0
	v_mad_u32_u24 v2, v4, 48, v2
	s_waitcnt vmcnt(0)
	ds_write_b32 v2, v1
.LBB102_5:
	s_or_b64 exec, exec, s[6:7]
	s_add_i32 s3, s25, 15
	s_ashr_i32 s6, s3, 31
	s_lshr_b32 s6, s6, 28
	s_add_i32 s3, s3, s6
	s_ashr_i32 s40, s3, 4
	s_lshl_b32 s3, s4, 5
	s_mul_i32 s7, s16, s8
	s_add_i32 s6, s3, 32
	s_sub_i32 s7, s9, s7
	s_min_i32 s21, s6, s40
	s_xor_b32 s6, s17, s15
	s_add_i32 s9, s16, 1
	s_sub_i32 s12, s7, s8
	s_cmp_ge_u32 s7, s8
	s_cselect_b32 s9, s9, s16
	s_cselect_b32 s7, s12, s7
	s_add_i32 s12, s9, 1
	s_cmp_ge_u32 s7, s8
	s_load_dwordx2 s[26:27], s[0:1], 0x38
	s_load_dword s8, s[0:1], 0x48
	v_lshrrev_b32_e32 v1, 6, v0
	s_cselect_b32 s7, s12, s9
	s_xor_b32 s7, s7, s6
	v_or_b32_e32 v6, s3, v1
	s_waitcnt lgkmcnt(0)
	s_mul_i32 s28, s24, s8
	s_sub_i32 s15, s7, s6
	s_ashr_i32 s29, s28, 31
	v_cmp_gt_i32_e64 s[8:9], s21, v6
	v_cmp_le_i32_e32 vcc, s21, v6
	v_mbcnt_lo_u32_b32 v15, -1, 0
	s_barrier
	s_waitcnt lgkmcnt(0)
                                        ; implicit-def: $sgpr36
                                        ; implicit-def: $vgpr8
                                        ; implicit-def: $vgpr9
	s_and_saveexec_b64 s[6:7], vcc
	s_xor_b64 s[6:7], exec, s[6:7]
; %bb.6:
	v_mbcnt_hi_u32_b32 v8, -1, v15
	v_and_b32_e32 v2, 64, v8
	v_add_u32_e32 v9, 64, v2
	s_mov_b32 s36, 0xff7fffff
                                        ; implicit-def: $vgpr4
                                        ; implicit-def: $vgpr15
; %bb.7:
	s_or_saveexec_b64 s[34:35], s[6:7]
	s_load_dwordx4 s[16:19], s[0:1], 0x0
	s_load_dwordx2 s[22:23], s[0:1], 0x10
	s_load_dwordx2 s[30:31], s[0:1], 0x28
	s_load_dword s12, s[0:1], 0x98
	v_mov_b32_e32 v10, s36
	s_mul_i32 s14, s15, s14
	v_ashrrev_i32_e32 v7, 31, v6
	v_lshlrev_b32_e32 v12, 4, v1
	s_xor_b64 exec, exec, s[34:35]
	s_cbranch_execz .LBB102_13
; %bb.8:
	s_load_dwordx2 s[0:1], s[0:1], 0x20
	s_ashr_i32 s15, s14, 31
	s_lshl_b64 s[6:7], s[14:15], 1
	v_bfe_u32 v5, v0, 2, 4
	v_lshlrev_b32_e32 v2, 4, v5
	s_waitcnt lgkmcnt(0)
	s_add_u32 s0, s0, s6
	s_addc_u32 s1, s1, s7
	v_mov_b32_e32 v3, 0
	v_lshl_add_u64 v[8:9], s[0:1], 0, v[2:3]
	v_lshlrev_b32_e32 v2, 2, v0
	v_and_b32_e32 v2, 12, v2
	s_sub_i32 s15, 1, s25
	s_lshl_b64 s[0:1], s[28:29], 2
	v_lshl_add_u64 v[2:3], v[8:9], 0, v[2:3]
	v_mul_u32_u24_e32 v11, 48, v4
	v_cmp_eq_u32_e32 vcc, 0, v4
	v_lshlrev_b32_e32 v4, 2, v5
	s_add_u32 s0, s26, s0
	v_mbcnt_hi_u32_b32 v8, -1, v15
	v_lshl_or_b32 v4, v1, 6, v4
	s_addc_u32 s1, s27, s1
	v_and_b32_e32 v9, 64, v8
	s_mov_b32 s41, s13
	v_cmp_neq_f32_e64 s[6:7], s10, 0
	v_add3_u32 v13, s33, v12, v5
	v_add_u32_e32 v14, 0xd0, v4
	v_lshl_add_u64 v[4:5], v[6:7], 2, s[0:1]
	s_mov_b64 s[36:37], 0
	v_mov_b32_e32 v10, 0xff7fffff
	v_add_u32_e32 v9, 64, v9
	v_xor_b32_e32 v15, 2, v8
	v_xor_b32_e32 v16, 1, v8
	v_mov_b32_e32 v17, v6
	s_branch .LBB102_10
.LBB102_9:                              ;   in Loop: Header=BB102_10 Depth=1
	s_or_b64 exec, exec, s[38:39]
	v_add_u32_e32 v17, 2, v17
	v_cmp_le_i32_e64 s[0:1], s21, v17
	v_add_u32_e32 v13, 32, v13
	v_add_u32_e32 v14, 0x80, v14
	s_or_b64 s[36:37], s[0:1], s[36:37]
	v_lshl_add_u64 v[4:5], v[4:5], 0, 8
	s_andn2_b64 exec, exec, s[36:37]
	s_cbranch_execz .LBB102_12
.LBB102_10:                             ; =>This Inner Loop Header: Depth=1
	global_load_dword v18, v[4:5], off
	s_waitcnt vmcnt(0) lgkmcnt(0)
	v_mad_i64_i32 v[18:19], s[0:1], v18, s41, 0
	v_lshl_add_u64 v[18:19], v[18:19], 1, v[2:3]
	global_load_dword v20, v[18:19], off
	global_load_dword v21, v[18:19], off offset:256
	global_load_dword v22, v[18:19], off offset:512
	;; [unrolled: 1-line block ×11, first 2 shown]
	ds_read_b32 v18, v11
	v_cmp_lt_i32_e64 s[0:1], v15, v9
	s_waitcnt lgkmcnt(0)
	v_lshrrev_b32_e32 v32, 16, v18
	v_and_b32_e32 v18, 0xffff, v18
	;;#ASMSTART
	v_cvt_f32_f16 v18, v18;
	;;#ASMEND
	;;#ASMSTART
	v_cvt_f32_f16 v32, v32;
	;;#ASMEND
	v_cndmask_b32_e64 v19, v8, v15, s[0:1]
	v_lshlrev_b32_e32 v19, 2, v19
	v_cmp_lt_i32_e64 s[0:1], v16, v9
	s_waitcnt vmcnt(11)
	v_lshrrev_b32_e32 v33, 16, v20
	v_and_b32_e32 v20, 0xffff, v20
	;;#ASMSTART
	v_cvt_f32_f16 v20, v20;
	;;#ASMEND
	;;#ASMSTART
	v_cvt_f32_f16 v33, v33;
	;;#ASMEND
	ds_read_b32 v34, v11 offset:4
	s_waitcnt vmcnt(10)
	v_lshrrev_b32_e32 v35, 16, v21
	v_and_b32_e32 v21, 0xffff, v21
	s_waitcnt vmcnt(9)
	v_lshrrev_b32_e32 v36, 16, v22
	v_and_b32_e32 v22, 0xffff, v22
	s_waitcnt lgkmcnt(0)
	v_lshrrev_b32_e32 v37, 16, v34
	v_and_b32_e32 v34, 0xffff, v34
	;;#ASMSTART
	v_cvt_f32_f16 v34, v34;
	;;#ASMEND
	;;#ASMSTART
	v_cvt_f32_f16 v37, v37;
	;;#ASMEND
	;;#ASMSTART
	v_cvt_f32_f16 v21, v21;
	;;#ASMEND
	;;#ASMSTART
	v_cvt_f32_f16 v35, v35;
	;;#ASMEND
	ds_read_b32 v38, v11 offset:8
	s_waitcnt vmcnt(8)
	v_lshrrev_b32_e32 v39, 16, v23
	v_and_b32_e32 v23, 0xffff, v23
	s_waitcnt vmcnt(7)
	v_lshrrev_b32_e32 v40, 16, v24
	v_and_b32_e32 v24, 0xffff, v24
	s_waitcnt lgkmcnt(0)
	v_lshrrev_b32_e32 v41, 16, v38
	v_and_b32_e32 v38, 0xffff, v38
	;;#ASMSTART
	v_cvt_f32_f16 v38, v38;
	;;#ASMEND
	;;#ASMSTART
	v_cvt_f32_f16 v41, v41;
	;;#ASMEND
	;;#ASMSTART
	v_cvt_f32_f16 v22, v22;
	;;#ASMEND
	;;#ASMSTART
	v_cvt_f32_f16 v36, v36;
	;;#ASMEND
	ds_read_b32 v42, v11 offset:12
	s_waitcnt vmcnt(6)
	v_lshrrev_b32_e32 v43, 16, v25
	v_and_b32_e32 v25, 0xffff, v25
	s_waitcnt vmcnt(5)
	v_lshrrev_b32_e32 v44, 16, v26
	v_and_b32_e32 v26, 0xffff, v26
	s_waitcnt lgkmcnt(0)
	v_lshrrev_b32_e32 v45, 16, v42
	v_and_b32_e32 v42, 0xffff, v42
	;;#ASMSTART
	v_cvt_f32_f16 v42, v42;
	;;#ASMEND
	;;#ASMSTART
	v_cvt_f32_f16 v45, v45;
	;;#ASMEND
	;;#ASMSTART
	v_cvt_f32_f16 v23, v23;
	;;#ASMEND
	;;#ASMSTART
	v_cvt_f32_f16 v39, v39;
	;;#ASMEND
	ds_read_b32 v46, v11 offset:16
	v_mul_f32_e32 v21, v34, v21
	v_mul_f32_e32 v34, v37, v35
	s_waitcnt vmcnt(4)
	v_lshrrev_b32_e32 v47, 16, v27
	v_and_b32_e32 v27, 0xffff, v27
	s_waitcnt lgkmcnt(0)
	v_lshrrev_b32_e32 v49, 16, v46
	v_and_b32_e32 v46, 0xffff, v46
	;;#ASMSTART
	v_cvt_f32_f16 v46, v46;
	;;#ASMEND
	;;#ASMSTART
	v_cvt_f32_f16 v49, v49;
	;;#ASMEND
	;;#ASMSTART
	v_cvt_f32_f16 v24, v24;
	;;#ASMEND
	;;#ASMSTART
	v_cvt_f32_f16 v40, v40;
	;;#ASMEND
	ds_read_b32 v50, v11 offset:20
	v_fmac_f32_e32 v21, v18, v20
	v_fmac_f32_e32 v34, v32, v33
	v_fmac_f32_e32 v21, v38, v22
	v_fmac_f32_e32 v21, v42, v23
	s_waitcnt lgkmcnt(0)
	v_lshrrev_b32_e32 v53, 16, v50
	v_and_b32_e32 v50, 0xffff, v50
	;;#ASMSTART
	v_cvt_f32_f16 v50, v50;
	;;#ASMEND
	;;#ASMSTART
	v_cvt_f32_f16 v53, v53;
	;;#ASMEND
	;; [unrolled: 3-line block ×4, first 2 shown]
	ds_read_b32 v54, v11 offset:24
	s_waitcnt vmcnt(3)
	v_lshrrev_b32_e32 v48, 16, v28
	v_and_b32_e32 v28, 0xffff, v28
	v_fmac_f32_e32 v21, v46, v24
	v_fmac_f32_e32 v34, v41, v36
	s_waitcnt lgkmcnt(0)
	v_lshrrev_b32_e32 v35, 16, v54
	v_and_b32_e32 v37, 0xffff, v54
	;;#ASMSTART
	v_cvt_f32_f16 v37, v37;
	;;#ASMEND
	;;#ASMSTART
	v_cvt_f32_f16 v35, v35;
	;;#ASMEND
	;; [unrolled: 3-line block ×4, first 2 shown]
	ds_read_b32 v54, v11 offset:28
	v_fmac_f32_e32 v34, v45, v39
	v_fmac_f32_e32 v34, v49, v40
	;; [unrolled: 1-line block ×3, first 2 shown]
	s_waitcnt vmcnt(2)
	v_lshrrev_b32_e32 v51, 16, v29
	s_waitcnt lgkmcnt(0)
	v_lshrrev_b32_e32 v18, 16, v54
	v_and_b32_e32 v20, 0xffff, v54
	;;#ASMSTART
	v_cvt_f32_f16 v20, v20;
	;;#ASMEND
	;;#ASMSTART
	v_cvt_f32_f16 v18, v18;
	;;#ASMEND
	;; [unrolled: 3-line block ×4, first 2 shown]
	ds_read_b32 v32, v11 offset:32
	v_and_b32_e32 v29, 0xffff, v29
	v_fmac_f32_e32 v34, v53, v43
	v_fmac_f32_e32 v21, v37, v26
	;; [unrolled: 1-line block ×3, first 2 shown]
	s_waitcnt lgkmcnt(0)
	v_lshrrev_b32_e32 v23, 16, v32
	v_and_b32_e32 v24, 0xffff, v32
	;;#ASMSTART
	v_cvt_f32_f16 v24, v24;
	;;#ASMEND
	;;#ASMSTART
	v_cvt_f32_f16 v23, v23;
	;;#ASMEND
	;; [unrolled: 3-line block ×4, first 2 shown]
	ds_read_b32 v33, v11 offset:36
	v_fmac_f32_e32 v21, v20, v22
	v_fmac_f32_e32 v34, v18, v27
	s_waitcnt vmcnt(1)
	v_lshrrev_b32_e32 v52, 16, v30
	v_and_b32_e32 v30, 0xffff, v30
	s_waitcnt lgkmcnt(0)
	v_lshrrev_b32_e32 v25, 16, v33
	v_and_b32_e32 v26, 0xffff, v33
	;;#ASMSTART
	v_cvt_f32_f16 v26, v26;
	;;#ASMEND
	;;#ASMSTART
	v_cvt_f32_f16 v25, v25;
	;;#ASMEND
	;; [unrolled: 3-line block ×4, first 2 shown]
	ds_read_b32 v35, v11 offset:40
	v_fmac_f32_e32 v21, v24, v28
	v_fmac_f32_e32 v34, v23, v32
	;; [unrolled: 1-line block ×4, first 2 shown]
	s_waitcnt lgkmcnt(0)
	v_lshrrev_b32_e32 v18, 16, v35
	v_and_b32_e32 v20, 0xffff, v35
	;;#ASMSTART
	v_cvt_f32_f16 v20, v20;
	;;#ASMEND
	;;#ASMSTART
	v_cvt_f32_f16 v18, v18;
	;;#ASMEND
	;; [unrolled: 3-line block ×4, first 2 shown]
	ds_read_b32 v24, v11 offset:44
	v_fmac_f32_e32 v21, v20, v22
	v_fmac_f32_e32 v34, v18, v23
	s_waitcnt vmcnt(0)
	v_lshrrev_b32_e32 v55, 16, v31
	v_and_b32_e32 v31, 0xffff, v31
	s_waitcnt lgkmcnt(0)
	v_lshrrev_b32_e32 v18, 16, v24
	v_and_b32_e32 v20, 0xffff, v24
	;;#ASMSTART
	v_cvt_f32_f16 v20, v20;
	;;#ASMEND
	;;#ASMSTART
	v_cvt_f32_f16 v18, v18;
	;;#ASMEND
	;; [unrolled: 3-line block ×4, first 2 shown]
	s_nop 0
	v_fmac_f32_e32 v21, v20, v22
	v_fmac_f32_e32 v34, v18, v23
	v_add_f32_e32 v18, v21, v34
	ds_bpermute_b32 v19, v19, v18
	v_cndmask_b32_e64 v20, v8, v16, s[0:1]
	s_waitcnt lgkmcnt(0)
	v_add_f32_e32 v18, v18, v19
	v_lshlrev_b32_e32 v19, 2, v20
	ds_bpermute_b32 v19, v19, v18
	s_and_saveexec_b64 s[38:39], vcc
	s_cbranch_execz .LBB102_9
; %bb.11:                               ;   in Loop: Header=BB102_10 Depth=1
	v_add_u32_e32 v20, s15, v13
	v_cvt_f32_i32_e32 v20, v20
	s_waitcnt lgkmcnt(0)
	v_add_f32_e32 v18, v18, v19
	v_cmp_gt_i32_e64 s[0:1], s25, v13
	v_max_f32_e32 v19, v10, v10
	v_mul_f32_e32 v20, s10, v20
	v_cndmask_b32_e64 v20, 0, v20, s[6:7]
	v_fmac_f32_e32 v20, s11, v18
	v_cndmask_b32_e64 v18, 0, v20, s[0:1]
	ds_write_b32 v14, v18
	v_max_f32_e32 v18, v19, v20
	v_cndmask_b32_e64 v10, v10, v18, s[0:1]
	s_branch .LBB102_9
.LBB102_12:
	s_or_b64 exec, exec, s[36:37]
.LBB102_13:
	s_or_b64 exec, exec, s[34:35]
	v_xor_b32_e32 v2, 32, v8
	v_cmp_lt_i32_e32 vcc, v2, v9
	v_xor_b32_e32 v5, 16, v8
	v_max_f32_e32 v4, v10, v10
	v_cndmask_b32_e32 v2, v8, v2, vcc
	v_lshlrev_b32_e32 v2, 2, v2
	ds_bpermute_b32 v3, v2, v10
	v_cmp_lt_i32_e32 vcc, v5, v9
	v_xor_b32_e32 v10, 8, v8
	v_and_b32_e32 v16, 63, v0
	s_waitcnt lgkmcnt(0)
	v_max_f32_e32 v3, v3, v3
	v_max_f32_e32 v4, v4, v3
	v_cndmask_b32_e32 v3, v8, v5, vcc
	v_lshlrev_b32_e32 v3, 2, v3
	ds_bpermute_b32 v5, v3, v4
	v_cmp_lt_i32_e32 vcc, v10, v9
	s_waitcnt lgkmcnt(0)
	v_max_f32_e32 v5, v5, v5
	v_max_f32_e32 v4, v4, v5
	v_cndmask_b32_e32 v5, v8, v10, vcc
	v_lshlrev_b32_e32 v11, 2, v5
	ds_bpermute_b32 v5, v11, v4
	v_xor_b32_e32 v10, 4, v8
	v_cmp_lt_i32_e32 vcc, v10, v9
	s_waitcnt lgkmcnt(0)
	v_max_f32_e32 v5, v5, v5
	v_max_f32_e32 v4, v4, v5
	v_cndmask_b32_e32 v5, v8, v10, vcc
	v_lshlrev_b32_e32 v13, 2, v5
	ds_bpermute_b32 v10, v13, v4
	v_cmp_eq_u32_e32 vcc, 0, v16
	v_lshlrev_b32_e32 v5, 2, v1
	s_and_saveexec_b64 s[0:1], vcc
	s_cbranch_execz .LBB102_15
; %bb.14:
	s_waitcnt lgkmcnt(0)
	v_max_f32_e32 v10, v10, v10
	v_max_f32_e32 v4, v4, v4
	;; [unrolled: 1-line block ×3, first 2 shown]
	ds_write_b32 v5, v4 offset:192
.LBB102_15:
	s_or_b64 exec, exec, s[0:1]
	v_cmp_gt_u32_e64 s[0:1], 2, v16
	v_mov_b32_e32 v4, 0xff7fffff
	s_waitcnt lgkmcnt(0)
	v_lshlrev_b32_e32 v10, 2, v16
	s_barrier
	s_and_saveexec_b64 s[6:7], s[0:1]
	s_cbranch_execz .LBB102_17
; %bb.16:
	ds_read_b32 v4, v10 offset:192
.LBB102_17:
	s_or_b64 exec, exec, s[6:7]
	v_xor_b32_e32 v14, 1, v8
	v_cmp_lt_i32_e64 s[6:7], v14, v9
	s_sub_i32 s3, s21, s3
	s_lshl_b32 s3, s3, 4
	v_cndmask_b32_e64 v14, v8, v14, s[6:7]
	v_lshlrev_b32_e32 v17, 2, v14
	s_waitcnt lgkmcnt(0)
	ds_bpermute_b32 v14, v17, v4
	v_max_f32_e32 v4, v4, v4
	s_add_i32 s3, s3, s33
	s_min_i32 s15, s3, s25
	s_sub_i32 s3, s15, s33
	s_waitcnt lgkmcnt(0)
	v_max_f32_e32 v14, v14, v14
	v_max_f32_e32 v4, v4, v14
	v_lshlrev_b32_e32 v14, 2, v8
	v_and_b32_e32 v14, 0xffffff00, v14
	ds_bpermute_b32 v4, v14, v4
	v_cmp_gt_i32_e64 s[6:7], s3, v0
	v_mov_b32_e32 v15, 0
	s_and_saveexec_b64 s[34:35], s[6:7]
	s_cbranch_execz .LBB102_21
; %bb.18:
	v_mov_b32_e32 v15, 0xd0
	v_lshl_add_u32 v18, v0, 2, v15
	s_mov_b64 s[36:37], 0
	v_mov_b32_e32 v15, 0
	v_mov_b32_e32 v19, v0
.LBB102_19:                             ; =>This Inner Loop Header: Depth=1
	ds_read_b32 v20, v18
	v_add_u32_e32 v19, 0x80, v19
	v_cmp_le_i32_e64 s[10:11], s3, v19
	s_or_b64 s[36:37], s[10:11], s[36:37]
	s_waitcnt lgkmcnt(0)
	v_sub_f32_e32 v20, v20, v4
	v_mul_f32_e32 v20, 0x3fb8aa3b, v20
	v_exp_f32_e32 v20, v20
	ds_write_b32 v18, v20
	v_add_f32_e32 v15, v15, v20
	v_add_u32_e32 v18, 0x200, v18
	s_andn2_b64 exec, exec, s[36:37]
	s_cbranch_execnz .LBB102_19
; %bb.20:
	s_or_b64 exec, exec, s[36:37]
.LBB102_21:
	s_or_b64 exec, exec, s[34:35]
	ds_bpermute_b32 v2, v2, v15
	s_waitcnt lgkmcnt(0)
	v_add_f32_e32 v2, v15, v2
	ds_bpermute_b32 v3, v3, v2
	s_waitcnt lgkmcnt(0)
	v_add_f32_e32 v2, v2, v3
	ds_bpermute_b32 v3, v11, v2
	v_xor_b32_e32 v11, 2, v8
	v_cmp_lt_i32_e64 s[10:11], v11, v9
	s_waitcnt lgkmcnt(0)
	v_add_f32_e32 v2, v2, v3
	ds_bpermute_b32 v3, v13, v2
	v_cndmask_b32_e64 v8, v8, v11, s[10:11]
	s_waitcnt lgkmcnt(0)
	v_add_f32_e32 v2, v2, v3
	v_lshlrev_b32_e32 v3, 2, v8
	ds_bpermute_b32 v3, v3, v2
	s_waitcnt lgkmcnt(0)
	v_add_f32_e32 v2, v2, v3
	ds_bpermute_b32 v3, v17, v2
	s_waitcnt lgkmcnt(0)
	v_add_f32_e32 v2, v2, v3
	s_and_saveexec_b64 s[10:11], vcc
	s_cbranch_execz .LBB102_23
; %bb.22:
	ds_write_b32 v5, v2 offset:200
.LBB102_23:
	s_or_b64 exec, exec, s[10:11]
	s_waitcnt lgkmcnt(0)
	s_barrier
	s_and_saveexec_b64 s[10:11], s[0:1]
	s_cbranch_execz .LBB102_25
; %bb.24:
	ds_read_b32 v2, v10 offset:200
.LBB102_25:
	s_or_b64 exec, exec, s[10:11]
	s_waitcnt lgkmcnt(0)
	ds_bpermute_b32 v3, v17, v2
	s_waitcnt lgkmcnt(0)
	v_add_f32_e32 v2, v2, v3
	ds_bpermute_b32 v5, v14, v2
	s_and_saveexec_b64 s[0:1], s[6:7]
	s_cbranch_execz .LBB102_38
; %bb.26:
	s_waitcnt lgkmcnt(0)
	v_add_f32_e32 v2, 0x358637bd, v5
	v_div_scale_f32 v3, s[6:7], v2, v2, 1.0
	v_rcp_f32_e32 v8, v3
	v_div_scale_f32 v9, vcc, 1.0, v2, 1.0
	s_movk_i32 s6, 0x7f
	v_fma_f32 v10, -v3, v8, 1.0
	v_fmac_f32_e32 v8, v10, v8
	v_mul_f32_e32 v10, v9, v8
	v_fma_f32 v11, -v3, v10, v9
	v_fmac_f32_e32 v10, v11, v8
	v_fma_f32 v3, -v3, v10, v9
	v_div_fmas_f32 v3, v3, v8, v10
	v_div_fixup_f32 v2, v3, v2, 1.0
	v_xad_u32 v3, v0, -1, s15
	v_subrev_u32_e32 v8, s33, v3
	v_cmp_lt_u32_e32 vcc, s6, v8
	s_mov_b64 s[10:11], -1
	v_mov_b32_e32 v3, v0
	s_and_saveexec_b64 s[6:7], vcc
	s_cbranch_execz .LBB102_35
; %bb.27:
	v_lshrrev_b32_e32 v8, 7, v8
	v_add_u32_e32 v10, -1, v8
	v_lshrrev_b32_e32 v9, 1, v10
	v_mov_b32_e32 v3, v2
	v_add_u32_e32 v9, 1, v9
	v_cmp_lt_u32_e32 vcc, 13, v10
	v_mov_b32_e32 v13, 0
	s_and_saveexec_b64 s[10:11], vcc
	s_cbranch_execz .LBB102_31
; %bb.28:
	v_mov_b32_e32 v11, 0xd0
	v_and_b32_e32 v10, -8, v9
	v_lshl_add_u32 v11, v0, 2, v11
	s_mov_b32 s15, 0
	s_mov_b64 s[34:35], 0
.LBB102_29:                             ; =>This Inner Loop Header: Depth=1
	ds_read2st64_b32 v[14:15], v11 offset1:2
	ds_read2st64_b32 v[18:19], v11 offset0:4 offset1:6
	ds_read2st64_b32 v[20:21], v11 offset0:8 offset1:10
	;; [unrolled: 1-line block ×3, first 2 shown]
	v_add_u32_e32 v10, -8, v10
	s_waitcnt lgkmcnt(3)
	v_pk_mul_f32 v[14:15], v[2:3], v[14:15]
	s_waitcnt lgkmcnt(2)
	v_pk_mul_f32 v[18:19], v[2:3], v[18:19]
	ds_write2st64_b32 v11, v14, v15 offset1:2
	ds_write2st64_b32 v11, v18, v19 offset0:4 offset1:6
	ds_read2st64_b32 v[18:19], v11 offset0:16 offset1:18
	s_waitcnt lgkmcnt(4)
	v_pk_mul_f32 v[14:15], v[2:3], v[20:21]
	ds_write2st64_b32 v11, v14, v15 offset0:8 offset1:10
	s_waitcnt lgkmcnt(4)
	v_pk_mul_f32 v[14:15], v[2:3], v[22:23]
	ds_write2st64_b32 v11, v14, v15 offset0:12 offset1:14
	ds_read2st64_b32 v[14:15], v11 offset0:20 offset1:22
	s_waitcnt lgkmcnt(3)
	v_pk_mul_f32 v[18:19], v[2:3], v[18:19]
	ds_read2st64_b32 v[20:21], v11 offset0:24 offset1:26
	ds_write2st64_b32 v11, v18, v19 offset0:16 offset1:18
	ds_read2st64_b32 v[18:19], v11 offset0:28 offset1:30
	s_waitcnt lgkmcnt(3)
	v_pk_mul_f32 v[14:15], v[2:3], v[14:15]
	ds_write2st64_b32 v11, v14, v15 offset0:20 offset1:22
	s_waitcnt lgkmcnt(3)
	v_pk_mul_f32 v[14:15], v[2:3], v[20:21]
	ds_write2st64_b32 v11, v14, v15 offset0:24 offset1:26
	s_waitcnt lgkmcnt(2)
	v_pk_mul_f32 v[14:15], v[2:3], v[18:19]
	s_add_i32 s15, s15, 16
	v_cmp_eq_u32_e32 vcc, 0, v10
	ds_write2st64_b32 v11, v14, v15 offset0:28 offset1:30
	v_add_u32_e32 v11, 0x2000, v11
	s_or_b64 s[34:35], vcc, s[34:35]
	v_mov_b32_e32 v13, s15
	s_andn2_b64 exec, exec, s[34:35]
	s_cbranch_execnz .LBB102_29
; %bb.30:
	s_or_b64 exec, exec, s[34:35]
.LBB102_31:
	s_or_b64 exec, exec, s[10:11]
	v_and_b32_e32 v9, 7, v9
	v_cmp_ne_u32_e32 vcc, 0, v9
	s_and_saveexec_b64 s[10:11], vcc
	s_cbranch_execz .LBB102_34
; %bb.32:
	v_lshlrev_b32_e32 v10, 9, v13
	v_lshlrev_b32_e32 v11, 2, v0
	s_movk_i32 s15, 0xd0
	v_add3_u32 v10, v10, v11, s15
	s_mov_b64 s[34:35], 0
.LBB102_33:                             ; =>This Inner Loop Header: Depth=1
	ds_read2st64_b32 v[14:15], v10 offset1:2
	v_add_u32_e32 v9, -1, v9
	v_cmp_eq_u32_e32 vcc, 0, v9
	s_or_b64 s[34:35], vcc, s[34:35]
	s_waitcnt lgkmcnt(0)
	v_pk_mul_f32 v[14:15], v[2:3], v[14:15]
	ds_write2st64_b32 v10, v14, v15 offset1:2
	v_add_u32_e32 v10, 0x400, v10
	s_andn2_b64 exec, exec, s[34:35]
	s_cbranch_execnz .LBB102_33
.LBB102_34:
	s_or_b64 exec, exec, s[10:11]
	v_add_u32_e32 v8, 1, v8
	v_and_b32_e32 v9, 0x3fffffe, v8
	v_cmp_ne_u32_e32 vcc, v8, v9
	v_lshl_add_u32 v3, v9, 7, v0
	s_orn2_b64 s[10:11], vcc, exec
.LBB102_35:
	s_or_b64 exec, exec, s[6:7]
	s_and_b64 exec, exec, s[10:11]
	s_cbranch_execz .LBB102_38
; %bb.36:
	v_mov_b32_e32 v8, 0xd0
	v_lshl_add_u32 v8, v3, 2, v8
	s_mov_b64 s[6:7], 0
.LBB102_37:                             ; =>This Inner Loop Header: Depth=1
	ds_read_b32 v9, v8
	v_add_u32_e32 v3, 0x80, v3
	v_cmp_le_i32_e32 vcc, s3, v3
	s_or_b64 s[6:7], vcc, s[6:7]
	s_waitcnt lgkmcnt(0)
	v_mul_f32_e32 v9, v2, v9
	ds_write_b32 v8, v9
	v_add_u32_e32 v8, 0x200, v8
	s_andn2_b64 exec, exec, s[6:7]
	s_cbranch_execnz .LBB102_37
.LBB102_38:
	s_or_b64 exec, exec, s[0:1]
	s_mul_i32 s0, s12, s24
	v_cmp_eq_u32_e32 vcc, 0, v0
	s_mul_i32 s6, s0, s5
	s_waitcnt lgkmcnt(0)
	s_barrier
	s_and_saveexec_b64 s[0:1], vcc
	s_cbranch_execz .LBB102_40
; %bb.39:
	s_ashr_i32 s7, s6, 31
	s_lshl_b64 s[10:11], s[6:7], 2
	s_add_u32 s5, s18, s10
	s_mul_i32 s2, s12, s2
	s_addc_u32 s7, s19, s11
	s_ashr_i32 s3, s2, 31
	s_lshl_b64 s[2:3], s[2:3], 2
	s_add_u32 s15, s5, s2
	s_addc_u32 s7, s7, s3
	s_ashr_i32 s5, s4, 31
	s_lshl_b64 s[18:19], s[4:5], 2
	s_add_u32 s34, s15, s18
	s_addc_u32 s35, s7, s19
	s_add_u32 s5, s16, s10
	s_addc_u32 s7, s17, s11
	s_add_u32 s2, s5, s2
	s_addc_u32 s3, s7, s3
	s_add_u32 s2, s2, s18
	v_mov_b32_e32 v2, 0
	s_addc_u32 s3, s3, s19
	global_store_dword v2, v4, s[34:35]
	global_store_dword v2, v5, s[2:3]
.LBB102_40:
	s_or_b64 exec, exec, s[0:1]
	v_mov_b32_e32 v19, 0
	v_and_b32_e32 v18, 1, v0
	v_mov_b32_e32 v9, 0
	v_mov_b32_e32 v8, 0
	s_and_saveexec_b64 s[2:3], s[8:9]
	s_cbranch_execz .LBB102_50
; %bb.41:
	s_ashr_i32 s15, s14, 31
	s_lshl_b64 s[0:1], s[14:15], 1
	s_add_u32 s0, s30, s0
	v_lshlrev_b32_e32 v3, 4, v0
	v_lshlrev_b32_e32 v2, 3, v0
	s_addc_u32 s1, s31, s1
	v_and_b32_e32 v8, 0x3f0, v3
	v_mov_b32_e32 v9, 0
	v_and_b32_e32 v2, 8, v2
	s_add_i32 s40, s40, -1
	v_lshl_add_u64 v[10:11], s[0:1], 0, v[8:9]
	s_lshl_b64 s[0:1], s[28:29], 2
	v_add3_u32 v20, s33, v12, v2
	v_lshlrev_b32_e32 v2, 5, v18
	s_add_u32 s0, s26, s0
	v_lshl_or_b32 v1, v1, 6, v2
	s_addc_u32 s1, s27, s1
	s_mov_b32 s5, s13
	s_mov_b32 s7, s25
	;; [unrolled: 1-line block ×8, first 2 shown]
	v_add_u32_e32 v1, 0xd0, v1
	v_lshl_add_u64 v[12:13], v[6:7], 2, s[0:1]
	s_mov_b64 s[8:9], 0
	s_mov_b32 s19, 0x5040100
	v_mov_b32_e32 v8, v9
	v_mov_b32_e32 v19, v9
	s_branch .LBB102_43
.LBB102_42:                             ;   in Loop: Header=BB102_43 Depth=1
	s_or_b64 exec, exec, s[0:1]
	s_waitcnt vmcnt(0)
	;;#ASMSTART
	v_pk_mul_f16 v2, v30, v2;

	;;#ASMEND
	;;#ASMSTART
	v_pk_mul_f16 v3, v29, v3;

	;;#ASMEND
	;;#ASMSTART
	v_pk_mul_f16 v4, v28, v4;

	;;#ASMEND
	;;#ASMSTART
	v_pk_mul_f16 v5, v27, v5;

	;;#ASMEND
	v_add_f32_e32 v7, v31, v32
	;;#ASMSTART
	v_pk_add_f16 v2, v2, v3;

	;;#ASMEND
	v_add_u32_e32 v6, 2, v6
	;;#ASMSTART
	v_pk_add_f16 v2, v2, v4;

	;;#ASMEND
	v_add_f32_e32 v8, v8, v7
	;;#ASMSTART
	v_pk_add_f16 v2, v2, v5;

	;;#ASMEND
	v_add_f32_e32 v7, v33, v34
	v_lshrrev_b32_e32 v3, 16, v2
	v_and_b32_e32 v2, 0xffff, v2
	;;#ASMSTART
	v_cvt_f32_f16 v2, v2;
	;;#ASMEND
	;;#ASMSTART
	v_cvt_f32_f16 v3, v3;
	;;#ASMEND
	v_cmp_le_i32_e32 vcc, s21, v6
	v_add_f32_e32 v2, v2, v3
	v_add_f32_e32 v9, v9, v7
	;; [unrolled: 1-line block ×3, first 2 shown]
	v_add_u32_e32 v20, 32, v20
	v_add_u32_e32 v1, 0x80, v1
	s_or_b64 s[8:9], vcc, s[8:9]
	v_lshl_add_u64 v[12:13], v[12:13], 0, 8
	s_andn2_b64 exec, exec, s[8:9]
	s_cbranch_execz .LBB102_49
.LBB102_43:                             ; =>This Inner Loop Header: Depth=1
	global_load_dword v7, v[12:13], off
	ds_read2_b64 v[2:5], v1 offset1:1
	ds_read2_b64 v[22:25], v1 offset0:2 offset1:3
	v_cmp_eq_u32_e32 vcc, s40, v6
	v_or_b32_e32 v21, 2, v20
	s_waitcnt lgkmcnt(1)
	;;#ASMSTART
	v_cvt_f16_f32 v27, v2;

	;;#ASMEND
	;;#ASMSTART
	v_cvt_f16_f32 v28, v3;

	;;#ASMEND
	;; [unrolled: 4-line block ×4, first 2 shown]
	s_waitcnt lgkmcnt(0)
	;;#ASMSTART
	v_cvt_f16_f32 v32, v22;

	;;#ASMEND
	;;#ASMSTART
	v_cvt_f16_f32 v33, v23;

	;;#ASMEND
	;; [unrolled: 4-line block ×4, first 2 shown]
	v_or_b32_e32 v22, 3, v20
	v_or_b32_e32 v24, 5, v20
	;; [unrolled: 1-line block ×5, first 2 shown]
	s_waitcnt vmcnt(0)
	v_mad_i64_i32 v[2:3], s[0:1], v7, s5, 0
	v_lshl_add_u64 v[14:15], v[2:3], 1, v[10:11]
	global_load_dwordx4 v[2:5], v[14:15], off
	v_add_u32_e32 v7, 1, v20
	s_and_saveexec_b64 s[10:11], vcc
	s_cbranch_execz .LBB102_45
; %bb.44:                               ;   in Loop: Header=BB102_43 Depth=1
	s_waitcnt vmcnt(0)
	v_lshrrev_b32_e32 v30, 16, v5
	v_cmp_gt_i32_e64 s[0:1], s18, v26
	s_nop 1
	v_cndmask_b32_e64 v30, 0, v30, s[0:1]
	v_cmp_gt_i32_e64 s[0:1], s17, v25
	s_nop 1
	v_cndmask_b32_e64 v5, 0, v5, s[0:1]
	v_perm_b32 v5, v30, v5, s19
	v_lshrrev_b32_e32 v30, 16, v4
	v_cmp_gt_i32_e64 s[0:1], s16, v24
	s_nop 1
	v_cndmask_b32_e64 v30, 0, v30, s[0:1]
	v_cmp_gt_i32_e64 s[0:1], s15, v23
	s_nop 1
	v_cndmask_b32_e64 v4, 0, v4, s[0:1]
	v_perm_b32 v4, v30, v4, s19
	v_lshrrev_b32_e32 v30, 16, v3
	v_cmp_gt_i32_e64 s[0:1], s14, v22
	s_nop 1
	v_cndmask_b32_e64 v30, 0, v30, s[0:1]
	v_cmp_gt_i32_e64 s[0:1], s13, v21
	s_nop 1
	v_cndmask_b32_e64 v3, 0, v3, s[0:1]
	v_perm_b32 v3, v30, v3, s19
	v_lshrrev_b32_e32 v30, 16, v2
	v_cmp_gt_i32_e64 s[0:1], s7, v7
	s_nop 1
	v_cndmask_b32_e64 v30, 0, v30, s[0:1]
	v_cmp_gt_i32_e64 s[0:1], s25, v20
	s_nop 1
	v_cndmask_b32_e64 v2, 0, v2, s[0:1]
	v_perm_b32 v2, v30, v2, s19
.LBB102_45:                             ;   in Loop: Header=BB102_43 Depth=1
	s_or_b64 exec, exec, s[10:11]
	v_and_b32_e32 v27, 0xffff, v27
	v_lshl_or_b32 v30, v28, 16, v27
	v_and_b32_e32 v27, 0xffff, v29
	v_lshl_or_b32 v29, v31, 16, v27
	v_and_b32_e32 v27, 0xffff, v32
	v_lshl_or_b32 v28, v33, 16, v27
	v_and_b32_e32 v27, 0xffff, v34
	s_waitcnt vmcnt(0)
	;;#ASMSTART
	v_pk_mul_f16 v2, v30, v2;

	;;#ASMEND
	v_lshl_or_b32 v27, v35, 16, v27
	;;#ASMSTART
	v_pk_mul_f16 v3, v29, v3;

	;;#ASMEND
	;;#ASMSTART
	v_pk_mul_f16 v4, v28, v4;

	;;#ASMEND
	;; [unrolled: 4-line block ×3, first 2 shown]
	s_nop 0
	;;#ASMSTART
	v_pk_add_f16 v2, v2, v3;

	;;#ASMEND
	s_nop 0
	;;#ASMSTART
	v_pk_add_f16 v2, v2, v4;

	;;#ASMEND
	;; [unrolled: 5-line block ×3, first 2 shown]
	s_nop 0
	v_lshrrev_b32_e32 v3, 16, v2
	v_and_b32_e32 v2, 0xffff, v2
	;;#ASMSTART
	v_cvt_f32_f16 v31, v2;
	;;#ASMEND
	;;#ASMSTART
	v_cvt_f32_f16 v32, v3;
	;;#ASMEND
	global_load_dwordx4 v[2:5], v[14:15], off offset:1024
	s_and_saveexec_b64 s[10:11], vcc
	s_cbranch_execz .LBB102_47
; %bb.46:                               ;   in Loop: Header=BB102_43 Depth=1
	s_waitcnt vmcnt(0)
	v_lshrrev_b32_e32 v33, 16, v5
	v_cmp_gt_i32_e64 s[0:1], s18, v26
	s_nop 1
	v_cndmask_b32_e64 v33, 0, v33, s[0:1]
	v_cmp_gt_i32_e64 s[0:1], s17, v25
	s_nop 1
	v_cndmask_b32_e64 v5, 0, v5, s[0:1]
	v_perm_b32 v5, v33, v5, s19
	v_lshrrev_b32_e32 v33, 16, v4
	v_cmp_gt_i32_e64 s[0:1], s16, v24
	s_nop 1
	v_cndmask_b32_e64 v33, 0, v33, s[0:1]
	v_cmp_gt_i32_e64 s[0:1], s15, v23
	s_nop 1
	v_cndmask_b32_e64 v4, 0, v4, s[0:1]
	v_perm_b32 v4, v33, v4, s19
	;; [unrolled: 8-line block ×4, first 2 shown]
.LBB102_47:                             ;   in Loop: Header=BB102_43 Depth=1
	s_or_b64 exec, exec, s[10:11]
	s_waitcnt vmcnt(0)
	;;#ASMSTART
	v_pk_mul_f16 v2, v30, v2;

	;;#ASMEND
	;;#ASMSTART
	v_pk_mul_f16 v3, v29, v3;

	;;#ASMEND
	;; [unrolled: 4-line block ×4, first 2 shown]
	s_nop 0
	;;#ASMSTART
	v_pk_add_f16 v2, v2, v3;

	;;#ASMEND
	s_nop 0
	;;#ASMSTART
	v_pk_add_f16 v2, v2, v4;

	;;#ASMEND
	;; [unrolled: 5-line block ×3, first 2 shown]
	s_nop 0
	v_lshrrev_b32_e32 v3, 16, v2
	v_and_b32_e32 v2, 0xffff, v2
	;;#ASMSTART
	v_cvt_f32_f16 v33, v2;
	;;#ASMEND
	;;#ASMSTART
	v_cvt_f32_f16 v34, v3;
	;;#ASMEND
	global_load_dwordx4 v[2:5], v[14:15], off offset:2048
	s_and_saveexec_b64 s[0:1], vcc
	s_cbranch_execz .LBB102_42
; %bb.48:                               ;   in Loop: Header=BB102_43 Depth=1
	s_waitcnt vmcnt(0)
	v_lshrrev_b32_e32 v14, 16, v5
	v_cmp_gt_i32_e32 vcc, s18, v26
	s_nop 1
	v_cndmask_b32_e32 v14, 0, v14, vcc
	v_cmp_gt_i32_e32 vcc, s17, v25
	s_nop 1
	v_cndmask_b32_e32 v5, 0, v5, vcc
	v_perm_b32 v5, v14, v5, s19
	v_lshrrev_b32_e32 v14, 16, v4
	v_cmp_gt_i32_e32 vcc, s16, v24
	s_nop 1
	v_cndmask_b32_e32 v14, 0, v14, vcc
	v_cmp_gt_i32_e32 vcc, s15, v23
	s_nop 1
	v_cndmask_b32_e32 v4, 0, v4, vcc
	v_perm_b32 v4, v14, v4, s19
	;; [unrolled: 8-line block ×4, first 2 shown]
	s_branch .LBB102_42
.LBB102_49:
	s_or_b64 exec, exec, s[8:9]
.LBB102_50:
	s_or_b64 exec, exec, s[2:3]
	ds_bpermute_b32 v2, v17, v8
	ds_bpermute_b32 v3, v17, v9
	;; [unrolled: 1-line block ×3, first 2 shown]
	v_and_b32_e32 v4, 0x3c1, v0
	v_cmp_eq_u32_e32 vcc, 64, v4
	s_waitcnt lgkmcnt(0)
	v_pk_add_f32 v[2:3], v[8:9], v[2:3]
	v_add_f32_e32 v1, v19, v1
	s_barrier
	s_and_saveexec_b64 s[0:1], vcc
	s_cbranch_execz .LBB102_52
; %bb.51:
	v_mov_b32_e32 v5, 0xd0
	v_lshl_add_u32 v5, v16, 1, v5
	ds_write2_b32 v5, v2, v3 offset1:32
	ds_write_b32 v5, v1 offset:256
.LBB102_52:
	s_or_b64 exec, exec, s[0:1]
	v_cmp_gt_u32_e32 vcc, 64, v0
	s_waitcnt lgkmcnt(0)
	s_barrier
	s_and_saveexec_b64 s[0:1], vcc
	s_cbranch_execz .LBB102_58
; %bb.53:
	v_cmp_eq_u32_e32 vcc, 0, v18
	v_lshrrev_b32_e32 v5, 1, v0
	s_and_saveexec_b64 s[2:3], vcc
	s_cbranch_execnz .LBB102_61
; %bb.54:
	s_or_b64 exec, exec, s[2:3]
	s_and_saveexec_b64 s[2:3], vcc
	s_cbranch_execnz .LBB102_62
.LBB102_55:
	s_or_b64 exec, exec, s[2:3]
	s_and_saveexec_b64 s[2:3], vcc
	s_cbranch_execz .LBB102_57
.LBB102_56:
	v_mov_b32_e32 v6, 0xd0
	v_lshl_add_u32 v5, v5, 2, v6
	ds_read_b32 v5, v5 offset:256
	s_waitcnt lgkmcnt(0)
	v_add_f32_e32 v1, v1, v5
.LBB102_57:
	s_or_b64 exec, exec, s[2:3]
.LBB102_58:
	s_or_b64 exec, exec, s[0:1]
	v_cmp_eq_u32_e32 vcc, 0, v4
	s_barrier
	s_and_saveexec_b64 s[0:1], vcc
	s_cbranch_execz .LBB102_60
; %bb.59:
	s_mul_i32 s0, s6, 0x60
	s_ashr_i32 s1, s0, 31
	s_lshl_b64 s[0:1], s[0:1], 1
	s_add_u32 s2, s22, s0
	s_mul_i32 s0, s12, s20
	s_addc_u32 s3, s23, s1
	s_ashr_i32 s1, s0, 31
	s_lshl_b64 s[0:1], s[0:1], 1
	s_add_u32 s2, s2, s0
	s_mul_i32 s0, s4, 0x60
	s_addc_u32 s3, s3, s1
	s_ashr_i32 s1, s0, 31
	s_lshl_b64 s[0:1], s[0:1], 1
	s_add_u32 s0, s2, s0
	s_addc_u32 s1, s3, s1
	;;#ASMSTART
	v_cvt_f16_f32 v2, v2;

	;;#ASMEND
	global_store_short v0, v2, s[0:1]
	;;#ASMSTART
	v_cvt_f16_f32 v2, v3;

	;;#ASMEND
	global_store_short v0, v2, s[0:1] offset:64
	;;#ASMSTART
	v_cvt_f16_f32 v1, v1;

	;;#ASMEND
	global_store_short v0, v1, s[0:1] offset:128
.LBB102_60:
	s_endpgm
.LBB102_61:
	v_mov_b32_e32 v6, 0xd0
	v_lshl_add_u32 v6, v5, 2, v6
	ds_read_b32 v6, v6
	s_waitcnt lgkmcnt(0)
	v_add_f32_e32 v2, v2, v6
	s_or_b64 exec, exec, s[2:3]
	s_and_saveexec_b64 s[2:3], vcc
	s_cbranch_execz .LBB102_55
.LBB102_62:
	v_mov_b32_e32 v6, 0xd0
	v_lshl_add_u32 v6, v5, 2, v6
	ds_read_b32 v6, v6 offset:128
	s_waitcnt lgkmcnt(0)
	v_add_f32_e32 v3, v3, v6
	s_or_b64 exec, exec, s[2:3]
	s_and_saveexec_b64 s[2:3], vcc
	s_cbranch_execnz .LBB102_56
	s_branch .LBB102_57
	.section	.rodata,"a",@progbits
	.p2align	6, 0x0
	.amdhsa_kernel _ZN4vllm25paged_attention_v2_kernelIttLi96ELi16ELi128ELNS_18Fp8KVCacheDataTypeE0ELb0ELi512EEEvPfS2_PT_PKS3_PKT0_S9_ifPKiSB_iPKfiiiSD_SD_iiiii
		.amdhsa_group_segment_fixed_size 208
		.amdhsa_private_segment_fixed_size 0
		.amdhsa_kernarg_size 400
		.amdhsa_user_sgpr_count 2
		.amdhsa_user_sgpr_dispatch_ptr 0
		.amdhsa_user_sgpr_queue_ptr 0
		.amdhsa_user_sgpr_kernarg_segment_ptr 1
		.amdhsa_user_sgpr_dispatch_id 0
		.amdhsa_user_sgpr_kernarg_preload_length 0
		.amdhsa_user_sgpr_kernarg_preload_offset 0
		.amdhsa_user_sgpr_private_segment_size 0
		.amdhsa_uses_dynamic_stack 0
		.amdhsa_enable_private_segment 0
		.amdhsa_system_sgpr_workgroup_id_x 1
		.amdhsa_system_sgpr_workgroup_id_y 1
		.amdhsa_system_sgpr_workgroup_id_z 1
		.amdhsa_system_sgpr_workgroup_info 0
		.amdhsa_system_vgpr_workitem_id 0
		.amdhsa_next_free_vgpr 56
		.amdhsa_next_free_sgpr 42
		.amdhsa_accum_offset 56
		.amdhsa_reserve_vcc 1
		.amdhsa_float_round_mode_32 0
		.amdhsa_float_round_mode_16_64 0
		.amdhsa_float_denorm_mode_32 3
		.amdhsa_float_denorm_mode_16_64 3
		.amdhsa_dx10_clamp 1
		.amdhsa_ieee_mode 1
		.amdhsa_fp16_overflow 0
		.amdhsa_tg_split 0
		.amdhsa_exception_fp_ieee_invalid_op 0
		.amdhsa_exception_fp_denorm_src 0
		.amdhsa_exception_fp_ieee_div_zero 0
		.amdhsa_exception_fp_ieee_overflow 0
		.amdhsa_exception_fp_ieee_underflow 0
		.amdhsa_exception_fp_ieee_inexact 0
		.amdhsa_exception_int_div_zero 0
	.end_amdhsa_kernel
	.section	.text._ZN4vllm25paged_attention_v2_kernelIttLi96ELi16ELi128ELNS_18Fp8KVCacheDataTypeE0ELb0ELi512EEEvPfS2_PT_PKS3_PKT0_S9_ifPKiSB_iPKfiiiSD_SD_iiiii,"axG",@progbits,_ZN4vllm25paged_attention_v2_kernelIttLi96ELi16ELi128ELNS_18Fp8KVCacheDataTypeE0ELb0ELi512EEEvPfS2_PT_PKS3_PKT0_S9_ifPKiSB_iPKfiiiSD_SD_iiiii,comdat
.Lfunc_end102:
	.size	_ZN4vllm25paged_attention_v2_kernelIttLi96ELi16ELi128ELNS_18Fp8KVCacheDataTypeE0ELb0ELi512EEEvPfS2_PT_PKS3_PKT0_S9_ifPKiSB_iPKfiiiSD_SD_iiiii, .Lfunc_end102-_ZN4vllm25paged_attention_v2_kernelIttLi96ELi16ELi128ELNS_18Fp8KVCacheDataTypeE0ELb0ELi512EEEvPfS2_PT_PKS3_PKT0_S9_ifPKiSB_iPKfiiiSD_SD_iiiii
                                        ; -- End function
	.section	.AMDGPU.csdata,"",@progbits
; Kernel info:
; codeLenInByte = 5436
; NumSgprs: 48
; NumVgprs: 56
; NumAgprs: 0
; TotalNumVgprs: 56
; ScratchSize: 0
; MemoryBound: 0
; FloatMode: 240
; IeeeMode: 1
; LDSByteSize: 208 bytes/workgroup (compile time only)
; SGPRBlocks: 5
; VGPRBlocks: 6
; NumSGPRsForWavesPerEU: 48
; NumVGPRsForWavesPerEU: 56
; AccumOffset: 56
; Occupancy: 8
; WaveLimiterHint : 1
; COMPUTE_PGM_RSRC2:SCRATCH_EN: 0
; COMPUTE_PGM_RSRC2:USER_SGPR: 2
; COMPUTE_PGM_RSRC2:TRAP_HANDLER: 0
; COMPUTE_PGM_RSRC2:TGID_X_EN: 1
; COMPUTE_PGM_RSRC2:TGID_Y_EN: 1
; COMPUTE_PGM_RSRC2:TGID_Z_EN: 1
; COMPUTE_PGM_RSRC2:TIDIG_COMP_CNT: 0
; COMPUTE_PGM_RSRC3_GFX90A:ACCUM_OFFSET: 13
; COMPUTE_PGM_RSRC3_GFX90A:TG_SPLIT: 0
	.section	.text._ZN4vllm25paged_attention_v2_kernelIttLi112ELi16ELi128ELNS_18Fp8KVCacheDataTypeE0ELb0ELi512EEEvPfS2_PT_PKS3_PKT0_S9_ifPKiSB_iPKfiiiSD_SD_iiiii,"axG",@progbits,_ZN4vllm25paged_attention_v2_kernelIttLi112ELi16ELi128ELNS_18Fp8KVCacheDataTypeE0ELb0ELi512EEEvPfS2_PT_PKS3_PKT0_S9_ifPKiSB_iPKfiiiSD_SD_iiiii,comdat
	.protected	_ZN4vllm25paged_attention_v2_kernelIttLi112ELi16ELi128ELNS_18Fp8KVCacheDataTypeE0ELb0ELi512EEEvPfS2_PT_PKS3_PKT0_S9_ifPKiSB_iPKfiiiSD_SD_iiiii ; -- Begin function _ZN4vllm25paged_attention_v2_kernelIttLi112ELi16ELi128ELNS_18Fp8KVCacheDataTypeE0ELb0ELi512EEEvPfS2_PT_PKS3_PKT0_S9_ifPKiSB_iPKfiiiSD_SD_iiiii
	.globl	_ZN4vllm25paged_attention_v2_kernelIttLi112ELi16ELi128ELNS_18Fp8KVCacheDataTypeE0ELb0ELi512EEEvPfS2_PT_PKS3_PKT0_S9_ifPKiSB_iPKfiiiSD_SD_iiiii
	.p2align	8
	.type	_ZN4vllm25paged_attention_v2_kernelIttLi112ELi16ELi128ELNS_18Fp8KVCacheDataTypeE0ELb0ELi512EEEvPfS2_PT_PKS3_PKT0_S9_ifPKiSB_iPKfiiiSD_SD_iiiii,@function
_ZN4vllm25paged_attention_v2_kernelIttLi112ELi16ELi128ELNS_18Fp8KVCacheDataTypeE0ELb0ELi512EEEvPfS2_PT_PKS3_PKT0_S9_ifPKiSB_iPKfiiiSD_SD_iiiii: ; @_ZN4vllm25paged_attention_v2_kernelIttLi112ELi16ELi128ELNS_18Fp8KVCacheDataTypeE0ELb0ELi512EEEvPfS2_PT_PKS3_PKT0_S9_ifPKiSB_iPKfiiiSD_SD_iiiii
; %bb.0:
	s_load_dwordx2 s[6:7], s[0:1], 0x40
	s_mov_b32 s24, s3
	s_ashr_i32 s25, s3, 31
	s_lshl_b64 s[8:9], s[24:25], 2
	s_waitcnt lgkmcnt(0)
	s_add_u32 s6, s6, s8
	s_addc_u32 s7, s7, s9
	s_load_dword s25, s[6:7], 0x0
	s_lshl_b32 s40, s4, 9
	s_waitcnt lgkmcnt(0)
	s_cmp_ge_i32 s40, s25
	s_cbranch_scc1 .LBB103_72
; %bb.1:
	s_load_dword s5, s[0:1], 0x90
	s_load_dwordx2 s[10:11], s[0:1], 0x30
	s_mov_b32 s41, 0
	s_waitcnt lgkmcnt(0)
	s_abs_i32 s7, s5
	s_abs_i32 s3, s10
	v_cvt_f32_u32_e32 v1, s3
	s_sub_i32 s8, 0, s3
	s_xor_b32 s6, s5, s10
	s_ashr_i32 s6, s6, 31
	v_rcp_iflag_f32_e32 v1, v1
	s_nop 0
	v_mul_f32_e32 v1, 0x4f7ffffe, v1
	v_cvt_u32_f32_e32 v1, v1
	s_nop 0
	v_readfirstlane_b32 s9, v1
	s_mul_i32 s8, s8, s9
	s_mul_hi_u32 s8, s9, s8
	s_add_i32 s9, s9, s8
	s_mul_hi_u32 s8, s7, s9
	s_mul_i32 s9, s8, s3
	s_sub_i32 s7, s7, s9
	s_add_i32 s10, s8, 1
	s_sub_i32 s9, s7, s3
	s_cmp_ge_u32 s7, s3
	s_cselect_b32 s8, s10, s8
	s_cselect_b32 s7, s9, s7
	s_add_i32 s9, s8, 1
	s_cmp_ge_u32 s7, s3
	s_cselect_b32 s3, s9, s8
	s_xor_b32 s3, s3, s6
	s_sub_i32 s10, s3, s6
	s_abs_i32 s8, s10
	v_cvt_f32_u32_e32 v1, s8
	s_load_dwordx2 s[6:7], s[0:1], 0x50
	s_sub_i32 s3, 0, s8
	s_abs_i32 s9, s2
	v_rcp_iflag_f32_e32 v1, v1
	s_nop 0
	v_mul_f32_e32 v1, 0x4f7ffffe, v1
	v_cvt_u32_f32_e32 v1, v1
	s_nop 0
	v_readfirstlane_b32 s12, v1
	s_mul_i32 s3, s3, s12
	s_mul_hi_u32 s3, s12, s3
	s_add_i32 s12, s12, s3
	s_waitcnt lgkmcnt(0)
	s_cmp_eq_u64 s[6:7], 0
	s_mul_hi_u32 s16, s9, s12
	s_cbranch_scc1 .LBB103_3
; %bb.2:
	s_ashr_i32 s3, s2, 31
	s_lshl_b64 s[12:13], s[2:3], 2
	s_add_u32 s6, s6, s12
	s_addc_u32 s7, s7, s13
	s_load_dword s41, s[6:7], 0x0
.LBB103_3:
	s_load_dwordx4 s[12:15], s[0:1], 0x58
	s_ashr_i32 s17, s2, 31
	s_waitcnt lgkmcnt(0)
	s_ashr_i32 s15, s10, 31
	v_and_b32_e32 v4, 3, v0
	s_mul_i32 s20, s2, 0x70
	v_cmp_gt_u32_e32 vcc, 56, v0
	s_and_saveexec_b64 s[6:7], vcc
	s_cbranch_execz .LBB103_5
; %bb.4:
	s_load_dwordx2 s[18:19], s[0:1], 0x18
	s_mul_i32 s22, s24, s12
	s_ashr_i32 s23, s22, 31
	s_lshl_b64 s[22:23], s[22:23], 1
	v_lshlrev_b32_e32 v1, 2, v0
	s_waitcnt lgkmcnt(0)
	s_add_u32 s3, s18, s22
	s_addc_u32 s10, s19, s23
	s_ashr_i32 s21, s20, 31
	s_lshl_b64 s[18:19], s[20:21], 1
	s_add_u32 s18, s3, s18
	s_addc_u32 s19, s10, s19
	global_load_dword v1, v1, s[18:19]
	v_and_b32_e32 v2, 0x3fc, v0
	v_mad_u32_u24 v2, v4, 56, v2
	s_waitcnt vmcnt(0)
	ds_write_b32 v2, v1
.LBB103_5:
	s_or_b64 exec, exec, s[6:7]
	s_add_i32 s3, s25, 15
	s_ashr_i32 s6, s3, 31
	s_lshr_b32 s6, s6, 28
	s_add_i32 s3, s3, s6
	s_lshl_b32 s10, s4, 5
	s_mul_i32 s7, s16, s8
	s_ashr_i32 s3, s3, 4
	s_add_i32 s6, s10, 32
	s_sub_i32 s7, s9, s7
	s_min_i32 s33, s6, s3
	s_xor_b32 s6, s17, s15
	s_add_i32 s9, s16, 1
	s_sub_i32 s12, s7, s8
	s_cmp_ge_u32 s7, s8
	s_cselect_b32 s9, s9, s16
	s_cselect_b32 s7, s12, s7
	s_add_i32 s12, s9, 1
	s_cmp_ge_u32 s7, s8
	s_load_dwordx2 s[26:27], s[0:1], 0x38
	s_load_dword s8, s[0:1], 0x48
	v_lshrrev_b32_e32 v1, 6, v0
	s_cselect_b32 s7, s12, s9
	s_xor_b32 s7, s7, s6
	v_or_b32_e32 v6, s10, v1
	s_waitcnt lgkmcnt(0)
	s_mul_i32 s28, s24, s8
	s_sub_i32 s12, s7, s6
	s_ashr_i32 s29, s28, 31
	v_cmp_gt_i32_e64 s[8:9], s33, v6
	v_cmp_le_i32_e32 vcc, s33, v6
	v_mbcnt_lo_u32_b32 v15, -1, 0
	s_barrier
	s_waitcnt lgkmcnt(0)
                                        ; implicit-def: $sgpr15
                                        ; implicit-def: $vgpr8
                                        ; implicit-def: $vgpr9
	s_and_saveexec_b64 s[6:7], vcc
	s_xor_b64 s[6:7], exec, s[6:7]
; %bb.6:
	v_mbcnt_hi_u32_b32 v8, -1, v15
	v_and_b32_e32 v2, 64, v8
	v_add_u32_e32 v9, 64, v2
	s_mov_b32 s15, 0xff7fffff
                                        ; implicit-def: $vgpr4
                                        ; implicit-def: $vgpr15
; %bb.7:
	s_or_saveexec_b64 s[34:35], s[6:7]
	s_load_dwordx4 s[16:19], s[0:1], 0x0
	s_load_dwordx2 s[22:23], s[0:1], 0x10
	s_load_dwordx2 s[30:31], s[0:1], 0x28
	s_load_dword s21, s[0:1], 0x98
	v_mov_b32_e32 v11, s15
	s_mul_i32 s14, s12, s14
	v_ashrrev_i32_e32 v7, 31, v6
	v_lshlrev_b32_e32 v10, 4, v1
	s_xor_b64 exec, exec, s[34:35]
	s_cbranch_execz .LBB103_13
; %bb.8:
	s_load_dwordx2 s[0:1], s[0:1], 0x20
	s_ashr_i32 s15, s14, 31
	s_lshl_b64 s[6:7], s[14:15], 1
	v_bfe_u32 v5, v0, 2, 4
	v_lshlrev_b32_e32 v2, 4, v5
	s_waitcnt lgkmcnt(0)
	s_add_u32 s0, s0, s6
	s_addc_u32 s1, s1, s7
	v_mov_b32_e32 v3, 0
	v_lshl_add_u64 v[8:9], s[0:1], 0, v[2:3]
	v_lshlrev_b32_e32 v2, 2, v0
	v_and_b32_e32 v2, 12, v2
	s_sub_i32 s15, 1, s25
	s_lshl_b64 s[0:1], s[28:29], 2
	v_lshl_add_u64 v[2:3], v[8:9], 0, v[2:3]
	v_mul_u32_u24_e32 v12, 56, v4
	v_cmp_eq_u32_e32 vcc, 0, v4
	v_lshlrev_b32_e32 v4, 2, v5
	s_add_u32 s0, s26, s0
	v_mbcnt_hi_u32_b32 v8, -1, v15
	v_lshl_or_b32 v4, v1, 6, v4
	s_addc_u32 s1, s27, s1
	v_and_b32_e32 v9, 64, v8
	s_mov_b32 s12, s13
	v_cmp_neq_f32_e64 s[6:7], s41, 0
	v_add3_u32 v13, s40, v10, v5
	v_add_u32_e32 v14, 0xf0, v4
	v_lshl_add_u64 v[4:5], v[6:7], 2, s[0:1]
	s_mov_b64 s[36:37], 0
	v_mov_b32_e32 v11, 0xff7fffff
	v_add_u32_e32 v9, 64, v9
	v_xor_b32_e32 v15, 2, v8
	v_xor_b32_e32 v16, 1, v8
	v_mov_b32_e32 v17, v6
	s_branch .LBB103_10
.LBB103_9:                              ;   in Loop: Header=BB103_10 Depth=1
	s_or_b64 exec, exec, s[38:39]
	v_add_u32_e32 v17, 2, v17
	v_cmp_le_i32_e64 s[0:1], s33, v17
	v_add_u32_e32 v13, 32, v13
	v_add_u32_e32 v14, 0x80, v14
	s_or_b64 s[36:37], s[0:1], s[36:37]
	v_lshl_add_u64 v[4:5], v[4:5], 0, 8
	s_andn2_b64 exec, exec, s[36:37]
	s_cbranch_execz .LBB103_12
.LBB103_10:                             ; =>This Inner Loop Header: Depth=1
	global_load_dword v18, v[4:5], off
	s_waitcnt vmcnt(0) lgkmcnt(0)
	v_mad_i64_i32 v[18:19], s[0:1], v18, s12, 0
	v_lshl_add_u64 v[18:19], v[18:19], 1, v[2:3]
	global_load_dword v20, v[18:19], off
	global_load_dword v21, v[18:19], off offset:256
	global_load_dword v22, v[18:19], off offset:512
	;; [unrolled: 1-line block ×12, first 2 shown]
	ds_read_b32 v33, v12
	global_load_dword v18, v[18:19], off offset:3328
	v_cmp_lt_i32_e64 s[0:1], v15, v9
	s_waitcnt lgkmcnt(0)
	v_lshrrev_b32_e32 v34, 16, v33
	v_and_b32_e32 v33, 0xffff, v33
	;;#ASMSTART
	v_cvt_f32_f16 v33, v33;
	;;#ASMEND
	;;#ASMSTART
	v_cvt_f32_f16 v34, v34;
	;;#ASMEND
	v_cndmask_b32_e64 v19, v8, v15, s[0:1]
	v_lshlrev_b32_e32 v19, 2, v19
	v_cmp_lt_i32_e64 s[0:1], v16, v9
	s_waitcnt vmcnt(13)
	v_lshrrev_b32_e32 v35, 16, v20
	v_and_b32_e32 v20, 0xffff, v20
	;;#ASMSTART
	v_cvt_f32_f16 v20, v20;
	;;#ASMEND
	;;#ASMSTART
	v_cvt_f32_f16 v35, v35;
	;;#ASMEND
	ds_read_b32 v36, v12 offset:4
	s_waitcnt vmcnt(12)
	v_lshrrev_b32_e32 v37, 16, v21
	v_and_b32_e32 v21, 0xffff, v21
	s_waitcnt vmcnt(11)
	v_lshrrev_b32_e32 v38, 16, v22
	v_and_b32_e32 v22, 0xffff, v22
	s_waitcnt lgkmcnt(0)
	v_lshrrev_b32_e32 v39, 16, v36
	v_and_b32_e32 v36, 0xffff, v36
	;;#ASMSTART
	v_cvt_f32_f16 v36, v36;
	;;#ASMEND
	;;#ASMSTART
	v_cvt_f32_f16 v39, v39;
	;;#ASMEND
	;;#ASMSTART
	v_cvt_f32_f16 v21, v21;
	;;#ASMEND
	;;#ASMSTART
	v_cvt_f32_f16 v37, v37;
	;;#ASMEND
	ds_read_b32 v40, v12 offset:8
	s_waitcnt vmcnt(10)
	v_lshrrev_b32_e32 v41, 16, v23
	v_and_b32_e32 v23, 0xffff, v23
	s_waitcnt vmcnt(9)
	v_lshrrev_b32_e32 v42, 16, v24
	v_and_b32_e32 v24, 0xffff, v24
	s_waitcnt lgkmcnt(0)
	v_lshrrev_b32_e32 v43, 16, v40
	v_and_b32_e32 v40, 0xffff, v40
	;;#ASMSTART
	v_cvt_f32_f16 v40, v40;
	;;#ASMEND
	;;#ASMSTART
	v_cvt_f32_f16 v43, v43;
	;;#ASMEND
	;; [unrolled: 22-line block ×3, first 2 shown]
	;;#ASMSTART
	v_cvt_f32_f16 v23, v23;
	;;#ASMEND
	;;#ASMSTART
	v_cvt_f32_f16 v41, v41;
	;;#ASMEND
	ds_read_b32 v48, v12 offset:16
	s_waitcnt vmcnt(6)
	v_lshrrev_b32_e32 v49, 16, v27
	v_and_b32_e32 v27, 0xffff, v27
	v_mul_f32_e32 v21, v36, v21
	v_mul_f32_e32 v36, v39, v37
	s_waitcnt lgkmcnt(0)
	v_lshrrev_b32_e32 v51, 16, v48
	v_and_b32_e32 v48, 0xffff, v48
	;;#ASMSTART
	v_cvt_f32_f16 v48, v48;
	;;#ASMEND
	;;#ASMSTART
	v_cvt_f32_f16 v51, v51;
	;;#ASMEND
	;; [unrolled: 3-line block ×4, first 2 shown]
	ds_read_b32 v52, v12 offset:20
	v_fmac_f32_e32 v21, v33, v20
	s_waitcnt vmcnt(5)
	v_lshrrev_b32_e32 v50, 16, v28
	v_and_b32_e32 v28, 0xffff, v28
	v_fmac_f32_e32 v21, v40, v22
	s_waitcnt lgkmcnt(0)
	v_lshrrev_b32_e32 v55, 16, v52
	v_and_b32_e32 v52, 0xffff, v52
	;;#ASMSTART
	v_cvt_f32_f16 v52, v52;
	;;#ASMEND
	;;#ASMSTART
	v_cvt_f32_f16 v55, v55;
	;;#ASMEND
	;; [unrolled: 3-line block ×4, first 2 shown]
	ds_read_b32 v56, v12 offset:24
	v_fmac_f32_e32 v36, v34, v35
	v_fmac_f32_e32 v21, v44, v23
	s_waitcnt vmcnt(4)
	v_lshrrev_b32_e32 v53, 16, v29
	v_and_b32_e32 v29, 0xffff, v29
	s_waitcnt lgkmcnt(0)
	v_lshrrev_b32_e32 v59, 16, v56
	v_and_b32_e32 v56, 0xffff, v56
	;;#ASMSTART
	v_cvt_f32_f16 v56, v56;
	;;#ASMEND
	;;#ASMSTART
	v_cvt_f32_f16 v59, v59;
	;;#ASMEND
	;; [unrolled: 3-line block ×4, first 2 shown]
	ds_read_b32 v60, v12 offset:28
	v_fmac_f32_e32 v21, v48, v24
	v_fmac_f32_e32 v21, v52, v25
	s_waitcnt vmcnt(3)
	v_lshrrev_b32_e32 v54, 16, v30
	v_and_b32_e32 v30, 0xffff, v30
	s_waitcnt lgkmcnt(0)
	v_lshrrev_b32_e32 v37, 16, v60
	v_and_b32_e32 v39, 0xffff, v60
	;;#ASMSTART
	v_cvt_f32_f16 v39, v39;
	;;#ASMEND
	;;#ASMSTART
	v_cvt_f32_f16 v37, v37;
	;;#ASMEND
	;; [unrolled: 3-line block ×4, first 2 shown]
	ds_read_b32 v60, v12 offset:32
	v_fmac_f32_e32 v36, v43, v38
	v_fmac_f32_e32 v21, v56, v26
	;; [unrolled: 1-line block ×4, first 2 shown]
	s_waitcnt lgkmcnt(0)
	v_lshrrev_b32_e32 v20, 16, v60
	v_and_b32_e32 v22, 0xffff, v60
	;;#ASMSTART
	v_cvt_f32_f16 v22, v22;
	;;#ASMEND
	;;#ASMSTART
	v_cvt_f32_f16 v20, v20;
	;;#ASMEND
	;; [unrolled: 3-line block ×4, first 2 shown]
	ds_read_b32 v34, v12 offset:36
	v_fmac_f32_e32 v36, v55, v45
	v_fmac_f32_e32 v36, v59, v46
	;; [unrolled: 1-line block ×4, first 2 shown]
	s_waitcnt lgkmcnt(0)
	v_lshrrev_b32_e32 v23, 16, v34
	v_and_b32_e32 v24, 0xffff, v34
	;;#ASMSTART
	v_cvt_f32_f16 v24, v24;
	;;#ASMEND
	;;#ASMSTART
	v_cvt_f32_f16 v23, v23;
	;;#ASMEND
	;;#ASMSTART
	v_cvt_f32_f16 v29, v29;
	;;#ASMEND
	;;#ASMSTART
	v_cvt_f32_f16 v34, v53;
	;;#ASMEND
	ds_read_b32 v35, v12 offset:40
	s_waitcnt vmcnt(2)
	v_lshrrev_b32_e32 v57, 16, v31
	v_and_b32_e32 v31, 0xffff, v31
	v_fmac_f32_e32 v21, v22, v28
	v_fmac_f32_e32 v36, v20, v33
	s_waitcnt lgkmcnt(0)
	v_lshrrev_b32_e32 v25, 16, v35
	v_and_b32_e32 v26, 0xffff, v35
	;;#ASMSTART
	v_cvt_f32_f16 v26, v26;
	;;#ASMEND
	;;#ASMSTART
	v_cvt_f32_f16 v25, v25;
	;;#ASMEND
	;; [unrolled: 3-line block ×4, first 2 shown]
	ds_read_b32 v38, v12 offset:44
	v_fmac_f32_e32 v21, v24, v29
	v_fmac_f32_e32 v36, v23, v34
	s_waitcnt vmcnt(1)
	v_lshrrev_b32_e32 v58, 16, v32
	v_and_b32_e32 v32, 0xffff, v32
	s_waitcnt lgkmcnt(0)
	v_lshrrev_b32_e32 v20, 16, v38
	v_and_b32_e32 v22, 0xffff, v38
	;;#ASMSTART
	v_cvt_f32_f16 v22, v22;
	;;#ASMEND
	;;#ASMSTART
	v_cvt_f32_f16 v20, v20;
	;;#ASMEND
	;;#ASMSTART
	v_cvt_f32_f16 v27, v31;
	;;#ASMEND
	;;#ASMSTART
	v_cvt_f32_f16 v28, v57;
	;;#ASMEND
	ds_read_b32 v31, v12 offset:48
	v_fmac_f32_e32 v21, v26, v30
	v_fmac_f32_e32 v36, v25, v35
	;; [unrolled: 1-line block ×4, first 2 shown]
	s_waitcnt lgkmcnt(0)
	v_lshrrev_b32_e32 v23, 16, v31
	v_and_b32_e32 v24, 0xffff, v31
	;;#ASMSTART
	v_cvt_f32_f16 v24, v24;
	;;#ASMEND
	;;#ASMSTART
	v_cvt_f32_f16 v23, v23;
	;;#ASMEND
	;; [unrolled: 3-line block ×4, first 2 shown]
	ds_read_b32 v29, v12 offset:52
	s_waitcnt vmcnt(0)
	v_lshrrev_b32_e32 v61, 16, v18
	v_and_b32_e32 v18, 0xffff, v18
	v_fmac_f32_e32 v21, v24, v25
	v_fmac_f32_e32 v36, v23, v26
	s_waitcnt lgkmcnt(0)
	v_lshrrev_b32_e32 v20, 16, v29
	v_and_b32_e32 v22, 0xffff, v29
	;;#ASMSTART
	v_cvt_f32_f16 v22, v22;
	;;#ASMEND
	;;#ASMSTART
	v_cvt_f32_f16 v20, v20;
	;;#ASMEND
	;; [unrolled: 3-line block ×4, first 2 shown]
	s_nop 0
	v_fmac_f32_e32 v21, v22, v18
	v_fmac_f32_e32 v36, v20, v23
	v_add_f32_e32 v18, v21, v36
	ds_bpermute_b32 v19, v19, v18
	v_cndmask_b32_e64 v20, v8, v16, s[0:1]
	s_waitcnt lgkmcnt(0)
	v_add_f32_e32 v18, v18, v19
	v_lshlrev_b32_e32 v19, 2, v20
	ds_bpermute_b32 v19, v19, v18
	s_and_saveexec_b64 s[38:39], vcc
	s_cbranch_execz .LBB103_9
; %bb.11:                               ;   in Loop: Header=BB103_10 Depth=1
	v_add_u32_e32 v20, s15, v13
	v_cvt_f32_i32_e32 v20, v20
	s_waitcnt lgkmcnt(0)
	v_add_f32_e32 v18, v18, v19
	v_cmp_gt_i32_e64 s[0:1], s25, v13
	v_max_f32_e32 v19, v11, v11
	v_mul_f32_e32 v20, s41, v20
	v_cndmask_b32_e64 v20, 0, v20, s[6:7]
	v_fmac_f32_e32 v20, s11, v18
	v_cndmask_b32_e64 v18, 0, v20, s[0:1]
	ds_write_b32 v14, v18
	v_max_f32_e32 v18, v19, v20
	v_cndmask_b32_e64 v11, v11, v18, s[0:1]
	s_branch .LBB103_9
.LBB103_12:
	s_or_b64 exec, exec, s[36:37]
.LBB103_13:
	s_or_b64 exec, exec, s[34:35]
	v_xor_b32_e32 v2, 32, v8
	v_cmp_lt_i32_e32 vcc, v2, v9
	v_xor_b32_e32 v5, 16, v8
	v_max_f32_e32 v4, v11, v11
	v_cndmask_b32_e32 v2, v8, v2, vcc
	v_lshlrev_b32_e32 v2, 2, v2
	ds_bpermute_b32 v3, v2, v11
	v_cmp_lt_i32_e32 vcc, v5, v9
	v_xor_b32_e32 v11, 8, v8
	s_waitcnt lgkmcnt(0)
	v_max_f32_e32 v3, v3, v3
	v_max_f32_e32 v4, v4, v3
	v_cndmask_b32_e32 v3, v8, v5, vcc
	v_lshlrev_b32_e32 v3, 2, v3
	ds_bpermute_b32 v5, v3, v4
	v_cmp_lt_i32_e32 vcc, v11, v9
	s_waitcnt lgkmcnt(0)
	v_max_f32_e32 v5, v5, v5
	v_max_f32_e32 v4, v4, v5
	v_cndmask_b32_e32 v5, v8, v11, vcc
	v_lshlrev_b32_e32 v13, 2, v5
	ds_bpermute_b32 v5, v13, v4
	v_xor_b32_e32 v11, 4, v8
	v_cmp_lt_i32_e32 vcc, v11, v9
	s_waitcnt lgkmcnt(0)
	v_max_f32_e32 v5, v5, v5
	v_max_f32_e32 v5, v4, v5
	v_cndmask_b32_e32 v4, v8, v11, vcc
	v_lshlrev_b32_e32 v14, 2, v4
	ds_bpermute_b32 v12, v14, v5
	v_and_b32_e32 v4, 63, v0
	v_cmp_eq_u32_e32 vcc, 0, v4
	v_lshlrev_b32_e32 v11, 2, v1
	s_and_saveexec_b64 s[0:1], vcc
	s_cbranch_execz .LBB103_15
; %bb.14:
	s_waitcnt lgkmcnt(0)
	v_max_f32_e32 v12, v12, v12
	v_max_f32_e32 v5, v5, v5
	;; [unrolled: 1-line block ×3, first 2 shown]
	ds_write_b32 v11, v5 offset:224
.LBB103_15:
	s_or_b64 exec, exec, s[0:1]
	v_cmp_gt_u32_e64 s[0:1], 2, v4
	v_mov_b32_e32 v5, 0xff7fffff
	s_waitcnt lgkmcnt(0)
	v_lshlrev_b32_e32 v12, 2, v4
	s_barrier
	s_and_saveexec_b64 s[6:7], s[0:1]
	s_cbranch_execz .LBB103_17
; %bb.16:
	ds_read_b32 v5, v12 offset:224
.LBB103_17:
	s_or_b64 exec, exec, s[6:7]
	v_xor_b32_e32 v15, 1, v8
	v_cmp_lt_i32_e64 s[6:7], v15, v9
	v_mov_b32_e32 v16, 0
	s_nop 0
	v_cndmask_b32_e64 v15, v8, v15, s[6:7]
	v_lshlrev_b32_e32 v22, 2, v15
	s_waitcnt lgkmcnt(0)
	ds_bpermute_b32 v15, v22, v5
	v_max_f32_e32 v5, v5, v5
	s_sub_i32 s6, s33, s10
	s_lshl_b32 s6, s6, 4
	s_add_i32 s6, s6, s40
	s_waitcnt lgkmcnt(0)
	v_max_f32_e32 v15, v15, v15
	v_max_f32_e32 v5, v5, v15
	v_lshlrev_b32_e32 v15, 2, v8
	v_and_b32_e32 v15, 0xffffff00, v15
	ds_bpermute_b32 v5, v15, v5
	s_min_i32 s15, s6, s25
	s_sub_i32 s12, s15, s40
	v_cmp_gt_i32_e64 s[6:7], s12, v0
	s_and_saveexec_b64 s[34:35], s[6:7]
	s_cbranch_execz .LBB103_21
; %bb.18:
	v_mov_b32_e32 v16, 0xf0
	v_lshl_add_u32 v17, v0, 2, v16
	s_mov_b64 s[36:37], 0
	v_mov_b32_e32 v16, 0
	v_mov_b32_e32 v18, v0
.LBB103_19:                             ; =>This Inner Loop Header: Depth=1
	ds_read_b32 v19, v17
	v_add_u32_e32 v18, 0x80, v18
	v_cmp_le_i32_e64 s[10:11], s12, v18
	s_or_b64 s[36:37], s[10:11], s[36:37]
	s_waitcnt lgkmcnt(0)
	v_sub_f32_e32 v19, v19, v5
	v_mul_f32_e32 v19, 0x3fb8aa3b, v19
	v_exp_f32_e32 v19, v19
	ds_write_b32 v17, v19
	v_add_f32_e32 v16, v16, v19
	v_add_u32_e32 v17, 0x200, v17
	s_andn2_b64 exec, exec, s[36:37]
	s_cbranch_execnz .LBB103_19
; %bb.20:
	s_or_b64 exec, exec, s[36:37]
.LBB103_21:
	s_or_b64 exec, exec, s[34:35]
	ds_bpermute_b32 v2, v2, v16
	s_waitcnt lgkmcnt(0)
	v_add_f32_e32 v2, v16, v2
	ds_bpermute_b32 v3, v3, v2
	s_waitcnt lgkmcnt(0)
	v_add_f32_e32 v2, v2, v3
	ds_bpermute_b32 v3, v13, v2
	v_xor_b32_e32 v13, 2, v8
	v_cmp_lt_i32_e64 s[10:11], v13, v9
	s_waitcnt lgkmcnt(0)
	v_add_f32_e32 v2, v2, v3
	ds_bpermute_b32 v3, v14, v2
	v_cndmask_b32_e64 v8, v8, v13, s[10:11]
	s_waitcnt lgkmcnt(0)
	v_add_f32_e32 v2, v2, v3
	v_lshlrev_b32_e32 v3, 2, v8
	ds_bpermute_b32 v3, v3, v2
	s_waitcnt lgkmcnt(0)
	v_add_f32_e32 v2, v2, v3
	ds_bpermute_b32 v3, v22, v2
	s_waitcnt lgkmcnt(0)
	v_add_f32_e32 v2, v2, v3
	s_and_saveexec_b64 s[10:11], vcc
	s_cbranch_execz .LBB103_23
; %bb.22:
	ds_write_b32 v11, v2 offset:232
.LBB103_23:
	s_or_b64 exec, exec, s[10:11]
	s_waitcnt lgkmcnt(0)
	s_barrier
	s_and_saveexec_b64 s[10:11], s[0:1]
	s_cbranch_execz .LBB103_25
; %bb.24:
	ds_read_b32 v2, v12 offset:232
.LBB103_25:
	s_or_b64 exec, exec, s[10:11]
	s_waitcnt lgkmcnt(0)
	ds_bpermute_b32 v3, v22, v2
	s_waitcnt lgkmcnt(0)
	v_add_f32_e32 v2, v2, v3
	ds_bpermute_b32 v8, v15, v2
	s_and_saveexec_b64 s[0:1], s[6:7]
	s_cbranch_execz .LBB103_38
; %bb.26:
	s_waitcnt lgkmcnt(0)
	v_add_f32_e32 v2, 0x358637bd, v8
	v_div_scale_f32 v3, s[6:7], v2, v2, 1.0
	v_rcp_f32_e32 v9, v3
	v_div_scale_f32 v11, vcc, 1.0, v2, 1.0
	s_movk_i32 s6, 0x7f
	v_fma_f32 v12, -v3, v9, 1.0
	v_fmac_f32_e32 v9, v12, v9
	v_mul_f32_e32 v12, v11, v9
	v_fma_f32 v13, -v3, v12, v11
	v_fmac_f32_e32 v12, v13, v9
	v_fma_f32 v3, -v3, v12, v11
	v_div_fmas_f32 v3, v3, v9, v12
	v_div_fixup_f32 v2, v3, v2, 1.0
	v_xad_u32 v3, v0, -1, s15
	v_subrev_u32_e32 v9, s40, v3
	v_cmp_lt_u32_e32 vcc, s6, v9
	s_mov_b64 s[10:11], -1
	v_mov_b32_e32 v3, v0
	s_and_saveexec_b64 s[6:7], vcc
	s_cbranch_execz .LBB103_35
; %bb.27:
	v_lshrrev_b32_e32 v9, 7, v9
	v_add_u32_e32 v12, -1, v9
	v_lshrrev_b32_e32 v11, 1, v12
	v_mov_b32_e32 v3, v2
	v_add_u32_e32 v11, 1, v11
	v_cmp_lt_u32_e32 vcc, 13, v12
	v_mov_b32_e32 v14, 0
	s_and_saveexec_b64 s[10:11], vcc
	s_cbranch_execz .LBB103_31
; %bb.28:
	v_mov_b32_e32 v13, 0xf0
	v_and_b32_e32 v12, -8, v11
	v_lshl_add_u32 v13, v0, 2, v13
	s_mov_b32 s15, 0
	s_mov_b64 s[34:35], 0
.LBB103_29:                             ; =>This Inner Loop Header: Depth=1
	ds_read2st64_b32 v[14:15], v13 offset1:2
	ds_read2st64_b32 v[16:17], v13 offset0:4 offset1:6
	ds_read2st64_b32 v[18:19], v13 offset0:8 offset1:10
	;; [unrolled: 1-line block ×3, first 2 shown]
	v_add_u32_e32 v12, -8, v12
	s_waitcnt lgkmcnt(3)
	v_pk_mul_f32 v[14:15], v[2:3], v[14:15]
	s_waitcnt lgkmcnt(2)
	v_pk_mul_f32 v[16:17], v[2:3], v[16:17]
	ds_write2st64_b32 v13, v14, v15 offset1:2
	ds_write2st64_b32 v13, v16, v17 offset0:4 offset1:6
	ds_read2st64_b32 v[16:17], v13 offset0:16 offset1:18
	s_waitcnt lgkmcnt(4)
	v_pk_mul_f32 v[14:15], v[2:3], v[18:19]
	ds_write2st64_b32 v13, v14, v15 offset0:8 offset1:10
	s_waitcnt lgkmcnt(4)
	v_pk_mul_f32 v[14:15], v[2:3], v[20:21]
	ds_write2st64_b32 v13, v14, v15 offset0:12 offset1:14
	ds_read2st64_b32 v[14:15], v13 offset0:20 offset1:22
	s_waitcnt lgkmcnt(3)
	v_pk_mul_f32 v[16:17], v[2:3], v[16:17]
	ds_read2st64_b32 v[18:19], v13 offset0:24 offset1:26
	ds_write2st64_b32 v13, v16, v17 offset0:16 offset1:18
	ds_read2st64_b32 v[16:17], v13 offset0:28 offset1:30
	s_waitcnt lgkmcnt(3)
	v_pk_mul_f32 v[14:15], v[2:3], v[14:15]
	ds_write2st64_b32 v13, v14, v15 offset0:20 offset1:22
	s_waitcnt lgkmcnt(3)
	v_pk_mul_f32 v[14:15], v[2:3], v[18:19]
	ds_write2st64_b32 v13, v14, v15 offset0:24 offset1:26
	s_waitcnt lgkmcnt(2)
	v_pk_mul_f32 v[14:15], v[2:3], v[16:17]
	s_add_i32 s15, s15, 16
	v_cmp_eq_u32_e32 vcc, 0, v12
	ds_write2st64_b32 v13, v14, v15 offset0:28 offset1:30
	v_add_u32_e32 v13, 0x2000, v13
	s_or_b64 s[34:35], vcc, s[34:35]
	v_mov_b32_e32 v14, s15
	s_andn2_b64 exec, exec, s[34:35]
	s_cbranch_execnz .LBB103_29
; %bb.30:
	s_or_b64 exec, exec, s[34:35]
.LBB103_31:
	s_or_b64 exec, exec, s[10:11]
	v_and_b32_e32 v11, 7, v11
	v_cmp_ne_u32_e32 vcc, 0, v11
	s_and_saveexec_b64 s[10:11], vcc
	s_cbranch_execz .LBB103_34
; %bb.32:
	v_lshlrev_b32_e32 v12, 9, v14
	v_lshlrev_b32_e32 v13, 2, v0
	s_movk_i32 s15, 0xf0
	v_add3_u32 v12, v12, v13, s15
	s_mov_b64 s[34:35], 0
.LBB103_33:                             ; =>This Inner Loop Header: Depth=1
	ds_read2st64_b32 v[14:15], v12 offset1:2
	v_add_u32_e32 v11, -1, v11
	v_cmp_eq_u32_e32 vcc, 0, v11
	s_or_b64 s[34:35], vcc, s[34:35]
	s_waitcnt lgkmcnt(0)
	v_pk_mul_f32 v[14:15], v[2:3], v[14:15]
	ds_write2st64_b32 v12, v14, v15 offset1:2
	v_add_u32_e32 v12, 0x400, v12
	s_andn2_b64 exec, exec, s[34:35]
	s_cbranch_execnz .LBB103_33
.LBB103_34:
	s_or_b64 exec, exec, s[10:11]
	v_add_u32_e32 v9, 1, v9
	v_and_b32_e32 v11, 0x3fffffe, v9
	v_cmp_ne_u32_e32 vcc, v9, v11
	v_lshl_add_u32 v3, v11, 7, v0
	s_orn2_b64 s[10:11], vcc, exec
.LBB103_35:
	s_or_b64 exec, exec, s[6:7]
	s_and_b64 exec, exec, s[10:11]
	s_cbranch_execz .LBB103_38
; %bb.36:
	v_mov_b32_e32 v9, 0xf0
	v_lshl_add_u32 v9, v3, 2, v9
	s_mov_b64 s[6:7], 0
.LBB103_37:                             ; =>This Inner Loop Header: Depth=1
	ds_read_b32 v11, v9
	v_add_u32_e32 v3, 0x80, v3
	v_cmp_le_i32_e32 vcc, s12, v3
	s_or_b64 s[6:7], vcc, s[6:7]
	s_waitcnt lgkmcnt(0)
	v_mul_f32_e32 v11, v2, v11
	ds_write_b32 v9, v11
	v_add_u32_e32 v9, 0x200, v9
	s_andn2_b64 exec, exec, s[6:7]
	s_cbranch_execnz .LBB103_37
.LBB103_38:
	s_or_b64 exec, exec, s[0:1]
	s_mul_i32 s0, s21, s24
	v_cmp_eq_u32_e32 vcc, 0, v0
	s_mul_i32 s6, s0, s5
	s_waitcnt lgkmcnt(0)
	s_barrier
	s_and_saveexec_b64 s[0:1], vcc
	s_cbranch_execz .LBB103_40
; %bb.39:
	s_ashr_i32 s7, s6, 31
	s_lshl_b64 s[10:11], s[6:7], 2
	s_add_u32 s5, s18, s10
	s_mul_i32 s18, s21, s2
	s_addc_u32 s7, s19, s11
	s_ashr_i32 s19, s18, 31
	s_lshl_b64 s[18:19], s[18:19], 2
	s_add_u32 s2, s5, s18
	s_addc_u32 s7, s7, s19
	s_ashr_i32 s5, s4, 31
	s_lshl_b64 s[34:35], s[4:5], 2
	s_add_u32 s36, s2, s34
	s_addc_u32 s37, s7, s35
	s_add_u32 s2, s16, s10
	s_addc_u32 s5, s17, s11
	;; [unrolled: 2-line block ×3, first 2 shown]
	s_add_u32 s10, s2, s34
	v_mov_b32_e32 v2, 0
	s_addc_u32 s11, s5, s35
	global_store_dword v2, v5, s[36:37]
	global_store_dword v2, v8, s[10:11]
.LBB103_40:
	s_or_b64 exec, exec, s[0:1]
	v_mov_b32_e32 v9, 0
	v_lshrrev_b32_e32 v24, 1, v4
	v_and_b32_e32 v23, 1, v0
	v_mov_b32_e32 v8, v9
	v_mov_b32_e32 v13, v9
	;; [unrolled: 1-line block ×3, first 2 shown]
	s_and_saveexec_b64 s[10:11], s[8:9]
	s_cbranch_execz .LBB103_54
; %bb.41:
	s_ashr_i32 s15, s14, 31
	s_lshl_b64 s[0:1], s[14:15], 1
	v_lshlrev_b32_e32 v2, 3, v0
	s_add_u32 s8, s30, s0
	v_or_b32_e32 v4, 0x60, v24
	s_movk_i32 s0, 0x70
	v_and_b32_e32 v3, 8, v2
	s_addc_u32 s9, s31, s1
	s_add_i32 s7, s3, -1
	v_cmp_gt_u32_e32 vcc, s0, v4
	s_lshl_b64 s[0:1], s[28:29], 2
	v_lshl_or_b32 v2, v24, 4, v3
	v_lshl_or_b32 v4, v4, 4, v3
	v_add3_u32 v25, s40, v10, v3
	v_lshlrev_b32_e32 v3, 5, v23
	s_add_u32 s0, s26, s0
	v_mov_b32_e32 v11, 0
	v_lshl_or_b32 v1, v1, 6, v3
	s_addc_u32 s1, s27, s1
	s_mov_b32 s5, s13
	s_mov_b32 s16, s25
	;; [unrolled: 1-line block ×8, first 2 shown]
	v_add_u32_e32 v1, 0xf0, v1
	v_lshl_add_u64 v[14:15], v[6:7], 2, s[0:1]
	s_mov_b64 s[12:13], 0
	v_lshlrev_b32_e32 v16, 1, v2
	v_mov_b32_e32 v17, v11
	s_mov_b32 s26, 0x5040100
	v_lshlrev_b32_e32 v10, 1, v4
	v_mov_b32_e32 v12, v11
	v_mov_b32_e32 v13, v11
	;; [unrolled: 1-line block ×4, first 2 shown]
	s_branch .LBB103_44
.LBB103_42:                             ;   in Loop: Header=BB103_44 Depth=1
	s_or_b64 exec, exec, s[14:15]
	s_waitcnt vmcnt(0)
	;;#ASMSTART
	v_pk_mul_f16 v2, v28, v2;

	;;#ASMEND
	;;#ASMSTART
	v_pk_mul_f16 v3, v27, v3;

	;;#ASMEND
	;; [unrolled: 4-line block ×4, first 2 shown]
	s_nop 0
	;;#ASMSTART
	v_pk_add_f16 v2, v2, v3;

	;;#ASMEND
	s_nop 0
	;;#ASMSTART
	v_pk_add_f16 v2, v2, v4;

	;;#ASMEND
	;; [unrolled: 5-line block ×3, first 2 shown]
	s_nop 0
	v_lshrrev_b32_e32 v3, 16, v2
	v_and_b32_e32 v2, 0xffff, v2
	;;#ASMSTART
	v_cvt_f32_f16 v2, v2;
	;;#ASMEND
	;;#ASMSTART
	v_cvt_f32_f16 v3, v3;
	;;#ASMEND
	s_nop 0
	v_add_f32_e32 v2, v2, v3
	v_add_f32_e32 v9, v9, v2
.LBB103_43:                             ;   in Loop: Header=BB103_44 Depth=1
	s_or_b64 exec, exec, s[2:3]
	v_add_u32_e32 v6, 2, v6
	v_cmp_le_i32_e64 s[0:1], s33, v6
	v_add_u32_e32 v25, 32, v25
	v_add_u32_e32 v1, 0x80, v1
	s_or_b64 s[12:13], s[0:1], s[12:13]
	v_lshl_add_u64 v[14:15], v[14:15], 0, 8
	s_andn2_b64 exec, exec, s[12:13]
	s_cbranch_execz .LBB103_53
.LBB103_44:                             ; =>This Inner Loop Header: Depth=1
	global_load_dword v28, v[14:15], off
	ds_read2_b64 v[2:5], v1 offset1:1
	ds_read2_b64 v[18:21], v1 offset0:2 offset1:3
	s_waitcnt lgkmcnt(1)
	;;#ASMSTART
	v_cvt_f16_f32 v7, v2;

	;;#ASMEND
	;;#ASMSTART
	v_cvt_f16_f32 v26, v3;

	;;#ASMEND
	;; [unrolled: 4-line block ×4, first 2 shown]
	s_waitcnt lgkmcnt(0)
	;;#ASMSTART
	v_cvt_f16_f32 v30, v18;

	;;#ASMEND
	;;#ASMSTART
	v_cvt_f16_f32 v31, v19;

	;;#ASMEND
	;; [unrolled: 4-line block ×4, first 2 shown]
	s_waitcnt vmcnt(0)
	v_mad_i64_i32 v[2:3], s[0:1], v28, s5, 0
	v_lshl_add_u64 v[18:19], v[2:3], 1, s[8:9]
	v_lshl_add_u64 v[20:21], v[18:19], 0, v[16:17]
	global_load_dwordx4 v[2:5], v[20:21], off
	v_cmp_eq_u32_e64 s[0:1], s7, v6
	s_and_saveexec_b64 s[14:15], s[0:1]
	s_cbranch_execz .LBB103_46
; %bb.45:                               ;   in Loop: Header=BB103_44 Depth=1
	v_or_b32_e32 v38, 7, v25
	v_or_b32_e32 v39, 6, v25
	s_waitcnt vmcnt(0)
	v_lshrrev_b32_e32 v40, 16, v5
	v_cmp_gt_i32_e64 s[2:3], s31, v38
	v_or_b32_e32 v36, 5, v25
	v_or_b32_e32 v37, 4, v25
	v_cndmask_b32_e64 v38, 0, v40, s[2:3]
	v_cmp_gt_i32_e64 s[2:3], s30, v39
	v_or_b32_e32 v34, 3, v25
	v_or_b32_e32 v35, 2, v25
	v_cndmask_b32_e64 v5, 0, v5, s[2:3]
	v_perm_b32 v5, v38, v5, s26
	v_lshrrev_b32_e32 v38, 16, v4
	v_cmp_gt_i32_e64 s[2:3], s24, v36
	v_add_u32_e32 v28, 1, v25
	s_nop 0
	v_cndmask_b32_e64 v36, 0, v38, s[2:3]
	v_cmp_gt_i32_e64 s[2:3], s19, v37
	s_nop 1
	v_cndmask_b32_e64 v4, 0, v4, s[2:3]
	v_perm_b32 v4, v36, v4, s26
	v_lshrrev_b32_e32 v36, 16, v3
	v_cmp_gt_i32_e64 s[2:3], s18, v34
	s_nop 1
	v_cndmask_b32_e64 v34, 0, v36, s[2:3]
	v_cmp_gt_i32_e64 s[2:3], s17, v35
	s_nop 1
	v_cndmask_b32_e64 v3, 0, v3, s[2:3]
	v_perm_b32 v3, v34, v3, s26
	v_lshrrev_b32_e32 v34, 16, v2
	v_cmp_gt_i32_e64 s[2:3], s16, v28
	s_nop 1
	v_cndmask_b32_e64 v28, 0, v34, s[2:3]
	v_cmp_gt_i32_e64 s[2:3], s25, v25
	s_nop 1
	v_cndmask_b32_e64 v2, 0, v2, s[2:3]
	v_perm_b32 v2, v28, v2, s26
.LBB103_46:                             ;   in Loop: Header=BB103_44 Depth=1
	s_or_b64 exec, exec, s[14:15]
	v_and_b32_e32 v7, 0xffff, v7
	v_lshl_or_b32 v28, v26, 16, v7
	v_and_b32_e32 v7, 0xffff, v27
	v_lshl_or_b32 v27, v29, 16, v7
	;; [unrolled: 2-line block ×3, first 2 shown]
	v_and_b32_e32 v7, 0xffff, v32
	s_waitcnt vmcnt(0)
	;;#ASMSTART
	v_pk_mul_f16 v2, v28, v2;

	;;#ASMEND
	v_lshl_or_b32 v7, v33, 16, v7
	;;#ASMSTART
	v_pk_mul_f16 v3, v27, v3;

	;;#ASMEND
	;;#ASMSTART
	v_pk_mul_f16 v4, v26, v4;

	;;#ASMEND
	;;#ASMSTART
	v_pk_mul_f16 v5, v7, v5;

	;;#ASMEND
	s_nop 0
	;;#ASMSTART
	v_pk_add_f16 v2, v2, v3;

	;;#ASMEND
	s_nop 0
	;;#ASMSTART
	v_pk_add_f16 v2, v2, v4;

	;;#ASMEND
	;; [unrolled: 5-line block ×3, first 2 shown]
	s_nop 0
	v_lshrrev_b32_e32 v3, 16, v2
	v_and_b32_e32 v2, 0xffff, v2
	;;#ASMSTART
	v_cvt_f32_f16 v29, v2;
	;;#ASMEND
	;;#ASMSTART
	v_cvt_f32_f16 v30, v3;
	;;#ASMEND
	global_load_dwordx4 v[2:5], v[20:21], off offset:1024
	s_and_saveexec_b64 s[14:15], s[0:1]
	s_cbranch_execz .LBB103_48
; %bb.47:                               ;   in Loop: Header=BB103_44 Depth=1
	v_or_b32_e32 v36, 7, v25
	v_or_b32_e32 v37, 6, v25
	s_waitcnt vmcnt(0)
	v_lshrrev_b32_e32 v38, 16, v5
	v_cmp_gt_i32_e64 s[2:3], s31, v36
	v_or_b32_e32 v34, 5, v25
	v_or_b32_e32 v35, 4, v25
	v_cndmask_b32_e64 v36, 0, v38, s[2:3]
	v_cmp_gt_i32_e64 s[2:3], s30, v37
	v_or_b32_e32 v32, 3, v25
	v_or_b32_e32 v33, 2, v25
	v_cndmask_b32_e64 v5, 0, v5, s[2:3]
	v_perm_b32 v5, v36, v5, s26
	v_lshrrev_b32_e32 v36, 16, v4
	v_cmp_gt_i32_e64 s[2:3], s24, v34
	v_add_u32_e32 v31, 1, v25
	s_nop 0
	v_cndmask_b32_e64 v34, 0, v36, s[2:3]
	v_cmp_gt_i32_e64 s[2:3], s19, v35
	s_nop 1
	v_cndmask_b32_e64 v4, 0, v4, s[2:3]
	v_perm_b32 v4, v34, v4, s26
	v_lshrrev_b32_e32 v34, 16, v3
	v_cmp_gt_i32_e64 s[2:3], s18, v32
	s_nop 1
	v_cndmask_b32_e64 v32, 0, v34, s[2:3]
	v_cmp_gt_i32_e64 s[2:3], s17, v33
	s_nop 1
	v_cndmask_b32_e64 v3, 0, v3, s[2:3]
	v_perm_b32 v3, v32, v3, s26
	v_lshrrev_b32_e32 v32, 16, v2
	v_cmp_gt_i32_e64 s[2:3], s16, v31
	s_nop 1
	v_cndmask_b32_e64 v31, 0, v32, s[2:3]
	v_cmp_gt_i32_e64 s[2:3], s25, v25
	s_nop 1
	v_cndmask_b32_e64 v2, 0, v2, s[2:3]
	v_perm_b32 v2, v31, v2, s26
.LBB103_48:                             ;   in Loop: Header=BB103_44 Depth=1
	s_or_b64 exec, exec, s[14:15]
	s_waitcnt vmcnt(0)
	;;#ASMSTART
	v_pk_mul_f16 v2, v28, v2;

	;;#ASMEND
	;;#ASMSTART
	v_pk_mul_f16 v3, v27, v3;

	;;#ASMEND
	;; [unrolled: 4-line block ×4, first 2 shown]
	s_nop 0
	;;#ASMSTART
	v_pk_add_f16 v2, v2, v3;

	;;#ASMEND
	s_nop 0
	;;#ASMSTART
	v_pk_add_f16 v2, v2, v4;

	;;#ASMEND
	;; [unrolled: 5-line block ×3, first 2 shown]
	s_nop 0
	v_lshrrev_b32_e32 v3, 16, v2
	v_and_b32_e32 v2, 0xffff, v2
	;;#ASMSTART
	v_cvt_f32_f16 v31, v2;
	;;#ASMEND
	;;#ASMSTART
	v_cvt_f32_f16 v32, v3;
	;;#ASMEND
	global_load_dwordx4 v[2:5], v[20:21], off offset:2048
	s_and_saveexec_b64 s[14:15], s[0:1]
	s_cbranch_execz .LBB103_50
; %bb.49:                               ;   in Loop: Header=BB103_44 Depth=1
	v_or_b32_e32 v36, 7, v25
	v_or_b32_e32 v37, 6, v25
	s_waitcnt vmcnt(0)
	v_lshrrev_b32_e32 v38, 16, v5
	v_cmp_gt_i32_e64 s[2:3], s31, v36
	v_or_b32_e32 v34, 5, v25
	v_or_b32_e32 v35, 4, v25
	v_cndmask_b32_e64 v36, 0, v38, s[2:3]
	v_cmp_gt_i32_e64 s[2:3], s30, v37
	v_or_b32_e32 v21, 3, v25
	v_or_b32_e32 v33, 2, v25
	v_cndmask_b32_e64 v5, 0, v5, s[2:3]
	v_perm_b32 v5, v36, v5, s26
	v_lshrrev_b32_e32 v36, 16, v4
	v_cmp_gt_i32_e64 s[2:3], s24, v34
	v_add_u32_e32 v20, 1, v25
	s_nop 0
	v_cndmask_b32_e64 v34, 0, v36, s[2:3]
	v_cmp_gt_i32_e64 s[2:3], s19, v35
	s_nop 1
	v_cndmask_b32_e64 v4, 0, v4, s[2:3]
	v_perm_b32 v4, v34, v4, s26
	v_lshrrev_b32_e32 v34, 16, v3
	v_cmp_gt_i32_e64 s[2:3], s18, v21
	s_nop 1
	v_cndmask_b32_e64 v21, 0, v34, s[2:3]
	v_cmp_gt_i32_e64 s[2:3], s17, v33
	s_nop 1
	v_cndmask_b32_e64 v3, 0, v3, s[2:3]
	v_perm_b32 v3, v21, v3, s26
	v_lshrrev_b32_e32 v21, 16, v2
	v_cmp_gt_i32_e64 s[2:3], s16, v20
	s_nop 1
	v_cndmask_b32_e64 v20, 0, v21, s[2:3]
	v_cmp_gt_i32_e64 s[2:3], s25, v25
	s_nop 1
	v_cndmask_b32_e64 v2, 0, v2, s[2:3]
	v_perm_b32 v2, v20, v2, s26
.LBB103_50:                             ;   in Loop: Header=BB103_44 Depth=1
	s_or_b64 exec, exec, s[14:15]
	s_waitcnt vmcnt(0)
	;;#ASMSTART
	v_pk_mul_f16 v2, v28, v2;

	;;#ASMEND
	;;#ASMSTART
	v_pk_mul_f16 v3, v27, v3;

	;;#ASMEND
	;; [unrolled: 4-line block ×4, first 2 shown]
	v_add_f32_e32 v20, v29, v30
	;;#ASMSTART
	v_pk_add_f16 v2, v2, v3;

	;;#ASMEND
	v_add_f32_e32 v12, v12, v20
	;;#ASMSTART
	v_pk_add_f16 v2, v2, v4;

	;;#ASMEND
	;; [unrolled: 5-line block ×3, first 2 shown]
	v_add_f32_e32 v13, v13, v20
	v_lshrrev_b32_e32 v3, 16, v2
	v_and_b32_e32 v2, 0xffff, v2
	;;#ASMSTART
	v_cvt_f32_f16 v2, v2;
	;;#ASMEND
	;;#ASMSTART
	v_cvt_f32_f16 v3, v3;
	;;#ASMEND
	s_nop 0
	v_add_f32_e32 v2, v2, v3
	v_add_f32_e32 v8, v8, v2
	s_and_saveexec_b64 s[2:3], vcc
	s_cbranch_execz .LBB103_43
; %bb.51:                               ;   in Loop: Header=BB103_44 Depth=1
	v_lshl_add_u64 v[2:3], v[18:19], 0, v[10:11]
	global_load_dwordx4 v[2:5], v[2:3], off
	s_and_saveexec_b64 s[14:15], s[0:1]
	s_cbranch_execz .LBB103_42
; %bb.52:                               ;   in Loop: Header=BB103_44 Depth=1
	v_or_b32_e32 v30, 7, v25
	v_or_b32_e32 v31, 6, v25
	s_waitcnt vmcnt(0)
	v_lshrrev_b32_e32 v32, 16, v5
	v_cmp_gt_i32_e64 s[0:1], s31, v30
	v_or_b32_e32 v21, 5, v25
	v_or_b32_e32 v29, 4, v25
	v_cndmask_b32_e64 v30, 0, v32, s[0:1]
	v_cmp_gt_i32_e64 s[0:1], s30, v31
	v_or_b32_e32 v19, 3, v25
	v_or_b32_e32 v20, 2, v25
	v_cndmask_b32_e64 v5, 0, v5, s[0:1]
	v_perm_b32 v5, v30, v5, s26
	v_lshrrev_b32_e32 v30, 16, v4
	v_cmp_gt_i32_e64 s[0:1], s24, v21
	v_add_u32_e32 v18, 1, v25
	s_nop 0
	v_cndmask_b32_e64 v21, 0, v30, s[0:1]
	v_cmp_gt_i32_e64 s[0:1], s19, v29
	s_nop 1
	v_cndmask_b32_e64 v4, 0, v4, s[0:1]
	v_perm_b32 v4, v21, v4, s26
	v_lshrrev_b32_e32 v21, 16, v3
	v_cmp_gt_i32_e64 s[0:1], s18, v19
	s_nop 1
	v_cndmask_b32_e64 v19, 0, v21, s[0:1]
	v_cmp_gt_i32_e64 s[0:1], s17, v20
	s_nop 1
	v_cndmask_b32_e64 v3, 0, v3, s[0:1]
	v_perm_b32 v3, v19, v3, s26
	v_lshrrev_b32_e32 v19, 16, v2
	v_cmp_gt_i32_e64 s[0:1], s16, v18
	s_nop 1
	v_cndmask_b32_e64 v18, 0, v19, s[0:1]
	v_cmp_gt_i32_e64 s[0:1], s25, v25
	s_nop 1
	v_cndmask_b32_e64 v2, 0, v2, s[0:1]
	v_perm_b32 v2, v18, v2, s26
	s_branch .LBB103_42
.LBB103_53:
	s_or_b64 exec, exec, s[12:13]
.LBB103_54:
	s_or_b64 exec, exec, s[10:11]
	ds_bpermute_b32 v2, v22, v12
	ds_bpermute_b32 v3, v22, v13
	;; [unrolled: 1-line block ×4, first 2 shown]
	v_and_b32_e32 v1, 0x3c0, v0
	v_cmp_eq_u32_e32 vcc, 64, v1
	s_waitcnt lgkmcnt(2)
	v_pk_add_f32 v[4:5], v[12:13], v[2:3]
	s_waitcnt lgkmcnt(0)
	v_pk_add_f32 v[2:3], v[8:9], v[6:7]
	s_barrier
	s_and_saveexec_b64 s[2:3], vcc
	s_cbranch_execz .LBB103_59
; %bb.55:
	v_cmp_eq_u32_e32 vcc, 0, v23
	s_and_saveexec_b64 s[0:1], vcc
	s_cbranch_execz .LBB103_57
; %bb.56:
	v_mov_b32_e32 v1, 0xf0
	v_lshl_add_u32 v1, v24, 2, v1
	ds_write2_b32 v1, v4, v5 offset1:32
	ds_write_b32 v1, v2 offset:256
.LBB103_57:
	s_or_b64 exec, exec, s[0:1]
	v_or_b32_e32 v1, 0x60, v24
	s_movk_i32 s0, 0x70
	v_cmp_gt_u32_e64 s[0:1], s0, v1
	s_and_b64 s[0:1], vcc, s[0:1]
	s_and_b64 exec, exec, s[0:1]
	s_cbranch_execz .LBB103_59
; %bb.58:
	v_mov_b32_e32 v1, 0xf0
	v_lshl_add_u32 v1, v24, 2, v1
	ds_write_b32 v1, v3 offset:384
.LBB103_59:
	s_or_b64 exec, exec, s[2:3]
	v_cmp_gt_u32_e32 vcc, 64, v0
	v_lshrrev_b32_e32 v0, 1, v0
	s_waitcnt lgkmcnt(0)
	s_barrier
	s_and_saveexec_b64 s[8:9], vcc
	s_cbranch_execz .LBB103_67
; %bb.60:
	v_cmp_eq_u32_e64 s[0:1], 0, v23
	s_and_saveexec_b64 s[2:3], s[0:1]
	s_cbranch_execnz .LBB103_73
; %bb.61:
	s_or_b64 exec, exec, s[2:3]
	s_and_saveexec_b64 s[2:3], s[0:1]
	s_cbranch_execnz .LBB103_74
.LBB103_62:
	s_or_b64 exec, exec, s[2:3]
	s_and_saveexec_b64 s[2:3], s[0:1]
	s_cbranch_execz .LBB103_64
.LBB103_63:
	v_mov_b32_e32 v1, 0xf0
	v_lshl_add_u32 v1, v0, 2, v1
	ds_read_b32 v1, v1 offset:256
	s_waitcnt lgkmcnt(0)
	v_add_f32_e32 v2, v2, v1
.LBB103_64:
	s_or_b64 exec, exec, s[2:3]
	v_or_b32_e32 v1, 0x60, v0
	s_movk_i32 s2, 0x70
	v_cmp_gt_u32_e64 s[2:3], s2, v1
	s_and_b64 s[2:3], s[0:1], s[2:3]
	s_and_saveexec_b64 s[0:1], s[2:3]
	s_cbranch_execz .LBB103_66
; %bb.65:
	v_mov_b32_e32 v1, 0xf0
	v_lshl_add_u32 v1, v0, 2, v1
	ds_read_b32 v1, v1 offset:384
	s_waitcnt lgkmcnt(0)
	v_add_f32_e32 v3, v3, v1
.LBB103_66:
	s_or_b64 exec, exec, s[0:1]
.LBB103_67:
	s_or_b64 exec, exec, s[8:9]
	s_barrier
	s_and_saveexec_b64 s[0:1], vcc
	s_cbranch_execz .LBB103_72
; %bb.68:
	s_mul_i32 s0, s6, 0x70
	s_ashr_i32 s1, s0, 31
	s_lshl_b64 s[0:1], s[0:1], 1
	s_add_u32 s2, s22, s0
	s_mul_i32 s0, s21, s20
	s_addc_u32 s3, s23, s1
	s_ashr_i32 s1, s0, 31
	s_lshl_b64 s[0:1], s[0:1], 1
	s_add_u32 s2, s2, s0
	s_mul_i32 s0, s4, 0x70
	s_addc_u32 s3, s3, s1
	s_ashr_i32 s1, s0, 31
	s_lshl_b64 s[0:1], s[0:1], 1
	s_add_u32 s2, s2, s0
	s_movk_i32 s5, 0x70
	s_addc_u32 s3, s3, s1
	v_cmp_eq_u32_e32 vcc, 0, v23
	v_lshlrev_b32_e32 v1, 1, v0
	s_and_saveexec_b64 s[0:1], vcc
	s_cbranch_execz .LBB103_70
; %bb.69:
	;;#ASMSTART
	v_cvt_f16_f32 v4, v4;

	;;#ASMEND
	global_store_short v1, v4, s[2:3]
	;;#ASMSTART
	v_cvt_f16_f32 v4, v5;

	;;#ASMEND
	global_store_short v1, v4, s[2:3] offset:64
	;;#ASMSTART
	v_cvt_f16_f32 v2, v2;

	;;#ASMEND
	global_store_short v1, v2, s[2:3] offset:128
.LBB103_70:
	s_or_b64 exec, exec, s[0:1]
	v_or_b32_e32 v0, 0x60, v0
	v_cmp_gt_u32_e64 s[0:1], s5, v0
	s_and_b64 s[0:1], vcc, s[0:1]
	s_and_b64 exec, exec, s[0:1]
	s_cbranch_execz .LBB103_72
; %bb.71:
	;;#ASMSTART
	v_cvt_f16_f32 v0, v3;

	;;#ASMEND
	global_store_short v1, v0, s[2:3] offset:192
.LBB103_72:
	s_endpgm
.LBB103_73:
	v_mov_b32_e32 v1, 0xf0
	v_lshl_add_u32 v1, v0, 2, v1
	ds_read_b32 v1, v1
	s_waitcnt lgkmcnt(0)
	v_add_f32_e32 v4, v4, v1
	s_or_b64 exec, exec, s[2:3]
	s_and_saveexec_b64 s[2:3], s[0:1]
	s_cbranch_execz .LBB103_62
.LBB103_74:
	v_mov_b32_e32 v1, 0xf0
	v_lshl_add_u32 v1, v0, 2, v1
	ds_read_b32 v1, v1 offset:128
	s_waitcnt lgkmcnt(0)
	v_add_f32_e32 v5, v5, v1
	s_or_b64 exec, exec, s[2:3]
	s_and_saveexec_b64 s[2:3], s[0:1]
	s_cbranch_execnz .LBB103_63
	s_branch .LBB103_64
	.section	.rodata,"a",@progbits
	.p2align	6, 0x0
	.amdhsa_kernel _ZN4vllm25paged_attention_v2_kernelIttLi112ELi16ELi128ELNS_18Fp8KVCacheDataTypeE0ELb0ELi512EEEvPfS2_PT_PKS3_PKT0_S9_ifPKiSB_iPKfiiiSD_SD_iiiii
		.amdhsa_group_segment_fixed_size 240
		.amdhsa_private_segment_fixed_size 0
		.amdhsa_kernarg_size 400
		.amdhsa_user_sgpr_count 2
		.amdhsa_user_sgpr_dispatch_ptr 0
		.amdhsa_user_sgpr_queue_ptr 0
		.amdhsa_user_sgpr_kernarg_segment_ptr 1
		.amdhsa_user_sgpr_dispatch_id 0
		.amdhsa_user_sgpr_kernarg_preload_length 0
		.amdhsa_user_sgpr_kernarg_preload_offset 0
		.amdhsa_user_sgpr_private_segment_size 0
		.amdhsa_uses_dynamic_stack 0
		.amdhsa_enable_private_segment 0
		.amdhsa_system_sgpr_workgroup_id_x 1
		.amdhsa_system_sgpr_workgroup_id_y 1
		.amdhsa_system_sgpr_workgroup_id_z 1
		.amdhsa_system_sgpr_workgroup_info 0
		.amdhsa_system_vgpr_workitem_id 0
		.amdhsa_next_free_vgpr 62
		.amdhsa_next_free_sgpr 42
		.amdhsa_accum_offset 64
		.amdhsa_reserve_vcc 1
		.amdhsa_float_round_mode_32 0
		.amdhsa_float_round_mode_16_64 0
		.amdhsa_float_denorm_mode_32 3
		.amdhsa_float_denorm_mode_16_64 3
		.amdhsa_dx10_clamp 1
		.amdhsa_ieee_mode 1
		.amdhsa_fp16_overflow 0
		.amdhsa_tg_split 0
		.amdhsa_exception_fp_ieee_invalid_op 0
		.amdhsa_exception_fp_denorm_src 0
		.amdhsa_exception_fp_ieee_div_zero 0
		.amdhsa_exception_fp_ieee_overflow 0
		.amdhsa_exception_fp_ieee_underflow 0
		.amdhsa_exception_fp_ieee_inexact 0
		.amdhsa_exception_int_div_zero 0
	.end_amdhsa_kernel
	.section	.text._ZN4vllm25paged_attention_v2_kernelIttLi112ELi16ELi128ELNS_18Fp8KVCacheDataTypeE0ELb0ELi512EEEvPfS2_PT_PKS3_PKT0_S9_ifPKiSB_iPKfiiiSD_SD_iiiii,"axG",@progbits,_ZN4vllm25paged_attention_v2_kernelIttLi112ELi16ELi128ELNS_18Fp8KVCacheDataTypeE0ELb0ELi512EEEvPfS2_PT_PKS3_PKT0_S9_ifPKiSB_iPKfiiiSD_SD_iiiii,comdat
.Lfunc_end103:
	.size	_ZN4vllm25paged_attention_v2_kernelIttLi112ELi16ELi128ELNS_18Fp8KVCacheDataTypeE0ELb0ELi512EEEvPfS2_PT_PKS3_PKT0_S9_ifPKiSB_iPKfiiiSD_SD_iiiii, .Lfunc_end103-_ZN4vllm25paged_attention_v2_kernelIttLi112ELi16ELi128ELNS_18Fp8KVCacheDataTypeE0ELb0ELi512EEEvPfS2_PT_PKS3_PKT0_S9_ifPKiSB_iPKfiiiSD_SD_iiiii
                                        ; -- End function
	.section	.AMDGPU.csdata,"",@progbits
; Kernel info:
; codeLenInByte = 6388
; NumSgprs: 48
; NumVgprs: 62
; NumAgprs: 0
; TotalNumVgprs: 62
; ScratchSize: 0
; MemoryBound: 0
; FloatMode: 240
; IeeeMode: 1
; LDSByteSize: 240 bytes/workgroup (compile time only)
; SGPRBlocks: 5
; VGPRBlocks: 7
; NumSGPRsForWavesPerEU: 48
; NumVGPRsForWavesPerEU: 62
; AccumOffset: 64
; Occupancy: 8
; WaveLimiterHint : 1
; COMPUTE_PGM_RSRC2:SCRATCH_EN: 0
; COMPUTE_PGM_RSRC2:USER_SGPR: 2
; COMPUTE_PGM_RSRC2:TRAP_HANDLER: 0
; COMPUTE_PGM_RSRC2:TGID_X_EN: 1
; COMPUTE_PGM_RSRC2:TGID_Y_EN: 1
; COMPUTE_PGM_RSRC2:TGID_Z_EN: 1
; COMPUTE_PGM_RSRC2:TIDIG_COMP_CNT: 0
; COMPUTE_PGM_RSRC3_GFX90A:ACCUM_OFFSET: 15
; COMPUTE_PGM_RSRC3_GFX90A:TG_SPLIT: 0
	.section	.text._ZN4vllm25paged_attention_v2_kernelIttLi120ELi16ELi128ELNS_18Fp8KVCacheDataTypeE0ELb0ELi512EEEvPfS2_PT_PKS3_PKT0_S9_ifPKiSB_iPKfiiiSD_SD_iiiii,"axG",@progbits,_ZN4vllm25paged_attention_v2_kernelIttLi120ELi16ELi128ELNS_18Fp8KVCacheDataTypeE0ELb0ELi512EEEvPfS2_PT_PKS3_PKT0_S9_ifPKiSB_iPKfiiiSD_SD_iiiii,comdat
	.protected	_ZN4vllm25paged_attention_v2_kernelIttLi120ELi16ELi128ELNS_18Fp8KVCacheDataTypeE0ELb0ELi512EEEvPfS2_PT_PKS3_PKT0_S9_ifPKiSB_iPKfiiiSD_SD_iiiii ; -- Begin function _ZN4vllm25paged_attention_v2_kernelIttLi120ELi16ELi128ELNS_18Fp8KVCacheDataTypeE0ELb0ELi512EEEvPfS2_PT_PKS3_PKT0_S9_ifPKiSB_iPKfiiiSD_SD_iiiii
	.globl	_ZN4vllm25paged_attention_v2_kernelIttLi120ELi16ELi128ELNS_18Fp8KVCacheDataTypeE0ELb0ELi512EEEvPfS2_PT_PKS3_PKT0_S9_ifPKiSB_iPKfiiiSD_SD_iiiii
	.p2align	8
	.type	_ZN4vllm25paged_attention_v2_kernelIttLi120ELi16ELi128ELNS_18Fp8KVCacheDataTypeE0ELb0ELi512EEEvPfS2_PT_PKS3_PKT0_S9_ifPKiSB_iPKfiiiSD_SD_iiiii,@function
_ZN4vllm25paged_attention_v2_kernelIttLi120ELi16ELi128ELNS_18Fp8KVCacheDataTypeE0ELb0ELi512EEEvPfS2_PT_PKS3_PKT0_S9_ifPKiSB_iPKfiiiSD_SD_iiiii: ; @_ZN4vllm25paged_attention_v2_kernelIttLi120ELi16ELi128ELNS_18Fp8KVCacheDataTypeE0ELb0ELi512EEEvPfS2_PT_PKS3_PKT0_S9_ifPKiSB_iPKfiiiSD_SD_iiiii
; %bb.0:
	s_load_dwordx2 s[6:7], s[0:1], 0x40
	s_mov_b32 s24, s3
	s_ashr_i32 s25, s3, 31
	s_lshl_b64 s[8:9], s[24:25], 2
	s_waitcnt lgkmcnt(0)
	s_add_u32 s6, s6, s8
	s_addc_u32 s7, s7, s9
	s_load_dword s25, s[6:7], 0x0
	s_lshl_b32 s40, s4, 9
	s_waitcnt lgkmcnt(0)
	s_cmp_ge_i32 s40, s25
	s_cbranch_scc1 .LBB104_72
; %bb.1:
	s_load_dword s5, s[0:1], 0x90
	s_load_dwordx2 s[10:11], s[0:1], 0x30
	s_mov_b32 s41, 0
	s_waitcnt lgkmcnt(0)
	s_abs_i32 s7, s5
	s_abs_i32 s3, s10
	v_cvt_f32_u32_e32 v1, s3
	s_sub_i32 s8, 0, s3
	s_xor_b32 s6, s5, s10
	s_ashr_i32 s6, s6, 31
	v_rcp_iflag_f32_e32 v1, v1
	s_nop 0
	v_mul_f32_e32 v1, 0x4f7ffffe, v1
	v_cvt_u32_f32_e32 v1, v1
	s_nop 0
	v_readfirstlane_b32 s9, v1
	s_mul_i32 s8, s8, s9
	s_mul_hi_u32 s8, s9, s8
	s_add_i32 s9, s9, s8
	s_mul_hi_u32 s8, s7, s9
	s_mul_i32 s9, s8, s3
	s_sub_i32 s7, s7, s9
	s_add_i32 s10, s8, 1
	s_sub_i32 s9, s7, s3
	s_cmp_ge_u32 s7, s3
	s_cselect_b32 s8, s10, s8
	s_cselect_b32 s7, s9, s7
	s_add_i32 s9, s8, 1
	s_cmp_ge_u32 s7, s3
	s_cselect_b32 s3, s9, s8
	s_xor_b32 s3, s3, s6
	s_sub_i32 s10, s3, s6
	s_abs_i32 s8, s10
	v_cvt_f32_u32_e32 v1, s8
	s_load_dwordx2 s[6:7], s[0:1], 0x50
	s_sub_i32 s3, 0, s8
	s_abs_i32 s9, s2
	v_rcp_iflag_f32_e32 v1, v1
	s_nop 0
	v_mul_f32_e32 v1, 0x4f7ffffe, v1
	v_cvt_u32_f32_e32 v1, v1
	s_nop 0
	v_readfirstlane_b32 s12, v1
	s_mul_i32 s3, s3, s12
	s_mul_hi_u32 s3, s12, s3
	s_add_i32 s12, s12, s3
	s_waitcnt lgkmcnt(0)
	s_cmp_eq_u64 s[6:7], 0
	s_mul_hi_u32 s16, s9, s12
	s_cbranch_scc1 .LBB104_3
; %bb.2:
	s_ashr_i32 s3, s2, 31
	s_lshl_b64 s[12:13], s[2:3], 2
	s_add_u32 s6, s6, s12
	s_addc_u32 s7, s7, s13
	s_load_dword s41, s[6:7], 0x0
.LBB104_3:
	s_load_dwordx4 s[12:15], s[0:1], 0x58
	s_ashr_i32 s17, s2, 31
	s_waitcnt lgkmcnt(0)
	s_ashr_i32 s15, s10, 31
	v_and_b32_e32 v4, 3, v0
	s_mul_i32 s20, s2, 0x78
	v_cmp_gt_u32_e32 vcc, 60, v0
	s_and_saveexec_b64 s[6:7], vcc
	s_cbranch_execz .LBB104_5
; %bb.4:
	s_load_dwordx2 s[18:19], s[0:1], 0x18
	s_mul_i32 s22, s24, s12
	s_ashr_i32 s23, s22, 31
	s_lshl_b64 s[22:23], s[22:23], 1
	v_lshlrev_b32_e32 v1, 2, v0
	s_waitcnt lgkmcnt(0)
	s_add_u32 s3, s18, s22
	s_addc_u32 s10, s19, s23
	s_ashr_i32 s21, s20, 31
	s_lshl_b64 s[18:19], s[20:21], 1
	s_add_u32 s18, s3, s18
	s_addc_u32 s19, s10, s19
	global_load_dword v1, v1, s[18:19]
	v_and_b32_e32 v2, 0x3fc, v0
	v_mad_u32_u24 v2, v4, 60, v2
	s_waitcnt vmcnt(0)
	ds_write_b32 v2, v1
.LBB104_5:
	s_or_b64 exec, exec, s[6:7]
	s_add_i32 s3, s25, 15
	s_ashr_i32 s6, s3, 31
	s_lshr_b32 s6, s6, 28
	s_add_i32 s3, s3, s6
	s_lshl_b32 s10, s4, 5
	s_mul_i32 s7, s16, s8
	s_ashr_i32 s3, s3, 4
	s_add_i32 s6, s10, 32
	s_sub_i32 s7, s9, s7
	s_min_i32 s33, s6, s3
	s_xor_b32 s6, s17, s15
	s_add_i32 s9, s16, 1
	s_sub_i32 s12, s7, s8
	s_cmp_ge_u32 s7, s8
	s_cselect_b32 s9, s9, s16
	s_cselect_b32 s7, s12, s7
	s_add_i32 s12, s9, 1
	s_cmp_ge_u32 s7, s8
	s_load_dwordx2 s[26:27], s[0:1], 0x38
	s_load_dword s8, s[0:1], 0x48
	v_lshrrev_b32_e32 v1, 6, v0
	s_cselect_b32 s7, s12, s9
	s_xor_b32 s7, s7, s6
	v_or_b32_e32 v6, s10, v1
	s_waitcnt lgkmcnt(0)
	s_mul_i32 s28, s24, s8
	s_sub_i32 s12, s7, s6
	s_ashr_i32 s29, s28, 31
	v_cmp_gt_i32_e64 s[8:9], s33, v6
	v_cmp_le_i32_e32 vcc, s33, v6
	v_mbcnt_lo_u32_b32 v15, -1, 0
	s_barrier
	s_waitcnt lgkmcnt(0)
                                        ; implicit-def: $sgpr15
                                        ; implicit-def: $vgpr8
                                        ; implicit-def: $vgpr9
	s_and_saveexec_b64 s[6:7], vcc
	s_xor_b64 s[6:7], exec, s[6:7]
; %bb.6:
	v_mbcnt_hi_u32_b32 v8, -1, v15
	v_and_b32_e32 v2, 64, v8
	v_add_u32_e32 v9, 64, v2
	s_mov_b32 s15, 0xff7fffff
                                        ; implicit-def: $vgpr4
                                        ; implicit-def: $vgpr15
; %bb.7:
	s_or_saveexec_b64 s[34:35], s[6:7]
	s_load_dwordx4 s[16:19], s[0:1], 0x0
	s_load_dwordx2 s[22:23], s[0:1], 0x10
	s_load_dwordx2 s[30:31], s[0:1], 0x28
	s_load_dword s21, s[0:1], 0x98
	v_mov_b32_e32 v11, s15
	s_mul_i32 s14, s12, s14
	v_ashrrev_i32_e32 v7, 31, v6
	v_lshlrev_b32_e32 v10, 4, v1
	s_xor_b64 exec, exec, s[34:35]
	s_cbranch_execz .LBB104_13
; %bb.8:
	s_load_dwordx2 s[0:1], s[0:1], 0x20
	s_ashr_i32 s15, s14, 31
	s_lshl_b64 s[6:7], s[14:15], 1
	v_bfe_u32 v5, v0, 2, 4
	v_lshlrev_b32_e32 v2, 4, v5
	s_waitcnt lgkmcnt(0)
	s_add_u32 s0, s0, s6
	s_addc_u32 s1, s1, s7
	v_mov_b32_e32 v3, 0
	v_lshl_add_u64 v[8:9], s[0:1], 0, v[2:3]
	v_lshlrev_b32_e32 v2, 2, v0
	v_and_b32_e32 v2, 12, v2
	s_sub_i32 s15, 1, s25
	s_lshl_b64 s[0:1], s[28:29], 2
	v_lshl_add_u64 v[2:3], v[8:9], 0, v[2:3]
	v_mul_u32_u24_e32 v12, 60, v4
	v_cmp_eq_u32_e32 vcc, 0, v4
	v_lshlrev_b32_e32 v4, 2, v5
	s_add_u32 s0, s26, s0
	v_mbcnt_hi_u32_b32 v8, -1, v15
	v_lshl_or_b32 v4, v1, 6, v4
	s_addc_u32 s1, s27, s1
	v_and_b32_e32 v9, 64, v8
	s_mov_b32 s12, s13
	v_cmp_neq_f32_e64 s[6:7], s41, 0
	v_add3_u32 v13, s40, v10, v5
	v_add_u32_e32 v14, 0x100, v4
	v_lshl_add_u64 v[4:5], v[6:7], 2, s[0:1]
	s_mov_b64 s[36:37], 0
	v_mov_b32_e32 v11, 0xff7fffff
	v_add_u32_e32 v9, 64, v9
	v_xor_b32_e32 v15, 2, v8
	v_xor_b32_e32 v16, 1, v8
	v_mov_b32_e32 v17, v6
	s_branch .LBB104_10
.LBB104_9:                              ;   in Loop: Header=BB104_10 Depth=1
	s_or_b64 exec, exec, s[38:39]
	v_add_u32_e32 v17, 2, v17
	v_cmp_le_i32_e64 s[0:1], s33, v17
	v_add_u32_e32 v13, 32, v13
	v_add_u32_e32 v14, 0x80, v14
	s_or_b64 s[36:37], s[0:1], s[36:37]
	v_lshl_add_u64 v[4:5], v[4:5], 0, 8
	s_andn2_b64 exec, exec, s[36:37]
	s_cbranch_execz .LBB104_12
.LBB104_10:                             ; =>This Inner Loop Header: Depth=1
	global_load_dword v18, v[4:5], off
	s_waitcnt vmcnt(0) lgkmcnt(0)
	v_mad_i64_i32 v[18:19], s[0:1], v18, s12, 0
	v_lshl_add_u64 v[24:25], v[18:19], 1, v[2:3]
	global_load_dword v26, v[24:25], off
	global_load_dword v27, v[24:25], off offset:256
	global_load_dword v28, v[24:25], off offset:512
	;; [unrolled: 1-line block ×12, first 2 shown]
	ds_read_b32 v35, v12
	global_load_dword v19, v[24:25], off offset:3328
	global_load_dword v18, v[24:25], off offset:3584
	v_cmp_lt_i32_e64 s[0:1], v15, v9
	s_waitcnt lgkmcnt(0)
	v_lshrrev_b32_e32 v25, 16, v35
	v_and_b32_e32 v35, 0xffff, v35
	;;#ASMSTART
	v_cvt_f32_f16 v35, v35;
	;;#ASMEND
	;;#ASMSTART
	v_cvt_f32_f16 v25, v25;
	;;#ASMEND
	v_cndmask_b32_e64 v24, v8, v15, s[0:1]
	v_lshlrev_b32_e32 v24, 2, v24
	v_cmp_lt_i32_e64 s[0:1], v16, v9
	s_waitcnt vmcnt(14)
	v_lshrrev_b32_e32 v36, 16, v26
	v_and_b32_e32 v26, 0xffff, v26
	;;#ASMSTART
	v_cvt_f32_f16 v26, v26;
	;;#ASMEND
	;;#ASMSTART
	v_cvt_f32_f16 v36, v36;
	;;#ASMEND
	ds_read_b32 v37, v12 offset:4
	s_waitcnt vmcnt(13)
	v_lshrrev_b32_e32 v38, 16, v27
	v_and_b32_e32 v27, 0xffff, v27
	s_waitcnt vmcnt(12)
	v_lshrrev_b32_e32 v39, 16, v28
	v_and_b32_e32 v28, 0xffff, v28
	s_waitcnt lgkmcnt(0)
	v_lshrrev_b32_e32 v40, 16, v37
	v_and_b32_e32 v37, 0xffff, v37
	;;#ASMSTART
	v_cvt_f32_f16 v37, v37;
	;;#ASMEND
	;;#ASMSTART
	v_cvt_f32_f16 v40, v40;
	;;#ASMEND
	;;#ASMSTART
	v_cvt_f32_f16 v27, v27;
	;;#ASMEND
	;;#ASMSTART
	v_cvt_f32_f16 v38, v38;
	;;#ASMEND
	ds_read_b32 v41, v12 offset:8
	s_waitcnt vmcnt(11)
	v_lshrrev_b32_e32 v42, 16, v29
	v_and_b32_e32 v29, 0xffff, v29
	s_waitcnt vmcnt(10)
	v_lshrrev_b32_e32 v43, 16, v30
	v_and_b32_e32 v30, 0xffff, v30
	s_waitcnt lgkmcnt(0)
	v_lshrrev_b32_e32 v44, 16, v41
	v_and_b32_e32 v41, 0xffff, v41
	;;#ASMSTART
	v_cvt_f32_f16 v41, v41;
	;;#ASMEND
	;;#ASMSTART
	v_cvt_f32_f16 v44, v44;
	;;#ASMEND
	;;#ASMSTART
	v_cvt_f32_f16 v28, v28;
	;;#ASMEND
	;;#ASMSTART
	v_cvt_f32_f16 v39, v39;
	;;#ASMEND
	ds_read_b32 v45, v12 offset:12
	s_waitcnt vmcnt(9)
	v_lshrrev_b32_e32 v46, 16, v31
	v_and_b32_e32 v31, 0xffff, v31
	s_waitcnt vmcnt(8)
	v_lshrrev_b32_e32 v47, 16, v32
	v_and_b32_e32 v32, 0xffff, v32
	s_waitcnt lgkmcnt(0)
	v_lshrrev_b32_e32 v48, 16, v45
	v_and_b32_e32 v45, 0xffff, v45
	;;#ASMSTART
	v_cvt_f32_f16 v45, v45;
	;;#ASMEND
	;;#ASMSTART
	v_cvt_f32_f16 v48, v48;
	;;#ASMEND
	;;#ASMSTART
	v_cvt_f32_f16 v29, v29;
	;;#ASMEND
	;;#ASMSTART
	v_cvt_f32_f16 v42, v42;
	;;#ASMEND
	ds_read_b32 v49, v12 offset:16
	s_waitcnt vmcnt(7)
	v_lshrrev_b32_e32 v50, 16, v33
	v_and_b32_e32 v33, 0xffff, v33
	v_mul_f32_e32 v27, v37, v27
	v_mul_f32_e32 v37, v40, v38
	s_waitcnt lgkmcnt(0)
	v_lshrrev_b32_e32 v52, 16, v49
	v_and_b32_e32 v49, 0xffff, v49
	;;#ASMSTART
	v_cvt_f32_f16 v49, v49;
	;;#ASMEND
	;;#ASMSTART
	v_cvt_f32_f16 v52, v52;
	;;#ASMEND
	;; [unrolled: 3-line block ×4, first 2 shown]
	ds_read_b32 v53, v12 offset:20
	s_waitcnt vmcnt(6)
	v_lshrrev_b32_e32 v51, 16, v34
	v_and_b32_e32 v34, 0xffff, v34
	v_fmac_f32_e32 v27, v35, v26
	v_fmac_f32_e32 v37, v25, v36
	s_waitcnt lgkmcnt(0)
	v_lshrrev_b32_e32 v56, 16, v53
	v_and_b32_e32 v53, 0xffff, v53
	;;#ASMSTART
	v_cvt_f32_f16 v53, v53;
	;;#ASMEND
	;;#ASMSTART
	v_cvt_f32_f16 v56, v56;
	;;#ASMEND
	;; [unrolled: 3-line block ×4, first 2 shown]
	ds_read_b32 v57, v12 offset:24
	v_fmac_f32_e32 v27, v41, v28
	s_waitcnt vmcnt(5)
	v_lshrrev_b32_e32 v54, 16, v23
	v_and_b32_e32 v23, 0xffff, v23
	v_fmac_f32_e32 v27, v45, v29
	s_waitcnt lgkmcnt(0)
	v_lshrrev_b32_e32 v60, 16, v57
	v_and_b32_e32 v57, 0xffff, v57
	;;#ASMSTART
	v_cvt_f32_f16 v57, v57;
	;;#ASMEND
	;;#ASMSTART
	v_cvt_f32_f16 v60, v60;
	;;#ASMEND
	;; [unrolled: 3-line block ×4, first 2 shown]
	ds_read_b32 v61, v12 offset:28
	v_fmac_f32_e32 v27, v49, v30
	s_waitcnt vmcnt(4)
	v_lshrrev_b32_e32 v55, 16, v22
	v_and_b32_e32 v22, 0xffff, v22
	v_fmac_f32_e32 v27, v53, v31
	s_waitcnt lgkmcnt(0)
	v_lshrrev_b32_e32 v64, 16, v61
	v_and_b32_e32 v61, 0xffff, v61
	;;#ASMSTART
	v_cvt_f32_f16 v61, v61;
	;;#ASMEND
	;;#ASMSTART
	v_cvt_f32_f16 v64, v64;
	;;#ASMEND
	;; [unrolled: 3-line block ×4, first 2 shown]
	ds_read_b32 v65, v12 offset:32
	v_fmac_f32_e32 v37, v44, v39
	v_fmac_f32_e32 v27, v57, v32
	s_waitcnt vmcnt(3)
	v_lshrrev_b32_e32 v58, 16, v21
	v_and_b32_e32 v21, 0xffff, v21
	s_waitcnt lgkmcnt(0)
	v_lshrrev_b32_e32 v25, 16, v65
	v_and_b32_e32 v26, 0xffff, v65
	;;#ASMSTART
	v_cvt_f32_f16 v26, v26;
	;;#ASMEND
	;;#ASMSTART
	v_cvt_f32_f16 v25, v25;
	;;#ASMEND
	;; [unrolled: 3-line block ×4, first 2 shown]
	ds_read_b32 v36, v12 offset:36
	v_fmac_f32_e32 v27, v61, v33
	v_fmac_f32_e32 v37, v48, v42
	v_fmac_f32_e32 v37, v52, v43
	v_fmac_f32_e32 v37, v56, v46
	s_waitcnt lgkmcnt(0)
	v_lshrrev_b32_e32 v28, 16, v36
	v_and_b32_e32 v29, 0xffff, v36
	;;#ASMSTART
	v_cvt_f32_f16 v29, v29;
	;;#ASMEND
	;;#ASMSTART
	v_cvt_f32_f16 v28, v28;
	;;#ASMEND
	;; [unrolled: 3-line block ×4, first 2 shown]
	ds_read_b32 v38, v12 offset:40
	v_fmac_f32_e32 v37, v60, v47
	v_fmac_f32_e32 v37, v64, v50
	;; [unrolled: 1-line block ×3, first 2 shown]
	s_waitcnt vmcnt(2)
	v_lshrrev_b32_e32 v59, 16, v20
	s_waitcnt lgkmcnt(0)
	v_lshrrev_b32_e32 v30, 16, v38
	v_and_b32_e32 v31, 0xffff, v38
	;;#ASMSTART
	v_cvt_f32_f16 v31, v31;
	;;#ASMEND
	;;#ASMSTART
	v_cvt_f32_f16 v30, v30;
	;;#ASMEND
	;; [unrolled: 3-line block ×4, first 2 shown]
	ds_read_b32 v39, v12 offset:44
	v_and_b32_e32 v20, 0xffff, v20
	v_fmac_f32_e32 v37, v25, v35
	v_fmac_f32_e32 v27, v29, v23
	;; [unrolled: 1-line block ×3, first 2 shown]
	s_waitcnt lgkmcnt(0)
	v_lshrrev_b32_e32 v32, 16, v39
	v_and_b32_e32 v33, 0xffff, v39
	;;#ASMSTART
	v_cvt_f32_f16 v33, v33;
	;;#ASMEND
	;;#ASMSTART
	v_cvt_f32_f16 v32, v32;
	;;#ASMEND
	;;#ASMSTART
	v_cvt_f32_f16 v21, v21;
	;;#ASMEND
	;;#ASMSTART
	v_cvt_f32_f16 v39, v58;
	;;#ASMEND
	ds_read_b32 v40, v12 offset:48
	v_fmac_f32_e32 v27, v31, v22
	s_waitcnt vmcnt(1)
	v_lshrrev_b32_e32 v62, 16, v19
	v_and_b32_e32 v19, 0xffff, v19
	v_fmac_f32_e32 v27, v33, v21
	s_waitcnt lgkmcnt(0)
	v_lshrrev_b32_e32 v23, 16, v40
	v_and_b32_e32 v25, 0xffff, v40
	;;#ASMSTART
	v_cvt_f32_f16 v25, v25;
	;;#ASMEND
	;;#ASMSTART
	v_cvt_f32_f16 v23, v23;
	;;#ASMEND
	;; [unrolled: 3-line block ×4, first 2 shown]
	ds_read_b32 v28, v12 offset:52
	v_fmac_f32_e32 v37, v30, v38
	v_fmac_f32_e32 v37, v32, v39
	;; [unrolled: 1-line block ×4, first 2 shown]
	s_waitcnt lgkmcnt(0)
	v_lshrrev_b32_e32 v21, 16, v28
	v_and_b32_e32 v22, 0xffff, v28
	;;#ASMSTART
	v_cvt_f32_f16 v22, v22;
	;;#ASMEND
	;;#ASMSTART
	v_cvt_f32_f16 v21, v21;
	;;#ASMEND
	;;#ASMSTART
	v_cvt_f32_f16 v19, v19;
	;;#ASMEND
	;;#ASMSTART
	v_cvt_f32_f16 v28, v62;
	;;#ASMEND
	ds_read_b32 v29, v12 offset:56
	s_waitcnt vmcnt(0)
	v_lshrrev_b32_e32 v63, 16, v18
	v_and_b32_e32 v18, 0xffff, v18
	v_fmac_f32_e32 v27, v22, v19
	v_fmac_f32_e32 v37, v21, v28
	s_waitcnt lgkmcnt(0)
	v_lshrrev_b32_e32 v19, 16, v29
	v_and_b32_e32 v20, 0xffff, v29
	;;#ASMSTART
	v_cvt_f32_f16 v20, v20;
	;;#ASMEND
	;;#ASMSTART
	v_cvt_f32_f16 v19, v19;
	;;#ASMEND
	;; [unrolled: 3-line block ×4, first 2 shown]
	s_nop 0
	v_fmac_f32_e32 v27, v20, v18
	v_fmac_f32_e32 v37, v19, v21
	v_add_f32_e32 v18, v27, v37
	ds_bpermute_b32 v19, v24, v18
	v_cndmask_b32_e64 v20, v8, v16, s[0:1]
	s_waitcnt lgkmcnt(0)
	v_add_f32_e32 v18, v18, v19
	v_lshlrev_b32_e32 v19, 2, v20
	ds_bpermute_b32 v19, v19, v18
	s_and_saveexec_b64 s[38:39], vcc
	s_cbranch_execz .LBB104_9
; %bb.11:                               ;   in Loop: Header=BB104_10 Depth=1
	v_add_u32_e32 v20, s15, v13
	v_cvt_f32_i32_e32 v20, v20
	s_waitcnt lgkmcnt(0)
	v_add_f32_e32 v18, v18, v19
	v_cmp_gt_i32_e64 s[0:1], s25, v13
	v_max_f32_e32 v19, v11, v11
	v_mul_f32_e32 v20, s41, v20
	v_cndmask_b32_e64 v20, 0, v20, s[6:7]
	v_fmac_f32_e32 v20, s11, v18
	v_cndmask_b32_e64 v18, 0, v20, s[0:1]
	ds_write_b32 v14, v18
	v_max_f32_e32 v18, v19, v20
	v_cndmask_b32_e64 v11, v11, v18, s[0:1]
	s_branch .LBB104_9
.LBB104_12:
	s_or_b64 exec, exec, s[36:37]
.LBB104_13:
	s_or_b64 exec, exec, s[34:35]
	v_xor_b32_e32 v2, 32, v8
	v_cmp_lt_i32_e32 vcc, v2, v9
	v_xor_b32_e32 v5, 16, v8
	v_max_f32_e32 v4, v11, v11
	v_cndmask_b32_e32 v2, v8, v2, vcc
	v_lshlrev_b32_e32 v2, 2, v2
	ds_bpermute_b32 v3, v2, v11
	v_cmp_lt_i32_e32 vcc, v5, v9
	v_xor_b32_e32 v11, 8, v8
	s_waitcnt lgkmcnt(0)
	v_max_f32_e32 v3, v3, v3
	v_max_f32_e32 v4, v4, v3
	v_cndmask_b32_e32 v3, v8, v5, vcc
	v_lshlrev_b32_e32 v3, 2, v3
	ds_bpermute_b32 v5, v3, v4
	v_cmp_lt_i32_e32 vcc, v11, v9
	s_waitcnt lgkmcnt(0)
	v_max_f32_e32 v5, v5, v5
	v_max_f32_e32 v4, v4, v5
	v_cndmask_b32_e32 v5, v8, v11, vcc
	v_lshlrev_b32_e32 v13, 2, v5
	ds_bpermute_b32 v5, v13, v4
	v_xor_b32_e32 v11, 4, v8
	v_cmp_lt_i32_e32 vcc, v11, v9
	s_waitcnt lgkmcnt(0)
	v_max_f32_e32 v5, v5, v5
	v_max_f32_e32 v5, v4, v5
	v_cndmask_b32_e32 v4, v8, v11, vcc
	v_lshlrev_b32_e32 v14, 2, v4
	ds_bpermute_b32 v12, v14, v5
	v_and_b32_e32 v4, 63, v0
	v_cmp_eq_u32_e32 vcc, 0, v4
	v_lshlrev_b32_e32 v11, 2, v1
	s_and_saveexec_b64 s[0:1], vcc
	s_cbranch_execz .LBB104_15
; %bb.14:
	s_waitcnt lgkmcnt(0)
	v_max_f32_e32 v12, v12, v12
	v_max_f32_e32 v5, v5, v5
	v_max_f32_e32 v5, v5, v12
	ds_write_b32 v11, v5 offset:240
.LBB104_15:
	s_or_b64 exec, exec, s[0:1]
	v_cmp_gt_u32_e64 s[0:1], 2, v4
	v_mov_b32_e32 v5, 0xff7fffff
	s_waitcnt lgkmcnt(0)
	v_lshlrev_b32_e32 v12, 2, v4
	s_barrier
	s_and_saveexec_b64 s[6:7], s[0:1]
	s_cbranch_execz .LBB104_17
; %bb.16:
	ds_read_b32 v5, v12 offset:240
.LBB104_17:
	s_or_b64 exec, exec, s[6:7]
	v_xor_b32_e32 v15, 1, v8
	v_cmp_lt_i32_e64 s[6:7], v15, v9
	v_mov_b32_e32 v16, 0
	s_nop 0
	v_cndmask_b32_e64 v15, v8, v15, s[6:7]
	v_lshlrev_b32_e32 v22, 2, v15
	s_waitcnt lgkmcnt(0)
	ds_bpermute_b32 v15, v22, v5
	v_max_f32_e32 v5, v5, v5
	s_sub_i32 s6, s33, s10
	s_lshl_b32 s6, s6, 4
	s_add_i32 s6, s6, s40
	s_waitcnt lgkmcnt(0)
	v_max_f32_e32 v15, v15, v15
	v_max_f32_e32 v5, v5, v15
	v_lshlrev_b32_e32 v15, 2, v8
	v_and_b32_e32 v15, 0xffffff00, v15
	ds_bpermute_b32 v5, v15, v5
	s_min_i32 s15, s6, s25
	s_sub_i32 s12, s15, s40
	v_cmp_gt_i32_e64 s[6:7], s12, v0
	s_and_saveexec_b64 s[34:35], s[6:7]
	s_cbranch_execz .LBB104_21
; %bb.18:
	v_mov_b32_e32 v16, 0x100
	v_lshl_add_u32 v17, v0, 2, v16
	s_mov_b64 s[36:37], 0
	v_mov_b32_e32 v16, 0
	v_mov_b32_e32 v18, v0
.LBB104_19:                             ; =>This Inner Loop Header: Depth=1
	ds_read_b32 v19, v17
	v_add_u32_e32 v18, 0x80, v18
	v_cmp_le_i32_e64 s[10:11], s12, v18
	s_or_b64 s[36:37], s[10:11], s[36:37]
	s_waitcnt lgkmcnt(0)
	v_sub_f32_e32 v19, v19, v5
	v_mul_f32_e32 v19, 0x3fb8aa3b, v19
	v_exp_f32_e32 v19, v19
	ds_write_b32 v17, v19
	v_add_f32_e32 v16, v16, v19
	v_add_u32_e32 v17, 0x200, v17
	s_andn2_b64 exec, exec, s[36:37]
	s_cbranch_execnz .LBB104_19
; %bb.20:
	s_or_b64 exec, exec, s[36:37]
.LBB104_21:
	s_or_b64 exec, exec, s[34:35]
	ds_bpermute_b32 v2, v2, v16
	s_waitcnt lgkmcnt(0)
	v_add_f32_e32 v2, v16, v2
	ds_bpermute_b32 v3, v3, v2
	s_waitcnt lgkmcnt(0)
	v_add_f32_e32 v2, v2, v3
	ds_bpermute_b32 v3, v13, v2
	v_xor_b32_e32 v13, 2, v8
	v_cmp_lt_i32_e64 s[10:11], v13, v9
	s_waitcnt lgkmcnt(0)
	v_add_f32_e32 v2, v2, v3
	ds_bpermute_b32 v3, v14, v2
	v_cndmask_b32_e64 v8, v8, v13, s[10:11]
	s_waitcnt lgkmcnt(0)
	v_add_f32_e32 v2, v2, v3
	v_lshlrev_b32_e32 v3, 2, v8
	ds_bpermute_b32 v3, v3, v2
	s_waitcnt lgkmcnt(0)
	v_add_f32_e32 v2, v2, v3
	ds_bpermute_b32 v3, v22, v2
	s_waitcnt lgkmcnt(0)
	v_add_f32_e32 v2, v2, v3
	s_and_saveexec_b64 s[10:11], vcc
	s_cbranch_execz .LBB104_23
; %bb.22:
	ds_write_b32 v11, v2 offset:248
.LBB104_23:
	s_or_b64 exec, exec, s[10:11]
	s_waitcnt lgkmcnt(0)
	s_barrier
	s_and_saveexec_b64 s[10:11], s[0:1]
	s_cbranch_execz .LBB104_25
; %bb.24:
	ds_read_b32 v2, v12 offset:248
.LBB104_25:
	s_or_b64 exec, exec, s[10:11]
	s_waitcnt lgkmcnt(0)
	ds_bpermute_b32 v3, v22, v2
	s_waitcnt lgkmcnt(0)
	v_add_f32_e32 v2, v2, v3
	ds_bpermute_b32 v8, v15, v2
	s_and_saveexec_b64 s[0:1], s[6:7]
	s_cbranch_execz .LBB104_38
; %bb.26:
	s_waitcnt lgkmcnt(0)
	v_add_f32_e32 v2, 0x358637bd, v8
	v_div_scale_f32 v3, s[6:7], v2, v2, 1.0
	v_rcp_f32_e32 v9, v3
	v_div_scale_f32 v11, vcc, 1.0, v2, 1.0
	s_movk_i32 s6, 0x7f
	v_fma_f32 v12, -v3, v9, 1.0
	v_fmac_f32_e32 v9, v12, v9
	v_mul_f32_e32 v12, v11, v9
	v_fma_f32 v13, -v3, v12, v11
	v_fmac_f32_e32 v12, v13, v9
	v_fma_f32 v3, -v3, v12, v11
	v_div_fmas_f32 v3, v3, v9, v12
	v_div_fixup_f32 v2, v3, v2, 1.0
	v_xad_u32 v3, v0, -1, s15
	v_subrev_u32_e32 v9, s40, v3
	v_cmp_lt_u32_e32 vcc, s6, v9
	s_mov_b64 s[10:11], -1
	v_mov_b32_e32 v3, v0
	s_and_saveexec_b64 s[6:7], vcc
	s_cbranch_execz .LBB104_35
; %bb.27:
	v_lshrrev_b32_e32 v9, 7, v9
	v_add_u32_e32 v12, -1, v9
	v_lshrrev_b32_e32 v11, 1, v12
	v_mov_b32_e32 v3, v2
	v_add_u32_e32 v11, 1, v11
	v_cmp_lt_u32_e32 vcc, 13, v12
	v_mov_b32_e32 v14, 0
	s_and_saveexec_b64 s[10:11], vcc
	s_cbranch_execz .LBB104_31
; %bb.28:
	v_mov_b32_e32 v13, 0x100
	v_and_b32_e32 v12, -8, v11
	v_lshl_add_u32 v13, v0, 2, v13
	s_mov_b32 s15, 0
	s_mov_b64 s[34:35], 0
.LBB104_29:                             ; =>This Inner Loop Header: Depth=1
	ds_read2st64_b32 v[14:15], v13 offset1:2
	ds_read2st64_b32 v[16:17], v13 offset0:4 offset1:6
	ds_read2st64_b32 v[18:19], v13 offset0:8 offset1:10
	;; [unrolled: 1-line block ×3, first 2 shown]
	v_add_u32_e32 v12, -8, v12
	s_waitcnt lgkmcnt(3)
	v_pk_mul_f32 v[14:15], v[2:3], v[14:15]
	s_waitcnt lgkmcnt(2)
	v_pk_mul_f32 v[16:17], v[2:3], v[16:17]
	ds_write2st64_b32 v13, v14, v15 offset1:2
	ds_write2st64_b32 v13, v16, v17 offset0:4 offset1:6
	ds_read2st64_b32 v[16:17], v13 offset0:16 offset1:18
	s_waitcnt lgkmcnt(4)
	v_pk_mul_f32 v[14:15], v[2:3], v[18:19]
	ds_write2st64_b32 v13, v14, v15 offset0:8 offset1:10
	s_waitcnt lgkmcnt(4)
	v_pk_mul_f32 v[14:15], v[2:3], v[20:21]
	ds_write2st64_b32 v13, v14, v15 offset0:12 offset1:14
	ds_read2st64_b32 v[14:15], v13 offset0:20 offset1:22
	s_waitcnt lgkmcnt(3)
	v_pk_mul_f32 v[16:17], v[2:3], v[16:17]
	ds_read2st64_b32 v[18:19], v13 offset0:24 offset1:26
	ds_write2st64_b32 v13, v16, v17 offset0:16 offset1:18
	ds_read2st64_b32 v[16:17], v13 offset0:28 offset1:30
	s_waitcnt lgkmcnt(3)
	v_pk_mul_f32 v[14:15], v[2:3], v[14:15]
	ds_write2st64_b32 v13, v14, v15 offset0:20 offset1:22
	s_waitcnt lgkmcnt(3)
	v_pk_mul_f32 v[14:15], v[2:3], v[18:19]
	ds_write2st64_b32 v13, v14, v15 offset0:24 offset1:26
	s_waitcnt lgkmcnt(2)
	v_pk_mul_f32 v[14:15], v[2:3], v[16:17]
	s_add_i32 s15, s15, 16
	v_cmp_eq_u32_e32 vcc, 0, v12
	ds_write2st64_b32 v13, v14, v15 offset0:28 offset1:30
	v_add_u32_e32 v13, 0x2000, v13
	s_or_b64 s[34:35], vcc, s[34:35]
	v_mov_b32_e32 v14, s15
	s_andn2_b64 exec, exec, s[34:35]
	s_cbranch_execnz .LBB104_29
; %bb.30:
	s_or_b64 exec, exec, s[34:35]
.LBB104_31:
	s_or_b64 exec, exec, s[10:11]
	v_and_b32_e32 v11, 7, v11
	v_cmp_ne_u32_e32 vcc, 0, v11
	s_and_saveexec_b64 s[10:11], vcc
	s_cbranch_execz .LBB104_34
; %bb.32:
	v_lshlrev_b32_e32 v12, 9, v14
	v_lshlrev_b32_e32 v13, 2, v0
	s_movk_i32 s15, 0x100
	v_add3_u32 v12, v12, v13, s15
	s_mov_b64 s[34:35], 0
.LBB104_33:                             ; =>This Inner Loop Header: Depth=1
	ds_read2st64_b32 v[14:15], v12 offset1:2
	v_add_u32_e32 v11, -1, v11
	v_cmp_eq_u32_e32 vcc, 0, v11
	s_or_b64 s[34:35], vcc, s[34:35]
	s_waitcnt lgkmcnt(0)
	v_pk_mul_f32 v[14:15], v[2:3], v[14:15]
	ds_write2st64_b32 v12, v14, v15 offset1:2
	v_add_u32_e32 v12, 0x400, v12
	s_andn2_b64 exec, exec, s[34:35]
	s_cbranch_execnz .LBB104_33
.LBB104_34:
	s_or_b64 exec, exec, s[10:11]
	v_add_u32_e32 v9, 1, v9
	v_and_b32_e32 v11, 0x3fffffe, v9
	v_cmp_ne_u32_e32 vcc, v9, v11
	v_lshl_add_u32 v3, v11, 7, v0
	s_orn2_b64 s[10:11], vcc, exec
.LBB104_35:
	s_or_b64 exec, exec, s[6:7]
	s_and_b64 exec, exec, s[10:11]
	s_cbranch_execz .LBB104_38
; %bb.36:
	v_mov_b32_e32 v9, 0x100
	v_lshl_add_u32 v9, v3, 2, v9
	s_mov_b64 s[6:7], 0
.LBB104_37:                             ; =>This Inner Loop Header: Depth=1
	ds_read_b32 v11, v9
	v_add_u32_e32 v3, 0x80, v3
	v_cmp_le_i32_e32 vcc, s12, v3
	s_or_b64 s[6:7], vcc, s[6:7]
	s_waitcnt lgkmcnt(0)
	v_mul_f32_e32 v11, v2, v11
	ds_write_b32 v9, v11
	v_add_u32_e32 v9, 0x200, v9
	s_andn2_b64 exec, exec, s[6:7]
	s_cbranch_execnz .LBB104_37
.LBB104_38:
	s_or_b64 exec, exec, s[0:1]
	s_mul_i32 s0, s21, s24
	v_cmp_eq_u32_e32 vcc, 0, v0
	s_mul_i32 s6, s0, s5
	s_waitcnt lgkmcnt(0)
	s_barrier
	s_and_saveexec_b64 s[0:1], vcc
	s_cbranch_execz .LBB104_40
; %bb.39:
	s_ashr_i32 s7, s6, 31
	s_lshl_b64 s[10:11], s[6:7], 2
	s_add_u32 s5, s18, s10
	s_mul_i32 s18, s21, s2
	s_addc_u32 s7, s19, s11
	s_ashr_i32 s19, s18, 31
	s_lshl_b64 s[18:19], s[18:19], 2
	s_add_u32 s2, s5, s18
	s_addc_u32 s7, s7, s19
	s_ashr_i32 s5, s4, 31
	s_lshl_b64 s[34:35], s[4:5], 2
	s_add_u32 s36, s2, s34
	s_addc_u32 s37, s7, s35
	s_add_u32 s2, s16, s10
	s_addc_u32 s5, s17, s11
	s_add_u32 s2, s2, s18
	s_addc_u32 s5, s5, s19
	s_add_u32 s10, s2, s34
	v_mov_b32_e32 v2, 0
	s_addc_u32 s11, s5, s35
	global_store_dword v2, v5, s[36:37]
	global_store_dword v2, v8, s[10:11]
.LBB104_40:
	s_or_b64 exec, exec, s[0:1]
	v_mov_b32_e32 v9, 0
	v_lshrrev_b32_e32 v24, 1, v4
	v_and_b32_e32 v23, 1, v0
	v_mov_b32_e32 v8, v9
	v_mov_b32_e32 v13, v9
	;; [unrolled: 1-line block ×3, first 2 shown]
	s_and_saveexec_b64 s[10:11], s[8:9]
	s_cbranch_execz .LBB104_54
; %bb.41:
	s_ashr_i32 s15, s14, 31
	s_lshl_b64 s[0:1], s[14:15], 1
	v_lshlrev_b32_e32 v2, 3, v0
	s_add_u32 s8, s30, s0
	v_or_b32_e32 v4, 0x60, v24
	s_movk_i32 s0, 0x78
	v_and_b32_e32 v3, 8, v2
	s_addc_u32 s9, s31, s1
	s_add_i32 s7, s3, -1
	v_cmp_gt_u32_e32 vcc, s0, v4
	s_lshl_b64 s[0:1], s[28:29], 2
	v_lshl_or_b32 v2, v24, 4, v3
	v_lshl_or_b32 v4, v4, 4, v3
	v_add3_u32 v25, s40, v10, v3
	v_lshlrev_b32_e32 v3, 5, v23
	s_add_u32 s0, s26, s0
	v_mov_b32_e32 v11, 0
	v_lshl_or_b32 v1, v1, 6, v3
	s_addc_u32 s1, s27, s1
	s_mov_b32 s5, s13
	s_mov_b32 s16, s25
	;; [unrolled: 1-line block ×8, first 2 shown]
	v_add_u32_e32 v1, 0x100, v1
	v_lshl_add_u64 v[14:15], v[6:7], 2, s[0:1]
	s_mov_b64 s[12:13], 0
	v_lshlrev_b32_e32 v16, 1, v2
	v_mov_b32_e32 v17, v11
	s_mov_b32 s26, 0x5040100
	v_lshlrev_b32_e32 v10, 1, v4
	v_mov_b32_e32 v12, v11
	v_mov_b32_e32 v13, v11
	;; [unrolled: 1-line block ×4, first 2 shown]
	s_branch .LBB104_44
.LBB104_42:                             ;   in Loop: Header=BB104_44 Depth=1
	s_or_b64 exec, exec, s[14:15]
	s_waitcnt vmcnt(0)
	;;#ASMSTART
	v_pk_mul_f16 v2, v28, v2;

	;;#ASMEND
	;;#ASMSTART
	v_pk_mul_f16 v3, v27, v3;

	;;#ASMEND
	;; [unrolled: 4-line block ×4, first 2 shown]
	s_nop 0
	;;#ASMSTART
	v_pk_add_f16 v2, v2, v3;

	;;#ASMEND
	s_nop 0
	;;#ASMSTART
	v_pk_add_f16 v2, v2, v4;

	;;#ASMEND
	;; [unrolled: 5-line block ×3, first 2 shown]
	s_nop 0
	v_lshrrev_b32_e32 v3, 16, v2
	v_and_b32_e32 v2, 0xffff, v2
	;;#ASMSTART
	v_cvt_f32_f16 v2, v2;
	;;#ASMEND
	;;#ASMSTART
	v_cvt_f32_f16 v3, v3;
	;;#ASMEND
	s_nop 0
	v_add_f32_e32 v2, v2, v3
	v_add_f32_e32 v9, v9, v2
.LBB104_43:                             ;   in Loop: Header=BB104_44 Depth=1
	s_or_b64 exec, exec, s[2:3]
	v_add_u32_e32 v6, 2, v6
	v_cmp_le_i32_e64 s[0:1], s33, v6
	v_add_u32_e32 v25, 32, v25
	v_add_u32_e32 v1, 0x80, v1
	s_or_b64 s[12:13], s[0:1], s[12:13]
	v_lshl_add_u64 v[14:15], v[14:15], 0, 8
	s_andn2_b64 exec, exec, s[12:13]
	s_cbranch_execz .LBB104_53
.LBB104_44:                             ; =>This Inner Loop Header: Depth=1
	global_load_dword v28, v[14:15], off
	ds_read2_b64 v[2:5], v1 offset1:1
	ds_read2_b64 v[18:21], v1 offset0:2 offset1:3
	s_waitcnt lgkmcnt(1)
	;;#ASMSTART
	v_cvt_f16_f32 v7, v2;

	;;#ASMEND
	;;#ASMSTART
	v_cvt_f16_f32 v26, v3;

	;;#ASMEND
	;; [unrolled: 4-line block ×4, first 2 shown]
	s_waitcnt lgkmcnt(0)
	;;#ASMSTART
	v_cvt_f16_f32 v30, v18;

	;;#ASMEND
	;;#ASMSTART
	v_cvt_f16_f32 v31, v19;

	;;#ASMEND
	;; [unrolled: 4-line block ×4, first 2 shown]
	s_waitcnt vmcnt(0)
	v_mad_i64_i32 v[2:3], s[0:1], v28, s5, 0
	v_lshl_add_u64 v[18:19], v[2:3], 1, s[8:9]
	v_lshl_add_u64 v[20:21], v[18:19], 0, v[16:17]
	global_load_dwordx4 v[2:5], v[20:21], off
	v_cmp_eq_u32_e64 s[0:1], s7, v6
	s_and_saveexec_b64 s[14:15], s[0:1]
	s_cbranch_execz .LBB104_46
; %bb.45:                               ;   in Loop: Header=BB104_44 Depth=1
	v_or_b32_e32 v38, 7, v25
	v_or_b32_e32 v39, 6, v25
	s_waitcnt vmcnt(0)
	v_lshrrev_b32_e32 v40, 16, v5
	v_cmp_gt_i32_e64 s[2:3], s31, v38
	v_or_b32_e32 v36, 5, v25
	v_or_b32_e32 v37, 4, v25
	v_cndmask_b32_e64 v38, 0, v40, s[2:3]
	v_cmp_gt_i32_e64 s[2:3], s30, v39
	v_or_b32_e32 v34, 3, v25
	v_or_b32_e32 v35, 2, v25
	v_cndmask_b32_e64 v5, 0, v5, s[2:3]
	v_perm_b32 v5, v38, v5, s26
	v_lshrrev_b32_e32 v38, 16, v4
	v_cmp_gt_i32_e64 s[2:3], s24, v36
	v_add_u32_e32 v28, 1, v25
	s_nop 0
	v_cndmask_b32_e64 v36, 0, v38, s[2:3]
	v_cmp_gt_i32_e64 s[2:3], s19, v37
	s_nop 1
	v_cndmask_b32_e64 v4, 0, v4, s[2:3]
	v_perm_b32 v4, v36, v4, s26
	v_lshrrev_b32_e32 v36, 16, v3
	v_cmp_gt_i32_e64 s[2:3], s18, v34
	s_nop 1
	v_cndmask_b32_e64 v34, 0, v36, s[2:3]
	v_cmp_gt_i32_e64 s[2:3], s17, v35
	s_nop 1
	v_cndmask_b32_e64 v3, 0, v3, s[2:3]
	v_perm_b32 v3, v34, v3, s26
	v_lshrrev_b32_e32 v34, 16, v2
	v_cmp_gt_i32_e64 s[2:3], s16, v28
	s_nop 1
	v_cndmask_b32_e64 v28, 0, v34, s[2:3]
	v_cmp_gt_i32_e64 s[2:3], s25, v25
	s_nop 1
	v_cndmask_b32_e64 v2, 0, v2, s[2:3]
	v_perm_b32 v2, v28, v2, s26
.LBB104_46:                             ;   in Loop: Header=BB104_44 Depth=1
	s_or_b64 exec, exec, s[14:15]
	v_and_b32_e32 v7, 0xffff, v7
	v_lshl_or_b32 v28, v26, 16, v7
	v_and_b32_e32 v7, 0xffff, v27
	v_lshl_or_b32 v27, v29, 16, v7
	;; [unrolled: 2-line block ×3, first 2 shown]
	v_and_b32_e32 v7, 0xffff, v32
	s_waitcnt vmcnt(0)
	;;#ASMSTART
	v_pk_mul_f16 v2, v28, v2;

	;;#ASMEND
	v_lshl_or_b32 v7, v33, 16, v7
	;;#ASMSTART
	v_pk_mul_f16 v3, v27, v3;

	;;#ASMEND
	;;#ASMSTART
	v_pk_mul_f16 v4, v26, v4;

	;;#ASMEND
	;; [unrolled: 4-line block ×3, first 2 shown]
	s_nop 0
	;;#ASMSTART
	v_pk_add_f16 v2, v2, v3;

	;;#ASMEND
	s_nop 0
	;;#ASMSTART
	v_pk_add_f16 v2, v2, v4;

	;;#ASMEND
	;; [unrolled: 5-line block ×3, first 2 shown]
	s_nop 0
	v_lshrrev_b32_e32 v3, 16, v2
	v_and_b32_e32 v2, 0xffff, v2
	;;#ASMSTART
	v_cvt_f32_f16 v29, v2;
	;;#ASMEND
	;;#ASMSTART
	v_cvt_f32_f16 v30, v3;
	;;#ASMEND
	global_load_dwordx4 v[2:5], v[20:21], off offset:1024
	s_and_saveexec_b64 s[14:15], s[0:1]
	s_cbranch_execz .LBB104_48
; %bb.47:                               ;   in Loop: Header=BB104_44 Depth=1
	v_or_b32_e32 v36, 7, v25
	v_or_b32_e32 v37, 6, v25
	s_waitcnt vmcnt(0)
	v_lshrrev_b32_e32 v38, 16, v5
	v_cmp_gt_i32_e64 s[2:3], s31, v36
	v_or_b32_e32 v34, 5, v25
	v_or_b32_e32 v35, 4, v25
	v_cndmask_b32_e64 v36, 0, v38, s[2:3]
	v_cmp_gt_i32_e64 s[2:3], s30, v37
	v_or_b32_e32 v32, 3, v25
	v_or_b32_e32 v33, 2, v25
	v_cndmask_b32_e64 v5, 0, v5, s[2:3]
	v_perm_b32 v5, v36, v5, s26
	v_lshrrev_b32_e32 v36, 16, v4
	v_cmp_gt_i32_e64 s[2:3], s24, v34
	v_add_u32_e32 v31, 1, v25
	s_nop 0
	v_cndmask_b32_e64 v34, 0, v36, s[2:3]
	v_cmp_gt_i32_e64 s[2:3], s19, v35
	s_nop 1
	v_cndmask_b32_e64 v4, 0, v4, s[2:3]
	v_perm_b32 v4, v34, v4, s26
	v_lshrrev_b32_e32 v34, 16, v3
	v_cmp_gt_i32_e64 s[2:3], s18, v32
	s_nop 1
	v_cndmask_b32_e64 v32, 0, v34, s[2:3]
	v_cmp_gt_i32_e64 s[2:3], s17, v33
	s_nop 1
	v_cndmask_b32_e64 v3, 0, v3, s[2:3]
	v_perm_b32 v3, v32, v3, s26
	v_lshrrev_b32_e32 v32, 16, v2
	v_cmp_gt_i32_e64 s[2:3], s16, v31
	s_nop 1
	v_cndmask_b32_e64 v31, 0, v32, s[2:3]
	v_cmp_gt_i32_e64 s[2:3], s25, v25
	s_nop 1
	v_cndmask_b32_e64 v2, 0, v2, s[2:3]
	v_perm_b32 v2, v31, v2, s26
.LBB104_48:                             ;   in Loop: Header=BB104_44 Depth=1
	s_or_b64 exec, exec, s[14:15]
	s_waitcnt vmcnt(0)
	;;#ASMSTART
	v_pk_mul_f16 v2, v28, v2;

	;;#ASMEND
	;;#ASMSTART
	v_pk_mul_f16 v3, v27, v3;

	;;#ASMEND
	;;#ASMSTART
	v_pk_mul_f16 v4, v26, v4;

	;;#ASMEND
	;;#ASMSTART
	v_pk_mul_f16 v5, v7, v5;

	;;#ASMEND
	s_nop 0
	;;#ASMSTART
	v_pk_add_f16 v2, v2, v3;

	;;#ASMEND
	s_nop 0
	;;#ASMSTART
	v_pk_add_f16 v2, v2, v4;

	;;#ASMEND
	;; [unrolled: 5-line block ×3, first 2 shown]
	s_nop 0
	v_lshrrev_b32_e32 v3, 16, v2
	v_and_b32_e32 v2, 0xffff, v2
	;;#ASMSTART
	v_cvt_f32_f16 v31, v2;
	;;#ASMEND
	;;#ASMSTART
	v_cvt_f32_f16 v32, v3;
	;;#ASMEND
	global_load_dwordx4 v[2:5], v[20:21], off offset:2048
	s_and_saveexec_b64 s[14:15], s[0:1]
	s_cbranch_execz .LBB104_50
; %bb.49:                               ;   in Loop: Header=BB104_44 Depth=1
	v_or_b32_e32 v36, 7, v25
	v_or_b32_e32 v37, 6, v25
	s_waitcnt vmcnt(0)
	v_lshrrev_b32_e32 v38, 16, v5
	v_cmp_gt_i32_e64 s[2:3], s31, v36
	v_or_b32_e32 v34, 5, v25
	v_or_b32_e32 v35, 4, v25
	v_cndmask_b32_e64 v36, 0, v38, s[2:3]
	v_cmp_gt_i32_e64 s[2:3], s30, v37
	v_or_b32_e32 v21, 3, v25
	v_or_b32_e32 v33, 2, v25
	v_cndmask_b32_e64 v5, 0, v5, s[2:3]
	v_perm_b32 v5, v36, v5, s26
	v_lshrrev_b32_e32 v36, 16, v4
	v_cmp_gt_i32_e64 s[2:3], s24, v34
	v_add_u32_e32 v20, 1, v25
	s_nop 0
	v_cndmask_b32_e64 v34, 0, v36, s[2:3]
	v_cmp_gt_i32_e64 s[2:3], s19, v35
	s_nop 1
	v_cndmask_b32_e64 v4, 0, v4, s[2:3]
	v_perm_b32 v4, v34, v4, s26
	v_lshrrev_b32_e32 v34, 16, v3
	v_cmp_gt_i32_e64 s[2:3], s18, v21
	s_nop 1
	v_cndmask_b32_e64 v21, 0, v34, s[2:3]
	v_cmp_gt_i32_e64 s[2:3], s17, v33
	s_nop 1
	v_cndmask_b32_e64 v3, 0, v3, s[2:3]
	v_perm_b32 v3, v21, v3, s26
	v_lshrrev_b32_e32 v21, 16, v2
	v_cmp_gt_i32_e64 s[2:3], s16, v20
	s_nop 1
	v_cndmask_b32_e64 v20, 0, v21, s[2:3]
	v_cmp_gt_i32_e64 s[2:3], s25, v25
	s_nop 1
	v_cndmask_b32_e64 v2, 0, v2, s[2:3]
	v_perm_b32 v2, v20, v2, s26
.LBB104_50:                             ;   in Loop: Header=BB104_44 Depth=1
	s_or_b64 exec, exec, s[14:15]
	s_waitcnt vmcnt(0)
	;;#ASMSTART
	v_pk_mul_f16 v2, v28, v2;

	;;#ASMEND
	;;#ASMSTART
	v_pk_mul_f16 v3, v27, v3;

	;;#ASMEND
	;; [unrolled: 4-line block ×4, first 2 shown]
	v_add_f32_e32 v20, v29, v30
	;;#ASMSTART
	v_pk_add_f16 v2, v2, v3;

	;;#ASMEND
	v_add_f32_e32 v12, v12, v20
	;;#ASMSTART
	v_pk_add_f16 v2, v2, v4;

	;;#ASMEND
	v_add_f32_e32 v20, v31, v32
	;;#ASMSTART
	v_pk_add_f16 v2, v2, v5;

	;;#ASMEND
	v_add_f32_e32 v13, v13, v20
	v_lshrrev_b32_e32 v3, 16, v2
	v_and_b32_e32 v2, 0xffff, v2
	;;#ASMSTART
	v_cvt_f32_f16 v2, v2;
	;;#ASMEND
	;;#ASMSTART
	v_cvt_f32_f16 v3, v3;
	;;#ASMEND
	s_nop 0
	v_add_f32_e32 v2, v2, v3
	v_add_f32_e32 v8, v8, v2
	s_and_saveexec_b64 s[2:3], vcc
	s_cbranch_execz .LBB104_43
; %bb.51:                               ;   in Loop: Header=BB104_44 Depth=1
	v_lshl_add_u64 v[2:3], v[18:19], 0, v[10:11]
	global_load_dwordx4 v[2:5], v[2:3], off
	s_and_saveexec_b64 s[14:15], s[0:1]
	s_cbranch_execz .LBB104_42
; %bb.52:                               ;   in Loop: Header=BB104_44 Depth=1
	v_or_b32_e32 v30, 7, v25
	v_or_b32_e32 v31, 6, v25
	s_waitcnt vmcnt(0)
	v_lshrrev_b32_e32 v32, 16, v5
	v_cmp_gt_i32_e64 s[0:1], s31, v30
	v_or_b32_e32 v21, 5, v25
	v_or_b32_e32 v29, 4, v25
	v_cndmask_b32_e64 v30, 0, v32, s[0:1]
	v_cmp_gt_i32_e64 s[0:1], s30, v31
	v_or_b32_e32 v19, 3, v25
	v_or_b32_e32 v20, 2, v25
	v_cndmask_b32_e64 v5, 0, v5, s[0:1]
	v_perm_b32 v5, v30, v5, s26
	v_lshrrev_b32_e32 v30, 16, v4
	v_cmp_gt_i32_e64 s[0:1], s24, v21
	v_add_u32_e32 v18, 1, v25
	s_nop 0
	v_cndmask_b32_e64 v21, 0, v30, s[0:1]
	v_cmp_gt_i32_e64 s[0:1], s19, v29
	s_nop 1
	v_cndmask_b32_e64 v4, 0, v4, s[0:1]
	v_perm_b32 v4, v21, v4, s26
	v_lshrrev_b32_e32 v21, 16, v3
	v_cmp_gt_i32_e64 s[0:1], s18, v19
	s_nop 1
	v_cndmask_b32_e64 v19, 0, v21, s[0:1]
	v_cmp_gt_i32_e64 s[0:1], s17, v20
	s_nop 1
	v_cndmask_b32_e64 v3, 0, v3, s[0:1]
	v_perm_b32 v3, v19, v3, s26
	v_lshrrev_b32_e32 v19, 16, v2
	v_cmp_gt_i32_e64 s[0:1], s16, v18
	s_nop 1
	v_cndmask_b32_e64 v18, 0, v19, s[0:1]
	v_cmp_gt_i32_e64 s[0:1], s25, v25
	s_nop 1
	v_cndmask_b32_e64 v2, 0, v2, s[0:1]
	v_perm_b32 v2, v18, v2, s26
	s_branch .LBB104_42
.LBB104_53:
	s_or_b64 exec, exec, s[12:13]
.LBB104_54:
	s_or_b64 exec, exec, s[10:11]
	ds_bpermute_b32 v2, v22, v12
	ds_bpermute_b32 v3, v22, v13
	;; [unrolled: 1-line block ×4, first 2 shown]
	v_and_b32_e32 v1, 0x3c0, v0
	v_cmp_eq_u32_e32 vcc, 64, v1
	s_waitcnt lgkmcnt(2)
	v_pk_add_f32 v[4:5], v[12:13], v[2:3]
	s_waitcnt lgkmcnt(0)
	v_pk_add_f32 v[2:3], v[8:9], v[6:7]
	s_barrier
	s_and_saveexec_b64 s[2:3], vcc
	s_cbranch_execz .LBB104_59
; %bb.55:
	v_cmp_eq_u32_e32 vcc, 0, v23
	s_and_saveexec_b64 s[0:1], vcc
	s_cbranch_execz .LBB104_57
; %bb.56:
	v_mov_b32_e32 v1, 0x100
	v_lshl_add_u32 v1, v24, 2, v1
	ds_write2_b32 v1, v4, v5 offset1:32
	ds_write_b32 v1, v2 offset:256
.LBB104_57:
	s_or_b64 exec, exec, s[0:1]
	v_or_b32_e32 v1, 0x60, v24
	s_movk_i32 s0, 0x78
	v_cmp_gt_u32_e64 s[0:1], s0, v1
	s_and_b64 s[0:1], vcc, s[0:1]
	s_and_b64 exec, exec, s[0:1]
	s_cbranch_execz .LBB104_59
; %bb.58:
	v_mov_b32_e32 v1, 0x100
	v_lshl_add_u32 v1, v24, 2, v1
	ds_write_b32 v1, v3 offset:384
.LBB104_59:
	s_or_b64 exec, exec, s[2:3]
	v_cmp_gt_u32_e32 vcc, 64, v0
	v_lshrrev_b32_e32 v0, 1, v0
	s_waitcnt lgkmcnt(0)
	s_barrier
	s_and_saveexec_b64 s[8:9], vcc
	s_cbranch_execz .LBB104_67
; %bb.60:
	v_cmp_eq_u32_e64 s[0:1], 0, v23
	s_and_saveexec_b64 s[2:3], s[0:1]
	s_cbranch_execnz .LBB104_73
; %bb.61:
	s_or_b64 exec, exec, s[2:3]
	s_and_saveexec_b64 s[2:3], s[0:1]
	s_cbranch_execnz .LBB104_74
.LBB104_62:
	s_or_b64 exec, exec, s[2:3]
	s_and_saveexec_b64 s[2:3], s[0:1]
	s_cbranch_execz .LBB104_64
.LBB104_63:
	v_mov_b32_e32 v1, 0x100
	v_lshl_add_u32 v1, v0, 2, v1
	ds_read_b32 v1, v1 offset:256
	s_waitcnt lgkmcnt(0)
	v_add_f32_e32 v2, v2, v1
.LBB104_64:
	s_or_b64 exec, exec, s[2:3]
	v_or_b32_e32 v1, 0x60, v0
	s_movk_i32 s2, 0x78
	v_cmp_gt_u32_e64 s[2:3], s2, v1
	s_and_b64 s[2:3], s[0:1], s[2:3]
	s_and_saveexec_b64 s[0:1], s[2:3]
	s_cbranch_execz .LBB104_66
; %bb.65:
	v_mov_b32_e32 v1, 0x100
	v_lshl_add_u32 v1, v0, 2, v1
	ds_read_b32 v1, v1 offset:384
	s_waitcnt lgkmcnt(0)
	v_add_f32_e32 v3, v3, v1
.LBB104_66:
	s_or_b64 exec, exec, s[0:1]
.LBB104_67:
	s_or_b64 exec, exec, s[8:9]
	s_barrier
	s_and_saveexec_b64 s[0:1], vcc
	s_cbranch_execz .LBB104_72
; %bb.68:
	s_mul_i32 s0, s6, 0x78
	s_ashr_i32 s1, s0, 31
	s_lshl_b64 s[0:1], s[0:1], 1
	s_add_u32 s2, s22, s0
	s_mul_i32 s0, s21, s20
	s_addc_u32 s3, s23, s1
	s_ashr_i32 s1, s0, 31
	s_lshl_b64 s[0:1], s[0:1], 1
	s_add_u32 s2, s2, s0
	s_mul_i32 s0, s4, 0x78
	s_addc_u32 s3, s3, s1
	s_ashr_i32 s1, s0, 31
	s_lshl_b64 s[0:1], s[0:1], 1
	s_add_u32 s2, s2, s0
	s_movk_i32 s5, 0x78
	s_addc_u32 s3, s3, s1
	v_cmp_eq_u32_e32 vcc, 0, v23
	v_lshlrev_b32_e32 v1, 1, v0
	s_and_saveexec_b64 s[0:1], vcc
	s_cbranch_execz .LBB104_70
; %bb.69:
	;;#ASMSTART
	v_cvt_f16_f32 v4, v4;

	;;#ASMEND
	global_store_short v1, v4, s[2:3]
	;;#ASMSTART
	v_cvt_f16_f32 v4, v5;

	;;#ASMEND
	global_store_short v1, v4, s[2:3] offset:64
	;;#ASMSTART
	v_cvt_f16_f32 v2, v2;

	;;#ASMEND
	global_store_short v1, v2, s[2:3] offset:128
.LBB104_70:
	s_or_b64 exec, exec, s[0:1]
	v_or_b32_e32 v0, 0x60, v0
	v_cmp_gt_u32_e64 s[0:1], s5, v0
	s_and_b64 s[0:1], vcc, s[0:1]
	s_and_b64 exec, exec, s[0:1]
	s_cbranch_execz .LBB104_72
; %bb.71:
	;;#ASMSTART
	v_cvt_f16_f32 v0, v3;

	;;#ASMEND
	global_store_short v1, v0, s[2:3] offset:192
.LBB104_72:
	s_endpgm
.LBB104_73:
	v_mov_b32_e32 v1, 0x100
	v_lshl_add_u32 v1, v0, 2, v1
	ds_read_b32 v1, v1
	s_waitcnt lgkmcnt(0)
	v_add_f32_e32 v4, v4, v1
	s_or_b64 exec, exec, s[2:3]
	s_and_saveexec_b64 s[2:3], s[0:1]
	s_cbranch_execz .LBB104_62
.LBB104_74:
	v_mov_b32_e32 v1, 0x100
	v_lshl_add_u32 v1, v0, 2, v1
	ds_read_b32 v1, v1 offset:128
	s_waitcnt lgkmcnt(0)
	v_add_f32_e32 v5, v5, v1
	s_or_b64 exec, exec, s[2:3]
	s_and_saveexec_b64 s[2:3], s[0:1]
	s_cbranch_execnz .LBB104_63
	s_branch .LBB104_64
	.section	.rodata,"a",@progbits
	.p2align	6, 0x0
	.amdhsa_kernel _ZN4vllm25paged_attention_v2_kernelIttLi120ELi16ELi128ELNS_18Fp8KVCacheDataTypeE0ELb0ELi512EEEvPfS2_PT_PKS3_PKT0_S9_ifPKiSB_iPKfiiiSD_SD_iiiii
		.amdhsa_group_segment_fixed_size 256
		.amdhsa_private_segment_fixed_size 0
		.amdhsa_kernarg_size 400
		.amdhsa_user_sgpr_count 2
		.amdhsa_user_sgpr_dispatch_ptr 0
		.amdhsa_user_sgpr_queue_ptr 0
		.amdhsa_user_sgpr_kernarg_segment_ptr 1
		.amdhsa_user_sgpr_dispatch_id 0
		.amdhsa_user_sgpr_kernarg_preload_length 0
		.amdhsa_user_sgpr_kernarg_preload_offset 0
		.amdhsa_user_sgpr_private_segment_size 0
		.amdhsa_uses_dynamic_stack 0
		.amdhsa_enable_private_segment 0
		.amdhsa_system_sgpr_workgroup_id_x 1
		.amdhsa_system_sgpr_workgroup_id_y 1
		.amdhsa_system_sgpr_workgroup_id_z 1
		.amdhsa_system_sgpr_workgroup_info 0
		.amdhsa_system_vgpr_workitem_id 0
		.amdhsa_next_free_vgpr 66
		.amdhsa_next_free_sgpr 42
		.amdhsa_accum_offset 68
		.amdhsa_reserve_vcc 1
		.amdhsa_float_round_mode_32 0
		.amdhsa_float_round_mode_16_64 0
		.amdhsa_float_denorm_mode_32 3
		.amdhsa_float_denorm_mode_16_64 3
		.amdhsa_dx10_clamp 1
		.amdhsa_ieee_mode 1
		.amdhsa_fp16_overflow 0
		.amdhsa_tg_split 0
		.amdhsa_exception_fp_ieee_invalid_op 0
		.amdhsa_exception_fp_denorm_src 0
		.amdhsa_exception_fp_ieee_div_zero 0
		.amdhsa_exception_fp_ieee_overflow 0
		.amdhsa_exception_fp_ieee_underflow 0
		.amdhsa_exception_fp_ieee_inexact 0
		.amdhsa_exception_int_div_zero 0
	.end_amdhsa_kernel
	.section	.text._ZN4vllm25paged_attention_v2_kernelIttLi120ELi16ELi128ELNS_18Fp8KVCacheDataTypeE0ELb0ELi512EEEvPfS2_PT_PKS3_PKT0_S9_ifPKiSB_iPKfiiiSD_SD_iiiii,"axG",@progbits,_ZN4vllm25paged_attention_v2_kernelIttLi120ELi16ELi128ELNS_18Fp8KVCacheDataTypeE0ELb0ELi512EEEvPfS2_PT_PKS3_PKT0_S9_ifPKiSB_iPKfiiiSD_SD_iiiii,comdat
.Lfunc_end104:
	.size	_ZN4vllm25paged_attention_v2_kernelIttLi120ELi16ELi128ELNS_18Fp8KVCacheDataTypeE0ELb0ELi512EEEvPfS2_PT_PKS3_PKT0_S9_ifPKiSB_iPKfiiiSD_SD_iiiii, .Lfunc_end104-_ZN4vllm25paged_attention_v2_kernelIttLi120ELi16ELi128ELNS_18Fp8KVCacheDataTypeE0ELb0ELi512EEEvPfS2_PT_PKS3_PKT0_S9_ifPKiSB_iPKfiiiSD_SD_iiiii
                                        ; -- End function
	.section	.AMDGPU.csdata,"",@progbits
; Kernel info:
; codeLenInByte = 6476
; NumSgprs: 48
; NumVgprs: 66
; NumAgprs: 0
; TotalNumVgprs: 66
; ScratchSize: 0
; MemoryBound: 0
; FloatMode: 240
; IeeeMode: 1
; LDSByteSize: 256 bytes/workgroup (compile time only)
; SGPRBlocks: 5
; VGPRBlocks: 8
; NumSGPRsForWavesPerEU: 48
; NumVGPRsForWavesPerEU: 66
; AccumOffset: 68
; Occupancy: 7
; WaveLimiterHint : 1
; COMPUTE_PGM_RSRC2:SCRATCH_EN: 0
; COMPUTE_PGM_RSRC2:USER_SGPR: 2
; COMPUTE_PGM_RSRC2:TRAP_HANDLER: 0
; COMPUTE_PGM_RSRC2:TGID_X_EN: 1
; COMPUTE_PGM_RSRC2:TGID_Y_EN: 1
; COMPUTE_PGM_RSRC2:TGID_Z_EN: 1
; COMPUTE_PGM_RSRC2:TIDIG_COMP_CNT: 0
; COMPUTE_PGM_RSRC3_GFX90A:ACCUM_OFFSET: 16
; COMPUTE_PGM_RSRC3_GFX90A:TG_SPLIT: 0
	.section	.text._ZN4vllm25paged_attention_v2_kernelIttLi128ELi16ELi128ELNS_18Fp8KVCacheDataTypeE0ELb0ELi512EEEvPfS2_PT_PKS3_PKT0_S9_ifPKiSB_iPKfiiiSD_SD_iiiii,"axG",@progbits,_ZN4vllm25paged_attention_v2_kernelIttLi128ELi16ELi128ELNS_18Fp8KVCacheDataTypeE0ELb0ELi512EEEvPfS2_PT_PKS3_PKT0_S9_ifPKiSB_iPKfiiiSD_SD_iiiii,comdat
	.protected	_ZN4vllm25paged_attention_v2_kernelIttLi128ELi16ELi128ELNS_18Fp8KVCacheDataTypeE0ELb0ELi512EEEvPfS2_PT_PKS3_PKT0_S9_ifPKiSB_iPKfiiiSD_SD_iiiii ; -- Begin function _ZN4vllm25paged_attention_v2_kernelIttLi128ELi16ELi128ELNS_18Fp8KVCacheDataTypeE0ELb0ELi512EEEvPfS2_PT_PKS3_PKT0_S9_ifPKiSB_iPKfiiiSD_SD_iiiii
	.globl	_ZN4vllm25paged_attention_v2_kernelIttLi128ELi16ELi128ELNS_18Fp8KVCacheDataTypeE0ELb0ELi512EEEvPfS2_PT_PKS3_PKT0_S9_ifPKiSB_iPKfiiiSD_SD_iiiii
	.p2align	8
	.type	_ZN4vllm25paged_attention_v2_kernelIttLi128ELi16ELi128ELNS_18Fp8KVCacheDataTypeE0ELb0ELi512EEEvPfS2_PT_PKS3_PKT0_S9_ifPKiSB_iPKfiiiSD_SD_iiiii,@function
_ZN4vllm25paged_attention_v2_kernelIttLi128ELi16ELi128ELNS_18Fp8KVCacheDataTypeE0ELb0ELi512EEEvPfS2_PT_PKS3_PKT0_S9_ifPKiSB_iPKfiiiSD_SD_iiiii: ; @_ZN4vllm25paged_attention_v2_kernelIttLi128ELi16ELi128ELNS_18Fp8KVCacheDataTypeE0ELb0ELi512EEEvPfS2_PT_PKS3_PKT0_S9_ifPKiSB_iPKfiiiSD_SD_iiiii
; %bb.0:
	s_load_dwordx2 s[6:7], s[0:1], 0x40
	s_mov_b32 s26, s3
	s_ashr_i32 s27, s3, 31
	s_lshl_b64 s[8:9], s[26:27], 2
	s_waitcnt lgkmcnt(0)
	s_add_u32 s6, s6, s8
	s_addc_u32 s7, s7, s9
	s_load_dword s27, s[6:7], 0x0
	s_lshl_b32 s33, s4, 9
	s_waitcnt lgkmcnt(0)
	s_cmp_ge_i32 s33, s27
	s_cbranch_scc1 .LBB105_63
; %bb.1:
	s_load_dword s5, s[0:1], 0x90
	s_load_dwordx2 s[12:13], s[0:1], 0x30
	s_waitcnt lgkmcnt(0)
	s_abs_i32 s7, s5
	s_abs_i32 s3, s12
	v_cvt_f32_u32_e32 v1, s3
	s_sub_i32 s8, 0, s3
	s_xor_b32 s6, s5, s12
	s_ashr_i32 s6, s6, 31
	v_rcp_iflag_f32_e32 v1, v1
	s_mov_b32 s12, 0
	v_mul_f32_e32 v1, 0x4f7ffffe, v1
	v_cvt_u32_f32_e32 v1, v1
	s_nop 0
	v_readfirstlane_b32 s9, v1
	s_mul_i32 s8, s8, s9
	s_mul_hi_u32 s8, s9, s8
	s_add_i32 s9, s9, s8
	s_mul_hi_u32 s8, s7, s9
	s_mul_i32 s9, s8, s3
	s_sub_i32 s7, s7, s9
	s_add_i32 s10, s8, 1
	s_sub_i32 s9, s7, s3
	s_cmp_ge_u32 s7, s3
	s_cselect_b32 s8, s10, s8
	s_cselect_b32 s7, s9, s7
	s_add_i32 s9, s8, 1
	s_cmp_ge_u32 s7, s3
	s_cselect_b32 s3, s9, s8
	s_xor_b32 s3, s3, s6
	s_sub_i32 s10, s3, s6
	s_abs_i32 s8, s10
	v_cvt_f32_u32_e32 v1, s8
	s_load_dwordx2 s[6:7], s[0:1], 0x50
	s_sub_i32 s3, 0, s8
	s_abs_i32 s9, s2
	v_rcp_iflag_f32_e32 v1, v1
	s_nop 0
	v_mul_f32_e32 v1, 0x4f7ffffe, v1
	v_cvt_u32_f32_e32 v1, v1
	s_nop 0
	v_readfirstlane_b32 s11, v1
	s_mul_i32 s3, s3, s11
	s_mul_hi_u32 s3, s11, s3
	s_add_i32 s11, s11, s3
	s_waitcnt lgkmcnt(0)
	s_cmp_eq_u64 s[6:7], 0
	s_mul_hi_u32 s20, s9, s11
	s_cbranch_scc1 .LBB105_3
; %bb.2:
	s_ashr_i32 s3, s2, 31
	s_lshl_b64 s[14:15], s[2:3], 2
	s_add_u32 s6, s6, s14
	s_addc_u32 s7, s7, s15
	s_load_dword s12, s[6:7], 0x0
.LBB105_3:
	s_load_dwordx4 s[16:19], s[0:1], 0x58
	s_ashr_i32 s21, s2, 31
	s_waitcnt lgkmcnt(0)
	s_ashr_i32 s19, s10, 31
	v_and_b32_e32 v4, 3, v0
	s_lshl_b32 s14, s2, 7
	v_cmp_gt_u32_e64 s[10:11], 64, v0
	s_and_saveexec_b64 s[6:7], s[10:11]
	s_cbranch_execz .LBB105_5
; %bb.4:
	s_load_dwordx2 s[22:23], s[0:1], 0x18
	s_mul_i32 s24, s26, s16
	s_ashr_i32 s25, s24, 31
	s_lshl_b64 s[24:25], s[24:25], 1
	v_lshlrev_b32_e32 v1, 2, v0
	s_waitcnt lgkmcnt(0)
	s_add_u32 s3, s22, s24
	s_addc_u32 s16, s23, s25
	s_ashr_i32 s15, s14, 31
	s_lshl_b64 s[22:23], s[14:15], 1
	s_add_u32 s22, s3, s22
	s_addc_u32 s23, s16, s23
	global_load_dword v1, v1, s[22:23]
	v_and_b32_e32 v2, 0x3fc, v0
	v_lshl_add_u32 v2, v4, 6, v2
	s_waitcnt vmcnt(0)
	ds_write_b32 v2, v1
.LBB105_5:
	s_or_b64 exec, exec, s[6:7]
	s_add_i32 s3, s27, 15
	s_ashr_i32 s6, s3, 31
	s_lshr_b32 s6, s6, 28
	s_add_i32 s3, s3, s6
	s_ashr_i32 s42, s3, 4
	s_lshl_b32 s3, s4, 5
	s_mul_i32 s7, s20, s8
	s_add_i32 s6, s3, 32
	s_sub_i32 s7, s9, s7
	s_min_i32 s16, s6, s42
	s_xor_b32 s6, s21, s19
	s_add_i32 s9, s20, 1
	s_sub_i32 s15, s7, s8
	s_cmp_ge_u32 s7, s8
	s_cselect_b32 s9, s9, s20
	s_cselect_b32 s7, s15, s7
	s_add_i32 s15, s9, 1
	s_cmp_ge_u32 s7, s8
	s_load_dwordx2 s[28:29], s[0:1], 0x38
	s_load_dword s8, s[0:1], 0x48
	v_lshrrev_b32_e32 v1, 6, v0
	s_cselect_b32 s7, s15, s9
	s_xor_b32 s7, s7, s6
	v_or_b32_e32 v6, s3, v1
	s_waitcnt lgkmcnt(0)
	s_mul_i32 s30, s26, s8
	s_sub_i32 s19, s7, s6
	s_ashr_i32 s31, s30, 31
	v_cmp_gt_i32_e64 s[6:7], s16, v6
	v_cmp_le_i32_e32 vcc, s16, v6
	v_mbcnt_lo_u32_b32 v8, -1, 0
	s_barrier
	s_waitcnt lgkmcnt(0)
                                        ; implicit-def: $sgpr38
                                        ; implicit-def: $vgpr10
                                        ; implicit-def: $vgpr11
	s_and_saveexec_b64 s[8:9], vcc
	s_xor_b64 s[8:9], exec, s[8:9]
; %bb.6:
	v_mbcnt_hi_u32_b32 v10, -1, v8
	v_and_b32_e32 v2, 64, v10
	v_add_u32_e32 v11, 64, v2
	s_mov_b32 s38, 0xff7fffff
                                        ; implicit-def: $vgpr4
                                        ; implicit-def: $vgpr8
; %bb.7:
	s_or_saveexec_b64 s[36:37], s[8:9]
	s_load_dwordx4 s[20:23], s[0:1], 0x0
	s_load_dwordx2 s[24:25], s[0:1], 0x10
	s_load_dwordx2 s[34:35], s[0:1], 0x28
	s_load_dword s15, s[0:1], 0x98
	v_mov_b32_e32 v12, s38
	s_mul_i32 s18, s19, s18
	v_ashrrev_i32_e32 v7, 31, v6
	v_lshlrev_b32_e32 v14, 4, v1
	s_xor_b64 exec, exec, s[36:37]
	s_cbranch_execz .LBB105_13
; %bb.8:
	s_load_dwordx2 s[0:1], s[0:1], 0x20
	s_ashr_i32 s19, s18, 31
	s_lshl_b64 s[8:9], s[18:19], 1
	v_bfe_u32 v5, v0, 2, 4
	v_lshlrev_b32_e32 v2, 4, v5
	s_waitcnt lgkmcnt(0)
	s_add_u32 s0, s0, s8
	s_addc_u32 s1, s1, s9
	v_mov_b32_e32 v3, 0
	v_lshl_add_u64 v[10:11], s[0:1], 0, v[2:3]
	v_lshlrev_b32_e32 v2, 2, v0
	v_and_b32_e32 v2, 12, v2
	s_sub_i32 s19, 1, s27
	s_lshl_b64 s[0:1], s[30:31], 2
	v_lshl_add_u64 v[2:3], v[10:11], 0, v[2:3]
	v_lshlrev_b32_e32 v13, 6, v4
	v_cmp_eq_u32_e32 vcc, 0, v4
	v_lshlrev_b32_e32 v4, 2, v5
	s_add_u32 s0, s28, s0
	v_mbcnt_hi_u32_b32 v10, -1, v8
	v_lshl_or_b32 v4, v1, 6, v4
	s_addc_u32 s1, s29, s1
	v_and_b32_e32 v8, 64, v10
	s_mov_b32 s43, s17
	v_cmp_neq_f32_e64 s[8:9], s12, 0
	v_add3_u32 v15, s33, v14, v5
	v_add_u32_e32 v16, 0x110, v4
	v_lshl_add_u64 v[4:5], v[6:7], 2, s[0:1]
	s_mov_b64 s[38:39], 0
	v_mov_b32_e32 v12, 0xff7fffff
	v_add_u32_e32 v11, 64, v8
	v_xor_b32_e32 v17, 2, v10
	v_xor_b32_e32 v18, 1, v10
	v_mov_b32_e32 v19, v6
	s_branch .LBB105_10
.LBB105_9:                              ;   in Loop: Header=BB105_10 Depth=1
	s_or_b64 exec, exec, s[40:41]
	v_add_u32_e32 v19, 2, v19
	v_cmp_le_i32_e64 s[0:1], s16, v19
	v_add_u32_e32 v15, 32, v15
	v_add_u32_e32 v16, 0x80, v16
	s_or_b64 s[38:39], s[0:1], s[38:39]
	v_lshl_add_u64 v[4:5], v[4:5], 0, 8
	s_andn2_b64 exec, exec, s[38:39]
	s_cbranch_execz .LBB105_12
.LBB105_10:                             ; =>This Inner Loop Header: Depth=1
	global_load_dword v8, v[4:5], off
	s_waitcnt vmcnt(0) lgkmcnt(0)
	v_mad_i64_i32 v[8:9], s[0:1], v8, s43, 0
	v_lshl_add_u64 v[8:9], v[8:9], 1, v[2:3]
	global_load_dword v28, v[8:9], off
	global_load_dword v29, v[8:9], off offset:256
	global_load_dword v30, v[8:9], off offset:512
	;; [unrolled: 1-line block ×12, first 2 shown]
	ds_read_b32 v34, v13
	global_load_dword v20, v[8:9], off offset:3328
	global_load_dword v36, v[8:9], off offset:3584
	v_cmp_lt_i32_e64 s[0:1], v17, v11
	global_load_dword v8, v[8:9], off offset:3840
	s_waitcnt lgkmcnt(0)
	v_lshrrev_b32_e32 v37, 16, v34
	v_and_b32_e32 v34, 0xffff, v34
	;;#ASMSTART
	v_cvt_f32_f16 v9, v34;
	;;#ASMEND
	;;#ASMSTART
	v_cvt_f32_f16 v34, v37;
	;;#ASMEND
	v_cndmask_b32_e64 v35, v10, v17, s[0:1]
	v_lshlrev_b32_e32 v35, 2, v35
	v_cmp_lt_i32_e64 s[0:1], v18, v11
	s_waitcnt vmcnt(15)
	v_lshrrev_b32_e32 v37, 16, v28
	v_and_b32_e32 v28, 0xffff, v28
	;;#ASMSTART
	v_cvt_f32_f16 v28, v28;
	;;#ASMEND
	;;#ASMSTART
	v_cvt_f32_f16 v37, v37;
	;;#ASMEND
	ds_read_b32 v38, v13 offset:4
	s_waitcnt vmcnt(14)
	v_lshrrev_b32_e32 v39, 16, v29
	v_and_b32_e32 v29, 0xffff, v29
	s_waitcnt vmcnt(13)
	v_lshrrev_b32_e32 v40, 16, v30
	v_and_b32_e32 v30, 0xffff, v30
	s_waitcnt lgkmcnt(0)
	v_lshrrev_b32_e32 v41, 16, v38
	v_and_b32_e32 v38, 0xffff, v38
	;;#ASMSTART
	v_cvt_f32_f16 v38, v38;
	;;#ASMEND
	;;#ASMSTART
	v_cvt_f32_f16 v41, v41;
	;;#ASMEND
	;;#ASMSTART
	v_cvt_f32_f16 v29, v29;
	;;#ASMEND
	;;#ASMSTART
	v_cvt_f32_f16 v39, v39;
	;;#ASMEND
	ds_read_b32 v42, v13 offset:8
	s_waitcnt vmcnt(12)
	v_lshrrev_b32_e32 v43, 16, v31
	v_and_b32_e32 v31, 0xffff, v31
	s_waitcnt vmcnt(11)
	v_lshrrev_b32_e32 v44, 16, v32
	v_and_b32_e32 v32, 0xffff, v32
	s_waitcnt lgkmcnt(0)
	v_lshrrev_b32_e32 v45, 16, v42
	v_and_b32_e32 v42, 0xffff, v42
	;;#ASMSTART
	v_cvt_f32_f16 v42, v42;
	;;#ASMEND
	;;#ASMSTART
	v_cvt_f32_f16 v45, v45;
	;;#ASMEND
	;; [unrolled: 22-line block ×4, first 2 shown]
	;;#ASMSTART
	v_cvt_f32_f16 v32, v32;
	;;#ASMEND
	;;#ASMSTART
	v_cvt_f32_f16 v44, v44;
	;;#ASMEND
	ds_read_b32 v54, v13 offset:20
	v_mul_f32_e32 v29, v38, v29
	v_mul_f32_e32 v38, v41, v39
	s_waitcnt vmcnt(6)
	v_lshrrev_b32_e32 v55, 16, v24
	v_and_b32_e32 v24, 0xffff, v24
	s_waitcnt lgkmcnt(0)
	v_lshrrev_b32_e32 v57, 16, v54
	v_and_b32_e32 v54, 0xffff, v54
	;;#ASMSTART
	v_cvt_f32_f16 v54, v54;
	;;#ASMEND
	;;#ASMSTART
	v_cvt_f32_f16 v57, v57;
	;;#ASMEND
	;; [unrolled: 3-line block ×4, first 2 shown]
	ds_read_b32 v58, v13 offset:24
	v_fmac_f32_e32 v29, v9, v28
	v_fmac_f32_e32 v38, v34, v37
	;; [unrolled: 1-line block ×4, first 2 shown]
	s_waitcnt lgkmcnt(0)
	v_lshrrev_b32_e32 v61, 16, v58
	v_and_b32_e32 v58, 0xffff, v58
	;;#ASMSTART
	v_cvt_f32_f16 v58, v58;
	;;#ASMEND
	;;#ASMSTART
	v_cvt_f32_f16 v61, v61;
	;;#ASMEND
	;;#ASMSTART
	v_cvt_f32_f16 v27, v27;
	;;#ASMEND
	;;#ASMSTART
	v_cvt_f32_f16 v48, v48;
	;;#ASMEND
	ds_read_b32 v62, v13 offset:28
	s_waitcnt vmcnt(5)
	v_lshrrev_b32_e32 v56, 16, v23
	v_and_b32_e32 v23, 0xffff, v23
	v_fmac_f32_e32 v29, v50, v32
	v_fmac_f32_e32 v29, v54, v33
	s_waitcnt lgkmcnt(0)
	v_lshrrev_b32_e32 v65, 16, v62
	v_and_b32_e32 v62, 0xffff, v62
	;;#ASMSTART
	v_cvt_f32_f16 v62, v62;
	;;#ASMEND
	;;#ASMSTART
	v_cvt_f32_f16 v65, v65;
	;;#ASMEND
	;; [unrolled: 3-line block ×4, first 2 shown]
	ds_read_b32 v66, v13 offset:32
	s_waitcnt vmcnt(4)
	v_lshrrev_b32_e32 v59, 16, v22
	v_and_b32_e32 v22, 0xffff, v22
	v_fmac_f32_e32 v29, v58, v27
	v_fmac_f32_e32 v38, v45, v40
	s_waitcnt lgkmcnt(0)
	v_lshrrev_b32_e32 v39, 16, v66
	v_and_b32_e32 v41, 0xffff, v66
	;;#ASMSTART
	v_cvt_f32_f16 v41, v41;
	;;#ASMEND
	;;#ASMSTART
	v_cvt_f32_f16 v39, v39;
	;;#ASMEND
	;;#ASMSTART
	v_cvt_f32_f16 v25, v25;
	;;#ASMEND
	;;#ASMSTART
	v_cvt_f32_f16 v52, v52;
	;;#ASMEND
	ds_read_b32 v66, v13 offset:36
	v_fmac_f32_e32 v38, v49, v43
	v_fmac_f32_e32 v38, v53, v44
	;; [unrolled: 1-line block ×4, first 2 shown]
	s_waitcnt lgkmcnt(0)
	v_lshrrev_b32_e32 v9, 16, v66
	v_and_b32_e32 v28, 0xffff, v66
	;;#ASMSTART
	v_cvt_f32_f16 v28, v28;
	;;#ASMEND
	;;#ASMSTART
	v_cvt_f32_f16 v9, v9;
	;;#ASMEND
	;; [unrolled: 3-line block ×4, first 2 shown]
	ds_read_b32 v34, v13 offset:40
	v_fmac_f32_e32 v29, v62, v26
	s_waitcnt vmcnt(3)
	v_lshrrev_b32_e32 v60, 16, v21
	v_and_b32_e32 v21, 0xffff, v21
	v_fmac_f32_e32 v38, v65, v51
	s_waitcnt lgkmcnt(0)
	v_lshrrev_b32_e32 v31, 16, v34
	v_and_b32_e32 v32, 0xffff, v34
	;;#ASMSTART
	v_cvt_f32_f16 v32, v32;
	;;#ASMEND
	;;#ASMSTART
	v_cvt_f32_f16 v31, v31;
	;;#ASMEND
	;; [unrolled: 3-line block ×4, first 2 shown]
	ds_read_b32 v37, v13 offset:44
	v_fmac_f32_e32 v29, v41, v25
	v_fmac_f32_e32 v38, v39, v52
	;; [unrolled: 1-line block ×3, first 2 shown]
	s_waitcnt vmcnt(2)
	v_lshrrev_b32_e32 v63, 16, v20
	s_waitcnt lgkmcnt(0)
	v_lshrrev_b32_e32 v27, 16, v37
	v_and_b32_e32 v33, 0xffff, v37
	;;#ASMSTART
	v_cvt_f32_f16 v33, v33;
	;;#ASMEND
	;;#ASMSTART
	v_cvt_f32_f16 v27, v27;
	;;#ASMEND
	;; [unrolled: 3-line block ×4, first 2 shown]
	ds_read_b32 v40, v13 offset:48
	v_and_b32_e32 v20, 0xffff, v20
	v_fmac_f32_e32 v38, v9, v30
	v_fmac_f32_e32 v29, v32, v23
	;; [unrolled: 1-line block ×3, first 2 shown]
	s_waitcnt lgkmcnt(0)
	v_lshrrev_b32_e32 v25, 16, v40
	v_and_b32_e32 v26, 0xffff, v40
	;;#ASMSTART
	v_cvt_f32_f16 v26, v26;
	;;#ASMEND
	;;#ASMSTART
	v_cvt_f32_f16 v25, v25;
	;;#ASMEND
	;; [unrolled: 3-line block ×4, first 2 shown]
	ds_read_b32 v40, v13 offset:52
	v_fmac_f32_e32 v29, v33, v22
	v_fmac_f32_e32 v38, v27, v37
	v_fmac_f32_e32 v29, v26, v21
	s_waitcnt vmcnt(1)
	v_lshrrev_b32_e32 v64, 16, v36
	s_waitcnt lgkmcnt(0)
	v_lshrrev_b32_e32 v9, 16, v40
	v_and_b32_e32 v23, 0xffff, v40
	;;#ASMSTART
	v_cvt_f32_f16 v23, v23;
	;;#ASMEND
	;;#ASMSTART
	v_cvt_f32_f16 v9, v9;
	;;#ASMEND
	;; [unrolled: 3-line block ×4, first 2 shown]
	ds_read_b32 v28, v13 offset:56
	v_and_b32_e32 v36, 0xffff, v36
	v_fmac_f32_e32 v38, v25, v39
	v_fmac_f32_e32 v29, v23, v20
	;; [unrolled: 1-line block ×3, first 2 shown]
	s_waitcnt lgkmcnt(0)
	v_lshrrev_b32_e32 v21, 16, v28
	v_and_b32_e32 v22, 0xffff, v28
	;;#ASMSTART
	v_cvt_f32_f16 v22, v22;
	;;#ASMEND
	;;#ASMSTART
	v_cvt_f32_f16 v21, v21;
	;;#ASMEND
	;; [unrolled: 3-line block ×4, first 2 shown]
	ds_read_b32 v27, v13 offset:60
	s_waitcnt vmcnt(0)
	v_lshrrev_b32_e32 v67, 16, v8
	v_and_b32_e32 v8, 0xffff, v8
	v_fmac_f32_e32 v29, v22, v25
	v_fmac_f32_e32 v38, v21, v26
	s_waitcnt lgkmcnt(0)
	v_lshrrev_b32_e32 v9, 16, v27
	v_and_b32_e32 v20, 0xffff, v27
	;;#ASMSTART
	v_cvt_f32_f16 v20, v20;
	;;#ASMEND
	;;#ASMSTART
	v_cvt_f32_f16 v9, v9;
	;;#ASMEND
	;; [unrolled: 3-line block ×4, first 2 shown]
	s_nop 0
	v_fmac_f32_e32 v29, v20, v8
	v_fmac_f32_e32 v38, v9, v21
	v_add_f32_e32 v8, v29, v38
	ds_bpermute_b32 v9, v35, v8
	v_cndmask_b32_e64 v20, v10, v18, s[0:1]
	s_waitcnt lgkmcnt(0)
	v_add_f32_e32 v8, v8, v9
	v_lshlrev_b32_e32 v9, 2, v20
	ds_bpermute_b32 v9, v9, v8
	s_and_saveexec_b64 s[40:41], vcc
	s_cbranch_execz .LBB105_9
; %bb.11:                               ;   in Loop: Header=BB105_10 Depth=1
	v_add_u32_e32 v20, s19, v15
	v_cvt_f32_i32_e32 v20, v20
	s_waitcnt lgkmcnt(0)
	v_add_f32_e32 v8, v8, v9
	v_cmp_gt_i32_e64 s[0:1], s27, v15
	v_max_f32_e32 v9, v12, v12
	v_mul_f32_e32 v20, s12, v20
	v_cndmask_b32_e64 v20, 0, v20, s[8:9]
	v_fmac_f32_e32 v20, s13, v8
	v_cndmask_b32_e64 v8, 0, v20, s[0:1]
	ds_write_b32 v16, v8
	v_max_f32_e32 v8, v9, v20
	v_cndmask_b32_e64 v12, v12, v8, s[0:1]
	s_branch .LBB105_9
.LBB105_12:
	s_or_b64 exec, exec, s[38:39]
.LBB105_13:
	s_or_b64 exec, exec, s[36:37]
	v_xor_b32_e32 v2, 32, v10
	v_cmp_lt_i32_e32 vcc, v2, v11
	v_xor_b32_e32 v5, 16, v10
	v_max_f32_e32 v4, v12, v12
	v_cndmask_b32_e32 v2, v10, v2, vcc
	v_lshlrev_b32_e32 v2, 2, v2
	ds_bpermute_b32 v3, v2, v12
	v_cmp_lt_i32_e32 vcc, v5, v11
	v_xor_b32_e32 v8, 8, v10
	v_and_b32_e32 v18, 63, v0
	s_waitcnt lgkmcnt(0)
	v_max_f32_e32 v3, v3, v3
	v_max_f32_e32 v4, v4, v3
	v_cndmask_b32_e32 v3, v10, v5, vcc
	v_lshlrev_b32_e32 v3, 2, v3
	ds_bpermute_b32 v5, v3, v4
	v_cmp_lt_i32_e32 vcc, v8, v11
	s_waitcnt lgkmcnt(0)
	v_max_f32_e32 v5, v5, v5
	v_max_f32_e32 v4, v4, v5
	v_cndmask_b32_e32 v5, v10, v8, vcc
	v_lshlrev_b32_e32 v9, 2, v5
	ds_bpermute_b32 v5, v9, v4
	v_xor_b32_e32 v8, 4, v10
	v_cmp_lt_i32_e32 vcc, v8, v11
	s_waitcnt lgkmcnt(0)
	v_max_f32_e32 v5, v5, v5
	v_max_f32_e32 v4, v4, v5
	v_cndmask_b32_e32 v5, v10, v8, vcc
	v_lshlrev_b32_e32 v12, 2, v5
	ds_bpermute_b32 v8, v12, v4
	v_cmp_eq_u32_e32 vcc, 0, v18
	v_lshlrev_b32_e32 v5, 2, v1
	s_and_saveexec_b64 s[0:1], vcc
	s_cbranch_execz .LBB105_15
; %bb.14:
	s_waitcnt lgkmcnt(0)
	v_max_f32_e32 v8, v8, v8
	v_max_f32_e32 v4, v4, v4
	;; [unrolled: 1-line block ×3, first 2 shown]
	ds_write_b32 v5, v4 offset:256
.LBB105_15:
	s_or_b64 exec, exec, s[0:1]
	v_cmp_gt_u32_e64 s[0:1], 2, v18
	v_mov_b32_e32 v4, 0xff7fffff
	s_waitcnt lgkmcnt(0)
	v_lshlrev_b32_e32 v8, 2, v18
	s_barrier
	s_and_saveexec_b64 s[8:9], s[0:1]
	s_cbranch_execz .LBB105_17
; %bb.16:
	ds_read_b32 v4, v8 offset:256
.LBB105_17:
	s_or_b64 exec, exec, s[8:9]
	v_xor_b32_e32 v13, 1, v10
	v_cmp_lt_i32_e64 s[8:9], v13, v11
	s_sub_i32 s3, s16, s3
	s_lshl_b32 s3, s3, 4
	v_cndmask_b32_e64 v13, v10, v13, s[8:9]
	v_lshlrev_b32_e32 v19, 2, v13
	s_waitcnt lgkmcnt(0)
	ds_bpermute_b32 v13, v19, v4
	v_max_f32_e32 v4, v4, v4
	s_add_i32 s3, s3, s33
	s_min_i32 s19, s3, s27
	s_sub_i32 s3, s19, s33
	s_waitcnt lgkmcnt(0)
	v_max_f32_e32 v13, v13, v13
	v_max_f32_e32 v4, v4, v13
	v_lshlrev_b32_e32 v13, 2, v10
	v_and_b32_e32 v13, 0xffffff00, v13
	ds_bpermute_b32 v4, v13, v4
	v_cmp_gt_i32_e64 s[8:9], s3, v0
	v_mov_b32_e32 v15, 0
	s_and_saveexec_b64 s[36:37], s[8:9]
	s_cbranch_execz .LBB105_21
; %bb.18:
	v_mov_b32_e32 v15, 0x110
	v_lshl_add_u32 v16, v0, 2, v15
	s_mov_b64 s[38:39], 0
	v_mov_b32_e32 v15, 0
	v_mov_b32_e32 v17, v0
.LBB105_19:                             ; =>This Inner Loop Header: Depth=1
	ds_read_b32 v20, v16
	v_add_u32_e32 v17, 0x80, v17
	v_cmp_le_i32_e64 s[12:13], s3, v17
	s_or_b64 s[38:39], s[12:13], s[38:39]
	s_waitcnt lgkmcnt(0)
	v_sub_f32_e32 v20, v20, v4
	v_mul_f32_e32 v20, 0x3fb8aa3b, v20
	v_exp_f32_e32 v20, v20
	ds_write_b32 v16, v20
	v_add_f32_e32 v15, v15, v20
	v_add_u32_e32 v16, 0x200, v16
	s_andn2_b64 exec, exec, s[38:39]
	s_cbranch_execnz .LBB105_19
; %bb.20:
	s_or_b64 exec, exec, s[38:39]
.LBB105_21:
	s_or_b64 exec, exec, s[36:37]
	ds_bpermute_b32 v2, v2, v15
	s_waitcnt lgkmcnt(0)
	v_add_f32_e32 v2, v15, v2
	ds_bpermute_b32 v3, v3, v2
	s_waitcnt lgkmcnt(0)
	v_add_f32_e32 v2, v2, v3
	ds_bpermute_b32 v3, v9, v2
	v_xor_b32_e32 v9, 2, v10
	v_cmp_lt_i32_e64 s[12:13], v9, v11
	s_waitcnt lgkmcnt(0)
	v_add_f32_e32 v2, v2, v3
	ds_bpermute_b32 v3, v12, v2
	v_cndmask_b32_e64 v9, v10, v9, s[12:13]
	s_waitcnt lgkmcnt(0)
	v_add_f32_e32 v2, v2, v3
	v_lshlrev_b32_e32 v3, 2, v9
	ds_bpermute_b32 v3, v3, v2
	s_waitcnt lgkmcnt(0)
	v_add_f32_e32 v2, v2, v3
	ds_bpermute_b32 v3, v19, v2
	s_waitcnt lgkmcnt(0)
	v_add_f32_e32 v2, v2, v3
	s_and_saveexec_b64 s[12:13], vcc
	s_cbranch_execz .LBB105_23
; %bb.22:
	ds_write_b32 v5, v2 offset:264
.LBB105_23:
	s_or_b64 exec, exec, s[12:13]
	s_waitcnt lgkmcnt(0)
	s_barrier
	s_and_saveexec_b64 s[12:13], s[0:1]
	s_cbranch_execz .LBB105_25
; %bb.24:
	ds_read_b32 v2, v8 offset:264
.LBB105_25:
	s_or_b64 exec, exec, s[12:13]
	s_waitcnt lgkmcnt(0)
	ds_bpermute_b32 v3, v19, v2
	s_waitcnt lgkmcnt(0)
	v_add_f32_e32 v2, v2, v3
	ds_bpermute_b32 v5, v13, v2
	s_and_saveexec_b64 s[0:1], s[8:9]
	s_cbranch_execz .LBB105_38
; %bb.26:
	s_waitcnt lgkmcnt(0)
	v_add_f32_e32 v2, 0x358637bd, v5
	v_div_scale_f32 v3, s[8:9], v2, v2, 1.0
	v_rcp_f32_e32 v8, v3
	v_div_scale_f32 v9, vcc, 1.0, v2, 1.0
	s_movk_i32 s8, 0x7f
	v_fma_f32 v10, -v3, v8, 1.0
	v_fmac_f32_e32 v8, v10, v8
	v_mul_f32_e32 v10, v9, v8
	v_fma_f32 v11, -v3, v10, v9
	v_fmac_f32_e32 v10, v11, v8
	v_fma_f32 v3, -v3, v10, v9
	v_div_fmas_f32 v3, v3, v8, v10
	v_div_fixup_f32 v2, v3, v2, 1.0
	v_xad_u32 v3, v0, -1, s19
	v_subrev_u32_e32 v8, s33, v3
	v_cmp_lt_u32_e32 vcc, s8, v8
	s_mov_b64 s[12:13], -1
	v_mov_b32_e32 v3, v0
	s_and_saveexec_b64 s[8:9], vcc
	s_cbranch_execz .LBB105_35
; %bb.27:
	v_lshrrev_b32_e32 v8, 7, v8
	v_add_u32_e32 v10, -1, v8
	v_lshrrev_b32_e32 v9, 1, v10
	v_mov_b32_e32 v3, v2
	v_add_u32_e32 v9, 1, v9
	v_cmp_lt_u32_e32 vcc, 13, v10
	v_mov_b32_e32 v12, 0
	s_and_saveexec_b64 s[12:13], vcc
	s_cbranch_execz .LBB105_31
; %bb.28:
	v_mov_b32_e32 v11, 0x110
	v_and_b32_e32 v10, -8, v9
	v_lshl_add_u32 v11, v0, 2, v11
	s_mov_b32 s19, 0
	s_mov_b64 s[36:37], 0
.LBB105_29:                             ; =>This Inner Loop Header: Depth=1
	ds_read2st64_b32 v[12:13], v11 offset1:2
	ds_read2st64_b32 v[16:17], v11 offset0:4 offset1:6
	ds_read2st64_b32 v[20:21], v11 offset0:8 offset1:10
	;; [unrolled: 1-line block ×3, first 2 shown]
	v_add_u32_e32 v10, -8, v10
	s_waitcnt lgkmcnt(3)
	v_pk_mul_f32 v[12:13], v[2:3], v[12:13]
	s_waitcnt lgkmcnt(2)
	v_pk_mul_f32 v[16:17], v[2:3], v[16:17]
	ds_write2st64_b32 v11, v12, v13 offset1:2
	ds_write2st64_b32 v11, v16, v17 offset0:4 offset1:6
	ds_read2st64_b32 v[16:17], v11 offset0:16 offset1:18
	s_waitcnt lgkmcnt(4)
	v_pk_mul_f32 v[12:13], v[2:3], v[20:21]
	ds_write2st64_b32 v11, v12, v13 offset0:8 offset1:10
	s_waitcnt lgkmcnt(4)
	v_pk_mul_f32 v[12:13], v[2:3], v[22:23]
	ds_write2st64_b32 v11, v12, v13 offset0:12 offset1:14
	ds_read2st64_b32 v[12:13], v11 offset0:20 offset1:22
	s_waitcnt lgkmcnt(3)
	v_pk_mul_f32 v[16:17], v[2:3], v[16:17]
	ds_read2st64_b32 v[20:21], v11 offset0:24 offset1:26
	ds_write2st64_b32 v11, v16, v17 offset0:16 offset1:18
	ds_read2st64_b32 v[16:17], v11 offset0:28 offset1:30
	s_waitcnt lgkmcnt(3)
	v_pk_mul_f32 v[12:13], v[2:3], v[12:13]
	ds_write2st64_b32 v11, v12, v13 offset0:20 offset1:22
	s_waitcnt lgkmcnt(3)
	v_pk_mul_f32 v[12:13], v[2:3], v[20:21]
	ds_write2st64_b32 v11, v12, v13 offset0:24 offset1:26
	s_waitcnt lgkmcnt(2)
	v_pk_mul_f32 v[12:13], v[2:3], v[16:17]
	s_add_i32 s19, s19, 16
	v_cmp_eq_u32_e32 vcc, 0, v10
	ds_write2st64_b32 v11, v12, v13 offset0:28 offset1:30
	v_add_u32_e32 v11, 0x2000, v11
	s_or_b64 s[36:37], vcc, s[36:37]
	v_mov_b32_e32 v12, s19
	s_andn2_b64 exec, exec, s[36:37]
	s_cbranch_execnz .LBB105_29
; %bb.30:
	s_or_b64 exec, exec, s[36:37]
.LBB105_31:
	s_or_b64 exec, exec, s[12:13]
	v_and_b32_e32 v9, 7, v9
	v_cmp_ne_u32_e32 vcc, 0, v9
	s_and_saveexec_b64 s[12:13], vcc
	s_cbranch_execz .LBB105_34
; %bb.32:
	v_lshlrev_b32_e32 v10, 9, v12
	v_lshlrev_b32_e32 v11, 2, v0
	s_movk_i32 s19, 0x110
	v_add3_u32 v10, v10, v11, s19
	s_mov_b64 s[36:37], 0
.LBB105_33:                             ; =>This Inner Loop Header: Depth=1
	ds_read2st64_b32 v[12:13], v10 offset1:2
	v_add_u32_e32 v9, -1, v9
	v_cmp_eq_u32_e32 vcc, 0, v9
	s_or_b64 s[36:37], vcc, s[36:37]
	s_waitcnt lgkmcnt(0)
	v_pk_mul_f32 v[12:13], v[2:3], v[12:13]
	ds_write2st64_b32 v10, v12, v13 offset1:2
	v_add_u32_e32 v10, 0x400, v10
	s_andn2_b64 exec, exec, s[36:37]
	s_cbranch_execnz .LBB105_33
.LBB105_34:
	s_or_b64 exec, exec, s[12:13]
	v_add_u32_e32 v8, 1, v8
	v_and_b32_e32 v9, 0x3fffffe, v8
	v_cmp_ne_u32_e32 vcc, v8, v9
	v_lshl_add_u32 v3, v9, 7, v0
	s_orn2_b64 s[12:13], vcc, exec
.LBB105_35:
	s_or_b64 exec, exec, s[8:9]
	s_and_b64 exec, exec, s[12:13]
	s_cbranch_execz .LBB105_38
; %bb.36:
	v_mov_b32_e32 v8, 0x110
	v_lshl_add_u32 v8, v3, 2, v8
	s_mov_b64 s[8:9], 0
.LBB105_37:                             ; =>This Inner Loop Header: Depth=1
	ds_read_b32 v9, v8
	v_add_u32_e32 v3, 0x80, v3
	v_cmp_le_i32_e32 vcc, s3, v3
	s_or_b64 s[8:9], vcc, s[8:9]
	s_waitcnt lgkmcnt(0)
	v_mul_f32_e32 v9, v2, v9
	ds_write_b32 v8, v9
	v_add_u32_e32 v8, 0x200, v8
	s_andn2_b64 exec, exec, s[8:9]
	s_cbranch_execnz .LBB105_37
.LBB105_38:
	s_or_b64 exec, exec, s[0:1]
	s_mul_i32 s0, s15, s26
	v_cmp_eq_u32_e32 vcc, 0, v0
	s_mul_i32 s8, s0, s5
	s_waitcnt lgkmcnt(0)
	s_barrier
	s_and_saveexec_b64 s[0:1], vcc
	s_cbranch_execz .LBB105_40
; %bb.39:
	s_ashr_i32 s9, s8, 31
	s_lshl_b64 s[12:13], s[8:9], 2
	s_add_u32 s5, s22, s12
	s_mul_i32 s2, s15, s2
	s_addc_u32 s9, s23, s13
	s_ashr_i32 s3, s2, 31
	s_lshl_b64 s[2:3], s[2:3], 2
	s_add_u32 s19, s5, s2
	s_addc_u32 s9, s9, s3
	s_ashr_i32 s5, s4, 31
	s_lshl_b64 s[22:23], s[4:5], 2
	s_add_u32 s36, s19, s22
	s_addc_u32 s37, s9, s23
	s_add_u32 s5, s20, s12
	s_addc_u32 s9, s21, s13
	;; [unrolled: 2-line block ×3, first 2 shown]
	s_add_u32 s2, s2, s22
	v_mov_b32_e32 v2, 0
	s_addc_u32 s3, s3, s23
	global_store_dword v2, v4, s[36:37]
	global_store_dword v2, v5, s[2:3]
.LBB105_40:
	s_or_b64 exec, exec, s[0:1]
	v_mov_b32_e32 v11, 0
	v_and_b32_e32 v20, 1, v0
	v_mov_b32_e32 v10, 0
	v_mov_b32_e32 v9, 0
	;; [unrolled: 1-line block ×3, first 2 shown]
	s_and_saveexec_b64 s[2:3], s[6:7]
	s_cbranch_execz .LBB105_52
; %bb.41:
	s_ashr_i32 s19, s18, 31
	s_lshl_b64 s[0:1], s[18:19], 1
	s_add_u32 s0, s34, s0
	v_lshlrev_b32_e32 v3, 4, v0
	v_lshlrev_b32_e32 v2, 3, v0
	s_addc_u32 s1, s35, s1
	v_and_b32_e32 v8, 0x3f0, v3
	v_mov_b32_e32 v9, 0
	v_and_b32_e32 v2, 8, v2
	s_add_i32 s42, s42, -1
	v_lshl_add_u64 v[12:13], s[0:1], 0, v[8:9]
	s_lshl_b64 s[0:1], s[30:31], 2
	v_add3_u32 v21, s33, v14, v2
	v_lshlrev_b32_e32 v2, 5, v20
	s_add_u32 s0, s28, s0
	v_lshl_or_b32 v1, v1, 6, v2
	s_addc_u32 s1, s29, s1
	s_mov_b32 s5, s17
	s_mov_b32 s9, s27
	;; [unrolled: 1-line block ×8, first 2 shown]
	v_add_u32_e32 v1, 0x110, v1
	v_lshl_add_u64 v[14:15], v[6:7], 2, s[0:1]
	s_mov_b64 s[6:7], 0
	s_mov_b32 s23, 0x5040100
	v_mov_b32_e32 v8, v9
	v_mov_b32_e32 v10, v9
	;; [unrolled: 1-line block ×3, first 2 shown]
	s_branch .LBB105_43
.LBB105_42:                             ;   in Loop: Header=BB105_43 Depth=1
	s_or_b64 exec, exec, s[0:1]
	s_waitcnt vmcnt(0)
	;;#ASMSTART
	v_pk_mul_f16 v2, v31, v2;

	;;#ASMEND
	;;#ASMSTART
	v_pk_mul_f16 v3, v30, v3;

	;;#ASMEND
	;; [unrolled: 4-line block ×4, first 2 shown]
	v_add_f32_e32 v7, v32, v33
	;;#ASMSTART
	v_pk_add_f16 v2, v2, v3;

	;;#ASMEND
	v_add_f32_e32 v8, v8, v7
	;;#ASMSTART
	v_pk_add_f16 v2, v2, v4;

	;;#ASMEND
	;; [unrolled: 5-line block ×3, first 2 shown]
	v_add_u32_e32 v6, 2, v6
	v_lshrrev_b32_e32 v3, 16, v2
	v_and_b32_e32 v2, 0xffff, v2
	;;#ASMSTART
	v_cvt_f32_f16 v2, v2;
	;;#ASMEND
	v_add_f32_e32 v9, v9, v7
	v_add_f32_e32 v7, v36, v37
	;;#ASMSTART
	v_cvt_f32_f16 v3, v3;
	;;#ASMEND
	v_cmp_le_i32_e32 vcc, s16, v6
	v_add_f32_e32 v2, v2, v3
	v_add_f32_e32 v10, v10, v7
	;; [unrolled: 1-line block ×3, first 2 shown]
	v_add_u32_e32 v21, 32, v21
	v_add_u32_e32 v1, 0x80, v1
	s_or_b64 s[6:7], vcc, s[6:7]
	v_lshl_add_u64 v[14:15], v[14:15], 0, 8
	s_andn2_b64 exec, exec, s[6:7]
	s_cbranch_execz .LBB105_51
.LBB105_43:                             ; =>This Inner Loop Header: Depth=1
	global_load_dword v7, v[14:15], off
	ds_read2_b64 v[2:5], v1 offset1:1
	ds_read2_b64 v[22:25], v1 offset0:2 offset1:3
	v_cmp_eq_u32_e32 vcc, s42, v6
	v_or_b32_e32 v27, 7, v21
	s_waitcnt lgkmcnt(1)
	;;#ASMSTART
	v_cvt_f16_f32 v28, v2;

	;;#ASMEND
	;;#ASMSTART
	v_cvt_f16_f32 v29, v3;

	;;#ASMEND
	;; [unrolled: 4-line block ×4, first 2 shown]
	s_waitcnt lgkmcnt(0)
	;;#ASMSTART
	v_cvt_f16_f32 v33, v22;

	;;#ASMEND
	;;#ASMSTART
	v_cvt_f16_f32 v34, v23;

	;;#ASMEND
	;; [unrolled: 4-line block ×4, first 2 shown]
	v_or_b32_e32 v23, 3, v21
	v_or_b32_e32 v22, 2, v21
	;; [unrolled: 1-line block ×5, first 2 shown]
	s_waitcnt vmcnt(0)
	v_mad_i64_i32 v[2:3], s[0:1], v7, s5, 0
	v_lshl_add_u64 v[16:17], v[2:3], 1, v[12:13]
	global_load_dwordx4 v[2:5], v[16:17], off
	v_add_u32_e32 v7, 1, v21
	s_and_saveexec_b64 s[12:13], vcc
	s_cbranch_execz .LBB105_45
; %bb.44:                               ;   in Loop: Header=BB105_43 Depth=1
	s_waitcnt vmcnt(0)
	v_lshrrev_b32_e32 v31, 16, v5
	v_cmp_gt_i32_e64 s[0:1], s22, v27
	s_nop 1
	v_cndmask_b32_e64 v31, 0, v31, s[0:1]
	v_cmp_gt_i32_e64 s[0:1], s21, v26
	s_nop 1
	v_cndmask_b32_e64 v5, 0, v5, s[0:1]
	v_perm_b32 v5, v31, v5, s23
	v_lshrrev_b32_e32 v31, 16, v4
	v_cmp_gt_i32_e64 s[0:1], s20, v25
	s_nop 1
	v_cndmask_b32_e64 v31, 0, v31, s[0:1]
	v_cmp_gt_i32_e64 s[0:1], s19, v24
	s_nop 1
	v_cndmask_b32_e64 v4, 0, v4, s[0:1]
	v_perm_b32 v4, v31, v4, s23
	v_lshrrev_b32_e32 v31, 16, v3
	v_cmp_gt_i32_e64 s[0:1], s18, v23
	s_nop 1
	v_cndmask_b32_e64 v31, 0, v31, s[0:1]
	v_cmp_gt_i32_e64 s[0:1], s17, v22
	s_nop 1
	v_cndmask_b32_e64 v3, 0, v3, s[0:1]
	v_perm_b32 v3, v31, v3, s23
	v_lshrrev_b32_e32 v31, 16, v2
	v_cmp_gt_i32_e64 s[0:1], s9, v7
	s_nop 1
	v_cndmask_b32_e64 v31, 0, v31, s[0:1]
	v_cmp_gt_i32_e64 s[0:1], s27, v21
	s_nop 1
	v_cndmask_b32_e64 v2, 0, v2, s[0:1]
	v_perm_b32 v2, v31, v2, s23
.LBB105_45:                             ;   in Loop: Header=BB105_43 Depth=1
	s_or_b64 exec, exec, s[12:13]
	v_and_b32_e32 v28, 0xffff, v28
	v_lshl_or_b32 v31, v29, 16, v28
	v_and_b32_e32 v28, 0xffff, v30
	v_lshl_or_b32 v30, v32, 16, v28
	;; [unrolled: 2-line block ×3, first 2 shown]
	v_and_b32_e32 v28, 0xffff, v35
	s_waitcnt vmcnt(0)
	;;#ASMSTART
	v_pk_mul_f16 v2, v31, v2;

	;;#ASMEND
	v_lshl_or_b32 v28, v36, 16, v28
	;;#ASMSTART
	v_pk_mul_f16 v3, v30, v3;

	;;#ASMEND
	;;#ASMSTART
	v_pk_mul_f16 v4, v29, v4;

	;;#ASMEND
	;;#ASMSTART
	v_pk_mul_f16 v5, v28, v5;

	;;#ASMEND
	s_nop 0
	;;#ASMSTART
	v_pk_add_f16 v2, v2, v3;

	;;#ASMEND
	s_nop 0
	;;#ASMSTART
	v_pk_add_f16 v2, v2, v4;

	;;#ASMEND
	;; [unrolled: 5-line block ×3, first 2 shown]
	s_nop 0
	v_lshrrev_b32_e32 v3, 16, v2
	v_and_b32_e32 v2, 0xffff, v2
	;;#ASMSTART
	v_cvt_f32_f16 v32, v2;
	;;#ASMEND
	;;#ASMSTART
	v_cvt_f32_f16 v33, v3;
	;;#ASMEND
	global_load_dwordx4 v[2:5], v[16:17], off offset:1024
	s_and_saveexec_b64 s[12:13], vcc
	s_cbranch_execz .LBB105_47
; %bb.46:                               ;   in Loop: Header=BB105_43 Depth=1
	s_waitcnt vmcnt(0)
	v_lshrrev_b32_e32 v34, 16, v5
	v_cmp_gt_i32_e64 s[0:1], s22, v27
	s_nop 1
	v_cndmask_b32_e64 v34, 0, v34, s[0:1]
	v_cmp_gt_i32_e64 s[0:1], s21, v26
	s_nop 1
	v_cndmask_b32_e64 v5, 0, v5, s[0:1]
	v_perm_b32 v5, v34, v5, s23
	v_lshrrev_b32_e32 v34, 16, v4
	v_cmp_gt_i32_e64 s[0:1], s20, v25
	s_nop 1
	v_cndmask_b32_e64 v34, 0, v34, s[0:1]
	v_cmp_gt_i32_e64 s[0:1], s19, v24
	s_nop 1
	v_cndmask_b32_e64 v4, 0, v4, s[0:1]
	v_perm_b32 v4, v34, v4, s23
	v_lshrrev_b32_e32 v34, 16, v3
	v_cmp_gt_i32_e64 s[0:1], s18, v23
	s_nop 1
	v_cndmask_b32_e64 v34, 0, v34, s[0:1]
	v_cmp_gt_i32_e64 s[0:1], s17, v22
	s_nop 1
	v_cndmask_b32_e64 v3, 0, v3, s[0:1]
	v_perm_b32 v3, v34, v3, s23
	v_lshrrev_b32_e32 v34, 16, v2
	v_cmp_gt_i32_e64 s[0:1], s9, v7
	s_nop 1
	v_cndmask_b32_e64 v34, 0, v34, s[0:1]
	v_cmp_gt_i32_e64 s[0:1], s27, v21
	s_nop 1
	v_cndmask_b32_e64 v2, 0, v2, s[0:1]
	v_perm_b32 v2, v34, v2, s23
.LBB105_47:                             ;   in Loop: Header=BB105_43 Depth=1
	s_or_b64 exec, exec, s[12:13]
	s_waitcnt vmcnt(0)
	;;#ASMSTART
	v_pk_mul_f16 v2, v31, v2;

	;;#ASMEND
	;;#ASMSTART
	v_pk_mul_f16 v3, v30, v3;

	;;#ASMEND
	;; [unrolled: 4-line block ×4, first 2 shown]
	s_nop 0
	;;#ASMSTART
	v_pk_add_f16 v2, v2, v3;

	;;#ASMEND
	s_nop 0
	;;#ASMSTART
	v_pk_add_f16 v2, v2, v4;

	;;#ASMEND
	;; [unrolled: 5-line block ×3, first 2 shown]
	s_nop 0
	v_lshrrev_b32_e32 v3, 16, v2
	v_and_b32_e32 v2, 0xffff, v2
	;;#ASMSTART
	v_cvt_f32_f16 v34, v2;
	;;#ASMEND
	;;#ASMSTART
	v_cvt_f32_f16 v35, v3;
	;;#ASMEND
	global_load_dwordx4 v[2:5], v[16:17], off offset:2048
	s_and_saveexec_b64 s[12:13], vcc
	s_cbranch_execz .LBB105_49
; %bb.48:                               ;   in Loop: Header=BB105_43 Depth=1
	s_waitcnt vmcnt(0)
	v_lshrrev_b32_e32 v36, 16, v5
	v_cmp_gt_i32_e64 s[0:1], s22, v27
	s_nop 1
	v_cndmask_b32_e64 v36, 0, v36, s[0:1]
	v_cmp_gt_i32_e64 s[0:1], s21, v26
	s_nop 1
	v_cndmask_b32_e64 v5, 0, v5, s[0:1]
	v_perm_b32 v5, v36, v5, s23
	v_lshrrev_b32_e32 v36, 16, v4
	v_cmp_gt_i32_e64 s[0:1], s20, v25
	s_nop 1
	v_cndmask_b32_e64 v36, 0, v36, s[0:1]
	v_cmp_gt_i32_e64 s[0:1], s19, v24
	s_nop 1
	v_cndmask_b32_e64 v4, 0, v4, s[0:1]
	v_perm_b32 v4, v36, v4, s23
	v_lshrrev_b32_e32 v36, 16, v3
	v_cmp_gt_i32_e64 s[0:1], s18, v23
	s_nop 1
	v_cndmask_b32_e64 v36, 0, v36, s[0:1]
	v_cmp_gt_i32_e64 s[0:1], s17, v22
	s_nop 1
	v_cndmask_b32_e64 v3, 0, v3, s[0:1]
	v_perm_b32 v3, v36, v3, s23
	v_lshrrev_b32_e32 v36, 16, v2
	v_cmp_gt_i32_e64 s[0:1], s9, v7
	s_nop 1
	v_cndmask_b32_e64 v36, 0, v36, s[0:1]
	v_cmp_gt_i32_e64 s[0:1], s27, v21
	s_nop 1
	v_cndmask_b32_e64 v2, 0, v2, s[0:1]
	v_perm_b32 v2, v36, v2, s23
.LBB105_49:                             ;   in Loop: Header=BB105_43 Depth=1
	s_or_b64 exec, exec, s[12:13]
	s_waitcnt vmcnt(0)
	;;#ASMSTART
	v_pk_mul_f16 v2, v31, v2;

	;;#ASMEND
	;;#ASMSTART
	v_pk_mul_f16 v3, v30, v3;

	;;#ASMEND
	;; [unrolled: 4-line block ×4, first 2 shown]
	s_nop 0
	;;#ASMSTART
	v_pk_add_f16 v2, v2, v3;

	;;#ASMEND
	s_nop 0
	;;#ASMSTART
	v_pk_add_f16 v2, v2, v4;

	;;#ASMEND
	;; [unrolled: 5-line block ×3, first 2 shown]
	s_nop 0
	v_lshrrev_b32_e32 v3, 16, v2
	v_and_b32_e32 v2, 0xffff, v2
	;;#ASMSTART
	v_cvt_f32_f16 v36, v2;
	;;#ASMEND
	;;#ASMSTART
	v_cvt_f32_f16 v37, v3;
	;;#ASMEND
	global_load_dwordx4 v[2:5], v[16:17], off offset:3072
	s_and_saveexec_b64 s[0:1], vcc
	s_cbranch_execz .LBB105_42
; %bb.50:                               ;   in Loop: Header=BB105_43 Depth=1
	s_waitcnt vmcnt(0)
	v_lshrrev_b32_e32 v16, 16, v5
	v_cmp_gt_i32_e32 vcc, s22, v27
	s_nop 1
	v_cndmask_b32_e32 v16, 0, v16, vcc
	v_cmp_gt_i32_e32 vcc, s21, v26
	s_nop 1
	v_cndmask_b32_e32 v5, 0, v5, vcc
	v_perm_b32 v5, v16, v5, s23
	v_lshrrev_b32_e32 v16, 16, v4
	v_cmp_gt_i32_e32 vcc, s20, v25
	s_nop 1
	v_cndmask_b32_e32 v16, 0, v16, vcc
	v_cmp_gt_i32_e32 vcc, s19, v24
	s_nop 1
	v_cndmask_b32_e32 v4, 0, v4, vcc
	v_perm_b32 v4, v16, v4, s23
	;; [unrolled: 8-line block ×4, first 2 shown]
	s_branch .LBB105_42
.LBB105_51:
	s_or_b64 exec, exec, s[6:7]
.LBB105_52:
	s_or_b64 exec, exec, s[2:3]
	ds_bpermute_b32 v2, v19, v8
	ds_bpermute_b32 v3, v19, v9
	;; [unrolled: 1-line block ×4, first 2 shown]
	v_and_b32_e32 v1, 0x3c1, v0
	v_cmp_eq_u32_e32 vcc, 64, v1
	s_waitcnt lgkmcnt(2)
	v_pk_add_f32 v[4:5], v[8:9], v[2:3]
	s_waitcnt lgkmcnt(0)
	v_pk_add_f32 v[2:3], v[10:11], v[6:7]
	s_barrier
	s_and_saveexec_b64 s[0:1], vcc
	s_cbranch_execz .LBB105_54
; %bb.53:
	v_mov_b32_e32 v6, 0x110
	v_lshl_add_u32 v6, v18, 1, v6
	ds_write2_b32 v6, v4, v5 offset1:32
	ds_write2_b32 v6, v2, v3 offset0:64 offset1:96
.LBB105_54:
	s_or_b64 exec, exec, s[0:1]
	s_waitcnt lgkmcnt(0)
	s_barrier
	s_and_saveexec_b64 s[0:1], s[10:11]
	s_cbranch_execz .LBB105_61
; %bb.55:
	v_cmp_eq_u32_e32 vcc, 0, v20
	v_lshrrev_b32_e32 v6, 1, v0
	s_and_saveexec_b64 s[2:3], vcc
	s_cbranch_execnz .LBB105_64
; %bb.56:
	s_or_b64 exec, exec, s[2:3]
	s_and_saveexec_b64 s[2:3], vcc
	s_cbranch_execnz .LBB105_65
.LBB105_57:
	s_or_b64 exec, exec, s[2:3]
	s_and_saveexec_b64 s[2:3], vcc
	s_cbranch_execnz .LBB105_66
.LBB105_58:
	s_or_b64 exec, exec, s[2:3]
	s_and_saveexec_b64 s[2:3], vcc
	s_cbranch_execz .LBB105_60
.LBB105_59:
	v_mov_b32_e32 v7, 0x110
	v_lshl_add_u32 v6, v6, 2, v7
	ds_read_b32 v6, v6 offset:384
	s_waitcnt lgkmcnt(0)
	v_add_f32_e32 v3, v3, v6
.LBB105_60:
	s_or_b64 exec, exec, s[2:3]
.LBB105_61:
	s_or_b64 exec, exec, s[0:1]
	v_cmp_eq_u32_e32 vcc, 0, v1
	s_barrier
	s_and_saveexec_b64 s[0:1], vcc
	s_cbranch_execz .LBB105_63
; %bb.62:
	s_lshl_b32 s0, s8, 7
	s_ashr_i32 s1, s0, 31
	s_lshl_b64 s[0:1], s[0:1], 1
	s_add_u32 s2, s24, s0
	s_mul_i32 s0, s15, s14
	s_addc_u32 s3, s25, s1
	s_ashr_i32 s1, s0, 31
	s_lshl_b64 s[0:1], s[0:1], 1
	s_add_u32 s2, s2, s0
	s_addc_u32 s3, s3, s1
	s_lshl_b32 s0, s4, 7
	s_ashr_i32 s1, s0, 31
	s_lshl_b64 s[0:1], s[0:1], 1
	s_add_u32 s0, s2, s0
	s_addc_u32 s1, s3, s1
	;;#ASMSTART
	v_cvt_f16_f32 v1, v4;

	;;#ASMEND
	global_store_short v0, v1, s[0:1]
	;;#ASMSTART
	v_cvt_f16_f32 v1, v5;

	;;#ASMEND
	global_store_short v0, v1, s[0:1] offset:64
	;;#ASMSTART
	v_cvt_f16_f32 v1, v2;

	;;#ASMEND
	global_store_short v0, v1, s[0:1] offset:128
	;; [unrolled: 5-line block ×3, first 2 shown]
.LBB105_63:
	s_endpgm
.LBB105_64:
	v_mov_b32_e32 v7, 0x110
	v_lshl_add_u32 v7, v6, 2, v7
	ds_read_b32 v7, v7
	s_waitcnt lgkmcnt(0)
	v_add_f32_e32 v4, v4, v7
	s_or_b64 exec, exec, s[2:3]
	s_and_saveexec_b64 s[2:3], vcc
	s_cbranch_execz .LBB105_57
.LBB105_65:
	v_mov_b32_e32 v7, 0x110
	v_lshl_add_u32 v7, v6, 2, v7
	ds_read_b32 v7, v7 offset:128
	s_waitcnt lgkmcnt(0)
	v_add_f32_e32 v5, v5, v7
	s_or_b64 exec, exec, s[2:3]
	s_and_saveexec_b64 s[2:3], vcc
	s_cbranch_execz .LBB105_58
.LBB105_66:
	v_mov_b32_e32 v7, 0x110
	v_lshl_add_u32 v7, v6, 2, v7
	ds_read_b32 v7, v7 offset:256
	s_waitcnt lgkmcnt(0)
	v_add_f32_e32 v2, v2, v7
	s_or_b64 exec, exec, s[2:3]
	s_and_saveexec_b64 s[2:3], vcc
	s_cbranch_execnz .LBB105_59
	s_branch .LBB105_60
	.section	.rodata,"a",@progbits
	.p2align	6, 0x0
	.amdhsa_kernel _ZN4vllm25paged_attention_v2_kernelIttLi128ELi16ELi128ELNS_18Fp8KVCacheDataTypeE0ELb0ELi512EEEvPfS2_PT_PKS3_PKT0_S9_ifPKiSB_iPKfiiiSD_SD_iiiii
		.amdhsa_group_segment_fixed_size 272
		.amdhsa_private_segment_fixed_size 0
		.amdhsa_kernarg_size 400
		.amdhsa_user_sgpr_count 2
		.amdhsa_user_sgpr_dispatch_ptr 0
		.amdhsa_user_sgpr_queue_ptr 0
		.amdhsa_user_sgpr_kernarg_segment_ptr 1
		.amdhsa_user_sgpr_dispatch_id 0
		.amdhsa_user_sgpr_kernarg_preload_length 0
		.amdhsa_user_sgpr_kernarg_preload_offset 0
		.amdhsa_user_sgpr_private_segment_size 0
		.amdhsa_uses_dynamic_stack 0
		.amdhsa_enable_private_segment 0
		.amdhsa_system_sgpr_workgroup_id_x 1
		.amdhsa_system_sgpr_workgroup_id_y 1
		.amdhsa_system_sgpr_workgroup_id_z 1
		.amdhsa_system_sgpr_workgroup_info 0
		.amdhsa_system_vgpr_workitem_id 0
		.amdhsa_next_free_vgpr 68
		.amdhsa_next_free_sgpr 44
		.amdhsa_accum_offset 68
		.amdhsa_reserve_vcc 1
		.amdhsa_float_round_mode_32 0
		.amdhsa_float_round_mode_16_64 0
		.amdhsa_float_denorm_mode_32 3
		.amdhsa_float_denorm_mode_16_64 3
		.amdhsa_dx10_clamp 1
		.amdhsa_ieee_mode 1
		.amdhsa_fp16_overflow 0
		.amdhsa_tg_split 0
		.amdhsa_exception_fp_ieee_invalid_op 0
		.amdhsa_exception_fp_denorm_src 0
		.amdhsa_exception_fp_ieee_div_zero 0
		.amdhsa_exception_fp_ieee_overflow 0
		.amdhsa_exception_fp_ieee_underflow 0
		.amdhsa_exception_fp_ieee_inexact 0
		.amdhsa_exception_int_div_zero 0
	.end_amdhsa_kernel
	.section	.text._ZN4vllm25paged_attention_v2_kernelIttLi128ELi16ELi128ELNS_18Fp8KVCacheDataTypeE0ELb0ELi512EEEvPfS2_PT_PKS3_PKT0_S9_ifPKiSB_iPKfiiiSD_SD_iiiii,"axG",@progbits,_ZN4vllm25paged_attention_v2_kernelIttLi128ELi16ELi128ELNS_18Fp8KVCacheDataTypeE0ELb0ELi512EEEvPfS2_PT_PKS3_PKT0_S9_ifPKiSB_iPKfiiiSD_SD_iiiii,comdat
.Lfunc_end105:
	.size	_ZN4vllm25paged_attention_v2_kernelIttLi128ELi16ELi128ELNS_18Fp8KVCacheDataTypeE0ELb0ELi512EEEvPfS2_PT_PKS3_PKT0_S9_ifPKiSB_iPKfiiiSD_SD_iiiii, .Lfunc_end105-_ZN4vllm25paged_attention_v2_kernelIttLi128ELi16ELi128ELNS_18Fp8KVCacheDataTypeE0ELb0ELi512EEEvPfS2_PT_PKS3_PKT0_S9_ifPKiSB_iPKfiiiSD_SD_iiiii
                                        ; -- End function
	.section	.AMDGPU.csdata,"",@progbits
; Kernel info:
; codeLenInByte = 6216
; NumSgprs: 50
; NumVgprs: 68
; NumAgprs: 0
; TotalNumVgprs: 68
; ScratchSize: 0
; MemoryBound: 0
; FloatMode: 240
; IeeeMode: 1
; LDSByteSize: 272 bytes/workgroup (compile time only)
; SGPRBlocks: 6
; VGPRBlocks: 8
; NumSGPRsForWavesPerEU: 50
; NumVGPRsForWavesPerEU: 68
; AccumOffset: 68
; Occupancy: 7
; WaveLimiterHint : 1
; COMPUTE_PGM_RSRC2:SCRATCH_EN: 0
; COMPUTE_PGM_RSRC2:USER_SGPR: 2
; COMPUTE_PGM_RSRC2:TRAP_HANDLER: 0
; COMPUTE_PGM_RSRC2:TGID_X_EN: 1
; COMPUTE_PGM_RSRC2:TGID_Y_EN: 1
; COMPUTE_PGM_RSRC2:TGID_Z_EN: 1
; COMPUTE_PGM_RSRC2:TIDIG_COMP_CNT: 0
; COMPUTE_PGM_RSRC3_GFX90A:ACCUM_OFFSET: 16
; COMPUTE_PGM_RSRC3_GFX90A:TG_SPLIT: 0
	.section	.text._ZN4vllm25paged_attention_v2_kernelIttLi192ELi16ELi128ELNS_18Fp8KVCacheDataTypeE0ELb0ELi512EEEvPfS2_PT_PKS3_PKT0_S9_ifPKiSB_iPKfiiiSD_SD_iiiii,"axG",@progbits,_ZN4vllm25paged_attention_v2_kernelIttLi192ELi16ELi128ELNS_18Fp8KVCacheDataTypeE0ELb0ELi512EEEvPfS2_PT_PKS3_PKT0_S9_ifPKiSB_iPKfiiiSD_SD_iiiii,comdat
	.protected	_ZN4vllm25paged_attention_v2_kernelIttLi192ELi16ELi128ELNS_18Fp8KVCacheDataTypeE0ELb0ELi512EEEvPfS2_PT_PKS3_PKT0_S9_ifPKiSB_iPKfiiiSD_SD_iiiii ; -- Begin function _ZN4vllm25paged_attention_v2_kernelIttLi192ELi16ELi128ELNS_18Fp8KVCacheDataTypeE0ELb0ELi512EEEvPfS2_PT_PKS3_PKT0_S9_ifPKiSB_iPKfiiiSD_SD_iiiii
	.globl	_ZN4vllm25paged_attention_v2_kernelIttLi192ELi16ELi128ELNS_18Fp8KVCacheDataTypeE0ELb0ELi512EEEvPfS2_PT_PKS3_PKT0_S9_ifPKiSB_iPKfiiiSD_SD_iiiii
	.p2align	8
	.type	_ZN4vllm25paged_attention_v2_kernelIttLi192ELi16ELi128ELNS_18Fp8KVCacheDataTypeE0ELb0ELi512EEEvPfS2_PT_PKS3_PKT0_S9_ifPKiSB_iPKfiiiSD_SD_iiiii,@function
_ZN4vllm25paged_attention_v2_kernelIttLi192ELi16ELi128ELNS_18Fp8KVCacheDataTypeE0ELb0ELi512EEEvPfS2_PT_PKS3_PKT0_S9_ifPKiSB_iPKfiiiSD_SD_iiiii: ; @_ZN4vllm25paged_attention_v2_kernelIttLi192ELi16ELi128ELNS_18Fp8KVCacheDataTypeE0ELb0ELi512EEEvPfS2_PT_PKS3_PKT0_S9_ifPKiSB_iPKfiiiSD_SD_iiiii
; %bb.0:
	s_load_dwordx2 s[6:7], s[0:1], 0x40
	s_mov_b32 s24, s3
	s_ashr_i32 s25, s3, 31
	s_lshl_b64 s[8:9], s[24:25], 2
	s_waitcnt lgkmcnt(0)
	s_add_u32 s6, s6, s8
	s_addc_u32 s7, s7, s9
	s_load_dword s25, s[6:7], 0x0
	s_lshl_b32 s40, s4, 9
	s_waitcnt lgkmcnt(0)
	s_cmp_ge_i32 s40, s25
	s_cbranch_scc1 .LBB106_69
; %bb.1:
	s_load_dword s5, s[0:1], 0x90
	s_load_dwordx2 s[10:11], s[0:1], 0x30
	s_waitcnt lgkmcnt(0)
	s_abs_i32 s7, s5
	s_abs_i32 s3, s10
	v_cvt_f32_u32_e32 v1, s3
	s_sub_i32 s8, 0, s3
	s_xor_b32 s6, s5, s10
	s_ashr_i32 s6, s6, 31
	v_rcp_iflag_f32_e32 v1, v1
	s_nop 0
	v_mul_f32_e32 v1, 0x4f7ffffe, v1
	v_cvt_u32_f32_e32 v1, v1
	s_nop 0
	v_readfirstlane_b32 s9, v1
	s_mul_i32 s8, s8, s9
	s_mul_hi_u32 s8, s9, s8
	s_add_i32 s9, s9, s8
	s_mul_hi_u32 s8, s7, s9
	s_mul_i32 s9, s8, s3
	s_sub_i32 s7, s7, s9
	s_add_i32 s10, s8, 1
	s_sub_i32 s9, s7, s3
	s_cmp_ge_u32 s7, s3
	s_cselect_b32 s8, s10, s8
	s_cselect_b32 s7, s9, s7
	s_add_i32 s9, s8, 1
	s_cmp_ge_u32 s7, s3
	s_cselect_b32 s3, s9, s8
	s_xor_b32 s3, s3, s6
	s_sub_i32 s12, s3, s6
	s_abs_i32 s8, s12
	v_cvt_f32_u32_e32 v1, s8
	s_load_dwordx2 s[6:7], s[0:1], 0x50
	s_sub_i32 s3, 0, s8
	s_abs_i32 s9, s2
	v_rcp_iflag_f32_e32 v1, v1
	s_mov_b32 s10, 0
	v_mul_f32_e32 v1, 0x4f7ffffe, v1
	v_cvt_u32_f32_e32 v1, v1
	s_nop 0
	v_readfirstlane_b32 s13, v1
	s_mul_i32 s3, s3, s13
	s_mul_hi_u32 s3, s13, s3
	s_add_i32 s13, s13, s3
	s_waitcnt lgkmcnt(0)
	s_cmp_eq_u64 s[6:7], 0
	s_mul_hi_u32 s16, s9, s13
	s_cbranch_scc1 .LBB106_3
; %bb.2:
	s_ashr_i32 s3, s2, 31
	s_lshl_b64 s[14:15], s[2:3], 2
	s_add_u32 s6, s6, s14
	s_addc_u32 s7, s7, s15
	s_load_dword s10, s[6:7], 0x0
.LBB106_3:
	s_ashr_i32 s18, s12, 31
	s_load_dwordx4 s[12:15], s[0:1], 0x58
	s_movk_i32 s3, 0x60
	s_ashr_i32 s17, s2, 31
	v_and_b32_e32 v4, 3, v0
	s_mul_i32 s20, s2, 0xc0
	v_cmp_gt_u32_e32 vcc, s3, v0
	s_and_saveexec_b64 s[6:7], vcc
	s_cbranch_execz .LBB106_5
; %bb.4:
	s_load_dwordx2 s[22:23], s[0:1], 0x18
	s_waitcnt lgkmcnt(0)
	s_mul_i32 s26, s24, s12
	s_ashr_i32 s27, s26, 31
	s_lshl_b64 s[26:27], s[26:27], 1
	v_lshlrev_b32_e32 v1, 2, v0
	s_add_u32 s12, s22, s26
	s_addc_u32 s15, s23, s27
	s_ashr_i32 s21, s20, 31
	s_lshl_b64 s[22:23], s[20:21], 1
	s_add_u32 s22, s12, s22
	s_addc_u32 s23, s15, s23
	global_load_dword v1, v1, s[22:23]
	v_and_b32_e32 v2, 0x3fc, v0
	v_mad_u32_u24 v2, v4, s3, v2
	s_waitcnt vmcnt(0)
	ds_write_b32 v2, v1
.LBB106_5:
	s_or_b64 exec, exec, s[6:7]
	s_add_i32 s3, s25, 15
	s_ashr_i32 s6, s3, 31
	s_lshr_b32 s6, s6, 28
	s_add_i32 s3, s3, s6
	s_waitcnt lgkmcnt(0)
	s_ashr_i32 s12, s3, 4
	s_lshl_b32 s3, s4, 5
	s_mul_i32 s7, s16, s8
	s_add_i32 s6, s3, 32
	s_sub_i32 s7, s9, s7
	s_min_i32 s33, s6, s12
	s_xor_b32 s6, s17, s18
	s_add_i32 s9, s16, 1
	s_sub_i32 s15, s7, s8
	s_cmp_ge_u32 s7, s8
	s_cselect_b32 s9, s9, s16
	s_cselect_b32 s7, s15, s7
	s_add_i32 s15, s9, 1
	s_cmp_ge_u32 s7, s8
	s_load_dwordx2 s[26:27], s[0:1], 0x38
	s_load_dword s8, s[0:1], 0x48
	v_lshrrev_b32_e32 v1, 6, v0
	s_cselect_b32 s7, s15, s9
	s_xor_b32 s7, s7, s6
	v_or_b32_e32 v6, s3, v1
	s_waitcnt lgkmcnt(0)
	s_mul_i32 s28, s24, s8
	s_sub_i32 s15, s7, s6
	s_ashr_i32 s29, s28, 31
	v_cmp_gt_i32_e64 s[8:9], s33, v6
	v_cmp_le_i32_e32 vcc, s33, v6
	v_mbcnt_lo_u32_b32 v8, -1, 0
	s_barrier
	s_waitcnt lgkmcnt(0)
                                        ; implicit-def: $sgpr36
                                        ; implicit-def: $vgpr10
                                        ; implicit-def: $vgpr11
	s_and_saveexec_b64 s[6:7], vcc
	s_xor_b64 s[6:7], exec, s[6:7]
; %bb.6:
	v_mbcnt_hi_u32_b32 v10, -1, v8
	v_and_b32_e32 v2, 64, v10
	v_add_u32_e32 v11, 64, v2
	s_mov_b32 s36, 0xff7fffff
                                        ; implicit-def: $vgpr4
                                        ; implicit-def: $vgpr8
; %bb.7:
	s_or_saveexec_b64 s[34:35], s[6:7]
	s_load_dwordx4 s[16:19], s[0:1], 0x0
	s_load_dwordx2 s[22:23], s[0:1], 0x10
	s_load_dwordx2 s[30:31], s[0:1], 0x28
	s_load_dword s21, s[0:1], 0x98
	v_mov_b32_e32 v12, s36
	s_mul_i32 s14, s15, s14
	v_ashrrev_i32_e32 v7, 31, v6
	v_lshlrev_b32_e32 v14, 4, v1
	s_xor_b64 exec, exec, s[34:35]
	s_cbranch_execz .LBB106_13
; %bb.8:
	s_load_dwordx2 s[0:1], s[0:1], 0x20
	s_ashr_i32 s15, s14, 31
	s_lshl_b64 s[6:7], s[14:15], 1
	v_bfe_u32 v5, v0, 2, 4
	v_lshlrev_b32_e32 v2, 4, v5
	s_waitcnt lgkmcnt(0)
	s_add_u32 s0, s0, s6
	s_addc_u32 s1, s1, s7
	v_mov_b32_e32 v3, 0
	v_lshl_add_u64 v[10:11], s[0:1], 0, v[2:3]
	v_lshlrev_b32_e32 v2, 2, v0
	v_and_b32_e32 v2, 12, v2
	s_sub_i32 s15, 1, s25
	s_lshl_b64 s[0:1], s[28:29], 2
	v_lshl_add_u64 v[2:3], v[10:11], 0, v[2:3]
	v_mul_u32_u24_e32 v13, 0x60, v4
	v_cmp_eq_u32_e32 vcc, 0, v4
	v_lshlrev_b32_e32 v4, 2, v5
	s_add_u32 s0, s26, s0
	v_mbcnt_hi_u32_b32 v10, -1, v8
	v_lshl_or_b32 v4, v1, 6, v4
	s_addc_u32 s1, s27, s1
	v_and_b32_e32 v8, 64, v10
	s_mov_b32 s41, s13
	v_cmp_neq_f32_e64 s[6:7], s10, 0
	v_add3_u32 v15, s40, v14, v5
	v_add_u32_e32 v16, 0x190, v4
	v_lshl_add_u64 v[4:5], v[6:7], 2, s[0:1]
	s_mov_b64 s[36:37], 0
	v_mov_b32_e32 v12, 0xff7fffff
	s_movk_i32 s42, 0x1000
	v_add_u32_e32 v11, 64, v8
	v_xor_b32_e32 v17, 2, v10
	v_xor_b32_e32 v18, 1, v10
	v_mov_b32_e32 v19, v6
	s_branch .LBB106_10
.LBB106_9:                              ;   in Loop: Header=BB106_10 Depth=1
	s_or_b64 exec, exec, s[38:39]
	v_add_u32_e32 v19, 2, v19
	v_cmp_le_i32_e64 s[0:1], s33, v19
	v_add_u32_e32 v15, 32, v15
	v_add_u32_e32 v16, 0x80, v16
	s_or_b64 s[36:37], s[0:1], s[36:37]
	v_lshl_add_u64 v[4:5], v[4:5], 0, 8
	s_andn2_b64 exec, exec, s[36:37]
	s_cbranch_execz .LBB106_12
.LBB106_10:                             ; =>This Inner Loop Header: Depth=1
	global_load_dword v8, v[4:5], off
	s_waitcnt vmcnt(0) lgkmcnt(0)
	v_mad_i64_i32 v[8:9], s[0:1], v8, s41, 0
	v_lshl_add_u64 v[8:9], v[8:9], 1, v[2:3]
	global_load_dword v30, v[8:9], off
	global_load_dword v29, v[8:9], off offset:256
	global_load_dword v28, v[8:9], off offset:512
	;; [unrolled: 1-line block ×9, first 2 shown]
	ds_read_b32 v31, v13
	global_load_dword v38, v[8:9], off offset:2560
	global_load_dword v39, v[8:9], off offset:2816
	;; [unrolled: 1-line block ×6, first 2 shown]
	v_cmp_lt_i32_e64 s[0:1], v17, v11
	s_waitcnt lgkmcnt(0)
	v_lshrrev_b32_e32 v36, 16, v31
	v_cndmask_b32_e64 v22, v10, v17, s[0:1]
	v_add_co_u32_e64 v8, s[0:1], s42, v8
	v_and_b32_e32 v37, 0xffff, v31
	s_nop 0
	v_addc_co_u32_e64 v9, s[0:1], 0, v9, s[0:1]
	global_load_dword v44, v[8:9], off
	global_load_dword v45, v[8:9], off offset:256
	global_load_dword v46, v[8:9], off offset:512
	;; [unrolled: 1-line block ×7, first 2 shown]
	;;#ASMSTART
	v_cvt_f32_f16 v37, v37;
	;;#ASMEND
	;;#ASMSTART
	v_cvt_f32_f16 v36, v36;
	;;#ASMEND
	v_lshlrev_b32_e32 v22, 2, v22
	v_cmp_lt_i32_e64 s[0:1], v18, v11
	s_waitcnt vmcnt(23)
	v_lshrrev_b32_e32 v8, 16, v30
	v_and_b32_e32 v9, 0xffff, v30
	;;#ASMSTART
	v_cvt_f32_f16 v30, v9;
	;;#ASMEND
	;;#ASMSTART
	v_cvt_f32_f16 v47, v8;
	;;#ASMEND
	ds_read_b32 v8, v13 offset:4
	s_waitcnt vmcnt(22)
	v_lshrrev_b32_e32 v9, 16, v29
	v_and_b32_e32 v29, 0xffff, v29
	s_waitcnt vmcnt(21)
	v_lshrrev_b32_e32 v48, 16, v28
	v_and_b32_e32 v28, 0xffff, v28
	s_waitcnt lgkmcnt(0)
	v_lshrrev_b32_e32 v49, 16, v8
	v_and_b32_e32 v8, 0xffff, v8
	;;#ASMSTART
	v_cvt_f32_f16 v8, v8;
	;;#ASMEND
	;;#ASMSTART
	v_cvt_f32_f16 v49, v49;
	;;#ASMEND
	;;#ASMSTART
	v_cvt_f32_f16 v29, v29;
	;;#ASMEND
	;;#ASMSTART
	v_cvt_f32_f16 v9, v9;
	;;#ASMEND
	ds_read_b32 v50, v13 offset:8
	s_waitcnt vmcnt(20)
	v_lshrrev_b32_e32 v51, 16, v27
	v_and_b32_e32 v27, 0xffff, v27
	s_waitcnt vmcnt(19)
	v_lshrrev_b32_e32 v52, 16, v26
	v_and_b32_e32 v26, 0xffff, v26
	s_waitcnt lgkmcnt(0)
	v_lshrrev_b32_e32 v53, 16, v50
	v_and_b32_e32 v50, 0xffff, v50
	;;#ASMSTART
	v_cvt_f32_f16 v50, v50;
	;;#ASMEND
	;;#ASMSTART
	v_cvt_f32_f16 v53, v53;
	;;#ASMEND
	;; [unrolled: 3-line block ×4, first 2 shown]
	ds_read_b32 v54, v13 offset:12
	v_mul_f32_e32 v8, v8, v29
	s_waitcnt vmcnt(18)
	v_lshrrev_b32_e32 v55, 16, v25
	v_and_b32_e32 v25, 0xffff, v25
	v_fmac_f32_e32 v8, v37, v30
	s_waitcnt lgkmcnt(0)
	v_lshrrev_b32_e32 v57, 16, v54
	v_and_b32_e32 v54, 0xffff, v54
	;;#ASMSTART
	v_cvt_f32_f16 v54, v54;
	;;#ASMEND
	;;#ASMSTART
	v_cvt_f32_f16 v57, v57;
	;;#ASMEND
	;; [unrolled: 3-line block ×4, first 2 shown]
	ds_read_b32 v58, v13 offset:16
	v_mul_f32_e32 v9, v49, v9
	s_waitcnt vmcnt(17)
	v_lshrrev_b32_e32 v56, 16, v24
	v_and_b32_e32 v24, 0xffff, v24
	v_fmac_f32_e32 v9, v36, v47
	s_waitcnt lgkmcnt(0)
	v_lshrrev_b32_e32 v29, 16, v58
	v_and_b32_e32 v58, 0xffff, v58
	;;#ASMSTART
	v_cvt_f32_f16 v58, v58;
	;;#ASMEND
	;;#ASMSTART
	v_cvt_f32_f16 v29, v29;
	;;#ASMEND
	;; [unrolled: 3-line block ×4, first 2 shown]
	ds_read_b32 v61, v13 offset:20
	v_fmac_f32_e32 v8, v50, v28
	s_waitcnt vmcnt(16)
	v_lshrrev_b32_e32 v59, 16, v23
	v_and_b32_e32 v23, 0xffff, v23
	v_fmac_f32_e32 v9, v53, v48
	s_waitcnt lgkmcnt(0)
	v_lshrrev_b32_e32 v30, 16, v61
	v_and_b32_e32 v37, 0xffff, v61
	;;#ASMSTART
	v_cvt_f32_f16 v37, v37;
	;;#ASMEND
	;;#ASMSTART
	v_cvt_f32_f16 v30, v30;
	;;#ASMEND
	;;#ASMSTART
	v_cvt_f32_f16 v25, v25;
	;;#ASMEND
	;;#ASMSTART
	v_cvt_f32_f16 v55, v55;
	;;#ASMEND
	ds_read_b32 v61, v13 offset:24
	s_waitcnt vmcnt(15)
	v_lshrrev_b32_e32 v60, 16, v21
	v_and_b32_e32 v21, 0xffff, v21
	v_fmac_f32_e32 v8, v54, v27
	v_fmac_f32_e32 v9, v57, v51
	s_waitcnt lgkmcnt(0)
	v_lshrrev_b32_e32 v28, 16, v61
	v_and_b32_e32 v47, 0xffff, v61
	;;#ASMSTART
	v_cvt_f32_f16 v47, v47;
	;;#ASMEND
	;;#ASMSTART
	v_cvt_f32_f16 v28, v28;
	;;#ASMEND
	;;#ASMSTART
	v_cvt_f32_f16 v24, v24;
	;;#ASMEND
	;;#ASMSTART
	v_cvt_f32_f16 v50, v56;
	;;#ASMEND
	ds_read_b32 v56, v13 offset:28
	s_waitcnt vmcnt(14)
	v_lshrrev_b32_e32 v49, 16, v20
	v_and_b32_e32 v20, 0xffff, v20
	v_fmac_f32_e32 v8, v58, v26
	;; [unrolled: 21-line block ×3, first 2 shown]
	s_waitcnt vmcnt(12)
	v_lshrrev_b32_e32 v61, 16, v39
	s_waitcnt lgkmcnt(0)
	v_lshrrev_b32_e32 v51, 16, v59
	v_and_b32_e32 v54, 0xffff, v59
	;;#ASMSTART
	v_cvt_f32_f16 v54, v54;
	;;#ASMEND
	;;#ASMSTART
	v_cvt_f32_f16 v51, v51;
	;;#ASMEND
	;;#ASMSTART
	v_cvt_f32_f16 v21, v21;
	;;#ASMEND
	;;#ASMSTART
	v_cvt_f32_f16 v57, v60;
	;;#ASMEND
	ds_read_b32 v59, v13 offset:36
	v_and_b32_e32 v39, 0xffff, v39
	v_fmac_f32_e32 v8, v47, v24
	v_fmac_f32_e32 v9, v30, v55
	s_waitcnt vmcnt(11)
	v_lshrrev_b32_e32 v27, 16, v40
	s_waitcnt lgkmcnt(0)
	v_lshrrev_b32_e32 v26, 16, v59
	v_and_b32_e32 v29, 0xffff, v59
	;;#ASMSTART
	v_cvt_f32_f16 v29, v29;
	;;#ASMEND
	;;#ASMSTART
	v_cvt_f32_f16 v26, v26;
	;;#ASMEND
	;; [unrolled: 3-line block ×4, first 2 shown]
	ds_read_b32 v52, v13 offset:40
	v_and_b32_e32 v40, 0xffff, v40
	v_fmac_f32_e32 v9, v28, v50
	s_waitcnt vmcnt(10)
	v_lshrrev_b32_e32 v60, 16, v41
	v_and_b32_e32 v41, 0xffff, v41
	s_waitcnt lgkmcnt(0)
	v_lshrrev_b32_e32 v25, 16, v52
	v_and_b32_e32 v37, 0xffff, v52
	;;#ASMSTART
	v_cvt_f32_f16 v37, v37;
	;;#ASMEND
	;;#ASMSTART
	v_cvt_f32_f16 v25, v25;
	;;#ASMEND
	;;#ASMSTART
	v_cvt_f32_f16 v38, v38;
	;;#ASMEND
	;;#ASMSTART
	v_cvt_f32_f16 v36, v36;
	;;#ASMEND
	ds_read_b32 v52, v13 offset:44
	v_fmac_f32_e32 v8, v53, v23
	v_fmac_f32_e32 v9, v48, v56
	s_waitcnt vmcnt(9)
	v_lshrrev_b32_e32 v58, 16, v42
	v_and_b32_e32 v42, 0xffff, v42
	s_waitcnt lgkmcnt(0)
	v_lshrrev_b32_e32 v24, 16, v52
	v_and_b32_e32 v47, 0xffff, v52
	;;#ASMSTART
	v_cvt_f32_f16 v47, v47;
	;;#ASMEND
	;;#ASMSTART
	v_cvt_f32_f16 v24, v24;
	;;#ASMEND
	;;#ASMSTART
	v_cvt_f32_f16 v39, v39;
	;;#ASMEND
	;;#ASMSTART
	v_cvt_f32_f16 v52, v61;
	;;#ASMEND
	ds_read_b32 v55, v13 offset:48
	v_fmac_f32_e32 v8, v54, v21
	;; [unrolled: 21-line block ×3, first 2 shown]
	s_waitcnt vmcnt(7)
	v_lshrrev_b32_e32 v30, 16, v44
	v_and_b32_e32 v44, 0xffff, v44
	v_fmac_f32_e32 v8, v37, v38
	s_waitcnt lgkmcnt(0)
	v_lshrrev_b32_e32 v48, 16, v55
	v_and_b32_e32 v53, 0xffff, v55
	;;#ASMSTART
	v_cvt_f32_f16 v53, v53;
	;;#ASMEND
	;;#ASMSTART
	v_cvt_f32_f16 v48, v48;
	;;#ASMEND
	;; [unrolled: 3-line block ×4, first 2 shown]
	ds_read_b32 v56, v13 offset:56
	v_fmac_f32_e32 v9, v26, v49
	s_waitcnt vmcnt(6)
	v_lshrrev_b32_e32 v61, 16, v45
	v_and_b32_e32 v45, 0xffff, v45
	v_fmac_f32_e32 v9, v25, v36
	s_waitcnt lgkmcnt(0)
	v_lshrrev_b32_e32 v21, 16, v56
	v_and_b32_e32 v51, 0xffff, v56
	;;#ASMSTART
	v_cvt_f32_f16 v51, v51;
	;;#ASMEND
	;;#ASMSTART
	v_cvt_f32_f16 v21, v21;
	;;#ASMEND
	;; [unrolled: 3-line block ×4, first 2 shown]
	ds_read_b32 v56, v13 offset:60
	v_fmac_f32_e32 v9, v24, v52
	s_waitcnt vmcnt(5)
	v_lshrrev_b32_e32 v23, 16, v46
	v_fmac_f32_e32 v9, v28, v27
	v_and_b32_e32 v46, 0xffff, v46
	s_waitcnt lgkmcnt(0)
	v_lshrrev_b32_e32 v20, 16, v56
	v_and_b32_e32 v29, 0xffff, v56
	;;#ASMSTART
	v_cvt_f32_f16 v29, v29;
	;;#ASMEND
	;;#ASMSTART
	v_cvt_f32_f16 v20, v20;
	;;#ASMEND
	;; [unrolled: 3-line block ×4, first 2 shown]
	ds_read_b32 v59, v13 offset:64
	v_fmac_f32_e32 v8, v47, v39
	v_fmac_f32_e32 v9, v48, v55
	s_waitcnt vmcnt(4)
	v_lshrrev_b32_e32 v60, 16, v35
	v_and_b32_e32 v35, 0xffff, v35
	s_waitcnt lgkmcnt(0)
	v_lshrrev_b32_e32 v37, 16, v59
	v_and_b32_e32 v38, 0xffff, v59
	;;#ASMSTART
	v_cvt_f32_f16 v38, v38;
	;;#ASMEND
	;;#ASMSTART
	v_cvt_f32_f16 v37, v37;
	;;#ASMEND
	;; [unrolled: 3-line block ×4, first 2 shown]
	ds_read_b32 v49, v13 offset:68
	v_fmac_f32_e32 v8, v50, v40
	v_fmac_f32_e32 v9, v21, v54
	v_fmac_f32_e32 v8, v53, v41
	v_fmac_f32_e32 v8, v51, v42
	s_waitcnt lgkmcnt(0)
	v_lshrrev_b32_e32 v25, 16, v49
	v_and_b32_e32 v36, 0xffff, v49
	;;#ASMSTART
	v_cvt_f32_f16 v36, v36;
	;;#ASMEND
	;;#ASMSTART
	v_cvt_f32_f16 v25, v25;
	;;#ASMEND
	;; [unrolled: 3-line block ×4, first 2 shown]
	ds_read_b32 v61, v13 offset:72
	s_waitcnt vmcnt(3)
	v_lshrrev_b32_e32 v57, 16, v34
	v_and_b32_e32 v34, 0xffff, v34
	v_fmac_f32_e32 v8, v29, v43
	v_fmac_f32_e32 v9, v20, v56
	s_waitcnt lgkmcnt(0)
	v_lshrrev_b32_e32 v24, 16, v61
	v_and_b32_e32 v27, 0xffff, v61
	;;#ASMSTART
	v_cvt_f32_f16 v27, v27;
	;;#ASMEND
	;;#ASMSTART
	v_cvt_f32_f16 v24, v24;
	;;#ASMEND
	;; [unrolled: 3-line block ×4, first 2 shown]
	ds_read_b32 v39, v13 offset:76
	v_fmac_f32_e32 v9, v37, v30
	v_fmac_f32_e32 v8, v38, v44
	;; [unrolled: 1-line block ×4, first 2 shown]
	s_waitcnt lgkmcnt(0)
	v_lshrrev_b32_e32 v21, 16, v39
	v_and_b32_e32 v39, 0xffff, v39
	;;#ASMSTART
	v_cvt_f32_f16 v39, v39;
	;;#ASMEND
	;;#ASMSTART
	v_cvt_f32_f16 v21, v21;
	;;#ASMEND
	;; [unrolled: 3-line block ×4, first 2 shown]
	ds_read_b32 v41, v13 offset:80
	v_fmac_f32_e32 v9, v24, v23
	s_waitcnt vmcnt(2)
	v_lshrrev_b32_e32 v58, 16, v33
	v_and_b32_e32 v33, 0xffff, v33
	v_fmac_f32_e32 v8, v27, v28
	s_waitcnt lgkmcnt(0)
	v_lshrrev_b32_e32 v20, 16, v41
	v_and_b32_e32 v29, 0xffff, v41
	;;#ASMSTART
	v_cvt_f32_f16 v29, v29;
	;;#ASMEND
	;;#ASMSTART
	v_cvt_f32_f16 v20, v20;
	;;#ASMEND
	;; [unrolled: 3-line block ×4, first 2 shown]
	ds_read_b32 v37, v13 offset:84
	v_fmac_f32_e32 v9, v21, v40
	s_waitcnt vmcnt(1)
	v_lshrrev_b32_e32 v26, 16, v32
	v_fmac_f32_e32 v8, v39, v35
	v_fmac_f32_e32 v9, v20, v34
	s_waitcnt lgkmcnt(0)
	v_lshrrev_b32_e32 v23, 16, v37
	v_and_b32_e32 v24, 0xffff, v37
	;;#ASMSTART
	v_cvt_f32_f16 v24, v24;
	;;#ASMEND
	;;#ASMSTART
	v_cvt_f32_f16 v23, v23;
	;;#ASMEND
	;; [unrolled: 3-line block ×4, first 2 shown]
	ds_read_b32 v28, v13 offset:88
	v_and_b32_e32 v32, 0xffff, v32
	v_fmac_f32_e32 v8, v29, v30
	v_fmac_f32_e32 v8, v24, v25
	;; [unrolled: 1-line block ×3, first 2 shown]
	s_waitcnt lgkmcnt(0)
	v_lshrrev_b32_e32 v20, 16, v28
	v_and_b32_e32 v21, 0xffff, v28
	;;#ASMSTART
	v_cvt_f32_f16 v21, v21;
	;;#ASMEND
	;;#ASMSTART
	v_cvt_f32_f16 v20, v20;
	;;#ASMEND
	;; [unrolled: 3-line block ×4, first 2 shown]
	ds_read_b32 v29, v13 offset:92
	v_fmac_f32_e32 v8, v21, v28
	v_fmac_f32_e32 v9, v20, v26
	s_waitcnt vmcnt(0)
	v_lshrrev_b32_e32 v59, 16, v31
	v_and_b32_e32 v31, 0xffff, v31
	s_waitcnt lgkmcnt(0)
	v_lshrrev_b32_e32 v20, 16, v29
	v_and_b32_e32 v21, 0xffff, v29
	;;#ASMSTART
	v_cvt_f32_f16 v21, v21;
	;;#ASMEND
	;;#ASMSTART
	v_cvt_f32_f16 v20, v20;
	;;#ASMEND
	;; [unrolled: 3-line block ×4, first 2 shown]
	s_nop 0
	v_fmac_f32_e32 v8, v21, v23
	v_fmac_f32_e32 v9, v20, v24
	v_add_f32_e32 v8, v8, v9
	ds_bpermute_b32 v9, v22, v8
	v_cndmask_b32_e64 v20, v10, v18, s[0:1]
	s_waitcnt lgkmcnt(0)
	v_add_f32_e32 v8, v8, v9
	v_lshlrev_b32_e32 v9, 2, v20
	ds_bpermute_b32 v9, v9, v8
	s_and_saveexec_b64 s[38:39], vcc
	s_cbranch_execz .LBB106_9
; %bb.11:                               ;   in Loop: Header=BB106_10 Depth=1
	v_add_u32_e32 v20, s15, v15
	v_cvt_f32_i32_e32 v20, v20
	s_waitcnt lgkmcnt(0)
	v_add_f32_e32 v8, v8, v9
	v_cmp_gt_i32_e64 s[0:1], s25, v15
	v_max_f32_e32 v9, v12, v12
	v_mul_f32_e32 v20, s10, v20
	v_cndmask_b32_e64 v20, 0, v20, s[6:7]
	v_fmac_f32_e32 v20, s11, v8
	v_cndmask_b32_e64 v8, 0, v20, s[0:1]
	ds_write_b32 v16, v8
	v_max_f32_e32 v8, v9, v20
	v_cndmask_b32_e64 v12, v12, v8, s[0:1]
	s_branch .LBB106_9
.LBB106_12:
	s_or_b64 exec, exec, s[36:37]
.LBB106_13:
	s_or_b64 exec, exec, s[34:35]
	v_xor_b32_e32 v2, 32, v10
	v_cmp_lt_i32_e32 vcc, v2, v11
	v_xor_b32_e32 v5, 16, v10
	v_max_f32_e32 v4, v12, v12
	v_cndmask_b32_e32 v2, v10, v2, vcc
	v_lshlrev_b32_e32 v2, 2, v2
	ds_bpermute_b32 v3, v2, v12
	v_cmp_lt_i32_e32 vcc, v5, v11
	v_xor_b32_e32 v8, 8, v10
	v_and_b32_e32 v26, 63, v0
	s_waitcnt lgkmcnt(0)
	v_max_f32_e32 v3, v3, v3
	v_max_f32_e32 v4, v4, v3
	v_cndmask_b32_e32 v3, v10, v5, vcc
	v_lshlrev_b32_e32 v3, 2, v3
	ds_bpermute_b32 v5, v3, v4
	v_cmp_lt_i32_e32 vcc, v8, v11
	s_waitcnt lgkmcnt(0)
	v_max_f32_e32 v5, v5, v5
	v_max_f32_e32 v4, v4, v5
	v_cndmask_b32_e32 v5, v10, v8, vcc
	v_lshlrev_b32_e32 v9, 2, v5
	ds_bpermute_b32 v5, v9, v4
	v_xor_b32_e32 v8, 4, v10
	v_cmp_lt_i32_e32 vcc, v8, v11
	s_waitcnt lgkmcnt(0)
	v_max_f32_e32 v5, v5, v5
	v_max_f32_e32 v4, v4, v5
	v_cndmask_b32_e32 v5, v10, v8, vcc
	v_lshlrev_b32_e32 v12, 2, v5
	ds_bpermute_b32 v8, v12, v4
	v_cmp_eq_u32_e32 vcc, 0, v26
	v_lshlrev_b32_e32 v5, 2, v1
	s_and_saveexec_b64 s[0:1], vcc
	s_cbranch_execz .LBB106_15
; %bb.14:
	s_waitcnt lgkmcnt(0)
	v_max_f32_e32 v8, v8, v8
	v_max_f32_e32 v4, v4, v4
	;; [unrolled: 1-line block ×3, first 2 shown]
	ds_write_b32 v5, v4 offset:384
.LBB106_15:
	s_or_b64 exec, exec, s[0:1]
	v_cmp_gt_u32_e64 s[0:1], 2, v26
	v_mov_b32_e32 v4, 0xff7fffff
	s_waitcnt lgkmcnt(0)
	v_lshlrev_b32_e32 v8, 2, v26
	s_barrier
	s_and_saveexec_b64 s[6:7], s[0:1]
	s_cbranch_execz .LBB106_17
; %bb.16:
	ds_read_b32 v4, v8 offset:384
.LBB106_17:
	s_or_b64 exec, exec, s[6:7]
	v_xor_b32_e32 v13, 1, v10
	v_cmp_lt_i32_e64 s[6:7], v13, v11
	s_sub_i32 s3, s33, s3
	s_lshl_b32 s3, s3, 4
	v_cndmask_b32_e64 v13, v10, v13, s[6:7]
	v_lshlrev_b32_e32 v27, 2, v13
	s_waitcnt lgkmcnt(0)
	ds_bpermute_b32 v13, v27, v4
	v_max_f32_e32 v4, v4, v4
	s_add_i32 s3, s3, s40
	s_min_i32 s15, s3, s25
	s_sub_i32 s3, s15, s40
	s_waitcnt lgkmcnt(0)
	v_max_f32_e32 v13, v13, v13
	v_max_f32_e32 v4, v4, v13
	v_lshlrev_b32_e32 v13, 2, v10
	v_and_b32_e32 v13, 0xffffff00, v13
	ds_bpermute_b32 v4, v13, v4
	v_cmp_gt_i32_e64 s[6:7], s3, v0
	v_mov_b32_e32 v15, 0
	s_and_saveexec_b64 s[34:35], s[6:7]
	s_cbranch_execz .LBB106_21
; %bb.18:
	v_mov_b32_e32 v15, 0x190
	v_lshl_add_u32 v16, v0, 2, v15
	s_mov_b64 s[36:37], 0
	v_mov_b32_e32 v15, 0
	v_mov_b32_e32 v17, v0
.LBB106_19:                             ; =>This Inner Loop Header: Depth=1
	ds_read_b32 v18, v16
	v_add_u32_e32 v17, 0x80, v17
	v_cmp_le_i32_e64 s[10:11], s3, v17
	s_or_b64 s[36:37], s[10:11], s[36:37]
	s_waitcnt lgkmcnt(0)
	v_sub_f32_e32 v18, v18, v4
	v_mul_f32_e32 v18, 0x3fb8aa3b, v18
	v_exp_f32_e32 v18, v18
	ds_write_b32 v16, v18
	v_add_f32_e32 v15, v15, v18
	v_add_u32_e32 v16, 0x200, v16
	s_andn2_b64 exec, exec, s[36:37]
	s_cbranch_execnz .LBB106_19
; %bb.20:
	s_or_b64 exec, exec, s[36:37]
.LBB106_21:
	s_or_b64 exec, exec, s[34:35]
	ds_bpermute_b32 v2, v2, v15
	s_waitcnt lgkmcnt(0)
	v_add_f32_e32 v2, v15, v2
	ds_bpermute_b32 v3, v3, v2
	s_waitcnt lgkmcnt(0)
	v_add_f32_e32 v2, v2, v3
	ds_bpermute_b32 v3, v9, v2
	v_xor_b32_e32 v9, 2, v10
	v_cmp_lt_i32_e64 s[10:11], v9, v11
	s_waitcnt lgkmcnt(0)
	v_add_f32_e32 v2, v2, v3
	ds_bpermute_b32 v3, v12, v2
	v_cndmask_b32_e64 v9, v10, v9, s[10:11]
	s_waitcnt lgkmcnt(0)
	v_add_f32_e32 v2, v2, v3
	v_lshlrev_b32_e32 v3, 2, v9
	ds_bpermute_b32 v3, v3, v2
	s_waitcnt lgkmcnt(0)
	v_add_f32_e32 v2, v2, v3
	ds_bpermute_b32 v3, v27, v2
	s_waitcnt lgkmcnt(0)
	v_add_f32_e32 v2, v2, v3
	s_and_saveexec_b64 s[10:11], vcc
	s_cbranch_execz .LBB106_23
; %bb.22:
	ds_write_b32 v5, v2 offset:392
.LBB106_23:
	s_or_b64 exec, exec, s[10:11]
	s_waitcnt lgkmcnt(0)
	s_barrier
	s_and_saveexec_b64 s[10:11], s[0:1]
	s_cbranch_execz .LBB106_25
; %bb.24:
	ds_read_b32 v2, v8 offset:392
.LBB106_25:
	s_or_b64 exec, exec, s[10:11]
	s_waitcnt lgkmcnt(0)
	ds_bpermute_b32 v3, v27, v2
	s_waitcnt lgkmcnt(0)
	v_add_f32_e32 v2, v2, v3
	ds_bpermute_b32 v5, v13, v2
	s_and_saveexec_b64 s[0:1], s[6:7]
	s_cbranch_execz .LBB106_38
; %bb.26:
	s_waitcnt lgkmcnt(0)
	v_add_f32_e32 v2, 0x358637bd, v5
	v_div_scale_f32 v3, s[6:7], v2, v2, 1.0
	v_rcp_f32_e32 v8, v3
	v_div_scale_f32 v9, vcc, 1.0, v2, 1.0
	s_movk_i32 s6, 0x7f
	v_fma_f32 v10, -v3, v8, 1.0
	v_fmac_f32_e32 v8, v10, v8
	v_mul_f32_e32 v10, v9, v8
	v_fma_f32 v11, -v3, v10, v9
	v_fmac_f32_e32 v10, v11, v8
	v_fma_f32 v3, -v3, v10, v9
	v_div_fmas_f32 v3, v3, v8, v10
	v_div_fixup_f32 v2, v3, v2, 1.0
	v_xad_u32 v3, v0, -1, s15
	v_subrev_u32_e32 v8, s40, v3
	v_cmp_lt_u32_e32 vcc, s6, v8
	s_mov_b64 s[10:11], -1
	v_mov_b32_e32 v3, v0
	s_and_saveexec_b64 s[6:7], vcc
	s_cbranch_execz .LBB106_35
; %bb.27:
	v_lshrrev_b32_e32 v8, 7, v8
	v_add_u32_e32 v10, -1, v8
	v_lshrrev_b32_e32 v9, 1, v10
	v_mov_b32_e32 v3, v2
	v_add_u32_e32 v9, 1, v9
	v_cmp_lt_u32_e32 vcc, 13, v10
	v_mov_b32_e32 v12, 0
	s_and_saveexec_b64 s[10:11], vcc
	s_cbranch_execz .LBB106_31
; %bb.28:
	v_mov_b32_e32 v11, 0x190
	v_and_b32_e32 v10, -8, v9
	v_lshl_add_u32 v11, v0, 2, v11
	s_mov_b32 s15, 0
	s_mov_b64 s[34:35], 0
.LBB106_29:                             ; =>This Inner Loop Header: Depth=1
	ds_read2st64_b32 v[12:13], v11 offset1:2
	ds_read2st64_b32 v[16:17], v11 offset0:4 offset1:6
	ds_read2st64_b32 v[18:19], v11 offset0:8 offset1:10
	;; [unrolled: 1-line block ×3, first 2 shown]
	v_add_u32_e32 v10, -8, v10
	s_waitcnt lgkmcnt(3)
	v_pk_mul_f32 v[12:13], v[2:3], v[12:13]
	s_waitcnt lgkmcnt(2)
	v_pk_mul_f32 v[16:17], v[2:3], v[16:17]
	ds_write2st64_b32 v11, v12, v13 offset1:2
	ds_write2st64_b32 v11, v16, v17 offset0:4 offset1:6
	ds_read2st64_b32 v[16:17], v11 offset0:16 offset1:18
	s_waitcnt lgkmcnt(4)
	v_pk_mul_f32 v[12:13], v[2:3], v[18:19]
	ds_write2st64_b32 v11, v12, v13 offset0:8 offset1:10
	s_waitcnt lgkmcnt(4)
	v_pk_mul_f32 v[12:13], v[2:3], v[20:21]
	ds_write2st64_b32 v11, v12, v13 offset0:12 offset1:14
	ds_read2st64_b32 v[12:13], v11 offset0:20 offset1:22
	s_waitcnt lgkmcnt(3)
	v_pk_mul_f32 v[16:17], v[2:3], v[16:17]
	ds_read2st64_b32 v[18:19], v11 offset0:24 offset1:26
	ds_write2st64_b32 v11, v16, v17 offset0:16 offset1:18
	ds_read2st64_b32 v[16:17], v11 offset0:28 offset1:30
	s_waitcnt lgkmcnt(3)
	v_pk_mul_f32 v[12:13], v[2:3], v[12:13]
	ds_write2st64_b32 v11, v12, v13 offset0:20 offset1:22
	s_waitcnt lgkmcnt(3)
	v_pk_mul_f32 v[12:13], v[2:3], v[18:19]
	ds_write2st64_b32 v11, v12, v13 offset0:24 offset1:26
	s_waitcnt lgkmcnt(2)
	v_pk_mul_f32 v[12:13], v[2:3], v[16:17]
	s_add_i32 s15, s15, 16
	v_cmp_eq_u32_e32 vcc, 0, v10
	ds_write2st64_b32 v11, v12, v13 offset0:28 offset1:30
	v_add_u32_e32 v11, 0x2000, v11
	s_or_b64 s[34:35], vcc, s[34:35]
	v_mov_b32_e32 v12, s15
	s_andn2_b64 exec, exec, s[34:35]
	s_cbranch_execnz .LBB106_29
; %bb.30:
	s_or_b64 exec, exec, s[34:35]
.LBB106_31:
	s_or_b64 exec, exec, s[10:11]
	v_and_b32_e32 v9, 7, v9
	v_cmp_ne_u32_e32 vcc, 0, v9
	s_and_saveexec_b64 s[10:11], vcc
	s_cbranch_execz .LBB106_34
; %bb.32:
	v_lshlrev_b32_e32 v10, 9, v12
	v_lshlrev_b32_e32 v11, 2, v0
	s_movk_i32 s15, 0x190
	v_add3_u32 v10, v10, v11, s15
	s_mov_b64 s[34:35], 0
.LBB106_33:                             ; =>This Inner Loop Header: Depth=1
	ds_read2st64_b32 v[12:13], v10 offset1:2
	v_add_u32_e32 v9, -1, v9
	v_cmp_eq_u32_e32 vcc, 0, v9
	s_or_b64 s[34:35], vcc, s[34:35]
	s_waitcnt lgkmcnt(0)
	v_pk_mul_f32 v[12:13], v[2:3], v[12:13]
	ds_write2st64_b32 v10, v12, v13 offset1:2
	v_add_u32_e32 v10, 0x400, v10
	s_andn2_b64 exec, exec, s[34:35]
	s_cbranch_execnz .LBB106_33
.LBB106_34:
	s_or_b64 exec, exec, s[10:11]
	v_add_u32_e32 v8, 1, v8
	v_and_b32_e32 v9, 0x3fffffe, v8
	v_cmp_ne_u32_e32 vcc, v8, v9
	v_lshl_add_u32 v3, v9, 7, v0
	s_orn2_b64 s[10:11], vcc, exec
.LBB106_35:
	s_or_b64 exec, exec, s[6:7]
	s_and_b64 exec, exec, s[10:11]
	s_cbranch_execz .LBB106_38
; %bb.36:
	v_mov_b32_e32 v8, 0x190
	v_lshl_add_u32 v8, v3, 2, v8
	s_mov_b64 s[6:7], 0
.LBB106_37:                             ; =>This Inner Loop Header: Depth=1
	ds_read_b32 v9, v8
	v_add_u32_e32 v3, 0x80, v3
	v_cmp_le_i32_e32 vcc, s3, v3
	s_or_b64 s[6:7], vcc, s[6:7]
	s_waitcnt lgkmcnt(0)
	v_mul_f32_e32 v9, v2, v9
	ds_write_b32 v8, v9
	v_add_u32_e32 v8, 0x200, v8
	s_andn2_b64 exec, exec, s[6:7]
	s_cbranch_execnz .LBB106_37
.LBB106_38:
	s_or_b64 exec, exec, s[0:1]
	s_mul_i32 s0, s21, s24
	v_cmp_eq_u32_e32 vcc, 0, v0
	s_mul_i32 s6, s0, s5
	s_waitcnt lgkmcnt(0)
	s_barrier
	s_and_saveexec_b64 s[0:1], vcc
	s_cbranch_execz .LBB106_40
; %bb.39:
	s_ashr_i32 s7, s6, 31
	s_lshl_b64 s[10:11], s[6:7], 2
	s_add_u32 s5, s18, s10
	s_mul_i32 s2, s21, s2
	s_addc_u32 s7, s19, s11
	s_ashr_i32 s3, s2, 31
	s_lshl_b64 s[2:3], s[2:3], 2
	s_add_u32 s15, s5, s2
	s_addc_u32 s7, s7, s3
	s_ashr_i32 s5, s4, 31
	s_lshl_b64 s[18:19], s[4:5], 2
	s_add_u32 s34, s15, s18
	s_addc_u32 s35, s7, s19
	s_add_u32 s5, s16, s10
	s_addc_u32 s7, s17, s11
	;; [unrolled: 2-line block ×3, first 2 shown]
	s_add_u32 s2, s2, s18
	v_mov_b32_e32 v2, 0
	s_addc_u32 s3, s3, s19
	global_store_dword v2, v4, s[34:35]
	global_store_dword v2, v5, s[2:3]
.LBB106_40:
	s_or_b64 exec, exec, s[0:1]
	v_mov_b32_e32 v9, 0
	v_and_b32_e32 v28, 1, v0
	v_mov_b32_e32 v8, 0
	v_mov_b32_e32 v11, 0
	;; [unrolled: 1-line block ×5, first 2 shown]
	s_and_saveexec_b64 s[2:3], s[8:9]
	s_cbranch_execz .LBB106_56
; %bb.41:
	s_ashr_i32 s15, s14, 31
	s_lshl_b64 s[0:1], s[14:15], 1
	v_lshlrev_b32_e32 v2, 3, v0
	s_add_u32 s8, s30, s0
	v_and_b32_e32 v3, 8, v2
	s_addc_u32 s9, s31, s1
	s_add_i32 s7, s12, -1
	s_lshl_b64 s[0:1], s[28:29], 2
	v_and_b32_e32 v2, 0x1f8, v2
	v_add3_u32 v29, s40, v14, v3
	v_lshlrev_b32_e32 v3, 5, v28
	s_add_u32 s0, s26, s0
	v_mov_b32_e32 v15, 0
	v_or_b32_e32 v4, 0x800, v2
	v_or_b32_e32 v8, 0xa00, v2
	v_lshl_or_b32 v1, v1, 6, v3
	s_addc_u32 s1, s27, s1
	s_mov_b32 s5, s13
	s_mov_b32 s14, s25
	;; [unrolled: 1-line block ×8, first 2 shown]
	v_add_u32_e32 v1, 0x190, v1
	v_lshl_add_u64 v[16:17], v[6:7], 2, s[0:1]
	s_mov_b64 s[10:11], 0
	v_lshlrev_b32_e32 v18, 1, v2
	v_mov_b32_e32 v19, v15
	s_mov_b32 s26, 0x5040100
	v_lshlrev_b32_e32 v14, 1, v4
	v_lshlrev_b32_e32 v20, 1, v8
	v_mov_b32_e32 v12, v15
	v_mov_b32_e32 v13, v15
	;; [unrolled: 1-line block ×6, first 2 shown]
	s_branch .LBB106_43
.LBB106_42:                             ;   in Loop: Header=BB106_43 Depth=1
	s_or_b64 exec, exec, s[0:1]
	s_waitcnt vmcnt(0)
	;;#ASMSTART
	v_pk_mul_f16 v2, v39, v2;

	;;#ASMEND
	;;#ASMSTART
	v_pk_mul_f16 v3, v38, v3;

	;;#ASMEND
	;; [unrolled: 4-line block ×4, first 2 shown]
	v_add_f32_e32 v7, v40, v41
	;;#ASMSTART
	v_pk_add_f16 v2, v2, v3;

	;;#ASMEND
	v_add_f32_e32 v12, v12, v7
	;;#ASMSTART
	v_pk_add_f16 v2, v2, v4;

	;;#ASMEND
	;; [unrolled: 5-line block ×3, first 2 shown]
	v_add_f32_e32 v13, v13, v7
	v_add_f32_e32 v7, v44, v45
	v_lshrrev_b32_e32 v3, 16, v2
	v_and_b32_e32 v2, 0xffff, v2
	v_add_f32_e32 v10, v10, v7
	v_add_f32_e32 v7, v24, v25
	;;#ASMSTART
	v_cvt_f32_f16 v2, v2;
	;;#ASMEND
	v_add_u32_e32 v6, 2, v6
	v_add_f32_e32 v11, v11, v7
	v_add_f32_e32 v7, v46, v47
	;;#ASMSTART
	v_cvt_f32_f16 v3, v3;
	;;#ASMEND
	v_cmp_le_i32_e32 vcc, s33, v6
	v_add_f32_e32 v2, v2, v3
	v_add_f32_e32 v8, v8, v7
	;; [unrolled: 1-line block ×3, first 2 shown]
	v_add_u32_e32 v29, 32, v29
	v_add_u32_e32 v1, 0x80, v1
	s_or_b64 s[10:11], vcc, s[10:11]
	v_lshl_add_u64 v[16:17], v[16:17], 0, 8
	s_andn2_b64 exec, exec, s[10:11]
	s_cbranch_execz .LBB106_55
.LBB106_43:                             ; =>This Inner Loop Header: Depth=1
	global_load_dword v7, v[16:17], off
	ds_read2_b64 v[2:5], v1 offset1:1
	ds_read2_b64 v[22:25], v1 offset0:2 offset1:3
	v_cmp_eq_u32_e32 vcc, s7, v6
	v_or_b32_e32 v31, 3, v29
	s_waitcnt lgkmcnt(1)
	;;#ASMSTART
	v_cvt_f16_f32 v21, v2;

	;;#ASMEND
	;;#ASMSTART
	v_cvt_f16_f32 v34, v3;

	;;#ASMEND
	;; [unrolled: 4-line block ×4, first 2 shown]
	s_waitcnt lgkmcnt(0)
	;;#ASMSTART
	v_cvt_f16_f32 v40, v22;

	;;#ASMEND
	;;#ASMSTART
	v_cvt_f16_f32 v41, v23;

	;;#ASMEND
	;; [unrolled: 4-line block ×4, first 2 shown]
	v_or_b32_e32 v30, 2, v29
	v_or_b32_e32 v33, 5, v29
	;; [unrolled: 1-line block ×5, first 2 shown]
	s_waitcnt vmcnt(0)
	v_mad_i64_i32 v[2:3], s[0:1], v7, s5, 0
	v_lshl_add_u64 v[22:23], v[2:3], 1, s[8:9]
	v_lshl_add_u64 v[24:25], v[22:23], 0, v[18:19]
	global_load_dwordx4 v[2:5], v[24:25], off
	v_add_u32_e32 v7, 1, v29
	s_and_saveexec_b64 s[12:13], vcc
	s_cbranch_execz .LBB106_45
; %bb.44:                               ;   in Loop: Header=BB106_43 Depth=1
	s_waitcnt vmcnt(0)
	v_lshrrev_b32_e32 v39, 16, v5
	v_cmp_gt_i32_e64 s[0:1], s24, v37
	s_nop 1
	v_cndmask_b32_e64 v39, 0, v39, s[0:1]
	v_cmp_gt_i32_e64 s[0:1], s19, v35
	s_nop 1
	v_cndmask_b32_e64 v5, 0, v5, s[0:1]
	v_perm_b32 v5, v39, v5, s26
	v_lshrrev_b32_e32 v39, 16, v4
	v_cmp_gt_i32_e64 s[0:1], s18, v33
	s_nop 1
	v_cndmask_b32_e64 v39, 0, v39, s[0:1]
	v_cmp_gt_i32_e64 s[0:1], s17, v32
	s_nop 1
	v_cndmask_b32_e64 v4, 0, v4, s[0:1]
	v_perm_b32 v4, v39, v4, s26
	;; [unrolled: 8-line block ×4, first 2 shown]
.LBB106_45:                             ;   in Loop: Header=BB106_43 Depth=1
	s_or_b64 exec, exec, s[12:13]
	v_and_b32_e32 v21, 0xffff, v21
	v_lshl_or_b32 v39, v34, 16, v21
	v_and_b32_e32 v21, 0xffff, v36
	v_lshl_or_b32 v38, v38, 16, v21
	;; [unrolled: 2-line block ×3, first 2 shown]
	v_and_b32_e32 v21, 0xffff, v42
	s_waitcnt vmcnt(0)
	;;#ASMSTART
	v_pk_mul_f16 v2, v39, v2;

	;;#ASMEND
	v_lshl_or_b32 v34, v43, 16, v21
	;;#ASMSTART
	v_pk_mul_f16 v3, v38, v3;

	;;#ASMEND
	;;#ASMSTART
	v_pk_mul_f16 v4, v36, v4;

	;;#ASMEND
	;; [unrolled: 4-line block ×3, first 2 shown]
	s_nop 0
	;;#ASMSTART
	v_pk_add_f16 v2, v2, v3;

	;;#ASMEND
	s_nop 0
	;;#ASMSTART
	v_pk_add_f16 v2, v2, v4;

	;;#ASMEND
	;; [unrolled: 5-line block ×3, first 2 shown]
	s_nop 0
	v_lshrrev_b32_e32 v3, 16, v2
	v_and_b32_e32 v2, 0xffff, v2
	;;#ASMSTART
	v_cvt_f32_f16 v40, v2;
	;;#ASMEND
	;;#ASMSTART
	v_cvt_f32_f16 v41, v3;
	;;#ASMEND
	global_load_dwordx4 v[2:5], v[24:25], off offset:1024
	s_and_saveexec_b64 s[12:13], vcc
	s_cbranch_execz .LBB106_47
; %bb.46:                               ;   in Loop: Header=BB106_43 Depth=1
	s_waitcnt vmcnt(0)
	v_lshrrev_b32_e32 v21, 16, v5
	v_cmp_gt_i32_e64 s[0:1], s24, v37
	s_nop 1
	v_cndmask_b32_e64 v21, 0, v21, s[0:1]
	v_cmp_gt_i32_e64 s[0:1], s19, v35
	s_nop 1
	v_cndmask_b32_e64 v5, 0, v5, s[0:1]
	v_perm_b32 v5, v21, v5, s26
	v_lshrrev_b32_e32 v21, 16, v4
	v_cmp_gt_i32_e64 s[0:1], s18, v33
	s_nop 1
	v_cndmask_b32_e64 v21, 0, v21, s[0:1]
	v_cmp_gt_i32_e64 s[0:1], s17, v32
	s_nop 1
	v_cndmask_b32_e64 v4, 0, v4, s[0:1]
	v_perm_b32 v4, v21, v4, s26
	;; [unrolled: 8-line block ×4, first 2 shown]
.LBB106_47:                             ;   in Loop: Header=BB106_43 Depth=1
	s_or_b64 exec, exec, s[12:13]
	s_waitcnt vmcnt(0)
	;;#ASMSTART
	v_pk_mul_f16 v2, v39, v2;

	;;#ASMEND
	;;#ASMSTART
	v_pk_mul_f16 v3, v38, v3;

	;;#ASMEND
	;; [unrolled: 4-line block ×4, first 2 shown]
	s_nop 0
	;;#ASMSTART
	v_pk_add_f16 v2, v2, v3;

	;;#ASMEND
	s_nop 0
	;;#ASMSTART
	v_pk_add_f16 v2, v2, v4;

	;;#ASMEND
	;; [unrolled: 5-line block ×3, first 2 shown]
	s_nop 0
	v_lshrrev_b32_e32 v3, 16, v2
	v_and_b32_e32 v2, 0xffff, v2
	;;#ASMSTART
	v_cvt_f32_f16 v42, v2;
	;;#ASMEND
	;;#ASMSTART
	v_cvt_f32_f16 v43, v3;
	;;#ASMEND
	global_load_dwordx4 v[2:5], v[24:25], off offset:2048
	s_and_saveexec_b64 s[12:13], vcc
	s_cbranch_execz .LBB106_49
; %bb.48:                               ;   in Loop: Header=BB106_43 Depth=1
	s_waitcnt vmcnt(0)
	v_lshrrev_b32_e32 v21, 16, v5
	v_cmp_gt_i32_e64 s[0:1], s24, v37
	s_nop 1
	v_cndmask_b32_e64 v21, 0, v21, s[0:1]
	v_cmp_gt_i32_e64 s[0:1], s19, v35
	s_nop 1
	v_cndmask_b32_e64 v5, 0, v5, s[0:1]
	v_perm_b32 v5, v21, v5, s26
	v_lshrrev_b32_e32 v21, 16, v4
	v_cmp_gt_i32_e64 s[0:1], s18, v33
	s_nop 1
	v_cndmask_b32_e64 v21, 0, v21, s[0:1]
	v_cmp_gt_i32_e64 s[0:1], s17, v32
	s_nop 1
	v_cndmask_b32_e64 v4, 0, v4, s[0:1]
	v_perm_b32 v4, v21, v4, s26
	;; [unrolled: 8-line block ×4, first 2 shown]
.LBB106_49:                             ;   in Loop: Header=BB106_43 Depth=1
	s_or_b64 exec, exec, s[12:13]
	s_waitcnt vmcnt(0)
	;;#ASMSTART
	v_pk_mul_f16 v2, v39, v2;

	;;#ASMEND
	;;#ASMSTART
	v_pk_mul_f16 v3, v38, v3;

	;;#ASMEND
	;; [unrolled: 4-line block ×4, first 2 shown]
	s_nop 0
	;;#ASMSTART
	v_pk_add_f16 v2, v2, v3;

	;;#ASMEND
	s_nop 0
	;;#ASMSTART
	v_pk_add_f16 v2, v2, v4;

	;;#ASMEND
	;; [unrolled: 5-line block ×3, first 2 shown]
	s_nop 0
	v_lshrrev_b32_e32 v3, 16, v2
	v_and_b32_e32 v2, 0xffff, v2
	;;#ASMSTART
	v_cvt_f32_f16 v44, v2;
	;;#ASMEND
	;;#ASMSTART
	v_cvt_f32_f16 v45, v3;
	;;#ASMEND
	global_load_dwordx4 v[2:5], v[24:25], off offset:3072
	s_and_saveexec_b64 s[12:13], vcc
	s_cbranch_execz .LBB106_51
; %bb.50:                               ;   in Loop: Header=BB106_43 Depth=1
	s_waitcnt vmcnt(0)
	v_lshrrev_b32_e32 v21, 16, v5
	v_cmp_gt_i32_e64 s[0:1], s24, v37
	s_nop 1
	v_cndmask_b32_e64 v21, 0, v21, s[0:1]
	v_cmp_gt_i32_e64 s[0:1], s19, v35
	s_nop 1
	v_cndmask_b32_e64 v5, 0, v5, s[0:1]
	v_perm_b32 v5, v21, v5, s26
	v_lshrrev_b32_e32 v21, 16, v4
	v_cmp_gt_i32_e64 s[0:1], s18, v33
	s_nop 1
	v_cndmask_b32_e64 v21, 0, v21, s[0:1]
	v_cmp_gt_i32_e64 s[0:1], s17, v32
	s_nop 1
	v_cndmask_b32_e64 v4, 0, v4, s[0:1]
	v_perm_b32 v4, v21, v4, s26
	;; [unrolled: 8-line block ×4, first 2 shown]
.LBB106_51:                             ;   in Loop: Header=BB106_43 Depth=1
	s_or_b64 exec, exec, s[12:13]
	s_waitcnt vmcnt(0)
	;;#ASMSTART
	v_pk_mul_f16 v2, v39, v2;

	;;#ASMEND
	;;#ASMSTART
	v_pk_mul_f16 v3, v38, v3;

	;;#ASMEND
	;; [unrolled: 4-line block ×4, first 2 shown]
	s_nop 0
	;;#ASMSTART
	v_pk_add_f16 v2, v2, v3;

	;;#ASMEND
	s_nop 0
	;;#ASMSTART
	v_pk_add_f16 v2, v2, v4;

	;;#ASMEND
	;; [unrolled: 5-line block ×3, first 2 shown]
	s_nop 0
	v_lshrrev_b32_e32 v3, 16, v2
	v_and_b32_e32 v2, 0xffff, v2
	;;#ASMSTART
	v_cvt_f32_f16 v24, v2;
	;;#ASMEND
	;;#ASMSTART
	v_cvt_f32_f16 v25, v3;
	;;#ASMEND
	v_lshl_add_u64 v[2:3], v[22:23], 0, v[14:15]
	global_load_dwordx4 v[2:5], v[2:3], off
	s_and_saveexec_b64 s[12:13], vcc
	s_cbranch_execz .LBB106_53
; %bb.52:                               ;   in Loop: Header=BB106_43 Depth=1
	s_waitcnt vmcnt(0)
	v_lshrrev_b32_e32 v21, 16, v5
	v_cmp_gt_i32_e64 s[0:1], s24, v37
	s_nop 1
	v_cndmask_b32_e64 v21, 0, v21, s[0:1]
	v_cmp_gt_i32_e64 s[0:1], s19, v35
	s_nop 1
	v_cndmask_b32_e64 v5, 0, v5, s[0:1]
	v_perm_b32 v5, v21, v5, s26
	v_lshrrev_b32_e32 v21, 16, v4
	v_cmp_gt_i32_e64 s[0:1], s18, v33
	s_nop 1
	v_cndmask_b32_e64 v21, 0, v21, s[0:1]
	v_cmp_gt_i32_e64 s[0:1], s17, v32
	s_nop 1
	v_cndmask_b32_e64 v4, 0, v4, s[0:1]
	v_perm_b32 v4, v21, v4, s26
	;; [unrolled: 8-line block ×4, first 2 shown]
.LBB106_53:                             ;   in Loop: Header=BB106_43 Depth=1
	s_or_b64 exec, exec, s[12:13]
	s_waitcnt vmcnt(0)
	;;#ASMSTART
	v_pk_mul_f16 v2, v39, v2;

	;;#ASMEND
	;;#ASMSTART
	v_pk_mul_f16 v3, v38, v3;

	;;#ASMEND
	;; [unrolled: 4-line block ×4, first 2 shown]
	v_mov_b32_e32 v21, v15
	;;#ASMSTART
	v_pk_add_f16 v2, v2, v3;

	;;#ASMEND
	s_nop 0
	;;#ASMSTART
	v_pk_add_f16 v2, v2, v4;

	;;#ASMEND
	s_nop 0
	;; [unrolled: 5-line block ×3, first 2 shown]
	v_lshrrev_b32_e32 v3, 16, v2
	v_and_b32_e32 v2, 0xffff, v2
	;;#ASMSTART
	v_cvt_f32_f16 v46, v2;
	;;#ASMEND
	;;#ASMSTART
	v_cvt_f32_f16 v47, v3;
	;;#ASMEND
	v_lshl_add_u64 v[2:3], v[22:23], 0, v[20:21]
	global_load_dwordx4 v[2:5], v[2:3], off
	s_and_saveexec_b64 s[0:1], vcc
	s_cbranch_execz .LBB106_42
; %bb.54:                               ;   in Loop: Header=BB106_43 Depth=1
	s_waitcnt vmcnt(0)
	v_lshrrev_b32_e32 v21, 16, v5
	v_cmp_gt_i32_e32 vcc, s24, v37
	s_nop 1
	v_cndmask_b32_e32 v21, 0, v21, vcc
	v_cmp_gt_i32_e32 vcc, s19, v35
	s_nop 1
	v_cndmask_b32_e32 v5, 0, v5, vcc
	v_perm_b32 v5, v21, v5, s26
	v_lshrrev_b32_e32 v21, 16, v4
	v_cmp_gt_i32_e32 vcc, s18, v33
	s_nop 1
	v_cndmask_b32_e32 v21, 0, v21, vcc
	v_cmp_gt_i32_e32 vcc, s17, v32
	s_nop 1
	v_cndmask_b32_e32 v4, 0, v4, vcc
	v_perm_b32 v4, v21, v4, s26
	;; [unrolled: 8-line block ×4, first 2 shown]
	s_branch .LBB106_42
.LBB106_55:
	s_or_b64 exec, exec, s[10:11]
.LBB106_56:
	s_or_b64 exec, exec, s[2:3]
	ds_bpermute_b32 v2, v27, v12
	ds_bpermute_b32 v3, v27, v13
	;; [unrolled: 1-line block ×6, first 2 shown]
	v_and_b32_e32 v1, 0x3c1, v0
	s_waitcnt lgkmcnt(4)
	v_pk_add_f32 v[6:7], v[12:13], v[2:3]
	s_waitcnt lgkmcnt(2)
	v_pk_add_f32 v[4:5], v[10:11], v[4:5]
	v_cmp_eq_u32_e32 vcc, 64, v1
	s_waitcnt lgkmcnt(0)
	v_pk_add_f32 v[2:3], v[8:9], v[14:15]
	s_barrier
	s_and_saveexec_b64 s[0:1], vcc
	s_cbranch_execz .LBB106_58
; %bb.57:
	v_mov_b32_e32 v8, 0x190
	v_lshl_add_u32 v8, v26, 1, v8
	ds_write2_b32 v8, v6, v7 offset1:32
	ds_write2_b32 v8, v4, v5 offset0:64 offset1:96
	ds_write2_b32 v8, v2, v3 offset0:128 offset1:160
.LBB106_58:
	s_or_b64 exec, exec, s[0:1]
	v_cmp_gt_u32_e32 vcc, 64, v0
	s_waitcnt lgkmcnt(0)
	s_barrier
	s_and_saveexec_b64 s[0:1], vcc
	s_cbranch_execz .LBB106_67
; %bb.59:
	v_cmp_eq_u32_e32 vcc, 0, v28
	v_lshrrev_b32_e32 v8, 1, v0
	s_and_saveexec_b64 s[2:3], vcc
	s_cbranch_execnz .LBB106_70
; %bb.60:
	s_or_b64 exec, exec, s[2:3]
	s_and_saveexec_b64 s[2:3], vcc
	s_cbranch_execnz .LBB106_71
.LBB106_61:
	s_or_b64 exec, exec, s[2:3]
	s_and_saveexec_b64 s[2:3], vcc
	s_cbranch_execnz .LBB106_72
.LBB106_62:
	s_or_b64 exec, exec, s[2:3]
	s_and_saveexec_b64 s[2:3], vcc
	s_cbranch_execnz .LBB106_73
.LBB106_63:
	s_or_b64 exec, exec, s[2:3]
	s_and_saveexec_b64 s[2:3], vcc
	s_cbranch_execnz .LBB106_74
.LBB106_64:
	s_or_b64 exec, exec, s[2:3]
	s_and_saveexec_b64 s[2:3], vcc
	s_cbranch_execz .LBB106_66
.LBB106_65:
	v_mov_b32_e32 v9, 0x190
	v_lshl_add_u32 v8, v8, 2, v9
	ds_read_b32 v8, v8 offset:640
	s_waitcnt lgkmcnt(0)
	v_add_f32_e32 v3, v3, v8
.LBB106_66:
	s_or_b64 exec, exec, s[2:3]
.LBB106_67:
	s_or_b64 exec, exec, s[0:1]
	v_cmp_eq_u32_e32 vcc, 0, v1
	s_barrier
	s_and_saveexec_b64 s[0:1], vcc
	s_cbranch_execz .LBB106_69
; %bb.68:
	s_mul_i32 s0, s6, 0xc0
	s_ashr_i32 s1, s0, 31
	s_lshl_b64 s[0:1], s[0:1], 1
	s_add_u32 s2, s22, s0
	s_mul_i32 s0, s21, s20
	s_addc_u32 s3, s23, s1
	s_ashr_i32 s1, s0, 31
	s_lshl_b64 s[0:1], s[0:1], 1
	s_add_u32 s2, s2, s0
	s_mul_i32 s0, s4, 0xc0
	s_addc_u32 s3, s3, s1
	s_ashr_i32 s1, s0, 31
	s_lshl_b64 s[0:1], s[0:1], 1
	s_add_u32 s0, s2, s0
	s_addc_u32 s1, s3, s1
	;;#ASMSTART
	v_cvt_f16_f32 v1, v6;

	;;#ASMEND
	global_store_short v0, v1, s[0:1]
	;;#ASMSTART
	v_cvt_f16_f32 v1, v7;

	;;#ASMEND
	global_store_short v0, v1, s[0:1] offset:64
	;;#ASMSTART
	v_cvt_f16_f32 v1, v4;

	;;#ASMEND
	global_store_short v0, v1, s[0:1] offset:128
	;; [unrolled: 5-line block ×5, first 2 shown]
.LBB106_69:
	s_endpgm
.LBB106_70:
	v_mov_b32_e32 v9, 0x190
	v_lshl_add_u32 v9, v8, 2, v9
	ds_read_b32 v9, v9
	s_waitcnt lgkmcnt(0)
	v_add_f32_e32 v6, v6, v9
	s_or_b64 exec, exec, s[2:3]
	s_and_saveexec_b64 s[2:3], vcc
	s_cbranch_execz .LBB106_61
.LBB106_71:
	v_mov_b32_e32 v9, 0x190
	v_lshl_add_u32 v9, v8, 2, v9
	ds_read_b32 v9, v9 offset:128
	s_waitcnt lgkmcnt(0)
	v_add_f32_e32 v7, v7, v9
	s_or_b64 exec, exec, s[2:3]
	s_and_saveexec_b64 s[2:3], vcc
	s_cbranch_execz .LBB106_62
.LBB106_72:
	v_mov_b32_e32 v9, 0x190
	v_lshl_add_u32 v9, v8, 2, v9
	ds_read_b32 v9, v9 offset:256
	s_waitcnt lgkmcnt(0)
	v_add_f32_e32 v4, v4, v9
	s_or_b64 exec, exec, s[2:3]
	s_and_saveexec_b64 s[2:3], vcc
	s_cbranch_execz .LBB106_63
.LBB106_73:
	v_mov_b32_e32 v9, 0x190
	v_lshl_add_u32 v9, v8, 2, v9
	ds_read_b32 v9, v9 offset:384
	s_waitcnt lgkmcnt(0)
	v_add_f32_e32 v5, v5, v9
	s_or_b64 exec, exec, s[2:3]
	s_and_saveexec_b64 s[2:3], vcc
	s_cbranch_execz .LBB106_64
.LBB106_74:
	v_mov_b32_e32 v9, 0x190
	v_lshl_add_u32 v9, v8, 2, v9
	ds_read_b32 v9, v9 offset:512
	s_waitcnt lgkmcnt(0)
	v_add_f32_e32 v2, v2, v9
	s_or_b64 exec, exec, s[2:3]
	s_and_saveexec_b64 s[2:3], vcc
	s_cbranch_execnz .LBB106_65
	s_branch .LBB106_66
	.section	.rodata,"a",@progbits
	.p2align	6, 0x0
	.amdhsa_kernel _ZN4vllm25paged_attention_v2_kernelIttLi192ELi16ELi128ELNS_18Fp8KVCacheDataTypeE0ELb0ELi512EEEvPfS2_PT_PKS3_PKT0_S9_ifPKiSB_iPKfiiiSD_SD_iiiii
		.amdhsa_group_segment_fixed_size 400
		.amdhsa_private_segment_fixed_size 0
		.amdhsa_kernarg_size 400
		.amdhsa_user_sgpr_count 2
		.amdhsa_user_sgpr_dispatch_ptr 0
		.amdhsa_user_sgpr_queue_ptr 0
		.amdhsa_user_sgpr_kernarg_segment_ptr 1
		.amdhsa_user_sgpr_dispatch_id 0
		.amdhsa_user_sgpr_kernarg_preload_length 0
		.amdhsa_user_sgpr_kernarg_preload_offset 0
		.amdhsa_user_sgpr_private_segment_size 0
		.amdhsa_uses_dynamic_stack 0
		.amdhsa_enable_private_segment 0
		.amdhsa_system_sgpr_workgroup_id_x 1
		.amdhsa_system_sgpr_workgroup_id_y 1
		.amdhsa_system_sgpr_workgroup_id_z 1
		.amdhsa_system_sgpr_workgroup_info 0
		.amdhsa_system_vgpr_workitem_id 0
		.amdhsa_next_free_vgpr 62
		.amdhsa_next_free_sgpr 43
		.amdhsa_accum_offset 64
		.amdhsa_reserve_vcc 1
		.amdhsa_float_round_mode_32 0
		.amdhsa_float_round_mode_16_64 0
		.amdhsa_float_denorm_mode_32 3
		.amdhsa_float_denorm_mode_16_64 3
		.amdhsa_dx10_clamp 1
		.amdhsa_ieee_mode 1
		.amdhsa_fp16_overflow 0
		.amdhsa_tg_split 0
		.amdhsa_exception_fp_ieee_invalid_op 0
		.amdhsa_exception_fp_denorm_src 0
		.amdhsa_exception_fp_ieee_div_zero 0
		.amdhsa_exception_fp_ieee_overflow 0
		.amdhsa_exception_fp_ieee_underflow 0
		.amdhsa_exception_fp_ieee_inexact 0
		.amdhsa_exception_int_div_zero 0
	.end_amdhsa_kernel
	.section	.text._ZN4vllm25paged_attention_v2_kernelIttLi192ELi16ELi128ELNS_18Fp8KVCacheDataTypeE0ELb0ELi512EEEvPfS2_PT_PKS3_PKT0_S9_ifPKiSB_iPKfiiiSD_SD_iiiii,"axG",@progbits,_ZN4vllm25paged_attention_v2_kernelIttLi192ELi16ELi128ELNS_18Fp8KVCacheDataTypeE0ELb0ELi512EEEvPfS2_PT_PKS3_PKT0_S9_ifPKiSB_iPKfiiiSD_SD_iiiii,comdat
.Lfunc_end106:
	.size	_ZN4vllm25paged_attention_v2_kernelIttLi192ELi16ELi128ELNS_18Fp8KVCacheDataTypeE0ELb0ELi512EEEvPfS2_PT_PKS3_PKT0_S9_ifPKiSB_iPKfiiiSD_SD_iiiii, .Lfunc_end106-_ZN4vllm25paged_attention_v2_kernelIttLi192ELi16ELi128ELNS_18Fp8KVCacheDataTypeE0ELb0ELi512EEEvPfS2_PT_PKS3_PKT0_S9_ifPKiSB_iPKfiiiSD_SD_iiiii
                                        ; -- End function
	.section	.AMDGPU.csdata,"",@progbits
; Kernel info:
; codeLenInByte = 7896
; NumSgprs: 49
; NumVgprs: 62
; NumAgprs: 0
; TotalNumVgprs: 62
; ScratchSize: 0
; MemoryBound: 0
; FloatMode: 240
; IeeeMode: 1
; LDSByteSize: 400 bytes/workgroup (compile time only)
; SGPRBlocks: 6
; VGPRBlocks: 7
; NumSGPRsForWavesPerEU: 49
; NumVGPRsForWavesPerEU: 62
; AccumOffset: 64
; Occupancy: 8
; WaveLimiterHint : 1
; COMPUTE_PGM_RSRC2:SCRATCH_EN: 0
; COMPUTE_PGM_RSRC2:USER_SGPR: 2
; COMPUTE_PGM_RSRC2:TRAP_HANDLER: 0
; COMPUTE_PGM_RSRC2:TGID_X_EN: 1
; COMPUTE_PGM_RSRC2:TGID_Y_EN: 1
; COMPUTE_PGM_RSRC2:TGID_Z_EN: 1
; COMPUTE_PGM_RSRC2:TIDIG_COMP_CNT: 0
; COMPUTE_PGM_RSRC3_GFX90A:ACCUM_OFFSET: 15
; COMPUTE_PGM_RSRC3_GFX90A:TG_SPLIT: 0
	.section	.text._ZN4vllm25paged_attention_v2_kernelIttLi256ELi16ELi128ELNS_18Fp8KVCacheDataTypeE0ELb0ELi512EEEvPfS2_PT_PKS3_PKT0_S9_ifPKiSB_iPKfiiiSD_SD_iiiii,"axG",@progbits,_ZN4vllm25paged_attention_v2_kernelIttLi256ELi16ELi128ELNS_18Fp8KVCacheDataTypeE0ELb0ELi512EEEvPfS2_PT_PKS3_PKT0_S9_ifPKiSB_iPKfiiiSD_SD_iiiii,comdat
	.protected	_ZN4vllm25paged_attention_v2_kernelIttLi256ELi16ELi128ELNS_18Fp8KVCacheDataTypeE0ELb0ELi512EEEvPfS2_PT_PKS3_PKT0_S9_ifPKiSB_iPKfiiiSD_SD_iiiii ; -- Begin function _ZN4vllm25paged_attention_v2_kernelIttLi256ELi16ELi128ELNS_18Fp8KVCacheDataTypeE0ELb0ELi512EEEvPfS2_PT_PKS3_PKT0_S9_ifPKiSB_iPKfiiiSD_SD_iiiii
	.globl	_ZN4vllm25paged_attention_v2_kernelIttLi256ELi16ELi128ELNS_18Fp8KVCacheDataTypeE0ELb0ELi512EEEvPfS2_PT_PKS3_PKT0_S9_ifPKiSB_iPKfiiiSD_SD_iiiii
	.p2align	8
	.type	_ZN4vllm25paged_attention_v2_kernelIttLi256ELi16ELi128ELNS_18Fp8KVCacheDataTypeE0ELb0ELi512EEEvPfS2_PT_PKS3_PKT0_S9_ifPKiSB_iPKfiiiSD_SD_iiiii,@function
_ZN4vllm25paged_attention_v2_kernelIttLi256ELi16ELi128ELNS_18Fp8KVCacheDataTypeE0ELb0ELi512EEEvPfS2_PT_PKS3_PKT0_S9_ifPKiSB_iPKfiiiSD_SD_iiiii: ; @_ZN4vllm25paged_attention_v2_kernelIttLi256ELi16ELi128ELNS_18Fp8KVCacheDataTypeE0ELb0ELi512EEEvPfS2_PT_PKS3_PKT0_S9_ifPKiSB_iPKfiiiSD_SD_iiiii
; %bb.0:
	s_load_dwordx2 s[6:7], s[0:1], 0x40
	s_mov_b32 s24, s3
	s_ashr_i32 s25, s3, 31
	s_lshl_b64 s[8:9], s[24:25], 2
	s_waitcnt lgkmcnt(0)
	s_add_u32 s6, s6, s8
	s_addc_u32 s7, s7, s9
	s_load_dword s25, s[6:7], 0x0
	s_lshl_b32 s40, s4, 9
	s_waitcnt lgkmcnt(0)
	s_cmp_ge_i32 s40, s25
	s_cbranch_scc1 .LBB107_75
; %bb.1:
	s_load_dword s5, s[0:1], 0x90
	s_load_dwordx2 s[10:11], s[0:1], 0x30
	s_waitcnt lgkmcnt(0)
	s_abs_i32 s7, s5
	s_abs_i32 s3, s10
	v_cvt_f32_u32_e32 v1, s3
	s_sub_i32 s8, 0, s3
	s_xor_b32 s6, s5, s10
	s_ashr_i32 s6, s6, 31
	v_rcp_iflag_f32_e32 v1, v1
	s_nop 0
	v_mul_f32_e32 v1, 0x4f7ffffe, v1
	v_cvt_u32_f32_e32 v1, v1
	s_nop 0
	v_readfirstlane_b32 s9, v1
	s_mul_i32 s8, s8, s9
	s_mul_hi_u32 s8, s9, s8
	s_add_i32 s9, s9, s8
	s_mul_hi_u32 s8, s7, s9
	s_mul_i32 s9, s8, s3
	s_sub_i32 s7, s7, s9
	s_add_i32 s10, s8, 1
	s_sub_i32 s9, s7, s3
	s_cmp_ge_u32 s7, s3
	s_cselect_b32 s8, s10, s8
	s_cselect_b32 s7, s9, s7
	s_add_i32 s9, s8, 1
	s_cmp_ge_u32 s7, s3
	s_cselect_b32 s3, s9, s8
	s_xor_b32 s3, s3, s6
	s_sub_i32 s12, s3, s6
	s_abs_i32 s8, s12
	v_cvt_f32_u32_e32 v1, s8
	s_load_dwordx2 s[6:7], s[0:1], 0x50
	s_sub_i32 s3, 0, s8
	s_abs_i32 s9, s2
	v_rcp_iflag_f32_e32 v1, v1
	s_mov_b32 s10, 0
	v_mul_f32_e32 v1, 0x4f7ffffe, v1
	v_cvt_u32_f32_e32 v1, v1
	s_nop 0
	v_readfirstlane_b32 s13, v1
	s_mul_i32 s3, s3, s13
	s_mul_hi_u32 s3, s13, s3
	s_add_i32 s13, s13, s3
	s_waitcnt lgkmcnt(0)
	s_cmp_eq_u64 s[6:7], 0
	s_mul_hi_u32 s16, s9, s13
	s_cbranch_scc1 .LBB107_3
; %bb.2:
	s_ashr_i32 s3, s2, 31
	s_lshl_b64 s[14:15], s[2:3], 2
	s_add_u32 s6, s6, s14
	s_addc_u32 s7, s7, s15
	s_load_dword s10, s[6:7], 0x0
.LBB107_3:
	s_ashr_i32 s18, s12, 31
	s_load_dwordx4 s[12:15], s[0:1], 0x58
	s_movk_i32 s3, 0x80
	s_ashr_i32 s17, s2, 31
	v_and_b32_e32 v4, 3, v0
	s_lshl_b32 s20, s2, 8
	v_cmp_gt_u32_e32 vcc, s3, v0
	s_and_saveexec_b64 s[6:7], vcc
	s_cbranch_execz .LBB107_5
; %bb.4:
	s_load_dwordx2 s[22:23], s[0:1], 0x18
	s_waitcnt lgkmcnt(0)
	s_mul_i32 s26, s24, s12
	s_ashr_i32 s27, s26, 31
	s_lshl_b64 s[26:27], s[26:27], 1
	v_lshlrev_b32_e32 v1, 2, v0
	s_add_u32 s3, s22, s26
	s_addc_u32 s12, s23, s27
	s_ashr_i32 s21, s20, 31
	s_lshl_b64 s[22:23], s[20:21], 1
	s_add_u32 s22, s3, s22
	s_addc_u32 s23, s12, s23
	global_load_dword v1, v1, s[22:23]
	v_and_b32_e32 v2, 0x3fc, v0
	v_lshl_add_u32 v2, v4, 7, v2
	s_waitcnt vmcnt(0)
	ds_write_b32 v2, v1
.LBB107_5:
	s_or_b64 exec, exec, s[6:7]
	s_add_i32 s3, s25, 15
	s_ashr_i32 s6, s3, 31
	s_lshr_b32 s6, s6, 28
	s_add_i32 s3, s3, s6
	s_waitcnt lgkmcnt(0)
	s_ashr_i32 s12, s3, 4
	s_lshl_b32 s3, s4, 5
	s_mul_i32 s7, s16, s8
	s_add_i32 s6, s3, 32
	s_sub_i32 s7, s9, s7
	s_min_i32 s33, s6, s12
	s_xor_b32 s6, s17, s18
	s_add_i32 s9, s16, 1
	s_sub_i32 s15, s7, s8
	s_cmp_ge_u32 s7, s8
	s_cselect_b32 s9, s9, s16
	s_cselect_b32 s7, s15, s7
	s_add_i32 s15, s9, 1
	s_cmp_ge_u32 s7, s8
	s_load_dwordx2 s[26:27], s[0:1], 0x38
	s_load_dword s8, s[0:1], 0x48
	v_lshrrev_b32_e32 v1, 6, v0
	s_cselect_b32 s7, s15, s9
	s_xor_b32 s7, s7, s6
	v_or_b32_e32 v6, s3, v1
	s_waitcnt lgkmcnt(0)
	s_mul_i32 s28, s24, s8
	s_sub_i32 s15, s7, s6
	s_ashr_i32 s29, s28, 31
	v_cmp_gt_i32_e64 s[8:9], s33, v6
	v_cmp_le_i32_e32 vcc, s33, v6
	v_mbcnt_lo_u32_b32 v14, -1, 0
	s_barrier
	s_waitcnt lgkmcnt(0)
                                        ; implicit-def: $sgpr36
                                        ; implicit-def: $vgpr8
                                        ; implicit-def: $vgpr9
	s_and_saveexec_b64 s[6:7], vcc
	s_xor_b64 s[6:7], exec, s[6:7]
; %bb.6:
	v_mbcnt_hi_u32_b32 v8, -1, v14
	v_and_b32_e32 v2, 64, v8
	v_add_u32_e32 v9, 64, v2
	s_mov_b32 s36, 0xff7fffff
                                        ; implicit-def: $vgpr4
                                        ; implicit-def: $vgpr14
; %bb.7:
	s_or_saveexec_b64 s[34:35], s[6:7]
	s_load_dwordx4 s[16:19], s[0:1], 0x0
	s_load_dwordx2 s[22:23], s[0:1], 0x10
	s_load_dwordx2 s[30:31], s[0:1], 0x28
	s_load_dword s21, s[0:1], 0x98
	v_mov_b32_e32 v10, s36
	s_mul_i32 s14, s15, s14
	v_ashrrev_i32_e32 v7, 31, v6
	v_lshlrev_b32_e32 v16, 4, v1
	s_xor_b64 exec, exec, s[34:35]
	s_cbranch_execz .LBB107_13
; %bb.8:
	s_load_dwordx2 s[0:1], s[0:1], 0x20
	s_ashr_i32 s15, s14, 31
	s_lshl_b64 s[6:7], s[14:15], 1
	v_bfe_u32 v5, v0, 2, 4
	v_lshlrev_b32_e32 v2, 4, v5
	s_waitcnt lgkmcnt(0)
	s_add_u32 s0, s0, s6
	s_addc_u32 s1, s1, s7
	v_mov_b32_e32 v3, 0
	v_lshl_add_u64 v[8:9], s[0:1], 0, v[2:3]
	v_lshlrev_b32_e32 v2, 2, v0
	v_and_b32_e32 v2, 12, v2
	s_sub_i32 s15, 1, s25
	s_lshl_b64 s[0:1], s[28:29], 2
	v_lshl_add_u64 v[2:3], v[8:9], 0, v[2:3]
	v_lshlrev_b32_e32 v11, 7, v4
	v_cmp_eq_u32_e32 vcc, 0, v4
	v_lshlrev_b32_e32 v4, 2, v5
	s_add_u32 s0, s26, s0
	v_mbcnt_hi_u32_b32 v8, -1, v14
	v_lshl_or_b32 v4, v1, 6, v4
	s_addc_u32 s1, s27, s1
	v_and_b32_e32 v9, 64, v8
	s_mov_b32 s41, s13
	v_cmp_neq_f32_e64 s[6:7], s10, 0
	v_add3_u32 v12, s40, v16, v5
	v_add_u32_e32 v13, 0x210, v4
	v_lshl_add_u64 v[4:5], v[6:7], 2, s[0:1]
	s_mov_b64 s[36:37], 0
	v_mov_b32_e32 v10, 0xff7fffff
	s_movk_i32 s42, 0x1000
	v_add_u32_e32 v9, 64, v9
	v_xor_b32_e32 v14, 2, v8
	v_xor_b32_e32 v15, 1, v8
	v_mov_b32_e32 v17, v6
	s_branch .LBB107_10
.LBB107_9:                              ;   in Loop: Header=BB107_10 Depth=1
	s_or_b64 exec, exec, s[38:39]
	v_add_u32_e32 v17, 2, v17
	v_cmp_le_i32_e64 s[0:1], s33, v17
	v_add_u32_e32 v12, 32, v12
	v_add_u32_e32 v13, 0x80, v13
	s_or_b64 s[36:37], s[0:1], s[36:37]
	v_lshl_add_u64 v[4:5], v[4:5], 0, 8
	s_andn2_b64 exec, exec, s[36:37]
	s_cbranch_execz .LBB107_12
.LBB107_10:                             ; =>This Inner Loop Header: Depth=1
	global_load_dword v18, v[4:5], off
	s_waitcnt vmcnt(0) lgkmcnt(0)
	v_mad_i64_i32 v[18:19], s[0:1], v18, s41, 0
	v_lshl_add_u64 v[18:19], v[18:19], 1, v[2:3]
	global_load_dword v24, v[18:19], off
	global_load_dword v26, v[18:19], off offset:256
	global_load_dword v43, v[18:19], off offset:512
	;; [unrolled: 1-line block ×4, first 2 shown]
	ds_read_b32 v20, v11
	global_load_dword v50, v[18:19], off offset:1280
	global_load_dword v51, v[18:19], off offset:1536
	;; [unrolled: 1-line block ×11, first 2 shown]
	v_add_co_u32_e64 v44, s[0:1], s42, v18
	s_waitcnt lgkmcnt(0)
	v_lshrrev_b32_e32 v48, 16, v20
	v_addc_co_u32_e64 v45, s[0:1], 0, v19, s[0:1]
	v_and_b32_e32 v49, 0xffff, v20
	global_load_dword v35, v[44:45], off
	global_load_dword v34, v[44:45], off offset:256
	global_load_dword v33, v[44:45], off offset:512
	;; [unrolled: 1-line block ×15, first 2 shown]
	;;#ASMSTART
	v_cvt_f32_f16 v44, v49;
	;;#ASMEND
	;;#ASMSTART
	v_cvt_f32_f16 v45, v48;
	;;#ASMEND
	v_cmp_lt_i32_e64 s[0:1], v14, v9
	s_waitcnt vmcnt(31)
	v_lshrrev_b32_e32 v48, 16, v24
	v_and_b32_e32 v24, 0xffff, v24
	;;#ASMSTART
	v_cvt_f32_f16 v49, v24;
	;;#ASMEND
	;;#ASMSTART
	v_cvt_f32_f16 v48, v48;
	;;#ASMEND
	ds_read_b32 v24, v11 offset:4
	s_waitcnt vmcnt(30)
	v_lshrrev_b32_e32 v54, 16, v26
	v_and_b32_e32 v26, 0xffff, v26
	s_waitcnt vmcnt(29)
	v_lshrrev_b32_e32 v57, 16, v43
	v_and_b32_e32 v43, 0xffff, v43
	s_waitcnt lgkmcnt(0)
	v_lshrrev_b32_e32 v55, 16, v24
	v_and_b32_e32 v24, 0xffff, v24
	;;#ASMSTART
	v_cvt_f32_f16 v24, v24;
	;;#ASMEND
	;;#ASMSTART
	v_cvt_f32_f16 v55, v55;
	;;#ASMEND
	;; [unrolled: 3-line block ×4, first 2 shown]
	ds_read_b32 v56, v11 offset:8
	s_waitcnt vmcnt(28)
	v_lshrrev_b32_e32 v60, 16, v46
	v_and_b32_e32 v46, 0xffff, v46
	v_mul_f32_e32 v24, v24, v26
	v_fmac_f32_e32 v24, v44, v49
	s_waitcnt lgkmcnt(0)
	v_lshrrev_b32_e32 v58, 16, v56
	v_and_b32_e32 v56, 0xffff, v56
	;;#ASMSTART
	v_cvt_f32_f16 v56, v56;
	;;#ASMEND
	;;#ASMSTART
	v_cvt_f32_f16 v58, v58;
	;;#ASMEND
	;; [unrolled: 3-line block ×4, first 2 shown]
	ds_read_b32 v59, v11 offset:12
	v_fmac_f32_e32 v24, v56, v43
	s_waitcnt vmcnt(25)
	v_lshrrev_b32_e32 v56, 16, v51
	v_and_b32_e32 v51, 0xffff, v51
	s_waitcnt lgkmcnt(0)
	v_lshrrev_b32_e32 v26, 16, v59
	v_and_b32_e32 v59, 0xffff, v59
	;;#ASMSTART
	v_cvt_f32_f16 v59, v59;
	;;#ASMEND
	;;#ASMSTART
	v_cvt_f32_f16 v61, v26;
	;;#ASMEND
	;; [unrolled: 3-line block ×4, first 2 shown]
	ds_read_b32 v62, v11 offset:16
	v_mul_f32_e32 v26, v55, v54
	v_lshrrev_b32_e32 v54, 16, v47
	v_and_b32_e32 v47, 0xffff, v47
	v_fmac_f32_e32 v26, v45, v48
	s_waitcnt lgkmcnt(0)
	v_lshrrev_b32_e32 v44, 16, v62
	v_and_b32_e32 v49, 0xffff, v62
	;;#ASMSTART
	v_cvt_f32_f16 v49, v49;
	;;#ASMEND
	;;#ASMSTART
	v_cvt_f32_f16 v44, v44;
	;;#ASMEND
	;; [unrolled: 3-line block ×4, first 2 shown]
	ds_read_b32 v55, v11 offset:20
	v_lshrrev_b32_e32 v45, 16, v50
	v_and_b32_e32 v48, 0xffff, v50
	v_fmac_f32_e32 v26, v58, v57
	v_fmac_f32_e32 v24, v59, v46
	s_waitcnt lgkmcnt(0)
	v_lshrrev_b32_e32 v43, 16, v55
	v_and_b32_e32 v50, 0xffff, v55
	;;#ASMSTART
	v_cvt_f32_f16 v50, v50;
	;;#ASMEND
	;;#ASMSTART
	v_cvt_f32_f16 v43, v43;
	;;#ASMEND
	;; [unrolled: 3-line block ×4, first 2 shown]
	ds_read_b32 v55, v11 offset:24
	s_waitcnt vmcnt(24)
	v_lshrrev_b32_e32 v46, 16, v52
	v_and_b32_e32 v52, 0xffff, v52
	v_fmac_f32_e32 v26, v61, v60
	s_waitcnt vmcnt(23)
	v_lshrrev_b32_e32 v61, 16, v53
	s_waitcnt lgkmcnt(0)
	v_lshrrev_b32_e32 v57, 16, v55
	v_and_b32_e32 v55, 0xffff, v55
	;;#ASMSTART
	v_cvt_f32_f16 v55, v55;
	;;#ASMEND
	;;#ASMSTART
	v_cvt_f32_f16 v57, v57;
	;;#ASMEND
	;; [unrolled: 3-line block ×4, first 2 shown]
	ds_read_b32 v58, v11 offset:28
	v_and_b32_e32 v53, 0xffff, v53
	v_fmac_f32_e32 v24, v49, v47
	v_fmac_f32_e32 v26, v44, v54
	s_waitcnt vmcnt(22)
	v_lshrrev_b32_e32 v44, 16, v42
	s_waitcnt lgkmcnt(0)
	v_lshrrev_b32_e32 v59, 16, v58
	v_and_b32_e32 v58, 0xffff, v58
	;;#ASMSTART
	v_cvt_f32_f16 v58, v58;
	;;#ASMEND
	;;#ASMSTART
	v_cvt_f32_f16 v59, v59;
	;;#ASMEND
	;; [unrolled: 3-line block ×4, first 2 shown]
	ds_read_b32 v60, v11 offset:32
	v_and_b32_e32 v42, 0xffff, v42
	v_fmac_f32_e32 v24, v50, v48
	v_fmac_f32_e32 v26, v43, v45
	;; [unrolled: 1-line block ×3, first 2 shown]
	s_waitcnt lgkmcnt(0)
	v_lshrrev_b32_e32 v47, 16, v60
	v_and_b32_e32 v49, 0xffff, v60
	;;#ASMSTART
	v_cvt_f32_f16 v49, v49;
	;;#ASMEND
	;;#ASMSTART
	v_cvt_f32_f16 v47, v47;
	;;#ASMEND
	;; [unrolled: 3-line block ×4, first 2 shown]
	ds_read_b32 v61, v11 offset:36
	s_waitcnt vmcnt(20)
	v_lshrrev_b32_e32 v51, 16, v40
	v_and_b32_e32 v40, 0xffff, v40
	v_fmac_f32_e32 v26, v57, v56
	v_fmac_f32_e32 v24, v58, v52
	s_waitcnt lgkmcnt(0)
	v_lshrrev_b32_e32 v48, 16, v61
	v_and_b32_e32 v50, 0xffff, v61
	;;#ASMSTART
	v_cvt_f32_f16 v50, v50;
	;;#ASMEND
	;;#ASMSTART
	v_cvt_f32_f16 v48, v48;
	;;#ASMEND
	;; [unrolled: 3-line block ×4, first 2 shown]
	ds_read_b32 v54, v11 offset:40
	v_lshrrev_b32_e32 v61, 16, v41
	v_and_b32_e32 v41, 0xffff, v41
	v_fmac_f32_e32 v26, v59, v46
	s_waitcnt vmcnt(18)
	v_lshrrev_b32_e32 v46, 16, v38
	s_waitcnt lgkmcnt(0)
	v_lshrrev_b32_e32 v43, 16, v54
	v_and_b32_e32 v45, 0xffff, v54
	;;#ASMSTART
	v_cvt_f32_f16 v45, v45;
	;;#ASMEND
	;;#ASMSTART
	v_cvt_f32_f16 v43, v43;
	;;#ASMEND
	;; [unrolled: 3-line block ×4, first 2 shown]
	ds_read_b32 v61, v11 offset:44
	v_and_b32_e32 v38, 0xffff, v38
	v_fmac_f32_e32 v24, v49, v53
	v_fmac_f32_e32 v26, v47, v60
	;; [unrolled: 1-line block ×3, first 2 shown]
	s_waitcnt lgkmcnt(0)
	v_lshrrev_b32_e32 v55, 16, v61
	v_and_b32_e32 v56, 0xffff, v61
	;;#ASMSTART
	v_cvt_f32_f16 v56, v56;
	;;#ASMEND
	;;#ASMSTART
	v_cvt_f32_f16 v55, v55;
	;;#ASMEND
	;; [unrolled: 3-line block ×4, first 2 shown]
	ds_read_b32 v57, v11 offset:48
	v_lshrrev_b32_e32 v61, 16, v39
	v_and_b32_e32 v39, 0xffff, v39
	s_waitcnt vmcnt(16)
	v_lshrrev_b32_e32 v42, 16, v36
	v_and_b32_e32 v36, 0xffff, v36
	s_waitcnt lgkmcnt(0)
	v_lshrrev_b32_e32 v52, 16, v57
	v_and_b32_e32 v57, 0xffff, v57
	;;#ASMSTART
	v_cvt_f32_f16 v57, v57;
	;;#ASMEND
	;;#ASMSTART
	v_cvt_f32_f16 v52, v52;
	;;#ASMEND
	;;#ASMSTART
	v_cvt_f32_f16 v39, v39;
	;;#ASMEND
	;;#ASMSTART
	v_cvt_f32_f16 v58, v61;
	;;#ASMEND
	ds_read_b32 v61, v11 offset:52
	v_fmac_f32_e32 v26, v48, v44
	v_fmac_f32_e32 v24, v45, v41
	;; [unrolled: 1-line block ×3, first 2 shown]
	s_waitcnt vmcnt(14)
	v_lshrrev_b32_e32 v43, 16, v34
	s_waitcnt lgkmcnt(0)
	v_lshrrev_b32_e32 v49, 16, v61
	v_and_b32_e32 v53, 0xffff, v61
	;;#ASMSTART
	v_cvt_f32_f16 v53, v53;
	;;#ASMEND
	;;#ASMSTART
	v_cvt_f32_f16 v49, v49;
	;;#ASMEND
	;; [unrolled: 3-line block ×4, first 2 shown]
	ds_read_b32 v59, v11 offset:56
	v_lshrrev_b32_e32 v61, 16, v37
	v_and_b32_e32 v37, 0xffff, v37
	v_and_b32_e32 v34, 0xffff, v34
	v_fmac_f32_e32 v24, v56, v40
	s_waitcnt lgkmcnt(0)
	v_lshrrev_b32_e32 v47, 16, v59
	v_and_b32_e32 v59, 0xffff, v59
	;;#ASMSTART
	v_cvt_f32_f16 v59, v59;
	;;#ASMEND
	;;#ASMSTART
	v_cvt_f32_f16 v47, v47;
	;;#ASMEND
	;; [unrolled: 3-line block ×4, first 2 shown]
	ds_read_b32 v61, v11 offset:60
	v_fmac_f32_e32 v26, v55, v51
	v_fmac_f32_e32 v24, v57, v39
	s_waitcnt vmcnt(12)
	v_lshrrev_b32_e32 v39, 16, v32
	v_and_b32_e32 v32, 0xffff, v32
	s_waitcnt lgkmcnt(0)
	v_lshrrev_b32_e32 v44, 16, v61
	v_and_b32_e32 v48, 0xffff, v61
	;;#ASMSTART
	v_cvt_f32_f16 v48, v48;
	;;#ASMEND
	;;#ASMSTART
	v_cvt_f32_f16 v44, v44;
	;;#ASMEND
	;; [unrolled: 3-line block ×4, first 2 shown]
	ds_read_b32 v50, v11 offset:64
	v_lshrrev_b32_e32 v61, 16, v35
	v_and_b32_e32 v35, 0xffff, v35
	v_fmac_f32_e32 v26, v52, v58
	v_fmac_f32_e32 v24, v53, v38
	s_waitcnt lgkmcnt(0)
	v_lshrrev_b32_e32 v41, 16, v50
	v_and_b32_e32 v45, 0xffff, v50
	;;#ASMSTART
	v_cvt_f32_f16 v45, v45;
	;;#ASMEND
	;;#ASMSTART
	v_cvt_f32_f16 v41, v41;
	;;#ASMEND
	;; [unrolled: 3-line block ×4, first 2 shown]
	ds_read_b32 v61, v11 offset:68
	v_fmac_f32_e32 v26, v49, v46
	v_fmac_f32_e32 v24, v59, v37
	;; [unrolled: 1-line block ×4, first 2 shown]
	s_waitcnt lgkmcnt(0)
	v_lshrrev_b32_e32 v40, 16, v61
	v_and_b32_e32 v54, 0xffff, v61
	;;#ASMSTART
	v_cvt_f32_f16 v54, v54;
	;;#ASMEND
	;;#ASMSTART
	v_cvt_f32_f16 v40, v40;
	;;#ASMEND
	;; [unrolled: 3-line block ×4, first 2 shown]
	ds_read_b32 v56, v11 offset:72
	v_lshrrev_b32_e32 v61, 16, v33
	v_and_b32_e32 v33, 0xffff, v33
	s_waitcnt vmcnt(8)
	v_lshrrev_b32_e32 v47, 16, v28
	v_and_b32_e32 v28, 0xffff, v28
	s_waitcnt lgkmcnt(0)
	v_lshrrev_b32_e32 v51, 16, v56
	v_and_b32_e32 v55, 0xffff, v56
	;;#ASMSTART
	v_cvt_f32_f16 v55, v55;
	;;#ASMEND
	;;#ASMSTART
	v_cvt_f32_f16 v51, v51;
	;;#ASMEND
	;; [unrolled: 3-line block ×4, first 2 shown]
	ds_read_b32 v61, v11 offset:76
	v_fmac_f32_e32 v26, v44, v42
	v_fmac_f32_e32 v24, v45, v35
	;; [unrolled: 1-line block ×4, first 2 shown]
	s_waitcnt lgkmcnt(0)
	v_lshrrev_b32_e32 v52, 16, v61
	v_and_b32_e32 v57, 0xffff, v61
	;;#ASMSTART
	v_cvt_f32_f16 v57, v57;
	;;#ASMEND
	;;#ASMSTART
	v_cvt_f32_f16 v52, v52;
	;;#ASMEND
	;;#ASMSTART
	v_cvt_f32_f16 v32, v32;
	;;#ASMEND
	;;#ASMSTART
	v_cvt_f32_f16 v39, v39;
	;;#ASMEND
	ds_read_b32 v58, v11 offset:80
	v_lshrrev_b32_e32 v61, 16, v31
	v_and_b32_e32 v31, 0xffff, v31
	s_waitcnt vmcnt(6)
	v_lshrrev_b32_e32 v35, 16, v25
	v_and_b32_e32 v25, 0xffff, v25
	s_waitcnt lgkmcnt(0)
	v_lshrrev_b32_e32 v38, 16, v58
	v_and_b32_e32 v46, 0xffff, v58
	;;#ASMSTART
	v_cvt_f32_f16 v46, v46;
	;;#ASMEND
	;;#ASMSTART
	v_cvt_f32_f16 v38, v38;
	;;#ASMEND
	;; [unrolled: 3-line block ×4, first 2 shown]
	ds_read_b32 v53, v11 offset:84
	v_lshrrev_b32_e32 v58, 16, v30
	v_and_b32_e32 v30, 0xffff, v30
	v_lshrrev_b32_e32 v61, 16, v29
	v_and_b32_e32 v29, 0xffff, v29
	s_waitcnt lgkmcnt(0)
	v_lshrrev_b32_e32 v37, 16, v53
	v_and_b32_e32 v53, 0xffff, v53
	;;#ASMSTART
	v_cvt_f32_f16 v53, v53;
	;;#ASMEND
	;;#ASMSTART
	v_cvt_f32_f16 v37, v37;
	;;#ASMEND
	;; [unrolled: 3-line block ×4, first 2 shown]
	ds_read_b32 v59, v11 offset:88
	v_fmac_f32_e32 v24, v55, v33
	v_fmac_f32_e32 v26, v40, v43
	v_fmac_f32_e32 v26, v51, v56
	v_fmac_f32_e32 v24, v57, v32
	s_waitcnt lgkmcnt(0)
	v_lshrrev_b32_e32 v36, 16, v59
	v_and_b32_e32 v48, 0xffff, v59
	;;#ASMSTART
	v_cvt_f32_f16 v48, v48;
	;;#ASMEND
	;;#ASMSTART
	v_cvt_f32_f16 v36, v36;
	;;#ASMEND
	;; [unrolled: 3-line block ×4, first 2 shown]
	ds_read_b32 v60, v11 offset:92
	v_lshrrev_b32_e32 v61, 16, v27
	v_and_b32_e32 v27, 0xffff, v27
	v_fmac_f32_e32 v26, v52, v39
	v_fmac_f32_e32 v24, v46, v31
	s_waitcnt lgkmcnt(0)
	v_lshrrev_b32_e32 v42, 16, v60
	v_and_b32_e32 v44, 0xffff, v60
	;;#ASMSTART
	v_cvt_f32_f16 v44, v44;
	;;#ASMEND
	;;#ASMSTART
	v_cvt_f32_f16 v42, v42;
	;;#ASMEND
	;; [unrolled: 3-line block ×4, first 2 shown]
	ds_read_b32 v60, v11 offset:96
	v_fmac_f32_e32 v26, v38, v49
	s_waitcnt vmcnt(5)
	v_lshrrev_b32_e32 v38, 16, v23
	v_and_b32_e32 v23, 0xffff, v23
	v_fmac_f32_e32 v24, v53, v30
	s_waitcnt lgkmcnt(0)
	v_lshrrev_b32_e32 v41, 16, v60
	v_and_b32_e32 v45, 0xffff, v60
	;;#ASMSTART
	v_cvt_f32_f16 v45, v45;
	;;#ASMEND
	;;#ASMSTART
	v_cvt_f32_f16 v41, v41;
	;;#ASMEND
	;;#ASMSTART
	v_cvt_f32_f16 v27, v27;
	;;#ASMEND
	;;#ASMSTART
	v_cvt_f32_f16 v50, v61;
	;;#ASMEND
	ds_read_b32 v60, v11 offset:100
	v_fmac_f32_e32 v26, v37, v58
	v_fmac_f32_e32 v24, v48, v29
	;; [unrolled: 1-line block ×3, first 2 shown]
	s_waitcnt vmcnt(4)
	v_lshrrev_b32_e32 v36, 16, v22
	s_waitcnt lgkmcnt(0)
	v_lshrrev_b32_e32 v33, 16, v60
	v_and_b32_e32 v34, 0xffff, v60
	;;#ASMSTART
	v_cvt_f32_f16 v34, v34;
	;;#ASMEND
	;;#ASMSTART
	v_cvt_f32_f16 v33, v33;
	;;#ASMEND
	;; [unrolled: 3-line block ×4, first 2 shown]
	ds_read_b32 v40, v11 offset:104
	v_and_b32_e32 v22, 0xffff, v22
	v_fmac_f32_e32 v24, v44, v28
	v_fmac_f32_e32 v24, v45, v27
	;; [unrolled: 1-line block ×3, first 2 shown]
	s_waitcnt lgkmcnt(0)
	v_lshrrev_b32_e32 v31, 16, v40
	v_and_b32_e32 v32, 0xffff, v40
	;;#ASMSTART
	v_cvt_f32_f16 v32, v32;
	;;#ASMEND
	;;#ASMSTART
	v_cvt_f32_f16 v31, v31;
	;;#ASMEND
	;; [unrolled: 3-line block ×4, first 2 shown]
	ds_read_b32 v39, v11 offset:108
	v_fmac_f32_e32 v26, v41, v50
	v_fmac_f32_e32 v24, v34, v25
	;; [unrolled: 1-line block ×4, first 2 shown]
	s_waitcnt lgkmcnt(0)
	v_lshrrev_b32_e32 v29, 16, v39
	v_and_b32_e32 v30, 0xffff, v39
	;;#ASMSTART
	v_cvt_f32_f16 v30, v30;
	;;#ASMEND
	;;#ASMSTART
	v_cvt_f32_f16 v29, v29;
	;;#ASMEND
	;; [unrolled: 3-line block ×4, first 2 shown]
	ds_read_b32 v37, v11 offset:112
	v_fmac_f32_e32 v26, v31, v38
	s_waitcnt vmcnt(2)
	v_lshrrev_b32_e32 v31, 16, v20
	v_and_b32_e32 v20, 0xffff, v20
	v_fmac_f32_e32 v24, v30, v22
	s_waitcnt lgkmcnt(0)
	v_lshrrev_b32_e32 v27, 16, v37
	v_and_b32_e32 v28, 0xffff, v37
	v_lshrrev_b32_e32 v37, 16, v21
	v_and_b32_e32 v21, 0xffff, v21
	;;#ASMSTART
	v_cvt_f32_f16 v28, v28;
	;;#ASMEND
	;;#ASMSTART
	v_cvt_f32_f16 v27, v27;
	;;#ASMEND
	;; [unrolled: 3-line block ×4, first 2 shown]
	ds_read_b32 v39, v11 offset:116
	v_fmac_f32_e32 v26, v29, v36
	v_fmac_f32_e32 v24, v28, v21
	;; [unrolled: 1-line block ×3, first 2 shown]
	s_waitcnt vmcnt(1)
	v_lshrrev_b32_e32 v27, 16, v19
	s_waitcnt lgkmcnt(0)
	v_lshrrev_b32_e32 v23, 16, v39
	v_and_b32_e32 v25, 0xffff, v39
	;;#ASMSTART
	v_cvt_f32_f16 v25, v25;
	;;#ASMEND
	;;#ASMSTART
	v_cvt_f32_f16 v23, v23;
	;;#ASMEND
	;; [unrolled: 3-line block ×4, first 2 shown]
	ds_read_b32 v32, v11 offset:120
	v_and_b32_e32 v19, 0xffff, v19
	v_fmac_f32_e32 v24, v25, v20
	v_fmac_f32_e32 v26, v23, v31
	s_waitcnt lgkmcnt(0)
	v_lshrrev_b32_e32 v21, 16, v32
	v_and_b32_e32 v22, 0xffff, v32
	;;#ASMSTART
	v_cvt_f32_f16 v22, v22;
	;;#ASMEND
	;;#ASMSTART
	v_cvt_f32_f16 v21, v21;
	;;#ASMEND
	;; [unrolled: 3-line block ×4, first 2 shown]
	ds_read_b32 v28, v11 offset:124
	v_fmac_f32_e32 v24, v22, v19
	v_fmac_f32_e32 v26, v21, v27
	s_waitcnt vmcnt(0)
	v_lshrrev_b32_e32 v21, 16, v18
	v_and_b32_e32 v18, 0xffff, v18
	s_waitcnt lgkmcnt(0)
	v_lshrrev_b32_e32 v19, 16, v28
	v_and_b32_e32 v20, 0xffff, v28
	;;#ASMSTART
	v_cvt_f32_f16 v20, v20;
	;;#ASMEND
	;;#ASMSTART
	v_cvt_f32_f16 v19, v19;
	;;#ASMEND
	;; [unrolled: 3-line block ×4, first 2 shown]
	s_nop 0
	v_fmac_f32_e32 v24, v20, v18
	v_fmac_f32_e32 v26, v19, v21
	v_cndmask_b32_e64 v19, v8, v14, s[0:1]
	v_add_f32_e32 v18, v24, v26
	v_lshlrev_b32_e32 v19, 2, v19
	ds_bpermute_b32 v19, v19, v18
	v_cmp_lt_i32_e64 s[0:1], v15, v9
	s_waitcnt lgkmcnt(0)
	v_add_f32_e32 v18, v18, v19
	v_cndmask_b32_e64 v19, v8, v15, s[0:1]
	v_lshlrev_b32_e32 v19, 2, v19
	ds_bpermute_b32 v19, v19, v18
	s_and_saveexec_b64 s[38:39], vcc
	s_cbranch_execz .LBB107_9
; %bb.11:                               ;   in Loop: Header=BB107_10 Depth=1
	v_add_u32_e32 v20, s15, v12
	v_cvt_f32_i32_e32 v20, v20
	s_waitcnt lgkmcnt(0)
	v_add_f32_e32 v18, v18, v19
	v_cmp_gt_i32_e64 s[0:1], s25, v12
	v_max_f32_e32 v19, v10, v10
	v_mul_f32_e32 v20, s10, v20
	v_cndmask_b32_e64 v20, 0, v20, s[6:7]
	v_fmac_f32_e32 v20, s11, v18
	v_cndmask_b32_e64 v18, 0, v20, s[0:1]
	ds_write_b32 v13, v18
	v_max_f32_e32 v18, v19, v20
	v_cndmask_b32_e64 v10, v10, v18, s[0:1]
	s_branch .LBB107_9
.LBB107_12:
	s_or_b64 exec, exec, s[36:37]
.LBB107_13:
	s_or_b64 exec, exec, s[34:35]
	v_xor_b32_e32 v2, 32, v8
	v_cmp_lt_i32_e32 vcc, v2, v9
	v_xor_b32_e32 v5, 16, v8
	v_max_f32_e32 v4, v10, v10
	v_cndmask_b32_e32 v2, v8, v2, vcc
	v_lshlrev_b32_e32 v2, 2, v2
	ds_bpermute_b32 v3, v2, v10
	v_cmp_lt_i32_e32 vcc, v5, v9
	v_xor_b32_e32 v10, 8, v8
	v_and_b32_e32 v32, 63, v0
	s_waitcnt lgkmcnt(0)
	v_max_f32_e32 v3, v3, v3
	v_max_f32_e32 v4, v4, v3
	v_cndmask_b32_e32 v3, v8, v5, vcc
	v_lshlrev_b32_e32 v3, 2, v3
	ds_bpermute_b32 v5, v3, v4
	v_cmp_lt_i32_e32 vcc, v10, v9
	s_waitcnt lgkmcnt(0)
	v_max_f32_e32 v5, v5, v5
	v_max_f32_e32 v4, v4, v5
	v_cndmask_b32_e32 v5, v8, v10, vcc
	v_lshlrev_b32_e32 v11, 2, v5
	ds_bpermute_b32 v5, v11, v4
	v_xor_b32_e32 v10, 4, v8
	v_cmp_lt_i32_e32 vcc, v10, v9
	s_waitcnt lgkmcnt(0)
	v_max_f32_e32 v5, v5, v5
	v_max_f32_e32 v4, v4, v5
	v_cndmask_b32_e32 v5, v8, v10, vcc
	v_lshlrev_b32_e32 v12, 2, v5
	ds_bpermute_b32 v10, v12, v4
	v_cmp_eq_u32_e32 vcc, 0, v32
	v_lshlrev_b32_e32 v5, 2, v1
	s_and_saveexec_b64 s[0:1], vcc
	s_cbranch_execz .LBB107_15
; %bb.14:
	s_waitcnt lgkmcnt(0)
	v_max_f32_e32 v10, v10, v10
	v_max_f32_e32 v4, v4, v4
	;; [unrolled: 1-line block ×3, first 2 shown]
	ds_write_b32 v5, v4 offset:512
.LBB107_15:
	s_or_b64 exec, exec, s[0:1]
	v_cmp_gt_u32_e64 s[0:1], 2, v32
	v_mov_b32_e32 v4, 0xff7fffff
	s_waitcnt lgkmcnt(0)
	v_lshlrev_b32_e32 v10, 2, v32
	s_barrier
	s_and_saveexec_b64 s[6:7], s[0:1]
	s_cbranch_execz .LBB107_17
; %bb.16:
	ds_read_b32 v4, v10 offset:512
.LBB107_17:
	s_or_b64 exec, exec, s[6:7]
	v_xor_b32_e32 v13, 1, v8
	v_cmp_lt_i32_e64 s[6:7], v13, v9
	s_sub_i32 s3, s33, s3
	s_lshl_b32 s3, s3, 4
	v_cndmask_b32_e64 v13, v8, v13, s[6:7]
	v_lshlrev_b32_e32 v33, 2, v13
	s_waitcnt lgkmcnt(0)
	ds_bpermute_b32 v13, v33, v4
	v_max_f32_e32 v4, v4, v4
	s_add_i32 s3, s3, s40
	s_min_i32 s15, s3, s25
	s_sub_i32 s3, s15, s40
	s_waitcnt lgkmcnt(0)
	v_max_f32_e32 v13, v13, v13
	v_max_f32_e32 v4, v4, v13
	v_lshlrev_b32_e32 v13, 2, v8
	v_and_b32_e32 v13, 0xffffff00, v13
	ds_bpermute_b32 v4, v13, v4
	v_cmp_gt_i32_e64 s[6:7], s3, v0
	v_mov_b32_e32 v14, 0
	s_and_saveexec_b64 s[34:35], s[6:7]
	s_cbranch_execz .LBB107_21
; %bb.18:
	v_mov_b32_e32 v14, 0x210
	v_lshl_add_u32 v15, v0, 2, v14
	s_mov_b64 s[36:37], 0
	v_mov_b32_e32 v14, 0
	v_mov_b32_e32 v17, v0
.LBB107_19:                             ; =>This Inner Loop Header: Depth=1
	ds_read_b32 v18, v15
	v_add_u32_e32 v17, 0x80, v17
	v_cmp_le_i32_e64 s[10:11], s3, v17
	s_or_b64 s[36:37], s[10:11], s[36:37]
	s_waitcnt lgkmcnt(0)
	v_sub_f32_e32 v18, v18, v4
	v_mul_f32_e32 v18, 0x3fb8aa3b, v18
	v_exp_f32_e32 v18, v18
	ds_write_b32 v15, v18
	v_add_f32_e32 v14, v14, v18
	v_add_u32_e32 v15, 0x200, v15
	s_andn2_b64 exec, exec, s[36:37]
	s_cbranch_execnz .LBB107_19
; %bb.20:
	s_or_b64 exec, exec, s[36:37]
.LBB107_21:
	s_or_b64 exec, exec, s[34:35]
	ds_bpermute_b32 v2, v2, v14
	s_waitcnt lgkmcnt(0)
	v_add_f32_e32 v2, v14, v2
	ds_bpermute_b32 v3, v3, v2
	s_waitcnt lgkmcnt(0)
	v_add_f32_e32 v2, v2, v3
	ds_bpermute_b32 v3, v11, v2
	v_xor_b32_e32 v11, 2, v8
	v_cmp_lt_i32_e64 s[10:11], v11, v9
	s_waitcnt lgkmcnt(0)
	v_add_f32_e32 v2, v2, v3
	ds_bpermute_b32 v3, v12, v2
	v_cndmask_b32_e64 v8, v8, v11, s[10:11]
	s_waitcnt lgkmcnt(0)
	v_add_f32_e32 v2, v2, v3
	v_lshlrev_b32_e32 v3, 2, v8
	ds_bpermute_b32 v3, v3, v2
	s_waitcnt lgkmcnt(0)
	v_add_f32_e32 v2, v2, v3
	ds_bpermute_b32 v3, v33, v2
	s_waitcnt lgkmcnt(0)
	v_add_f32_e32 v2, v2, v3
	s_and_saveexec_b64 s[10:11], vcc
	s_cbranch_execz .LBB107_23
; %bb.22:
	ds_write_b32 v5, v2 offset:520
.LBB107_23:
	s_or_b64 exec, exec, s[10:11]
	s_waitcnt lgkmcnt(0)
	s_barrier
	s_and_saveexec_b64 s[10:11], s[0:1]
	s_cbranch_execz .LBB107_25
; %bb.24:
	ds_read_b32 v2, v10 offset:520
.LBB107_25:
	s_or_b64 exec, exec, s[10:11]
	s_waitcnt lgkmcnt(0)
	ds_bpermute_b32 v3, v33, v2
	s_waitcnt lgkmcnt(0)
	v_add_f32_e32 v2, v2, v3
	ds_bpermute_b32 v5, v13, v2
	s_and_saveexec_b64 s[0:1], s[6:7]
	s_cbranch_execz .LBB107_38
; %bb.26:
	s_waitcnt lgkmcnt(0)
	v_add_f32_e32 v2, 0x358637bd, v5
	v_div_scale_f32 v3, s[6:7], v2, v2, 1.0
	v_rcp_f32_e32 v8, v3
	v_div_scale_f32 v9, vcc, 1.0, v2, 1.0
	s_movk_i32 s6, 0x7f
	v_fma_f32 v10, -v3, v8, 1.0
	v_fmac_f32_e32 v8, v10, v8
	v_mul_f32_e32 v10, v9, v8
	v_fma_f32 v11, -v3, v10, v9
	v_fmac_f32_e32 v10, v11, v8
	v_fma_f32 v3, -v3, v10, v9
	v_div_fmas_f32 v3, v3, v8, v10
	v_div_fixup_f32 v2, v3, v2, 1.0
	v_xad_u32 v3, v0, -1, s15
	v_subrev_u32_e32 v8, s40, v3
	v_cmp_lt_u32_e32 vcc, s6, v8
	s_mov_b64 s[10:11], -1
	v_mov_b32_e32 v3, v0
	s_and_saveexec_b64 s[6:7], vcc
	s_cbranch_execz .LBB107_35
; %bb.27:
	v_lshrrev_b32_e32 v8, 7, v8
	v_add_u32_e32 v10, -1, v8
	v_lshrrev_b32_e32 v9, 1, v10
	v_mov_b32_e32 v3, v2
	v_add_u32_e32 v9, 1, v9
	v_cmp_lt_u32_e32 vcc, 13, v10
	v_mov_b32_e32 v12, 0
	s_and_saveexec_b64 s[10:11], vcc
	s_cbranch_execz .LBB107_31
; %bb.28:
	v_mov_b32_e32 v11, 0x210
	v_and_b32_e32 v10, -8, v9
	v_lshl_add_u32 v11, v0, 2, v11
	s_mov_b32 s15, 0
	s_mov_b64 s[34:35], 0
.LBB107_29:                             ; =>This Inner Loop Header: Depth=1
	ds_read2st64_b32 v[12:13], v11 offset1:2
	ds_read2st64_b32 v[14:15], v11 offset0:4 offset1:6
	ds_read2st64_b32 v[18:19], v11 offset0:8 offset1:10
	;; [unrolled: 1-line block ×3, first 2 shown]
	v_add_u32_e32 v10, -8, v10
	s_waitcnt lgkmcnt(3)
	v_pk_mul_f32 v[12:13], v[2:3], v[12:13]
	s_waitcnt lgkmcnt(2)
	v_pk_mul_f32 v[14:15], v[2:3], v[14:15]
	ds_write2st64_b32 v11, v12, v13 offset1:2
	ds_write2st64_b32 v11, v14, v15 offset0:4 offset1:6
	ds_read2st64_b32 v[14:15], v11 offset0:16 offset1:18
	s_waitcnt lgkmcnt(4)
	v_pk_mul_f32 v[12:13], v[2:3], v[18:19]
	ds_write2st64_b32 v11, v12, v13 offset0:8 offset1:10
	s_waitcnt lgkmcnt(4)
	v_pk_mul_f32 v[12:13], v[2:3], v[20:21]
	ds_write2st64_b32 v11, v12, v13 offset0:12 offset1:14
	ds_read2st64_b32 v[12:13], v11 offset0:20 offset1:22
	s_waitcnt lgkmcnt(3)
	v_pk_mul_f32 v[14:15], v[2:3], v[14:15]
	ds_read2st64_b32 v[18:19], v11 offset0:24 offset1:26
	ds_write2st64_b32 v11, v14, v15 offset0:16 offset1:18
	ds_read2st64_b32 v[14:15], v11 offset0:28 offset1:30
	s_waitcnt lgkmcnt(3)
	v_pk_mul_f32 v[12:13], v[2:3], v[12:13]
	ds_write2st64_b32 v11, v12, v13 offset0:20 offset1:22
	s_waitcnt lgkmcnt(3)
	v_pk_mul_f32 v[12:13], v[2:3], v[18:19]
	ds_write2st64_b32 v11, v12, v13 offset0:24 offset1:26
	s_waitcnt lgkmcnt(2)
	v_pk_mul_f32 v[12:13], v[2:3], v[14:15]
	s_add_i32 s15, s15, 16
	v_cmp_eq_u32_e32 vcc, 0, v10
	ds_write2st64_b32 v11, v12, v13 offset0:28 offset1:30
	v_add_u32_e32 v11, 0x2000, v11
	s_or_b64 s[34:35], vcc, s[34:35]
	v_mov_b32_e32 v12, s15
	s_andn2_b64 exec, exec, s[34:35]
	s_cbranch_execnz .LBB107_29
; %bb.30:
	s_or_b64 exec, exec, s[34:35]
.LBB107_31:
	s_or_b64 exec, exec, s[10:11]
	v_and_b32_e32 v9, 7, v9
	v_cmp_ne_u32_e32 vcc, 0, v9
	s_and_saveexec_b64 s[10:11], vcc
	s_cbranch_execz .LBB107_34
; %bb.32:
	v_lshlrev_b32_e32 v10, 9, v12
	v_lshlrev_b32_e32 v11, 2, v0
	s_movk_i32 s15, 0x210
	v_add3_u32 v10, v10, v11, s15
	s_mov_b64 s[34:35], 0
.LBB107_33:                             ; =>This Inner Loop Header: Depth=1
	ds_read2st64_b32 v[12:13], v10 offset1:2
	v_add_u32_e32 v9, -1, v9
	v_cmp_eq_u32_e32 vcc, 0, v9
	s_or_b64 s[34:35], vcc, s[34:35]
	s_waitcnt lgkmcnt(0)
	v_pk_mul_f32 v[12:13], v[2:3], v[12:13]
	ds_write2st64_b32 v10, v12, v13 offset1:2
	v_add_u32_e32 v10, 0x400, v10
	s_andn2_b64 exec, exec, s[34:35]
	s_cbranch_execnz .LBB107_33
.LBB107_34:
	s_or_b64 exec, exec, s[10:11]
	v_add_u32_e32 v8, 1, v8
	v_and_b32_e32 v9, 0x3fffffe, v8
	v_cmp_ne_u32_e32 vcc, v8, v9
	v_lshl_add_u32 v3, v9, 7, v0
	s_orn2_b64 s[10:11], vcc, exec
.LBB107_35:
	s_or_b64 exec, exec, s[6:7]
	s_and_b64 exec, exec, s[10:11]
	s_cbranch_execz .LBB107_38
; %bb.36:
	v_mov_b32_e32 v8, 0x210
	v_lshl_add_u32 v8, v3, 2, v8
	s_mov_b64 s[6:7], 0
.LBB107_37:                             ; =>This Inner Loop Header: Depth=1
	ds_read_b32 v9, v8
	v_add_u32_e32 v3, 0x80, v3
	v_cmp_le_i32_e32 vcc, s3, v3
	s_or_b64 s[6:7], vcc, s[6:7]
	s_waitcnt lgkmcnt(0)
	v_mul_f32_e32 v9, v2, v9
	ds_write_b32 v8, v9
	v_add_u32_e32 v8, 0x200, v8
	s_andn2_b64 exec, exec, s[6:7]
	s_cbranch_execnz .LBB107_37
.LBB107_38:
	s_or_b64 exec, exec, s[0:1]
	s_mul_i32 s0, s21, s24
	v_cmp_eq_u32_e32 vcc, 0, v0
	s_mul_i32 s6, s0, s5
	s_waitcnt lgkmcnt(0)
	s_barrier
	s_and_saveexec_b64 s[0:1], vcc
	s_cbranch_execz .LBB107_40
; %bb.39:
	s_ashr_i32 s7, s6, 31
	s_lshl_b64 s[10:11], s[6:7], 2
	s_add_u32 s5, s18, s10
	s_mul_i32 s2, s21, s2
	s_addc_u32 s7, s19, s11
	s_ashr_i32 s3, s2, 31
	s_lshl_b64 s[2:3], s[2:3], 2
	s_add_u32 s15, s5, s2
	s_addc_u32 s7, s7, s3
	s_ashr_i32 s5, s4, 31
	s_lshl_b64 s[18:19], s[4:5], 2
	s_add_u32 s34, s15, s18
	s_addc_u32 s35, s7, s19
	s_add_u32 s5, s16, s10
	s_addc_u32 s7, s17, s11
	;; [unrolled: 2-line block ×3, first 2 shown]
	s_add_u32 s2, s2, s18
	v_mov_b32_e32 v2, 0
	s_addc_u32 s3, s3, s19
	global_store_dword v2, v4, s[34:35]
	global_store_dword v2, v5, s[2:3]
.LBB107_40:
	s_or_b64 exec, exec, s[0:1]
	v_mov_b32_e32 v9, 0
	v_and_b32_e32 v34, 1, v0
	v_mov_b32_e32 v8, 0
	v_mov_b32_e32 v11, 0
	;; [unrolled: 1-line block ×7, first 2 shown]
	s_and_saveexec_b64 s[2:3], s[8:9]
	s_cbranch_execz .LBB107_60
; %bb.41:
	s_ashr_i32 s15, s14, 31
	s_lshl_b64 s[0:1], s[14:15], 1
	v_lshlrev_b32_e32 v2, 3, v0
	s_add_u32 s8, s30, s0
	v_and_b32_e32 v3, 8, v2
	s_addc_u32 s9, s31, s1
	s_add_i32 s7, s12, -1
	s_lshl_b64 s[0:1], s[28:29], 2
	v_and_b32_e32 v2, 0x1f8, v2
	v_add3_u32 v35, s40, v16, v3
	v_lshlrev_b32_e32 v3, 5, v34
	s_add_u32 s0, s26, s0
	v_mov_b32_e32 v17, 0
	v_or_b32_e32 v4, 0x800, v2
	v_or_b32_e32 v8, 0xa00, v2
	;; [unrolled: 1-line block ×4, first 2 shown]
	v_lshl_or_b32 v1, v1, 6, v3
	s_addc_u32 s1, s27, s1
	s_mov_b32 s5, s13
	s_mov_b32 s14, s25
	;; [unrolled: 1-line block ×8, first 2 shown]
	v_add_u32_e32 v1, 0x210, v1
	v_lshl_add_u64 v[18:19], v[6:7], 2, s[0:1]
	s_mov_b64 s[10:11], 0
	v_lshlrev_b32_e32 v20, 1, v2
	v_mov_b32_e32 v21, v17
	s_mov_b32 s26, 0x5040100
	v_lshlrev_b32_e32 v16, 1, v4
	v_lshlrev_b32_e32 v22, 1, v8
	;; [unrolled: 1-line block ×4, first 2 shown]
	v_mov_b32_e32 v14, v17
	v_mov_b32_e32 v15, v17
	;; [unrolled: 1-line block ×8, first 2 shown]
	s_branch .LBB107_43
.LBB107_42:                             ;   in Loop: Header=BB107_43 Depth=1
	s_or_b64 exec, exec, s[0:1]
	v_add_f32_e32 v7, v46, v47
	s_waitcnt vmcnt(0)
	;;#ASMSTART
	v_pk_mul_f16 v2, v43, v2;

	;;#ASMEND
	v_add_f32_e32 v14, v14, v7
	v_add_f32_e32 v7, v48, v49
	;;#ASMSTART
	v_pk_mul_f16 v3, v42, v3;

	;;#ASMEND
	;;#ASMSTART
	v_pk_mul_f16 v4, v41, v4;

	;;#ASMEND
	;;#ASMSTART
	v_pk_mul_f16 v5, v40, v5;

	;;#ASMEND
	v_add_f32_e32 v15, v15, v7
	;;#ASMSTART
	v_pk_add_f16 v2, v2, v3;

	;;#ASMEND
	v_add_f32_e32 v7, v50, v51
	;;#ASMSTART
	v_pk_add_f16 v2, v2, v4;

	;;#ASMEND
	v_add_f32_e32 v12, v12, v7
	v_add_f32_e32 v7, v30, v31
	;;#ASMSTART
	v_pk_add_f16 v2, v2, v5;

	;;#ASMEND
	v_add_f32_e32 v13, v13, v7
	v_add_f32_e32 v7, v52, v53
	v_lshrrev_b32_e32 v3, 16, v2
	v_and_b32_e32 v2, 0xffff, v2
	v_add_f32_e32 v10, v10, v7
	v_add_f32_e32 v7, v23, v54
	;;#ASMSTART
	v_cvt_f32_f16 v2, v2;
	;;#ASMEND
	v_add_u32_e32 v6, 2, v6
	v_add_f32_e32 v11, v11, v7
	v_add_f32_e32 v7, v25, v55
	;;#ASMSTART
	v_cvt_f32_f16 v3, v3;
	;;#ASMEND
	v_cmp_le_i32_e32 vcc, s33, v6
	v_add_f32_e32 v2, v2, v3
	v_add_f32_e32 v8, v8, v7
	;; [unrolled: 1-line block ×3, first 2 shown]
	v_add_u32_e32 v35, 32, v35
	v_add_u32_e32 v1, 0x80, v1
	s_or_b64 s[10:11], vcc, s[10:11]
	v_lshl_add_u64 v[18:19], v[18:19], 0, 8
	s_andn2_b64 exec, exec, s[10:11]
	s_cbranch_execz .LBB107_59
.LBB107_43:                             ; =>This Inner Loop Header: Depth=1
	global_load_dword v7, v[18:19], off
	ds_read2_b64 v[2:5], v1 offset1:1
	ds_read2_b64 v[28:31], v1 offset0:2 offset1:3
	v_cmp_eq_u32_e32 vcc, s7, v6
	v_or_b32_e32 v37, 3, v35
	s_waitcnt lgkmcnt(1)
	;;#ASMSTART
	v_cvt_f16_f32 v23, v2;

	;;#ASMEND
	;;#ASMSTART
	v_cvt_f16_f32 v25, v3;

	;;#ASMEND
	;; [unrolled: 4-line block ×4, first 2 shown]
	s_waitcnt lgkmcnt(0)
	;;#ASMSTART
	v_cvt_f16_f32 v41, v28;

	;;#ASMEND
	;;#ASMSTART
	v_cvt_f16_f32 v46, v29;

	;;#ASMEND
	;; [unrolled: 4-line block ×4, first 2 shown]
	v_or_b32_e32 v36, 2, v35
	v_or_b32_e32 v39, 5, v35
	;; [unrolled: 1-line block ×5, first 2 shown]
	s_waitcnt vmcnt(0)
	v_mad_i64_i32 v[2:3], s[0:1], v7, s5, 0
	v_lshl_add_u64 v[28:29], v[2:3], 1, s[8:9]
	v_lshl_add_u64 v[30:31], v[28:29], 0, v[20:21]
	global_load_dwordx4 v[2:5], v[30:31], off
	v_add_u32_e32 v7, 1, v35
	s_and_saveexec_b64 s[12:13], vcc
	s_cbranch_execz .LBB107_45
; %bb.44:                               ;   in Loop: Header=BB107_43 Depth=1
	s_waitcnt vmcnt(0)
	v_lshrrev_b32_e32 v42, 16, v5
	v_cmp_gt_i32_e64 s[0:1], s24, v45
	s_nop 1
	v_cndmask_b32_e64 v42, 0, v42, s[0:1]
	v_cmp_gt_i32_e64 s[0:1], s19, v44
	s_nop 1
	v_cndmask_b32_e64 v5, 0, v5, s[0:1]
	v_perm_b32 v5, v42, v5, s26
	v_lshrrev_b32_e32 v42, 16, v4
	v_cmp_gt_i32_e64 s[0:1], s18, v39
	s_nop 1
	v_cndmask_b32_e64 v42, 0, v42, s[0:1]
	v_cmp_gt_i32_e64 s[0:1], s17, v38
	s_nop 1
	v_cndmask_b32_e64 v4, 0, v4, s[0:1]
	v_perm_b32 v4, v42, v4, s26
	;; [unrolled: 8-line block ×4, first 2 shown]
.LBB107_45:                             ;   in Loop: Header=BB107_43 Depth=1
	s_or_b64 exec, exec, s[12:13]
	v_and_b32_e32 v23, 0xffff, v23
	v_lshl_or_b32 v43, v25, 16, v23
	v_and_b32_e32 v23, 0xffff, v27
	v_lshl_or_b32 v42, v40, 16, v23
	v_and_b32_e32 v23, 0xffff, v41
	v_lshl_or_b32 v41, v46, 16, v23
	v_and_b32_e32 v23, 0xffff, v47
	s_waitcnt vmcnt(0)
	;;#ASMSTART
	v_pk_mul_f16 v2, v43, v2;

	;;#ASMEND
	v_lshl_or_b32 v40, v48, 16, v23
	;;#ASMSTART
	v_pk_mul_f16 v3, v42, v3;

	;;#ASMEND
	;;#ASMSTART
	v_pk_mul_f16 v4, v41, v4;

	;;#ASMEND
	;; [unrolled: 4-line block ×3, first 2 shown]
	s_nop 0
	;;#ASMSTART
	v_pk_add_f16 v2, v2, v3;

	;;#ASMEND
	s_nop 0
	;;#ASMSTART
	v_pk_add_f16 v2, v2, v4;

	;;#ASMEND
	;; [unrolled: 5-line block ×3, first 2 shown]
	s_nop 0
	v_lshrrev_b32_e32 v3, 16, v2
	v_and_b32_e32 v2, 0xffff, v2
	;;#ASMSTART
	v_cvt_f32_f16 v46, v2;
	;;#ASMEND
	;;#ASMSTART
	v_cvt_f32_f16 v47, v3;
	;;#ASMEND
	global_load_dwordx4 v[2:5], v[30:31], off offset:1024
	s_and_saveexec_b64 s[12:13], vcc
	s_cbranch_execz .LBB107_47
; %bb.46:                               ;   in Loop: Header=BB107_43 Depth=1
	s_waitcnt vmcnt(0)
	v_lshrrev_b32_e32 v23, 16, v5
	v_cmp_gt_i32_e64 s[0:1], s24, v45
	s_nop 1
	v_cndmask_b32_e64 v23, 0, v23, s[0:1]
	v_cmp_gt_i32_e64 s[0:1], s19, v44
	s_nop 1
	v_cndmask_b32_e64 v5, 0, v5, s[0:1]
	v_perm_b32 v5, v23, v5, s26
	v_lshrrev_b32_e32 v23, 16, v4
	v_cmp_gt_i32_e64 s[0:1], s18, v39
	s_nop 1
	v_cndmask_b32_e64 v23, 0, v23, s[0:1]
	v_cmp_gt_i32_e64 s[0:1], s17, v38
	s_nop 1
	v_cndmask_b32_e64 v4, 0, v4, s[0:1]
	v_perm_b32 v4, v23, v4, s26
	;; [unrolled: 8-line block ×4, first 2 shown]
.LBB107_47:                             ;   in Loop: Header=BB107_43 Depth=1
	s_or_b64 exec, exec, s[12:13]
	s_waitcnt vmcnt(0)
	;;#ASMSTART
	v_pk_mul_f16 v2, v43, v2;

	;;#ASMEND
	;;#ASMSTART
	v_pk_mul_f16 v3, v42, v3;

	;;#ASMEND
	;;#ASMSTART
	v_pk_mul_f16 v4, v41, v4;

	;;#ASMEND
	;;#ASMSTART
	v_pk_mul_f16 v5, v40, v5;

	;;#ASMEND
	s_nop 0
	;;#ASMSTART
	v_pk_add_f16 v2, v2, v3;

	;;#ASMEND
	s_nop 0
	;;#ASMSTART
	v_pk_add_f16 v2, v2, v4;

	;;#ASMEND
	;; [unrolled: 5-line block ×3, first 2 shown]
	s_nop 0
	v_lshrrev_b32_e32 v3, 16, v2
	v_and_b32_e32 v2, 0xffff, v2
	;;#ASMSTART
	v_cvt_f32_f16 v48, v2;
	;;#ASMEND
	;;#ASMSTART
	v_cvt_f32_f16 v49, v3;
	;;#ASMEND
	global_load_dwordx4 v[2:5], v[30:31], off offset:2048
	s_and_saveexec_b64 s[12:13], vcc
	s_cbranch_execz .LBB107_49
; %bb.48:                               ;   in Loop: Header=BB107_43 Depth=1
	s_waitcnt vmcnt(0)
	v_lshrrev_b32_e32 v23, 16, v5
	v_cmp_gt_i32_e64 s[0:1], s24, v45
	s_nop 1
	v_cndmask_b32_e64 v23, 0, v23, s[0:1]
	v_cmp_gt_i32_e64 s[0:1], s19, v44
	s_nop 1
	v_cndmask_b32_e64 v5, 0, v5, s[0:1]
	v_perm_b32 v5, v23, v5, s26
	v_lshrrev_b32_e32 v23, 16, v4
	v_cmp_gt_i32_e64 s[0:1], s18, v39
	s_nop 1
	v_cndmask_b32_e64 v23, 0, v23, s[0:1]
	v_cmp_gt_i32_e64 s[0:1], s17, v38
	s_nop 1
	v_cndmask_b32_e64 v4, 0, v4, s[0:1]
	v_perm_b32 v4, v23, v4, s26
	;; [unrolled: 8-line block ×4, first 2 shown]
.LBB107_49:                             ;   in Loop: Header=BB107_43 Depth=1
	s_or_b64 exec, exec, s[12:13]
	s_waitcnt vmcnt(0)
	;;#ASMSTART
	v_pk_mul_f16 v2, v43, v2;

	;;#ASMEND
	;;#ASMSTART
	v_pk_mul_f16 v3, v42, v3;

	;;#ASMEND
	;; [unrolled: 4-line block ×4, first 2 shown]
	s_nop 0
	;;#ASMSTART
	v_pk_add_f16 v2, v2, v3;

	;;#ASMEND
	s_nop 0
	;;#ASMSTART
	v_pk_add_f16 v2, v2, v4;

	;;#ASMEND
	;; [unrolled: 5-line block ×3, first 2 shown]
	s_nop 0
	v_lshrrev_b32_e32 v3, 16, v2
	v_and_b32_e32 v2, 0xffff, v2
	;;#ASMSTART
	v_cvt_f32_f16 v50, v2;
	;;#ASMEND
	;;#ASMSTART
	v_cvt_f32_f16 v51, v3;
	;;#ASMEND
	global_load_dwordx4 v[2:5], v[30:31], off offset:3072
	s_and_saveexec_b64 s[12:13], vcc
	s_cbranch_execz .LBB107_51
; %bb.50:                               ;   in Loop: Header=BB107_43 Depth=1
	s_waitcnt vmcnt(0)
	v_lshrrev_b32_e32 v23, 16, v5
	v_cmp_gt_i32_e64 s[0:1], s24, v45
	s_nop 1
	v_cndmask_b32_e64 v23, 0, v23, s[0:1]
	v_cmp_gt_i32_e64 s[0:1], s19, v44
	s_nop 1
	v_cndmask_b32_e64 v5, 0, v5, s[0:1]
	v_perm_b32 v5, v23, v5, s26
	v_lshrrev_b32_e32 v23, 16, v4
	v_cmp_gt_i32_e64 s[0:1], s18, v39
	s_nop 1
	v_cndmask_b32_e64 v23, 0, v23, s[0:1]
	v_cmp_gt_i32_e64 s[0:1], s17, v38
	s_nop 1
	v_cndmask_b32_e64 v4, 0, v4, s[0:1]
	v_perm_b32 v4, v23, v4, s26
	;; [unrolled: 8-line block ×4, first 2 shown]
.LBB107_51:                             ;   in Loop: Header=BB107_43 Depth=1
	s_or_b64 exec, exec, s[12:13]
	s_waitcnt vmcnt(0)
	;;#ASMSTART
	v_pk_mul_f16 v2, v43, v2;

	;;#ASMEND
	;;#ASMSTART
	v_pk_mul_f16 v3, v42, v3;

	;;#ASMEND
	;; [unrolled: 4-line block ×4, first 2 shown]
	s_nop 0
	;;#ASMSTART
	v_pk_add_f16 v2, v2, v3;

	;;#ASMEND
	s_nop 0
	;;#ASMSTART
	v_pk_add_f16 v2, v2, v4;

	;;#ASMEND
	;; [unrolled: 5-line block ×3, first 2 shown]
	s_nop 0
	v_lshrrev_b32_e32 v3, 16, v2
	v_and_b32_e32 v2, 0xffff, v2
	;;#ASMSTART
	v_cvt_f32_f16 v30, v2;
	;;#ASMEND
	;;#ASMSTART
	v_cvt_f32_f16 v31, v3;
	;;#ASMEND
	v_lshl_add_u64 v[2:3], v[28:29], 0, v[16:17]
	global_load_dwordx4 v[2:5], v[2:3], off
	s_and_saveexec_b64 s[12:13], vcc
	s_cbranch_execz .LBB107_53
; %bb.52:                               ;   in Loop: Header=BB107_43 Depth=1
	s_waitcnt vmcnt(0)
	v_lshrrev_b32_e32 v23, 16, v5
	v_cmp_gt_i32_e64 s[0:1], s24, v45
	s_nop 1
	v_cndmask_b32_e64 v23, 0, v23, s[0:1]
	v_cmp_gt_i32_e64 s[0:1], s19, v44
	s_nop 1
	v_cndmask_b32_e64 v5, 0, v5, s[0:1]
	v_perm_b32 v5, v23, v5, s26
	v_lshrrev_b32_e32 v23, 16, v4
	v_cmp_gt_i32_e64 s[0:1], s18, v39
	s_nop 1
	v_cndmask_b32_e64 v23, 0, v23, s[0:1]
	v_cmp_gt_i32_e64 s[0:1], s17, v38
	s_nop 1
	v_cndmask_b32_e64 v4, 0, v4, s[0:1]
	v_perm_b32 v4, v23, v4, s26
	v_lshrrev_b32_e32 v23, 16, v3
	v_cmp_gt_i32_e64 s[0:1], s16, v37
	s_nop 1
	v_cndmask_b32_e64 v23, 0, v23, s[0:1]
	v_cmp_gt_i32_e64 s[0:1], s15, v36
	s_nop 1
	v_cndmask_b32_e64 v3, 0, v3, s[0:1]
	v_perm_b32 v3, v23, v3, s26
	v_lshrrev_b32_e32 v23, 16, v2
	v_cmp_gt_i32_e64 s[0:1], s14, v7
	s_nop 1
	v_cndmask_b32_e64 v23, 0, v23, s[0:1]
	v_cmp_gt_i32_e64 s[0:1], s25, v35
	s_nop 1
	v_cndmask_b32_e64 v2, 0, v2, s[0:1]
	v_perm_b32 v2, v23, v2, s26
.LBB107_53:                             ;   in Loop: Header=BB107_43 Depth=1
	s_or_b64 exec, exec, s[12:13]
	s_waitcnt vmcnt(0)
	;;#ASMSTART
	v_pk_mul_f16 v2, v43, v2;

	;;#ASMEND
	;;#ASMSTART
	v_pk_mul_f16 v3, v42, v3;

	;;#ASMEND
	;; [unrolled: 4-line block ×4, first 2 shown]
	v_mov_b32_e32 v23, v17
	;;#ASMSTART
	v_pk_add_f16 v2, v2, v3;

	;;#ASMEND
	s_nop 0
	;;#ASMSTART
	v_pk_add_f16 v2, v2, v4;

	;;#ASMEND
	s_nop 0
	;; [unrolled: 5-line block ×3, first 2 shown]
	v_lshrrev_b32_e32 v3, 16, v2
	v_and_b32_e32 v2, 0xffff, v2
	;;#ASMSTART
	v_cvt_f32_f16 v52, v2;
	;;#ASMEND
	;;#ASMSTART
	v_cvt_f32_f16 v53, v3;
	;;#ASMEND
	v_lshl_add_u64 v[2:3], v[28:29], 0, v[22:23]
	global_load_dwordx4 v[2:5], v[2:3], off
	s_and_saveexec_b64 s[12:13], vcc
	s_cbranch_execz .LBB107_55
; %bb.54:                               ;   in Loop: Header=BB107_43 Depth=1
	s_waitcnt vmcnt(0)
	v_lshrrev_b32_e32 v23, 16, v5
	v_cmp_gt_i32_e64 s[0:1], s24, v45
	s_nop 1
	v_cndmask_b32_e64 v23, 0, v23, s[0:1]
	v_cmp_gt_i32_e64 s[0:1], s19, v44
	s_nop 1
	v_cndmask_b32_e64 v5, 0, v5, s[0:1]
	v_perm_b32 v5, v23, v5, s26
	v_lshrrev_b32_e32 v23, 16, v4
	v_cmp_gt_i32_e64 s[0:1], s18, v39
	s_nop 1
	v_cndmask_b32_e64 v23, 0, v23, s[0:1]
	v_cmp_gt_i32_e64 s[0:1], s17, v38
	s_nop 1
	v_cndmask_b32_e64 v4, 0, v4, s[0:1]
	v_perm_b32 v4, v23, v4, s26
	;; [unrolled: 8-line block ×4, first 2 shown]
.LBB107_55:                             ;   in Loop: Header=BB107_43 Depth=1
	s_or_b64 exec, exec, s[12:13]
	s_waitcnt vmcnt(0)
	;;#ASMSTART
	v_pk_mul_f16 v2, v43, v2;

	;;#ASMEND
	;;#ASMSTART
	v_pk_mul_f16 v3, v42, v3;

	;;#ASMEND
	;;#ASMSTART
	v_pk_mul_f16 v4, v41, v4;

	;;#ASMEND
	;;#ASMSTART
	v_pk_mul_f16 v5, v40, v5;

	;;#ASMEND
	v_mov_b32_e32 v25, v17
	;;#ASMSTART
	v_pk_add_f16 v2, v2, v3;

	;;#ASMEND
	s_nop 0
	;;#ASMSTART
	v_pk_add_f16 v2, v2, v4;

	;;#ASMEND
	s_nop 0
	;; [unrolled: 5-line block ×3, first 2 shown]
	v_lshrrev_b32_e32 v3, 16, v2
	v_and_b32_e32 v2, 0xffff, v2
	;;#ASMSTART
	v_cvt_f32_f16 v23, v2;
	;;#ASMEND
	;;#ASMSTART
	v_cvt_f32_f16 v54, v3;
	;;#ASMEND
	v_lshl_add_u64 v[2:3], v[28:29], 0, v[24:25]
	global_load_dwordx4 v[2:5], v[2:3], off
	s_and_saveexec_b64 s[12:13], vcc
	s_cbranch_execz .LBB107_57
; %bb.56:                               ;   in Loop: Header=BB107_43 Depth=1
	s_waitcnt vmcnt(0)
	v_lshrrev_b32_e32 v25, 16, v5
	v_cmp_gt_i32_e64 s[0:1], s24, v45
	s_nop 1
	v_cndmask_b32_e64 v25, 0, v25, s[0:1]
	v_cmp_gt_i32_e64 s[0:1], s19, v44
	s_nop 1
	v_cndmask_b32_e64 v5, 0, v5, s[0:1]
	v_perm_b32 v5, v25, v5, s26
	v_lshrrev_b32_e32 v25, 16, v4
	v_cmp_gt_i32_e64 s[0:1], s18, v39
	s_nop 1
	v_cndmask_b32_e64 v25, 0, v25, s[0:1]
	v_cmp_gt_i32_e64 s[0:1], s17, v38
	s_nop 1
	v_cndmask_b32_e64 v4, 0, v4, s[0:1]
	v_perm_b32 v4, v25, v4, s26
	;; [unrolled: 8-line block ×4, first 2 shown]
.LBB107_57:                             ;   in Loop: Header=BB107_43 Depth=1
	s_or_b64 exec, exec, s[12:13]
	s_waitcnt vmcnt(0)
	;;#ASMSTART
	v_pk_mul_f16 v2, v43, v2;

	;;#ASMEND
	;;#ASMSTART
	v_pk_mul_f16 v3, v42, v3;

	;;#ASMEND
	;; [unrolled: 4-line block ×4, first 2 shown]
	v_mov_b32_e32 v27, v17
	;;#ASMSTART
	v_pk_add_f16 v2, v2, v3;

	;;#ASMEND
	s_nop 0
	;;#ASMSTART
	v_pk_add_f16 v2, v2, v4;

	;;#ASMEND
	s_nop 0
	;; [unrolled: 5-line block ×3, first 2 shown]
	v_lshrrev_b32_e32 v3, 16, v2
	v_and_b32_e32 v2, 0xffff, v2
	;;#ASMSTART
	v_cvt_f32_f16 v25, v2;
	;;#ASMEND
	;;#ASMSTART
	v_cvt_f32_f16 v55, v3;
	;;#ASMEND
	v_lshl_add_u64 v[2:3], v[28:29], 0, v[26:27]
	global_load_dwordx4 v[2:5], v[2:3], off
	s_and_saveexec_b64 s[0:1], vcc
	s_cbranch_execz .LBB107_42
; %bb.58:                               ;   in Loop: Header=BB107_43 Depth=1
	s_waitcnt vmcnt(0)
	v_lshrrev_b32_e32 v27, 16, v5
	v_cmp_gt_i32_e32 vcc, s24, v45
	s_nop 1
	v_cndmask_b32_e32 v27, 0, v27, vcc
	v_cmp_gt_i32_e32 vcc, s19, v44
	s_nop 1
	v_cndmask_b32_e32 v5, 0, v5, vcc
	v_perm_b32 v5, v27, v5, s26
	v_lshrrev_b32_e32 v27, 16, v4
	v_cmp_gt_i32_e32 vcc, s18, v39
	s_nop 1
	v_cndmask_b32_e32 v27, 0, v27, vcc
	v_cmp_gt_i32_e32 vcc, s17, v38
	s_nop 1
	v_cndmask_b32_e32 v4, 0, v4, vcc
	v_perm_b32 v4, v27, v4, s26
	v_lshrrev_b32_e32 v27, 16, v3
	v_cmp_gt_i32_e32 vcc, s16, v37
	s_nop 1
	v_cndmask_b32_e32 v27, 0, v27, vcc
	v_cmp_gt_i32_e32 vcc, s15, v36
	s_nop 1
	v_cndmask_b32_e32 v3, 0, v3, vcc
	v_perm_b32 v3, v27, v3, s26
	v_lshrrev_b32_e32 v27, 16, v2
	v_cmp_gt_i32_e32 vcc, s14, v7
	s_nop 1
	v_cndmask_b32_e32 v7, 0, v27, vcc
	v_cmp_gt_i32_e32 vcc, s25, v35
	s_nop 1
	v_cndmask_b32_e32 v2, 0, v2, vcc
	v_perm_b32 v2, v7, v2, s26
	s_branch .LBB107_42
.LBB107_59:
	s_or_b64 exec, exec, s[10:11]
.LBB107_60:
	s_or_b64 exec, exec, s[2:3]
	ds_bpermute_b32 v2, v33, v14
	ds_bpermute_b32 v3, v33, v15
	;; [unrolled: 1-line block ×8, first 2 shown]
	v_and_b32_e32 v1, 0x3c1, v0
	s_waitcnt lgkmcnt(6)
	v_pk_add_f32 v[14:15], v[14:15], v[2:3]
	s_waitcnt lgkmcnt(4)
	v_pk_add_f32 v[6:7], v[12:13], v[4:5]
	;; [unrolled: 2-line block ×4, first 2 shown]
	v_cmp_eq_u32_e32 vcc, 64, v1
	s_barrier
	s_and_saveexec_b64 s[0:1], vcc
	s_cbranch_execz .LBB107_62
; %bb.61:
	v_mov_b32_e32 v8, 0x210
	v_lshl_add_u32 v8, v32, 1, v8
	ds_write2_b32 v8, v14, v15 offset1:32
	ds_write2_b32 v8, v6, v7 offset0:64 offset1:96
	ds_write2_b32 v8, v4, v5 offset0:128 offset1:160
	;; [unrolled: 1-line block ×3, first 2 shown]
.LBB107_62:
	s_or_b64 exec, exec, s[0:1]
	v_cmp_gt_u32_e32 vcc, 64, v0
	s_waitcnt lgkmcnt(0)
	s_barrier
	s_and_saveexec_b64 s[0:1], vcc
	s_cbranch_execz .LBB107_73
; %bb.63:
	v_cmp_eq_u32_e32 vcc, 0, v34
	v_lshrrev_b32_e32 v8, 1, v0
	s_and_saveexec_b64 s[2:3], vcc
	s_cbranch_execnz .LBB107_76
; %bb.64:
	s_or_b64 exec, exec, s[2:3]
	s_and_saveexec_b64 s[2:3], vcc
	s_cbranch_execnz .LBB107_77
.LBB107_65:
	s_or_b64 exec, exec, s[2:3]
	s_and_saveexec_b64 s[2:3], vcc
	s_cbranch_execnz .LBB107_78
.LBB107_66:
	s_or_b64 exec, exec, s[2:3]
	s_and_saveexec_b64 s[2:3], vcc
	s_cbranch_execnz .LBB107_79
.LBB107_67:
	s_or_b64 exec, exec, s[2:3]
	s_and_saveexec_b64 s[2:3], vcc
	s_cbranch_execnz .LBB107_80
.LBB107_68:
	s_or_b64 exec, exec, s[2:3]
	s_and_saveexec_b64 s[2:3], vcc
	s_cbranch_execnz .LBB107_81
.LBB107_69:
	s_or_b64 exec, exec, s[2:3]
	s_and_saveexec_b64 s[2:3], vcc
	s_cbranch_execnz .LBB107_82
.LBB107_70:
	s_or_b64 exec, exec, s[2:3]
	s_and_saveexec_b64 s[2:3], vcc
	s_cbranch_execz .LBB107_72
.LBB107_71:
	v_mov_b32_e32 v9, 0x210
	v_lshl_add_u32 v8, v8, 2, v9
	ds_read_b32 v8, v8 offset:896
	s_waitcnt lgkmcnt(0)
	v_add_f32_e32 v3, v3, v8
.LBB107_72:
	s_or_b64 exec, exec, s[2:3]
.LBB107_73:
	s_or_b64 exec, exec, s[0:1]
	v_cmp_eq_u32_e32 vcc, 0, v1
	s_barrier
	s_and_saveexec_b64 s[0:1], vcc
	s_cbranch_execz .LBB107_75
; %bb.74:
	s_lshl_b32 s0, s6, 8
	s_ashr_i32 s1, s0, 31
	s_lshl_b64 s[0:1], s[0:1], 1
	s_add_u32 s2, s22, s0
	s_mul_i32 s0, s21, s20
	s_addc_u32 s3, s23, s1
	s_ashr_i32 s1, s0, 31
	s_lshl_b64 s[0:1], s[0:1], 1
	s_add_u32 s2, s2, s0
	s_addc_u32 s3, s3, s1
	s_lshl_b32 s0, s4, 8
	s_ashr_i32 s1, s0, 31
	s_lshl_b64 s[0:1], s[0:1], 1
	s_add_u32 s0, s2, s0
	s_addc_u32 s1, s3, s1
	;;#ASMSTART
	v_cvt_f16_f32 v1, v14;

	;;#ASMEND
	global_store_short v0, v1, s[0:1]
	;;#ASMSTART
	v_cvt_f16_f32 v1, v15;

	;;#ASMEND
	global_store_short v0, v1, s[0:1] offset:64
	;;#ASMSTART
	v_cvt_f16_f32 v1, v6;

	;;#ASMEND
	global_store_short v0, v1, s[0:1] offset:128
	;; [unrolled: 5-line block ×7, first 2 shown]
.LBB107_75:
	s_endpgm
.LBB107_76:
	v_mov_b32_e32 v9, 0x210
	v_lshl_add_u32 v9, v8, 2, v9
	ds_read_b32 v9, v9
	s_waitcnt lgkmcnt(0)
	v_add_f32_e32 v14, v14, v9
	s_or_b64 exec, exec, s[2:3]
	s_and_saveexec_b64 s[2:3], vcc
	s_cbranch_execz .LBB107_65
.LBB107_77:
	v_mov_b32_e32 v9, 0x210
	v_lshl_add_u32 v9, v8, 2, v9
	ds_read_b32 v9, v9 offset:128
	s_waitcnt lgkmcnt(0)
	v_add_f32_e32 v15, v15, v9
	s_or_b64 exec, exec, s[2:3]
	s_and_saveexec_b64 s[2:3], vcc
	s_cbranch_execz .LBB107_66
.LBB107_78:
	v_mov_b32_e32 v9, 0x210
	v_lshl_add_u32 v9, v8, 2, v9
	ds_read_b32 v9, v9 offset:256
	s_waitcnt lgkmcnt(0)
	v_add_f32_e32 v6, v6, v9
	s_or_b64 exec, exec, s[2:3]
	s_and_saveexec_b64 s[2:3], vcc
	s_cbranch_execz .LBB107_67
.LBB107_79:
	v_mov_b32_e32 v9, 0x210
	v_lshl_add_u32 v9, v8, 2, v9
	ds_read_b32 v9, v9 offset:384
	s_waitcnt lgkmcnt(0)
	v_add_f32_e32 v7, v7, v9
	s_or_b64 exec, exec, s[2:3]
	s_and_saveexec_b64 s[2:3], vcc
	s_cbranch_execz .LBB107_68
.LBB107_80:
	v_mov_b32_e32 v9, 0x210
	v_lshl_add_u32 v9, v8, 2, v9
	ds_read_b32 v9, v9 offset:512
	s_waitcnt lgkmcnt(0)
	v_add_f32_e32 v4, v4, v9
	s_or_b64 exec, exec, s[2:3]
	s_and_saveexec_b64 s[2:3], vcc
	s_cbranch_execz .LBB107_69
.LBB107_81:
	v_mov_b32_e32 v9, 0x210
	v_lshl_add_u32 v9, v8, 2, v9
	ds_read_b32 v9, v9 offset:640
	s_waitcnt lgkmcnt(0)
	v_add_f32_e32 v5, v5, v9
	s_or_b64 exec, exec, s[2:3]
	s_and_saveexec_b64 s[2:3], vcc
	s_cbranch_execz .LBB107_70
.LBB107_82:
	v_mov_b32_e32 v9, 0x210
	v_lshl_add_u32 v9, v8, 2, v9
	ds_read_b32 v9, v9 offset:768
	s_waitcnt lgkmcnt(0)
	v_add_f32_e32 v2, v2, v9
	s_or_b64 exec, exec, s[2:3]
	s_and_saveexec_b64 s[2:3], vcc
	s_cbranch_execnz .LBB107_71
	s_branch .LBB107_72
	.section	.rodata,"a",@progbits
	.p2align	6, 0x0
	.amdhsa_kernel _ZN4vllm25paged_attention_v2_kernelIttLi256ELi16ELi128ELNS_18Fp8KVCacheDataTypeE0ELb0ELi512EEEvPfS2_PT_PKS3_PKT0_S9_ifPKiSB_iPKfiiiSD_SD_iiiii
		.amdhsa_group_segment_fixed_size 528
		.amdhsa_private_segment_fixed_size 0
		.amdhsa_kernarg_size 400
		.amdhsa_user_sgpr_count 2
		.amdhsa_user_sgpr_dispatch_ptr 0
		.amdhsa_user_sgpr_queue_ptr 0
		.amdhsa_user_sgpr_kernarg_segment_ptr 1
		.amdhsa_user_sgpr_dispatch_id 0
		.amdhsa_user_sgpr_kernarg_preload_length 0
		.amdhsa_user_sgpr_kernarg_preload_offset 0
		.amdhsa_user_sgpr_private_segment_size 0
		.amdhsa_uses_dynamic_stack 0
		.amdhsa_enable_private_segment 0
		.amdhsa_system_sgpr_workgroup_id_x 1
		.amdhsa_system_sgpr_workgroup_id_y 1
		.amdhsa_system_sgpr_workgroup_id_z 1
		.amdhsa_system_sgpr_workgroup_info 0
		.amdhsa_system_vgpr_workitem_id 0
		.amdhsa_next_free_vgpr 63
		.amdhsa_next_free_sgpr 43
		.amdhsa_accum_offset 64
		.amdhsa_reserve_vcc 1
		.amdhsa_float_round_mode_32 0
		.amdhsa_float_round_mode_16_64 0
		.amdhsa_float_denorm_mode_32 3
		.amdhsa_float_denorm_mode_16_64 3
		.amdhsa_dx10_clamp 1
		.amdhsa_ieee_mode 1
		.amdhsa_fp16_overflow 0
		.amdhsa_tg_split 0
		.amdhsa_exception_fp_ieee_invalid_op 0
		.amdhsa_exception_fp_denorm_src 0
		.amdhsa_exception_fp_ieee_div_zero 0
		.amdhsa_exception_fp_ieee_overflow 0
		.amdhsa_exception_fp_ieee_underflow 0
		.amdhsa_exception_fp_ieee_inexact 0
		.amdhsa_exception_int_div_zero 0
	.end_amdhsa_kernel
	.section	.text._ZN4vllm25paged_attention_v2_kernelIttLi256ELi16ELi128ELNS_18Fp8KVCacheDataTypeE0ELb0ELi512EEEvPfS2_PT_PKS3_PKT0_S9_ifPKiSB_iPKfiiiSD_SD_iiiii,"axG",@progbits,_ZN4vllm25paged_attention_v2_kernelIttLi256ELi16ELi128ELNS_18Fp8KVCacheDataTypeE0ELb0ELi512EEEvPfS2_PT_PKS3_PKT0_S9_ifPKiSB_iPKfiiiSD_SD_iiiii,comdat
.Lfunc_end107:
	.size	_ZN4vllm25paged_attention_v2_kernelIttLi256ELi16ELi128ELNS_18Fp8KVCacheDataTypeE0ELb0ELi512EEEvPfS2_PT_PKS3_PKT0_S9_ifPKiSB_iPKfiiiSD_SD_iiiii, .Lfunc_end107-_ZN4vllm25paged_attention_v2_kernelIttLi256ELi16ELi128ELNS_18Fp8KVCacheDataTypeE0ELb0ELi512EEEvPfS2_PT_PKS3_PKT0_S9_ifPKiSB_iPKfiiiSD_SD_iiiii
                                        ; -- End function
	.section	.AMDGPU.csdata,"",@progbits
; Kernel info:
; codeLenInByte = 9456
; NumSgprs: 49
; NumVgprs: 63
; NumAgprs: 0
; TotalNumVgprs: 63
; ScratchSize: 0
; MemoryBound: 0
; FloatMode: 240
; IeeeMode: 1
; LDSByteSize: 528 bytes/workgroup (compile time only)
; SGPRBlocks: 6
; VGPRBlocks: 7
; NumSGPRsForWavesPerEU: 49
; NumVGPRsForWavesPerEU: 63
; AccumOffset: 64
; Occupancy: 8
; WaveLimiterHint : 1
; COMPUTE_PGM_RSRC2:SCRATCH_EN: 0
; COMPUTE_PGM_RSRC2:USER_SGPR: 2
; COMPUTE_PGM_RSRC2:TRAP_HANDLER: 0
; COMPUTE_PGM_RSRC2:TGID_X_EN: 1
; COMPUTE_PGM_RSRC2:TGID_Y_EN: 1
; COMPUTE_PGM_RSRC2:TGID_Z_EN: 1
; COMPUTE_PGM_RSRC2:TIDIG_COMP_CNT: 0
; COMPUTE_PGM_RSRC3_GFX90A:ACCUM_OFFSET: 15
; COMPUTE_PGM_RSRC3_GFX90A:TG_SPLIT: 0
	.section	.text._ZN4vllm25paged_attention_v2_kernelIttLi32ELi32ELi128ELNS_18Fp8KVCacheDataTypeE0ELb1ELi512EEEvPfS2_PT_PKS3_PKT0_S9_ifPKiSB_iPKfiiiSD_SD_iiiii,"axG",@progbits,_ZN4vllm25paged_attention_v2_kernelIttLi32ELi32ELi128ELNS_18Fp8KVCacheDataTypeE0ELb1ELi512EEEvPfS2_PT_PKS3_PKT0_S9_ifPKiSB_iPKfiiiSD_SD_iiiii,comdat
	.protected	_ZN4vllm25paged_attention_v2_kernelIttLi32ELi32ELi128ELNS_18Fp8KVCacheDataTypeE0ELb1ELi512EEEvPfS2_PT_PKS3_PKT0_S9_ifPKiSB_iPKfiiiSD_SD_iiiii ; -- Begin function _ZN4vllm25paged_attention_v2_kernelIttLi32ELi32ELi128ELNS_18Fp8KVCacheDataTypeE0ELb1ELi512EEEvPfS2_PT_PKS3_PKT0_S9_ifPKiSB_iPKfiiiSD_SD_iiiii
	.globl	_ZN4vllm25paged_attention_v2_kernelIttLi32ELi32ELi128ELNS_18Fp8KVCacheDataTypeE0ELb1ELi512EEEvPfS2_PT_PKS3_PKT0_S9_ifPKiSB_iPKfiiiSD_SD_iiiii
	.p2align	8
	.type	_ZN4vllm25paged_attention_v2_kernelIttLi32ELi32ELi128ELNS_18Fp8KVCacheDataTypeE0ELb1ELi512EEEvPfS2_PT_PKS3_PKT0_S9_ifPKiSB_iPKfiiiSD_SD_iiiii,@function
_ZN4vllm25paged_attention_v2_kernelIttLi32ELi32ELi128ELNS_18Fp8KVCacheDataTypeE0ELb1ELi512EEEvPfS2_PT_PKS3_PKT0_S9_ifPKiSB_iPKfiiiSD_SD_iiiii: ; @_ZN4vllm25paged_attention_v2_kernelIttLi32ELi32ELi128ELNS_18Fp8KVCacheDataTypeE0ELb1ELi512EEEvPfS2_PT_PKS3_PKT0_S9_ifPKiSB_iPKfiiiSD_SD_iiiii
; %bb.0:
	s_load_dwordx2 s[6:7], s[0:1], 0x40
	s_mov_b32 s28, s3
	s_ashr_i32 s29, s3, 31
	s_lshl_b64 s[8:9], s[28:29], 2
	s_waitcnt lgkmcnt(0)
	s_add_u32 s6, s6, s8
	s_addc_u32 s7, s7, s9
	s_load_dword s29, s[6:7], 0x0
	s_lshl_b32 s49, s4, 9
	s_waitcnt lgkmcnt(0)
	s_cmp_ge_i32 s49, s29
	s_cbranch_scc1 .LBB108_67
; %bb.1:
	s_load_dword s5, s[0:1], 0x90
	s_load_dwordx2 s[38:39], s[0:1], 0x30
	s_waitcnt lgkmcnt(0)
	s_abs_i32 s7, s5
	s_abs_i32 s3, s38
	v_cvt_f32_u32_e32 v1, s3
	s_sub_i32 s8, 0, s3
	s_xor_b32 s6, s5, s38
	s_ashr_i32 s6, s6, 31
	v_rcp_iflag_f32_e32 v1, v1
	s_nop 0
	v_mul_f32_e32 v1, 0x4f7ffffe, v1
	v_cvt_u32_f32_e32 v1, v1
	s_nop 0
	v_readfirstlane_b32 s9, v1
	s_mul_i32 s8, s8, s9
	s_mul_hi_u32 s8, s9, s8
	s_add_i32 s9, s9, s8
	s_mul_hi_u32 s8, s7, s9
	s_mul_i32 s9, s8, s3
	s_sub_i32 s7, s7, s9
	s_add_i32 s10, s8, 1
	s_sub_i32 s9, s7, s3
	s_cmp_ge_u32 s7, s3
	s_cselect_b32 s8, s10, s8
	s_cselect_b32 s7, s9, s7
	s_add_i32 s9, s8, 1
	s_cmp_ge_u32 s7, s3
	s_cselect_b32 s3, s9, s8
	s_xor_b32 s3, s3, s6
	s_sub_i32 s12, s3, s6
	s_abs_i32 s8, s12
	v_cvt_f32_u32_e32 v1, s8
	s_load_dwordx2 s[6:7], s[0:1], 0x50
	s_sub_i32 s10, 0, s8
	s_abs_i32 s9, s2
	v_rcp_iflag_f32_e32 v1, v1
	s_mov_b32 s3, 0
	v_mul_f32_e32 v1, 0x4f7ffffe, v1
	v_cvt_u32_f32_e32 v1, v1
	s_nop 0
	v_readfirstlane_b32 s11, v1
	s_mul_i32 s10, s10, s11
	s_mul_hi_u32 s10, s11, s10
	s_add_i32 s11, s11, s10
	s_waitcnt lgkmcnt(0)
	s_cmp_eq_u64 s[6:7], 0
	s_mul_hi_u32 s10, s9, s11
	s_cbranch_scc1 .LBB108_3
; %bb.2:
	s_ashr_i32 s3, s2, 31
	s_lshl_b64 s[14:15], s[2:3], 2
	s_add_u32 s6, s6, s14
	s_addc_u32 s7, s7, s15
	s_load_dword s3, s[6:7], 0x0
.LBB108_3:
	s_ashr_i32 s16, s12, 31
	s_load_dwordx4 s[12:15], s[0:1], 0x58
	s_ashr_i32 s11, s2, 31
	v_and_b32_e32 v4, 1, v0
	s_lshl_b32 s24, s2, 5
	v_cmp_gt_u32_e32 vcc, 8, v0
	v_lshlrev_b32_e32 v10, 3, v0
	s_and_saveexec_b64 s[6:7], vcc
	s_cbranch_execz .LBB108_5
; %bb.4:
	s_load_dwordx2 s[18:19], s[0:1], 0x18
	s_waitcnt lgkmcnt(0)
	s_mul_i32 s20, s28, s12
	s_ashr_i32 s21, s20, 31
	s_lshl_b64 s[20:21], s[20:21], 1
	v_lshlrev_b32_e32 v1, 2, v0
	s_add_u32 s12, s18, s20
	s_addc_u32 s15, s19, s21
	s_ashr_i32 s25, s24, 31
	s_lshl_b64 s[18:19], s[24:25], 1
	s_add_u32 s18, s12, s18
	s_addc_u32 s19, s15, s19
	global_load_dwordx2 v[2:3], v10, s[18:19]
	v_and_b32_e32 v1, 0xff8, v1
	v_lshl_add_u32 v1, v4, 5, v1
	s_waitcnt vmcnt(0)
	ds_write_b64 v1, v[2:3]
.LBB108_5:
	s_or_b64 exec, exec, s[6:7]
	s_mul_i32 s7, s10, s8
	s_sub_i32 s7, s9, s7
	s_xor_b32 s6, s11, s16
	s_add_i32 s9, s10, 1
	s_sub_i32 s11, s7, s8
	s_load_dwordx4 s[16:19], s[0:1], 0x78
	s_cmp_ge_u32 s7, s8
	s_cselect_b32 s9, s9, s10
	s_cselect_b32 s7, s11, s7
	s_load_dword s11, s[0:1], 0x88
	s_add_i32 s10, s9, 1
	s_cmp_ge_u32 s7, s8
	s_cselect_b32 s7, s10, s9
	s_waitcnt lgkmcnt(0)
	s_abs_i32 s25, s19
	v_cvt_f32_u32_e32 v1, s25
	s_xor_b32 s7, s7, s6
	s_sub_i32 s10, s7, s6
	s_sub_i32 s6, 0, s25
	v_rcp_iflag_f32_e32 v1, v1
	s_add_i32 s12, s29, -1
	s_abs_i32 s8, s12
	v_mul_f32_e32 v1, 0x4f7ffffe, v1
	v_cvt_u32_f32_e32 v1, v1
	s_barrier
	v_readfirstlane_b32 s33, v1
	s_mul_i32 s6, s6, s33
	s_mul_hi_u32 s6, s33, s6
	s_add_i32 s33, s33, s6
	s_cmp_lt_i32 s11, 0
	s_mul_hi_u32 s9, s8, s33
	s_cbranch_scc0 .LBB108_7
; %bb.6:
	s_mul_i32 s6, s16, s38
	s_add_i32 s6, s10, s6
	s_mul_i32 s6, s6, s11
	s_sub_i32 s46, 1, s6
	s_mov_b64 s[6:7], 0
	s_branch .LBB108_8
.LBB108_7:
	s_mov_b64 s[6:7], -1
                                        ; implicit-def: $sgpr46
.LBB108_8:
	s_load_dwordx2 s[30:31], s[0:1], 0x38
	s_ashr_i32 s12, s12, 31
	s_andn2_b64 vcc, exec, s[6:7]
	s_ashr_i32 s19, s19, 31
	s_cbranch_vccnz .LBB108_10
; %bb.9:
	s_mul_i32 s6, s5, s16
	s_add_i32 s6, s6, s2
	s_mul_i32 s6, s6, s11
	s_add_i32 s46, s6, 1
.LBB108_10:
	s_load_dword s6, s[0:1], 0x48
	s_load_dwordx2 s[36:37], s[0:1], 0x28
	s_load_dword s16, s[0:1], 0x98
	s_load_dwordx4 s[20:23], s[0:1], 0x0
	s_load_dwordx2 s[26:27], s[0:1], 0x10
	s_mul_i32 s7, s9, s25
	s_waitcnt lgkmcnt(0)
	s_mul_i32 s34, s28, s6
	s_sub_i32 s7, s8, s7
	s_ashr_i32 s35, s34, 31
	s_xor_b32 s6, s12, s19
	s_add_i32 s8, s9, 1
	s_sub_i32 s11, s7, s25
	s_cmp_ge_u32 s7, s25
	s_cselect_b32 s8, s8, s9
	s_cselect_b32 s7, s11, s7
	s_add_i32 s9, s8, 1
	s_cmp_ge_u32 s7, s25
	s_cselect_b32 s7, s9, s8
	s_xor_b32 s7, s7, s6
	s_sub_i32 s48, s7, s6
	s_add_i32 s6, s29, 31
	s_ashr_i32 s7, s6, 31
	s_lshr_b32 s7, s7, 27
	s_add_i32 s6, s6, s7
	s_lshl_b32 s38, s4, 4
	s_ashr_i32 s12, s6, 5
	s_add_i32 s6, s38, 16
	v_lshrrev_b32_e32 v14, 6, v0
	s_min_i32 s47, s6, s12
	v_or_b32_e32 v6, s38, v14
	v_cmp_gt_i32_e64 s[8:9], s47, v6
	v_mov_b32_e32 v13, 0xff7fffff
	s_mul_i32 s14, s10, s14
	v_ashrrev_i32_e32 v7, 31, v6
	v_lshl_add_u32 v1, v14, 5, s49
	v_mbcnt_lo_u32_b32 v11, -1, 0
	s_and_saveexec_b64 s[40:41], s[8:9]
	s_cbranch_execz .LBB108_20
; %bb.11:
	s_load_dwordx2 s[0:1], s[0:1], 0x20
	s_ashr_i32 s15, s14, 31
	s_sub_i32 s50, s48, s17
	s_lshl_b64 s[6:7], s[14:15], 1
	v_bfe_u32 v12, v0, 1, 5
	s_waitcnt lgkmcnt(0)
	s_add_u32 s0, s0, s6
	s_addc_u32 s1, s1, s7
	s_abs_i32 s15, s18
	v_cvt_f32_u32_e32 v5, s15
	v_lshlrev_b32_e32 v2, 4, v12
	v_mov_b32_e32 v3, 0
	v_lshl_add_u64 v[8:9], s[0:1], 0, v[2:3]
	v_rcp_iflag_f32_e32 v5, v5
	v_and_b32_e32 v2, 8, v10
	v_lshl_add_u64 v[2:3], v[8:9], 0, v[2:3]
	s_sub_i32 s0, 0, s15
	v_mul_f32_e32 v5, 0x4f7ffffe, v5
	v_cvt_u32_f32_e32 v5, v5
	v_lshlrev_b32_e32 v8, 2, v12
	v_cmp_eq_u32_e32 vcc, 0, v4
	v_lshlrev_b32_e32 v15, 5, v4
	v_mul_lo_u32 v4, s0, v5
	s_lshl_b64 s[0:1], s[34:35], 2
	v_lshl_or_b32 v8, v14, 7, v8
	s_add_u32 s0, s30, s0
	v_add_u32_e32 v18, 0x50, v8
	v_subrev_u32_e32 v8, s29, v12
	v_mbcnt_hi_u32_b32 v21, -1, v11
	v_mul_hi_u32 v4, v5, v4
	s_addc_u32 s1, s31, s1
	v_add_u32_e32 v19, 1, v8
	v_and_b32_e32 v8, 64, v21
	s_mov_b32 s51, s13
	v_cmp_neq_f32_e64 s[6:7], s3, 0
	v_add_u32_e32 v16, v5, v4
	v_lshl_add_u64 v[4:5], v[6:7], 2, s[0:1]
	v_lshl_add_u32 v17, v14, 5, s49
	s_mov_b64 s[42:43], 0
	v_mov_b32_e32 v20, 0xff7fffff
	v_xor_b32_e32 v22, 1, v21
	v_add_u32_e32 v23, 64, v8
	v_mov_b32_e32 v13, 0xff7fffff
	v_mov_b32_e32 v24, v6
	s_branch .LBB108_14
.LBB108_12:                             ;   in Loop: Header=BB108_14 Depth=1
	s_or_b64 exec, exec, s[44:45]
.LBB108_13:                             ;   in Loop: Header=BB108_14 Depth=1
	s_or_b64 exec, exec, s[10:11]
	v_add_u32_e32 v24, 2, v24
	v_cmp_le_i32_e64 s[0:1], s47, v24
	v_lshl_add_u64 v[4:5], v[4:5], 0, 8
	v_add_u32_e32 v17, 64, v17
	s_or_b64 s[42:43], s[0:1], s[42:43]
	v_add_u32_e32 v18, 0x100, v18
	s_andn2_b64 exec, exec, s[42:43]
	s_cbranch_execz .LBB108_19
.LBB108_14:                             ; =>This Inner Loop Header: Depth=1
	s_waitcnt lgkmcnt(0)
	v_sub_u32_e32 v9, 0, v17
	v_max_i32_e32 v9, v17, v9
	v_mul_hi_u32 v25, v9, s33
	v_mul_lo_u32 v26, v25, s25
	v_sub_u32_e32 v9, v9, v26
	v_add_u32_e32 v26, 1, v25
	v_cmp_le_u32_e64 s[0:1], s25, v9
	v_ashrrev_i32_e32 v8, 31, v17
	v_xor_b32_e32 v8, s19, v8
	v_cndmask_b32_e64 v25, v25, v26, s[0:1]
	v_subrev_u32_e32 v26, s25, v9
	v_cndmask_b32_e64 v9, v9, v26, s[0:1]
	v_add_u32_e32 v26, 1, v25
	v_cmp_le_u32_e64 s[0:1], s25, v9
	s_nop 1
	v_cndmask_b32_e64 v9, v25, v26, s[0:1]
	v_xor_b32_e32 v9, v9, v8
	v_sub_u32_e32 v8, v9, v8
	v_add_u32_e32 v9, s46, v8
	v_sub_u32_e32 v26, 0, v9
	v_ashrrev_i32_e32 v25, 31, v9
	v_max_i32_e32 v9, v9, v26
	v_mul_hi_u32 v26, v9, v16
	v_mul_lo_u32 v26, v26, s15
	v_sub_u32_e32 v9, v9, v26
	v_subrev_u32_e32 v26, s15, v9
	v_cmp_le_u32_e64 s[0:1], s15, v9
	v_cmp_ge_i32_e64 s[10:11], s50, v8
	s_nop 0
	v_cndmask_b32_e64 v9, v9, v26, s[0:1]
	v_subrev_u32_e32 v26, s15, v9
	v_cmp_le_u32_e64 s[0:1], s15, v9
	s_nop 1
	v_cndmask_b32_e64 v9, v9, v26, s[0:1]
	v_xor_b32_e32 v9, v9, v25
	v_sub_u32_e32 v9, v9, v25
	v_cmp_ne_u32_e64 s[0:1], 0, v9
	s_and_b64 s[0:1], s[0:1], s[10:11]
	s_and_b64 s[44:45], vcc, s[0:1]
	s_and_saveexec_b64 s[10:11], s[44:45]
	s_cbranch_execz .LBB108_16
; %bb.15:                               ;   in Loop: Header=BB108_14 Depth=1
	ds_write_b32 v18, v20
.LBB108_16:                             ;   in Loop: Header=BB108_14 Depth=1
	s_or_b64 exec, exec, s[10:11]
	s_xor_b64 s[0:1], s[0:1], -1
	s_and_saveexec_b64 s[10:11], s[0:1]
	s_cbranch_execz .LBB108_13
; %bb.17:                               ;   in Loop: Header=BB108_14 Depth=1
	global_load_dword v8, v[4:5], off
	s_waitcnt vmcnt(0)
	v_mad_i64_i32 v[8:9], s[0:1], v8, s51, 0
	v_lshl_add_u64 v[26:27], v[8:9], 1, v[2:3]
	global_load_dwordx2 v[28:29], v[26:27], off
	global_load_dwordx2 v[30:31], v[26:27], off offset:512
	global_load_dwordx2 v[32:33], v[26:27], off offset:1024
	;; [unrolled: 1-line block ×3, first 2 shown]
	ds_read_b64 v[26:27], v15
	v_cmp_lt_i32_e64 s[0:1], v22, v23
	s_waitcnt lgkmcnt(0)
	v_lshrrev_b32_e32 v34, 16, v26
	v_and_b32_e32 v26, 0xffff, v26
	v_lshrrev_b32_e32 v35, 16, v27
	v_and_b32_e32 v27, 0xffff, v27
	;;#ASMSTART
	v_cvt_f32_f16 v36, v26;
	;;#ASMEND
	;;#ASMSTART
	v_cvt_f32_f16 v34, v34;
	;;#ASMEND
	v_cndmask_b32_e64 v25, v21, v22, s[0:1]
	s_waitcnt vmcnt(3)
	v_lshrrev_b32_e32 v26, 16, v28
	v_and_b32_e32 v28, 0xffff, v28
	v_lshrrev_b32_e32 v37, 16, v29
	v_and_b32_e32 v29, 0xffff, v29
	;;#ASMSTART
	v_cvt_f32_f16 v28, v28;
	;;#ASMEND
	;;#ASMSTART
	v_cvt_f32_f16 v42, v26;
	;;#ASMEND
	;; [unrolled: 3-line block ×6, first 2 shown]
	ds_read_b64 v[26:27], v15 offset:8
	s_waitcnt vmcnt(2)
	v_lshrrev_b32_e32 v38, 16, v30
	v_and_b32_e32 v30, 0xffff, v30
	v_lshrrev_b32_e32 v39, 16, v31
	v_and_b32_e32 v31, 0xffff, v31
	s_waitcnt vmcnt(0)
	v_lshrrev_b32_e32 v44, 16, v8
	v_and_b32_e32 v45, 0xffff, v8
	v_lshrrev_b32_e32 v46, 16, v9
	v_and_b32_e32 v47, 0xffff, v9
	s_waitcnt lgkmcnt(0)
	v_lshrrev_b32_e32 v8, 16, v26
	v_and_b32_e32 v9, 0xffff, v26
	v_lshrrev_b32_e32 v26, 16, v27
	v_and_b32_e32 v27, 0xffff, v27
	;;#ASMSTART
	v_cvt_f32_f16 v48, v9;
	;;#ASMEND
	;;#ASMSTART
	v_cvt_f32_f16 v49, v8;
	;;#ASMEND
	;; [unrolled: 3-line block ×8, first 2 shown]
	ds_read_b64 v[8:9], v15 offset:16
	v_mul_f32_e32 v30, v48, v30
	v_mul_f32_e32 v27, v27, v31
	v_lshrrev_b32_e32 v40, 16, v32
	v_and_b32_e32 v32, 0xffff, v32
	v_lshrrev_b32_e32 v41, 16, v33
	v_and_b32_e32 v33, 0xffff, v33
	v_mul_f32_e32 v38, v49, v38
	v_mul_f32_e32 v26, v26, v39
	v_fmac_f32_e32 v30, v36, v28
	v_fmac_f32_e32 v27, v43, v29
	s_waitcnt lgkmcnt(0)
	v_lshrrev_b32_e32 v28, 16, v8
	v_and_b32_e32 v8, 0xffff, v8
	v_lshrrev_b32_e32 v29, 16, v9
	v_and_b32_e32 v9, 0xffff, v9
	v_fmac_f32_e32 v38, v34, v42
	v_fmac_f32_e32 v26, v35, v37
	;;#ASMSTART
	v_cvt_f32_f16 v31, v8;
	;;#ASMEND
	;;#ASMSTART
	v_cvt_f32_f16 v28, v28;
	;;#ASMEND
	;; [unrolled: 3-line block ×8, first 2 shown]
	ds_read_b64 v[8:9], v15 offset:24
	v_fmac_f32_e32 v30, v31, v32
	v_fmac_f32_e32 v38, v28, v34
	;; [unrolled: 1-line block ×4, first 2 shown]
	s_waitcnt lgkmcnt(0)
	v_lshrrev_b32_e32 v28, 16, v8
	v_and_b32_e32 v8, 0xffff, v8
	v_lshrrev_b32_e32 v29, 16, v9
	v_and_b32_e32 v9, 0xffff, v9
	;;#ASMSTART
	v_cvt_f32_f16 v8, v8;
	;;#ASMEND
	;;#ASMSTART
	v_cvt_f32_f16 v28, v28;
	;;#ASMEND
	;; [unrolled: 3-line block ×8, first 2 shown]
	s_nop 0
	v_fmac_f32_e32 v30, v8, v31
	v_fmac_f32_e32 v38, v28, v32
	;; [unrolled: 1-line block ×3, first 2 shown]
	v_add_f32_e32 v8, v30, v38
	v_fmac_f32_e32 v26, v29, v34
	v_add_f32_e32 v8, v8, v27
	v_add_f32_e32 v8, v26, v8
	v_lshlrev_b32_e32 v9, 2, v25
	ds_bpermute_b32 v9, v9, v8
	s_and_saveexec_b64 s[44:45], vcc
	s_cbranch_execz .LBB108_12
; %bb.18:                               ;   in Loop: Header=BB108_14 Depth=1
	v_add_u32_e32 v25, v19, v17
	v_cvt_f32_i32_e32 v25, v25
	s_waitcnt lgkmcnt(0)
	v_add_f32_e32 v8, v8, v9
	v_add_u32_e32 v26, v12, v17
	v_cmp_gt_i32_e64 s[0:1], s29, v26
	v_mul_f32_e32 v9, s3, v25
	v_cndmask_b32_e64 v9, 0, v9, s[6:7]
	v_fmac_f32_e32 v9, s39, v8
	v_cndmask_b32_e64 v8, 0, v9, s[0:1]
	ds_write_b32 v18, v8
	v_max_f32_e32 v8, v13, v13
	v_max_f32_e32 v8, v8, v9
	v_cndmask_b32_e64 v13, v13, v8, s[0:1]
	s_branch .LBB108_12
.LBB108_19:
	s_or_b64 exec, exec, s[42:43]
.LBB108_20:
	s_or_b64 exec, exec, s[40:41]
	v_mbcnt_hi_u32_b32 v4, -1, v11
	v_and_b32_e32 v2, 64, v4
	v_add_u32_e32 v12, 64, v2
	v_xor_b32_e32 v2, 32, v4
	v_cmp_lt_i32_e32 vcc, v2, v12
	v_xor_b32_e32 v8, 16, v4
	v_max_f32_e32 v5, v13, v13
	v_cndmask_b32_e32 v2, v4, v2, vcc
	v_lshlrev_b32_e32 v2, 2, v2
	ds_bpermute_b32 v3, v2, v13
	v_cmp_lt_i32_e32 vcc, v8, v12
	s_waitcnt lgkmcnt(1)
	v_xor_b32_e32 v9, 8, v4
	v_xor_b32_e32 v11, 4, v4
	;; [unrolled: 1-line block ×3, first 2 shown]
	s_waitcnt lgkmcnt(0)
	v_max_f32_e32 v3, v3, v3
	v_max_f32_e32 v5, v5, v3
	v_cndmask_b32_e32 v3, v4, v8, vcc
	v_lshlrev_b32_e32 v3, 2, v3
	ds_bpermute_b32 v8, v3, v5
	v_cmp_lt_i32_e32 vcc, v9, v12
	v_and_b32_e32 v16, 63, v0
	s_waitcnt lgkmcnt(0)
	v_max_f32_e32 v8, v8, v8
	v_max_f32_e32 v8, v5, v8
	v_cndmask_b32_e32 v5, v4, v9, vcc
	v_lshlrev_b32_e32 v5, 2, v5
	ds_bpermute_b32 v9, v5, v8
	v_cmp_lt_i32_e32 vcc, v11, v12
	s_waitcnt lgkmcnt(0)
	v_max_f32_e32 v9, v9, v9
	v_max_f32_e32 v9, v8, v9
	v_cndmask_b32_e32 v8, v4, v11, vcc
	v_lshlrev_b32_e32 v8, 2, v8
	ds_bpermute_b32 v11, v8, v9
	v_cmp_lt_i32_e32 vcc, v13, v12
	s_waitcnt lgkmcnt(0)
	v_max_f32_e32 v11, v11, v11
	v_max_f32_e32 v11, v9, v11
	v_cndmask_b32_e32 v9, v4, v13, vcc
	v_lshlrev_b32_e32 v17, 2, v9
	ds_bpermute_b32 v13, v17, v11
	v_cmp_eq_u32_e32 vcc, 0, v16
	v_lshlrev_b32_e32 v9, 2, v14
	s_and_saveexec_b64 s[0:1], vcc
	s_cbranch_execz .LBB108_22
; %bb.21:
	s_waitcnt lgkmcnt(0)
	v_max_f32_e32 v13, v13, v13
	v_max_f32_e32 v11, v11, v11
	;; [unrolled: 1-line block ×3, first 2 shown]
	ds_write_b32 v9, v11 offset:64
.LBB108_22:
	s_or_b64 exec, exec, s[0:1]
	v_cmp_gt_u32_e64 s[0:1], 2, v16
	s_waitcnt lgkmcnt(0)
	v_mov_b32_e32 v13, 0xff7fffff
	v_lshlrev_b32_e32 v11, 2, v16
	s_barrier
	s_and_saveexec_b64 s[6:7], s[0:1]
	s_cbranch_execz .LBB108_24
; %bb.23:
	ds_read_b32 v13, v11 offset:64
.LBB108_24:
	s_or_b64 exec, exec, s[6:7]
	v_xor_b32_e32 v15, 1, v4
	v_cmp_lt_i32_e64 s[6:7], v15, v12
	s_sub_i32 s3, s47, s38
	s_lshl_b32 s3, s3, 5
	v_cndmask_b32_e64 v12, v4, v15, s[6:7]
	v_lshlrev_b32_e32 v18, 2, v12
	s_waitcnt lgkmcnt(0)
	ds_bpermute_b32 v12, v18, v13
	v_max_f32_e32 v13, v13, v13
	v_lshlrev_b32_e32 v4, 2, v4
	s_add_i32 s3, s3, s49
	s_min_i32 s15, s3, s29
	s_waitcnt lgkmcnt(0)
	v_max_f32_e32 v12, v12, v12
	v_max_f32_e32 v13, v13, v12
	v_and_b32_e32 v12, 0x100, v4
	ds_bpermute_b32 v4, v12, v13
	s_sub_i32 s3, s15, s49
	v_cmp_gt_i32_e64 s[6:7], s3, v0
	v_mov_b32_e32 v13, 0
	s_and_saveexec_b64 s[38:39], s[6:7]
	s_cbranch_execz .LBB108_28
; %bb.25:
	v_mov_b32_e32 v13, 0x50
	v_lshl_add_u32 v15, v0, 2, v13
	s_mov_b64 s[40:41], 0
	v_mov_b32_e32 v13, 0
	v_mov_b32_e32 v19, v0
.LBB108_26:                             ; =>This Inner Loop Header: Depth=1
	ds_read_b32 v20, v15
	v_add_u32_e32 v19, 0x80, v19
	v_cmp_le_i32_e64 s[10:11], s3, v19
	s_or_b64 s[40:41], s[10:11], s[40:41]
	s_waitcnt lgkmcnt(0)
	v_sub_f32_e32 v20, v20, v4
	v_mul_f32_e32 v20, 0x3fb8aa3b, v20
	v_exp_f32_e32 v20, v20
	ds_write_b32 v15, v20
	v_add_f32_e32 v13, v13, v20
	v_add_u32_e32 v15, 0x200, v15
	s_andn2_b64 exec, exec, s[40:41]
	s_cbranch_execnz .LBB108_26
; %bb.27:
	s_or_b64 exec, exec, s[40:41]
.LBB108_28:
	s_or_b64 exec, exec, s[38:39]
	ds_bpermute_b32 v2, v2, v13
	s_waitcnt lgkmcnt(0)
	v_add_f32_e32 v2, v13, v2
	ds_bpermute_b32 v3, v3, v2
	s_waitcnt lgkmcnt(0)
	v_add_f32_e32 v2, v2, v3
	;; [unrolled: 3-line block ×6, first 2 shown]
	s_and_saveexec_b64 s[10:11], vcc
	s_cbranch_execz .LBB108_30
; %bb.29:
	ds_write_b32 v9, v2 offset:72
.LBB108_30:
	s_or_b64 exec, exec, s[10:11]
	s_waitcnt lgkmcnt(0)
	s_barrier
	s_and_saveexec_b64 s[10:11], s[0:1]
	s_cbranch_execz .LBB108_32
; %bb.31:
	ds_read_b32 v2, v11 offset:72
.LBB108_32:
	s_or_b64 exec, exec, s[10:11]
	s_waitcnt lgkmcnt(0)
	ds_bpermute_b32 v3, v18, v2
	s_waitcnt lgkmcnt(0)
	v_add_f32_e32 v2, v2, v3
	ds_bpermute_b32 v5, v12, v2
	s_and_saveexec_b64 s[0:1], s[6:7]
	s_cbranch_execz .LBB108_45
; %bb.33:
	s_waitcnt lgkmcnt(0)
	v_add_f32_e32 v2, 0x358637bd, v5
	v_div_scale_f32 v3, s[6:7], v2, v2, 1.0
	v_rcp_f32_e32 v8, v3
	v_div_scale_f32 v9, vcc, 1.0, v2, 1.0
	s_movk_i32 s6, 0x7f
	v_fma_f32 v11, -v3, v8, 1.0
	v_fmac_f32_e32 v8, v11, v8
	v_mul_f32_e32 v11, v9, v8
	v_fma_f32 v12, -v3, v11, v9
	v_fmac_f32_e32 v11, v12, v8
	v_fma_f32 v3, -v3, v11, v9
	v_div_fmas_f32 v3, v3, v8, v11
	v_div_fixup_f32 v2, v3, v2, 1.0
	v_xad_u32 v3, v0, -1, s15
	v_subrev_u32_e32 v8, s49, v3
	v_cmp_lt_u32_e32 vcc, s6, v8
	s_mov_b64 s[10:11], -1
	v_mov_b32_e32 v3, v0
	s_and_saveexec_b64 s[6:7], vcc
	s_cbranch_execz .LBB108_42
; %bb.34:
	v_lshrrev_b32_e32 v8, 7, v8
	v_add_u32_e32 v11, -1, v8
	v_lshrrev_b32_e32 v9, 1, v11
	v_mov_b32_e32 v3, v2
	v_add_u32_e32 v9, 1, v9
	v_cmp_lt_u32_e32 vcc, 13, v11
	v_mov_b32_e32 v13, 0
	s_and_saveexec_b64 s[10:11], vcc
	s_cbranch_execz .LBB108_38
; %bb.35:
	v_mov_b32_e32 v12, 0x50
	v_and_b32_e32 v11, -8, v9
	v_lshl_add_u32 v12, v0, 2, v12
	s_mov_b32 s15, 0
	s_mov_b64 s[38:39], 0
.LBB108_36:                             ; =>This Inner Loop Header: Depth=1
	ds_read2st64_b32 v[20:21], v12 offset1:2
	ds_read2st64_b32 v[22:23], v12 offset0:4 offset1:6
	ds_read2st64_b32 v[24:25], v12 offset0:8 offset1:10
	;; [unrolled: 1-line block ×3, first 2 shown]
	v_add_u32_e32 v11, -8, v11
	s_waitcnt lgkmcnt(3)
	v_pk_mul_f32 v[20:21], v[2:3], v[20:21]
	s_waitcnt lgkmcnt(2)
	v_pk_mul_f32 v[22:23], v[2:3], v[22:23]
	ds_write2st64_b32 v12, v20, v21 offset1:2
	ds_write2st64_b32 v12, v22, v23 offset0:4 offset1:6
	ds_read2st64_b32 v[22:23], v12 offset0:16 offset1:18
	s_waitcnt lgkmcnt(4)
	v_pk_mul_f32 v[20:21], v[2:3], v[24:25]
	ds_write2st64_b32 v12, v20, v21 offset0:8 offset1:10
	s_waitcnt lgkmcnt(4)
	v_pk_mul_f32 v[20:21], v[2:3], v[26:27]
	ds_write2st64_b32 v12, v20, v21 offset0:12 offset1:14
	ds_read2st64_b32 v[20:21], v12 offset0:20 offset1:22
	s_waitcnt lgkmcnt(3)
	v_pk_mul_f32 v[22:23], v[2:3], v[22:23]
	ds_read2st64_b32 v[24:25], v12 offset0:24 offset1:26
	ds_write2st64_b32 v12, v22, v23 offset0:16 offset1:18
	ds_read2st64_b32 v[22:23], v12 offset0:28 offset1:30
	s_waitcnt lgkmcnt(3)
	v_pk_mul_f32 v[20:21], v[2:3], v[20:21]
	ds_write2st64_b32 v12, v20, v21 offset0:20 offset1:22
	s_waitcnt lgkmcnt(3)
	v_pk_mul_f32 v[20:21], v[2:3], v[24:25]
	ds_write2st64_b32 v12, v20, v21 offset0:24 offset1:26
	s_waitcnt lgkmcnt(2)
	v_pk_mul_f32 v[20:21], v[2:3], v[22:23]
	s_add_i32 s15, s15, 16
	v_cmp_eq_u32_e32 vcc, 0, v11
	ds_write2st64_b32 v12, v20, v21 offset0:28 offset1:30
	v_add_u32_e32 v12, 0x2000, v12
	s_or_b64 s[38:39], vcc, s[38:39]
	v_mov_b32_e32 v13, s15
	s_andn2_b64 exec, exec, s[38:39]
	s_cbranch_execnz .LBB108_36
; %bb.37:
	s_or_b64 exec, exec, s[38:39]
.LBB108_38:
	s_or_b64 exec, exec, s[10:11]
	v_and_b32_e32 v9, 7, v9
	v_cmp_ne_u32_e32 vcc, 0, v9
	s_and_saveexec_b64 s[10:11], vcc
	s_cbranch_execz .LBB108_41
; %bb.39:
	v_lshlrev_b32_e32 v11, 9, v13
	v_lshlrev_b32_e32 v12, 2, v0
	s_movk_i32 s15, 0x50
	v_add3_u32 v11, v11, v12, s15
	s_mov_b64 s[38:39], 0
.LBB108_40:                             ; =>This Inner Loop Header: Depth=1
	ds_read2st64_b32 v[12:13], v11 offset1:2
	v_add_u32_e32 v9, -1, v9
	v_cmp_eq_u32_e32 vcc, 0, v9
	s_or_b64 s[38:39], vcc, s[38:39]
	s_waitcnt lgkmcnt(0)
	v_pk_mul_f32 v[12:13], v[2:3], v[12:13]
	ds_write2st64_b32 v11, v12, v13 offset1:2
	v_add_u32_e32 v11, 0x400, v11
	s_andn2_b64 exec, exec, s[38:39]
	s_cbranch_execnz .LBB108_40
.LBB108_41:
	s_or_b64 exec, exec, s[10:11]
	v_add_u32_e32 v8, 1, v8
	v_and_b32_e32 v9, 0x3fffffe, v8
	v_cmp_ne_u32_e32 vcc, v8, v9
	v_lshl_add_u32 v3, v9, 7, v0
	s_orn2_b64 s[10:11], vcc, exec
.LBB108_42:
	s_or_b64 exec, exec, s[6:7]
	s_and_b64 exec, exec, s[10:11]
	s_cbranch_execz .LBB108_45
; %bb.43:
	v_mov_b32_e32 v8, 0x50
	v_lshl_add_u32 v8, v3, 2, v8
	s_mov_b64 s[6:7], 0
.LBB108_44:                             ; =>This Inner Loop Header: Depth=1
	ds_read_b32 v9, v8
	v_add_u32_e32 v3, 0x80, v3
	v_cmp_le_i32_e32 vcc, s3, v3
	s_or_b64 s[6:7], vcc, s[6:7]
	s_waitcnt lgkmcnt(0)
	v_mul_f32_e32 v9, v2, v9
	ds_write_b32 v8, v9
	v_add_u32_e32 v8, 0x200, v8
	s_andn2_b64 exec, exec, s[6:7]
	s_cbranch_execnz .LBB108_44
.LBB108_45:
	s_or_b64 exec, exec, s[0:1]
	s_mul_i32 s0, s16, s28
	v_cmp_eq_u32_e32 vcc, 0, v0
	s_mul_i32 s6, s0, s5
	s_waitcnt lgkmcnt(0)
	s_barrier
	s_and_saveexec_b64 s[0:1], vcc
	s_cbranch_execz .LBB108_47
; %bb.46:
	s_ashr_i32 s7, s6, 31
	s_lshl_b64 s[10:11], s[6:7], 2
	s_add_u32 s5, s22, s10
	s_mul_i32 s2, s16, s2
	s_addc_u32 s7, s23, s11
	s_ashr_i32 s3, s2, 31
	s_lshl_b64 s[2:3], s[2:3], 2
	s_add_u32 s15, s5, s2
	s_addc_u32 s7, s7, s3
	s_ashr_i32 s5, s4, 31
	s_lshl_b64 s[22:23], s[4:5], 2
	s_add_u32 s38, s15, s22
	s_addc_u32 s39, s7, s23
	s_add_u32 s5, s20, s10
	s_addc_u32 s7, s21, s11
	s_add_u32 s2, s5, s2
	s_addc_u32 s3, s7, s3
	s_add_u32 s2, s2, s22
	v_mov_b32_e32 v2, 0
	s_addc_u32 s3, s3, s23
	global_store_dword v2, v4, s[38:39]
	global_store_dword v2, v5, s[2:3]
.LBB108_47:
	s_or_b64 exec, exec, s[0:1]
	v_mov_b32_e32 v9, 0
	v_and_b32_e32 v19, 3, v0
	v_mov_b32_e32 v8, 0
	s_and_saveexec_b64 s[2:3], s[8:9]
	s_cbranch_execz .LBB108_57
; %bb.48:
	s_ashr_i32 s15, s14, 31
	s_sub_i32 s5, s48, s17
	s_lshl_b64 s[0:1], s[14:15], 1
	s_add_u32 s0, s36, s0
	s_addc_u32 s1, s37, s1
	s_abs_i32 s14, s18
	v_cvt_f32_u32_e32 v2, s14
	s_sub_i32 s8, 0, s14
	v_and_b32_e32 v20, 24, v10
	s_add_i32 s15, s12, -1
	v_rcp_iflag_f32_e32 v2, v2
	s_mov_b32 s10, 0
	s_mov_b32 s11, s10
	;; [unrolled: 1-line block ×3, first 2 shown]
	v_mul_f32_e32 v2, 0x4f7ffffe, v2
	v_cvt_u32_f32_e32 v2, v2
	s_mov_b32 s17, s29
	s_mov_b32 s18, s29
	;; [unrolled: 1-line block ×3, first 2 shown]
	v_mul_lo_u32 v3, s8, v2
	v_mul_hi_u32 v3, v2, v3
	v_add_u32_e32 v21, v2, v3
	v_lshlrev_b32_e32 v2, 4, v0
	v_mov_b32_e32 v3, 0
	v_and_b32_e32 v2, 0x3f0, v2
	v_lshl_add_u64 v[10:11], s[0:1], 0, v[2:3]
	s_lshl_b64 s[0:1], s[34:35], 2
	s_add_u32 s0, s30, s0
	v_lshlrev_b32_e32 v2, 5, v19
	s_addc_u32 s1, s31, s1
	v_lshl_or_b32 v2, v14, 7, v2
	s_mov_b32 s21, s29
	s_mov_b32 s22, s29
	;; [unrolled: 1-line block ×4, first 2 shown]
	v_lshl_add_u64 v[12:13], v[6:7], 2, s[0:1]
	v_add_u32_e32 v7, 0x50, v2
	s_mov_b64 s[8:9], 0
	v_mov_b64_e32 v[8:9], s[10:11]
	s_mov_b32 s30, 0x5040100
	s_branch .LBB108_51
.LBB108_49:                             ;   in Loop: Header=BB108_51 Depth=1
	s_or_b64 exec, exec, s[0:1]
	s_waitcnt vmcnt(0)
	;;#ASMSTART
	v_pk_mul_f16 v2, v33, v2;

	;;#ASMEND
	;;#ASMSTART
	v_pk_mul_f16 v3, v32, v3;

	;;#ASMEND
	;; [unrolled: 4-line block ×4, first 2 shown]
	v_add_f32_e32 v14, v34, v35
	;;#ASMSTART
	v_pk_add_f16 v2, v2, v3;

	;;#ASMEND
	v_add_f32_e32 v8, v8, v14
	;;#ASMSTART
	v_pk_add_f16 v2, v2, v4;

	;;#ASMEND
	s_nop 0
	;;#ASMSTART
	v_pk_add_f16 v2, v2, v5;

	;;#ASMEND
	s_nop 0
	v_lshrrev_b32_e32 v3, 16, v2
	v_and_b32_e32 v2, 0xffff, v2
	;;#ASMSTART
	v_cvt_f32_f16 v2, v2;
	;;#ASMEND
	;;#ASMSTART
	v_cvt_f32_f16 v3, v3;
	;;#ASMEND
	s_nop 0
	v_add_f32_e32 v2, v2, v3
	v_add_f32_e32 v9, v9, v2
.LBB108_50:                             ;   in Loop: Header=BB108_51 Depth=1
	s_or_b64 exec, exec, s[10:11]
	v_add_u32_e32 v6, 2, v6
	v_cmp_le_i32_e32 vcc, s47, v6
	v_lshl_add_u64 v[12:13], v[12:13], 0, 8
	v_add_u32_e32 v1, 64, v1
	s_or_b64 s[8:9], vcc, s[8:9]
	v_add_u32_e32 v7, 0x100, v7
	s_andn2_b64 exec, exec, s[8:9]
	s_cbranch_execz .LBB108_56
.LBB108_51:                             ; =>This Inner Loop Header: Depth=1
	v_sub_u32_e32 v3, 0, v1
	v_max_i32_e32 v3, v1, v3
	v_mul_hi_u32 v4, v3, s33
	v_mul_lo_u32 v5, v4, s25
	v_sub_u32_e32 v3, v3, v5
	v_add_u32_e32 v5, 1, v4
	v_cmp_le_u32_e32 vcc, s25, v3
	v_ashrrev_i32_e32 v2, 31, v1
	v_xor_b32_e32 v2, s19, v2
	v_cndmask_b32_e32 v4, v4, v5, vcc
	v_subrev_u32_e32 v5, s25, v3
	v_cndmask_b32_e32 v3, v3, v5, vcc
	v_add_u32_e32 v5, 1, v4
	v_cmp_le_u32_e32 vcc, s25, v3
	s_nop 1
	v_cndmask_b32_e32 v3, v4, v5, vcc
	v_xor_b32_e32 v3, v3, v2
	v_sub_u32_e32 v2, v3, v2
	v_add_u32_e32 v3, s46, v2
	v_sub_u32_e32 v5, 0, v3
	v_ashrrev_i32_e32 v4, 31, v3
	v_max_i32_e32 v3, v3, v5
	v_mul_hi_u32 v5, v3, v21
	v_mul_lo_u32 v5, v5, s14
	v_sub_u32_e32 v3, v3, v5
	v_subrev_u32_e32 v5, s14, v3
	v_cmp_le_u32_e32 vcc, s14, v3
	v_cmp_lt_i32_e64 s[0:1], s5, v2
	s_nop 0
	v_cndmask_b32_e32 v3, v3, v5, vcc
	v_subrev_u32_e32 v5, s14, v3
	v_cmp_le_u32_e32 vcc, s14, v3
	s_nop 1
	v_cndmask_b32_e32 v3, v3, v5, vcc
	v_xor_b32_e32 v3, v3, v4
	v_sub_u32_e32 v3, v3, v4
	v_cmp_eq_u32_e32 vcc, 0, v3
	s_or_b64 s[0:1], vcc, s[0:1]
	s_and_saveexec_b64 s[10:11], s[0:1]
	s_cbranch_execz .LBB108_50
; %bb.52:                               ;   in Loop: Header=BB108_51 Depth=1
	global_load_dword v14, v[12:13], off
	ds_read2_b64 v[2:5], v7 offset1:1
	ds_read2_b64 v[22:25], v7 offset0:2 offset1:3
	v_cmp_eq_u32_e32 vcc, s15, v6
	s_waitcnt lgkmcnt(1)
	;;#ASMSTART
	v_cvt_f16_f32 v30, v2;

	;;#ASMEND
	;;#ASMSTART
	v_cvt_f16_f32 v31, v3;

	;;#ASMEND
	;; [unrolled: 4-line block ×4, first 2 shown]
	s_waitcnt lgkmcnt(0)
	;;#ASMSTART
	v_cvt_f16_f32 v35, v22;

	;;#ASMEND
	;;#ASMSTART
	v_cvt_f16_f32 v36, v23;

	;;#ASMEND
	;; [unrolled: 4-line block ×4, first 2 shown]
	v_add_u32_e32 v22, v20, v1
	v_add_u32_e32 v23, 1, v22
	v_or_b32_e32 v25, 3, v22
	v_or_b32_e32 v24, 2, v22
	;; [unrolled: 1-line block ×6, first 2 shown]
	s_waitcnt vmcnt(0)
	v_mad_i64_i32 v[2:3], s[0:1], v14, s7, 0
	v_lshl_add_u64 v[14:15], v[2:3], 1, v[10:11]
	global_load_dwordx4 v[2:5], v[14:15], off
	s_and_saveexec_b64 s[12:13], vcc
	s_cbranch_execz .LBB108_54
; %bb.53:                               ;   in Loop: Header=BB108_51 Depth=1
	s_waitcnt vmcnt(0)
	v_lshrrev_b32_e32 v33, 16, v5
	v_cmp_gt_i32_e64 s[0:1], s28, v29
	s_nop 1
	v_cndmask_b32_e64 v33, 0, v33, s[0:1]
	v_cmp_gt_i32_e64 s[0:1], s23, v28
	s_nop 1
	v_cndmask_b32_e64 v5, 0, v5, s[0:1]
	v_perm_b32 v5, v33, v5, s30
	v_lshrrev_b32_e32 v33, 16, v4
	v_cmp_gt_i32_e64 s[0:1], s22, v27
	s_nop 1
	v_cndmask_b32_e64 v33, 0, v33, s[0:1]
	v_cmp_gt_i32_e64 s[0:1], s21, v26
	s_nop 1
	v_cndmask_b32_e64 v4, 0, v4, s[0:1]
	v_perm_b32 v4, v33, v4, s30
	;; [unrolled: 8-line block ×4, first 2 shown]
.LBB108_54:                             ;   in Loop: Header=BB108_51 Depth=1
	s_or_b64 exec, exec, s[12:13]
	v_and_b32_e32 v30, 0xffff, v30
	v_lshl_or_b32 v33, v31, 16, v30
	v_and_b32_e32 v30, 0xffff, v32
	v_lshl_or_b32 v32, v34, 16, v30
	;; [unrolled: 2-line block ×3, first 2 shown]
	v_and_b32_e32 v30, 0xffff, v37
	s_waitcnt vmcnt(0)
	;;#ASMSTART
	v_pk_mul_f16 v2, v33, v2;

	;;#ASMEND
	v_lshl_or_b32 v30, v38, 16, v30
	;;#ASMSTART
	v_pk_mul_f16 v3, v32, v3;

	;;#ASMEND
	;;#ASMSTART
	v_pk_mul_f16 v4, v31, v4;

	;;#ASMEND
	;; [unrolled: 4-line block ×3, first 2 shown]
	s_nop 0
	;;#ASMSTART
	v_pk_add_f16 v2, v2, v3;

	;;#ASMEND
	s_nop 0
	;;#ASMSTART
	v_pk_add_f16 v2, v2, v4;

	;;#ASMEND
	;; [unrolled: 5-line block ×3, first 2 shown]
	s_nop 0
	v_lshrrev_b32_e32 v3, 16, v2
	v_and_b32_e32 v2, 0xffff, v2
	;;#ASMSTART
	v_cvt_f32_f16 v34, v2;
	;;#ASMEND
	;;#ASMSTART
	v_cvt_f32_f16 v35, v3;
	;;#ASMEND
	global_load_dwordx4 v[2:5], v[14:15], off offset:1024
	s_and_saveexec_b64 s[0:1], vcc
	s_cbranch_execz .LBB108_49
; %bb.55:                               ;   in Loop: Header=BB108_51 Depth=1
	s_waitcnt vmcnt(0)
	v_lshrrev_b32_e32 v14, 16, v5
	v_cmp_gt_i32_e32 vcc, s28, v29
	s_nop 1
	v_cndmask_b32_e32 v14, 0, v14, vcc
	v_cmp_gt_i32_e32 vcc, s23, v28
	s_nop 1
	v_cndmask_b32_e32 v5, 0, v5, vcc
	v_perm_b32 v5, v14, v5, s30
	v_lshrrev_b32_e32 v14, 16, v4
	v_cmp_gt_i32_e32 vcc, s22, v27
	s_nop 1
	v_cndmask_b32_e32 v14, 0, v14, vcc
	v_cmp_gt_i32_e32 vcc, s21, v26
	s_nop 1
	v_cndmask_b32_e32 v4, 0, v4, vcc
	v_perm_b32 v4, v14, v4, s30
	v_lshrrev_b32_e32 v14, 16, v3
	v_cmp_gt_i32_e32 vcc, s20, v25
	s_nop 1
	v_cndmask_b32_e32 v14, 0, v14, vcc
	v_cmp_gt_i32_e32 vcc, s18, v24
	s_nop 1
	v_cndmask_b32_e32 v3, 0, v3, vcc
	v_perm_b32 v3, v14, v3, s30
	v_lshrrev_b32_e32 v14, 16, v2
	v_cmp_gt_i32_e32 vcc, s17, v23
	s_nop 1
	v_cndmask_b32_e32 v14, 0, v14, vcc
	v_cmp_gt_i32_e32 vcc, s29, v22
	s_nop 1
	v_cndmask_b32_e32 v2, 0, v2, vcc
	v_perm_b32 v2, v14, v2, s30
	s_branch .LBB108_49
.LBB108_56:
	s_or_b64 exec, exec, s[8:9]
.LBB108_57:
	s_or_b64 exec, exec, s[2:3]
	ds_bpermute_b32 v2, v17, v8
	ds_bpermute_b32 v3, v17, v9
	v_and_b32_e32 v1, 0x3c3, v0
	v_cmp_eq_u32_e32 vcc, 64, v1
	s_waitcnt lgkmcnt(0)
	s_barrier
	v_pk_add_f32 v[2:3], v[8:9], v[2:3]
	ds_bpermute_b32 v4, v18, v2
	ds_bpermute_b32 v5, v18, v3
	s_waitcnt lgkmcnt(0)
	v_pk_add_f32 v[2:3], v[2:3], v[4:5]
	s_and_saveexec_b64 s[0:1], vcc
	s_cbranch_execz .LBB108_59
; %bb.58:
	v_add_u32_e32 v5, 0x50, v16
	v_add_u32_e32 v4, 0x50, v0
	ds_write_b32 v5, v2
	ds_write_b32 v4, v3
.LBB108_59:
	s_or_b64 exec, exec, s[0:1]
	v_cmp_gt_u32_e32 vcc, 64, v0
	s_waitcnt lgkmcnt(0)
	s_barrier
	s_and_saveexec_b64 s[0:1], vcc
	s_cbranch_execz .LBB108_65
; %bb.60:
	v_cmp_eq_u32_e32 vcc, 0, v19
	v_lshrrev_b32_e32 v4, 2, v0
	s_and_saveexec_b64 s[2:3], vcc
	s_cbranch_execz .LBB108_62
; %bb.61:
	v_mov_b32_e32 v5, 0x50
	v_lshl_add_u32 v5, v4, 2, v5
	ds_read_b32 v5, v5
	s_waitcnt lgkmcnt(0)
	v_add_f32_e32 v2, v2, v5
.LBB108_62:
	s_or_b64 exec, exec, s[2:3]
	s_and_saveexec_b64 s[2:3], vcc
	s_cbranch_execz .LBB108_64
; %bb.63:
	v_mov_b32_e32 v5, 0x50
	v_lshl_add_u32 v4, v4, 2, v5
	ds_read_b32 v4, v4 offset:64
	s_waitcnt lgkmcnt(0)
	v_add_f32_e32 v3, v3, v4
.LBB108_64:
	s_or_b64 exec, exec, s[2:3]
.LBB108_65:
	s_or_b64 exec, exec, s[0:1]
	v_cmp_eq_u32_e32 vcc, 0, v1
	s_barrier
	s_and_saveexec_b64 s[0:1], vcc
	s_cbranch_execz .LBB108_67
; %bb.66:
	s_lshl_b32 s0, s6, 5
	s_ashr_i32 s1, s0, 31
	s_lshl_b64 s[0:1], s[0:1], 1
	s_add_u32 s2, s26, s0
	s_mul_i32 s0, s16, s24
	s_addc_u32 s3, s27, s1
	s_ashr_i32 s1, s0, 31
	s_lshl_b64 s[0:1], s[0:1], 1
	s_add_u32 s2, s2, s0
	s_addc_u32 s3, s3, s1
	s_lshl_b32 s0, s4, 5
	s_ashr_i32 s1, s0, 31
	s_lshl_b64 s[0:1], s[0:1], 1
	s_add_u32 s0, s2, s0
	s_addc_u32 s1, s3, s1
	v_lshrrev_b32_e32 v0, 1, v0
	;;#ASMSTART
	v_cvt_f16_f32 v1, v2;

	;;#ASMEND
	global_store_short v0, v1, s[0:1]
	;;#ASMSTART
	v_cvt_f16_f32 v1, v3;

	;;#ASMEND
	global_store_short v0, v1, s[0:1] offset:32
.LBB108_67:
	s_endpgm
	.section	.rodata,"a",@progbits
	.p2align	6, 0x0
	.amdhsa_kernel _ZN4vllm25paged_attention_v2_kernelIttLi32ELi32ELi128ELNS_18Fp8KVCacheDataTypeE0ELb1ELi512EEEvPfS2_PT_PKS3_PKT0_S9_ifPKiSB_iPKfiiiSD_SD_iiiii
		.amdhsa_group_segment_fixed_size 80
		.amdhsa_private_segment_fixed_size 0
		.amdhsa_kernarg_size 400
		.amdhsa_user_sgpr_count 2
		.amdhsa_user_sgpr_dispatch_ptr 0
		.amdhsa_user_sgpr_queue_ptr 0
		.amdhsa_user_sgpr_kernarg_segment_ptr 1
		.amdhsa_user_sgpr_dispatch_id 0
		.amdhsa_user_sgpr_kernarg_preload_length 0
		.amdhsa_user_sgpr_kernarg_preload_offset 0
		.amdhsa_user_sgpr_private_segment_size 0
		.amdhsa_uses_dynamic_stack 0
		.amdhsa_enable_private_segment 0
		.amdhsa_system_sgpr_workgroup_id_x 1
		.amdhsa_system_sgpr_workgroup_id_y 1
		.amdhsa_system_sgpr_workgroup_id_z 1
		.amdhsa_system_sgpr_workgroup_info 0
		.amdhsa_system_vgpr_workitem_id 0
		.amdhsa_next_free_vgpr 50
		.amdhsa_next_free_sgpr 52
		.amdhsa_accum_offset 52
		.amdhsa_reserve_vcc 1
		.amdhsa_float_round_mode_32 0
		.amdhsa_float_round_mode_16_64 0
		.amdhsa_float_denorm_mode_32 3
		.amdhsa_float_denorm_mode_16_64 3
		.amdhsa_dx10_clamp 1
		.amdhsa_ieee_mode 1
		.amdhsa_fp16_overflow 0
		.amdhsa_tg_split 0
		.amdhsa_exception_fp_ieee_invalid_op 0
		.amdhsa_exception_fp_denorm_src 0
		.amdhsa_exception_fp_ieee_div_zero 0
		.amdhsa_exception_fp_ieee_overflow 0
		.amdhsa_exception_fp_ieee_underflow 0
		.amdhsa_exception_fp_ieee_inexact 0
		.amdhsa_exception_int_div_zero 0
	.end_amdhsa_kernel
	.section	.text._ZN4vllm25paged_attention_v2_kernelIttLi32ELi32ELi128ELNS_18Fp8KVCacheDataTypeE0ELb1ELi512EEEvPfS2_PT_PKS3_PKT0_S9_ifPKiSB_iPKfiiiSD_SD_iiiii,"axG",@progbits,_ZN4vllm25paged_attention_v2_kernelIttLi32ELi32ELi128ELNS_18Fp8KVCacheDataTypeE0ELb1ELi512EEEvPfS2_PT_PKS3_PKT0_S9_ifPKiSB_iPKfiiiSD_SD_iiiii,comdat
.Lfunc_end108:
	.size	_ZN4vllm25paged_attention_v2_kernelIttLi32ELi32ELi128ELNS_18Fp8KVCacheDataTypeE0ELb1ELi512EEEvPfS2_PT_PKS3_PKT0_S9_ifPKiSB_iPKfiiiSD_SD_iiiii, .Lfunc_end108-_ZN4vllm25paged_attention_v2_kernelIttLi32ELi32ELi128ELNS_18Fp8KVCacheDataTypeE0ELb1ELi512EEEvPfS2_PT_PKS3_PKT0_S9_ifPKiSB_iPKfiiiSD_SD_iiiii
                                        ; -- End function
	.section	.AMDGPU.csdata,"",@progbits
; Kernel info:
; codeLenInByte = 5280
; NumSgprs: 58
; NumVgprs: 50
; NumAgprs: 0
; TotalNumVgprs: 50
; ScratchSize: 0
; MemoryBound: 0
; FloatMode: 240
; IeeeMode: 1
; LDSByteSize: 80 bytes/workgroup (compile time only)
; SGPRBlocks: 7
; VGPRBlocks: 6
; NumSGPRsForWavesPerEU: 58
; NumVGPRsForWavesPerEU: 50
; AccumOffset: 52
; Occupancy: 8
; WaveLimiterHint : 1
; COMPUTE_PGM_RSRC2:SCRATCH_EN: 0
; COMPUTE_PGM_RSRC2:USER_SGPR: 2
; COMPUTE_PGM_RSRC2:TRAP_HANDLER: 0
; COMPUTE_PGM_RSRC2:TGID_X_EN: 1
; COMPUTE_PGM_RSRC2:TGID_Y_EN: 1
; COMPUTE_PGM_RSRC2:TGID_Z_EN: 1
; COMPUTE_PGM_RSRC2:TIDIG_COMP_CNT: 0
; COMPUTE_PGM_RSRC3_GFX90A:ACCUM_OFFSET: 12
; COMPUTE_PGM_RSRC3_GFX90A:TG_SPLIT: 0
	.section	.text._ZN4vllm25paged_attention_v2_kernelIttLi64ELi32ELi128ELNS_18Fp8KVCacheDataTypeE0ELb1ELi512EEEvPfS2_PT_PKS3_PKT0_S9_ifPKiSB_iPKfiiiSD_SD_iiiii,"axG",@progbits,_ZN4vllm25paged_attention_v2_kernelIttLi64ELi32ELi128ELNS_18Fp8KVCacheDataTypeE0ELb1ELi512EEEvPfS2_PT_PKS3_PKT0_S9_ifPKiSB_iPKfiiiSD_SD_iiiii,comdat
	.protected	_ZN4vllm25paged_attention_v2_kernelIttLi64ELi32ELi128ELNS_18Fp8KVCacheDataTypeE0ELb1ELi512EEEvPfS2_PT_PKS3_PKT0_S9_ifPKiSB_iPKfiiiSD_SD_iiiii ; -- Begin function _ZN4vllm25paged_attention_v2_kernelIttLi64ELi32ELi128ELNS_18Fp8KVCacheDataTypeE0ELb1ELi512EEEvPfS2_PT_PKS3_PKT0_S9_ifPKiSB_iPKfiiiSD_SD_iiiii
	.globl	_ZN4vllm25paged_attention_v2_kernelIttLi64ELi32ELi128ELNS_18Fp8KVCacheDataTypeE0ELb1ELi512EEEvPfS2_PT_PKS3_PKT0_S9_ifPKiSB_iPKfiiiSD_SD_iiiii
	.p2align	8
	.type	_ZN4vllm25paged_attention_v2_kernelIttLi64ELi32ELi128ELNS_18Fp8KVCacheDataTypeE0ELb1ELi512EEEvPfS2_PT_PKS3_PKT0_S9_ifPKiSB_iPKfiiiSD_SD_iiiii,@function
_ZN4vllm25paged_attention_v2_kernelIttLi64ELi32ELi128ELNS_18Fp8KVCacheDataTypeE0ELb1ELi512EEEvPfS2_PT_PKS3_PKT0_S9_ifPKiSB_iPKfiiiSD_SD_iiiii: ; @_ZN4vllm25paged_attention_v2_kernelIttLi64ELi32ELi128ELNS_18Fp8KVCacheDataTypeE0ELb1ELi512EEEvPfS2_PT_PKS3_PKT0_S9_ifPKiSB_iPKfiiiSD_SD_iiiii
; %bb.0:
	s_load_dwordx2 s[6:7], s[0:1], 0x40
	s_mov_b32 s28, s3
	s_ashr_i32 s29, s3, 31
	s_lshl_b64 s[8:9], s[28:29], 2
	s_waitcnt lgkmcnt(0)
	s_add_u32 s6, s6, s8
	s_addc_u32 s7, s7, s9
	s_load_dword s29, s[6:7], 0x0
	s_lshl_b32 s49, s4, 9
	s_waitcnt lgkmcnt(0)
	s_cmp_ge_i32 s49, s29
	s_cbranch_scc1 .LBB109_72
; %bb.1:
	s_load_dword s5, s[0:1], 0x90
	s_load_dwordx2 s[38:39], s[0:1], 0x30
	s_waitcnt lgkmcnt(0)
	s_abs_i32 s7, s5
	s_abs_i32 s3, s38
	v_cvt_f32_u32_e32 v1, s3
	s_sub_i32 s8, 0, s3
	s_xor_b32 s6, s5, s38
	s_ashr_i32 s6, s6, 31
	v_rcp_iflag_f32_e32 v1, v1
	s_nop 0
	v_mul_f32_e32 v1, 0x4f7ffffe, v1
	v_cvt_u32_f32_e32 v1, v1
	s_nop 0
	v_readfirstlane_b32 s9, v1
	s_mul_i32 s8, s8, s9
	s_mul_hi_u32 s8, s9, s8
	s_add_i32 s9, s9, s8
	s_mul_hi_u32 s8, s7, s9
	s_mul_i32 s9, s8, s3
	s_sub_i32 s7, s7, s9
	s_add_i32 s10, s8, 1
	s_sub_i32 s9, s7, s3
	s_cmp_ge_u32 s7, s3
	s_cselect_b32 s8, s10, s8
	s_cselect_b32 s7, s9, s7
	s_add_i32 s9, s8, 1
	s_cmp_ge_u32 s7, s3
	s_cselect_b32 s3, s9, s8
	s_xor_b32 s3, s3, s6
	s_sub_i32 s12, s3, s6
	s_abs_i32 s8, s12
	v_cvt_f32_u32_e32 v1, s8
	s_load_dwordx2 s[6:7], s[0:1], 0x50
	s_sub_i32 s10, 0, s8
	s_abs_i32 s9, s2
	v_rcp_iflag_f32_e32 v1, v1
	s_mov_b32 s3, 0
	v_mul_f32_e32 v1, 0x4f7ffffe, v1
	v_cvt_u32_f32_e32 v1, v1
	s_nop 0
	v_readfirstlane_b32 s11, v1
	s_mul_i32 s10, s10, s11
	s_mul_hi_u32 s10, s11, s10
	s_add_i32 s11, s11, s10
	s_waitcnt lgkmcnt(0)
	s_cmp_eq_u64 s[6:7], 0
	s_mul_hi_u32 s10, s9, s11
	s_cbranch_scc1 .LBB109_3
; %bb.2:
	s_ashr_i32 s3, s2, 31
	s_lshl_b64 s[14:15], s[2:3], 2
	s_add_u32 s6, s6, s14
	s_addc_u32 s7, s7, s15
	s_load_dword s3, s[6:7], 0x0
.LBB109_3:
	s_ashr_i32 s16, s12, 31
	s_load_dwordx4 s[12:15], s[0:1], 0x58
	s_ashr_i32 s11, s2, 31
	v_and_b32_e32 v4, 1, v0
	s_lshl_b32 s24, s2, 6
	v_cmp_gt_u32_e32 vcc, 16, v0
	v_lshlrev_b32_e32 v26, 3, v0
	s_and_saveexec_b64 s[6:7], vcc
	s_cbranch_execz .LBB109_5
; %bb.4:
	s_load_dwordx2 s[18:19], s[0:1], 0x18
	s_waitcnt lgkmcnt(0)
	s_mul_i32 s20, s28, s12
	s_ashr_i32 s21, s20, 31
	s_lshl_b64 s[20:21], s[20:21], 1
	v_lshlrev_b32_e32 v1, 2, v0
	s_add_u32 s12, s18, s20
	s_addc_u32 s15, s19, s21
	s_ashr_i32 s25, s24, 31
	s_lshl_b64 s[18:19], s[24:25], 1
	s_add_u32 s18, s12, s18
	s_addc_u32 s19, s15, s19
	global_load_dwordx2 v[2:3], v26, s[18:19]
	v_and_b32_e32 v1, 0xff8, v1
	v_lshl_add_u32 v1, v4, 6, v1
	s_waitcnt vmcnt(0)
	ds_write_b64 v1, v[2:3]
.LBB109_5:
	s_or_b64 exec, exec, s[6:7]
	s_mul_i32 s7, s10, s8
	s_sub_i32 s7, s9, s7
	s_xor_b32 s6, s11, s16
	s_add_i32 s9, s10, 1
	s_sub_i32 s11, s7, s8
	s_load_dwordx4 s[16:19], s[0:1], 0x78
	s_cmp_ge_u32 s7, s8
	s_cselect_b32 s9, s9, s10
	s_cselect_b32 s7, s11, s7
	s_load_dword s11, s[0:1], 0x88
	s_add_i32 s10, s9, 1
	s_cmp_ge_u32 s7, s8
	s_cselect_b32 s7, s10, s9
	s_waitcnt lgkmcnt(0)
	s_abs_i32 s25, s19
	v_cvt_f32_u32_e32 v1, s25
	s_xor_b32 s7, s7, s6
	s_sub_i32 s10, s7, s6
	s_sub_i32 s6, 0, s25
	v_rcp_iflag_f32_e32 v1, v1
	s_add_i32 s12, s29, -1
	s_abs_i32 s8, s12
	v_mul_f32_e32 v1, 0x4f7ffffe, v1
	v_cvt_u32_f32_e32 v1, v1
	s_barrier
	v_readfirstlane_b32 s33, v1
	s_mul_i32 s6, s6, s33
	s_mul_hi_u32 s6, s33, s6
	s_add_i32 s33, s33, s6
	s_cmp_lt_i32 s11, 0
	s_mul_hi_u32 s9, s8, s33
	s_cbranch_scc0 .LBB109_7
; %bb.6:
	s_mul_i32 s6, s16, s38
	s_add_i32 s6, s10, s6
	s_mul_i32 s6, s6, s11
	s_sub_i32 s46, 1, s6
	s_mov_b64 s[6:7], 0
	s_branch .LBB109_8
.LBB109_7:
	s_mov_b64 s[6:7], -1
                                        ; implicit-def: $sgpr46
.LBB109_8:
	s_load_dwordx2 s[30:31], s[0:1], 0x38
	s_ashr_i32 s12, s12, 31
	s_andn2_b64 vcc, exec, s[6:7]
	s_ashr_i32 s19, s19, 31
	s_cbranch_vccnz .LBB109_10
; %bb.9:
	s_mul_i32 s6, s5, s16
	s_add_i32 s6, s6, s2
	s_mul_i32 s6, s6, s11
	s_add_i32 s46, s6, 1
.LBB109_10:
	s_load_dword s6, s[0:1], 0x48
	s_load_dwordx2 s[36:37], s[0:1], 0x28
	s_load_dword s16, s[0:1], 0x98
	s_load_dwordx4 s[20:23], s[0:1], 0x0
	s_load_dwordx2 s[26:27], s[0:1], 0x10
	s_mul_i32 s7, s9, s25
	s_waitcnt lgkmcnt(0)
	s_mul_i32 s34, s28, s6
	s_sub_i32 s7, s8, s7
	s_ashr_i32 s35, s34, 31
	s_xor_b32 s6, s12, s19
	s_add_i32 s8, s9, 1
	s_sub_i32 s11, s7, s25
	s_cmp_ge_u32 s7, s25
	s_cselect_b32 s8, s8, s9
	s_cselect_b32 s7, s11, s7
	s_add_i32 s9, s8, 1
	s_cmp_ge_u32 s7, s25
	s_cselect_b32 s7, s9, s8
	s_xor_b32 s7, s7, s6
	s_sub_i32 s48, s7, s6
	s_add_i32 s6, s29, 31
	s_ashr_i32 s7, s6, 31
	s_lshr_b32 s7, s7, 27
	s_add_i32 s6, s6, s7
	s_lshl_b32 s38, s4, 4
	s_ashr_i32 s12, s6, 5
	s_add_i32 s6, s38, 16
	v_lshrrev_b32_e32 v27, 6, v0
	s_min_i32 s47, s6, s12
	v_or_b32_e32 v10, s38, v27
	v_cmp_gt_i32_e64 s[8:9], s47, v10
	v_mov_b32_e32 v30, 0xff7fffff
	s_mul_i32 s14, s10, s14
	v_ashrrev_i32_e32 v11, 31, v10
	v_lshl_add_u32 v1, v27, 5, s49
	v_mbcnt_lo_u32_b32 v28, -1, 0
	s_and_saveexec_b64 s[40:41], s[8:9]
	s_cbranch_execz .LBB109_20
; %bb.11:
	s_load_dwordx2 s[0:1], s[0:1], 0x20
	s_ashr_i32 s15, s14, 31
	s_sub_i32 s50, s48, s17
	s_lshl_b64 s[6:7], s[14:15], 1
	v_bfe_u32 v29, v0, 1, 5
	s_waitcnt lgkmcnt(0)
	s_add_u32 s0, s0, s6
	s_addc_u32 s1, s1, s7
	s_abs_i32 s15, s18
	v_cvt_f32_u32_e32 v5, s15
	v_lshlrev_b32_e32 v2, 4, v29
	v_mov_b32_e32 v3, 0
	v_lshl_add_u64 v[6:7], s[0:1], 0, v[2:3]
	v_rcp_iflag_f32_e32 v5, v5
	v_and_b32_e32 v2, 8, v26
	v_lshl_add_u64 v[2:3], v[6:7], 0, v[2:3]
	s_sub_i32 s0, 0, s15
	v_mul_f32_e32 v5, 0x4f7ffffe, v5
	v_cvt_u32_f32_e32 v5, v5
	v_lshlrev_b32_e32 v6, 2, v29
	v_cmp_eq_u32_e32 vcc, 0, v4
	v_lshlrev_b32_e32 v31, 6, v4
	v_mul_lo_u32 v4, s0, v5
	s_lshl_b64 s[0:1], s[34:35], 2
	v_lshl_or_b32 v6, v27, 7, v6
	s_add_u32 s0, s30, s0
	v_add_u32_e32 v34, 0x90, v6
	v_subrev_u32_e32 v6, s29, v29
	v_mbcnt_hi_u32_b32 v37, -1, v28
	v_mul_hi_u32 v4, v5, v4
	s_addc_u32 s1, s31, s1
	v_add_u32_e32 v35, 1, v6
	v_and_b32_e32 v6, 64, v37
	s_mov_b32 s51, s13
	v_cmp_neq_f32_e64 s[6:7], s3, 0
	v_add_u32_e32 v32, v5, v4
	v_lshl_add_u64 v[4:5], v[10:11], 2, s[0:1]
	v_lshl_add_u32 v33, v27, 5, s49
	s_mov_b64 s[42:43], 0
	v_mov_b32_e32 v36, 0xff7fffff
	v_xor_b32_e32 v38, 1, v37
	v_add_u32_e32 v39, 64, v6
	v_mov_b32_e32 v30, 0xff7fffff
	v_mov_b32_e32 v40, v10
	s_branch .LBB109_14
.LBB109_12:                             ;   in Loop: Header=BB109_14 Depth=1
	s_or_b64 exec, exec, s[44:45]
.LBB109_13:                             ;   in Loop: Header=BB109_14 Depth=1
	s_or_b64 exec, exec, s[10:11]
	v_add_u32_e32 v40, 2, v40
	v_cmp_le_i32_e64 s[0:1], s47, v40
	v_lshl_add_u64 v[4:5], v[4:5], 0, 8
	v_add_u32_e32 v33, 64, v33
	s_or_b64 s[42:43], s[0:1], s[42:43]
	v_add_u32_e32 v34, 0x100, v34
	s_andn2_b64 exec, exec, s[42:43]
	s_cbranch_execz .LBB109_19
.LBB109_14:                             ; =>This Inner Loop Header: Depth=1
	s_waitcnt lgkmcnt(0)
	v_sub_u32_e32 v7, 0, v33
	v_max_i32_e32 v7, v33, v7
	v_mul_hi_u32 v8, v7, s33
	v_mul_lo_u32 v9, v8, s25
	v_sub_u32_e32 v7, v7, v9
	v_add_u32_e32 v9, 1, v8
	v_cmp_le_u32_e64 s[0:1], s25, v7
	v_ashrrev_i32_e32 v6, 31, v33
	v_xor_b32_e32 v6, s19, v6
	v_cndmask_b32_e64 v8, v8, v9, s[0:1]
	v_subrev_u32_e32 v9, s25, v7
	v_cndmask_b32_e64 v7, v7, v9, s[0:1]
	v_add_u32_e32 v9, 1, v8
	v_cmp_le_u32_e64 s[0:1], s25, v7
	s_nop 1
	v_cndmask_b32_e64 v7, v8, v9, s[0:1]
	v_xor_b32_e32 v7, v7, v6
	v_sub_u32_e32 v6, v7, v6
	v_add_u32_e32 v7, s46, v6
	v_sub_u32_e32 v9, 0, v7
	v_ashrrev_i32_e32 v8, 31, v7
	v_max_i32_e32 v7, v7, v9
	v_mul_hi_u32 v9, v7, v32
	v_mul_lo_u32 v9, v9, s15
	v_sub_u32_e32 v7, v7, v9
	v_subrev_u32_e32 v9, s15, v7
	v_cmp_le_u32_e64 s[0:1], s15, v7
	v_cmp_ge_i32_e64 s[10:11], s50, v6
	s_nop 0
	v_cndmask_b32_e64 v7, v7, v9, s[0:1]
	v_subrev_u32_e32 v9, s15, v7
	v_cmp_le_u32_e64 s[0:1], s15, v7
	s_nop 1
	v_cndmask_b32_e64 v7, v7, v9, s[0:1]
	v_xor_b32_e32 v7, v7, v8
	v_sub_u32_e32 v7, v7, v8
	v_cmp_ne_u32_e64 s[0:1], 0, v7
	s_and_b64 s[0:1], s[0:1], s[10:11]
	s_and_b64 s[44:45], vcc, s[0:1]
	s_and_saveexec_b64 s[10:11], s[44:45]
	s_cbranch_execz .LBB109_16
; %bb.15:                               ;   in Loop: Header=BB109_14 Depth=1
	ds_write_b32 v34, v36
.LBB109_16:                             ;   in Loop: Header=BB109_14 Depth=1
	s_or_b64 exec, exec, s[10:11]
	s_xor_b64 s[0:1], s[0:1], -1
	s_and_saveexec_b64 s[10:11], s[0:1]
	s_cbranch_execz .LBB109_13
; %bb.17:                               ;   in Loop: Header=BB109_14 Depth=1
	global_load_dword v6, v[4:5], off
	s_waitcnt vmcnt(0)
	v_mad_i64_i32 v[6:7], s[0:1], v6, s51, 0
	v_lshl_add_u64 v[24:25], v[6:7], 1, v[2:3]
	global_load_dwordx2 v[22:23], v[24:25], off
	global_load_dwordx2 v[20:21], v[24:25], off offset:512
	global_load_dwordx2 v[18:19], v[24:25], off offset:1024
	;; [unrolled: 1-line block ×7, first 2 shown]
	ds_read_b64 v[24:25], v31
	v_cmp_lt_i32_e64 s[0:1], v38, v39
	s_waitcnt lgkmcnt(0)
	v_lshrrev_b32_e32 v42, 16, v24
	v_and_b32_e32 v24, 0xffff, v24
	v_lshrrev_b32_e32 v43, 16, v25
	v_and_b32_e32 v25, 0xffff, v25
	;;#ASMSTART
	v_cvt_f32_f16 v24, v24;
	;;#ASMEND
	;;#ASMSTART
	v_cvt_f32_f16 v42, v42;
	;;#ASMEND
	v_cndmask_b32_e64 v41, v37, v38, s[0:1]
	s_waitcnt vmcnt(7)
	v_lshrrev_b32_e32 v44, 16, v22
	v_and_b32_e32 v22, 0xffff, v22
	v_lshrrev_b32_e32 v45, 16, v23
	v_and_b32_e32 v23, 0xffff, v23
	;;#ASMSTART
	v_cvt_f32_f16 v22, v22;
	;;#ASMEND
	;;#ASMSTART
	v_cvt_f32_f16 v44, v44;
	;;#ASMEND
	s_waitcnt vmcnt(1)
	v_lshrrev_b32_e32 v56, 16, v8
	v_and_b32_e32 v57, 0xffff, v8
	v_lshrrev_b32_e32 v58, 16, v9
	v_and_b32_e32 v59, 0xffff, v9
	;;#ASMSTART
	v_cvt_f32_f16 v25, v25;
	;;#ASMEND
	;;#ASMSTART
	v_cvt_f32_f16 v43, v43;
	;;#ASMEND
	;; [unrolled: 3-line block ×4, first 2 shown]
	ds_read_b64 v[8:9], v31 offset:8
	v_lshrrev_b32_e32 v46, 16, v20
	v_and_b32_e32 v20, 0xffff, v20
	v_lshrrev_b32_e32 v47, 16, v21
	v_and_b32_e32 v21, 0xffff, v21
	s_waitcnt vmcnt(0)
	v_lshrrev_b32_e32 v60, 16, v6
	v_and_b32_e32 v61, 0xffff, v6
	v_lshrrev_b32_e32 v62, 16, v7
	v_and_b32_e32 v63, 0xffff, v7
	s_waitcnt lgkmcnt(0)
	v_lshrrev_b32_e32 v6, 16, v8
	v_and_b32_e32 v7, 0xffff, v8
	v_lshrrev_b32_e32 v8, 16, v9
	v_and_b32_e32 v9, 0xffff, v9
	;;#ASMSTART
	v_cvt_f32_f16 v64, v7;
	;;#ASMEND
	;;#ASMSTART
	v_cvt_f32_f16 v65, v6;
	;;#ASMEND
	;; [unrolled: 3-line block ×8, first 2 shown]
	ds_read_b64 v[6:7], v31 offset:16
	v_mul_f32_e32 v20, v64, v20
	v_lshrrev_b32_e32 v48, 16, v18
	v_and_b32_e32 v18, 0xffff, v18
	v_lshrrev_b32_e32 v49, 16, v19
	v_and_b32_e32 v19, 0xffff, v19
	v_mul_f32_e32 v46, v65, v46
	v_mul_f32_e32 v9, v9, v21
	v_fmac_f32_e32 v20, v24, v22
	s_waitcnt lgkmcnt(0)
	v_lshrrev_b32_e32 v21, 16, v6
	v_and_b32_e32 v6, 0xffff, v6
	v_lshrrev_b32_e32 v22, 16, v7
	v_and_b32_e32 v7, 0xffff, v7
	v_fmac_f32_e32 v46, v42, v44
	v_fmac_f32_e32 v9, v25, v23
	;;#ASMSTART
	v_cvt_f32_f16 v23, v6;
	;;#ASMEND
	;;#ASMSTART
	v_cvt_f32_f16 v21, v21;
	;;#ASMEND
	;; [unrolled: 3-line block ×8, first 2 shown]
	ds_read_b64 v[6:7], v31 offset:24
	v_mul_f32_e32 v8, v8, v47
	v_lshrrev_b32_e32 v50, 16, v16
	v_and_b32_e32 v16, 0xffff, v16
	v_lshrrev_b32_e32 v51, 16, v17
	v_and_b32_e32 v17, 0xffff, v17
	v_fmac_f32_e32 v8, v43, v45
	v_fmac_f32_e32 v20, v23, v18
	;; [unrolled: 1-line block ×3, first 2 shown]
	s_waitcnt lgkmcnt(0)
	v_lshrrev_b32_e32 v18, 16, v6
	v_and_b32_e32 v6, 0xffff, v6
	v_lshrrev_b32_e32 v19, 16, v7
	v_and_b32_e32 v7, 0xffff, v7
	v_fmac_f32_e32 v46, v21, v24
	v_fmac_f32_e32 v8, v22, v42
	;;#ASMSTART
	v_cvt_f32_f16 v21, v6;
	;;#ASMEND
	;;#ASMSTART
	v_cvt_f32_f16 v18, v18;
	;;#ASMEND
	;; [unrolled: 3-line block ×8, first 2 shown]
	ds_read_b64 v[6:7], v31 offset:32
	v_lshrrev_b32_e32 v52, 16, v14
	v_and_b32_e32 v14, 0xffff, v14
	v_lshrrev_b32_e32 v53, 16, v15
	v_and_b32_e32 v15, 0xffff, v15
	v_fmac_f32_e32 v20, v21, v16
	v_fmac_f32_e32 v9, v23, v17
	s_waitcnt lgkmcnt(0)
	v_lshrrev_b32_e32 v16, 16, v6
	v_and_b32_e32 v6, 0xffff, v6
	v_lshrrev_b32_e32 v17, 16, v7
	v_and_b32_e32 v7, 0xffff, v7
	v_fmac_f32_e32 v46, v18, v22
	v_fmac_f32_e32 v8, v19, v24
	;;#ASMSTART
	v_cvt_f32_f16 v18, v6;
	;;#ASMEND
	;;#ASMSTART
	v_cvt_f32_f16 v16, v16;
	;;#ASMEND
	;; [unrolled: 3-line block ×8, first 2 shown]
	ds_read_b64 v[6:7], v31 offset:40
	v_lshrrev_b32_e32 v54, 16, v12
	v_and_b32_e32 v12, 0xffff, v12
	v_lshrrev_b32_e32 v55, 16, v13
	v_and_b32_e32 v13, 0xffff, v13
	v_fmac_f32_e32 v20, v18, v14
	v_fmac_f32_e32 v9, v21, v15
	s_waitcnt lgkmcnt(0)
	v_lshrrev_b32_e32 v14, 16, v6
	v_and_b32_e32 v6, 0xffff, v6
	v_lshrrev_b32_e32 v15, 16, v7
	v_and_b32_e32 v7, 0xffff, v7
	v_fmac_f32_e32 v46, v16, v19
	v_fmac_f32_e32 v8, v17, v22
	;;#ASMSTART
	v_cvt_f32_f16 v16, v6;
	;;#ASMEND
	;;#ASMSTART
	v_cvt_f32_f16 v14, v14;
	;;#ASMEND
	;;#ASMSTART
	v_cvt_f32_f16 v12, v12;
	;;#ASMEND
	;;#ASMSTART
	v_cvt_f32_f16 v17, v54;
	;;#ASMEND
	;;#ASMSTART
	v_cvt_f32_f16 v18, v7;
	;;#ASMEND
	;;#ASMSTART
	v_cvt_f32_f16 v15, v15;
	;;#ASMEND
	;;#ASMSTART
	v_cvt_f32_f16 v13, v13;
	;;#ASMEND
	;;#ASMSTART
	v_cvt_f32_f16 v19, v55;
	;;#ASMEND
	ds_read_b64 v[6:7], v31 offset:48
	v_fmac_f32_e32 v20, v16, v12
	v_fmac_f32_e32 v9, v18, v13
	;; [unrolled: 1-line block ×4, first 2 shown]
	s_waitcnt lgkmcnt(0)
	v_lshrrev_b32_e32 v12, 16, v6
	v_and_b32_e32 v6, 0xffff, v6
	v_lshrrev_b32_e32 v13, 16, v7
	v_and_b32_e32 v7, 0xffff, v7
	;;#ASMSTART
	v_cvt_f32_f16 v14, v6;
	;;#ASMEND
	;;#ASMSTART
	v_cvt_f32_f16 v12, v12;
	;;#ASMEND
	;; [unrolled: 3-line block ×8, first 2 shown]
	ds_read_b64 v[6:7], v31 offset:56
	v_fmac_f32_e32 v20, v14, v15
	v_fmac_f32_e32 v46, v12, v16
	;; [unrolled: 1-line block ×4, first 2 shown]
	s_waitcnt lgkmcnt(0)
	v_lshrrev_b32_e32 v12, 16, v6
	v_and_b32_e32 v6, 0xffff, v6
	v_lshrrev_b32_e32 v13, 16, v7
	v_and_b32_e32 v7, 0xffff, v7
	;;#ASMSTART
	v_cvt_f32_f16 v6, v6;
	;;#ASMEND
	;;#ASMSTART
	v_cvt_f32_f16 v12, v12;
	;;#ASMEND
	;;#ASMSTART
	v_cvt_f32_f16 v14, v61;
	;;#ASMEND
	;;#ASMSTART
	v_cvt_f32_f16 v15, v60;
	;;#ASMEND
	;;#ASMSTART
	v_cvt_f32_f16 v7, v7;
	;;#ASMEND
	;;#ASMSTART
	v_cvt_f32_f16 v13, v13;
	;;#ASMEND
	;;#ASMSTART
	v_cvt_f32_f16 v16, v63;
	;;#ASMEND
	;;#ASMSTART
	v_cvt_f32_f16 v17, v62;
	;;#ASMEND
	s_nop 0
	v_fmac_f32_e32 v20, v6, v14
	v_fmac_f32_e32 v46, v12, v15
	;; [unrolled: 1-line block ×3, first 2 shown]
	v_add_f32_e32 v6, v20, v46
	v_fmac_f32_e32 v8, v13, v17
	v_add_f32_e32 v6, v6, v9
	v_add_f32_e32 v6, v8, v6
	v_lshlrev_b32_e32 v7, 2, v41
	ds_bpermute_b32 v7, v7, v6
	s_and_saveexec_b64 s[44:45], vcc
	s_cbranch_execz .LBB109_12
; %bb.18:                               ;   in Loop: Header=BB109_14 Depth=1
	v_add_u32_e32 v8, v35, v33
	v_cvt_f32_i32_e32 v8, v8
	s_waitcnt lgkmcnt(0)
	v_add_f32_e32 v6, v6, v7
	v_add_u32_e32 v9, v29, v33
	v_cmp_gt_i32_e64 s[0:1], s29, v9
	v_mul_f32_e32 v7, s3, v8
	v_cndmask_b32_e64 v7, 0, v7, s[6:7]
	v_fmac_f32_e32 v7, s39, v6
	v_cndmask_b32_e64 v6, 0, v7, s[0:1]
	ds_write_b32 v34, v6
	v_max_f32_e32 v6, v30, v30
	v_max_f32_e32 v6, v6, v7
	v_cndmask_b32_e64 v30, v30, v6, s[0:1]
	s_branch .LBB109_12
.LBB109_19:
	s_or_b64 exec, exec, s[42:43]
.LBB109_20:
	s_or_b64 exec, exec, s[40:41]
	v_mbcnt_hi_u32_b32 v4, -1, v28
	v_and_b32_e32 v2, 64, v4
	v_add_u32_e32 v9, 64, v2
	v_xor_b32_e32 v2, 32, v4
	v_cmp_lt_i32_e32 vcc, v2, v9
	v_xor_b32_e32 v6, 16, v4
	v_max_f32_e32 v5, v30, v30
	v_cndmask_b32_e32 v2, v4, v2, vcc
	v_lshlrev_b32_e32 v2, 2, v2
	ds_bpermute_b32 v3, v2, v30
	v_cmp_lt_i32_e32 vcc, v6, v9
	s_waitcnt lgkmcnt(1)
	v_xor_b32_e32 v7, 8, v4
	v_xor_b32_e32 v8, 4, v4
	;; [unrolled: 1-line block ×3, first 2 shown]
	s_waitcnt lgkmcnt(0)
	v_max_f32_e32 v3, v3, v3
	v_max_f32_e32 v5, v5, v3
	v_cndmask_b32_e32 v3, v4, v6, vcc
	v_lshlrev_b32_e32 v3, 2, v3
	ds_bpermute_b32 v6, v3, v5
	v_cmp_lt_i32_e32 vcc, v7, v9
	v_and_b32_e32 v18, 63, v0
	s_waitcnt lgkmcnt(0)
	v_max_f32_e32 v6, v6, v6
	v_max_f32_e32 v6, v5, v6
	v_cndmask_b32_e32 v5, v4, v7, vcc
	v_lshlrev_b32_e32 v5, 2, v5
	ds_bpermute_b32 v7, v5, v6
	v_cmp_lt_i32_e32 vcc, v8, v9
	s_waitcnt lgkmcnt(0)
	v_max_f32_e32 v7, v7, v7
	v_max_f32_e32 v7, v6, v7
	v_cndmask_b32_e32 v6, v4, v8, vcc
	v_lshlrev_b32_e32 v6, 2, v6
	ds_bpermute_b32 v8, v6, v7
	v_cmp_lt_i32_e32 vcc, v12, v9
	s_waitcnt lgkmcnt(0)
	v_max_f32_e32 v8, v8, v8
	v_max_f32_e32 v8, v7, v8
	v_cndmask_b32_e32 v7, v4, v12, vcc
	v_lshlrev_b32_e32 v19, 2, v7
	ds_bpermute_b32 v12, v19, v8
	v_cmp_eq_u32_e32 vcc, 0, v18
	v_lshlrev_b32_e32 v7, 2, v27
	s_and_saveexec_b64 s[0:1], vcc
	s_cbranch_execz .LBB109_22
; %bb.21:
	s_waitcnt lgkmcnt(0)
	v_max_f32_e32 v12, v12, v12
	v_max_f32_e32 v8, v8, v8
	;; [unrolled: 1-line block ×3, first 2 shown]
	ds_write_b32 v7, v8 offset:128
.LBB109_22:
	s_or_b64 exec, exec, s[0:1]
	v_cmp_gt_u32_e64 s[0:1], 2, v18
	s_waitcnt lgkmcnt(0)
	v_mov_b32_e32 v12, 0xff7fffff
	v_lshlrev_b32_e32 v8, 2, v18
	s_barrier
	s_and_saveexec_b64 s[6:7], s[0:1]
	s_cbranch_execz .LBB109_24
; %bb.23:
	ds_read_b32 v12, v8 offset:128
.LBB109_24:
	s_or_b64 exec, exec, s[6:7]
	v_xor_b32_e32 v13, 1, v4
	v_cmp_lt_i32_e64 s[6:7], v13, v9
	s_sub_i32 s3, s47, s38
	s_lshl_b32 s3, s3, 5
	v_cndmask_b32_e64 v9, v4, v13, s[6:7]
	v_lshlrev_b32_e32 v20, 2, v9
	s_waitcnt lgkmcnt(0)
	ds_bpermute_b32 v9, v20, v12
	v_max_f32_e32 v12, v12, v12
	v_lshlrev_b32_e32 v4, 2, v4
	s_add_i32 s3, s3, s49
	s_min_i32 s15, s3, s29
	s_waitcnt lgkmcnt(0)
	v_max_f32_e32 v9, v9, v9
	v_max_f32_e32 v12, v12, v9
	v_and_b32_e32 v9, 0x100, v4
	ds_bpermute_b32 v4, v9, v12
	s_sub_i32 s3, s15, s49
	v_cmp_gt_i32_e64 s[6:7], s3, v0
	v_mov_b32_e32 v12, 0
	s_and_saveexec_b64 s[38:39], s[6:7]
	s_cbranch_execz .LBB109_28
; %bb.25:
	v_mov_b32_e32 v12, 0x90
	v_lshl_add_u32 v13, v0, 2, v12
	s_mov_b64 s[40:41], 0
	v_mov_b32_e32 v12, 0
	v_mov_b32_e32 v14, v0
.LBB109_26:                             ; =>This Inner Loop Header: Depth=1
	ds_read_b32 v15, v13
	v_add_u32_e32 v14, 0x80, v14
	v_cmp_le_i32_e64 s[10:11], s3, v14
	s_or_b64 s[40:41], s[10:11], s[40:41]
	s_waitcnt lgkmcnt(0)
	v_sub_f32_e32 v15, v15, v4
	v_mul_f32_e32 v15, 0x3fb8aa3b, v15
	v_exp_f32_e32 v15, v15
	ds_write_b32 v13, v15
	v_add_f32_e32 v12, v12, v15
	v_add_u32_e32 v13, 0x200, v13
	s_andn2_b64 exec, exec, s[40:41]
	s_cbranch_execnz .LBB109_26
; %bb.27:
	s_or_b64 exec, exec, s[40:41]
.LBB109_28:
	s_or_b64 exec, exec, s[38:39]
	ds_bpermute_b32 v2, v2, v12
	s_waitcnt lgkmcnt(0)
	v_add_f32_e32 v2, v12, v2
	ds_bpermute_b32 v3, v3, v2
	s_waitcnt lgkmcnt(0)
	v_add_f32_e32 v2, v2, v3
	;; [unrolled: 3-line block ×6, first 2 shown]
	s_and_saveexec_b64 s[10:11], vcc
	s_cbranch_execz .LBB109_30
; %bb.29:
	ds_write_b32 v7, v2 offset:136
.LBB109_30:
	s_or_b64 exec, exec, s[10:11]
	s_waitcnt lgkmcnt(0)
	s_barrier
	s_and_saveexec_b64 s[10:11], s[0:1]
	s_cbranch_execz .LBB109_32
; %bb.31:
	ds_read_b32 v2, v8 offset:136
.LBB109_32:
	s_or_b64 exec, exec, s[10:11]
	s_waitcnt lgkmcnt(0)
	ds_bpermute_b32 v3, v20, v2
	s_waitcnt lgkmcnt(0)
	v_add_f32_e32 v2, v2, v3
	ds_bpermute_b32 v5, v9, v2
	s_and_saveexec_b64 s[0:1], s[6:7]
	s_cbranch_execz .LBB109_45
; %bb.33:
	s_waitcnt lgkmcnt(0)
	v_add_f32_e32 v2, 0x358637bd, v5
	v_div_scale_f32 v3, s[6:7], v2, v2, 1.0
	v_rcp_f32_e32 v6, v3
	v_div_scale_f32 v7, vcc, 1.0, v2, 1.0
	s_movk_i32 s6, 0x7f
	v_fma_f32 v8, -v3, v6, 1.0
	v_fmac_f32_e32 v6, v8, v6
	v_mul_f32_e32 v8, v7, v6
	v_fma_f32 v9, -v3, v8, v7
	v_fmac_f32_e32 v8, v9, v6
	v_fma_f32 v3, -v3, v8, v7
	v_div_fmas_f32 v3, v3, v6, v8
	v_div_fixup_f32 v2, v3, v2, 1.0
	v_xad_u32 v3, v0, -1, s15
	v_subrev_u32_e32 v6, s49, v3
	v_cmp_lt_u32_e32 vcc, s6, v6
	s_mov_b64 s[10:11], -1
	v_mov_b32_e32 v3, v0
	s_and_saveexec_b64 s[6:7], vcc
	s_cbranch_execz .LBB109_42
; %bb.34:
	v_lshrrev_b32_e32 v6, 7, v6
	v_add_u32_e32 v8, -1, v6
	v_lshrrev_b32_e32 v7, 1, v8
	v_mov_b32_e32 v3, v2
	v_add_u32_e32 v7, 1, v7
	v_cmp_lt_u32_e32 vcc, 13, v8
	v_mov_b32_e32 v12, 0
	s_and_saveexec_b64 s[10:11], vcc
	s_cbranch_execz .LBB109_38
; %bb.35:
	v_mov_b32_e32 v9, 0x90
	v_and_b32_e32 v8, -8, v7
	v_lshl_add_u32 v9, v0, 2, v9
	s_mov_b32 s15, 0
	s_mov_b64 s[38:39], 0
.LBB109_36:                             ; =>This Inner Loop Header: Depth=1
	ds_read2st64_b32 v[12:13], v9 offset1:2
	ds_read2st64_b32 v[14:15], v9 offset0:4 offset1:6
	ds_read2st64_b32 v[16:17], v9 offset0:8 offset1:10
	ds_read2st64_b32 v[22:23], v9 offset0:12 offset1:14
	v_add_u32_e32 v8, -8, v8
	s_waitcnt lgkmcnt(3)
	v_pk_mul_f32 v[12:13], v[2:3], v[12:13]
	s_waitcnt lgkmcnt(2)
	v_pk_mul_f32 v[14:15], v[2:3], v[14:15]
	ds_write2st64_b32 v9, v12, v13 offset1:2
	ds_write2st64_b32 v9, v14, v15 offset0:4 offset1:6
	ds_read2st64_b32 v[14:15], v9 offset0:16 offset1:18
	s_waitcnt lgkmcnt(4)
	v_pk_mul_f32 v[12:13], v[2:3], v[16:17]
	ds_write2st64_b32 v9, v12, v13 offset0:8 offset1:10
	s_waitcnt lgkmcnt(4)
	v_pk_mul_f32 v[12:13], v[2:3], v[22:23]
	ds_write2st64_b32 v9, v12, v13 offset0:12 offset1:14
	ds_read2st64_b32 v[12:13], v9 offset0:20 offset1:22
	s_waitcnt lgkmcnt(3)
	v_pk_mul_f32 v[14:15], v[2:3], v[14:15]
	ds_read2st64_b32 v[16:17], v9 offset0:24 offset1:26
	ds_write2st64_b32 v9, v14, v15 offset0:16 offset1:18
	ds_read2st64_b32 v[14:15], v9 offset0:28 offset1:30
	s_waitcnt lgkmcnt(3)
	v_pk_mul_f32 v[12:13], v[2:3], v[12:13]
	ds_write2st64_b32 v9, v12, v13 offset0:20 offset1:22
	s_waitcnt lgkmcnt(3)
	v_pk_mul_f32 v[12:13], v[2:3], v[16:17]
	ds_write2st64_b32 v9, v12, v13 offset0:24 offset1:26
	s_waitcnt lgkmcnt(2)
	v_pk_mul_f32 v[12:13], v[2:3], v[14:15]
	s_add_i32 s15, s15, 16
	v_cmp_eq_u32_e32 vcc, 0, v8
	ds_write2st64_b32 v9, v12, v13 offset0:28 offset1:30
	v_add_u32_e32 v9, 0x2000, v9
	s_or_b64 s[38:39], vcc, s[38:39]
	v_mov_b32_e32 v12, s15
	s_andn2_b64 exec, exec, s[38:39]
	s_cbranch_execnz .LBB109_36
; %bb.37:
	s_or_b64 exec, exec, s[38:39]
.LBB109_38:
	s_or_b64 exec, exec, s[10:11]
	v_and_b32_e32 v7, 7, v7
	v_cmp_ne_u32_e32 vcc, 0, v7
	s_and_saveexec_b64 s[10:11], vcc
	s_cbranch_execz .LBB109_41
; %bb.39:
	v_lshlrev_b32_e32 v8, 9, v12
	v_lshlrev_b32_e32 v9, 2, v0
	s_movk_i32 s15, 0x90
	v_add3_u32 v8, v8, v9, s15
	s_mov_b64 s[38:39], 0
.LBB109_40:                             ; =>This Inner Loop Header: Depth=1
	ds_read2st64_b32 v[12:13], v8 offset1:2
	v_add_u32_e32 v7, -1, v7
	v_cmp_eq_u32_e32 vcc, 0, v7
	s_or_b64 s[38:39], vcc, s[38:39]
	s_waitcnt lgkmcnt(0)
	v_pk_mul_f32 v[12:13], v[2:3], v[12:13]
	ds_write2st64_b32 v8, v12, v13 offset1:2
	v_add_u32_e32 v8, 0x400, v8
	s_andn2_b64 exec, exec, s[38:39]
	s_cbranch_execnz .LBB109_40
.LBB109_41:
	s_or_b64 exec, exec, s[10:11]
	v_add_u32_e32 v6, 1, v6
	v_and_b32_e32 v7, 0x3fffffe, v6
	v_cmp_ne_u32_e32 vcc, v6, v7
	v_lshl_add_u32 v3, v7, 7, v0
	s_orn2_b64 s[10:11], vcc, exec
.LBB109_42:
	s_or_b64 exec, exec, s[6:7]
	s_and_b64 exec, exec, s[10:11]
	s_cbranch_execz .LBB109_45
; %bb.43:
	v_mov_b32_e32 v6, 0x90
	v_lshl_add_u32 v6, v3, 2, v6
	s_mov_b64 s[6:7], 0
.LBB109_44:                             ; =>This Inner Loop Header: Depth=1
	ds_read_b32 v7, v6
	v_add_u32_e32 v3, 0x80, v3
	v_cmp_le_i32_e32 vcc, s3, v3
	s_or_b64 s[6:7], vcc, s[6:7]
	s_waitcnt lgkmcnt(0)
	v_mul_f32_e32 v7, v2, v7
	ds_write_b32 v6, v7
	v_add_u32_e32 v6, 0x200, v6
	s_andn2_b64 exec, exec, s[6:7]
	s_cbranch_execnz .LBB109_44
.LBB109_45:
	s_or_b64 exec, exec, s[0:1]
	s_mul_i32 s0, s16, s28
	v_cmp_eq_u32_e32 vcc, 0, v0
	s_mul_i32 s6, s0, s5
	s_waitcnt lgkmcnt(0)
	s_barrier
	s_and_saveexec_b64 s[0:1], vcc
	s_cbranch_execz .LBB109_47
; %bb.46:
	s_ashr_i32 s7, s6, 31
	s_lshl_b64 s[10:11], s[6:7], 2
	s_add_u32 s5, s22, s10
	s_mul_i32 s2, s16, s2
	s_addc_u32 s7, s23, s11
	s_ashr_i32 s3, s2, 31
	s_lshl_b64 s[2:3], s[2:3], 2
	s_add_u32 s15, s5, s2
	s_addc_u32 s7, s7, s3
	s_ashr_i32 s5, s4, 31
	s_lshl_b64 s[22:23], s[4:5], 2
	s_add_u32 s38, s15, s22
	s_addc_u32 s39, s7, s23
	s_add_u32 s5, s20, s10
	s_addc_u32 s7, s21, s11
	;; [unrolled: 2-line block ×3, first 2 shown]
	s_add_u32 s2, s2, s22
	v_mov_b32_e32 v2, 0
	s_addc_u32 s3, s3, s23
	global_store_dword v2, v4, s[38:39]
	global_store_dword v2, v5, s[2:3]
.LBB109_47:
	s_or_b64 exec, exec, s[0:1]
	v_mov_b32_e32 v5, 0
	v_and_b32_e32 v21, 3, v0
	v_mov_b32_e32 v4, 0
	v_mov_b32_e32 v3, 0
	;; [unrolled: 1-line block ×3, first 2 shown]
	s_and_saveexec_b64 s[2:3], s[8:9]
	s_cbranch_execz .LBB109_61
; %bb.48:
	s_ashr_i32 s15, s14, 31
	s_sub_i32 s5, s48, s17
	s_lshl_b64 s[0:1], s[14:15], 1
	s_add_u32 s0, s36, s0
	s_addc_u32 s1, s37, s1
	s_abs_i32 s14, s18
	v_cvt_f32_u32_e32 v2, s14
	s_sub_i32 s8, 0, s14
	s_add_i32 s15, s12, -1
	s_mov_b32 s36, 0
	v_rcp_iflag_f32_e32 v2, v2
	s_mov_b32 s37, s36
	s_mov_b32 s38, s36
	;; [unrolled: 1-line block ×3, first 2 shown]
	v_mul_f32_e32 v2, 0x4f7ffffe, v2
	v_cvt_u32_f32_e32 v2, v2
	v_and_b32_e32 v22, 24, v26
	s_mov_b32 s7, s13
	s_mov_b32 s17, s29
	v_mul_lo_u32 v3, s8, v2
	v_mul_hi_u32 v3, v2, v3
	v_add_u32_e32 v23, v2, v3
	v_lshlrev_b32_e32 v2, 4, v0
	v_mov_b32_e32 v3, 0
	v_and_b32_e32 v2, 0x3f0, v2
	v_lshl_add_u64 v[12:13], s[0:1], 0, v[2:3]
	s_lshl_b64 s[0:1], s[34:35], 2
	s_add_u32 s0, s30, s0
	v_lshlrev_b32_e32 v2, 5, v21
	s_addc_u32 s1, s31, s1
	v_lshl_or_b32 v2, v27, 7, v2
	v_lshl_add_u64 v[14:15], v[10:11], 2, s[0:1]
	v_add_u32_e32 v11, 0x90, v2
	v_mov_b64_e32 v[2:3], s[36:37]
	s_mov_b32 s18, s29
	s_mov_b32 s20, s29
	;; [unrolled: 1-line block ×6, first 2 shown]
	s_mov_b64 s[8:9], 0
	v_mov_b64_e32 v[4:5], s[38:39]
	s_mov_b32 s30, 0x5040100
	s_branch .LBB109_51
.LBB109_49:                             ;   in Loop: Header=BB109_51 Depth=1
	s_or_b64 exec, exec, s[0:1]
	s_waitcnt vmcnt(0)
	;;#ASMSTART
	v_pk_mul_f16 v6, v35, v6;

	;;#ASMEND
	;;#ASMSTART
	v_pk_mul_f16 v7, v34, v7;

	;;#ASMEND
	;; [unrolled: 4-line block ×4, first 2 shown]
	v_add_f32_e32 v16, v36, v37
	;;#ASMSTART
	v_pk_add_f16 v6, v6, v7;

	;;#ASMEND
	v_add_f32_e32 v2, v2, v16
	;;#ASMSTART
	v_pk_add_f16 v6, v6, v8;

	;;#ASMEND
	;; [unrolled: 5-line block ×3, first 2 shown]
	v_add_f32_e32 v3, v3, v16
	v_lshrrev_b32_e32 v7, 16, v6
	v_and_b32_e32 v6, 0xffff, v6
	;;#ASMSTART
	v_cvt_f32_f16 v6, v6;
	;;#ASMEND
	v_add_f32_e32 v16, v40, v41
	;;#ASMSTART
	v_cvt_f32_f16 v7, v7;
	;;#ASMEND
	v_add_f32_e32 v4, v4, v16
	v_add_f32_e32 v6, v6, v7
	;; [unrolled: 1-line block ×3, first 2 shown]
.LBB109_50:                             ;   in Loop: Header=BB109_51 Depth=1
	s_or_b64 exec, exec, s[10:11]
	v_add_u32_e32 v10, 2, v10
	v_cmp_le_i32_e32 vcc, s47, v10
	v_lshl_add_u64 v[14:15], v[14:15], 0, 8
	v_add_u32_e32 v1, 64, v1
	s_or_b64 s[8:9], vcc, s[8:9]
	v_add_u32_e32 v11, 0x100, v11
	s_andn2_b64 exec, exec, s[8:9]
	s_cbranch_execz .LBB109_60
.LBB109_51:                             ; =>This Inner Loop Header: Depth=1
	v_sub_u32_e32 v7, 0, v1
	v_max_i32_e32 v7, v1, v7
	v_mul_hi_u32 v8, v7, s33
	v_mul_lo_u32 v9, v8, s25
	v_sub_u32_e32 v7, v7, v9
	v_add_u32_e32 v9, 1, v8
	v_cmp_le_u32_e32 vcc, s25, v7
	v_ashrrev_i32_e32 v6, 31, v1
	v_xor_b32_e32 v6, s19, v6
	v_cndmask_b32_e32 v8, v8, v9, vcc
	v_subrev_u32_e32 v9, s25, v7
	v_cndmask_b32_e32 v7, v7, v9, vcc
	v_add_u32_e32 v9, 1, v8
	v_cmp_le_u32_e32 vcc, s25, v7
	s_nop 1
	v_cndmask_b32_e32 v7, v8, v9, vcc
	v_xor_b32_e32 v7, v7, v6
	v_sub_u32_e32 v6, v7, v6
	v_add_u32_e32 v7, s46, v6
	v_sub_u32_e32 v9, 0, v7
	v_ashrrev_i32_e32 v8, 31, v7
	v_max_i32_e32 v7, v7, v9
	v_mul_hi_u32 v9, v7, v23
	v_mul_lo_u32 v9, v9, s14
	v_sub_u32_e32 v7, v7, v9
	v_subrev_u32_e32 v9, s14, v7
	v_cmp_le_u32_e32 vcc, s14, v7
	v_cmp_lt_i32_e64 s[0:1], s5, v6
	s_nop 0
	v_cndmask_b32_e32 v7, v7, v9, vcc
	v_subrev_u32_e32 v9, s14, v7
	v_cmp_le_u32_e32 vcc, s14, v7
	s_nop 1
	v_cndmask_b32_e32 v7, v7, v9, vcc
	v_xor_b32_e32 v7, v7, v8
	v_sub_u32_e32 v7, v7, v8
	v_cmp_eq_u32_e32 vcc, 0, v7
	s_or_b64 s[0:1], vcc, s[0:1]
	s_and_saveexec_b64 s[10:11], s[0:1]
	s_cbranch_execz .LBB109_50
; %bb.52:                               ;   in Loop: Header=BB109_51 Depth=1
	global_load_dword v16, v[14:15], off
	ds_read2_b64 v[6:9], v11 offset1:1
	ds_read2_b64 v[24:27], v11 offset0:2 offset1:3
	v_cmp_eq_u32_e32 vcc, s15, v10
	s_waitcnt lgkmcnt(1)
	;;#ASMSTART
	v_cvt_f16_f32 v32, v6;

	;;#ASMEND
	;;#ASMSTART
	v_cvt_f16_f32 v33, v7;

	;;#ASMEND
	;; [unrolled: 4-line block ×4, first 2 shown]
	s_waitcnt lgkmcnt(0)
	;;#ASMSTART
	v_cvt_f16_f32 v37, v24;

	;;#ASMEND
	;;#ASMSTART
	v_cvt_f16_f32 v38, v25;

	;;#ASMEND
	;; [unrolled: 4-line block ×4, first 2 shown]
	v_add_u32_e32 v24, v22, v1
	v_add_u32_e32 v25, 1, v24
	v_or_b32_e32 v27, 3, v24
	v_or_b32_e32 v26, 2, v24
	v_or_b32_e32 v29, 5, v24
	v_or_b32_e32 v28, 4, v24
	v_or_b32_e32 v31, 7, v24
	v_or_b32_e32 v30, 6, v24
	s_waitcnt vmcnt(0)
	v_mad_i64_i32 v[6:7], s[0:1], v16, s7, 0
	v_lshl_add_u64 v[16:17], v[6:7], 1, v[12:13]
	global_load_dwordx4 v[6:9], v[16:17], off
	s_and_saveexec_b64 s[12:13], vcc
	s_cbranch_execz .LBB109_54
; %bb.53:                               ;   in Loop: Header=BB109_51 Depth=1
	s_waitcnt vmcnt(0)
	v_lshrrev_b32_e32 v35, 16, v9
	v_cmp_gt_i32_e64 s[0:1], s28, v31
	s_nop 1
	v_cndmask_b32_e64 v35, 0, v35, s[0:1]
	v_cmp_gt_i32_e64 s[0:1], s23, v30
	s_nop 1
	v_cndmask_b32_e64 v9, 0, v9, s[0:1]
	v_perm_b32 v9, v35, v9, s30
	v_lshrrev_b32_e32 v35, 16, v8
	v_cmp_gt_i32_e64 s[0:1], s22, v29
	s_nop 1
	v_cndmask_b32_e64 v35, 0, v35, s[0:1]
	v_cmp_gt_i32_e64 s[0:1], s21, v28
	s_nop 1
	v_cndmask_b32_e64 v8, 0, v8, s[0:1]
	v_perm_b32 v8, v35, v8, s30
	;; [unrolled: 8-line block ×4, first 2 shown]
.LBB109_54:                             ;   in Loop: Header=BB109_51 Depth=1
	s_or_b64 exec, exec, s[12:13]
	v_and_b32_e32 v32, 0xffff, v32
	v_lshl_or_b32 v35, v33, 16, v32
	v_and_b32_e32 v32, 0xffff, v34
	v_lshl_or_b32 v34, v36, 16, v32
	;; [unrolled: 2-line block ×3, first 2 shown]
	v_and_b32_e32 v32, 0xffff, v39
	s_waitcnt vmcnt(0)
	;;#ASMSTART
	v_pk_mul_f16 v6, v35, v6;

	;;#ASMEND
	v_lshl_or_b32 v32, v40, 16, v32
	;;#ASMSTART
	v_pk_mul_f16 v7, v34, v7;

	;;#ASMEND
	;;#ASMSTART
	v_pk_mul_f16 v8, v33, v8;

	;;#ASMEND
	;; [unrolled: 4-line block ×3, first 2 shown]
	s_nop 0
	;;#ASMSTART
	v_pk_add_f16 v6, v6, v7;

	;;#ASMEND
	s_nop 0
	;;#ASMSTART
	v_pk_add_f16 v6, v6, v8;

	;;#ASMEND
	;; [unrolled: 5-line block ×3, first 2 shown]
	s_nop 0
	v_lshrrev_b32_e32 v7, 16, v6
	v_and_b32_e32 v6, 0xffff, v6
	;;#ASMSTART
	v_cvt_f32_f16 v36, v6;
	;;#ASMEND
	;;#ASMSTART
	v_cvt_f32_f16 v37, v7;
	;;#ASMEND
	global_load_dwordx4 v[6:9], v[16:17], off offset:1024
	s_and_saveexec_b64 s[12:13], vcc
	s_cbranch_execz .LBB109_56
; %bb.55:                               ;   in Loop: Header=BB109_51 Depth=1
	s_waitcnt vmcnt(0)
	v_lshrrev_b32_e32 v38, 16, v9
	v_cmp_gt_i32_e64 s[0:1], s28, v31
	s_nop 1
	v_cndmask_b32_e64 v38, 0, v38, s[0:1]
	v_cmp_gt_i32_e64 s[0:1], s23, v30
	s_nop 1
	v_cndmask_b32_e64 v9, 0, v9, s[0:1]
	v_perm_b32 v9, v38, v9, s30
	v_lshrrev_b32_e32 v38, 16, v8
	v_cmp_gt_i32_e64 s[0:1], s22, v29
	s_nop 1
	v_cndmask_b32_e64 v38, 0, v38, s[0:1]
	v_cmp_gt_i32_e64 s[0:1], s21, v28
	s_nop 1
	v_cndmask_b32_e64 v8, 0, v8, s[0:1]
	v_perm_b32 v8, v38, v8, s30
	;; [unrolled: 8-line block ×4, first 2 shown]
.LBB109_56:                             ;   in Loop: Header=BB109_51 Depth=1
	s_or_b64 exec, exec, s[12:13]
	s_waitcnt vmcnt(0)
	;;#ASMSTART
	v_pk_mul_f16 v6, v35, v6;

	;;#ASMEND
	;;#ASMSTART
	v_pk_mul_f16 v7, v34, v7;

	;;#ASMEND
	;; [unrolled: 4-line block ×4, first 2 shown]
	s_nop 0
	;;#ASMSTART
	v_pk_add_f16 v6, v6, v7;

	;;#ASMEND
	s_nop 0
	;;#ASMSTART
	v_pk_add_f16 v6, v6, v8;

	;;#ASMEND
	;; [unrolled: 5-line block ×3, first 2 shown]
	s_nop 0
	v_lshrrev_b32_e32 v7, 16, v6
	v_and_b32_e32 v6, 0xffff, v6
	;;#ASMSTART
	v_cvt_f32_f16 v38, v6;
	;;#ASMEND
	;;#ASMSTART
	v_cvt_f32_f16 v39, v7;
	;;#ASMEND
	global_load_dwordx4 v[6:9], v[16:17], off offset:2048
	s_and_saveexec_b64 s[12:13], vcc
	s_cbranch_execz .LBB109_58
; %bb.57:                               ;   in Loop: Header=BB109_51 Depth=1
	s_waitcnt vmcnt(0)
	v_lshrrev_b32_e32 v40, 16, v9
	v_cmp_gt_i32_e64 s[0:1], s28, v31
	s_nop 1
	v_cndmask_b32_e64 v40, 0, v40, s[0:1]
	v_cmp_gt_i32_e64 s[0:1], s23, v30
	s_nop 1
	v_cndmask_b32_e64 v9, 0, v9, s[0:1]
	v_perm_b32 v9, v40, v9, s30
	v_lshrrev_b32_e32 v40, 16, v8
	v_cmp_gt_i32_e64 s[0:1], s22, v29
	s_nop 1
	v_cndmask_b32_e64 v40, 0, v40, s[0:1]
	v_cmp_gt_i32_e64 s[0:1], s21, v28
	s_nop 1
	v_cndmask_b32_e64 v8, 0, v8, s[0:1]
	v_perm_b32 v8, v40, v8, s30
	;; [unrolled: 8-line block ×4, first 2 shown]
.LBB109_58:                             ;   in Loop: Header=BB109_51 Depth=1
	s_or_b64 exec, exec, s[12:13]
	s_waitcnt vmcnt(0)
	;;#ASMSTART
	v_pk_mul_f16 v6, v35, v6;

	;;#ASMEND
	;;#ASMSTART
	v_pk_mul_f16 v7, v34, v7;

	;;#ASMEND
	;; [unrolled: 4-line block ×4, first 2 shown]
	s_nop 0
	;;#ASMSTART
	v_pk_add_f16 v6, v6, v7;

	;;#ASMEND
	s_nop 0
	;;#ASMSTART
	v_pk_add_f16 v6, v6, v8;

	;;#ASMEND
	;; [unrolled: 5-line block ×3, first 2 shown]
	s_nop 0
	v_lshrrev_b32_e32 v7, 16, v6
	v_and_b32_e32 v6, 0xffff, v6
	;;#ASMSTART
	v_cvt_f32_f16 v40, v6;
	;;#ASMEND
	;;#ASMSTART
	v_cvt_f32_f16 v41, v7;
	;;#ASMEND
	global_load_dwordx4 v[6:9], v[16:17], off offset:3072
	s_and_saveexec_b64 s[0:1], vcc
	s_cbranch_execz .LBB109_49
; %bb.59:                               ;   in Loop: Header=BB109_51 Depth=1
	s_waitcnt vmcnt(0)
	v_lshrrev_b32_e32 v16, 16, v9
	v_cmp_gt_i32_e32 vcc, s28, v31
	s_nop 1
	v_cndmask_b32_e32 v16, 0, v16, vcc
	v_cmp_gt_i32_e32 vcc, s23, v30
	s_nop 1
	v_cndmask_b32_e32 v9, 0, v9, vcc
	v_perm_b32 v9, v16, v9, s30
	v_lshrrev_b32_e32 v16, 16, v8
	v_cmp_gt_i32_e32 vcc, s22, v29
	s_nop 1
	v_cndmask_b32_e32 v16, 0, v16, vcc
	v_cmp_gt_i32_e32 vcc, s21, v28
	s_nop 1
	v_cndmask_b32_e32 v8, 0, v8, vcc
	v_perm_b32 v8, v16, v8, s30
	v_lshrrev_b32_e32 v16, 16, v7
	v_cmp_gt_i32_e32 vcc, s20, v27
	s_nop 1
	v_cndmask_b32_e32 v16, 0, v16, vcc
	v_cmp_gt_i32_e32 vcc, s18, v26
	s_nop 1
	v_cndmask_b32_e32 v7, 0, v7, vcc
	v_perm_b32 v7, v16, v7, s30
	v_lshrrev_b32_e32 v16, 16, v6
	v_cmp_gt_i32_e32 vcc, s17, v25
	s_nop 1
	v_cndmask_b32_e32 v16, 0, v16, vcc
	v_cmp_gt_i32_e32 vcc, s29, v24
	s_nop 1
	v_cndmask_b32_e32 v6, 0, v6, vcc
	v_perm_b32 v6, v16, v6, s30
	s_branch .LBB109_49
.LBB109_60:
	s_or_b64 exec, exec, s[8:9]
.LBB109_61:
	s_or_b64 exec, exec, s[2:3]
	ds_bpermute_b32 v6, v19, v2
	ds_bpermute_b32 v7, v19, v3
	;; [unrolled: 1-line block ×4, first 2 shown]
	v_and_b32_e32 v1, 0x3c3, v0
	v_cmp_eq_u32_e32 vcc, 64, v1
	s_waitcnt lgkmcnt(2)
	v_pk_add_f32 v[2:3], v[2:3], v[6:7]
	ds_bpermute_b32 v6, v20, v2
	s_waitcnt lgkmcnt(1)
	v_pk_add_f32 v[8:9], v[4:5], v[8:9]
	ds_bpermute_b32 v7, v20, v3
	ds_bpermute_b32 v10, v20, v8
	;; [unrolled: 1-line block ×3, first 2 shown]
	s_waitcnt lgkmcnt(0)
	s_barrier
	v_pk_add_f32 v[4:5], v[2:3], v[6:7]
	v_pk_add_f32 v[2:3], v[8:9], v[10:11]
	s_and_saveexec_b64 s[0:1], vcc
	s_cbranch_execz .LBB109_63
; %bb.62:
	v_add_u32_e32 v6, 0x90, v18
	ds_write2_b32 v6, v4, v5 offset1:16
	ds_write2_b32 v6, v2, v3 offset0:32 offset1:48
.LBB109_63:
	s_or_b64 exec, exec, s[0:1]
	v_cmp_gt_u32_e32 vcc, 64, v0
	s_waitcnt lgkmcnt(0)
	s_barrier
	s_and_saveexec_b64 s[0:1], vcc
	s_cbranch_execz .LBB109_70
; %bb.64:
	v_cmp_eq_u32_e32 vcc, 0, v21
	v_lshrrev_b32_e32 v6, 2, v0
	s_and_saveexec_b64 s[2:3], vcc
	s_cbranch_execnz .LBB109_73
; %bb.65:
	s_or_b64 exec, exec, s[2:3]
	s_and_saveexec_b64 s[2:3], vcc
	s_cbranch_execnz .LBB109_74
.LBB109_66:
	s_or_b64 exec, exec, s[2:3]
	s_and_saveexec_b64 s[2:3], vcc
	s_cbranch_execnz .LBB109_75
.LBB109_67:
	s_or_b64 exec, exec, s[2:3]
	s_and_saveexec_b64 s[2:3], vcc
	s_cbranch_execz .LBB109_69
.LBB109_68:
	v_mov_b32_e32 v7, 0x90
	v_lshl_add_u32 v6, v6, 2, v7
	ds_read_b32 v6, v6 offset:192
	s_waitcnt lgkmcnt(0)
	v_add_f32_e32 v3, v3, v6
.LBB109_69:
	s_or_b64 exec, exec, s[2:3]
.LBB109_70:
	s_or_b64 exec, exec, s[0:1]
	v_cmp_eq_u32_e32 vcc, 0, v1
	s_barrier
	s_and_saveexec_b64 s[0:1], vcc
	s_cbranch_execz .LBB109_72
; %bb.71:
	s_lshl_b32 s0, s6, 6
	s_ashr_i32 s1, s0, 31
	s_lshl_b64 s[0:1], s[0:1], 1
	s_add_u32 s2, s26, s0
	s_mul_i32 s0, s16, s24
	s_addc_u32 s3, s27, s1
	s_ashr_i32 s1, s0, 31
	s_lshl_b64 s[0:1], s[0:1], 1
	s_add_u32 s2, s2, s0
	s_addc_u32 s3, s3, s1
	s_lshl_b32 s0, s4, 6
	s_ashr_i32 s1, s0, 31
	s_lshl_b64 s[0:1], s[0:1], 1
	s_add_u32 s0, s2, s0
	s_addc_u32 s1, s3, s1
	v_lshrrev_b32_e32 v0, 1, v0
	;;#ASMSTART
	v_cvt_f16_f32 v1, v4;

	;;#ASMEND
	global_store_short v0, v1, s[0:1]
	;;#ASMSTART
	v_cvt_f16_f32 v1, v5;

	;;#ASMEND
	global_store_short v0, v1, s[0:1] offset:32
	;;#ASMSTART
	v_cvt_f16_f32 v1, v2;

	;;#ASMEND
	global_store_short v0, v1, s[0:1] offset:64
	;; [unrolled: 5-line block ×3, first 2 shown]
.LBB109_72:
	s_endpgm
.LBB109_73:
	v_mov_b32_e32 v7, 0x90
	v_lshl_add_u32 v7, v6, 2, v7
	ds_read_b32 v7, v7
	s_waitcnt lgkmcnt(0)
	v_add_f32_e32 v4, v4, v7
	s_or_b64 exec, exec, s[2:3]
	s_and_saveexec_b64 s[2:3], vcc
	s_cbranch_execz .LBB109_66
.LBB109_74:
	v_mov_b32_e32 v7, 0x90
	v_lshl_add_u32 v7, v6, 2, v7
	ds_read_b32 v7, v7 offset:64
	s_waitcnt lgkmcnt(0)
	v_add_f32_e32 v5, v5, v7
	s_or_b64 exec, exec, s[2:3]
	s_and_saveexec_b64 s[2:3], vcc
	s_cbranch_execz .LBB109_67
.LBB109_75:
	v_mov_b32_e32 v7, 0x90
	v_lshl_add_u32 v7, v6, 2, v7
	ds_read_b32 v7, v7 offset:128
	s_waitcnt lgkmcnt(0)
	v_add_f32_e32 v2, v2, v7
	s_or_b64 exec, exec, s[2:3]
	s_and_saveexec_b64 s[2:3], vcc
	s_cbranch_execnz .LBB109_68
	s_branch .LBB109_69
	.section	.rodata,"a",@progbits
	.p2align	6, 0x0
	.amdhsa_kernel _ZN4vllm25paged_attention_v2_kernelIttLi64ELi32ELi128ELNS_18Fp8KVCacheDataTypeE0ELb1ELi512EEEvPfS2_PT_PKS3_PKT0_S9_ifPKiSB_iPKfiiiSD_SD_iiiii
		.amdhsa_group_segment_fixed_size 144
		.amdhsa_private_segment_fixed_size 0
		.amdhsa_kernarg_size 400
		.amdhsa_user_sgpr_count 2
		.amdhsa_user_sgpr_dispatch_ptr 0
		.amdhsa_user_sgpr_queue_ptr 0
		.amdhsa_user_sgpr_kernarg_segment_ptr 1
		.amdhsa_user_sgpr_dispatch_id 0
		.amdhsa_user_sgpr_kernarg_preload_length 0
		.amdhsa_user_sgpr_kernarg_preload_offset 0
		.amdhsa_user_sgpr_private_segment_size 0
		.amdhsa_uses_dynamic_stack 0
		.amdhsa_enable_private_segment 0
		.amdhsa_system_sgpr_workgroup_id_x 1
		.amdhsa_system_sgpr_workgroup_id_y 1
		.amdhsa_system_sgpr_workgroup_id_z 1
		.amdhsa_system_sgpr_workgroup_info 0
		.amdhsa_system_vgpr_workitem_id 0
		.amdhsa_next_free_vgpr 66
		.amdhsa_next_free_sgpr 52
		.amdhsa_accum_offset 68
		.amdhsa_reserve_vcc 1
		.amdhsa_float_round_mode_32 0
		.amdhsa_float_round_mode_16_64 0
		.amdhsa_float_denorm_mode_32 3
		.amdhsa_float_denorm_mode_16_64 3
		.amdhsa_dx10_clamp 1
		.amdhsa_ieee_mode 1
		.amdhsa_fp16_overflow 0
		.amdhsa_tg_split 0
		.amdhsa_exception_fp_ieee_invalid_op 0
		.amdhsa_exception_fp_denorm_src 0
		.amdhsa_exception_fp_ieee_div_zero 0
		.amdhsa_exception_fp_ieee_overflow 0
		.amdhsa_exception_fp_ieee_underflow 0
		.amdhsa_exception_fp_ieee_inexact 0
		.amdhsa_exception_int_div_zero 0
	.end_amdhsa_kernel
	.section	.text._ZN4vllm25paged_attention_v2_kernelIttLi64ELi32ELi128ELNS_18Fp8KVCacheDataTypeE0ELb1ELi512EEEvPfS2_PT_PKS3_PKT0_S9_ifPKiSB_iPKfiiiSD_SD_iiiii,"axG",@progbits,_ZN4vllm25paged_attention_v2_kernelIttLi64ELi32ELi128ELNS_18Fp8KVCacheDataTypeE0ELb1ELi512EEEvPfS2_PT_PKS3_PKT0_S9_ifPKiSB_iPKfiiiSD_SD_iiiii,comdat
.Lfunc_end109:
	.size	_ZN4vllm25paged_attention_v2_kernelIttLi64ELi32ELi128ELNS_18Fp8KVCacheDataTypeE0ELb1ELi512EEEvPfS2_PT_PKS3_PKT0_S9_ifPKiSB_iPKfiiiSD_SD_iiiii, .Lfunc_end109-_ZN4vllm25paged_attention_v2_kernelIttLi64ELi32ELi128ELNS_18Fp8KVCacheDataTypeE0ELb1ELi512EEEvPfS2_PT_PKS3_PKT0_S9_ifPKiSB_iPKfiiiSD_SD_iiiii
                                        ; -- End function
	.section	.AMDGPU.csdata,"",@progbits
; Kernel info:
; codeLenInByte = 6772
; NumSgprs: 58
; NumVgprs: 66
; NumAgprs: 0
; TotalNumVgprs: 66
; ScratchSize: 0
; MemoryBound: 0
; FloatMode: 240
; IeeeMode: 1
; LDSByteSize: 144 bytes/workgroup (compile time only)
; SGPRBlocks: 7
; VGPRBlocks: 8
; NumSGPRsForWavesPerEU: 58
; NumVGPRsForWavesPerEU: 66
; AccumOffset: 68
; Occupancy: 7
; WaveLimiterHint : 1
; COMPUTE_PGM_RSRC2:SCRATCH_EN: 0
; COMPUTE_PGM_RSRC2:USER_SGPR: 2
; COMPUTE_PGM_RSRC2:TRAP_HANDLER: 0
; COMPUTE_PGM_RSRC2:TGID_X_EN: 1
; COMPUTE_PGM_RSRC2:TGID_Y_EN: 1
; COMPUTE_PGM_RSRC2:TGID_Z_EN: 1
; COMPUTE_PGM_RSRC2:TIDIG_COMP_CNT: 0
; COMPUTE_PGM_RSRC3_GFX90A:ACCUM_OFFSET: 16
; COMPUTE_PGM_RSRC3_GFX90A:TG_SPLIT: 0
	.section	.text._ZN4vllm25paged_attention_v2_kernelIttLi80ELi32ELi128ELNS_18Fp8KVCacheDataTypeE0ELb1ELi512EEEvPfS2_PT_PKS3_PKT0_S9_ifPKiSB_iPKfiiiSD_SD_iiiii,"axG",@progbits,_ZN4vllm25paged_attention_v2_kernelIttLi80ELi32ELi128ELNS_18Fp8KVCacheDataTypeE0ELb1ELi512EEEvPfS2_PT_PKS3_PKT0_S9_ifPKiSB_iPKfiiiSD_SD_iiiii,comdat
	.protected	_ZN4vllm25paged_attention_v2_kernelIttLi80ELi32ELi128ELNS_18Fp8KVCacheDataTypeE0ELb1ELi512EEEvPfS2_PT_PKS3_PKT0_S9_ifPKiSB_iPKfiiiSD_SD_iiiii ; -- Begin function _ZN4vllm25paged_attention_v2_kernelIttLi80ELi32ELi128ELNS_18Fp8KVCacheDataTypeE0ELb1ELi512EEEvPfS2_PT_PKS3_PKT0_S9_ifPKiSB_iPKfiiiSD_SD_iiiii
	.globl	_ZN4vllm25paged_attention_v2_kernelIttLi80ELi32ELi128ELNS_18Fp8KVCacheDataTypeE0ELb1ELi512EEEvPfS2_PT_PKS3_PKT0_S9_ifPKiSB_iPKfiiiSD_SD_iiiii
	.p2align	8
	.type	_ZN4vllm25paged_attention_v2_kernelIttLi80ELi32ELi128ELNS_18Fp8KVCacheDataTypeE0ELb1ELi512EEEvPfS2_PT_PKS3_PKT0_S9_ifPKiSB_iPKfiiiSD_SD_iiiii,@function
_ZN4vllm25paged_attention_v2_kernelIttLi80ELi32ELi128ELNS_18Fp8KVCacheDataTypeE0ELb1ELi512EEEvPfS2_PT_PKS3_PKT0_S9_ifPKiSB_iPKfiiiSD_SD_iiiii: ; @_ZN4vllm25paged_attention_v2_kernelIttLi80ELi32ELi128ELNS_18Fp8KVCacheDataTypeE0ELb1ELi512EEEvPfS2_PT_PKS3_PKT0_S9_ifPKiSB_iPKfiiiSD_SD_iiiii
; %bb.0:
	s_load_dwordx2 s[6:7], s[0:1], 0x40
	s_mov_b32 s28, s3
	s_ashr_i32 s29, s3, 31
	s_lshl_b64 s[8:9], s[28:29], 2
	s_waitcnt lgkmcnt(0)
	s_add_u32 s6, s6, s8
	s_addc_u32 s7, s7, s9
	s_load_dword s29, s[6:7], 0x0
	s_lshl_b32 s49, s4, 9
	s_waitcnt lgkmcnt(0)
	s_cmp_ge_i32 s49, s29
	s_cbranch_scc1 .LBB110_75
; %bb.1:
	s_load_dword s5, s[0:1], 0x90
	s_load_dwordx2 s[38:39], s[0:1], 0x30
	s_waitcnt lgkmcnt(0)
	s_abs_i32 s7, s5
	s_abs_i32 s3, s38
	v_cvt_f32_u32_e32 v1, s3
	s_sub_i32 s8, 0, s3
	s_xor_b32 s6, s5, s38
	s_ashr_i32 s6, s6, 31
	v_rcp_iflag_f32_e32 v1, v1
	s_nop 0
	v_mul_f32_e32 v1, 0x4f7ffffe, v1
	v_cvt_u32_f32_e32 v1, v1
	s_nop 0
	v_readfirstlane_b32 s9, v1
	s_mul_i32 s8, s8, s9
	s_mul_hi_u32 s8, s9, s8
	s_add_i32 s9, s9, s8
	s_mul_hi_u32 s8, s7, s9
	s_mul_i32 s9, s8, s3
	s_sub_i32 s7, s7, s9
	s_add_i32 s10, s8, 1
	s_sub_i32 s9, s7, s3
	s_cmp_ge_u32 s7, s3
	s_cselect_b32 s8, s10, s8
	s_cselect_b32 s7, s9, s7
	s_add_i32 s9, s8, 1
	s_cmp_ge_u32 s7, s3
	s_cselect_b32 s3, s9, s8
	s_xor_b32 s3, s3, s6
	s_sub_i32 s12, s3, s6
	s_abs_i32 s8, s12
	v_cvt_f32_u32_e32 v1, s8
	s_load_dwordx2 s[6:7], s[0:1], 0x50
	s_sub_i32 s10, 0, s8
	s_abs_i32 s9, s2
	v_rcp_iflag_f32_e32 v1, v1
	s_mov_b32 s3, 0
	v_mul_f32_e32 v1, 0x4f7ffffe, v1
	v_cvt_u32_f32_e32 v1, v1
	s_nop 0
	v_readfirstlane_b32 s11, v1
	s_mul_i32 s10, s10, s11
	s_mul_hi_u32 s10, s11, s10
	s_add_i32 s11, s11, s10
	s_waitcnt lgkmcnt(0)
	s_cmp_eq_u64 s[6:7], 0
	s_mul_hi_u32 s10, s9, s11
	s_cbranch_scc1 .LBB110_3
; %bb.2:
	s_ashr_i32 s3, s2, 31
	s_lshl_b64 s[14:15], s[2:3], 2
	s_add_u32 s6, s6, s14
	s_addc_u32 s7, s7, s15
	s_load_dword s3, s[6:7], 0x0
.LBB110_3:
	s_ashr_i32 s16, s12, 31
	s_load_dwordx4 s[12:15], s[0:1], 0x58
	s_ashr_i32 s11, s2, 31
	v_and_b32_e32 v4, 1, v0
	s_waitcnt lgkmcnt(0)
	s_movk_i32 s15, 0x50
	s_mul_i32 s24, s2, 0x50
	v_cmp_gt_u32_e32 vcc, 20, v0
	v_lshlrev_b32_e32 v20, 3, v0
	s_and_saveexec_b64 s[6:7], vcc
	s_cbranch_execz .LBB110_5
; %bb.4:
	s_load_dwordx2 s[18:19], s[0:1], 0x18
	s_mul_i32 s20, s28, s12
	s_ashr_i32 s21, s20, 31
	s_lshl_b64 s[20:21], s[20:21], 1
	v_lshlrev_b32_e32 v1, 2, v0
	s_waitcnt lgkmcnt(0)
	s_add_u32 s12, s18, s20
	s_addc_u32 s17, s19, s21
	s_ashr_i32 s25, s24, 31
	s_lshl_b64 s[18:19], s[24:25], 1
	s_add_u32 s18, s12, s18
	s_addc_u32 s19, s17, s19
	global_load_dwordx2 v[2:3], v20, s[18:19]
	v_and_b32_e32 v1, 0xff8, v1
	v_mad_u32_u24 v1, v4, s15, v1
	s_waitcnt vmcnt(0)
	ds_write_b64 v1, v[2:3]
.LBB110_5:
	s_or_b64 exec, exec, s[6:7]
	s_mul_i32 s7, s10, s8
	s_sub_i32 s7, s9, s7
	s_xor_b32 s6, s11, s16
	s_add_i32 s9, s10, 1
	s_sub_i32 s11, s7, s8
	s_load_dwordx4 s[16:19], s[0:1], 0x78
	s_cmp_ge_u32 s7, s8
	s_cselect_b32 s9, s9, s10
	s_cselect_b32 s7, s11, s7
	s_load_dword s11, s[0:1], 0x88
	s_add_i32 s10, s9, 1
	s_cmp_ge_u32 s7, s8
	s_cselect_b32 s7, s10, s9
	s_waitcnt lgkmcnt(0)
	s_abs_i32 s25, s19
	v_cvt_f32_u32_e32 v1, s25
	s_xor_b32 s7, s7, s6
	s_sub_i32 s8, s7, s6
	s_sub_i32 s6, 0, s25
	v_rcp_iflag_f32_e32 v1, v1
	s_add_i32 s12, s29, -1
	s_abs_i32 s9, s12
	v_mul_f32_e32 v1, 0x4f7ffffe, v1
	v_cvt_u32_f32_e32 v1, v1
	s_barrier
	v_readfirstlane_b32 s33, v1
	s_mul_i32 s6, s6, s33
	s_mul_hi_u32 s6, s33, s6
	s_add_i32 s33, s33, s6
	s_cmp_lt_i32 s11, 0
	s_mul_hi_u32 s10, s9, s33
	s_cbranch_scc0 .LBB110_7
; %bb.6:
	s_mul_i32 s6, s16, s38
	s_add_i32 s6, s8, s6
	s_mul_i32 s6, s6, s11
	s_sub_i32 s46, 1, s6
	s_mov_b64 s[6:7], 0
	s_branch .LBB110_8
.LBB110_7:
	s_mov_b64 s[6:7], -1
                                        ; implicit-def: $sgpr46
.LBB110_8:
	s_load_dwordx2 s[30:31], s[0:1], 0x38
	s_ashr_i32 s12, s12, 31
	s_andn2_b64 vcc, exec, s[6:7]
	s_ashr_i32 s47, s19, 31
	s_cbranch_vccnz .LBB110_10
; %bb.9:
	s_mul_i32 s6, s5, s16
	s_add_i32 s6, s6, s2
	s_mul_i32 s6, s6, s11
	s_add_i32 s46, s6, 1
.LBB110_10:
	s_load_dword s6, s[0:1], 0x48
	s_load_dwordx2 s[36:37], s[0:1], 0x28
	s_load_dword s19, s[0:1], 0x98
	s_load_dwordx4 s[20:23], s[0:1], 0x0
	s_load_dwordx2 s[26:27], s[0:1], 0x10
	s_mul_i32 s7, s10, s25
	s_waitcnt lgkmcnt(0)
	s_mul_i32 s34, s28, s6
	s_sub_i32 s7, s9, s7
	s_ashr_i32 s35, s34, 31
	s_xor_b32 s6, s12, s47
	s_add_i32 s9, s10, 1
	s_sub_i32 s11, s7, s25
	s_cmp_ge_u32 s7, s25
	s_cselect_b32 s9, s9, s10
	s_cselect_b32 s7, s11, s7
	s_add_i32 s10, s9, 1
	s_cmp_ge_u32 s7, s25
	s_cselect_b32 s7, s10, s9
	s_xor_b32 s7, s7, s6
	s_sub_i32 s16, s7, s6
	s_add_i32 s6, s29, 31
	s_ashr_i32 s7, s6, 31
	s_lshr_b32 s7, s7, 27
	s_add_i32 s6, s6, s7
	s_lshl_b32 s38, s4, 4
	s_ashr_i32 s12, s6, 5
	s_add_i32 s6, s38, 16
	v_lshrrev_b32_e32 v21, 6, v0
	s_min_i32 s48, s6, s12
	v_or_b32_e32 v12, s38, v21
	v_cmp_gt_i32_e64 s[10:11], s48, v12
	v_mov_b32_e32 v25, 0xff7fffff
	s_mul_i32 s14, s8, s14
	v_ashrrev_i32_e32 v13, 31, v12
	v_lshl_add_u32 v1, v21, 5, s49
	v_mbcnt_lo_u32_b32 v22, -1, 0
	s_and_saveexec_b64 s[40:41], s[10:11]
	s_cbranch_execz .LBB110_20
; %bb.11:
	s_load_dwordx2 s[0:1], s[0:1], 0x20
	s_ashr_i32 s15, s14, 31
	s_sub_i32 s50, s16, s17
	s_lshl_b64 s[8:9], s[14:15], 1
	v_bfe_u32 v23, v0, 1, 5
	s_waitcnt lgkmcnt(0)
	s_add_u32 s0, s0, s8
	s_addc_u32 s1, s1, s9
	s_abs_i32 s15, s18
	v_cvt_f32_u32_e32 v5, s15
	v_lshlrev_b32_e32 v2, 4, v23
	v_mov_b32_e32 v3, 0
	v_lshl_add_u64 v[6:7], s[0:1], 0, v[2:3]
	v_rcp_iflag_f32_e32 v5, v5
	v_and_b32_e32 v2, 8, v20
	v_lshl_add_u64 v[2:3], v[6:7], 0, v[2:3]
	s_sub_i32 s0, 0, s15
	v_mul_f32_e32 v5, 0x4f7ffffe, v5
	v_cvt_u32_f32_e32 v5, v5
	v_lshlrev_b32_e32 v6, 2, v23
	v_cmp_eq_u32_e64 s[6:7], 0, v4
	v_mul_u32_u24_e32 v24, 0x50, v4
	v_mul_lo_u32 v4, s0, v5
	s_lshl_b64 s[0:1], s[34:35], 2
	v_lshl_or_b32 v6, v21, 7, v6
	s_add_u32 s0, s30, s0
	v_add_u32_e32 v28, 0xb0, v6
	v_subrev_u32_e32 v6, s29, v23
	v_mbcnt_hi_u32_b32 v30, -1, v22
	v_mul_hi_u32 v4, v5, v4
	s_addc_u32 s1, s31, s1
	v_add_u32_e32 v29, 1, v6
	v_and_b32_e32 v6, 64, v30
	s_mov_b32 s51, s13
	v_cmp_neq_f32_e64 s[8:9], s3, 0
	v_add_u32_e32 v26, v5, v4
	v_lshl_add_u64 v[4:5], v[12:13], 2, s[0:1]
	v_lshl_add_u32 v27, v21, 5, s49
	s_mov_b64 s[42:43], 0
	s_movk_i32 s52, 0x1000
	v_xor_b32_e32 v31, 1, v30
	v_add_u32_e32 v32, 64, v6
	v_mov_b32_e32 v25, 0xff7fffff
	v_mov_b32_e32 v33, v12
	s_branch .LBB110_14
.LBB110_12:                             ;   in Loop: Header=BB110_14 Depth=1
	s_or_b64 exec, exec, s[44:45]
.LBB110_13:                             ;   in Loop: Header=BB110_14 Depth=1
	s_or_b64 exec, exec, s[0:1]
	v_add_u32_e32 v33, 2, v33
	v_cmp_le_i32_e32 vcc, s48, v33
	v_lshl_add_u64 v[4:5], v[4:5], 0, 8
	v_add_u32_e32 v27, 64, v27
	s_or_b64 s[42:43], vcc, s[42:43]
	v_add_u32_e32 v28, 0x100, v28
	s_andn2_b64 exec, exec, s[42:43]
	s_cbranch_execz .LBB110_19
.LBB110_14:                             ; =>This Inner Loop Header: Depth=1
	s_waitcnt lgkmcnt(0)
	v_sub_u32_e32 v7, 0, v27
	v_max_i32_e32 v7, v27, v7
	v_mul_hi_u32 v8, v7, s33
	v_mul_lo_u32 v9, v8, s25
	v_sub_u32_e32 v7, v7, v9
	v_add_u32_e32 v9, 1, v8
	v_cmp_le_u32_e32 vcc, s25, v7
	v_ashrrev_i32_e32 v6, 31, v27
	v_xor_b32_e32 v6, s47, v6
	v_cndmask_b32_e32 v8, v8, v9, vcc
	v_subrev_u32_e32 v9, s25, v7
	v_cndmask_b32_e32 v7, v7, v9, vcc
	v_add_u32_e32 v9, 1, v8
	v_cmp_le_u32_e32 vcc, s25, v7
	s_nop 1
	v_cndmask_b32_e32 v7, v8, v9, vcc
	v_xor_b32_e32 v7, v7, v6
	v_sub_u32_e32 v6, v7, v6
	v_add_u32_e32 v7, s46, v6
	v_sub_u32_e32 v9, 0, v7
	v_ashrrev_i32_e32 v8, 31, v7
	v_max_i32_e32 v7, v7, v9
	v_mul_hi_u32 v9, v7, v26
	v_mul_lo_u32 v9, v9, s15
	v_sub_u32_e32 v7, v7, v9
	v_subrev_u32_e32 v9, s15, v7
	v_cmp_le_u32_e32 vcc, s15, v7
	v_cmp_ge_i32_e64 s[0:1], s50, v6
	s_nop 0
	v_cndmask_b32_e32 v7, v7, v9, vcc
	v_subrev_u32_e32 v9, s15, v7
	v_cmp_le_u32_e32 vcc, s15, v7
	s_nop 1
	v_cndmask_b32_e32 v7, v7, v9, vcc
	v_xor_b32_e32 v7, v7, v8
	v_sub_u32_e32 v7, v7, v8
	v_cmp_ne_u32_e32 vcc, 0, v7
	s_and_b64 s[0:1], vcc, s[0:1]
	s_and_b64 s[54:55], s[6:7], s[0:1]
	s_and_saveexec_b64 s[44:45], s[54:55]
	s_cbranch_execz .LBB110_16
; %bb.15:                               ;   in Loop: Header=BB110_14 Depth=1
	v_mov_b32_e32 v6, 0xff7fffff
	ds_write_b32 v28, v6
.LBB110_16:                             ;   in Loop: Header=BB110_14 Depth=1
	s_or_b64 exec, exec, s[44:45]
	s_xor_b64 s[44:45], s[0:1], -1
	s_and_saveexec_b64 s[0:1], s[44:45]
	s_cbranch_execz .LBB110_13
; %bb.17:                               ;   in Loop: Header=BB110_14 Depth=1
	global_load_dword v6, v[4:5], off
	s_waitcnt vmcnt(0)
	v_mad_i64_i32 v[6:7], s[44:45], v6, s51, 0
	v_lshl_add_u64 v[6:7], v[6:7], 1, v[2:3]
	global_load_dwordx2 v[34:35], v[6:7], off
	global_load_dwordx2 v[36:37], v[6:7], off offset:512
	global_load_dwordx2 v[38:39], v[6:7], off offset:1024
	;; [unrolled: 1-line block ×7, first 2 shown]
	v_add_co_u32_e32 v6, vcc, s52, v6
	s_waitcnt vmcnt(7)
	v_lshrrev_b32_e32 v46, 16, v34
	v_addc_co_u32_e32 v7, vcc, 0, v7, vcc
	global_load_dwordx2 v[8:9], v[6:7], off
	s_nop 0
	global_load_dwordx2 v[6:7], v[6:7], off offset:512
	ds_read_b64 v[42:43], v24
	v_and_b32_e32 v34, 0xffff, v34
	v_lshrrev_b32_e32 v47, 16, v35
	v_and_b32_e32 v35, 0xffff, v35
	s_waitcnt vmcnt(2)
	v_lshrrev_b32_e32 v60, 16, v10
	s_waitcnt lgkmcnt(0)
	v_lshrrev_b32_e32 v44, 16, v42
	v_and_b32_e32 v42, 0xffff, v42
	v_lshrrev_b32_e32 v45, 16, v43
	v_and_b32_e32 v43, 0xffff, v43
	;;#ASMSTART
	v_cvt_f32_f16 v42, v42;
	;;#ASMEND
	;;#ASMSTART
	v_cvt_f32_f16 v44, v44;
	;;#ASMEND
	v_and_b32_e32 v61, 0xffff, v10
	v_lshrrev_b32_e32 v62, 16, v11
	v_and_b32_e32 v63, 0xffff, v11
	;;#ASMSTART
	v_cvt_f32_f16 v34, v34;
	;;#ASMEND
	;;#ASMSTART
	v_cvt_f32_f16 v46, v46;
	;;#ASMEND
	;; [unrolled: 3-line block ×6, first 2 shown]
	ds_read_b64 v[10:11], v24 offset:8
	v_lshrrev_b32_e32 v48, 16, v36
	v_and_b32_e32 v36, 0xffff, v36
	v_lshrrev_b32_e32 v49, 16, v37
	v_and_b32_e32 v37, 0xffff, v37
	;; [unrolled: 2-line block ×12, first 2 shown]
	v_cmp_lt_i32_e32 vcc, v31, v32
	s_waitcnt vmcnt(1)
	v_lshrrev_b32_e32 v64, 16, v8
	v_and_b32_e32 v65, 0xffff, v8
	v_lshrrev_b32_e32 v66, 16, v9
	v_and_b32_e32 v67, 0xffff, v9
	s_waitcnt lgkmcnt(0)
	v_lshrrev_b32_e32 v8, 16, v10
	v_and_b32_e32 v9, 0xffff, v10
	v_lshrrev_b32_e32 v10, 16, v11
	v_and_b32_e32 v11, 0xffff, v11
	;;#ASMSTART
	v_cvt_f32_f16 v69, v9;
	;;#ASMEND
	;;#ASMSTART
	v_cvt_f32_f16 v70, v8;
	;;#ASMEND
	;;#ASMSTART
	v_cvt_f32_f16 v36, v36;
	;;#ASMEND
	;;#ASMSTART
	v_cvt_f32_f16 v48, v48;
	;;#ASMEND
	;;#ASMSTART
	v_cvt_f32_f16 v11, v11;
	;;#ASMEND
	;;#ASMSTART
	v_cvt_f32_f16 v10, v10;
	;;#ASMEND
	;;#ASMSTART
	v_cvt_f32_f16 v37, v37;
	;;#ASMEND
	;;#ASMSTART
	v_cvt_f32_f16 v49, v49;
	;;#ASMEND
	ds_read_b64 v[8:9], v24 offset:16
	v_mul_f32_e32 v36, v69, v36
	v_mul_f32_e32 v11, v11, v37
	;; [unrolled: 1-line block ×3, first 2 shown]
	v_fmac_f32_e32 v36, v42, v34
	v_fmac_f32_e32 v11, v43, v35
	s_waitcnt lgkmcnt(0)
	v_lshrrev_b32_e32 v34, 16, v8
	v_and_b32_e32 v8, 0xffff, v8
	v_lshrrev_b32_e32 v35, 16, v9
	v_and_b32_e32 v9, 0xffff, v9
	v_fmac_f32_e32 v48, v44, v46
	;;#ASMSTART
	v_cvt_f32_f16 v37, v8;
	;;#ASMEND
	;;#ASMSTART
	v_cvt_f32_f16 v34, v34;
	;;#ASMEND
	;; [unrolled: 3-line block ×8, first 2 shown]
	ds_read_b64 v[8:9], v24 offset:24
	v_mul_f32_e32 v10, v10, v49
	v_fmac_f32_e32 v10, v45, v47
	v_fmac_f32_e32 v48, v34, v42
	;; [unrolled: 1-line block ×3, first 2 shown]
	s_waitcnt lgkmcnt(0)
	v_lshrrev_b32_e32 v34, 16, v8
	v_and_b32_e32 v8, 0xffff, v8
	v_lshrrev_b32_e32 v35, 16, v9
	v_and_b32_e32 v9, 0xffff, v9
	v_fmac_f32_e32 v36, v37, v38
	v_fmac_f32_e32 v11, v43, v39
	;;#ASMSTART
	v_cvt_f32_f16 v37, v8;
	;;#ASMEND
	;;#ASMSTART
	v_cvt_f32_f16 v34, v34;
	;;#ASMEND
	;;#ASMSTART
	v_cvt_f32_f16 v38, v40;
	;;#ASMEND
	;;#ASMSTART
	v_cvt_f32_f16 v39, v52;
	;;#ASMEND
	;;#ASMSTART
	v_cvt_f32_f16 v40, v9;
	;;#ASMEND
	;;#ASMSTART
	v_cvt_f32_f16 v35, v35;
	;;#ASMEND
	;;#ASMSTART
	v_cvt_f32_f16 v41, v41;
	;;#ASMEND
	;;#ASMSTART
	v_cvt_f32_f16 v42, v53;
	;;#ASMEND
	ds_read_b64 v[8:9], v24 offset:32
	v_fmac_f32_e32 v48, v34, v39
	v_fmac_f32_e32 v10, v35, v42
	v_fmac_f32_e32 v36, v37, v38
	v_fmac_f32_e32 v11, v40, v41
	s_waitcnt lgkmcnt(0)
	v_lshrrev_b32_e32 v34, 16, v8
	v_and_b32_e32 v8, 0xffff, v8
	v_lshrrev_b32_e32 v35, 16, v9
	v_and_b32_e32 v9, 0xffff, v9
	;;#ASMSTART
	v_cvt_f32_f16 v37, v8;
	;;#ASMEND
	;;#ASMSTART
	v_cvt_f32_f16 v34, v34;
	;;#ASMEND
	;;#ASMSTART
	v_cvt_f32_f16 v18, v18;
	;;#ASMEND
	;;#ASMSTART
	v_cvt_f32_f16 v38, v54;
	;;#ASMEND
	;;#ASMSTART
	v_cvt_f32_f16 v39, v9;
	;;#ASMEND
	;;#ASMSTART
	v_cvt_f32_f16 v35, v35;
	;;#ASMEND
	;;#ASMSTART
	v_cvt_f32_f16 v19, v19;
	;;#ASMEND
	;;#ASMSTART
	v_cvt_f32_f16 v40, v55;
	;;#ASMEND
	ds_read_b64 v[8:9], v24 offset:40
	v_fmac_f32_e32 v36, v37, v18
	v_fmac_f32_e32 v11, v39, v19
	v_fmac_f32_e32 v48, v34, v38
	v_fmac_f32_e32 v10, v35, v40
	s_waitcnt lgkmcnt(0)
	v_lshrrev_b32_e32 v18, 16, v8
	v_and_b32_e32 v8, 0xffff, v8
	v_lshrrev_b32_e32 v19, 16, v9
	v_and_b32_e32 v9, 0xffff, v9
	;; [unrolled: 34-line block ×5, first 2 shown]
	;;#ASMSTART
	v_cvt_f32_f16 v16, v8;
	;;#ASMEND
	;;#ASMSTART
	v_cvt_f32_f16 v14, v14;
	;;#ASMEND
	;; [unrolled: 3-line block ×8, first 2 shown]
	ds_read_b64 v[8:9], v24 offset:72
	s_waitcnt vmcnt(0)
	v_lshrrev_b32_e32 v68, 16, v6
	v_and_b32_e32 v6, 0xffff, v6
	v_fmac_f32_e32 v48, v14, v18
	v_fmac_f32_e32 v36, v16, v17
	s_waitcnt lgkmcnt(0)
	v_lshrrev_b32_e32 v14, 16, v8
	v_and_b32_e32 v8, 0xffff, v8
	;;#ASMSTART
	v_cvt_f32_f16 v8, v8;
	;;#ASMEND
	;;#ASMSTART
	v_cvt_f32_f16 v14, v14;
	;;#ASMEND
	;;#ASMSTART
	v_cvt_f32_f16 v6, v6;
	;;#ASMEND
	v_fmac_f32_e32 v11, v19, v34
	v_fmac_f32_e32 v36, v8, v6
	v_lshrrev_b32_e32 v6, 16, v9
	v_and_b32_e32 v8, 0xffff, v9
	v_fmac_f32_e32 v10, v15, v35
	;;#ASMSTART
	v_cvt_f32_f16 v15, v68;
	;;#ASMEND
	;;#ASMSTART
	v_cvt_f32_f16 v8, v8;
	;;#ASMEND
	;; [unrolled: 3-line block ×3, first 2 shown]
	v_lshrrev_b32_e32 v9, 16, v7
	v_fmac_f32_e32 v48, v14, v15
	v_and_b32_e32 v7, 0xffff, v7
	;;#ASMSTART
	v_cvt_f32_f16 v7, v7;
	;;#ASMEND
	;;#ASMSTART
	v_cvt_f32_f16 v9, v9;
	;;#ASMEND
	s_nop 0
	v_fmac_f32_e32 v11, v8, v7
	v_fmac_f32_e32 v10, v6, v9
	v_add_f32_e32 v6, v36, v48
	v_add_f32_e32 v6, v6, v11
	v_cndmask_b32_e32 v7, v30, v31, vcc
	v_add_f32_e32 v6, v10, v6
	v_lshlrev_b32_e32 v7, 2, v7
	ds_bpermute_b32 v7, v7, v6
	s_and_saveexec_b64 s[44:45], s[6:7]
	s_cbranch_execz .LBB110_12
; %bb.18:                               ;   in Loop: Header=BB110_14 Depth=1
	v_add_u32_e32 v8, v29, v27
	v_cvt_f32_i32_e32 v8, v8
	s_waitcnt lgkmcnt(0)
	v_add_f32_e32 v6, v6, v7
	v_add_u32_e32 v9, v23, v27
	v_cmp_gt_i32_e32 vcc, s29, v9
	v_mul_f32_e32 v7, s3, v8
	v_cndmask_b32_e64 v7, 0, v7, s[8:9]
	v_fmac_f32_e32 v7, s39, v6
	v_cndmask_b32_e32 v6, 0, v7, vcc
	ds_write_b32 v28, v6
	v_max_f32_e32 v6, v25, v25
	v_max_f32_e32 v6, v6, v7
	v_cndmask_b32_e32 v25, v25, v6, vcc
	s_branch .LBB110_12
.LBB110_19:
	s_or_b64 exec, exec, s[42:43]
.LBB110_20:
	s_or_b64 exec, exec, s[40:41]
	v_mbcnt_hi_u32_b32 v4, -1, v22
	v_and_b32_e32 v2, 64, v4
	v_add_u32_e32 v10, 64, v2
	v_xor_b32_e32 v2, 32, v4
	v_cmp_lt_i32_e32 vcc, v2, v10
	v_xor_b32_e32 v6, 16, v4
	v_max_f32_e32 v5, v25, v25
	v_cndmask_b32_e32 v2, v4, v2, vcc
	v_lshlrev_b32_e32 v2, 2, v2
	ds_bpermute_b32 v3, v2, v25
	v_cmp_lt_i32_e32 vcc, v6, v10
	s_waitcnt lgkmcnt(1)
	v_xor_b32_e32 v7, 8, v4
	v_xor_b32_e32 v8, 4, v4
	;; [unrolled: 1-line block ×3, first 2 shown]
	s_waitcnt lgkmcnt(0)
	v_max_f32_e32 v3, v3, v3
	v_max_f32_e32 v5, v5, v3
	v_cndmask_b32_e32 v3, v4, v6, vcc
	v_lshlrev_b32_e32 v3, 2, v3
	ds_bpermute_b32 v6, v3, v5
	v_cmp_lt_i32_e32 vcc, v7, v10
	v_and_b32_e32 v24, 63, v0
	s_waitcnt lgkmcnt(0)
	v_max_f32_e32 v6, v6, v6
	v_max_f32_e32 v6, v5, v6
	v_cndmask_b32_e32 v5, v4, v7, vcc
	v_lshlrev_b32_e32 v5, 2, v5
	ds_bpermute_b32 v7, v5, v6
	v_cmp_lt_i32_e32 vcc, v8, v10
	s_waitcnt lgkmcnt(0)
	v_max_f32_e32 v7, v7, v7
	v_max_f32_e32 v7, v6, v7
	v_cndmask_b32_e32 v6, v4, v8, vcc
	v_lshlrev_b32_e32 v6, 2, v6
	ds_bpermute_b32 v8, v6, v7
	v_cmp_lt_i32_e32 vcc, v11, v10
	s_waitcnt lgkmcnt(0)
	v_max_f32_e32 v8, v8, v8
	v_max_f32_e32 v9, v7, v8
	v_cndmask_b32_e32 v7, v4, v11, vcc
	v_lshlrev_b32_e32 v7, 2, v7
	ds_bpermute_b32 v11, v7, v9
	v_cmp_eq_u32_e32 vcc, 0, v24
	v_lshlrev_b32_e32 v8, 2, v21
	s_and_saveexec_b64 s[0:1], vcc
	s_cbranch_execz .LBB110_22
; %bb.21:
	s_waitcnt lgkmcnt(0)
	v_max_f32_e32 v11, v11, v11
	v_max_f32_e32 v9, v9, v9
	v_max_f32_e32 v9, v9, v11
	ds_write_b32 v8, v9 offset:160
.LBB110_22:
	s_or_b64 exec, exec, s[0:1]
	v_cmp_gt_u32_e64 s[0:1], 2, v24
	s_waitcnt lgkmcnt(0)
	v_mov_b32_e32 v11, 0xff7fffff
	v_lshlrev_b32_e32 v9, 2, v24
	s_barrier
	s_and_saveexec_b64 s[6:7], s[0:1]
	s_cbranch_execz .LBB110_24
; %bb.23:
	ds_read_b32 v11, v9 offset:160
.LBB110_24:
	s_or_b64 exec, exec, s[6:7]
	v_xor_b32_e32 v14, 1, v4
	v_cmp_lt_i32_e64 s[6:7], v14, v10
	s_sub_i32 s3, s48, s38
	s_lshl_b32 s3, s3, 5
	v_cndmask_b32_e64 v10, v4, v14, s[6:7]
	v_lshlrev_b32_e32 v25, 2, v10
	s_waitcnt lgkmcnt(0)
	ds_bpermute_b32 v10, v25, v11
	v_max_f32_e32 v11, v11, v11
	v_lshlrev_b32_e32 v4, 2, v4
	s_add_i32 s3, s3, s49
	s_min_i32 s15, s3, s29
	s_waitcnt lgkmcnt(0)
	v_max_f32_e32 v10, v10, v10
	v_max_f32_e32 v11, v11, v10
	v_and_b32_e32 v10, 0x100, v4
	ds_bpermute_b32 v4, v10, v11
	s_sub_i32 s3, s15, s49
	v_cmp_gt_i32_e64 s[6:7], s3, v0
	v_mov_b32_e32 v11, 0
	s_and_saveexec_b64 s[38:39], s[6:7]
	s_cbranch_execz .LBB110_28
; %bb.25:
	v_mov_b32_e32 v11, 0xb0
	v_lshl_add_u32 v14, v0, 2, v11
	s_mov_b64 s[40:41], 0
	v_mov_b32_e32 v11, 0
	v_mov_b32_e32 v15, v0
.LBB110_26:                             ; =>This Inner Loop Header: Depth=1
	ds_read_b32 v16, v14
	v_add_u32_e32 v15, 0x80, v15
	v_cmp_le_i32_e64 s[8:9], s3, v15
	s_or_b64 s[40:41], s[8:9], s[40:41]
	s_waitcnt lgkmcnt(0)
	v_sub_f32_e32 v16, v16, v4
	v_mul_f32_e32 v16, 0x3fb8aa3b, v16
	v_exp_f32_e32 v16, v16
	ds_write_b32 v14, v16
	v_add_f32_e32 v11, v11, v16
	v_add_u32_e32 v14, 0x200, v14
	s_andn2_b64 exec, exec, s[40:41]
	s_cbranch_execnz .LBB110_26
; %bb.27:
	s_or_b64 exec, exec, s[40:41]
.LBB110_28:
	s_or_b64 exec, exec, s[38:39]
	ds_bpermute_b32 v2, v2, v11
	s_waitcnt lgkmcnt(0)
	v_add_f32_e32 v2, v11, v2
	ds_bpermute_b32 v3, v3, v2
	s_waitcnt lgkmcnt(0)
	v_add_f32_e32 v2, v2, v3
	;; [unrolled: 3-line block ×6, first 2 shown]
	s_and_saveexec_b64 s[8:9], vcc
	s_cbranch_execz .LBB110_30
; %bb.29:
	ds_write_b32 v8, v2 offset:168
.LBB110_30:
	s_or_b64 exec, exec, s[8:9]
	s_waitcnt lgkmcnt(0)
	s_barrier
	s_and_saveexec_b64 s[8:9], s[0:1]
	s_cbranch_execz .LBB110_32
; %bb.31:
	ds_read_b32 v2, v9 offset:168
.LBB110_32:
	s_or_b64 exec, exec, s[8:9]
	s_waitcnt lgkmcnt(0)
	ds_bpermute_b32 v3, v25, v2
	s_waitcnt lgkmcnt(0)
	v_add_f32_e32 v2, v2, v3
	ds_bpermute_b32 v5, v10, v2
	s_and_saveexec_b64 s[0:1], s[6:7]
	s_cbranch_execz .LBB110_45
; %bb.33:
	s_waitcnt lgkmcnt(0)
	v_add_f32_e32 v2, 0x358637bd, v5
	v_div_scale_f32 v3, s[6:7], v2, v2, 1.0
	v_rcp_f32_e32 v6, v3
	v_div_scale_f32 v8, vcc, 1.0, v2, 1.0
	s_movk_i32 s6, 0x7f
	v_fma_f32 v9, -v3, v6, 1.0
	v_fmac_f32_e32 v6, v9, v6
	v_mul_f32_e32 v9, v8, v6
	v_fma_f32 v10, -v3, v9, v8
	v_fmac_f32_e32 v9, v10, v6
	v_fma_f32 v3, -v3, v9, v8
	v_div_fmas_f32 v3, v3, v6, v9
	v_div_fixup_f32 v2, v3, v2, 1.0
	v_xad_u32 v3, v0, -1, s15
	v_subrev_u32_e32 v6, s49, v3
	v_cmp_lt_u32_e32 vcc, s6, v6
	s_mov_b64 s[8:9], -1
	v_mov_b32_e32 v3, v0
	s_and_saveexec_b64 s[6:7], vcc
	s_cbranch_execz .LBB110_42
; %bb.34:
	v_lshrrev_b32_e32 v6, 7, v6
	v_add_u32_e32 v9, -1, v6
	v_lshrrev_b32_e32 v8, 1, v9
	v_mov_b32_e32 v3, v2
	v_add_u32_e32 v8, 1, v8
	v_cmp_lt_u32_e32 vcc, 13, v9
	v_mov_b32_e32 v11, 0
	s_and_saveexec_b64 s[8:9], vcc
	s_cbranch_execz .LBB110_38
; %bb.35:
	v_mov_b32_e32 v10, 0xb0
	v_and_b32_e32 v9, -8, v8
	v_lshl_add_u32 v10, v0, 2, v10
	s_mov_b32 s15, 0
	s_mov_b64 s[38:39], 0
.LBB110_36:                             ; =>This Inner Loop Header: Depth=1
	ds_read2st64_b32 v[14:15], v10 offset1:2
	ds_read2st64_b32 v[16:17], v10 offset0:4 offset1:6
	ds_read2st64_b32 v[18:19], v10 offset0:8 offset1:10
	;; [unrolled: 1-line block ×3, first 2 shown]
	v_add_u32_e32 v9, -8, v9
	s_waitcnt lgkmcnt(3)
	v_pk_mul_f32 v[14:15], v[2:3], v[14:15]
	s_waitcnt lgkmcnt(2)
	v_pk_mul_f32 v[16:17], v[2:3], v[16:17]
	ds_write2st64_b32 v10, v14, v15 offset1:2
	ds_write2st64_b32 v10, v16, v17 offset0:4 offset1:6
	ds_read2st64_b32 v[16:17], v10 offset0:16 offset1:18
	s_waitcnt lgkmcnt(4)
	v_pk_mul_f32 v[14:15], v[2:3], v[18:19]
	ds_write2st64_b32 v10, v14, v15 offset0:8 offset1:10
	s_waitcnt lgkmcnt(4)
	v_pk_mul_f32 v[14:15], v[2:3], v[22:23]
	ds_write2st64_b32 v10, v14, v15 offset0:12 offset1:14
	ds_read2st64_b32 v[14:15], v10 offset0:20 offset1:22
	s_waitcnt lgkmcnt(3)
	v_pk_mul_f32 v[16:17], v[2:3], v[16:17]
	ds_read2st64_b32 v[18:19], v10 offset0:24 offset1:26
	ds_write2st64_b32 v10, v16, v17 offset0:16 offset1:18
	ds_read2st64_b32 v[16:17], v10 offset0:28 offset1:30
	s_waitcnt lgkmcnt(3)
	v_pk_mul_f32 v[14:15], v[2:3], v[14:15]
	ds_write2st64_b32 v10, v14, v15 offset0:20 offset1:22
	s_waitcnt lgkmcnt(3)
	v_pk_mul_f32 v[14:15], v[2:3], v[18:19]
	ds_write2st64_b32 v10, v14, v15 offset0:24 offset1:26
	s_waitcnt lgkmcnt(2)
	v_pk_mul_f32 v[14:15], v[2:3], v[16:17]
	s_add_i32 s15, s15, 16
	v_cmp_eq_u32_e32 vcc, 0, v9
	ds_write2st64_b32 v10, v14, v15 offset0:28 offset1:30
	v_add_u32_e32 v10, 0x2000, v10
	s_or_b64 s[38:39], vcc, s[38:39]
	v_mov_b32_e32 v11, s15
	s_andn2_b64 exec, exec, s[38:39]
	s_cbranch_execnz .LBB110_36
; %bb.37:
	s_or_b64 exec, exec, s[38:39]
.LBB110_38:
	s_or_b64 exec, exec, s[8:9]
	v_and_b32_e32 v8, 7, v8
	v_cmp_ne_u32_e32 vcc, 0, v8
	s_and_saveexec_b64 s[8:9], vcc
	s_cbranch_execz .LBB110_41
; %bb.39:
	v_lshlrev_b32_e32 v9, 9, v11
	v_lshlrev_b32_e32 v10, 2, v0
	s_movk_i32 s15, 0xb0
	v_add3_u32 v9, v9, v10, s15
	s_mov_b64 s[38:39], 0
.LBB110_40:                             ; =>This Inner Loop Header: Depth=1
	ds_read2st64_b32 v[10:11], v9 offset1:2
	v_add_u32_e32 v8, -1, v8
	v_cmp_eq_u32_e32 vcc, 0, v8
	s_or_b64 s[38:39], vcc, s[38:39]
	s_waitcnt lgkmcnt(0)
	v_pk_mul_f32 v[10:11], v[2:3], v[10:11]
	ds_write2st64_b32 v9, v10, v11 offset1:2
	v_add_u32_e32 v9, 0x400, v9
	s_andn2_b64 exec, exec, s[38:39]
	s_cbranch_execnz .LBB110_40
.LBB110_41:
	s_or_b64 exec, exec, s[8:9]
	v_add_u32_e32 v6, 1, v6
	v_and_b32_e32 v8, 0x3fffffe, v6
	v_cmp_ne_u32_e32 vcc, v6, v8
	v_lshl_add_u32 v3, v8, 7, v0
	s_orn2_b64 s[8:9], vcc, exec
.LBB110_42:
	s_or_b64 exec, exec, s[6:7]
	s_and_b64 exec, exec, s[8:9]
	s_cbranch_execz .LBB110_45
; %bb.43:
	v_mov_b32_e32 v6, 0xb0
	v_lshl_add_u32 v6, v3, 2, v6
	s_mov_b64 s[6:7], 0
.LBB110_44:                             ; =>This Inner Loop Header: Depth=1
	ds_read_b32 v8, v6
	v_add_u32_e32 v3, 0x80, v3
	v_cmp_le_i32_e32 vcc, s3, v3
	s_or_b64 s[6:7], vcc, s[6:7]
	s_waitcnt lgkmcnt(0)
	v_mul_f32_e32 v8, v2, v8
	ds_write_b32 v6, v8
	v_add_u32_e32 v6, 0x200, v6
	s_andn2_b64 exec, exec, s[6:7]
	s_cbranch_execnz .LBB110_44
.LBB110_45:
	s_or_b64 exec, exec, s[0:1]
	s_mul_i32 s0, s19, s28
	v_cmp_eq_u32_e32 vcc, 0, v0
	s_mul_i32 s6, s0, s5
	s_waitcnt lgkmcnt(0)
	s_barrier
	s_and_saveexec_b64 s[0:1], vcc
	s_cbranch_execz .LBB110_47
; %bb.46:
	s_ashr_i32 s7, s6, 31
	s_lshl_b64 s[8:9], s[6:7], 2
	s_add_u32 s5, s22, s8
	s_mul_i32 s2, s19, s2
	s_addc_u32 s7, s23, s9
	s_ashr_i32 s3, s2, 31
	s_lshl_b64 s[2:3], s[2:3], 2
	s_add_u32 s15, s5, s2
	s_addc_u32 s7, s7, s3
	s_ashr_i32 s5, s4, 31
	s_lshl_b64 s[22:23], s[4:5], 2
	s_add_u32 s38, s15, s22
	s_addc_u32 s39, s7, s23
	s_add_u32 s5, s20, s8
	s_addc_u32 s7, s21, s9
	;; [unrolled: 2-line block ×3, first 2 shown]
	s_add_u32 s2, s2, s22
	v_mov_b32_e32 v2, 0
	s_addc_u32 s3, s3, s23
	global_store_dword v2, v4, s[38:39]
	global_store_dword v2, v5, s[2:3]
.LBB110_47:
	s_or_b64 exec, exec, s[0:1]
	s_mov_b32 s8, 0
	v_mov_b32_e32 v6, 0
	v_and_b32_e32 v26, 3, v0
	v_mov_b32_e32 v5, 0
	v_mov_b32_e32 v4, 0
	;; [unrolled: 1-line block ×4, first 2 shown]
	s_and_saveexec_b64 s[2:3], s[10:11]
	s_cbranch_execz .LBB110_63
; %bb.48:
	s_ashr_i32 s15, s14, 31
	s_sub_i32 s5, s16, s17
	s_lshl_b64 s[0:1], s[14:15], 1
	s_add_u32 s14, s36, s0
	s_addc_u32 s15, s37, s1
	s_abs_i32 s18, s18
	v_cvt_f32_u32_e32 v2, s18
	s_sub_i32 s0, 0, s18
	s_mov_b32 s7, s13
	s_add_i32 s13, s12, -1
	v_rcp_iflag_f32_e32 v2, v2
	v_and_b32_e32 v8, 0x1f8, v20
	v_or_b32_e32 v10, 0x800, v8
	s_mov_b32 s9, s8
	v_mul_f32_e32 v2, 0x4f7ffffe, v2
	v_cvt_u32_f32_e32 v2, v2
	s_mov_b32 s10, s8
	s_mov_b32 s11, s8
	;; [unrolled: 1-line block ×3, first 2 shown]
	v_mul_lo_u32 v3, s0, v2
	v_mul_hi_u32 v3, v2, v3
	s_lshl_b64 s[0:1], s[34:35], 2
	v_add_u32_e32 v28, v2, v3
	s_add_u32 s0, s30, s0
	v_lshlrev_b32_e32 v2, 5, v26
	s_addc_u32 s1, s31, s1
	v_lshl_or_b32 v2, v21, 7, v2
	v_lshl_add_u64 v[16:17], v[12:13], 2, s[0:1]
	v_add_u32_e32 v13, 0xb0, v2
	v_mov_b32_e32 v2, s8
	v_and_b32_e32 v27, 24, v20
	v_mov_b32_e32 v15, 0
	s_mov_b32 s20, s29
	s_mov_b32 s21, s29
	s_mov_b32 s22, s29
	s_mov_b32 s23, s29
	s_mov_b32 s28, s29
	s_mov_b32 s36, s29
	s_mov_b32 s37, s29
	s_mov_b64 s[16:17], 0
	v_mov_b32_e32 v3, s9
	v_mov_b32_e32 v4, s10
	;; [unrolled: 1-line block ×4, first 2 shown]
	v_lshlrev_b32_e32 v18, 1, v8
	s_mov_b32 s12, 0x5040100
	v_lshlrev_b32_e32 v14, 1, v10
	s_branch .LBB110_51
.LBB110_49:                             ;   in Loop: Header=BB110_51 Depth=1
	s_or_b64 exec, exec, s[0:1]
	s_waitcnt vmcnt(0)
	;;#ASMSTART
	v_pk_mul_f16 v8, v39, v8;

	;;#ASMEND
	;;#ASMSTART
	v_pk_mul_f16 v9, v38, v9;

	;;#ASMEND
	;; [unrolled: 4-line block ×4, first 2 shown]
	v_add_f32_e32 v19, v40, v41
	;;#ASMSTART
	v_pk_add_f16 v8, v8, v9;

	;;#ASMEND
	v_add_f32_e32 v2, v2, v19
	;;#ASMSTART
	v_pk_add_f16 v8, v8, v10;

	;;#ASMEND
	;; [unrolled: 5-line block ×3, first 2 shown]
	v_add_f32_e32 v3, v3, v19
	v_lshrrev_b32_e32 v9, 16, v8
	v_and_b32_e32 v8, 0xffff, v8
	v_add_f32_e32 v19, v44, v45
	;;#ASMSTART
	v_cvt_f32_f16 v8, v8;
	;;#ASMEND
	v_add_f32_e32 v4, v4, v19
	v_add_f32_e32 v19, v22, v23
	;;#ASMSTART
	v_cvt_f32_f16 v9, v9;
	;;#ASMEND
	v_add_f32_e32 v5, v5, v19
	v_add_f32_e32 v8, v8, v9
	;; [unrolled: 1-line block ×3, first 2 shown]
.LBB110_50:                             ;   in Loop: Header=BB110_51 Depth=1
	s_or_b64 exec, exec, s[8:9]
	v_add_u32_e32 v12, 2, v12
	v_cmp_le_i32_e32 vcc, s48, v12
	v_lshl_add_u64 v[16:17], v[16:17], 0, 8
	v_add_u32_e32 v1, 64, v1
	s_or_b64 s[16:17], vcc, s[16:17]
	v_add_u32_e32 v13, 0x100, v13
	s_andn2_b64 exec, exec, s[16:17]
	s_cbranch_execz .LBB110_62
.LBB110_51:                             ; =>This Inner Loop Header: Depth=1
	v_sub_u32_e32 v9, 0, v1
	v_max_i32_e32 v9, v1, v9
	v_mul_hi_u32 v10, v9, s33
	v_mul_lo_u32 v11, v10, s25
	v_sub_u32_e32 v9, v9, v11
	v_add_u32_e32 v11, 1, v10
	v_cmp_le_u32_e32 vcc, s25, v9
	v_ashrrev_i32_e32 v8, 31, v1
	v_xor_b32_e32 v8, s47, v8
	v_cndmask_b32_e32 v10, v10, v11, vcc
	v_subrev_u32_e32 v11, s25, v9
	v_cndmask_b32_e32 v9, v9, v11, vcc
	v_add_u32_e32 v11, 1, v10
	v_cmp_le_u32_e32 vcc, s25, v9
	s_nop 1
	v_cndmask_b32_e32 v9, v10, v11, vcc
	v_xor_b32_e32 v9, v9, v8
	v_sub_u32_e32 v8, v9, v8
	v_add_u32_e32 v9, s46, v8
	v_sub_u32_e32 v11, 0, v9
	v_ashrrev_i32_e32 v10, 31, v9
	v_max_i32_e32 v9, v9, v11
	v_mul_hi_u32 v11, v9, v28
	v_mul_lo_u32 v11, v11, s18
	v_sub_u32_e32 v9, v9, v11
	v_subrev_u32_e32 v11, s18, v9
	v_cmp_le_u32_e32 vcc, s18, v9
	v_cmp_lt_i32_e64 s[0:1], s5, v8
	s_nop 0
	v_cndmask_b32_e32 v9, v9, v11, vcc
	v_subrev_u32_e32 v11, s18, v9
	v_cmp_le_u32_e32 vcc, s18, v9
	s_nop 1
	v_cndmask_b32_e32 v9, v9, v11, vcc
	v_xor_b32_e32 v9, v9, v10
	v_sub_u32_e32 v9, v9, v10
	v_cmp_eq_u32_e32 vcc, 0, v9
	s_or_b64 s[0:1], vcc, s[0:1]
	s_and_saveexec_b64 s[8:9], s[0:1]
	s_cbranch_execz .LBB110_50
; %bb.52:                               ;   in Loop: Header=BB110_51 Depth=1
	global_load_dword v19, v[16:17], off
	ds_read2_b64 v[8:11], v13 offset1:1
	ds_read2_b64 v[20:23], v13 offset0:2 offset1:3
	v_cmp_eq_u32_e32 vcc, s13, v12
	s_waitcnt lgkmcnt(1)
	;;#ASMSTART
	v_cvt_f16_f32 v36, v8;

	;;#ASMEND
	;;#ASMSTART
	v_cvt_f16_f32 v37, v9;

	;;#ASMEND
	;; [unrolled: 4-line block ×4, first 2 shown]
	s_waitcnt lgkmcnt(0)
	;;#ASMSTART
	v_cvt_f16_f32 v41, v20;

	;;#ASMEND
	;;#ASMSTART
	v_cvt_f16_f32 v42, v21;

	;;#ASMEND
	;; [unrolled: 4-line block ×4, first 2 shown]
	s_waitcnt vmcnt(0)
	v_mad_i64_i32 v[8:9], s[0:1], v19, s7, 0
	v_lshl_add_u64 v[20:21], v[8:9], 1, s[14:15]
	v_mov_b32_e32 v19, v15
	v_lshl_add_u64 v[22:23], v[20:21], 0, v[18:19]
	global_load_dwordx4 v[8:11], v[22:23], off
	v_add_u32_e32 v19, v27, v1
	v_add_u32_e32 v29, 1, v19
	v_or_b32_e32 v31, 3, v19
	v_or_b32_e32 v30, 2, v19
	;; [unrolled: 1-line block ×6, first 2 shown]
	s_and_saveexec_b64 s[10:11], vcc
	s_cbranch_execz .LBB110_54
; %bb.53:                               ;   in Loop: Header=BB110_51 Depth=1
	s_waitcnt vmcnt(0)
	v_lshrrev_b32_e32 v39, 16, v11
	v_cmp_gt_i32_e64 s[0:1], s37, v35
	s_nop 1
	v_cndmask_b32_e64 v39, 0, v39, s[0:1]
	v_cmp_gt_i32_e64 s[0:1], s36, v34
	s_nop 1
	v_cndmask_b32_e64 v11, 0, v11, s[0:1]
	v_perm_b32 v11, v39, v11, s12
	v_lshrrev_b32_e32 v39, 16, v10
	v_cmp_gt_i32_e64 s[0:1], s28, v33
	s_nop 1
	v_cndmask_b32_e64 v39, 0, v39, s[0:1]
	v_cmp_gt_i32_e64 s[0:1], s23, v32
	s_nop 1
	v_cndmask_b32_e64 v10, 0, v10, s[0:1]
	v_perm_b32 v10, v39, v10, s12
	v_lshrrev_b32_e32 v39, 16, v9
	v_cmp_gt_i32_e64 s[0:1], s22, v31
	s_nop 1
	v_cndmask_b32_e64 v39, 0, v39, s[0:1]
	v_cmp_gt_i32_e64 s[0:1], s21, v30
	s_nop 1
	v_cndmask_b32_e64 v9, 0, v9, s[0:1]
	v_perm_b32 v9, v39, v9, s12
	v_lshrrev_b32_e32 v39, 16, v8
	v_cmp_gt_i32_e64 s[0:1], s20, v29
	s_nop 1
	v_cndmask_b32_e64 v39, 0, v39, s[0:1]
	v_cmp_gt_i32_e64 s[0:1], s29, v19
	s_nop 1
	v_cndmask_b32_e64 v8, 0, v8, s[0:1]
	v_perm_b32 v8, v39, v8, s12
.LBB110_54:                             ;   in Loop: Header=BB110_51 Depth=1
	s_or_b64 exec, exec, s[10:11]
	v_and_b32_e32 v36, 0xffff, v36
	v_lshl_or_b32 v39, v37, 16, v36
	v_and_b32_e32 v36, 0xffff, v38
	v_lshl_or_b32 v38, v40, 16, v36
	;; [unrolled: 2-line block ×3, first 2 shown]
	v_and_b32_e32 v36, 0xffff, v43
	s_waitcnt vmcnt(0)
	;;#ASMSTART
	v_pk_mul_f16 v8, v39, v8;

	;;#ASMEND
	v_lshl_or_b32 v36, v44, 16, v36
	;;#ASMSTART
	v_pk_mul_f16 v9, v38, v9;

	;;#ASMEND
	;;#ASMSTART
	v_pk_mul_f16 v10, v37, v10;

	;;#ASMEND
	;; [unrolled: 4-line block ×3, first 2 shown]
	s_nop 0
	;;#ASMSTART
	v_pk_add_f16 v8, v8, v9;

	;;#ASMEND
	s_nop 0
	;;#ASMSTART
	v_pk_add_f16 v8, v8, v10;

	;;#ASMEND
	s_nop 0
	;;#ASMSTART
	v_pk_add_f16 v8, v8, v11;

	;;#ASMEND
	s_nop 0
	v_lshrrev_b32_e32 v9, 16, v8
	v_and_b32_e32 v8, 0xffff, v8
	;;#ASMSTART
	v_cvt_f32_f16 v40, v8;
	;;#ASMEND
	;;#ASMSTART
	v_cvt_f32_f16 v41, v9;
	;;#ASMEND
	global_load_dwordx4 v[8:11], v[22:23], off offset:1024
	s_and_saveexec_b64 s[10:11], vcc
	s_cbranch_execz .LBB110_56
; %bb.55:                               ;   in Loop: Header=BB110_51 Depth=1
	s_waitcnt vmcnt(0)
	v_lshrrev_b32_e32 v42, 16, v11
	v_cmp_gt_i32_e64 s[0:1], s37, v35
	s_nop 1
	v_cndmask_b32_e64 v42, 0, v42, s[0:1]
	v_cmp_gt_i32_e64 s[0:1], s36, v34
	s_nop 1
	v_cndmask_b32_e64 v11, 0, v11, s[0:1]
	v_perm_b32 v11, v42, v11, s12
	v_lshrrev_b32_e32 v42, 16, v10
	v_cmp_gt_i32_e64 s[0:1], s28, v33
	s_nop 1
	v_cndmask_b32_e64 v42, 0, v42, s[0:1]
	v_cmp_gt_i32_e64 s[0:1], s23, v32
	s_nop 1
	v_cndmask_b32_e64 v10, 0, v10, s[0:1]
	v_perm_b32 v10, v42, v10, s12
	;; [unrolled: 8-line block ×4, first 2 shown]
.LBB110_56:                             ;   in Loop: Header=BB110_51 Depth=1
	s_or_b64 exec, exec, s[10:11]
	s_waitcnt vmcnt(0)
	;;#ASMSTART
	v_pk_mul_f16 v8, v39, v8;

	;;#ASMEND
	;;#ASMSTART
	v_pk_mul_f16 v9, v38, v9;

	;;#ASMEND
	;; [unrolled: 4-line block ×4, first 2 shown]
	s_nop 0
	;;#ASMSTART
	v_pk_add_f16 v8, v8, v9;

	;;#ASMEND
	s_nop 0
	;;#ASMSTART
	v_pk_add_f16 v8, v8, v10;

	;;#ASMEND
	;; [unrolled: 5-line block ×3, first 2 shown]
	s_nop 0
	v_lshrrev_b32_e32 v9, 16, v8
	v_and_b32_e32 v8, 0xffff, v8
	;;#ASMSTART
	v_cvt_f32_f16 v42, v8;
	;;#ASMEND
	;;#ASMSTART
	v_cvt_f32_f16 v43, v9;
	;;#ASMEND
	global_load_dwordx4 v[8:11], v[22:23], off offset:2048
	s_and_saveexec_b64 s[10:11], vcc
	s_cbranch_execz .LBB110_58
; %bb.57:                               ;   in Loop: Header=BB110_51 Depth=1
	s_waitcnt vmcnt(0)
	v_lshrrev_b32_e32 v44, 16, v11
	v_cmp_gt_i32_e64 s[0:1], s37, v35
	s_nop 1
	v_cndmask_b32_e64 v44, 0, v44, s[0:1]
	v_cmp_gt_i32_e64 s[0:1], s36, v34
	s_nop 1
	v_cndmask_b32_e64 v11, 0, v11, s[0:1]
	v_perm_b32 v11, v44, v11, s12
	v_lshrrev_b32_e32 v44, 16, v10
	v_cmp_gt_i32_e64 s[0:1], s28, v33
	s_nop 1
	v_cndmask_b32_e64 v44, 0, v44, s[0:1]
	v_cmp_gt_i32_e64 s[0:1], s23, v32
	s_nop 1
	v_cndmask_b32_e64 v10, 0, v10, s[0:1]
	v_perm_b32 v10, v44, v10, s12
	;; [unrolled: 8-line block ×4, first 2 shown]
.LBB110_58:                             ;   in Loop: Header=BB110_51 Depth=1
	s_or_b64 exec, exec, s[10:11]
	s_waitcnt vmcnt(0)
	;;#ASMSTART
	v_pk_mul_f16 v8, v39, v8;

	;;#ASMEND
	;;#ASMSTART
	v_pk_mul_f16 v9, v38, v9;

	;;#ASMEND
	;; [unrolled: 4-line block ×4, first 2 shown]
	s_nop 0
	;;#ASMSTART
	v_pk_add_f16 v8, v8, v9;

	;;#ASMEND
	s_nop 0
	;;#ASMSTART
	v_pk_add_f16 v8, v8, v10;

	;;#ASMEND
	;; [unrolled: 5-line block ×3, first 2 shown]
	s_nop 0
	v_lshrrev_b32_e32 v9, 16, v8
	v_and_b32_e32 v8, 0xffff, v8
	;;#ASMSTART
	v_cvt_f32_f16 v44, v8;
	;;#ASMEND
	;;#ASMSTART
	v_cvt_f32_f16 v45, v9;
	;;#ASMEND
	global_load_dwordx4 v[8:11], v[22:23], off offset:3072
	s_and_saveexec_b64 s[10:11], vcc
	s_cbranch_execz .LBB110_60
; %bb.59:                               ;   in Loop: Header=BB110_51 Depth=1
	s_waitcnt vmcnt(0)
	v_lshrrev_b32_e32 v22, 16, v11
	v_cmp_gt_i32_e64 s[0:1], s37, v35
	s_nop 1
	v_cndmask_b32_e64 v22, 0, v22, s[0:1]
	v_cmp_gt_i32_e64 s[0:1], s36, v34
	s_nop 1
	v_cndmask_b32_e64 v11, 0, v11, s[0:1]
	v_perm_b32 v11, v22, v11, s12
	v_lshrrev_b32_e32 v22, 16, v10
	v_cmp_gt_i32_e64 s[0:1], s28, v33
	s_nop 1
	v_cndmask_b32_e64 v22, 0, v22, s[0:1]
	v_cmp_gt_i32_e64 s[0:1], s23, v32
	s_nop 1
	v_cndmask_b32_e64 v10, 0, v10, s[0:1]
	v_perm_b32 v10, v22, v10, s12
	;; [unrolled: 8-line block ×4, first 2 shown]
.LBB110_60:                             ;   in Loop: Header=BB110_51 Depth=1
	s_or_b64 exec, exec, s[10:11]
	s_waitcnt vmcnt(0)
	;;#ASMSTART
	v_pk_mul_f16 v8, v39, v8;

	;;#ASMEND
	;;#ASMSTART
	v_pk_mul_f16 v9, v38, v9;

	;;#ASMEND
	;; [unrolled: 4-line block ×4, first 2 shown]
	s_nop 0
	;;#ASMSTART
	v_pk_add_f16 v8, v8, v9;

	;;#ASMEND
	s_nop 0
	;;#ASMSTART
	v_pk_add_f16 v8, v8, v10;

	;;#ASMEND
	;; [unrolled: 5-line block ×3, first 2 shown]
	s_nop 0
	v_lshrrev_b32_e32 v9, 16, v8
	v_and_b32_e32 v8, 0xffff, v8
	;;#ASMSTART
	v_cvt_f32_f16 v22, v8;
	;;#ASMEND
	;;#ASMSTART
	v_cvt_f32_f16 v23, v9;
	;;#ASMEND
	v_lshl_add_u64 v[8:9], v[20:21], 0, v[14:15]
	global_load_dwordx4 v[8:11], v[8:9], off
	s_and_saveexec_b64 s[0:1], vcc
	s_cbranch_execz .LBB110_49
; %bb.61:                               ;   in Loop: Header=BB110_51 Depth=1
	s_waitcnt vmcnt(0)
	v_lshrrev_b32_e32 v20, 16, v11
	v_cmp_gt_i32_e32 vcc, s37, v35
	s_nop 1
	v_cndmask_b32_e32 v20, 0, v20, vcc
	v_cmp_gt_i32_e32 vcc, s36, v34
	s_nop 1
	v_cndmask_b32_e32 v11, 0, v11, vcc
	v_perm_b32 v11, v20, v11, s12
	v_lshrrev_b32_e32 v20, 16, v10
	v_cmp_gt_i32_e32 vcc, s28, v33
	s_nop 1
	v_cndmask_b32_e32 v20, 0, v20, vcc
	v_cmp_gt_i32_e32 vcc, s23, v32
	s_nop 1
	v_cndmask_b32_e32 v10, 0, v10, vcc
	v_perm_b32 v10, v20, v10, s12
	;; [unrolled: 8-line block ×4, first 2 shown]
	s_branch .LBB110_49
.LBB110_62:
	s_or_b64 exec, exec, s[16:17]
.LBB110_63:
	s_or_b64 exec, exec, s[2:3]
	ds_bpermute_b32 v8, v7, v2
	ds_bpermute_b32 v9, v7, v3
	;; [unrolled: 1-line block ×5, first 2 shown]
	s_waitcnt lgkmcnt(0)
	v_pk_add_f32 v[2:3], v[2:3], v[8:9]
	ds_bpermute_b32 v8, v25, v2
	v_pk_add_f32 v[4:5], v[4:5], v[10:11]
	v_add_f32_e32 v1, v6, v1
	ds_bpermute_b32 v9, v25, v3
	ds_bpermute_b32 v10, v25, v4
	;; [unrolled: 1-line block ×4, first 2 shown]
	s_barrier
	s_waitcnt lgkmcnt(3)
	v_pk_add_f32 v[6:7], v[2:3], v[8:9]
	s_waitcnt lgkmcnt(0)
	v_pk_add_f32 v[2:3], v[4:5], v[10:11]
	v_add_f32_e32 v4, v1, v12
	v_and_b32_e32 v1, 0x3c3, v0
	v_cmp_eq_u32_e32 vcc, 64, v1
	s_and_saveexec_b64 s[0:1], vcc
	s_cbranch_execz .LBB110_65
; %bb.64:
	v_add_u32_e32 v5, 0xb0, v24
	ds_write2_b32 v5, v6, v7 offset1:16
	ds_write2_b32 v5, v2, v3 offset0:32 offset1:48
	ds_write_b32 v5, v4 offset:256
.LBB110_65:
	s_or_b64 exec, exec, s[0:1]
	v_cmp_gt_u32_e32 vcc, 64, v0
	s_waitcnt lgkmcnt(0)
	s_barrier
	s_and_saveexec_b64 s[0:1], vcc
	s_cbranch_execz .LBB110_73
; %bb.66:
	v_cmp_eq_u32_e32 vcc, 0, v26
	v_lshrrev_b32_e32 v5, 2, v0
	s_and_saveexec_b64 s[2:3], vcc
	s_cbranch_execnz .LBB110_76
; %bb.67:
	s_or_b64 exec, exec, s[2:3]
	s_and_saveexec_b64 s[2:3], vcc
	s_cbranch_execnz .LBB110_77
.LBB110_68:
	s_or_b64 exec, exec, s[2:3]
	s_and_saveexec_b64 s[2:3], vcc
	s_cbranch_execnz .LBB110_78
.LBB110_69:
	s_or_b64 exec, exec, s[2:3]
	s_and_saveexec_b64 s[2:3], vcc
	s_cbranch_execnz .LBB110_79
.LBB110_70:
	s_or_b64 exec, exec, s[2:3]
	s_and_saveexec_b64 s[2:3], vcc
	s_cbranch_execz .LBB110_72
.LBB110_71:
	v_mov_b32_e32 v8, 0xb0
	v_lshl_add_u32 v5, v5, 2, v8
	ds_read_b32 v5, v5 offset:256
	s_waitcnt lgkmcnt(0)
	v_add_f32_e32 v4, v4, v5
.LBB110_72:
	s_or_b64 exec, exec, s[2:3]
.LBB110_73:
	s_or_b64 exec, exec, s[0:1]
	v_cmp_eq_u32_e32 vcc, 0, v1
	s_barrier
	s_and_saveexec_b64 s[0:1], vcc
	s_cbranch_execz .LBB110_75
; %bb.74:
	s_mul_i32 s0, s6, 0x50
	s_ashr_i32 s1, s0, 31
	s_lshl_b64 s[0:1], s[0:1], 1
	s_add_u32 s2, s26, s0
	s_mul_i32 s0, s19, s24
	s_addc_u32 s3, s27, s1
	s_ashr_i32 s1, s0, 31
	s_lshl_b64 s[0:1], s[0:1], 1
	s_add_u32 s2, s2, s0
	s_mul_i32 s0, s4, 0x50
	s_addc_u32 s3, s3, s1
	s_ashr_i32 s1, s0, 31
	s_lshl_b64 s[0:1], s[0:1], 1
	s_add_u32 s0, s2, s0
	s_addc_u32 s1, s3, s1
	v_lshrrev_b32_e32 v0, 1, v0
	;;#ASMSTART
	v_cvt_f16_f32 v1, v6;

	;;#ASMEND
	global_store_short v0, v1, s[0:1]
	;;#ASMSTART
	v_cvt_f16_f32 v1, v7;

	;;#ASMEND
	global_store_short v0, v1, s[0:1] offset:32
	;;#ASMSTART
	v_cvt_f16_f32 v1, v2;

	;;#ASMEND
	global_store_short v0, v1, s[0:1] offset:64
	;; [unrolled: 5-line block ×4, first 2 shown]
.LBB110_75:
	s_endpgm
.LBB110_76:
	v_mov_b32_e32 v8, 0xb0
	v_lshl_add_u32 v8, v5, 2, v8
	ds_read_b32 v8, v8
	s_waitcnt lgkmcnt(0)
	v_add_f32_e32 v6, v6, v8
	s_or_b64 exec, exec, s[2:3]
	s_and_saveexec_b64 s[2:3], vcc
	s_cbranch_execz .LBB110_68
.LBB110_77:
	v_mov_b32_e32 v8, 0xb0
	v_lshl_add_u32 v8, v5, 2, v8
	ds_read_b32 v8, v8 offset:64
	s_waitcnt lgkmcnt(0)
	v_add_f32_e32 v7, v7, v8
	s_or_b64 exec, exec, s[2:3]
	s_and_saveexec_b64 s[2:3], vcc
	s_cbranch_execz .LBB110_69
.LBB110_78:
	v_mov_b32_e32 v8, 0xb0
	v_lshl_add_u32 v8, v5, 2, v8
	ds_read_b32 v8, v8 offset:128
	s_waitcnt lgkmcnt(0)
	v_add_f32_e32 v2, v2, v8
	s_or_b64 exec, exec, s[2:3]
	s_and_saveexec_b64 s[2:3], vcc
	s_cbranch_execz .LBB110_70
.LBB110_79:
	v_mov_b32_e32 v8, 0xb0
	v_lshl_add_u32 v8, v5, 2, v8
	ds_read_b32 v8, v8 offset:192
	s_waitcnt lgkmcnt(0)
	v_add_f32_e32 v3, v3, v8
	s_or_b64 exec, exec, s[2:3]
	s_and_saveexec_b64 s[2:3], vcc
	s_cbranch_execnz .LBB110_71
	s_branch .LBB110_72
	.section	.rodata,"a",@progbits
	.p2align	6, 0x0
	.amdhsa_kernel _ZN4vllm25paged_attention_v2_kernelIttLi80ELi32ELi128ELNS_18Fp8KVCacheDataTypeE0ELb1ELi512EEEvPfS2_PT_PKS3_PKT0_S9_ifPKiSB_iPKfiiiSD_SD_iiiii
		.amdhsa_group_segment_fixed_size 176
		.amdhsa_private_segment_fixed_size 0
		.amdhsa_kernarg_size 400
		.amdhsa_user_sgpr_count 2
		.amdhsa_user_sgpr_dispatch_ptr 0
		.amdhsa_user_sgpr_queue_ptr 0
		.amdhsa_user_sgpr_kernarg_segment_ptr 1
		.amdhsa_user_sgpr_dispatch_id 0
		.amdhsa_user_sgpr_kernarg_preload_length 0
		.amdhsa_user_sgpr_kernarg_preload_offset 0
		.amdhsa_user_sgpr_private_segment_size 0
		.amdhsa_uses_dynamic_stack 0
		.amdhsa_enable_private_segment 0
		.amdhsa_system_sgpr_workgroup_id_x 1
		.amdhsa_system_sgpr_workgroup_id_y 1
		.amdhsa_system_sgpr_workgroup_id_z 1
		.amdhsa_system_sgpr_workgroup_info 0
		.amdhsa_system_vgpr_workitem_id 0
		.amdhsa_next_free_vgpr 71
		.amdhsa_next_free_sgpr 56
		.amdhsa_accum_offset 72
		.amdhsa_reserve_vcc 1
		.amdhsa_float_round_mode_32 0
		.amdhsa_float_round_mode_16_64 0
		.amdhsa_float_denorm_mode_32 3
		.amdhsa_float_denorm_mode_16_64 3
		.amdhsa_dx10_clamp 1
		.amdhsa_ieee_mode 1
		.amdhsa_fp16_overflow 0
		.amdhsa_tg_split 0
		.amdhsa_exception_fp_ieee_invalid_op 0
		.amdhsa_exception_fp_denorm_src 0
		.amdhsa_exception_fp_ieee_div_zero 0
		.amdhsa_exception_fp_ieee_overflow 0
		.amdhsa_exception_fp_ieee_underflow 0
		.amdhsa_exception_fp_ieee_inexact 0
		.amdhsa_exception_int_div_zero 0
	.end_amdhsa_kernel
	.section	.text._ZN4vllm25paged_attention_v2_kernelIttLi80ELi32ELi128ELNS_18Fp8KVCacheDataTypeE0ELb1ELi512EEEvPfS2_PT_PKS3_PKT0_S9_ifPKiSB_iPKfiiiSD_SD_iiiii,"axG",@progbits,_ZN4vllm25paged_attention_v2_kernelIttLi80ELi32ELi128ELNS_18Fp8KVCacheDataTypeE0ELb1ELi512EEEvPfS2_PT_PKS3_PKT0_S9_ifPKiSB_iPKfiiiSD_SD_iiiii,comdat
.Lfunc_end110:
	.size	_ZN4vllm25paged_attention_v2_kernelIttLi80ELi32ELi128ELNS_18Fp8KVCacheDataTypeE0ELb1ELi512EEEvPfS2_PT_PKS3_PKT0_S9_ifPKiSB_iPKfiiiSD_SD_iiiii, .Lfunc_end110-_ZN4vllm25paged_attention_v2_kernelIttLi80ELi32ELi128ELNS_18Fp8KVCacheDataTypeE0ELb1ELi512EEEvPfS2_PT_PKS3_PKT0_S9_ifPKiSB_iPKfiiiSD_SD_iiiii
                                        ; -- End function
	.section	.AMDGPU.csdata,"",@progbits
; Kernel info:
; codeLenInByte = 7544
; NumSgprs: 62
; NumVgprs: 71
; NumAgprs: 0
; TotalNumVgprs: 71
; ScratchSize: 0
; MemoryBound: 0
; FloatMode: 240
; IeeeMode: 1
; LDSByteSize: 176 bytes/workgroup (compile time only)
; SGPRBlocks: 7
; VGPRBlocks: 8
; NumSGPRsForWavesPerEU: 62
; NumVGPRsForWavesPerEU: 71
; AccumOffset: 72
; Occupancy: 7
; WaveLimiterHint : 1
; COMPUTE_PGM_RSRC2:SCRATCH_EN: 0
; COMPUTE_PGM_RSRC2:USER_SGPR: 2
; COMPUTE_PGM_RSRC2:TRAP_HANDLER: 0
; COMPUTE_PGM_RSRC2:TGID_X_EN: 1
; COMPUTE_PGM_RSRC2:TGID_Y_EN: 1
; COMPUTE_PGM_RSRC2:TGID_Z_EN: 1
; COMPUTE_PGM_RSRC2:TIDIG_COMP_CNT: 0
; COMPUTE_PGM_RSRC3_GFX90A:ACCUM_OFFSET: 17
; COMPUTE_PGM_RSRC3_GFX90A:TG_SPLIT: 0
	.section	.text._ZN4vllm25paged_attention_v2_kernelIttLi96ELi32ELi128ELNS_18Fp8KVCacheDataTypeE0ELb1ELi512EEEvPfS2_PT_PKS3_PKT0_S9_ifPKiSB_iPKfiiiSD_SD_iiiii,"axG",@progbits,_ZN4vllm25paged_attention_v2_kernelIttLi96ELi32ELi128ELNS_18Fp8KVCacheDataTypeE0ELb1ELi512EEEvPfS2_PT_PKS3_PKT0_S9_ifPKiSB_iPKfiiiSD_SD_iiiii,comdat
	.protected	_ZN4vllm25paged_attention_v2_kernelIttLi96ELi32ELi128ELNS_18Fp8KVCacheDataTypeE0ELb1ELi512EEEvPfS2_PT_PKS3_PKT0_S9_ifPKiSB_iPKfiiiSD_SD_iiiii ; -- Begin function _ZN4vllm25paged_attention_v2_kernelIttLi96ELi32ELi128ELNS_18Fp8KVCacheDataTypeE0ELb1ELi512EEEvPfS2_PT_PKS3_PKT0_S9_ifPKiSB_iPKfiiiSD_SD_iiiii
	.globl	_ZN4vllm25paged_attention_v2_kernelIttLi96ELi32ELi128ELNS_18Fp8KVCacheDataTypeE0ELb1ELi512EEEvPfS2_PT_PKS3_PKT0_S9_ifPKiSB_iPKfiiiSD_SD_iiiii
	.p2align	8
	.type	_ZN4vllm25paged_attention_v2_kernelIttLi96ELi32ELi128ELNS_18Fp8KVCacheDataTypeE0ELb1ELi512EEEvPfS2_PT_PKS3_PKT0_S9_ifPKiSB_iPKfiiiSD_SD_iiiii,@function
_ZN4vllm25paged_attention_v2_kernelIttLi96ELi32ELi128ELNS_18Fp8KVCacheDataTypeE0ELb1ELi512EEEvPfS2_PT_PKS3_PKT0_S9_ifPKiSB_iPKfiiiSD_SD_iiiii: ; @_ZN4vllm25paged_attention_v2_kernelIttLi96ELi32ELi128ELNS_18Fp8KVCacheDataTypeE0ELb1ELi512EEEvPfS2_PT_PKS3_PKT0_S9_ifPKiSB_iPKfiiiSD_SD_iiiii
; %bb.0:
	s_load_dwordx2 s[6:7], s[0:1], 0x40
	s_mov_b32 s28, s3
	s_ashr_i32 s29, s3, 31
	s_lshl_b64 s[8:9], s[28:29], 2
	s_waitcnt lgkmcnt(0)
	s_add_u32 s6, s6, s8
	s_addc_u32 s7, s7, s9
	s_load_dword s29, s[6:7], 0x0
	s_lshl_b32 s49, s4, 9
	s_waitcnt lgkmcnt(0)
	s_cmp_ge_i32 s49, s29
	s_cbranch_scc1 .LBB111_78
; %bb.1:
	s_load_dword s5, s[0:1], 0x90
	s_load_dwordx2 s[38:39], s[0:1], 0x30
	s_waitcnt lgkmcnt(0)
	s_abs_i32 s7, s5
	s_abs_i32 s3, s38
	v_cvt_f32_u32_e32 v1, s3
	s_sub_i32 s8, 0, s3
	s_xor_b32 s6, s5, s38
	s_ashr_i32 s6, s6, 31
	v_rcp_iflag_f32_e32 v1, v1
	s_nop 0
	v_mul_f32_e32 v1, 0x4f7ffffe, v1
	v_cvt_u32_f32_e32 v1, v1
	s_nop 0
	v_readfirstlane_b32 s9, v1
	s_mul_i32 s8, s8, s9
	s_mul_hi_u32 s8, s9, s8
	s_add_i32 s9, s9, s8
	s_mul_hi_u32 s8, s7, s9
	s_mul_i32 s9, s8, s3
	s_sub_i32 s7, s7, s9
	s_add_i32 s10, s8, 1
	s_sub_i32 s9, s7, s3
	s_cmp_ge_u32 s7, s3
	s_cselect_b32 s8, s10, s8
	s_cselect_b32 s7, s9, s7
	s_add_i32 s9, s8, 1
	s_cmp_ge_u32 s7, s3
	s_cselect_b32 s3, s9, s8
	s_xor_b32 s3, s3, s6
	s_sub_i32 s12, s3, s6
	s_abs_i32 s8, s12
	v_cvt_f32_u32_e32 v1, s8
	s_load_dwordx2 s[6:7], s[0:1], 0x50
	s_sub_i32 s10, 0, s8
	s_abs_i32 s9, s2
	v_rcp_iflag_f32_e32 v1, v1
	s_mov_b32 s3, 0
	v_mul_f32_e32 v1, 0x4f7ffffe, v1
	v_cvt_u32_f32_e32 v1, v1
	s_nop 0
	v_readfirstlane_b32 s11, v1
	s_mul_i32 s10, s10, s11
	s_mul_hi_u32 s10, s11, s10
	s_add_i32 s11, s11, s10
	s_waitcnt lgkmcnt(0)
	s_cmp_eq_u64 s[6:7], 0
	s_mul_hi_u32 s10, s9, s11
	s_cbranch_scc1 .LBB111_3
; %bb.2:
	s_ashr_i32 s3, s2, 31
	s_lshl_b64 s[14:15], s[2:3], 2
	s_add_u32 s6, s6, s14
	s_addc_u32 s7, s7, s15
	s_load_dword s3, s[6:7], 0x0
.LBB111_3:
	s_ashr_i32 s16, s12, 31
	s_load_dwordx4 s[12:15], s[0:1], 0x58
	s_ashr_i32 s11, s2, 31
	v_and_b32_e32 v4, 1, v0
	s_waitcnt lgkmcnt(0)
	s_movk_i32 s15, 0x60
	s_mul_i32 s24, s2, 0x60
	v_cmp_gt_u32_e32 vcc, 24, v0
	v_lshlrev_b32_e32 v24, 3, v0
	s_and_saveexec_b64 s[6:7], vcc
	s_cbranch_execz .LBB111_5
; %bb.4:
	s_load_dwordx2 s[18:19], s[0:1], 0x18
	s_mul_i32 s20, s28, s12
	s_ashr_i32 s21, s20, 31
	s_lshl_b64 s[20:21], s[20:21], 1
	v_lshlrev_b32_e32 v1, 2, v0
	s_waitcnt lgkmcnt(0)
	s_add_u32 s12, s18, s20
	s_addc_u32 s17, s19, s21
	s_ashr_i32 s25, s24, 31
	s_lshl_b64 s[18:19], s[24:25], 1
	s_add_u32 s18, s12, s18
	s_addc_u32 s19, s17, s19
	global_load_dwordx2 v[2:3], v24, s[18:19]
	v_and_b32_e32 v1, 0xff8, v1
	v_mad_u32_u24 v1, v4, s15, v1
	s_waitcnt vmcnt(0)
	ds_write_b64 v1, v[2:3]
.LBB111_5:
	s_or_b64 exec, exec, s[6:7]
	s_mul_i32 s7, s10, s8
	s_sub_i32 s7, s9, s7
	s_xor_b32 s6, s11, s16
	s_add_i32 s9, s10, 1
	s_sub_i32 s11, s7, s8
	s_load_dwordx4 s[16:19], s[0:1], 0x78
	s_cmp_ge_u32 s7, s8
	s_cselect_b32 s9, s9, s10
	s_cselect_b32 s7, s11, s7
	s_load_dword s11, s[0:1], 0x88
	s_add_i32 s10, s9, 1
	s_cmp_ge_u32 s7, s8
	s_cselect_b32 s7, s10, s9
	s_waitcnt lgkmcnt(0)
	s_abs_i32 s25, s19
	v_cvt_f32_u32_e32 v1, s25
	s_xor_b32 s7, s7, s6
	s_sub_i32 s8, s7, s6
	s_sub_i32 s6, 0, s25
	v_rcp_iflag_f32_e32 v1, v1
	s_add_i32 s12, s29, -1
	s_abs_i32 s9, s12
	v_mul_f32_e32 v1, 0x4f7ffffe, v1
	v_cvt_u32_f32_e32 v1, v1
	s_barrier
	v_readfirstlane_b32 s33, v1
	s_mul_i32 s6, s6, s33
	s_mul_hi_u32 s6, s33, s6
	s_add_i32 s33, s33, s6
	s_cmp_lt_i32 s11, 0
	s_mul_hi_u32 s10, s9, s33
	s_cbranch_scc0 .LBB111_7
; %bb.6:
	s_mul_i32 s6, s16, s38
	s_add_i32 s6, s8, s6
	s_mul_i32 s6, s6, s11
	s_sub_i32 s46, 1, s6
	s_mov_b64 s[6:7], 0
	s_branch .LBB111_8
.LBB111_7:
	s_mov_b64 s[6:7], -1
                                        ; implicit-def: $sgpr46
.LBB111_8:
	s_load_dwordx2 s[30:31], s[0:1], 0x38
	s_ashr_i32 s12, s12, 31
	s_andn2_b64 vcc, exec, s[6:7]
	s_ashr_i32 s47, s19, 31
	s_cbranch_vccnz .LBB111_10
; %bb.9:
	s_mul_i32 s6, s5, s16
	s_add_i32 s6, s6, s2
	s_mul_i32 s6, s6, s11
	s_add_i32 s46, s6, 1
.LBB111_10:
	s_load_dword s6, s[0:1], 0x48
	s_load_dwordx2 s[36:37], s[0:1], 0x28
	s_load_dword s19, s[0:1], 0x98
	s_load_dwordx4 s[20:23], s[0:1], 0x0
	s_load_dwordx2 s[26:27], s[0:1], 0x10
	s_mul_i32 s7, s10, s25
	s_waitcnt lgkmcnt(0)
	s_mul_i32 s34, s28, s6
	s_sub_i32 s7, s9, s7
	s_ashr_i32 s35, s34, 31
	s_xor_b32 s6, s12, s47
	s_add_i32 s9, s10, 1
	s_sub_i32 s11, s7, s25
	s_cmp_ge_u32 s7, s25
	s_cselect_b32 s9, s9, s10
	s_cselect_b32 s7, s11, s7
	s_add_i32 s10, s9, 1
	s_cmp_ge_u32 s7, s25
	s_cselect_b32 s7, s10, s9
	s_xor_b32 s7, s7, s6
	s_sub_i32 s16, s7, s6
	s_add_i32 s6, s29, 31
	s_ashr_i32 s7, s6, 31
	s_lshr_b32 s7, s7, 27
	s_add_i32 s6, s6, s7
	s_lshl_b32 s38, s4, 4
	s_ashr_i32 s12, s6, 5
	s_add_i32 s6, s38, 16
	v_lshrrev_b32_e32 v25, 6, v0
	s_min_i32 s48, s6, s12
	v_or_b32_e32 v12, s38, v25
	v_cmp_gt_i32_e64 s[10:11], s48, v12
	v_mov_b32_e32 v29, 0xff7fffff
	s_mul_i32 s14, s8, s14
	v_ashrrev_i32_e32 v13, 31, v12
	v_lshl_add_u32 v1, v25, 5, s49
	v_mbcnt_lo_u32_b32 v26, -1, 0
	s_and_saveexec_b64 s[40:41], s[10:11]
	s_cbranch_execz .LBB111_20
; %bb.11:
	s_load_dwordx2 s[0:1], s[0:1], 0x20
	s_ashr_i32 s15, s14, 31
	s_sub_i32 s50, s16, s17
	s_lshl_b64 s[8:9], s[14:15], 1
	v_bfe_u32 v27, v0, 1, 5
	s_waitcnt lgkmcnt(0)
	s_add_u32 s0, s0, s8
	s_addc_u32 s1, s1, s9
	s_abs_i32 s15, s18
	v_cvt_f32_u32_e32 v5, s15
	v_lshlrev_b32_e32 v2, 4, v27
	v_mov_b32_e32 v3, 0
	v_lshl_add_u64 v[6:7], s[0:1], 0, v[2:3]
	v_rcp_iflag_f32_e32 v5, v5
	v_and_b32_e32 v2, 8, v24
	v_lshl_add_u64 v[2:3], v[6:7], 0, v[2:3]
	s_sub_i32 s0, 0, s15
	v_mul_f32_e32 v5, 0x4f7ffffe, v5
	v_cvt_u32_f32_e32 v5, v5
	v_lshlrev_b32_e32 v6, 2, v27
	v_cmp_eq_u32_e64 s[6:7], 0, v4
	v_mul_u32_u24_e32 v28, 0x60, v4
	v_mul_lo_u32 v4, s0, v5
	s_lshl_b64 s[0:1], s[34:35], 2
	v_lshl_or_b32 v6, v25, 7, v6
	s_add_u32 s0, s30, s0
	v_add_u32_e32 v32, 0xd0, v6
	v_subrev_u32_e32 v6, s29, v27
	v_mbcnt_hi_u32_b32 v35, -1, v26
	v_mul_hi_u32 v4, v5, v4
	s_addc_u32 s1, s31, s1
	v_add_u32_e32 v33, 1, v6
	v_and_b32_e32 v6, 64, v35
	s_mov_b32 s51, s13
	v_cmp_neq_f32_e64 s[8:9], s3, 0
	v_add_u32_e32 v30, v5, v4
	v_lshl_add_u64 v[4:5], v[12:13], 2, s[0:1]
	v_lshl_add_u32 v31, v25, 5, s49
	s_mov_b64 s[42:43], 0
	v_mov_b32_e32 v34, 0xff7fffff
	s_movk_i32 s52, 0x1000
	v_xor_b32_e32 v36, 1, v35
	v_add_u32_e32 v37, 64, v6
	v_mov_b32_e32 v29, 0xff7fffff
	v_mov_b32_e32 v38, v12
	s_branch .LBB111_14
.LBB111_12:                             ;   in Loop: Header=BB111_14 Depth=1
	s_or_b64 exec, exec, s[44:45]
.LBB111_13:                             ;   in Loop: Header=BB111_14 Depth=1
	s_or_b64 exec, exec, s[0:1]
	v_add_u32_e32 v38, 2, v38
	v_cmp_le_i32_e32 vcc, s48, v38
	v_lshl_add_u64 v[4:5], v[4:5], 0, 8
	v_add_u32_e32 v31, 64, v31
	s_or_b64 s[42:43], vcc, s[42:43]
	v_add_u32_e32 v32, 0x100, v32
	s_andn2_b64 exec, exec, s[42:43]
	s_cbranch_execz .LBB111_19
.LBB111_14:                             ; =>This Inner Loop Header: Depth=1
	s_waitcnt lgkmcnt(0)
	v_sub_u32_e32 v7, 0, v31
	v_max_i32_e32 v7, v31, v7
	v_mul_hi_u32 v8, v7, s33
	v_mul_lo_u32 v9, v8, s25
	v_sub_u32_e32 v7, v7, v9
	v_add_u32_e32 v9, 1, v8
	v_cmp_le_u32_e32 vcc, s25, v7
	v_ashrrev_i32_e32 v6, 31, v31
	v_xor_b32_e32 v6, s47, v6
	v_cndmask_b32_e32 v8, v8, v9, vcc
	v_subrev_u32_e32 v9, s25, v7
	v_cndmask_b32_e32 v7, v7, v9, vcc
	v_add_u32_e32 v9, 1, v8
	v_cmp_le_u32_e32 vcc, s25, v7
	s_nop 1
	v_cndmask_b32_e32 v7, v8, v9, vcc
	v_xor_b32_e32 v7, v7, v6
	v_sub_u32_e32 v6, v7, v6
	v_add_u32_e32 v7, s46, v6
	v_sub_u32_e32 v9, 0, v7
	v_ashrrev_i32_e32 v8, 31, v7
	v_max_i32_e32 v7, v7, v9
	v_mul_hi_u32 v9, v7, v30
	v_mul_lo_u32 v9, v9, s15
	v_sub_u32_e32 v7, v7, v9
	v_subrev_u32_e32 v9, s15, v7
	v_cmp_le_u32_e32 vcc, s15, v7
	v_cmp_ge_i32_e64 s[0:1], s50, v6
	s_nop 0
	v_cndmask_b32_e32 v7, v7, v9, vcc
	v_subrev_u32_e32 v9, s15, v7
	v_cmp_le_u32_e32 vcc, s15, v7
	s_nop 1
	v_cndmask_b32_e32 v7, v7, v9, vcc
	v_xor_b32_e32 v7, v7, v8
	v_sub_u32_e32 v7, v7, v8
	v_cmp_ne_u32_e32 vcc, 0, v7
	s_and_b64 s[0:1], vcc, s[0:1]
	s_and_b64 s[54:55], s[6:7], s[0:1]
	s_and_saveexec_b64 s[44:45], s[54:55]
	s_cbranch_execz .LBB111_16
; %bb.15:                               ;   in Loop: Header=BB111_14 Depth=1
	ds_write_b32 v32, v34
.LBB111_16:                             ;   in Loop: Header=BB111_14 Depth=1
	s_or_b64 exec, exec, s[44:45]
	s_xor_b64 s[44:45], s[0:1], -1
	s_and_saveexec_b64 s[0:1], s[44:45]
	s_cbranch_execz .LBB111_13
; %bb.17:                               ;   in Loop: Header=BB111_14 Depth=1
	global_load_dword v6, v[4:5], off
	s_waitcnt vmcnt(0)
	v_mad_i64_i32 v[6:7], s[44:45], v6, s51, 0
	v_lshl_add_u64 v[6:7], v[6:7], 1, v[2:3]
	global_load_dwordx2 v[40:41], v[6:7], off
	global_load_dwordx2 v[42:43], v[6:7], off offset:512
	global_load_dwordx2 v[44:45], v[6:7], off offset:1024
	;; [unrolled: 1-line block ×7, first 2 shown]
	v_add_co_u32_e32 v6, vcc, s52, v6
	s_waitcnt vmcnt(7)
	v_lshrrev_b32_e32 v51, 16, v40
	v_addc_co_u32_e32 v7, vcc, 0, v7, vcc
	global_load_dwordx2 v[14:15], v[6:7], off
	global_load_dwordx2 v[10:11], v[6:7], off offset:512
	ds_read_b64 v[8:9], v28
	v_and_b32_e32 v40, 0xffff, v40
	v_lshrrev_b32_e32 v52, 16, v41
	v_and_b32_e32 v41, 0xffff, v41
	s_waitcnt vmcnt(2)
	v_lshrrev_b32_e32 v65, 16, v16
	s_waitcnt lgkmcnt(0)
	v_lshrrev_b32_e32 v39, 16, v8
	v_and_b32_e32 v48, 0xffff, v8
	v_lshrrev_b32_e32 v49, 16, v9
	v_and_b32_e32 v50, 0xffff, v9
	global_load_dwordx2 v[8:9], v[6:7], off offset:1024
	s_nop 0
	global_load_dwordx2 v[6:7], v[6:7], off offset:1536
	;;#ASMSTART
	v_cvt_f32_f16 v48, v48;
	;;#ASMEND
	;;#ASMSTART
	v_cvt_f32_f16 v39, v39;
	;;#ASMEND
	v_and_b32_e32 v66, 0xffff, v16
	v_lshrrev_b32_e32 v67, 16, v17
	v_and_b32_e32 v68, 0xffff, v17
	;;#ASMSTART
	v_cvt_f32_f16 v40, v40;
	;;#ASMEND
	;;#ASMSTART
	v_cvt_f32_f16 v51, v51;
	;;#ASMEND
	;; [unrolled: 3-line block ×6, first 2 shown]
	ds_read_b64 v[16:17], v28 offset:8
	v_lshrrev_b32_e32 v53, 16, v42
	v_and_b32_e32 v42, 0xffff, v42
	v_lshrrev_b32_e32 v54, 16, v43
	v_and_b32_e32 v43, 0xffff, v43
	;; [unrolled: 2-line block ×12, first 2 shown]
	v_cmp_lt_i32_e32 vcc, v36, v37
	s_waitcnt vmcnt(3)
	v_lshrrev_b32_e32 v69, 16, v14
	v_and_b32_e32 v70, 0xffff, v14
	v_lshrrev_b32_e32 v71, 16, v15
	v_and_b32_e32 v72, 0xffff, v15
	s_waitcnt lgkmcnt(0)
	v_lshrrev_b32_e32 v14, 16, v16
	v_and_b32_e32 v15, 0xffff, v16
	v_lshrrev_b32_e32 v16, 16, v17
	v_and_b32_e32 v17, 0xffff, v17
	;;#ASMSTART
	v_cvt_f32_f16 v74, v15;
	;;#ASMEND
	;;#ASMSTART
	v_cvt_f32_f16 v75, v14;
	;;#ASMEND
	;; [unrolled: 3-line block ×8, first 2 shown]
	ds_read_b64 v[14:15], v28 offset:16
	v_mul_f32_e32 v42, v74, v42
	v_mul_f32_e32 v53, v75, v53
	;; [unrolled: 1-line block ×4, first 2 shown]
	v_fmac_f32_e32 v42, v48, v40
	v_fmac_f32_e32 v53, v39, v51
	s_waitcnt lgkmcnt(0)
	v_lshrrev_b32_e32 v39, 16, v14
	v_and_b32_e32 v14, 0xffff, v14
	v_lshrrev_b32_e32 v40, 16, v15
	v_and_b32_e32 v15, 0xffff, v15
	v_fmac_f32_e32 v17, v50, v41
	v_fmac_f32_e32 v16, v49, v52
	;;#ASMSTART
	v_cvt_f32_f16 v41, v14;
	;;#ASMEND
	;;#ASMSTART
	v_cvt_f32_f16 v39, v39;
	;;#ASMEND
	;;#ASMSTART
	v_cvt_f32_f16 v43, v44;
	;;#ASMEND
	;;#ASMSTART
	v_cvt_f32_f16 v44, v55;
	;;#ASMEND
	;;#ASMSTART
	v_cvt_f32_f16 v48, v15;
	;;#ASMEND
	;;#ASMSTART
	v_cvt_f32_f16 v40, v40;
	;;#ASMEND
	;;#ASMSTART
	v_cvt_f32_f16 v45, v45;
	;;#ASMEND
	;;#ASMSTART
	v_cvt_f32_f16 v49, v56;
	;;#ASMEND
	ds_read_b64 v[14:15], v28 offset:24
	v_fmac_f32_e32 v53, v39, v44
	v_fmac_f32_e32 v16, v40, v49
	v_fmac_f32_e32 v42, v41, v43
	v_fmac_f32_e32 v17, v48, v45
	s_waitcnt lgkmcnt(0)
	v_lshrrev_b32_e32 v39, 16, v14
	v_and_b32_e32 v14, 0xffff, v14
	v_lshrrev_b32_e32 v40, 16, v15
	v_and_b32_e32 v15, 0xffff, v15
	;;#ASMSTART
	v_cvt_f32_f16 v41, v14;
	;;#ASMEND
	;;#ASMSTART
	v_cvt_f32_f16 v39, v39;
	;;#ASMEND
	;;#ASMSTART
	v_cvt_f32_f16 v43, v46;
	;;#ASMEND
	;;#ASMSTART
	v_cvt_f32_f16 v44, v57;
	;;#ASMEND
	;;#ASMSTART
	v_cvt_f32_f16 v45, v15;
	;;#ASMEND
	;;#ASMSTART
	v_cvt_f32_f16 v40, v40;
	;;#ASMEND
	;;#ASMSTART
	v_cvt_f32_f16 v46, v47;
	;;#ASMEND
	;;#ASMSTART
	v_cvt_f32_f16 v47, v58;
	;;#ASMEND
	ds_read_b64 v[14:15], v28 offset:32
	v_fmac_f32_e32 v53, v39, v44
	v_fmac_f32_e32 v16, v40, v47
	v_fmac_f32_e32 v42, v41, v43
	v_fmac_f32_e32 v17, v45, v46
	s_waitcnt lgkmcnt(0)
	v_lshrrev_b32_e32 v39, 16, v14
	v_and_b32_e32 v14, 0xffff, v14
	v_lshrrev_b32_e32 v40, 16, v15
	v_and_b32_e32 v15, 0xffff, v15
	;;#ASMSTART
	v_cvt_f32_f16 v41, v14;
	;;#ASMEND
	;;#ASMSTART
	v_cvt_f32_f16 v39, v39;
	;;#ASMEND
	;;#ASMSTART
	v_cvt_f32_f16 v22, v22;
	;;#ASMEND
	;;#ASMSTART
	v_cvt_f32_f16 v43, v59;
	;;#ASMEND
	;;#ASMSTART
	v_cvt_f32_f16 v44, v15;
	;;#ASMEND
	;;#ASMSTART
	v_cvt_f32_f16 v40, v40;
	;;#ASMEND
	;;#ASMSTART
	v_cvt_f32_f16 v23, v23;
	;;#ASMEND
	;;#ASMSTART
	v_cvt_f32_f16 v45, v60;
	;;#ASMEND
	ds_read_b64 v[14:15], v28 offset:40
	v_fmac_f32_e32 v42, v41, v22
	v_fmac_f32_e32 v17, v44, v23
	v_fmac_f32_e32 v53, v39, v43
	v_fmac_f32_e32 v16, v40, v45
	s_waitcnt lgkmcnt(0)
	v_lshrrev_b32_e32 v22, 16, v14
	v_and_b32_e32 v14, 0xffff, v14
	v_lshrrev_b32_e32 v23, 16, v15
	v_and_b32_e32 v15, 0xffff, v15
	;;#ASMSTART
	v_cvt_f32_f16 v39, v14;
	;;#ASMEND
	;;#ASMSTART
	v_cvt_f32_f16 v22, v22;
	;;#ASMEND
	;;#ASMSTART
	v_cvt_f32_f16 v20, v20;
	;;#ASMEND
	;;#ASMSTART
	v_cvt_f32_f16 v40, v61;
	;;#ASMEND
	;;#ASMSTART
	v_cvt_f32_f16 v41, v15;
	;;#ASMEND
	;;#ASMSTART
	v_cvt_f32_f16 v23, v23;
	;;#ASMEND
	;;#ASMSTART
	v_cvt_f32_f16 v21, v21;
	;;#ASMEND
	;;#ASMSTART
	v_cvt_f32_f16 v43, v62;
	;;#ASMEND
	ds_read_b64 v[14:15], v28 offset:48
	v_fmac_f32_e32 v42, v39, v20
	v_fmac_f32_e32 v17, v41, v21
	v_fmac_f32_e32 v53, v22, v40
	v_fmac_f32_e32 v16, v23, v43
	s_waitcnt lgkmcnt(0)
	v_lshrrev_b32_e32 v20, 16, v14
	v_and_b32_e32 v14, 0xffff, v14
	v_lshrrev_b32_e32 v21, 16, v15
	v_and_b32_e32 v15, 0xffff, v15
	;;#ASMSTART
	v_cvt_f32_f16 v22, v14;
	;;#ASMEND
	;;#ASMSTART
	v_cvt_f32_f16 v20, v20;
	;;#ASMEND
	;;#ASMSTART
	v_cvt_f32_f16 v18, v18;
	;;#ASMEND
	;;#ASMSTART
	v_cvt_f32_f16 v23, v63;
	;;#ASMEND
	;;#ASMSTART
	v_cvt_f32_f16 v39, v15;
	;;#ASMEND
	;;#ASMSTART
	v_cvt_f32_f16 v21, v21;
	;;#ASMEND
	;;#ASMSTART
	v_cvt_f32_f16 v19, v19;
	;;#ASMEND
	;;#ASMSTART
	v_cvt_f32_f16 v40, v64;
	;;#ASMEND
	ds_read_b64 v[14:15], v28 offset:56
	v_fmac_f32_e32 v42, v22, v18
	v_fmac_f32_e32 v17, v39, v19
	v_fmac_f32_e32 v53, v20, v23
	v_fmac_f32_e32 v16, v21, v40
	s_waitcnt lgkmcnt(0)
	v_lshrrev_b32_e32 v18, 16, v14
	v_and_b32_e32 v14, 0xffff, v14
	v_lshrrev_b32_e32 v19, 16, v15
	v_and_b32_e32 v15, 0xffff, v15
	;;#ASMSTART
	v_cvt_f32_f16 v20, v14;
	;;#ASMEND
	;;#ASMSTART
	v_cvt_f32_f16 v18, v18;
	;;#ASMEND
	;;#ASMSTART
	v_cvt_f32_f16 v21, v66;
	;;#ASMEND
	;;#ASMSTART
	v_cvt_f32_f16 v22, v65;
	;;#ASMEND
	;;#ASMSTART
	v_cvt_f32_f16 v23, v15;
	;;#ASMEND
	;;#ASMSTART
	v_cvt_f32_f16 v19, v19;
	;;#ASMEND
	;;#ASMSTART
	v_cvt_f32_f16 v39, v68;
	;;#ASMEND
	;;#ASMSTART
	v_cvt_f32_f16 v40, v67;
	;;#ASMEND
	ds_read_b64 v[14:15], v28 offset:64
	v_fmac_f32_e32 v53, v18, v22
	v_fmac_f32_e32 v16, v19, v40
	v_fmac_f32_e32 v42, v20, v21
	v_fmac_f32_e32 v17, v23, v39
	s_waitcnt lgkmcnt(0)
	v_lshrrev_b32_e32 v18, 16, v14
	v_and_b32_e32 v14, 0xffff, v14
	v_lshrrev_b32_e32 v19, 16, v15
	v_and_b32_e32 v15, 0xffff, v15
	;;#ASMSTART
	v_cvt_f32_f16 v20, v14;
	;;#ASMEND
	;;#ASMSTART
	v_cvt_f32_f16 v18, v18;
	;;#ASMEND
	;;#ASMSTART
	v_cvt_f32_f16 v21, v70;
	;;#ASMEND
	;;#ASMSTART
	v_cvt_f32_f16 v22, v69;
	;;#ASMEND
	;;#ASMSTART
	v_cvt_f32_f16 v23, v15;
	;;#ASMEND
	;;#ASMSTART
	v_cvt_f32_f16 v19, v19;
	;;#ASMEND
	;;#ASMSTART
	v_cvt_f32_f16 v39, v72;
	;;#ASMEND
	;;#ASMSTART
	v_cvt_f32_f16 v40, v71;
	;;#ASMEND
	ds_read_b64 v[14:15], v28 offset:72
	s_waitcnt vmcnt(2)
	v_lshrrev_b32_e32 v73, 16, v10
	v_and_b32_e32 v10, 0xffff, v10
	v_fmac_f32_e32 v53, v18, v22
	v_fmac_f32_e32 v16, v19, v40
	s_waitcnt lgkmcnt(0)
	v_lshrrev_b32_e32 v18, 16, v14
	v_and_b32_e32 v14, 0xffff, v14
	;;#ASMSTART
	v_cvt_f32_f16 v14, v14;
	;;#ASMEND
	;;#ASMSTART
	v_cvt_f32_f16 v18, v18;
	;;#ASMEND
	;; [unrolled: 3-line block ×3, first 2 shown]
	v_lshrrev_b32_e32 v10, 16, v15
	v_and_b32_e32 v15, 0xffff, v15
	v_fmac_f32_e32 v42, v20, v21
	;;#ASMSTART
	v_cvt_f32_f16 v20, v73;
	;;#ASMEND
	;;#ASMSTART
	v_cvt_f32_f16 v15, v15;
	;;#ASMEND
	;; [unrolled: 3-line block ×3, first 2 shown]
	v_lshrrev_b32_e32 v10, 16, v11
	v_and_b32_e32 v11, 0xffff, v11
	v_fmac_f32_e32 v17, v23, v39
	;;#ASMSTART
	v_cvt_f32_f16 v22, v11;
	;;#ASMEND
	;;#ASMSTART
	v_cvt_f32_f16 v23, v10;
	;;#ASMEND
	ds_read_b64 v[10:11], v28 offset:80
	v_fmac_f32_e32 v42, v14, v19
	v_fmac_f32_e32 v17, v15, v22
	s_waitcnt vmcnt(1)
	v_lshrrev_b32_e32 v15, 16, v8
	v_and_b32_e32 v8, 0xffff, v8
	s_waitcnt lgkmcnt(0)
	v_lshrrev_b32_e32 v14, 16, v10
	v_and_b32_e32 v10, 0xffff, v10
	v_fmac_f32_e32 v53, v18, v20
	;;#ASMSTART
	v_cvt_f32_f16 v10, v10;
	;;#ASMEND
	;;#ASMSTART
	v_cvt_f32_f16 v14, v14;
	;;#ASMEND
	;; [unrolled: 3-line block ×3, first 2 shown]
	v_lshrrev_b32_e32 v8, 16, v11
	v_and_b32_e32 v11, 0xffff, v11
	;;#ASMSTART
	v_cvt_f32_f16 v15, v15;
	;;#ASMEND
	;;#ASMSTART
	v_cvt_f32_f16 v11, v11;
	;;#ASMEND
	;; [unrolled: 3-line block ×3, first 2 shown]
	v_lshrrev_b32_e32 v8, 16, v9
	v_and_b32_e32 v9, 0xffff, v9
	v_fmac_f32_e32 v16, v21, v23
	;;#ASMSTART
	v_cvt_f32_f16 v20, v9;
	;;#ASMEND
	;;#ASMSTART
	v_cvt_f32_f16 v21, v8;
	;;#ASMEND
	ds_read_b64 v[8:9], v28 offset:88
	v_fmac_f32_e32 v42, v10, v18
	v_fmac_f32_e32 v17, v11, v20
	s_waitcnt vmcnt(0)
	v_lshrrev_b32_e32 v11, 16, v6
	v_and_b32_e32 v6, 0xffff, v6
	s_waitcnt lgkmcnt(0)
	v_lshrrev_b32_e32 v10, 16, v8
	v_and_b32_e32 v8, 0xffff, v8
	;;#ASMSTART
	v_cvt_f32_f16 v8, v8;
	;;#ASMEND
	;;#ASMSTART
	v_cvt_f32_f16 v10, v10;
	;;#ASMEND
	;; [unrolled: 3-line block ×3, first 2 shown]
	v_fmac_f32_e32 v53, v14, v15
	v_fmac_f32_e32 v42, v8, v6
	v_lshrrev_b32_e32 v6, 16, v9
	v_and_b32_e32 v8, 0xffff, v9
	v_fmac_f32_e32 v16, v19, v21
	;;#ASMSTART
	v_cvt_f32_f16 v11, v11;
	;;#ASMEND
	;;#ASMSTART
	v_cvt_f32_f16 v8, v8;
	;;#ASMEND
	;; [unrolled: 3-line block ×3, first 2 shown]
	v_lshrrev_b32_e32 v9, 16, v7
	v_fmac_f32_e32 v53, v10, v11
	v_and_b32_e32 v7, 0xffff, v7
	;;#ASMSTART
	v_cvt_f32_f16 v7, v7;
	;;#ASMEND
	;;#ASMSTART
	v_cvt_f32_f16 v9, v9;
	;;#ASMEND
	s_nop 0
	v_fmac_f32_e32 v17, v8, v7
	v_fmac_f32_e32 v16, v6, v9
	v_add_f32_e32 v6, v42, v53
	v_add_f32_e32 v6, v6, v17
	v_cndmask_b32_e32 v7, v35, v36, vcc
	v_add_f32_e32 v6, v16, v6
	v_lshlrev_b32_e32 v7, 2, v7
	ds_bpermute_b32 v7, v7, v6
	s_and_saveexec_b64 s[44:45], s[6:7]
	s_cbranch_execz .LBB111_12
; %bb.18:                               ;   in Loop: Header=BB111_14 Depth=1
	v_add_u32_e32 v8, v33, v31
	v_cvt_f32_i32_e32 v8, v8
	s_waitcnt lgkmcnt(0)
	v_add_f32_e32 v6, v6, v7
	v_add_u32_e32 v9, v27, v31
	v_cmp_gt_i32_e32 vcc, s29, v9
	v_mul_f32_e32 v7, s3, v8
	v_cndmask_b32_e64 v7, 0, v7, s[8:9]
	v_fmac_f32_e32 v7, s39, v6
	v_cndmask_b32_e32 v6, 0, v7, vcc
	ds_write_b32 v32, v6
	v_max_f32_e32 v6, v29, v29
	v_max_f32_e32 v6, v6, v7
	v_cndmask_b32_e32 v29, v29, v6, vcc
	s_branch .LBB111_12
.LBB111_19:
	s_or_b64 exec, exec, s[42:43]
.LBB111_20:
	s_or_b64 exec, exec, s[40:41]
	v_mbcnt_hi_u32_b32 v4, -1, v26
	v_and_b32_e32 v2, 64, v4
	v_add_u32_e32 v9, 64, v2
	v_xor_b32_e32 v2, 32, v4
	v_cmp_lt_i32_e32 vcc, v2, v9
	v_xor_b32_e32 v6, 16, v4
	v_max_f32_e32 v5, v29, v29
	v_cndmask_b32_e32 v2, v4, v2, vcc
	v_lshlrev_b32_e32 v2, 2, v2
	ds_bpermute_b32 v3, v2, v29
	v_cmp_lt_i32_e32 vcc, v6, v9
	s_waitcnt lgkmcnt(1)
	v_xor_b32_e32 v7, 8, v4
	v_xor_b32_e32 v8, 4, v4
	;; [unrolled: 1-line block ×3, first 2 shown]
	s_waitcnt lgkmcnt(0)
	v_max_f32_e32 v3, v3, v3
	v_max_f32_e32 v5, v5, v3
	v_cndmask_b32_e32 v3, v4, v6, vcc
	v_lshlrev_b32_e32 v3, 2, v3
	ds_bpermute_b32 v6, v3, v5
	v_cmp_lt_i32_e32 vcc, v7, v9
	v_and_b32_e32 v26, 63, v0
	s_waitcnt lgkmcnt(0)
	v_max_f32_e32 v6, v6, v6
	v_max_f32_e32 v6, v5, v6
	v_cndmask_b32_e32 v5, v4, v7, vcc
	v_lshlrev_b32_e32 v5, 2, v5
	ds_bpermute_b32 v7, v5, v6
	v_cmp_lt_i32_e32 vcc, v8, v9
	s_waitcnt lgkmcnt(0)
	v_max_f32_e32 v7, v7, v7
	v_max_f32_e32 v7, v6, v7
	v_cndmask_b32_e32 v6, v4, v8, vcc
	v_lshlrev_b32_e32 v6, 2, v6
	ds_bpermute_b32 v8, v6, v7
	v_cmp_lt_i32_e32 vcc, v10, v9
	s_waitcnt lgkmcnt(0)
	v_max_f32_e32 v8, v8, v8
	v_max_f32_e32 v8, v7, v8
	v_cndmask_b32_e32 v7, v4, v10, vcc
	v_lshlrev_b32_e32 v27, 2, v7
	ds_bpermute_b32 v10, v27, v8
	v_cmp_eq_u32_e32 vcc, 0, v26
	v_lshlrev_b32_e32 v7, 2, v25
	s_and_saveexec_b64 s[0:1], vcc
	s_cbranch_execz .LBB111_22
; %bb.21:
	s_waitcnt lgkmcnt(0)
	v_max_f32_e32 v10, v10, v10
	v_max_f32_e32 v8, v8, v8
	;; [unrolled: 1-line block ×3, first 2 shown]
	ds_write_b32 v7, v8 offset:192
.LBB111_22:
	s_or_b64 exec, exec, s[0:1]
	v_cmp_gt_u32_e64 s[0:1], 2, v26
	s_waitcnt lgkmcnt(0)
	v_mov_b32_e32 v10, 0xff7fffff
	v_lshlrev_b32_e32 v8, 2, v26
	s_barrier
	s_and_saveexec_b64 s[6:7], s[0:1]
	s_cbranch_execz .LBB111_24
; %bb.23:
	ds_read_b32 v10, v8 offset:192
.LBB111_24:
	s_or_b64 exec, exec, s[6:7]
	v_xor_b32_e32 v11, 1, v4
	v_cmp_lt_i32_e64 s[6:7], v11, v9
	s_sub_i32 s3, s48, s38
	s_lshl_b32 s3, s3, 5
	v_cndmask_b32_e64 v9, v4, v11, s[6:7]
	v_lshlrev_b32_e32 v28, 2, v9
	s_waitcnt lgkmcnt(0)
	ds_bpermute_b32 v9, v28, v10
	v_max_f32_e32 v10, v10, v10
	v_lshlrev_b32_e32 v4, 2, v4
	s_add_i32 s3, s3, s49
	s_min_i32 s15, s3, s29
	s_waitcnt lgkmcnt(0)
	v_max_f32_e32 v9, v9, v9
	v_max_f32_e32 v10, v10, v9
	v_and_b32_e32 v9, 0x100, v4
	ds_bpermute_b32 v4, v9, v10
	s_sub_i32 s3, s15, s49
	v_cmp_gt_i32_e64 s[6:7], s3, v0
	v_mov_b32_e32 v10, 0
	s_and_saveexec_b64 s[38:39], s[6:7]
	s_cbranch_execz .LBB111_28
; %bb.25:
	v_mov_b32_e32 v10, 0xd0
	v_lshl_add_u32 v11, v0, 2, v10
	s_mov_b64 s[40:41], 0
	v_mov_b32_e32 v10, 0
	v_mov_b32_e32 v14, v0
.LBB111_26:                             ; =>This Inner Loop Header: Depth=1
	ds_read_b32 v15, v11
	v_add_u32_e32 v14, 0x80, v14
	v_cmp_le_i32_e64 s[8:9], s3, v14
	s_or_b64 s[40:41], s[8:9], s[40:41]
	s_waitcnt lgkmcnt(0)
	v_sub_f32_e32 v15, v15, v4
	v_mul_f32_e32 v15, 0x3fb8aa3b, v15
	v_exp_f32_e32 v15, v15
	ds_write_b32 v11, v15
	v_add_f32_e32 v10, v10, v15
	v_add_u32_e32 v11, 0x200, v11
	s_andn2_b64 exec, exec, s[40:41]
	s_cbranch_execnz .LBB111_26
; %bb.27:
	s_or_b64 exec, exec, s[40:41]
.LBB111_28:
	s_or_b64 exec, exec, s[38:39]
	ds_bpermute_b32 v2, v2, v10
	s_waitcnt lgkmcnt(0)
	v_add_f32_e32 v2, v10, v2
	ds_bpermute_b32 v3, v3, v2
	s_waitcnt lgkmcnt(0)
	v_add_f32_e32 v2, v2, v3
	;; [unrolled: 3-line block ×6, first 2 shown]
	s_and_saveexec_b64 s[8:9], vcc
	s_cbranch_execz .LBB111_30
; %bb.29:
	ds_write_b32 v7, v2 offset:200
.LBB111_30:
	s_or_b64 exec, exec, s[8:9]
	s_waitcnt lgkmcnt(0)
	s_barrier
	s_and_saveexec_b64 s[8:9], s[0:1]
	s_cbranch_execz .LBB111_32
; %bb.31:
	ds_read_b32 v2, v8 offset:200
.LBB111_32:
	s_or_b64 exec, exec, s[8:9]
	s_waitcnt lgkmcnt(0)
	ds_bpermute_b32 v3, v28, v2
	s_waitcnt lgkmcnt(0)
	v_add_f32_e32 v2, v2, v3
	ds_bpermute_b32 v5, v9, v2
	s_and_saveexec_b64 s[0:1], s[6:7]
	s_cbranch_execz .LBB111_45
; %bb.33:
	s_waitcnt lgkmcnt(0)
	v_add_f32_e32 v2, 0x358637bd, v5
	v_div_scale_f32 v3, s[6:7], v2, v2, 1.0
	v_rcp_f32_e32 v6, v3
	v_div_scale_f32 v7, vcc, 1.0, v2, 1.0
	s_movk_i32 s6, 0x7f
	v_fma_f32 v8, -v3, v6, 1.0
	v_fmac_f32_e32 v6, v8, v6
	v_mul_f32_e32 v8, v7, v6
	v_fma_f32 v9, -v3, v8, v7
	v_fmac_f32_e32 v8, v9, v6
	v_fma_f32 v3, -v3, v8, v7
	v_div_fmas_f32 v3, v3, v6, v8
	v_div_fixup_f32 v2, v3, v2, 1.0
	v_xad_u32 v3, v0, -1, s15
	v_subrev_u32_e32 v6, s49, v3
	v_cmp_lt_u32_e32 vcc, s6, v6
	s_mov_b64 s[8:9], -1
	v_mov_b32_e32 v3, v0
	s_and_saveexec_b64 s[6:7], vcc
	s_cbranch_execz .LBB111_42
; %bb.34:
	v_lshrrev_b32_e32 v6, 7, v6
	v_add_u32_e32 v8, -1, v6
	v_lshrrev_b32_e32 v7, 1, v8
	v_mov_b32_e32 v3, v2
	v_add_u32_e32 v7, 1, v7
	v_cmp_lt_u32_e32 vcc, 13, v8
	v_mov_b32_e32 v10, 0
	s_and_saveexec_b64 s[8:9], vcc
	s_cbranch_execz .LBB111_38
; %bb.35:
	v_mov_b32_e32 v9, 0xd0
	v_and_b32_e32 v8, -8, v7
	v_lshl_add_u32 v9, v0, 2, v9
	s_mov_b32 s15, 0
	s_mov_b64 s[38:39], 0
.LBB111_36:                             ; =>This Inner Loop Header: Depth=1
	ds_read2st64_b32 v[10:11], v9 offset1:2
	ds_read2st64_b32 v[14:15], v9 offset0:4 offset1:6
	ds_read2st64_b32 v[16:17], v9 offset0:8 offset1:10
	;; [unrolled: 1-line block ×3, first 2 shown]
	v_add_u32_e32 v8, -8, v8
	s_waitcnt lgkmcnt(3)
	v_pk_mul_f32 v[10:11], v[2:3], v[10:11]
	s_waitcnt lgkmcnt(2)
	v_pk_mul_f32 v[14:15], v[2:3], v[14:15]
	ds_write2st64_b32 v9, v10, v11 offset1:2
	ds_write2st64_b32 v9, v14, v15 offset0:4 offset1:6
	ds_read2st64_b32 v[14:15], v9 offset0:16 offset1:18
	s_waitcnt lgkmcnt(4)
	v_pk_mul_f32 v[10:11], v[2:3], v[16:17]
	ds_write2st64_b32 v9, v10, v11 offset0:8 offset1:10
	s_waitcnt lgkmcnt(4)
	v_pk_mul_f32 v[10:11], v[2:3], v[18:19]
	ds_write2st64_b32 v9, v10, v11 offset0:12 offset1:14
	ds_read2st64_b32 v[10:11], v9 offset0:20 offset1:22
	s_waitcnt lgkmcnt(3)
	v_pk_mul_f32 v[14:15], v[2:3], v[14:15]
	ds_read2st64_b32 v[16:17], v9 offset0:24 offset1:26
	ds_write2st64_b32 v9, v14, v15 offset0:16 offset1:18
	ds_read2st64_b32 v[14:15], v9 offset0:28 offset1:30
	s_waitcnt lgkmcnt(3)
	v_pk_mul_f32 v[10:11], v[2:3], v[10:11]
	ds_write2st64_b32 v9, v10, v11 offset0:20 offset1:22
	s_waitcnt lgkmcnt(3)
	v_pk_mul_f32 v[10:11], v[2:3], v[16:17]
	ds_write2st64_b32 v9, v10, v11 offset0:24 offset1:26
	s_waitcnt lgkmcnt(2)
	v_pk_mul_f32 v[10:11], v[2:3], v[14:15]
	s_add_i32 s15, s15, 16
	v_cmp_eq_u32_e32 vcc, 0, v8
	ds_write2st64_b32 v9, v10, v11 offset0:28 offset1:30
	v_add_u32_e32 v9, 0x2000, v9
	s_or_b64 s[38:39], vcc, s[38:39]
	v_mov_b32_e32 v10, s15
	s_andn2_b64 exec, exec, s[38:39]
	s_cbranch_execnz .LBB111_36
; %bb.37:
	s_or_b64 exec, exec, s[38:39]
.LBB111_38:
	s_or_b64 exec, exec, s[8:9]
	v_and_b32_e32 v7, 7, v7
	v_cmp_ne_u32_e32 vcc, 0, v7
	s_and_saveexec_b64 s[8:9], vcc
	s_cbranch_execz .LBB111_41
; %bb.39:
	v_lshlrev_b32_e32 v8, 9, v10
	v_lshlrev_b32_e32 v9, 2, v0
	s_movk_i32 s15, 0xd0
	v_add3_u32 v8, v8, v9, s15
	s_mov_b64 s[38:39], 0
.LBB111_40:                             ; =>This Inner Loop Header: Depth=1
	ds_read2st64_b32 v[10:11], v8 offset1:2
	v_add_u32_e32 v7, -1, v7
	v_cmp_eq_u32_e32 vcc, 0, v7
	s_or_b64 s[38:39], vcc, s[38:39]
	s_waitcnt lgkmcnt(0)
	v_pk_mul_f32 v[10:11], v[2:3], v[10:11]
	ds_write2st64_b32 v8, v10, v11 offset1:2
	v_add_u32_e32 v8, 0x400, v8
	s_andn2_b64 exec, exec, s[38:39]
	s_cbranch_execnz .LBB111_40
.LBB111_41:
	s_or_b64 exec, exec, s[8:9]
	v_add_u32_e32 v6, 1, v6
	v_and_b32_e32 v7, 0x3fffffe, v6
	v_cmp_ne_u32_e32 vcc, v6, v7
	v_lshl_add_u32 v3, v7, 7, v0
	s_orn2_b64 s[8:9], vcc, exec
.LBB111_42:
	s_or_b64 exec, exec, s[6:7]
	s_and_b64 exec, exec, s[8:9]
	s_cbranch_execz .LBB111_45
; %bb.43:
	v_mov_b32_e32 v6, 0xd0
	v_lshl_add_u32 v6, v3, 2, v6
	s_mov_b64 s[6:7], 0
.LBB111_44:                             ; =>This Inner Loop Header: Depth=1
	ds_read_b32 v7, v6
	v_add_u32_e32 v3, 0x80, v3
	v_cmp_le_i32_e32 vcc, s3, v3
	s_or_b64 s[6:7], vcc, s[6:7]
	s_waitcnt lgkmcnt(0)
	v_mul_f32_e32 v7, v2, v7
	ds_write_b32 v6, v7
	v_add_u32_e32 v6, 0x200, v6
	s_andn2_b64 exec, exec, s[6:7]
	s_cbranch_execnz .LBB111_44
.LBB111_45:
	s_or_b64 exec, exec, s[0:1]
	s_mul_i32 s0, s19, s28
	v_cmp_eq_u32_e32 vcc, 0, v0
	s_mul_i32 s6, s0, s5
	s_waitcnt lgkmcnt(0)
	s_barrier
	s_and_saveexec_b64 s[0:1], vcc
	s_cbranch_execz .LBB111_47
; %bb.46:
	s_ashr_i32 s7, s6, 31
	s_lshl_b64 s[8:9], s[6:7], 2
	s_add_u32 s5, s22, s8
	s_mul_i32 s2, s19, s2
	s_addc_u32 s7, s23, s9
	s_ashr_i32 s3, s2, 31
	s_lshl_b64 s[2:3], s[2:3], 2
	s_add_u32 s15, s5, s2
	s_addc_u32 s7, s7, s3
	s_ashr_i32 s5, s4, 31
	s_lshl_b64 s[22:23], s[4:5], 2
	s_add_u32 s38, s15, s22
	s_addc_u32 s39, s7, s23
	s_add_u32 s5, s20, s8
	s_addc_u32 s7, s21, s9
	s_add_u32 s2, s5, s2
	s_addc_u32 s3, s7, s3
	s_add_u32 s2, s2, s22
	v_mov_b32_e32 v2, 0
	s_addc_u32 s3, s3, s23
	global_store_dword v2, v4, s[38:39]
	global_store_dword v2, v5, s[2:3]
.LBB111_47:
	s_or_b64 exec, exec, s[0:1]
	s_mov_b32 s8, 0
	v_mov_b32_e32 v7, 0
	v_and_b32_e32 v29, 3, v0
	v_mov_b32_e32 v6, 0
	v_mov_b32_e32 v5, 0
	;; [unrolled: 1-line block ×5, first 2 shown]
	s_and_saveexec_b64 s[2:3], s[10:11]
	s_cbranch_execz .LBB111_65
; %bb.48:
	s_ashr_i32 s15, s14, 31
	s_sub_i32 s5, s16, s17
	s_lshl_b64 s[0:1], s[14:15], 1
	s_add_u32 s14, s36, s0
	s_addc_u32 s15, s37, s1
	s_abs_i32 s18, s18
	v_cvt_f32_u32_e32 v2, s18
	s_sub_i32 s0, 0, s18
	s_add_i32 s20, s12, -1
	v_and_b32_e32 v8, 0x1f8, v24
	v_rcp_iflag_f32_e32 v2, v2
	s_mov_b32 s9, s8
	s_mov_b32 s7, s13
	v_or_b32_e32 v10, 0x800, v8
	v_mul_f32_e32 v2, 0x4f7ffffe, v2
	v_cvt_u32_f32_e32 v2, v2
	v_or_b32_e32 v20, 0xa00, v8
	s_mov_b32 s10, s8
	s_mov_b32 s11, s8
	v_mul_lo_u32 v3, s0, v2
	v_mul_hi_u32 v3, v2, v3
	s_lshl_b64 s[0:1], s[34:35], 2
	v_add_u32_e32 v31, v2, v3
	s_add_u32 s0, s30, s0
	v_lshlrev_b32_e32 v2, 5, v29
	s_addc_u32 s1, s31, s1
	v_lshl_or_b32 v2, v25, 7, v2
	v_lshl_add_u64 v[16:17], v[12:13], 2, s[0:1]
	v_add_u32_e32 v13, 0xd0, v2
	s_mov_b32 s12, s8
	s_mov_b32 s13, s8
	v_mov_b64_e32 v[2:3], s[8:9]
	v_and_b32_e32 v30, 24, v24
	v_mov_b32_e32 v15, 0
	s_mov_b32 s21, s29
	s_mov_b32 s22, s29
	;; [unrolled: 1-line block ×7, first 2 shown]
	s_mov_b64 s[16:17], 0
	v_mov_b64_e32 v[4:5], s[10:11]
	v_mov_b64_e32 v[6:7], s[12:13]
	v_lshlrev_b32_e32 v18, 1, v8
	s_mov_b32 s12, 0x5040100
	v_lshlrev_b32_e32 v14, 1, v10
	v_lshlrev_b32_e32 v20, 1, v20
	s_branch .LBB111_51
.LBB111_49:                             ;   in Loop: Header=BB111_51 Depth=1
	s_or_b64 exec, exec, s[0:1]
	s_waitcnt vmcnt(0)
	;;#ASMSTART
	v_pk_mul_f16 v8, v42, v8;

	;;#ASMEND
	;;#ASMSTART
	v_pk_mul_f16 v9, v41, v9;

	;;#ASMEND
	;; [unrolled: 4-line block ×4, first 2 shown]
	v_add_f32_e32 v19, v43, v44
	;;#ASMSTART
	v_pk_add_f16 v8, v8, v9;

	;;#ASMEND
	v_add_f32_e32 v2, v2, v19
	;;#ASMSTART
	v_pk_add_f16 v8, v8, v10;

	;;#ASMEND
	;; [unrolled: 5-line block ×3, first 2 shown]
	v_add_f32_e32 v3, v3, v19
	v_add_f32_e32 v19, v47, v48
	v_lshrrev_b32_e32 v9, 16, v8
	v_and_b32_e32 v8, 0xffff, v8
	v_add_f32_e32 v4, v4, v19
	v_add_f32_e32 v19, v24, v25
	;;#ASMSTART
	v_cvt_f32_f16 v8, v8;
	;;#ASMEND
	v_add_f32_e32 v5, v5, v19
	v_add_f32_e32 v19, v49, v50
	;;#ASMSTART
	v_cvt_f32_f16 v9, v9;
	;;#ASMEND
	v_add_f32_e32 v6, v6, v19
	v_add_f32_e32 v8, v8, v9
	;; [unrolled: 1-line block ×3, first 2 shown]
.LBB111_50:                             ;   in Loop: Header=BB111_51 Depth=1
	s_or_b64 exec, exec, s[8:9]
	v_add_u32_e32 v12, 2, v12
	v_cmp_le_i32_e32 vcc, s48, v12
	v_lshl_add_u64 v[16:17], v[16:17], 0, 8
	v_add_u32_e32 v1, 64, v1
	s_or_b64 s[16:17], vcc, s[16:17]
	v_add_u32_e32 v13, 0x100, v13
	s_andn2_b64 exec, exec, s[16:17]
	s_cbranch_execz .LBB111_64
.LBB111_51:                             ; =>This Inner Loop Header: Depth=1
	v_sub_u32_e32 v9, 0, v1
	v_max_i32_e32 v9, v1, v9
	v_mul_hi_u32 v10, v9, s33
	v_mul_lo_u32 v11, v10, s25
	v_sub_u32_e32 v9, v9, v11
	v_add_u32_e32 v11, 1, v10
	v_cmp_le_u32_e32 vcc, s25, v9
	v_ashrrev_i32_e32 v8, 31, v1
	v_xor_b32_e32 v8, s47, v8
	v_cndmask_b32_e32 v10, v10, v11, vcc
	v_subrev_u32_e32 v11, s25, v9
	v_cndmask_b32_e32 v9, v9, v11, vcc
	v_add_u32_e32 v11, 1, v10
	v_cmp_le_u32_e32 vcc, s25, v9
	s_nop 1
	v_cndmask_b32_e32 v9, v10, v11, vcc
	v_xor_b32_e32 v9, v9, v8
	v_sub_u32_e32 v8, v9, v8
	v_add_u32_e32 v9, s46, v8
	v_sub_u32_e32 v11, 0, v9
	v_ashrrev_i32_e32 v10, 31, v9
	v_max_i32_e32 v9, v9, v11
	v_mul_hi_u32 v11, v9, v31
	v_mul_lo_u32 v11, v11, s18
	v_sub_u32_e32 v9, v9, v11
	v_subrev_u32_e32 v11, s18, v9
	v_cmp_le_u32_e32 vcc, s18, v9
	v_cmp_lt_i32_e64 s[0:1], s5, v8
	s_nop 0
	v_cndmask_b32_e32 v9, v9, v11, vcc
	v_subrev_u32_e32 v11, s18, v9
	v_cmp_le_u32_e32 vcc, s18, v9
	s_nop 1
	v_cndmask_b32_e32 v9, v9, v11, vcc
	v_xor_b32_e32 v9, v9, v10
	v_sub_u32_e32 v9, v9, v10
	v_cmp_eq_u32_e32 vcc, 0, v9
	s_or_b64 s[0:1], vcc, s[0:1]
	s_and_saveexec_b64 s[8:9], s[0:1]
	s_cbranch_execz .LBB111_50
; %bb.52:                               ;   in Loop: Header=BB111_51 Depth=1
	global_load_dword v19, v[16:17], off
	ds_read2_b64 v[8:11], v13 offset1:1
	ds_read2_b64 v[22:25], v13 offset0:2 offset1:3
	v_cmp_eq_u32_e32 vcc, s20, v12
	s_waitcnt lgkmcnt(1)
	;;#ASMSTART
	v_cvt_f16_f32 v21, v8;

	;;#ASMEND
	;;#ASMSTART
	v_cvt_f16_f32 v39, v9;

	;;#ASMEND
	;; [unrolled: 4-line block ×4, first 2 shown]
	s_waitcnt lgkmcnt(0)
	;;#ASMSTART
	v_cvt_f16_f32 v43, v22;

	;;#ASMEND
	;;#ASMSTART
	v_cvt_f16_f32 v44, v23;

	;;#ASMEND
	;; [unrolled: 4-line block ×4, first 2 shown]
	s_waitcnt vmcnt(0)
	v_mad_i64_i32 v[8:9], s[0:1], v19, s7, 0
	v_lshl_add_u64 v[22:23], v[8:9], 1, s[14:15]
	v_mov_b32_e32 v19, v15
	v_lshl_add_u64 v[24:25], v[22:23], 0, v[18:19]
	global_load_dwordx4 v[8:11], v[24:25], off
	v_add_u32_e32 v19, v30, v1
	v_add_u32_e32 v32, 1, v19
	v_or_b32_e32 v34, 3, v19
	v_or_b32_e32 v33, 2, v19
	;; [unrolled: 1-line block ×6, first 2 shown]
	s_and_saveexec_b64 s[10:11], vcc
	s_cbranch_execz .LBB111_54
; %bb.53:                               ;   in Loop: Header=BB111_51 Depth=1
	s_waitcnt vmcnt(0)
	v_lshrrev_b32_e32 v42, 16, v11
	v_cmp_gt_i32_e64 s[0:1], s38, v38
	s_nop 1
	v_cndmask_b32_e64 v42, 0, v42, s[0:1]
	v_cmp_gt_i32_e64 s[0:1], s37, v37
	s_nop 1
	v_cndmask_b32_e64 v11, 0, v11, s[0:1]
	v_perm_b32 v11, v42, v11, s12
	v_lshrrev_b32_e32 v42, 16, v10
	v_cmp_gt_i32_e64 s[0:1], s36, v36
	s_nop 1
	v_cndmask_b32_e64 v42, 0, v42, s[0:1]
	v_cmp_gt_i32_e64 s[0:1], s28, v35
	s_nop 1
	v_cndmask_b32_e64 v10, 0, v10, s[0:1]
	v_perm_b32 v10, v42, v10, s12
	v_lshrrev_b32_e32 v42, 16, v9
	v_cmp_gt_i32_e64 s[0:1], s23, v34
	s_nop 1
	v_cndmask_b32_e64 v42, 0, v42, s[0:1]
	v_cmp_gt_i32_e64 s[0:1], s22, v33
	s_nop 1
	v_cndmask_b32_e64 v9, 0, v9, s[0:1]
	v_perm_b32 v9, v42, v9, s12
	v_lshrrev_b32_e32 v42, 16, v8
	v_cmp_gt_i32_e64 s[0:1], s21, v32
	s_nop 1
	v_cndmask_b32_e64 v42, 0, v42, s[0:1]
	v_cmp_gt_i32_e64 s[0:1], s29, v19
	s_nop 1
	v_cndmask_b32_e64 v8, 0, v8, s[0:1]
	v_perm_b32 v8, v42, v8, s12
.LBB111_54:                             ;   in Loop: Header=BB111_51 Depth=1
	s_or_b64 exec, exec, s[10:11]
	v_and_b32_e32 v21, 0xffff, v21
	v_lshl_or_b32 v42, v39, 16, v21
	v_and_b32_e32 v21, 0xffff, v40
	v_lshl_or_b32 v41, v41, 16, v21
	;; [unrolled: 2-line block ×3, first 2 shown]
	v_and_b32_e32 v21, 0xffff, v45
	s_waitcnt vmcnt(0)
	;;#ASMSTART
	v_pk_mul_f16 v8, v42, v8;

	;;#ASMEND
	v_lshl_or_b32 v39, v46, 16, v21
	;;#ASMSTART
	v_pk_mul_f16 v9, v41, v9;

	;;#ASMEND
	;;#ASMSTART
	v_pk_mul_f16 v10, v40, v10;

	;;#ASMEND
	;; [unrolled: 4-line block ×3, first 2 shown]
	s_nop 0
	;;#ASMSTART
	v_pk_add_f16 v8, v8, v9;

	;;#ASMEND
	s_nop 0
	;;#ASMSTART
	v_pk_add_f16 v8, v8, v10;

	;;#ASMEND
	;; [unrolled: 5-line block ×3, first 2 shown]
	s_nop 0
	v_lshrrev_b32_e32 v9, 16, v8
	v_and_b32_e32 v8, 0xffff, v8
	;;#ASMSTART
	v_cvt_f32_f16 v43, v8;
	;;#ASMEND
	;;#ASMSTART
	v_cvt_f32_f16 v44, v9;
	;;#ASMEND
	global_load_dwordx4 v[8:11], v[24:25], off offset:1024
	s_and_saveexec_b64 s[10:11], vcc
	s_cbranch_execz .LBB111_56
; %bb.55:                               ;   in Loop: Header=BB111_51 Depth=1
	s_waitcnt vmcnt(0)
	v_lshrrev_b32_e32 v21, 16, v11
	v_cmp_gt_i32_e64 s[0:1], s38, v38
	s_nop 1
	v_cndmask_b32_e64 v21, 0, v21, s[0:1]
	v_cmp_gt_i32_e64 s[0:1], s37, v37
	s_nop 1
	v_cndmask_b32_e64 v11, 0, v11, s[0:1]
	v_perm_b32 v11, v21, v11, s12
	v_lshrrev_b32_e32 v21, 16, v10
	v_cmp_gt_i32_e64 s[0:1], s36, v36
	s_nop 1
	v_cndmask_b32_e64 v21, 0, v21, s[0:1]
	v_cmp_gt_i32_e64 s[0:1], s28, v35
	s_nop 1
	v_cndmask_b32_e64 v10, 0, v10, s[0:1]
	v_perm_b32 v10, v21, v10, s12
	;; [unrolled: 8-line block ×4, first 2 shown]
.LBB111_56:                             ;   in Loop: Header=BB111_51 Depth=1
	s_or_b64 exec, exec, s[10:11]
	s_waitcnt vmcnt(0)
	;;#ASMSTART
	v_pk_mul_f16 v8, v42, v8;

	;;#ASMEND
	;;#ASMSTART
	v_pk_mul_f16 v9, v41, v9;

	;;#ASMEND
	;; [unrolled: 4-line block ×4, first 2 shown]
	s_nop 0
	;;#ASMSTART
	v_pk_add_f16 v8, v8, v9;

	;;#ASMEND
	s_nop 0
	;;#ASMSTART
	v_pk_add_f16 v8, v8, v10;

	;;#ASMEND
	;; [unrolled: 5-line block ×3, first 2 shown]
	s_nop 0
	v_lshrrev_b32_e32 v9, 16, v8
	v_and_b32_e32 v8, 0xffff, v8
	;;#ASMSTART
	v_cvt_f32_f16 v45, v8;
	;;#ASMEND
	;;#ASMSTART
	v_cvt_f32_f16 v46, v9;
	;;#ASMEND
	global_load_dwordx4 v[8:11], v[24:25], off offset:2048
	s_and_saveexec_b64 s[10:11], vcc
	s_cbranch_execz .LBB111_58
; %bb.57:                               ;   in Loop: Header=BB111_51 Depth=1
	s_waitcnt vmcnt(0)
	v_lshrrev_b32_e32 v21, 16, v11
	v_cmp_gt_i32_e64 s[0:1], s38, v38
	s_nop 1
	v_cndmask_b32_e64 v21, 0, v21, s[0:1]
	v_cmp_gt_i32_e64 s[0:1], s37, v37
	s_nop 1
	v_cndmask_b32_e64 v11, 0, v11, s[0:1]
	v_perm_b32 v11, v21, v11, s12
	v_lshrrev_b32_e32 v21, 16, v10
	v_cmp_gt_i32_e64 s[0:1], s36, v36
	s_nop 1
	v_cndmask_b32_e64 v21, 0, v21, s[0:1]
	v_cmp_gt_i32_e64 s[0:1], s28, v35
	s_nop 1
	v_cndmask_b32_e64 v10, 0, v10, s[0:1]
	v_perm_b32 v10, v21, v10, s12
	;; [unrolled: 8-line block ×4, first 2 shown]
.LBB111_58:                             ;   in Loop: Header=BB111_51 Depth=1
	s_or_b64 exec, exec, s[10:11]
	s_waitcnt vmcnt(0)
	;;#ASMSTART
	v_pk_mul_f16 v8, v42, v8;

	;;#ASMEND
	;;#ASMSTART
	v_pk_mul_f16 v9, v41, v9;

	;;#ASMEND
	;; [unrolled: 4-line block ×4, first 2 shown]
	s_nop 0
	;;#ASMSTART
	v_pk_add_f16 v8, v8, v9;

	;;#ASMEND
	s_nop 0
	;;#ASMSTART
	v_pk_add_f16 v8, v8, v10;

	;;#ASMEND
	;; [unrolled: 5-line block ×3, first 2 shown]
	s_nop 0
	v_lshrrev_b32_e32 v9, 16, v8
	v_and_b32_e32 v8, 0xffff, v8
	;;#ASMSTART
	v_cvt_f32_f16 v47, v8;
	;;#ASMEND
	;;#ASMSTART
	v_cvt_f32_f16 v48, v9;
	;;#ASMEND
	global_load_dwordx4 v[8:11], v[24:25], off offset:3072
	s_and_saveexec_b64 s[10:11], vcc
	s_cbranch_execz .LBB111_60
; %bb.59:                               ;   in Loop: Header=BB111_51 Depth=1
	s_waitcnt vmcnt(0)
	v_lshrrev_b32_e32 v21, 16, v11
	v_cmp_gt_i32_e64 s[0:1], s38, v38
	s_nop 1
	v_cndmask_b32_e64 v21, 0, v21, s[0:1]
	v_cmp_gt_i32_e64 s[0:1], s37, v37
	s_nop 1
	v_cndmask_b32_e64 v11, 0, v11, s[0:1]
	v_perm_b32 v11, v21, v11, s12
	v_lshrrev_b32_e32 v21, 16, v10
	v_cmp_gt_i32_e64 s[0:1], s36, v36
	s_nop 1
	v_cndmask_b32_e64 v21, 0, v21, s[0:1]
	v_cmp_gt_i32_e64 s[0:1], s28, v35
	s_nop 1
	v_cndmask_b32_e64 v10, 0, v10, s[0:1]
	v_perm_b32 v10, v21, v10, s12
	;; [unrolled: 8-line block ×4, first 2 shown]
.LBB111_60:                             ;   in Loop: Header=BB111_51 Depth=1
	s_or_b64 exec, exec, s[10:11]
	s_waitcnt vmcnt(0)
	;;#ASMSTART
	v_pk_mul_f16 v8, v42, v8;

	;;#ASMEND
	;;#ASMSTART
	v_pk_mul_f16 v9, v41, v9;

	;;#ASMEND
	;; [unrolled: 4-line block ×4, first 2 shown]
	s_nop 0
	;;#ASMSTART
	v_pk_add_f16 v8, v8, v9;

	;;#ASMEND
	s_nop 0
	;;#ASMSTART
	v_pk_add_f16 v8, v8, v10;

	;;#ASMEND
	s_nop 0
	;;#ASMSTART
	v_pk_add_f16 v8, v8, v11;

	;;#ASMEND
	s_nop 0
	v_lshrrev_b32_e32 v9, 16, v8
	v_and_b32_e32 v8, 0xffff, v8
	;;#ASMSTART
	v_cvt_f32_f16 v24, v8;
	;;#ASMEND
	;;#ASMSTART
	v_cvt_f32_f16 v25, v9;
	;;#ASMEND
	v_lshl_add_u64 v[8:9], v[22:23], 0, v[14:15]
	global_load_dwordx4 v[8:11], v[8:9], off
	s_and_saveexec_b64 s[10:11], vcc
	s_cbranch_execz .LBB111_62
; %bb.61:                               ;   in Loop: Header=BB111_51 Depth=1
	s_waitcnt vmcnt(0)
	v_lshrrev_b32_e32 v21, 16, v11
	v_cmp_gt_i32_e64 s[0:1], s38, v38
	s_nop 1
	v_cndmask_b32_e64 v21, 0, v21, s[0:1]
	v_cmp_gt_i32_e64 s[0:1], s37, v37
	s_nop 1
	v_cndmask_b32_e64 v11, 0, v11, s[0:1]
	v_perm_b32 v11, v21, v11, s12
	v_lshrrev_b32_e32 v21, 16, v10
	v_cmp_gt_i32_e64 s[0:1], s36, v36
	s_nop 1
	v_cndmask_b32_e64 v21, 0, v21, s[0:1]
	v_cmp_gt_i32_e64 s[0:1], s28, v35
	s_nop 1
	v_cndmask_b32_e64 v10, 0, v10, s[0:1]
	v_perm_b32 v10, v21, v10, s12
	;; [unrolled: 8-line block ×4, first 2 shown]
.LBB111_62:                             ;   in Loop: Header=BB111_51 Depth=1
	s_or_b64 exec, exec, s[10:11]
	s_waitcnt vmcnt(0)
	;;#ASMSTART
	v_pk_mul_f16 v8, v42, v8;

	;;#ASMEND
	;;#ASMSTART
	v_pk_mul_f16 v9, v41, v9;

	;;#ASMEND
	;; [unrolled: 4-line block ×4, first 2 shown]
	v_mov_b32_e32 v21, v15
	;;#ASMSTART
	v_pk_add_f16 v8, v8, v9;

	;;#ASMEND
	s_nop 0
	;;#ASMSTART
	v_pk_add_f16 v8, v8, v10;

	;;#ASMEND
	s_nop 0
	;; [unrolled: 5-line block ×3, first 2 shown]
	v_lshrrev_b32_e32 v9, 16, v8
	v_and_b32_e32 v8, 0xffff, v8
	;;#ASMSTART
	v_cvt_f32_f16 v49, v8;
	;;#ASMEND
	;;#ASMSTART
	v_cvt_f32_f16 v50, v9;
	;;#ASMEND
	v_lshl_add_u64 v[8:9], v[22:23], 0, v[20:21]
	global_load_dwordx4 v[8:11], v[8:9], off
	s_and_saveexec_b64 s[0:1], vcc
	s_cbranch_execz .LBB111_49
; %bb.63:                               ;   in Loop: Header=BB111_51 Depth=1
	s_waitcnt vmcnt(0)
	v_lshrrev_b32_e32 v21, 16, v11
	v_cmp_gt_i32_e32 vcc, s38, v38
	s_nop 1
	v_cndmask_b32_e32 v21, 0, v21, vcc
	v_cmp_gt_i32_e32 vcc, s37, v37
	s_nop 1
	v_cndmask_b32_e32 v11, 0, v11, vcc
	v_perm_b32 v11, v21, v11, s12
	v_lshrrev_b32_e32 v21, 16, v10
	v_cmp_gt_i32_e32 vcc, s36, v36
	s_nop 1
	v_cndmask_b32_e32 v21, 0, v21, vcc
	v_cmp_gt_i32_e32 vcc, s28, v35
	s_nop 1
	v_cndmask_b32_e32 v10, 0, v10, vcc
	v_perm_b32 v10, v21, v10, s12
	;; [unrolled: 8-line block ×4, first 2 shown]
	s_branch .LBB111_49
.LBB111_64:
	s_or_b64 exec, exec, s[16:17]
.LBB111_65:
	s_or_b64 exec, exec, s[2:3]
	ds_bpermute_b32 v8, v27, v2
	ds_bpermute_b32 v9, v27, v3
	;; [unrolled: 1-line block ×6, first 2 shown]
	s_waitcnt lgkmcnt(4)
	v_pk_add_f32 v[2:3], v[2:3], v[8:9]
	ds_bpermute_b32 v8, v28, v2
	s_waitcnt lgkmcnt(3)
	v_pk_add_f32 v[4:5], v[4:5], v[10:11]
	ds_bpermute_b32 v9, v28, v3
	;; [unrolled: 3-line block ×3, first 2 shown]
	ds_bpermute_b32 v11, v28, v5
	ds_bpermute_b32 v14, v28, v12
	;; [unrolled: 1-line block ×3, first 2 shown]
	v_and_b32_e32 v1, 0x3c3, v0
	s_waitcnt lgkmcnt(4)
	v_pk_add_f32 v[6:7], v[2:3], v[8:9]
	s_waitcnt lgkmcnt(2)
	v_pk_add_f32 v[4:5], v[4:5], v[10:11]
	v_cmp_eq_u32_e32 vcc, 64, v1
	s_waitcnt lgkmcnt(0)
	v_pk_add_f32 v[2:3], v[12:13], v[14:15]
	s_barrier
	s_and_saveexec_b64 s[0:1], vcc
	s_cbranch_execz .LBB111_67
; %bb.66:
	v_add_u32_e32 v8, 0xd0, v26
	ds_write2_b32 v8, v6, v7 offset1:16
	ds_write2_b32 v8, v4, v5 offset0:32 offset1:48
	ds_write2_b32 v8, v2, v3 offset0:64 offset1:80
.LBB111_67:
	s_or_b64 exec, exec, s[0:1]
	v_cmp_gt_u32_e32 vcc, 64, v0
	s_waitcnt lgkmcnt(0)
	s_barrier
	s_and_saveexec_b64 s[0:1], vcc
	s_cbranch_execz .LBB111_76
; %bb.68:
	v_cmp_eq_u32_e32 vcc, 0, v29
	v_lshrrev_b32_e32 v8, 2, v0
	s_and_saveexec_b64 s[2:3], vcc
	s_cbranch_execnz .LBB111_79
; %bb.69:
	s_or_b64 exec, exec, s[2:3]
	s_and_saveexec_b64 s[2:3], vcc
	s_cbranch_execnz .LBB111_80
.LBB111_70:
	s_or_b64 exec, exec, s[2:3]
	s_and_saveexec_b64 s[2:3], vcc
	s_cbranch_execnz .LBB111_81
.LBB111_71:
	s_or_b64 exec, exec, s[2:3]
	s_and_saveexec_b64 s[2:3], vcc
	s_cbranch_execnz .LBB111_82
.LBB111_72:
	s_or_b64 exec, exec, s[2:3]
	s_and_saveexec_b64 s[2:3], vcc
	s_cbranch_execnz .LBB111_83
.LBB111_73:
	s_or_b64 exec, exec, s[2:3]
	s_and_saveexec_b64 s[2:3], vcc
	s_cbranch_execz .LBB111_75
.LBB111_74:
	v_mov_b32_e32 v9, 0xd0
	v_lshl_add_u32 v8, v8, 2, v9
	ds_read_b32 v8, v8 offset:320
	s_waitcnt lgkmcnt(0)
	v_add_f32_e32 v3, v3, v8
.LBB111_75:
	s_or_b64 exec, exec, s[2:3]
.LBB111_76:
	s_or_b64 exec, exec, s[0:1]
	v_cmp_eq_u32_e32 vcc, 0, v1
	s_barrier
	s_and_saveexec_b64 s[0:1], vcc
	s_cbranch_execz .LBB111_78
; %bb.77:
	s_mul_i32 s0, s6, 0x60
	s_ashr_i32 s1, s0, 31
	s_lshl_b64 s[0:1], s[0:1], 1
	s_add_u32 s2, s26, s0
	s_mul_i32 s0, s19, s24
	s_addc_u32 s3, s27, s1
	s_ashr_i32 s1, s0, 31
	s_lshl_b64 s[0:1], s[0:1], 1
	s_add_u32 s2, s2, s0
	s_mul_i32 s0, s4, 0x60
	s_addc_u32 s3, s3, s1
	s_ashr_i32 s1, s0, 31
	s_lshl_b64 s[0:1], s[0:1], 1
	s_add_u32 s0, s2, s0
	s_addc_u32 s1, s3, s1
	v_lshrrev_b32_e32 v0, 1, v0
	;;#ASMSTART
	v_cvt_f16_f32 v1, v6;

	;;#ASMEND
	global_store_short v0, v1, s[0:1]
	;;#ASMSTART
	v_cvt_f16_f32 v1, v7;

	;;#ASMEND
	global_store_short v0, v1, s[0:1] offset:32
	;;#ASMSTART
	v_cvt_f16_f32 v1, v4;

	;;#ASMEND
	global_store_short v0, v1, s[0:1] offset:64
	;; [unrolled: 5-line block ×5, first 2 shown]
.LBB111_78:
	s_endpgm
.LBB111_79:
	v_mov_b32_e32 v9, 0xd0
	v_lshl_add_u32 v9, v8, 2, v9
	ds_read_b32 v9, v9
	s_waitcnt lgkmcnt(0)
	v_add_f32_e32 v6, v6, v9
	s_or_b64 exec, exec, s[2:3]
	s_and_saveexec_b64 s[2:3], vcc
	s_cbranch_execz .LBB111_70
.LBB111_80:
	v_mov_b32_e32 v9, 0xd0
	v_lshl_add_u32 v9, v8, 2, v9
	ds_read_b32 v9, v9 offset:64
	s_waitcnt lgkmcnt(0)
	v_add_f32_e32 v7, v7, v9
	s_or_b64 exec, exec, s[2:3]
	s_and_saveexec_b64 s[2:3], vcc
	s_cbranch_execz .LBB111_71
.LBB111_81:
	v_mov_b32_e32 v9, 0xd0
	v_lshl_add_u32 v9, v8, 2, v9
	ds_read_b32 v9, v9 offset:128
	s_waitcnt lgkmcnt(0)
	v_add_f32_e32 v4, v4, v9
	s_or_b64 exec, exec, s[2:3]
	s_and_saveexec_b64 s[2:3], vcc
	s_cbranch_execz .LBB111_72
.LBB111_82:
	v_mov_b32_e32 v9, 0xd0
	v_lshl_add_u32 v9, v8, 2, v9
	ds_read_b32 v9, v9 offset:192
	s_waitcnt lgkmcnt(0)
	v_add_f32_e32 v5, v5, v9
	s_or_b64 exec, exec, s[2:3]
	s_and_saveexec_b64 s[2:3], vcc
	s_cbranch_execz .LBB111_73
.LBB111_83:
	v_mov_b32_e32 v9, 0xd0
	v_lshl_add_u32 v9, v8, 2, v9
	ds_read_b32 v9, v9 offset:256
	s_waitcnt lgkmcnt(0)
	v_add_f32_e32 v2, v2, v9
	s_or_b64 exec, exec, s[2:3]
	s_and_saveexec_b64 s[2:3], vcc
	s_cbranch_execnz .LBB111_74
	s_branch .LBB111_75
	.section	.rodata,"a",@progbits
	.p2align	6, 0x0
	.amdhsa_kernel _ZN4vllm25paged_attention_v2_kernelIttLi96ELi32ELi128ELNS_18Fp8KVCacheDataTypeE0ELb1ELi512EEEvPfS2_PT_PKS3_PKT0_S9_ifPKiSB_iPKfiiiSD_SD_iiiii
		.amdhsa_group_segment_fixed_size 208
		.amdhsa_private_segment_fixed_size 0
		.amdhsa_kernarg_size 400
		.amdhsa_user_sgpr_count 2
		.amdhsa_user_sgpr_dispatch_ptr 0
		.amdhsa_user_sgpr_queue_ptr 0
		.amdhsa_user_sgpr_kernarg_segment_ptr 1
		.amdhsa_user_sgpr_dispatch_id 0
		.amdhsa_user_sgpr_kernarg_preload_length 0
		.amdhsa_user_sgpr_kernarg_preload_offset 0
		.amdhsa_user_sgpr_private_segment_size 0
		.amdhsa_uses_dynamic_stack 0
		.amdhsa_enable_private_segment 0
		.amdhsa_system_sgpr_workgroup_id_x 1
		.amdhsa_system_sgpr_workgroup_id_y 1
		.amdhsa_system_sgpr_workgroup_id_z 1
		.amdhsa_system_sgpr_workgroup_info 0
		.amdhsa_system_vgpr_workitem_id 0
		.amdhsa_next_free_vgpr 76
		.amdhsa_next_free_sgpr 56
		.amdhsa_accum_offset 76
		.amdhsa_reserve_vcc 1
		.amdhsa_float_round_mode_32 0
		.amdhsa_float_round_mode_16_64 0
		.amdhsa_float_denorm_mode_32 3
		.amdhsa_float_denorm_mode_16_64 3
		.amdhsa_dx10_clamp 1
		.amdhsa_ieee_mode 1
		.amdhsa_fp16_overflow 0
		.amdhsa_tg_split 0
		.amdhsa_exception_fp_ieee_invalid_op 0
		.amdhsa_exception_fp_denorm_src 0
		.amdhsa_exception_fp_ieee_div_zero 0
		.amdhsa_exception_fp_ieee_overflow 0
		.amdhsa_exception_fp_ieee_underflow 0
		.amdhsa_exception_fp_ieee_inexact 0
		.amdhsa_exception_int_div_zero 0
	.end_amdhsa_kernel
	.section	.text._ZN4vllm25paged_attention_v2_kernelIttLi96ELi32ELi128ELNS_18Fp8KVCacheDataTypeE0ELb1ELi512EEEvPfS2_PT_PKS3_PKT0_S9_ifPKiSB_iPKfiiiSD_SD_iiiii,"axG",@progbits,_ZN4vllm25paged_attention_v2_kernelIttLi96ELi32ELi128ELNS_18Fp8KVCacheDataTypeE0ELb1ELi512EEEvPfS2_PT_PKS3_PKT0_S9_ifPKiSB_iPKfiiiSD_SD_iiiii,comdat
.Lfunc_end111:
	.size	_ZN4vllm25paged_attention_v2_kernelIttLi96ELi32ELi128ELNS_18Fp8KVCacheDataTypeE0ELb1ELi512EEEvPfS2_PT_PKS3_PKT0_S9_ifPKiSB_iPKfiiiSD_SD_iiiii, .Lfunc_end111-_ZN4vllm25paged_attention_v2_kernelIttLi96ELi32ELi128ELNS_18Fp8KVCacheDataTypeE0ELb1ELi512EEEvPfS2_PT_PKS3_PKT0_S9_ifPKiSB_iPKfiiiSD_SD_iiiii
                                        ; -- End function
	.section	.AMDGPU.csdata,"",@progbits
; Kernel info:
; codeLenInByte = 8320
; NumSgprs: 62
; NumVgprs: 76
; NumAgprs: 0
; TotalNumVgprs: 76
; ScratchSize: 0
; MemoryBound: 0
; FloatMode: 240
; IeeeMode: 1
; LDSByteSize: 208 bytes/workgroup (compile time only)
; SGPRBlocks: 7
; VGPRBlocks: 9
; NumSGPRsForWavesPerEU: 62
; NumVGPRsForWavesPerEU: 76
; AccumOffset: 76
; Occupancy: 6
; WaveLimiterHint : 1
; COMPUTE_PGM_RSRC2:SCRATCH_EN: 0
; COMPUTE_PGM_RSRC2:USER_SGPR: 2
; COMPUTE_PGM_RSRC2:TRAP_HANDLER: 0
; COMPUTE_PGM_RSRC2:TGID_X_EN: 1
; COMPUTE_PGM_RSRC2:TGID_Y_EN: 1
; COMPUTE_PGM_RSRC2:TGID_Z_EN: 1
; COMPUTE_PGM_RSRC2:TIDIG_COMP_CNT: 0
; COMPUTE_PGM_RSRC3_GFX90A:ACCUM_OFFSET: 18
; COMPUTE_PGM_RSRC3_GFX90A:TG_SPLIT: 0
	.section	.text._ZN4vllm25paged_attention_v2_kernelIttLi112ELi32ELi128ELNS_18Fp8KVCacheDataTypeE0ELb1ELi512EEEvPfS2_PT_PKS3_PKT0_S9_ifPKiSB_iPKfiiiSD_SD_iiiii,"axG",@progbits,_ZN4vllm25paged_attention_v2_kernelIttLi112ELi32ELi128ELNS_18Fp8KVCacheDataTypeE0ELb1ELi512EEEvPfS2_PT_PKS3_PKT0_S9_ifPKiSB_iPKfiiiSD_SD_iiiii,comdat
	.protected	_ZN4vllm25paged_attention_v2_kernelIttLi112ELi32ELi128ELNS_18Fp8KVCacheDataTypeE0ELb1ELi512EEEvPfS2_PT_PKS3_PKT0_S9_ifPKiSB_iPKfiiiSD_SD_iiiii ; -- Begin function _ZN4vllm25paged_attention_v2_kernelIttLi112ELi32ELi128ELNS_18Fp8KVCacheDataTypeE0ELb1ELi512EEEvPfS2_PT_PKS3_PKT0_S9_ifPKiSB_iPKfiiiSD_SD_iiiii
	.globl	_ZN4vllm25paged_attention_v2_kernelIttLi112ELi32ELi128ELNS_18Fp8KVCacheDataTypeE0ELb1ELi512EEEvPfS2_PT_PKS3_PKT0_S9_ifPKiSB_iPKfiiiSD_SD_iiiii
	.p2align	8
	.type	_ZN4vllm25paged_attention_v2_kernelIttLi112ELi32ELi128ELNS_18Fp8KVCacheDataTypeE0ELb1ELi512EEEvPfS2_PT_PKS3_PKT0_S9_ifPKiSB_iPKfiiiSD_SD_iiiii,@function
_ZN4vllm25paged_attention_v2_kernelIttLi112ELi32ELi128ELNS_18Fp8KVCacheDataTypeE0ELb1ELi512EEEvPfS2_PT_PKS3_PKT0_S9_ifPKiSB_iPKfiiiSD_SD_iiiii: ; @_ZN4vllm25paged_attention_v2_kernelIttLi112ELi32ELi128ELNS_18Fp8KVCacheDataTypeE0ELb1ELi512EEEvPfS2_PT_PKS3_PKT0_S9_ifPKiSB_iPKfiiiSD_SD_iiiii
; %bb.0:
	s_load_dwordx2 s[6:7], s[0:1], 0x40
	s_mov_b32 s28, s3
	s_ashr_i32 s29, s3, 31
	s_lshl_b64 s[8:9], s[28:29], 2
	s_waitcnt lgkmcnt(0)
	s_add_u32 s6, s6, s8
	s_addc_u32 s7, s7, s9
	s_load_dword s29, s[6:7], 0x0
	s_lshl_b32 s50, s4, 9
	s_waitcnt lgkmcnt(0)
	s_cmp_ge_i32 s50, s29
	s_cbranch_scc1 .LBB112_81
; %bb.1:
	s_load_dword s5, s[0:1], 0x90
	s_load_dwordx2 s[38:39], s[0:1], 0x30
	s_waitcnt lgkmcnt(0)
	s_abs_i32 s7, s5
	s_abs_i32 s3, s38
	v_cvt_f32_u32_e32 v1, s3
	s_sub_i32 s8, 0, s3
	s_xor_b32 s6, s5, s38
	s_ashr_i32 s6, s6, 31
	v_rcp_iflag_f32_e32 v1, v1
	s_nop 0
	v_mul_f32_e32 v1, 0x4f7ffffe, v1
	v_cvt_u32_f32_e32 v1, v1
	s_nop 0
	v_readfirstlane_b32 s9, v1
	s_mul_i32 s8, s8, s9
	s_mul_hi_u32 s8, s9, s8
	s_add_i32 s9, s9, s8
	s_mul_hi_u32 s8, s7, s9
	s_mul_i32 s9, s8, s3
	s_sub_i32 s7, s7, s9
	s_add_i32 s10, s8, 1
	s_sub_i32 s9, s7, s3
	s_cmp_ge_u32 s7, s3
	s_cselect_b32 s8, s10, s8
	s_cselect_b32 s7, s9, s7
	s_add_i32 s9, s8, 1
	s_cmp_ge_u32 s7, s3
	s_cselect_b32 s3, s9, s8
	s_xor_b32 s3, s3, s6
	s_sub_i32 s12, s3, s6
	s_abs_i32 s8, s12
	v_cvt_f32_u32_e32 v1, s8
	s_load_dwordx2 s[6:7], s[0:1], 0x50
	s_sub_i32 s10, 0, s8
	s_abs_i32 s9, s2
	v_rcp_iflag_f32_e32 v1, v1
	s_mov_b32 s3, 0
	v_mul_f32_e32 v1, 0x4f7ffffe, v1
	v_cvt_u32_f32_e32 v1, v1
	s_nop 0
	v_readfirstlane_b32 s11, v1
	s_mul_i32 s10, s10, s11
	s_mul_hi_u32 s10, s11, s10
	s_add_i32 s11, s11, s10
	s_waitcnt lgkmcnt(0)
	s_cmp_eq_u64 s[6:7], 0
	s_mul_hi_u32 s10, s9, s11
	s_cbranch_scc1 .LBB112_3
; %bb.2:
	s_ashr_i32 s3, s2, 31
	s_lshl_b64 s[14:15], s[2:3], 2
	s_add_u32 s6, s6, s14
	s_addc_u32 s7, s7, s15
	s_load_dword s3, s[6:7], 0x0
.LBB112_3:
	s_ashr_i32 s16, s12, 31
	s_load_dwordx4 s[12:15], s[0:1], 0x58
	s_ashr_i32 s11, s2, 31
	v_and_b32_e32 v4, 1, v0
	s_waitcnt lgkmcnt(0)
	s_movk_i32 s15, 0x70
	s_mul_i32 s24, s2, 0x70
	v_cmp_gt_u32_e32 vcc, 28, v0
	v_lshlrev_b32_e32 v28, 3, v0
	s_and_saveexec_b64 s[6:7], vcc
	s_cbranch_execz .LBB112_5
; %bb.4:
	s_load_dwordx2 s[18:19], s[0:1], 0x18
	s_mul_i32 s20, s28, s12
	s_ashr_i32 s21, s20, 31
	s_lshl_b64 s[20:21], s[20:21], 1
	v_lshlrev_b32_e32 v1, 2, v0
	s_waitcnt lgkmcnt(0)
	s_add_u32 s12, s18, s20
	s_addc_u32 s17, s19, s21
	s_ashr_i32 s25, s24, 31
	s_lshl_b64 s[18:19], s[24:25], 1
	s_add_u32 s18, s12, s18
	s_addc_u32 s19, s17, s19
	global_load_dwordx2 v[2:3], v28, s[18:19]
	v_and_b32_e32 v1, 0xff8, v1
	v_mad_u32_u24 v1, v4, s15, v1
	s_waitcnt vmcnt(0)
	ds_write_b64 v1, v[2:3]
.LBB112_5:
	s_or_b64 exec, exec, s[6:7]
	s_mul_i32 s7, s10, s8
	s_sub_i32 s7, s9, s7
	s_xor_b32 s6, s11, s16
	s_add_i32 s9, s10, 1
	s_sub_i32 s11, s7, s8
	s_load_dwordx4 s[16:19], s[0:1], 0x78
	s_cmp_ge_u32 s7, s8
	s_cselect_b32 s9, s9, s10
	s_cselect_b32 s7, s11, s7
	s_load_dword s11, s[0:1], 0x88
	s_add_i32 s10, s9, 1
	s_cmp_ge_u32 s7, s8
	s_cselect_b32 s7, s10, s9
	s_waitcnt lgkmcnt(0)
	s_abs_i32 s33, s19
	v_cvt_f32_u32_e32 v1, s33
	s_xor_b32 s7, s7, s6
	s_sub_i32 s8, s7, s6
	s_sub_i32 s6, 0, s33
	v_rcp_iflag_f32_e32 v1, v1
	s_add_i32 s12, s29, -1
	s_abs_i32 s9, s12
	v_mul_f32_e32 v1, 0x4f7ffffe, v1
	v_cvt_u32_f32_e32 v1, v1
	s_barrier
	v_readfirstlane_b32 s46, v1
	s_mul_i32 s6, s6, s46
	s_mul_hi_u32 s6, s46, s6
	s_add_i32 s46, s46, s6
	s_cmp_lt_i32 s11, 0
	s_mul_hi_u32 s10, s9, s46
	s_cbranch_scc0 .LBB112_7
; %bb.6:
	s_mul_i32 s6, s16, s38
	s_add_i32 s6, s8, s6
	s_mul_i32 s6, s6, s11
	s_sub_i32 s47, 1, s6
	s_mov_b64 s[6:7], 0
	s_branch .LBB112_8
.LBB112_7:
	s_mov_b64 s[6:7], -1
                                        ; implicit-def: $sgpr47
.LBB112_8:
	s_load_dwordx2 s[30:31], s[0:1], 0x38
	s_ashr_i32 s12, s12, 31
	s_andn2_b64 vcc, exec, s[6:7]
	s_ashr_i32 s48, s19, 31
	s_cbranch_vccnz .LBB112_10
; %bb.9:
	s_mul_i32 s6, s5, s16
	s_add_i32 s6, s6, s2
	s_mul_i32 s6, s6, s11
	s_add_i32 s47, s6, 1
.LBB112_10:
	s_load_dword s6, s[0:1], 0x48
	s_load_dwordx2 s[36:37], s[0:1], 0x28
	s_load_dword s25, s[0:1], 0x98
	s_load_dwordx4 s[20:23], s[0:1], 0x0
	s_load_dwordx2 s[26:27], s[0:1], 0x10
	s_mul_i32 s7, s10, s33
	s_waitcnt lgkmcnt(0)
	s_mul_i32 s34, s28, s6
	s_sub_i32 s7, s9, s7
	s_ashr_i32 s35, s34, 31
	s_xor_b32 s6, s12, s48
	s_add_i32 s9, s10, 1
	s_sub_i32 s11, s7, s33
	s_cmp_ge_u32 s7, s33
	s_cselect_b32 s9, s9, s10
	s_cselect_b32 s7, s11, s7
	s_add_i32 s10, s9, 1
	s_cmp_ge_u32 s7, s33
	s_cselect_b32 s7, s10, s9
	s_xor_b32 s7, s7, s6
	s_sub_i32 s16, s7, s6
	s_add_i32 s6, s29, 31
	s_ashr_i32 s7, s6, 31
	s_lshr_b32 s7, s7, 27
	s_add_i32 s6, s6, s7
	s_lshl_b32 s19, s4, 4
	s_ashr_i32 s12, s6, 5
	s_add_i32 s6, s19, 16
	v_lshrrev_b32_e32 v29, 6, v0
	s_min_i32 s49, s6, s12
	v_or_b32_e32 v14, s19, v29
	v_cmp_gt_i32_e64 s[10:11], s49, v14
	v_mov_b32_e32 v33, 0xff7fffff
	s_mul_i32 s14, s8, s14
	v_ashrrev_i32_e32 v15, 31, v14
	v_lshl_add_u32 v1, v29, 5, s50
	v_mbcnt_lo_u32_b32 v30, -1, 0
	s_and_saveexec_b64 s[40:41], s[10:11]
	s_cbranch_execz .LBB112_20
; %bb.11:
	s_load_dwordx2 s[0:1], s[0:1], 0x20
	s_ashr_i32 s15, s14, 31
	s_sub_i32 s38, s16, s17
	s_lshl_b64 s[8:9], s[14:15], 1
	v_bfe_u32 v31, v0, 1, 5
	s_waitcnt lgkmcnt(0)
	s_add_u32 s0, s0, s8
	s_addc_u32 s1, s1, s9
	s_abs_i32 s15, s18
	v_cvt_f32_u32_e32 v5, s15
	v_lshlrev_b32_e32 v2, 4, v31
	v_mov_b32_e32 v3, 0
	v_lshl_add_u64 v[6:7], s[0:1], 0, v[2:3]
	v_rcp_iflag_f32_e32 v5, v5
	v_and_b32_e32 v2, 8, v28
	v_lshl_add_u64 v[2:3], v[6:7], 0, v[2:3]
	s_sub_i32 s0, 0, s15
	v_mul_f32_e32 v5, 0x4f7ffffe, v5
	v_cvt_u32_f32_e32 v5, v5
	v_lshlrev_b32_e32 v6, 2, v31
	v_cmp_eq_u32_e64 s[6:7], 0, v4
	v_mul_u32_u24_e32 v32, 0x70, v4
	v_mul_lo_u32 v4, s0, v5
	s_lshl_b64 s[0:1], s[34:35], 2
	v_lshl_or_b32 v6, v29, 7, v6
	s_add_u32 s0, s30, s0
	v_add_u32_e32 v36, 0xf0, v6
	v_subrev_u32_e32 v6, s29, v31
	v_mbcnt_hi_u32_b32 v38, -1, v30
	v_mul_hi_u32 v4, v5, v4
	s_addc_u32 s1, s31, s1
	v_add_u32_e32 v37, 1, v6
	v_and_b32_e32 v6, 64, v38
	s_mov_b32 s51, s13
	v_cmp_neq_f32_e64 s[8:9], s3, 0
	v_add_u32_e32 v34, v5, v4
	v_lshl_add_u64 v[4:5], v[14:15], 2, s[0:1]
	v_lshl_add_u32 v35, v29, 5, s50
	s_mov_b64 s[42:43], 0
	s_movk_i32 s52, 0x1000
	v_xor_b32_e32 v39, 1, v38
	v_add_u32_e32 v40, 64, v6
	v_mov_b32_e32 v33, 0xff7fffff
	v_mov_b32_e32 v41, v14
	s_branch .LBB112_14
.LBB112_12:                             ;   in Loop: Header=BB112_14 Depth=1
	s_or_b64 exec, exec, s[44:45]
.LBB112_13:                             ;   in Loop: Header=BB112_14 Depth=1
	s_or_b64 exec, exec, s[0:1]
	v_add_u32_e32 v41, 2, v41
	v_cmp_le_i32_e32 vcc, s49, v41
	v_lshl_add_u64 v[4:5], v[4:5], 0, 8
	v_add_u32_e32 v35, 64, v35
	s_or_b64 s[42:43], vcc, s[42:43]
	v_add_u32_e32 v36, 0x100, v36
	s_andn2_b64 exec, exec, s[42:43]
	s_cbranch_execz .LBB112_19
.LBB112_14:                             ; =>This Inner Loop Header: Depth=1
	s_waitcnt lgkmcnt(0)
	v_sub_u32_e32 v7, 0, v35
	v_max_i32_e32 v7, v35, v7
	v_mul_hi_u32 v8, v7, s46
	v_mul_lo_u32 v9, v8, s33
	v_sub_u32_e32 v7, v7, v9
	v_add_u32_e32 v9, 1, v8
	v_cmp_le_u32_e32 vcc, s33, v7
	v_ashrrev_i32_e32 v6, 31, v35
	v_xor_b32_e32 v6, s48, v6
	v_cndmask_b32_e32 v8, v8, v9, vcc
	v_subrev_u32_e32 v9, s33, v7
	v_cndmask_b32_e32 v7, v7, v9, vcc
	v_add_u32_e32 v9, 1, v8
	v_cmp_le_u32_e32 vcc, s33, v7
	s_nop 1
	v_cndmask_b32_e32 v7, v8, v9, vcc
	v_xor_b32_e32 v7, v7, v6
	v_sub_u32_e32 v6, v7, v6
	v_add_u32_e32 v7, s47, v6
	v_sub_u32_e32 v9, 0, v7
	v_ashrrev_i32_e32 v8, 31, v7
	v_max_i32_e32 v7, v7, v9
	v_mul_hi_u32 v9, v7, v34
	v_mul_lo_u32 v9, v9, s15
	v_sub_u32_e32 v7, v7, v9
	v_subrev_u32_e32 v9, s15, v7
	v_cmp_le_u32_e32 vcc, s15, v7
	v_cmp_ge_i32_e64 s[0:1], s38, v6
	s_nop 0
	v_cndmask_b32_e32 v7, v7, v9, vcc
	v_subrev_u32_e32 v9, s15, v7
	v_cmp_le_u32_e32 vcc, s15, v7
	s_nop 1
	v_cndmask_b32_e32 v7, v7, v9, vcc
	v_xor_b32_e32 v7, v7, v8
	v_sub_u32_e32 v7, v7, v8
	v_cmp_ne_u32_e32 vcc, 0, v7
	s_and_b64 s[0:1], vcc, s[0:1]
	s_and_b64 s[54:55], s[6:7], s[0:1]
	s_and_saveexec_b64 s[44:45], s[54:55]
	s_cbranch_execz .LBB112_16
; %bb.15:                               ;   in Loop: Header=BB112_14 Depth=1
	v_mov_b32_e32 v6, 0xff7fffff
	ds_write_b32 v36, v6
.LBB112_16:                             ;   in Loop: Header=BB112_14 Depth=1
	s_or_b64 exec, exec, s[44:45]
	s_xor_b64 s[44:45], s[0:1], -1
	s_and_saveexec_b64 s[0:1], s[44:45]
	s_cbranch_execz .LBB112_13
; %bb.17:                               ;   in Loop: Header=BB112_14 Depth=1
	global_load_dword v6, v[4:5], off
	s_waitcnt vmcnt(0)
	v_mad_i64_i32 v[6:7], s[44:45], v6, s51, 0
	v_lshl_add_u64 v[6:7], v[6:7], 1, v[2:3]
	global_load_dwordx2 v[44:45], v[6:7], off
	global_load_dwordx2 v[46:47], v[6:7], off offset:512
	global_load_dwordx2 v[48:49], v[6:7], off offset:1024
	;; [unrolled: 1-line block ×7, first 2 shown]
	v_add_co_u32_e32 v6, vcc, s52, v6
	s_waitcnt vmcnt(7)
	v_lshrrev_b32_e32 v54, 16, v44
	v_addc_co_u32_e32 v7, vcc, 0, v7, vcc
	global_load_dwordx2 v[18:19], v[6:7], off
	global_load_dwordx2 v[16:17], v[6:7], off offset:512
	ds_read_b64 v[8:9], v32
	v_and_b32_e32 v44, 0xffff, v44
	v_lshrrev_b32_e32 v55, 16, v45
	v_and_b32_e32 v45, 0xffff, v45
	s_waitcnt vmcnt(2)
	v_lshrrev_b32_e32 v70, 16, v20
	s_waitcnt lgkmcnt(0)
	v_lshrrev_b32_e32 v43, 16, v8
	v_and_b32_e32 v42, 0xffff, v8
	v_lshrrev_b32_e32 v52, 16, v9
	v_and_b32_e32 v53, 0xffff, v9
	global_load_dwordx2 v[12:13], v[6:7], off offset:1024
	global_load_dwordx2 v[10:11], v[6:7], off offset:1536
	;; [unrolled: 1-line block ×3, first 2 shown]
	s_nop 0
	global_load_dwordx2 v[6:7], v[6:7], off offset:2560
	;;#ASMSTART
	v_cvt_f32_f16 v42, v42;
	;;#ASMEND
	;;#ASMSTART
	v_cvt_f32_f16 v43, v43;
	;;#ASMEND
	v_and_b32_e32 v71, 0xffff, v20
	v_lshrrev_b32_e32 v72, 16, v21
	v_and_b32_e32 v73, 0xffff, v21
	;;#ASMSTART
	v_cvt_f32_f16 v44, v44;
	;;#ASMEND
	;;#ASMSTART
	v_cvt_f32_f16 v54, v54;
	;;#ASMEND
	;; [unrolled: 3-line block ×6, first 2 shown]
	ds_read_b64 v[20:21], v32 offset:8
	v_lshrrev_b32_e32 v56, 16, v46
	v_and_b32_e32 v46, 0xffff, v46
	v_lshrrev_b32_e32 v57, 16, v47
	v_and_b32_e32 v47, 0xffff, v47
	;; [unrolled: 2-line block ×12, first 2 shown]
	v_cmp_lt_i32_e32 vcc, v39, v40
	s_waitcnt vmcnt(5)
	v_lshrrev_b32_e32 v74, 16, v18
	v_and_b32_e32 v75, 0xffff, v18
	v_lshrrev_b32_e32 v76, 16, v19
	v_and_b32_e32 v77, 0xffff, v19
	s_waitcnt lgkmcnt(0)
	v_lshrrev_b32_e32 v18, 16, v20
	v_and_b32_e32 v19, 0xffff, v20
	v_lshrrev_b32_e32 v20, 16, v21
	v_and_b32_e32 v21, 0xffff, v21
	;;#ASMSTART
	v_cvt_f32_f16 v19, v19;
	;;#ASMEND
	;;#ASMSTART
	v_cvt_f32_f16 v79, v18;
	;;#ASMEND
	;; [unrolled: 3-line block ×8, first 2 shown]
	ds_read_b64 v[22:23], v32 offset:16
	v_mul_f32_e32 v18, v19, v18
	v_mul_f32_e32 v19, v79, v46
	;; [unrolled: 1-line block ×3, first 2 shown]
	v_fmac_f32_e32 v18, v42, v44
	v_fmac_f32_e32 v19, v43, v54
	s_waitcnt lgkmcnt(0)
	v_lshrrev_b32_e32 v42, 16, v22
	v_and_b32_e32 v22, 0xffff, v22
	v_lshrrev_b32_e32 v43, 16, v23
	v_and_b32_e32 v23, 0xffff, v23
	v_mul_f32_e32 v21, v56, v47
	v_fmac_f32_e32 v20, v53, v45
	;;#ASMSTART
	v_cvt_f32_f16 v44, v22;
	;;#ASMEND
	;;#ASMSTART
	v_cvt_f32_f16 v42, v42;
	;;#ASMEND
	;; [unrolled: 3-line block ×8, first 2 shown]
	ds_read_b64 v[22:23], v32 offset:24
	v_fmac_f32_e32 v21, v52, v55
	v_fmac_f32_e32 v19, v42, v46
	;; [unrolled: 1-line block ×4, first 2 shown]
	s_waitcnt lgkmcnt(0)
	v_lshrrev_b32_e32 v42, 16, v22
	v_and_b32_e32 v22, 0xffff, v22
	v_lshrrev_b32_e32 v43, 16, v23
	v_and_b32_e32 v23, 0xffff, v23
	v_fmac_f32_e32 v20, v47, v48
	;;#ASMSTART
	v_cvt_f32_f16 v44, v22;
	;;#ASMEND
	;;#ASMSTART
	v_cvt_f32_f16 v42, v42;
	;;#ASMEND
	;;#ASMSTART
	v_cvt_f32_f16 v45, v50;
	;;#ASMEND
	;;#ASMSTART
	v_cvt_f32_f16 v46, v60;
	;;#ASMEND
	;;#ASMSTART
	v_cvt_f32_f16 v47, v23;
	;;#ASMEND
	;;#ASMSTART
	v_cvt_f32_f16 v43, v43;
	;;#ASMEND
	;;#ASMSTART
	v_cvt_f32_f16 v48, v51;
	;;#ASMEND
	;;#ASMSTART
	v_cvt_f32_f16 v49, v61;
	;;#ASMEND
	ds_read_b64 v[22:23], v32 offset:32
	v_fmac_f32_e32 v19, v42, v46
	v_fmac_f32_e32 v21, v43, v49
	v_fmac_f32_e32 v18, v44, v45
	v_fmac_f32_e32 v20, v47, v48
	s_waitcnt lgkmcnt(0)
	v_lshrrev_b32_e32 v42, 16, v22
	v_and_b32_e32 v22, 0xffff, v22
	v_lshrrev_b32_e32 v43, 16, v23
	v_and_b32_e32 v23, 0xffff, v23
	;;#ASMSTART
	v_cvt_f32_f16 v44, v22;
	;;#ASMEND
	;;#ASMSTART
	v_cvt_f32_f16 v42, v42;
	;;#ASMEND
	;;#ASMSTART
	v_cvt_f32_f16 v26, v26;
	;;#ASMEND
	;;#ASMSTART
	v_cvt_f32_f16 v45, v62;
	;;#ASMEND
	;;#ASMSTART
	v_cvt_f32_f16 v46, v23;
	;;#ASMEND
	;;#ASMSTART
	v_cvt_f32_f16 v43, v43;
	;;#ASMEND
	;;#ASMSTART
	v_cvt_f32_f16 v27, v27;
	;;#ASMEND
	;;#ASMSTART
	v_cvt_f32_f16 v47, v63;
	;;#ASMEND
	ds_read_b64 v[22:23], v32 offset:40
	v_fmac_f32_e32 v18, v44, v26
	v_fmac_f32_e32 v20, v46, v27
	v_fmac_f32_e32 v19, v42, v45
	v_fmac_f32_e32 v21, v43, v47
	s_waitcnt lgkmcnt(0)
	v_lshrrev_b32_e32 v26, 16, v22
	v_and_b32_e32 v22, 0xffff, v22
	v_lshrrev_b32_e32 v27, 16, v23
	v_and_b32_e32 v23, 0xffff, v23
	;; [unrolled: 34-line block ×5, first 2 shown]
	;;#ASMSTART
	v_cvt_f32_f16 v26, v22;
	;;#ASMEND
	;;#ASMSTART
	v_cvt_f32_f16 v24, v24;
	;;#ASMEND
	;; [unrolled: 3-line block ×8, first 2 shown]
	ds_read_b64 v[22:23], v32 offset:72
	s_waitcnt vmcnt(4)
	v_lshrrev_b32_e32 v78, 16, v16
	v_fmac_f32_e32 v19, v24, v42
	v_and_b32_e32 v16, 0xffff, v16
	v_fmac_f32_e32 v21, v25, v45
	s_waitcnt lgkmcnt(0)
	v_lshrrev_b32_e32 v24, 16, v22
	v_and_b32_e32 v22, 0xffff, v22
	;;#ASMSTART
	v_cvt_f32_f16 v22, v22;
	;;#ASMEND
	;;#ASMSTART
	v_cvt_f32_f16 v24, v24;
	;;#ASMEND
	;; [unrolled: 3-line block ×3, first 2 shown]
	v_lshrrev_b32_e32 v16, 16, v23
	v_and_b32_e32 v23, 0xffff, v23
	v_fmac_f32_e32 v18, v26, v27
	;;#ASMSTART
	v_cvt_f32_f16 v26, v78;
	;;#ASMEND
	;;#ASMSTART
	v_cvt_f32_f16 v23, v23;
	;;#ASMEND
	;;#ASMSTART
	v_cvt_f32_f16 v27, v16;
	;;#ASMEND
	v_lshrrev_b32_e32 v16, 16, v17
	v_and_b32_e32 v17, 0xffff, v17
	v_fmac_f32_e32 v20, v43, v44
	;;#ASMSTART
	v_cvt_f32_f16 v42, v17;
	;;#ASMEND
	;;#ASMSTART
	v_cvt_f32_f16 v43, v16;
	;;#ASMEND
	ds_read_b64 v[16:17], v32 offset:80
	v_fmac_f32_e32 v18, v22, v25
	v_fmac_f32_e32 v20, v23, v42
	s_waitcnt vmcnt(3)
	v_lshrrev_b32_e32 v23, 16, v12
	v_and_b32_e32 v12, 0xffff, v12
	s_waitcnt lgkmcnt(0)
	v_lshrrev_b32_e32 v22, 16, v16
	v_and_b32_e32 v16, 0xffff, v16
	v_fmac_f32_e32 v19, v24, v26
	;;#ASMSTART
	v_cvt_f32_f16 v16, v16;
	;;#ASMEND
	;;#ASMSTART
	v_cvt_f32_f16 v22, v22;
	;;#ASMEND
	;;#ASMSTART
	v_cvt_f32_f16 v24, v12;
	;;#ASMEND
	v_lshrrev_b32_e32 v12, 16, v17
	v_and_b32_e32 v17, 0xffff, v17
	;;#ASMSTART
	v_cvt_f32_f16 v23, v23;
	;;#ASMEND
	;;#ASMSTART
	v_cvt_f32_f16 v17, v17;
	;;#ASMEND
	;;#ASMSTART
	v_cvt_f32_f16 v25, v12;
	;;#ASMEND
	v_lshrrev_b32_e32 v12, 16, v13
	v_and_b32_e32 v13, 0xffff, v13
	v_fmac_f32_e32 v21, v27, v43
	;;#ASMSTART
	v_cvt_f32_f16 v26, v13;
	;;#ASMEND
	;;#ASMSTART
	v_cvt_f32_f16 v27, v12;
	;;#ASMEND
	ds_read_b64 v[12:13], v32 offset:88
	v_fmac_f32_e32 v18, v16, v24
	v_fmac_f32_e32 v20, v17, v26
	s_waitcnt vmcnt(2)
	v_lshrrev_b32_e32 v17, 16, v10
	v_and_b32_e32 v10, 0xffff, v10
	s_waitcnt lgkmcnt(0)
	v_lshrrev_b32_e32 v16, 16, v12
	v_and_b32_e32 v12, 0xffff, v12
	v_fmac_f32_e32 v19, v22, v23
	;;#ASMSTART
	v_cvt_f32_f16 v12, v12;
	;;#ASMEND
	;;#ASMSTART
	v_cvt_f32_f16 v16, v16;
	;;#ASMEND
	;;#ASMSTART
	v_cvt_f32_f16 v22, v10;
	;;#ASMEND
	v_lshrrev_b32_e32 v10, 16, v13
	v_and_b32_e32 v13, 0xffff, v13
	;; [unrolled: 39-line block ×3, first 2 shown]
	;;#ASMSTART
	v_cvt_f32_f16 v13, v13;
	;;#ASMEND
	;;#ASMSTART
	v_cvt_f32_f16 v11, v11;
	;;#ASMEND
	;; [unrolled: 3-line block ×3, first 2 shown]
	v_lshrrev_b32_e32 v8, 16, v9
	v_and_b32_e32 v9, 0xffff, v9
	v_fmac_f32_e32 v21, v23, v25
	;;#ASMSTART
	v_cvt_f32_f16 v22, v9;
	;;#ASMEND
	;;#ASMSTART
	v_cvt_f32_f16 v23, v8;
	;;#ASMEND
	ds_read_b64 v[8:9], v32 offset:104
	v_fmac_f32_e32 v18, v10, v16
	v_fmac_f32_e32 v20, v11, v22
	s_waitcnt vmcnt(0)
	v_lshrrev_b32_e32 v11, 16, v6
	v_and_b32_e32 v6, 0xffff, v6
	s_waitcnt lgkmcnt(0)
	v_lshrrev_b32_e32 v10, 16, v8
	v_and_b32_e32 v8, 0xffff, v8
	;;#ASMSTART
	v_cvt_f32_f16 v8, v8;
	;;#ASMEND
	;;#ASMSTART
	v_cvt_f32_f16 v10, v10;
	;;#ASMEND
	;;#ASMSTART
	v_cvt_f32_f16 v6, v6;
	;;#ASMEND
	v_fmac_f32_e32 v19, v12, v13
	v_fmac_f32_e32 v18, v8, v6
	v_lshrrev_b32_e32 v6, 16, v9
	v_and_b32_e32 v8, 0xffff, v9
	v_fmac_f32_e32 v21, v17, v23
	;;#ASMSTART
	v_cvt_f32_f16 v11, v11;
	;;#ASMEND
	;;#ASMSTART
	v_cvt_f32_f16 v8, v8;
	;;#ASMEND
	;; [unrolled: 3-line block ×3, first 2 shown]
	v_lshrrev_b32_e32 v9, 16, v7
	v_fmac_f32_e32 v19, v10, v11
	v_and_b32_e32 v7, 0xffff, v7
	;;#ASMSTART
	v_cvt_f32_f16 v7, v7;
	;;#ASMEND
	;;#ASMSTART
	v_cvt_f32_f16 v9, v9;
	;;#ASMEND
	s_nop 0
	v_fmac_f32_e32 v20, v8, v7
	v_fmac_f32_e32 v21, v6, v9
	v_add_f32_e32 v6, v18, v19
	v_add_f32_e32 v6, v6, v20
	v_cndmask_b32_e32 v7, v38, v39, vcc
	v_add_f32_e32 v6, v21, v6
	v_lshlrev_b32_e32 v7, 2, v7
	ds_bpermute_b32 v7, v7, v6
	s_and_saveexec_b64 s[44:45], s[6:7]
	s_cbranch_execz .LBB112_12
; %bb.18:                               ;   in Loop: Header=BB112_14 Depth=1
	v_add_u32_e32 v8, v37, v35
	v_cvt_f32_i32_e32 v8, v8
	s_waitcnt lgkmcnt(0)
	v_add_f32_e32 v6, v6, v7
	v_add_u32_e32 v9, v31, v35
	v_cmp_gt_i32_e32 vcc, s29, v9
	v_mul_f32_e32 v7, s3, v8
	v_cndmask_b32_e64 v7, 0, v7, s[8:9]
	v_fmac_f32_e32 v7, s39, v6
	v_cndmask_b32_e32 v6, 0, v7, vcc
	ds_write_b32 v36, v6
	v_max_f32_e32 v6, v33, v33
	v_max_f32_e32 v6, v6, v7
	v_cndmask_b32_e32 v33, v33, v6, vcc
	s_branch .LBB112_12
.LBB112_19:
	s_or_b64 exec, exec, s[42:43]
.LBB112_20:
	s_or_b64 exec, exec, s[40:41]
	v_mbcnt_hi_u32_b32 v4, -1, v30
	v_and_b32_e32 v2, 64, v4
	v_add_u32_e32 v10, 64, v2
	v_xor_b32_e32 v2, 32, v4
	v_cmp_lt_i32_e32 vcc, v2, v10
	v_xor_b32_e32 v6, 16, v4
	v_max_f32_e32 v5, v33, v33
	v_cndmask_b32_e32 v2, v4, v2, vcc
	v_lshlrev_b32_e32 v2, 2, v2
	ds_bpermute_b32 v3, v2, v33
	v_cmp_lt_i32_e32 vcc, v6, v10
	s_waitcnt lgkmcnt(1)
	v_xor_b32_e32 v7, 8, v4
	v_xor_b32_e32 v8, 4, v4
	v_xor_b32_e32 v9, 2, v4
	s_waitcnt lgkmcnt(0)
	v_max_f32_e32 v3, v3, v3
	v_max_f32_e32 v5, v5, v3
	v_cndmask_b32_e32 v3, v4, v6, vcc
	v_lshlrev_b32_e32 v3, 2, v3
	ds_bpermute_b32 v6, v3, v5
	v_cmp_lt_i32_e32 vcc, v7, v10
	v_and_b32_e32 v30, 63, v0
	s_waitcnt lgkmcnt(0)
	v_max_f32_e32 v6, v6, v6
	v_max_f32_e32 v6, v5, v6
	v_cndmask_b32_e32 v5, v4, v7, vcc
	v_lshlrev_b32_e32 v5, 2, v5
	ds_bpermute_b32 v7, v5, v6
	v_cmp_lt_i32_e32 vcc, v8, v10
	s_waitcnt lgkmcnt(0)
	v_max_f32_e32 v7, v7, v7
	v_max_f32_e32 v7, v6, v7
	v_cndmask_b32_e32 v6, v4, v8, vcc
	v_lshlrev_b32_e32 v6, 2, v6
	ds_bpermute_b32 v8, v6, v7
	v_cmp_lt_i32_e32 vcc, v9, v10
	s_waitcnt lgkmcnt(0)
	v_max_f32_e32 v8, v8, v8
	v_max_f32_e32 v8, v7, v8
	v_cndmask_b32_e32 v7, v4, v9, vcc
	v_lshlrev_b32_e32 v9, 2, v7
	ds_bpermute_b32 v11, v9, v8
	v_cmp_eq_u32_e32 vcc, 0, v30
	v_lshlrev_b32_e32 v7, 2, v29
	s_and_saveexec_b64 s[0:1], vcc
	s_cbranch_execz .LBB112_22
; %bb.21:
	s_waitcnt lgkmcnt(0)
	v_max_f32_e32 v11, v11, v11
	v_max_f32_e32 v8, v8, v8
	;; [unrolled: 1-line block ×3, first 2 shown]
	ds_write_b32 v7, v8 offset:224
.LBB112_22:
	s_or_b64 exec, exec, s[0:1]
	v_cmp_gt_u32_e64 s[0:1], 2, v30
	s_waitcnt lgkmcnt(0)
	v_mov_b32_e32 v11, 0xff7fffff
	v_lshlrev_b32_e32 v8, 2, v30
	s_barrier
	s_and_saveexec_b64 s[6:7], s[0:1]
	s_cbranch_execz .LBB112_24
; %bb.23:
	ds_read_b32 v11, v8 offset:224
.LBB112_24:
	s_or_b64 exec, exec, s[6:7]
	v_xor_b32_e32 v12, 1, v4
	v_cmp_lt_i32_e64 s[6:7], v12, v10
	s_sub_i32 s3, s49, s19
	s_lshl_b32 s3, s3, 5
	v_cndmask_b32_e64 v10, v4, v12, s[6:7]
	v_lshlrev_b32_e32 v31, 2, v10
	s_waitcnt lgkmcnt(0)
	ds_bpermute_b32 v10, v31, v11
	v_max_f32_e32 v11, v11, v11
	v_lshlrev_b32_e32 v4, 2, v4
	s_add_i32 s3, s3, s50
	s_min_i32 s15, s3, s29
	s_waitcnt lgkmcnt(0)
	v_max_f32_e32 v10, v10, v10
	v_max_f32_e32 v11, v11, v10
	v_and_b32_e32 v10, 0x100, v4
	ds_bpermute_b32 v4, v10, v11
	s_sub_i32 s3, s15, s50
	v_cmp_gt_i32_e64 s[6:7], s3, v0
	v_mov_b32_e32 v11, 0
	s_and_saveexec_b64 s[38:39], s[6:7]
	s_cbranch_execz .LBB112_28
; %bb.25:
	v_mov_b32_e32 v11, 0xf0
	v_lshl_add_u32 v12, v0, 2, v11
	s_mov_b64 s[40:41], 0
	v_mov_b32_e32 v11, 0
	v_mov_b32_e32 v13, v0
.LBB112_26:                             ; =>This Inner Loop Header: Depth=1
	ds_read_b32 v16, v12
	v_add_u32_e32 v13, 0x80, v13
	v_cmp_le_i32_e64 s[8:9], s3, v13
	s_or_b64 s[40:41], s[8:9], s[40:41]
	s_waitcnt lgkmcnt(0)
	v_sub_f32_e32 v16, v16, v4
	v_mul_f32_e32 v16, 0x3fb8aa3b, v16
	v_exp_f32_e32 v16, v16
	ds_write_b32 v12, v16
	v_add_f32_e32 v11, v11, v16
	v_add_u32_e32 v12, 0x200, v12
	s_andn2_b64 exec, exec, s[40:41]
	s_cbranch_execnz .LBB112_26
; %bb.27:
	s_or_b64 exec, exec, s[40:41]
.LBB112_28:
	s_or_b64 exec, exec, s[38:39]
	ds_bpermute_b32 v2, v2, v11
	s_waitcnt lgkmcnt(0)
	v_add_f32_e32 v2, v11, v2
	ds_bpermute_b32 v3, v3, v2
	s_waitcnt lgkmcnt(0)
	v_add_f32_e32 v2, v2, v3
	;; [unrolled: 3-line block ×6, first 2 shown]
	s_and_saveexec_b64 s[8:9], vcc
	s_cbranch_execz .LBB112_30
; %bb.29:
	ds_write_b32 v7, v2 offset:232
.LBB112_30:
	s_or_b64 exec, exec, s[8:9]
	s_waitcnt lgkmcnt(0)
	s_barrier
	s_and_saveexec_b64 s[8:9], s[0:1]
	s_cbranch_execz .LBB112_32
; %bb.31:
	ds_read_b32 v2, v8 offset:232
.LBB112_32:
	s_or_b64 exec, exec, s[8:9]
	s_waitcnt lgkmcnt(0)
	ds_bpermute_b32 v3, v31, v2
	s_waitcnt lgkmcnt(0)
	v_add_f32_e32 v2, v2, v3
	ds_bpermute_b32 v5, v10, v2
	s_and_saveexec_b64 s[0:1], s[6:7]
	s_cbranch_execz .LBB112_45
; %bb.33:
	s_waitcnt lgkmcnt(0)
	v_add_f32_e32 v2, 0x358637bd, v5
	v_div_scale_f32 v3, s[6:7], v2, v2, 1.0
	v_rcp_f32_e32 v6, v3
	v_div_scale_f32 v7, vcc, 1.0, v2, 1.0
	s_movk_i32 s6, 0x7f
	v_fma_f32 v8, -v3, v6, 1.0
	v_fmac_f32_e32 v6, v8, v6
	v_mul_f32_e32 v8, v7, v6
	v_fma_f32 v10, -v3, v8, v7
	v_fmac_f32_e32 v8, v10, v6
	v_fma_f32 v3, -v3, v8, v7
	v_div_fmas_f32 v3, v3, v6, v8
	v_div_fixup_f32 v2, v3, v2, 1.0
	v_xad_u32 v3, v0, -1, s15
	v_subrev_u32_e32 v6, s50, v3
	v_cmp_lt_u32_e32 vcc, s6, v6
	s_mov_b64 s[8:9], -1
	v_mov_b32_e32 v3, v0
	s_and_saveexec_b64 s[6:7], vcc
	s_cbranch_execz .LBB112_42
; %bb.34:
	v_lshrrev_b32_e32 v6, 7, v6
	v_add_u32_e32 v8, -1, v6
	v_lshrrev_b32_e32 v7, 1, v8
	v_mov_b32_e32 v3, v2
	v_add_u32_e32 v7, 1, v7
	v_cmp_lt_u32_e32 vcc, 13, v8
	v_mov_b32_e32 v11, 0
	s_and_saveexec_b64 s[8:9], vcc
	s_cbranch_execz .LBB112_38
; %bb.35:
	v_mov_b32_e32 v10, 0xf0
	v_and_b32_e32 v8, -8, v7
	v_lshl_add_u32 v10, v0, 2, v10
	s_mov_b32 s15, 0
	s_mov_b64 s[38:39], 0
.LBB112_36:                             ; =>This Inner Loop Header: Depth=1
	ds_read2st64_b32 v[12:13], v10 offset1:2
	ds_read2st64_b32 v[16:17], v10 offset0:4 offset1:6
	ds_read2st64_b32 v[18:19], v10 offset0:8 offset1:10
	;; [unrolled: 1-line block ×3, first 2 shown]
	v_add_u32_e32 v8, -8, v8
	s_waitcnt lgkmcnt(3)
	v_pk_mul_f32 v[12:13], v[2:3], v[12:13]
	s_waitcnt lgkmcnt(2)
	v_pk_mul_f32 v[16:17], v[2:3], v[16:17]
	ds_write2st64_b32 v10, v12, v13 offset1:2
	ds_write2st64_b32 v10, v16, v17 offset0:4 offset1:6
	ds_read2st64_b32 v[16:17], v10 offset0:16 offset1:18
	s_waitcnt lgkmcnt(4)
	v_pk_mul_f32 v[12:13], v[2:3], v[18:19]
	ds_write2st64_b32 v10, v12, v13 offset0:8 offset1:10
	s_waitcnt lgkmcnt(4)
	v_pk_mul_f32 v[12:13], v[2:3], v[20:21]
	ds_write2st64_b32 v10, v12, v13 offset0:12 offset1:14
	ds_read2st64_b32 v[12:13], v10 offset0:20 offset1:22
	s_waitcnt lgkmcnt(3)
	v_pk_mul_f32 v[16:17], v[2:3], v[16:17]
	ds_read2st64_b32 v[18:19], v10 offset0:24 offset1:26
	ds_write2st64_b32 v10, v16, v17 offset0:16 offset1:18
	ds_read2st64_b32 v[16:17], v10 offset0:28 offset1:30
	s_waitcnt lgkmcnt(3)
	v_pk_mul_f32 v[12:13], v[2:3], v[12:13]
	ds_write2st64_b32 v10, v12, v13 offset0:20 offset1:22
	s_waitcnt lgkmcnt(3)
	v_pk_mul_f32 v[12:13], v[2:3], v[18:19]
	ds_write2st64_b32 v10, v12, v13 offset0:24 offset1:26
	s_waitcnt lgkmcnt(2)
	v_pk_mul_f32 v[12:13], v[2:3], v[16:17]
	s_add_i32 s15, s15, 16
	v_cmp_eq_u32_e32 vcc, 0, v8
	ds_write2st64_b32 v10, v12, v13 offset0:28 offset1:30
	v_add_u32_e32 v10, 0x2000, v10
	s_or_b64 s[38:39], vcc, s[38:39]
	v_mov_b32_e32 v11, s15
	s_andn2_b64 exec, exec, s[38:39]
	s_cbranch_execnz .LBB112_36
; %bb.37:
	s_or_b64 exec, exec, s[38:39]
.LBB112_38:
	s_or_b64 exec, exec, s[8:9]
	v_and_b32_e32 v7, 7, v7
	v_cmp_ne_u32_e32 vcc, 0, v7
	s_and_saveexec_b64 s[8:9], vcc
	s_cbranch_execz .LBB112_41
; %bb.39:
	v_lshlrev_b32_e32 v8, 9, v11
	v_lshlrev_b32_e32 v10, 2, v0
	s_movk_i32 s15, 0xf0
	v_add3_u32 v8, v8, v10, s15
	s_mov_b64 s[38:39], 0
.LBB112_40:                             ; =>This Inner Loop Header: Depth=1
	ds_read2st64_b32 v[10:11], v8 offset1:2
	v_add_u32_e32 v7, -1, v7
	v_cmp_eq_u32_e32 vcc, 0, v7
	s_or_b64 s[38:39], vcc, s[38:39]
	s_waitcnt lgkmcnt(0)
	v_pk_mul_f32 v[10:11], v[2:3], v[10:11]
	ds_write2st64_b32 v8, v10, v11 offset1:2
	v_add_u32_e32 v8, 0x400, v8
	s_andn2_b64 exec, exec, s[38:39]
	s_cbranch_execnz .LBB112_40
.LBB112_41:
	s_or_b64 exec, exec, s[8:9]
	v_add_u32_e32 v6, 1, v6
	v_and_b32_e32 v7, 0x3fffffe, v6
	v_cmp_ne_u32_e32 vcc, v6, v7
	v_lshl_add_u32 v3, v7, 7, v0
	s_orn2_b64 s[8:9], vcc, exec
.LBB112_42:
	s_or_b64 exec, exec, s[6:7]
	s_and_b64 exec, exec, s[8:9]
	s_cbranch_execz .LBB112_45
; %bb.43:
	v_mov_b32_e32 v6, 0xf0
	v_lshl_add_u32 v6, v3, 2, v6
	s_mov_b64 s[6:7], 0
.LBB112_44:                             ; =>This Inner Loop Header: Depth=1
	ds_read_b32 v7, v6
	v_add_u32_e32 v3, 0x80, v3
	v_cmp_le_i32_e32 vcc, s3, v3
	s_or_b64 s[6:7], vcc, s[6:7]
	s_waitcnt lgkmcnt(0)
	v_mul_f32_e32 v7, v2, v7
	ds_write_b32 v6, v7
	v_add_u32_e32 v6, 0x200, v6
	s_andn2_b64 exec, exec, s[6:7]
	s_cbranch_execnz .LBB112_44
.LBB112_45:
	s_or_b64 exec, exec, s[0:1]
	s_mul_i32 s0, s25, s28
	v_cmp_eq_u32_e32 vcc, 0, v0
	s_mul_i32 s6, s0, s5
	s_waitcnt lgkmcnt(0)
	s_barrier
	s_and_saveexec_b64 s[0:1], vcc
	s_cbranch_execz .LBB112_47
; %bb.46:
	s_ashr_i32 s7, s6, 31
	s_lshl_b64 s[8:9], s[6:7], 2
	s_add_u32 s5, s22, s8
	s_mul_i32 s2, s25, s2
	s_addc_u32 s7, s23, s9
	s_ashr_i32 s3, s2, 31
	s_lshl_b64 s[2:3], s[2:3], 2
	s_add_u32 s15, s5, s2
	s_addc_u32 s7, s7, s3
	s_ashr_i32 s5, s4, 31
	s_lshl_b64 s[22:23], s[4:5], 2
	s_add_u32 s38, s15, s22
	s_addc_u32 s39, s7, s23
	s_add_u32 s5, s20, s8
	s_addc_u32 s7, s21, s9
	;; [unrolled: 2-line block ×3, first 2 shown]
	s_add_u32 s2, s2, s22
	v_mov_b32_e32 v2, 0
	s_addc_u32 s3, s3, s23
	global_store_dword v2, v4, s[38:39]
	global_store_dword v2, v5, s[2:3]
.LBB112_47:
	s_or_b64 exec, exec, s[0:1]
	s_mov_b32 s8, 0
	v_mov_b32_e32 v8, 0
	v_and_b32_e32 v32, 3, v0
	v_mov_b32_e32 v7, 0
	v_mov_b32_e32 v6, 0
	;; [unrolled: 1-line block ×6, first 2 shown]
	s_and_saveexec_b64 s[2:3], s[10:11]
	s_cbranch_execz .LBB112_67
; %bb.48:
	s_ashr_i32 s15, s14, 31
	s_sub_i32 s5, s16, s17
	s_lshl_b64 s[0:1], s[14:15], 1
	s_add_u32 s16, s36, s0
	s_addc_u32 s17, s37, s1
	s_abs_i32 s20, s18
	v_cvt_f32_u32_e32 v2, s20
	s_sub_i32 s0, 0, s20
	s_add_i32 s15, s12, -1
	v_and_b32_e32 v10, 0x1f8, v28
	v_rcp_iflag_f32_e32 v2, v2
	s_mov_b32 s7, s13
	v_or_b32_e32 v12, 0x800, v10
	v_or_b32_e32 v22, 0xa00, v10
	v_mul_f32_e32 v2, 0x4f7ffffe, v2
	v_cvt_u32_f32_e32 v2, v2
	v_or_b32_e32 v24, 0xc00, v10
	s_mov_b32 s9, s8
	s_mov_b32 s10, s8
	v_mul_lo_u32 v3, s0, v2
	v_mul_hi_u32 v3, v2, v3
	s_lshl_b64 s[0:1], s[34:35], 2
	v_add_u32_e32 v34, v2, v3
	s_add_u32 s0, s30, s0
	v_lshlrev_b32_e32 v2, 5, v32
	s_addc_u32 s1, s31, s1
	v_lshl_or_b32 v2, v29, 7, v2
	v_lshl_add_u64 v[18:19], v[14:15], 2, s[0:1]
	v_add_u32_e32 v15, 0xf0, v2
	s_mov_b32 s11, s8
	s_mov_b32 s12, s8
	;; [unrolled: 1-line block ×4, first 2 shown]
	v_mov_b32_e32 v2, s8
	v_and_b32_e32 v33, 24, v28
	v_mov_b32_e32 v17, 0
	s_mov_b32 s21, s29
	s_mov_b32 s22, s29
	;; [unrolled: 1-line block ×7, first 2 shown]
	s_mov_b64 s[18:19], 0
	v_mov_b32_e32 v3, s9
	v_mov_b32_e32 v4, s10
	;; [unrolled: 1-line block ×6, first 2 shown]
	v_lshlrev_b32_e32 v20, 1, v10
	s_mov_b32 s12, 0x5040100
	v_lshlrev_b32_e32 v16, 1, v12
	v_lshlrev_b32_e32 v22, 1, v22
	;; [unrolled: 1-line block ×3, first 2 shown]
	s_branch .LBB112_51
.LBB112_49:                             ;   in Loop: Header=BB112_51 Depth=1
	s_or_b64 exec, exec, s[0:1]
	s_waitcnt vmcnt(0)
	;;#ASMSTART
	v_pk_mul_f16 v10, v45, v10;

	;;#ASMEND
	v_add_f32_e32 v21, v46, v47
	;;#ASMSTART
	v_pk_mul_f16 v11, v44, v11;

	;;#ASMEND
	;;#ASMSTART
	v_pk_mul_f16 v12, v43, v12;

	;;#ASMEND
	;; [unrolled: 4-line block ×3, first 2 shown]
	v_add_f32_e32 v2, v2, v21
	;;#ASMSTART
	v_pk_add_f16 v10, v10, v11;

	;;#ASMEND
	v_add_f32_e32 v21, v48, v49
	;;#ASMSTART
	v_pk_add_f16 v10, v10, v12;

	;;#ASMEND
	v_add_f32_e32 v3, v3, v21
	v_add_f32_e32 v21, v50, v51
	;;#ASMSTART
	v_pk_add_f16 v10, v10, v13;

	;;#ASMEND
	v_add_f32_e32 v4, v4, v21
	v_add_f32_e32 v21, v28, v29
	v_lshrrev_b32_e32 v11, 16, v10
	v_and_b32_e32 v10, 0xffff, v10
	v_add_f32_e32 v5, v5, v21
	v_add_f32_e32 v21, v52, v53
	;;#ASMSTART
	v_cvt_f32_f16 v10, v10;
	;;#ASMEND
	v_add_f32_e32 v6, v6, v21
	v_add_f32_e32 v21, v23, v54
	;;#ASMSTART
	v_cvt_f32_f16 v11, v11;
	;;#ASMEND
	v_add_f32_e32 v7, v7, v21
	v_add_f32_e32 v10, v10, v11
	;; [unrolled: 1-line block ×3, first 2 shown]
.LBB112_50:                             ;   in Loop: Header=BB112_51 Depth=1
	s_or_b64 exec, exec, s[8:9]
	v_add_u32_e32 v14, 2, v14
	v_cmp_le_i32_e32 vcc, s49, v14
	v_lshl_add_u64 v[18:19], v[18:19], 0, 8
	v_add_u32_e32 v1, 64, v1
	s_or_b64 s[18:19], vcc, s[18:19]
	v_add_u32_e32 v15, 0x100, v15
	s_andn2_b64 exec, exec, s[18:19]
	s_cbranch_execz .LBB112_66
.LBB112_51:                             ; =>This Inner Loop Header: Depth=1
	v_sub_u32_e32 v11, 0, v1
	v_max_i32_e32 v11, v1, v11
	v_mul_hi_u32 v12, v11, s46
	v_mul_lo_u32 v13, v12, s33
	v_sub_u32_e32 v11, v11, v13
	v_add_u32_e32 v13, 1, v12
	v_cmp_le_u32_e32 vcc, s33, v11
	v_ashrrev_i32_e32 v10, 31, v1
	v_xor_b32_e32 v10, s48, v10
	v_cndmask_b32_e32 v12, v12, v13, vcc
	v_subrev_u32_e32 v13, s33, v11
	v_cndmask_b32_e32 v11, v11, v13, vcc
	v_add_u32_e32 v13, 1, v12
	v_cmp_le_u32_e32 vcc, s33, v11
	s_nop 1
	v_cndmask_b32_e32 v11, v12, v13, vcc
	v_xor_b32_e32 v11, v11, v10
	v_sub_u32_e32 v10, v11, v10
	v_add_u32_e32 v11, s47, v10
	v_sub_u32_e32 v13, 0, v11
	v_ashrrev_i32_e32 v12, 31, v11
	v_max_i32_e32 v11, v11, v13
	v_mul_hi_u32 v13, v11, v34
	v_mul_lo_u32 v13, v13, s20
	v_sub_u32_e32 v11, v11, v13
	v_subrev_u32_e32 v13, s20, v11
	v_cmp_le_u32_e32 vcc, s20, v11
	v_cmp_lt_i32_e64 s[0:1], s5, v10
	s_nop 0
	v_cndmask_b32_e32 v11, v11, v13, vcc
	v_subrev_u32_e32 v13, s20, v11
	v_cmp_le_u32_e32 vcc, s20, v11
	s_nop 1
	v_cndmask_b32_e32 v11, v11, v13, vcc
	v_xor_b32_e32 v11, v11, v12
	v_sub_u32_e32 v11, v11, v12
	v_cmp_eq_u32_e32 vcc, 0, v11
	s_or_b64 s[0:1], vcc, s[0:1]
	s_and_saveexec_b64 s[8:9], s[0:1]
	s_cbranch_execz .LBB112_50
; %bb.52:                               ;   in Loop: Header=BB112_51 Depth=1
	global_load_dword v21, v[18:19], off
	ds_read2_b64 v[10:13], v15 offset1:1
	ds_read2_b64 v[26:29], v15 offset0:2 offset1:3
	v_cmp_eq_u32_e32 vcc, s15, v14
	s_waitcnt lgkmcnt(1)
	;;#ASMSTART
	v_cvt_f16_f32 v23, v10;

	;;#ASMEND
	;;#ASMSTART
	v_cvt_f16_f32 v25, v11;

	;;#ASMEND
	;; [unrolled: 4-line block ×4, first 2 shown]
	s_waitcnt lgkmcnt(0)
	;;#ASMSTART
	v_cvt_f16_f32 v46, v26;

	;;#ASMEND
	;;#ASMSTART
	v_cvt_f16_f32 v47, v27;

	;;#ASMEND
	;; [unrolled: 4-line block ×4, first 2 shown]
	s_waitcnt vmcnt(0)
	v_mad_i64_i32 v[10:11], s[0:1], v21, s7, 0
	v_lshl_add_u64 v[26:27], v[10:11], 1, s[16:17]
	v_mov_b32_e32 v21, v17
	v_lshl_add_u64 v[28:29], v[26:27], 0, v[20:21]
	global_load_dwordx4 v[10:13], v[28:29], off
	v_add_u32_e32 v21, v33, v1
	v_add_u32_e32 v35, 1, v21
	v_or_b32_e32 v37, 3, v21
	v_or_b32_e32 v36, 2, v21
	;; [unrolled: 1-line block ×6, first 2 shown]
	s_and_saveexec_b64 s[10:11], vcc
	s_cbranch_execz .LBB112_54
; %bb.53:                               ;   in Loop: Header=BB112_51 Depth=1
	s_waitcnt vmcnt(0)
	v_lshrrev_b32_e32 v44, 16, v13
	v_cmp_gt_i32_e64 s[0:1], s38, v41
	s_nop 1
	v_cndmask_b32_e64 v44, 0, v44, s[0:1]
	v_cmp_gt_i32_e64 s[0:1], s37, v40
	s_nop 1
	v_cndmask_b32_e64 v13, 0, v13, s[0:1]
	v_perm_b32 v13, v44, v13, s12
	v_lshrrev_b32_e32 v44, 16, v12
	v_cmp_gt_i32_e64 s[0:1], s36, v39
	s_nop 1
	v_cndmask_b32_e64 v44, 0, v44, s[0:1]
	v_cmp_gt_i32_e64 s[0:1], s28, v38
	s_nop 1
	v_cndmask_b32_e64 v12, 0, v12, s[0:1]
	v_perm_b32 v12, v44, v12, s12
	;; [unrolled: 8-line block ×4, first 2 shown]
.LBB112_54:                             ;   in Loop: Header=BB112_51 Depth=1
	s_or_b64 exec, exec, s[10:11]
	v_and_b32_e32 v23, 0xffff, v23
	v_lshl_or_b32 v45, v25, 16, v23
	v_and_b32_e32 v23, 0xffff, v42
	v_lshl_or_b32 v44, v43, 16, v23
	;; [unrolled: 2-line block ×3, first 2 shown]
	v_and_b32_e32 v23, 0xffff, v48
	s_waitcnt vmcnt(0)
	;;#ASMSTART
	v_pk_mul_f16 v10, v45, v10;

	;;#ASMEND
	v_lshl_or_b32 v42, v49, 16, v23
	;;#ASMSTART
	v_pk_mul_f16 v11, v44, v11;

	;;#ASMEND
	;;#ASMSTART
	v_pk_mul_f16 v12, v43, v12;

	;;#ASMEND
	;; [unrolled: 4-line block ×3, first 2 shown]
	s_nop 0
	;;#ASMSTART
	v_pk_add_f16 v10, v10, v11;

	;;#ASMEND
	s_nop 0
	;;#ASMSTART
	v_pk_add_f16 v10, v10, v12;

	;;#ASMEND
	;; [unrolled: 5-line block ×3, first 2 shown]
	s_nop 0
	v_lshrrev_b32_e32 v11, 16, v10
	v_and_b32_e32 v10, 0xffff, v10
	;;#ASMSTART
	v_cvt_f32_f16 v46, v10;
	;;#ASMEND
	;;#ASMSTART
	v_cvt_f32_f16 v47, v11;
	;;#ASMEND
	global_load_dwordx4 v[10:13], v[28:29], off offset:1024
	s_and_saveexec_b64 s[10:11], vcc
	s_cbranch_execz .LBB112_56
; %bb.55:                               ;   in Loop: Header=BB112_51 Depth=1
	s_waitcnt vmcnt(0)
	v_lshrrev_b32_e32 v23, 16, v13
	v_cmp_gt_i32_e64 s[0:1], s38, v41
	s_nop 1
	v_cndmask_b32_e64 v23, 0, v23, s[0:1]
	v_cmp_gt_i32_e64 s[0:1], s37, v40
	s_nop 1
	v_cndmask_b32_e64 v13, 0, v13, s[0:1]
	v_perm_b32 v13, v23, v13, s12
	v_lshrrev_b32_e32 v23, 16, v12
	v_cmp_gt_i32_e64 s[0:1], s36, v39
	s_nop 1
	v_cndmask_b32_e64 v23, 0, v23, s[0:1]
	v_cmp_gt_i32_e64 s[0:1], s28, v38
	s_nop 1
	v_cndmask_b32_e64 v12, 0, v12, s[0:1]
	v_perm_b32 v12, v23, v12, s12
	;; [unrolled: 8-line block ×4, first 2 shown]
.LBB112_56:                             ;   in Loop: Header=BB112_51 Depth=1
	s_or_b64 exec, exec, s[10:11]
	s_waitcnt vmcnt(0)
	;;#ASMSTART
	v_pk_mul_f16 v10, v45, v10;

	;;#ASMEND
	;;#ASMSTART
	v_pk_mul_f16 v11, v44, v11;

	;;#ASMEND
	;; [unrolled: 4-line block ×4, first 2 shown]
	s_nop 0
	;;#ASMSTART
	v_pk_add_f16 v10, v10, v11;

	;;#ASMEND
	s_nop 0
	;;#ASMSTART
	v_pk_add_f16 v10, v10, v12;

	;;#ASMEND
	;; [unrolled: 5-line block ×3, first 2 shown]
	s_nop 0
	v_lshrrev_b32_e32 v11, 16, v10
	v_and_b32_e32 v10, 0xffff, v10
	;;#ASMSTART
	v_cvt_f32_f16 v48, v10;
	;;#ASMEND
	;;#ASMSTART
	v_cvt_f32_f16 v49, v11;
	;;#ASMEND
	global_load_dwordx4 v[10:13], v[28:29], off offset:2048
	s_and_saveexec_b64 s[10:11], vcc
	s_cbranch_execz .LBB112_58
; %bb.57:                               ;   in Loop: Header=BB112_51 Depth=1
	s_waitcnt vmcnt(0)
	v_lshrrev_b32_e32 v23, 16, v13
	v_cmp_gt_i32_e64 s[0:1], s38, v41
	s_nop 1
	v_cndmask_b32_e64 v23, 0, v23, s[0:1]
	v_cmp_gt_i32_e64 s[0:1], s37, v40
	s_nop 1
	v_cndmask_b32_e64 v13, 0, v13, s[0:1]
	v_perm_b32 v13, v23, v13, s12
	v_lshrrev_b32_e32 v23, 16, v12
	v_cmp_gt_i32_e64 s[0:1], s36, v39
	s_nop 1
	v_cndmask_b32_e64 v23, 0, v23, s[0:1]
	v_cmp_gt_i32_e64 s[0:1], s28, v38
	s_nop 1
	v_cndmask_b32_e64 v12, 0, v12, s[0:1]
	v_perm_b32 v12, v23, v12, s12
	;; [unrolled: 8-line block ×4, first 2 shown]
.LBB112_58:                             ;   in Loop: Header=BB112_51 Depth=1
	s_or_b64 exec, exec, s[10:11]
	s_waitcnt vmcnt(0)
	;;#ASMSTART
	v_pk_mul_f16 v10, v45, v10;

	;;#ASMEND
	;;#ASMSTART
	v_pk_mul_f16 v11, v44, v11;

	;;#ASMEND
	;;#ASMSTART
	v_pk_mul_f16 v12, v43, v12;

	;;#ASMEND
	;;#ASMSTART
	v_pk_mul_f16 v13, v42, v13;

	;;#ASMEND
	s_nop 0
	;;#ASMSTART
	v_pk_add_f16 v10, v10, v11;

	;;#ASMEND
	s_nop 0
	;;#ASMSTART
	v_pk_add_f16 v10, v10, v12;

	;;#ASMEND
	;; [unrolled: 5-line block ×3, first 2 shown]
	s_nop 0
	v_lshrrev_b32_e32 v11, 16, v10
	v_and_b32_e32 v10, 0xffff, v10
	;;#ASMSTART
	v_cvt_f32_f16 v50, v10;
	;;#ASMEND
	;;#ASMSTART
	v_cvt_f32_f16 v51, v11;
	;;#ASMEND
	global_load_dwordx4 v[10:13], v[28:29], off offset:3072
	s_and_saveexec_b64 s[10:11], vcc
	s_cbranch_execz .LBB112_60
; %bb.59:                               ;   in Loop: Header=BB112_51 Depth=1
	s_waitcnt vmcnt(0)
	v_lshrrev_b32_e32 v23, 16, v13
	v_cmp_gt_i32_e64 s[0:1], s38, v41
	s_nop 1
	v_cndmask_b32_e64 v23, 0, v23, s[0:1]
	v_cmp_gt_i32_e64 s[0:1], s37, v40
	s_nop 1
	v_cndmask_b32_e64 v13, 0, v13, s[0:1]
	v_perm_b32 v13, v23, v13, s12
	v_lshrrev_b32_e32 v23, 16, v12
	v_cmp_gt_i32_e64 s[0:1], s36, v39
	s_nop 1
	v_cndmask_b32_e64 v23, 0, v23, s[0:1]
	v_cmp_gt_i32_e64 s[0:1], s28, v38
	s_nop 1
	v_cndmask_b32_e64 v12, 0, v12, s[0:1]
	v_perm_b32 v12, v23, v12, s12
	v_lshrrev_b32_e32 v23, 16, v11
	v_cmp_gt_i32_e64 s[0:1], s23, v37
	s_nop 1
	v_cndmask_b32_e64 v23, 0, v23, s[0:1]
	v_cmp_gt_i32_e64 s[0:1], s22, v36
	s_nop 1
	v_cndmask_b32_e64 v11, 0, v11, s[0:1]
	v_perm_b32 v11, v23, v11, s12
	v_lshrrev_b32_e32 v23, 16, v10
	v_cmp_gt_i32_e64 s[0:1], s21, v35
	s_nop 1
	v_cndmask_b32_e64 v23, 0, v23, s[0:1]
	v_cmp_gt_i32_e64 s[0:1], s29, v21
	s_nop 1
	v_cndmask_b32_e64 v10, 0, v10, s[0:1]
	v_perm_b32 v10, v23, v10, s12
.LBB112_60:                             ;   in Loop: Header=BB112_51 Depth=1
	s_or_b64 exec, exec, s[10:11]
	s_waitcnt vmcnt(0)
	;;#ASMSTART
	v_pk_mul_f16 v10, v45, v10;

	;;#ASMEND
	;;#ASMSTART
	v_pk_mul_f16 v11, v44, v11;

	;;#ASMEND
	;; [unrolled: 4-line block ×4, first 2 shown]
	s_nop 0
	;;#ASMSTART
	v_pk_add_f16 v10, v10, v11;

	;;#ASMEND
	s_nop 0
	;;#ASMSTART
	v_pk_add_f16 v10, v10, v12;

	;;#ASMEND
	;; [unrolled: 5-line block ×3, first 2 shown]
	s_nop 0
	v_lshrrev_b32_e32 v11, 16, v10
	v_and_b32_e32 v10, 0xffff, v10
	;;#ASMSTART
	v_cvt_f32_f16 v28, v10;
	;;#ASMEND
	;;#ASMSTART
	v_cvt_f32_f16 v29, v11;
	;;#ASMEND
	v_lshl_add_u64 v[10:11], v[26:27], 0, v[16:17]
	global_load_dwordx4 v[10:13], v[10:11], off
	s_and_saveexec_b64 s[10:11], vcc
	s_cbranch_execz .LBB112_62
; %bb.61:                               ;   in Loop: Header=BB112_51 Depth=1
	s_waitcnt vmcnt(0)
	v_lshrrev_b32_e32 v23, 16, v13
	v_cmp_gt_i32_e64 s[0:1], s38, v41
	s_nop 1
	v_cndmask_b32_e64 v23, 0, v23, s[0:1]
	v_cmp_gt_i32_e64 s[0:1], s37, v40
	s_nop 1
	v_cndmask_b32_e64 v13, 0, v13, s[0:1]
	v_perm_b32 v13, v23, v13, s12
	v_lshrrev_b32_e32 v23, 16, v12
	v_cmp_gt_i32_e64 s[0:1], s36, v39
	s_nop 1
	v_cndmask_b32_e64 v23, 0, v23, s[0:1]
	v_cmp_gt_i32_e64 s[0:1], s28, v38
	s_nop 1
	v_cndmask_b32_e64 v12, 0, v12, s[0:1]
	v_perm_b32 v12, v23, v12, s12
	v_lshrrev_b32_e32 v23, 16, v11
	v_cmp_gt_i32_e64 s[0:1], s23, v37
	s_nop 1
	v_cndmask_b32_e64 v23, 0, v23, s[0:1]
	v_cmp_gt_i32_e64 s[0:1], s22, v36
	s_nop 1
	v_cndmask_b32_e64 v11, 0, v11, s[0:1]
	v_perm_b32 v11, v23, v11, s12
	v_lshrrev_b32_e32 v23, 16, v10
	v_cmp_gt_i32_e64 s[0:1], s21, v35
	s_nop 1
	v_cndmask_b32_e64 v23, 0, v23, s[0:1]
	v_cmp_gt_i32_e64 s[0:1], s29, v21
	s_nop 1
	v_cndmask_b32_e64 v10, 0, v10, s[0:1]
	v_perm_b32 v10, v23, v10, s12
.LBB112_62:                             ;   in Loop: Header=BB112_51 Depth=1
	s_or_b64 exec, exec, s[10:11]
	s_waitcnt vmcnt(0)
	;;#ASMSTART
	v_pk_mul_f16 v10, v45, v10;

	;;#ASMEND
	;;#ASMSTART
	v_pk_mul_f16 v11, v44, v11;

	;;#ASMEND
	;; [unrolled: 4-line block ×4, first 2 shown]
	v_mov_b32_e32 v23, v17
	;;#ASMSTART
	v_pk_add_f16 v10, v10, v11;

	;;#ASMEND
	s_nop 0
	;;#ASMSTART
	v_pk_add_f16 v10, v10, v12;

	;;#ASMEND
	s_nop 0
	;; [unrolled: 5-line block ×3, first 2 shown]
	v_lshrrev_b32_e32 v11, 16, v10
	v_and_b32_e32 v10, 0xffff, v10
	;;#ASMSTART
	v_cvt_f32_f16 v52, v10;
	;;#ASMEND
	;;#ASMSTART
	v_cvt_f32_f16 v53, v11;
	;;#ASMEND
	v_lshl_add_u64 v[10:11], v[26:27], 0, v[22:23]
	global_load_dwordx4 v[10:13], v[10:11], off
	s_and_saveexec_b64 s[10:11], vcc
	s_cbranch_execz .LBB112_64
; %bb.63:                               ;   in Loop: Header=BB112_51 Depth=1
	s_waitcnt vmcnt(0)
	v_lshrrev_b32_e32 v23, 16, v13
	v_cmp_gt_i32_e64 s[0:1], s38, v41
	s_nop 1
	v_cndmask_b32_e64 v23, 0, v23, s[0:1]
	v_cmp_gt_i32_e64 s[0:1], s37, v40
	s_nop 1
	v_cndmask_b32_e64 v13, 0, v13, s[0:1]
	v_perm_b32 v13, v23, v13, s12
	v_lshrrev_b32_e32 v23, 16, v12
	v_cmp_gt_i32_e64 s[0:1], s36, v39
	s_nop 1
	v_cndmask_b32_e64 v23, 0, v23, s[0:1]
	v_cmp_gt_i32_e64 s[0:1], s28, v38
	s_nop 1
	v_cndmask_b32_e64 v12, 0, v12, s[0:1]
	v_perm_b32 v12, v23, v12, s12
	;; [unrolled: 8-line block ×4, first 2 shown]
.LBB112_64:                             ;   in Loop: Header=BB112_51 Depth=1
	s_or_b64 exec, exec, s[10:11]
	s_waitcnt vmcnt(0)
	;;#ASMSTART
	v_pk_mul_f16 v10, v45, v10;

	;;#ASMEND
	;;#ASMSTART
	v_pk_mul_f16 v11, v44, v11;

	;;#ASMEND
	;; [unrolled: 4-line block ×4, first 2 shown]
	v_mov_b32_e32 v25, v17
	;;#ASMSTART
	v_pk_add_f16 v10, v10, v11;

	;;#ASMEND
	s_nop 0
	;;#ASMSTART
	v_pk_add_f16 v10, v10, v12;

	;;#ASMEND
	s_nop 0
	;; [unrolled: 5-line block ×3, first 2 shown]
	v_lshrrev_b32_e32 v11, 16, v10
	v_and_b32_e32 v10, 0xffff, v10
	;;#ASMSTART
	v_cvt_f32_f16 v23, v10;
	;;#ASMEND
	;;#ASMSTART
	v_cvt_f32_f16 v54, v11;
	;;#ASMEND
	v_lshl_add_u64 v[10:11], v[26:27], 0, v[24:25]
	global_load_dwordx4 v[10:13], v[10:11], off
	s_and_saveexec_b64 s[0:1], vcc
	s_cbranch_execz .LBB112_49
; %bb.65:                               ;   in Loop: Header=BB112_51 Depth=1
	s_waitcnt vmcnt(0)
	v_lshrrev_b32_e32 v25, 16, v13
	v_cmp_gt_i32_e32 vcc, s38, v41
	s_nop 1
	v_cndmask_b32_e32 v25, 0, v25, vcc
	v_cmp_gt_i32_e32 vcc, s37, v40
	s_nop 1
	v_cndmask_b32_e32 v13, 0, v13, vcc
	v_perm_b32 v13, v25, v13, s12
	v_lshrrev_b32_e32 v25, 16, v12
	v_cmp_gt_i32_e32 vcc, s36, v39
	s_nop 1
	v_cndmask_b32_e32 v25, 0, v25, vcc
	v_cmp_gt_i32_e32 vcc, s28, v38
	s_nop 1
	v_cndmask_b32_e32 v12, 0, v12, vcc
	v_perm_b32 v12, v25, v12, s12
	;; [unrolled: 8-line block ×4, first 2 shown]
	s_branch .LBB112_49
.LBB112_66:
	s_or_b64 exec, exec, s[18:19]
.LBB112_67:
	s_or_b64 exec, exec, s[2:3]
	ds_bpermute_b32 v10, v9, v2
	ds_bpermute_b32 v11, v9, v3
	;; [unrolled: 1-line block ×7, first 2 shown]
	s_waitcnt lgkmcnt(5)
	v_pk_add_f32 v[2:3], v[2:3], v[10:11]
	s_waitcnt lgkmcnt(3)
	v_pk_add_f32 v[6:7], v[6:7], v[14:15]
	s_waitcnt lgkmcnt(2)
	v_add_f32_e32 v1, v8, v1
	ds_bpermute_b32 v10, v31, v2
	ds_bpermute_b32 v11, v31, v3
	s_waitcnt lgkmcnt(2)
	v_pk_add_f32 v[4:5], v[4:5], v[12:13]
	ds_bpermute_b32 v14, v31, v6
	ds_bpermute_b32 v15, v31, v7
	;; [unrolled: 1-line block ×5, first 2 shown]
	s_waitcnt lgkmcnt(5)
	v_pk_add_f32 v[8:9], v[2:3], v[10:11]
	s_waitcnt lgkmcnt(3)
	v_pk_add_f32 v[2:3], v[6:7], v[14:15]
	s_waitcnt lgkmcnt(2)
	v_add_f32_e32 v6, v1, v16
	v_and_b32_e32 v1, 0x3c3, v0
	s_waitcnt lgkmcnt(0)
	v_pk_add_f32 v[4:5], v[4:5], v[12:13]
	v_cmp_eq_u32_e32 vcc, 64, v1
	s_barrier
	s_and_saveexec_b64 s[0:1], vcc
	s_cbranch_execz .LBB112_69
; %bb.68:
	v_add_u32_e32 v7, 0xf0, v30
	ds_write2_b32 v7, v8, v9 offset1:16
	ds_write2_b32 v7, v4, v5 offset0:32 offset1:48
	ds_write2_b32 v7, v2, v3 offset0:64 offset1:80
	ds_write_b32 v7, v6 offset:384
.LBB112_69:
	s_or_b64 exec, exec, s[0:1]
	v_cmp_gt_u32_e32 vcc, 64, v0
	s_waitcnt lgkmcnt(0)
	s_barrier
	s_and_saveexec_b64 s[0:1], vcc
	s_cbranch_execz .LBB112_79
; %bb.70:
	v_cmp_eq_u32_e32 vcc, 0, v32
	v_lshrrev_b32_e32 v7, 2, v0
	s_and_saveexec_b64 s[2:3], vcc
	s_cbranch_execnz .LBB112_82
; %bb.71:
	s_or_b64 exec, exec, s[2:3]
	s_and_saveexec_b64 s[2:3], vcc
	s_cbranch_execnz .LBB112_83
.LBB112_72:
	s_or_b64 exec, exec, s[2:3]
	s_and_saveexec_b64 s[2:3], vcc
	s_cbranch_execnz .LBB112_84
.LBB112_73:
	s_or_b64 exec, exec, s[2:3]
	s_and_saveexec_b64 s[2:3], vcc
	s_cbranch_execnz .LBB112_85
.LBB112_74:
	s_or_b64 exec, exec, s[2:3]
	s_and_saveexec_b64 s[2:3], vcc
	s_cbranch_execnz .LBB112_86
.LBB112_75:
	s_or_b64 exec, exec, s[2:3]
	s_and_saveexec_b64 s[2:3], vcc
	s_cbranch_execnz .LBB112_87
.LBB112_76:
	s_or_b64 exec, exec, s[2:3]
	s_and_saveexec_b64 s[2:3], vcc
	s_cbranch_execz .LBB112_78
.LBB112_77:
	v_mov_b32_e32 v10, 0xf0
	v_lshl_add_u32 v7, v7, 2, v10
	ds_read_b32 v7, v7 offset:384
	s_waitcnt lgkmcnt(0)
	v_add_f32_e32 v6, v6, v7
.LBB112_78:
	s_or_b64 exec, exec, s[2:3]
.LBB112_79:
	s_or_b64 exec, exec, s[0:1]
	v_cmp_eq_u32_e32 vcc, 0, v1
	s_barrier
	s_and_saveexec_b64 s[0:1], vcc
	s_cbranch_execz .LBB112_81
; %bb.80:
	s_mul_i32 s0, s6, 0x70
	s_ashr_i32 s1, s0, 31
	s_lshl_b64 s[0:1], s[0:1], 1
	s_add_u32 s2, s26, s0
	s_mul_i32 s0, s25, s24
	s_addc_u32 s3, s27, s1
	s_ashr_i32 s1, s0, 31
	s_lshl_b64 s[0:1], s[0:1], 1
	s_add_u32 s2, s2, s0
	s_mul_i32 s0, s4, 0x70
	s_addc_u32 s3, s3, s1
	s_ashr_i32 s1, s0, 31
	s_lshl_b64 s[0:1], s[0:1], 1
	s_add_u32 s0, s2, s0
	s_addc_u32 s1, s3, s1
	v_lshrrev_b32_e32 v0, 1, v0
	;;#ASMSTART
	v_cvt_f16_f32 v1, v8;

	;;#ASMEND
	global_store_short v0, v1, s[0:1]
	;;#ASMSTART
	v_cvt_f16_f32 v1, v9;

	;;#ASMEND
	global_store_short v0, v1, s[0:1] offset:32
	;;#ASMSTART
	v_cvt_f16_f32 v1, v4;

	;;#ASMEND
	global_store_short v0, v1, s[0:1] offset:64
	;; [unrolled: 5-line block ×6, first 2 shown]
.LBB112_81:
	s_endpgm
.LBB112_82:
	v_mov_b32_e32 v10, 0xf0
	v_lshl_add_u32 v10, v7, 2, v10
	ds_read_b32 v10, v10
	s_waitcnt lgkmcnt(0)
	v_add_f32_e32 v8, v8, v10
	s_or_b64 exec, exec, s[2:3]
	s_and_saveexec_b64 s[2:3], vcc
	s_cbranch_execz .LBB112_72
.LBB112_83:
	v_mov_b32_e32 v10, 0xf0
	v_lshl_add_u32 v10, v7, 2, v10
	ds_read_b32 v10, v10 offset:64
	s_waitcnt lgkmcnt(0)
	v_add_f32_e32 v9, v9, v10
	s_or_b64 exec, exec, s[2:3]
	s_and_saveexec_b64 s[2:3], vcc
	s_cbranch_execz .LBB112_73
.LBB112_84:
	v_mov_b32_e32 v10, 0xf0
	v_lshl_add_u32 v10, v7, 2, v10
	ds_read_b32 v10, v10 offset:128
	s_waitcnt lgkmcnt(0)
	v_add_f32_e32 v4, v4, v10
	s_or_b64 exec, exec, s[2:3]
	s_and_saveexec_b64 s[2:3], vcc
	s_cbranch_execz .LBB112_74
.LBB112_85:
	v_mov_b32_e32 v10, 0xf0
	v_lshl_add_u32 v10, v7, 2, v10
	ds_read_b32 v10, v10 offset:192
	s_waitcnt lgkmcnt(0)
	v_add_f32_e32 v5, v5, v10
	s_or_b64 exec, exec, s[2:3]
	s_and_saveexec_b64 s[2:3], vcc
	s_cbranch_execz .LBB112_75
.LBB112_86:
	v_mov_b32_e32 v10, 0xf0
	v_lshl_add_u32 v10, v7, 2, v10
	ds_read_b32 v10, v10 offset:256
	s_waitcnt lgkmcnt(0)
	v_add_f32_e32 v2, v2, v10
	s_or_b64 exec, exec, s[2:3]
	s_and_saveexec_b64 s[2:3], vcc
	s_cbranch_execz .LBB112_76
.LBB112_87:
	v_mov_b32_e32 v10, 0xf0
	v_lshl_add_u32 v10, v7, 2, v10
	ds_read_b32 v10, v10 offset:320
	s_waitcnt lgkmcnt(0)
	v_add_f32_e32 v3, v3, v10
	s_or_b64 exec, exec, s[2:3]
	s_and_saveexec_b64 s[2:3], vcc
	s_cbranch_execnz .LBB112_77
	s_branch .LBB112_78
	.section	.rodata,"a",@progbits
	.p2align	6, 0x0
	.amdhsa_kernel _ZN4vllm25paged_attention_v2_kernelIttLi112ELi32ELi128ELNS_18Fp8KVCacheDataTypeE0ELb1ELi512EEEvPfS2_PT_PKS3_PKT0_S9_ifPKiSB_iPKfiiiSD_SD_iiiii
		.amdhsa_group_segment_fixed_size 240
		.amdhsa_private_segment_fixed_size 0
		.amdhsa_kernarg_size 400
		.amdhsa_user_sgpr_count 2
		.amdhsa_user_sgpr_dispatch_ptr 0
		.amdhsa_user_sgpr_queue_ptr 0
		.amdhsa_user_sgpr_kernarg_segment_ptr 1
		.amdhsa_user_sgpr_dispatch_id 0
		.amdhsa_user_sgpr_kernarg_preload_length 0
		.amdhsa_user_sgpr_kernarg_preload_offset 0
		.amdhsa_user_sgpr_private_segment_size 0
		.amdhsa_uses_dynamic_stack 0
		.amdhsa_enable_private_segment 0
		.amdhsa_system_sgpr_workgroup_id_x 1
		.amdhsa_system_sgpr_workgroup_id_y 1
		.amdhsa_system_sgpr_workgroup_id_z 1
		.amdhsa_system_sgpr_workgroup_info 0
		.amdhsa_system_vgpr_workitem_id 0
		.amdhsa_next_free_vgpr 80
		.amdhsa_next_free_sgpr 56
		.amdhsa_accum_offset 80
		.amdhsa_reserve_vcc 1
		.amdhsa_float_round_mode_32 0
		.amdhsa_float_round_mode_16_64 0
		.amdhsa_float_denorm_mode_32 3
		.amdhsa_float_denorm_mode_16_64 3
		.amdhsa_dx10_clamp 1
		.amdhsa_ieee_mode 1
		.amdhsa_fp16_overflow 0
		.amdhsa_tg_split 0
		.amdhsa_exception_fp_ieee_invalid_op 0
		.amdhsa_exception_fp_denorm_src 0
		.amdhsa_exception_fp_ieee_div_zero 0
		.amdhsa_exception_fp_ieee_overflow 0
		.amdhsa_exception_fp_ieee_underflow 0
		.amdhsa_exception_fp_ieee_inexact 0
		.amdhsa_exception_int_div_zero 0
	.end_amdhsa_kernel
	.section	.text._ZN4vllm25paged_attention_v2_kernelIttLi112ELi32ELi128ELNS_18Fp8KVCacheDataTypeE0ELb1ELi512EEEvPfS2_PT_PKS3_PKT0_S9_ifPKiSB_iPKfiiiSD_SD_iiiii,"axG",@progbits,_ZN4vllm25paged_attention_v2_kernelIttLi112ELi32ELi128ELNS_18Fp8KVCacheDataTypeE0ELb1ELi512EEEvPfS2_PT_PKS3_PKT0_S9_ifPKiSB_iPKfiiiSD_SD_iiiii,comdat
.Lfunc_end112:
	.size	_ZN4vllm25paged_attention_v2_kernelIttLi112ELi32ELi128ELNS_18Fp8KVCacheDataTypeE0ELb1ELi512EEEvPfS2_PT_PKS3_PKT0_S9_ifPKiSB_iPKfiiiSD_SD_iiiii, .Lfunc_end112-_ZN4vllm25paged_attention_v2_kernelIttLi112ELi32ELi128ELNS_18Fp8KVCacheDataTypeE0ELb1ELi512EEEvPfS2_PT_PKS3_PKT0_S9_ifPKiSB_iPKfiiiSD_SD_iiiii
                                        ; -- End function
	.section	.AMDGPU.csdata,"",@progbits
; Kernel info:
; codeLenInByte = 9124
; NumSgprs: 62
; NumVgprs: 80
; NumAgprs: 0
; TotalNumVgprs: 80
; ScratchSize: 0
; MemoryBound: 0
; FloatMode: 240
; IeeeMode: 1
; LDSByteSize: 240 bytes/workgroup (compile time only)
; SGPRBlocks: 7
; VGPRBlocks: 9
; NumSGPRsForWavesPerEU: 62
; NumVGPRsForWavesPerEU: 80
; AccumOffset: 80
; Occupancy: 6
; WaveLimiterHint : 1
; COMPUTE_PGM_RSRC2:SCRATCH_EN: 0
; COMPUTE_PGM_RSRC2:USER_SGPR: 2
; COMPUTE_PGM_RSRC2:TRAP_HANDLER: 0
; COMPUTE_PGM_RSRC2:TGID_X_EN: 1
; COMPUTE_PGM_RSRC2:TGID_Y_EN: 1
; COMPUTE_PGM_RSRC2:TGID_Z_EN: 1
; COMPUTE_PGM_RSRC2:TIDIG_COMP_CNT: 0
; COMPUTE_PGM_RSRC3_GFX90A:ACCUM_OFFSET: 19
; COMPUTE_PGM_RSRC3_GFX90A:TG_SPLIT: 0
	.section	.text._ZN4vllm25paged_attention_v2_kernelIttLi120ELi32ELi128ELNS_18Fp8KVCacheDataTypeE0ELb1ELi512EEEvPfS2_PT_PKS3_PKT0_S9_ifPKiSB_iPKfiiiSD_SD_iiiii,"axG",@progbits,_ZN4vllm25paged_attention_v2_kernelIttLi120ELi32ELi128ELNS_18Fp8KVCacheDataTypeE0ELb1ELi512EEEvPfS2_PT_PKS3_PKT0_S9_ifPKiSB_iPKfiiiSD_SD_iiiii,comdat
	.protected	_ZN4vllm25paged_attention_v2_kernelIttLi120ELi32ELi128ELNS_18Fp8KVCacheDataTypeE0ELb1ELi512EEEvPfS2_PT_PKS3_PKT0_S9_ifPKiSB_iPKfiiiSD_SD_iiiii ; -- Begin function _ZN4vllm25paged_attention_v2_kernelIttLi120ELi32ELi128ELNS_18Fp8KVCacheDataTypeE0ELb1ELi512EEEvPfS2_PT_PKS3_PKT0_S9_ifPKiSB_iPKfiiiSD_SD_iiiii
	.globl	_ZN4vllm25paged_attention_v2_kernelIttLi120ELi32ELi128ELNS_18Fp8KVCacheDataTypeE0ELb1ELi512EEEvPfS2_PT_PKS3_PKT0_S9_ifPKiSB_iPKfiiiSD_SD_iiiii
	.p2align	8
	.type	_ZN4vllm25paged_attention_v2_kernelIttLi120ELi32ELi128ELNS_18Fp8KVCacheDataTypeE0ELb1ELi512EEEvPfS2_PT_PKS3_PKT0_S9_ifPKiSB_iPKfiiiSD_SD_iiiii,@function
_ZN4vllm25paged_attention_v2_kernelIttLi120ELi32ELi128ELNS_18Fp8KVCacheDataTypeE0ELb1ELi512EEEvPfS2_PT_PKS3_PKT0_S9_ifPKiSB_iPKfiiiSD_SD_iiiii: ; @_ZN4vllm25paged_attention_v2_kernelIttLi120ELi32ELi128ELNS_18Fp8KVCacheDataTypeE0ELb1ELi512EEEvPfS2_PT_PKS3_PKT0_S9_ifPKiSB_iPKfiiiSD_SD_iiiii
; %bb.0:
	s_load_dwordx2 s[6:7], s[0:1], 0x40
	s_mov_b32 s28, s3
	s_ashr_i32 s29, s3, 31
	s_lshl_b64 s[8:9], s[28:29], 2
	s_waitcnt lgkmcnt(0)
	s_add_u32 s6, s6, s8
	s_addc_u32 s7, s7, s9
	s_load_dword s29, s[6:7], 0x0
	s_lshl_b32 s50, s4, 9
	s_waitcnt lgkmcnt(0)
	s_cmp_ge_i32 s50, s29
	s_cbranch_scc1 .LBB113_93
; %bb.1:
	s_load_dword s5, s[0:1], 0x90
	s_load_dwordx2 s[38:39], s[0:1], 0x30
	s_mov_b32 s51, 0
	s_waitcnt lgkmcnt(0)
	s_abs_i32 s7, s5
	s_abs_i32 s3, s38
	v_cvt_f32_u32_e32 v1, s3
	s_sub_i32 s8, 0, s3
	s_xor_b32 s6, s5, s38
	s_ashr_i32 s6, s6, 31
	v_rcp_iflag_f32_e32 v1, v1
	s_nop 0
	v_mul_f32_e32 v1, 0x4f7ffffe, v1
	v_cvt_u32_f32_e32 v1, v1
	s_nop 0
	v_readfirstlane_b32 s9, v1
	s_mul_i32 s8, s8, s9
	s_mul_hi_u32 s8, s9, s8
	s_add_i32 s9, s9, s8
	s_mul_hi_u32 s8, s7, s9
	s_mul_i32 s9, s8, s3
	s_sub_i32 s7, s7, s9
	s_add_i32 s10, s8, 1
	s_sub_i32 s9, s7, s3
	s_cmp_ge_u32 s7, s3
	s_cselect_b32 s8, s10, s8
	s_cselect_b32 s7, s9, s7
	s_add_i32 s9, s8, 1
	s_cmp_ge_u32 s7, s3
	s_cselect_b32 s3, s9, s8
	s_xor_b32 s3, s3, s6
	s_sub_i32 s11, s3, s6
	s_abs_i32 s8, s11
	v_cvt_f32_u32_e32 v1, s8
	s_load_dwordx2 s[6:7], s[0:1], 0x50
	s_sub_i32 s3, 0, s8
	s_abs_i32 s9, s2
	v_rcp_iflag_f32_e32 v1, v1
	s_nop 0
	v_mul_f32_e32 v1, 0x4f7ffffe, v1
	v_cvt_u32_f32_e32 v1, v1
	s_nop 0
	v_readfirstlane_b32 s10, v1
	s_mul_i32 s3, s3, s10
	s_mul_hi_u32 s3, s10, s3
	s_add_i32 s10, s10, s3
	s_waitcnt lgkmcnt(0)
	s_cmp_eq_u64 s[6:7], 0
	s_mul_hi_u32 s10, s9, s10
	s_cbranch_scc1 .LBB113_3
; %bb.2:
	s_ashr_i32 s3, s2, 31
	s_lshl_b64 s[12:13], s[2:3], 2
	s_add_u32 s6, s6, s12
	s_addc_u32 s7, s7, s13
	s_load_dword s51, s[6:7], 0x0
.LBB113_3:
	s_load_dwordx4 s[12:15], s[0:1], 0x58
	s_ashr_i32 s3, s2, 31
	s_ashr_i32 s11, s11, 31
	v_and_b32_e32 v4, 1, v0
	s_waitcnt lgkmcnt(0)
	s_movk_i32 s15, 0x78
	s_mul_i32 s24, s2, 0x78
	v_cmp_gt_u32_e32 vcc, 30, v0
	v_lshlrev_b32_e32 v38, 3, v0
	s_and_saveexec_b64 s[6:7], vcc
	s_cbranch_execz .LBB113_5
; %bb.4:
	s_load_dwordx2 s[16:17], s[0:1], 0x18
	s_mul_i32 s18, s28, s12
	s_ashr_i32 s19, s18, 31
	s_lshl_b64 s[18:19], s[18:19], 1
	v_lshlrev_b32_e32 v1, 2, v0
	s_waitcnt lgkmcnt(0)
	s_add_u32 s12, s16, s18
	s_addc_u32 s18, s17, s19
	s_ashr_i32 s25, s24, 31
	s_lshl_b64 s[16:17], s[24:25], 1
	s_add_u32 s16, s12, s16
	s_addc_u32 s17, s18, s17
	global_load_dwordx2 v[2:3], v38, s[16:17]
	v_and_b32_e32 v1, 0xff8, v1
	v_mad_u32_u24 v1, v4, s15, v1
	s_waitcnt vmcnt(0)
	ds_write_b64 v1, v[2:3]
.LBB113_5:
	s_or_b64 exec, exec, s[6:7]
	s_mul_i32 s6, s10, s8
	s_sub_i32 s6, s9, s6
	s_xor_b32 s3, s3, s11
	s_add_i32 s7, s10, 1
	s_sub_i32 s9, s6, s8
	s_load_dwordx4 s[16:19], s[0:1], 0x78
	s_cmp_ge_u32 s6, s8
	s_cselect_b32 s7, s7, s10
	s_load_dword s10, s[0:1], 0x88
	s_cselect_b32 s6, s9, s6
	s_add_i32 s9, s7, 1
	s_cmp_ge_u32 s6, s8
	s_cselect_b32 s6, s9, s7
	s_waitcnt lgkmcnt(0)
	s_abs_i32 s33, s19
	v_cvt_f32_u32_e32 v1, s33
	s_xor_b32 s6, s6, s3
	s_sub_i32 s8, s6, s3
	s_sub_i32 s6, 0, s33
	v_rcp_iflag_f32_e32 v1, v1
	s_add_i32 s11, s29, -1
	s_abs_i32 s3, s11
	v_mul_f32_e32 v1, 0x4f7ffffe, v1
	v_cvt_u32_f32_e32 v1, v1
	s_barrier
	v_readfirstlane_b32 s46, v1
	s_mul_i32 s6, s6, s46
	s_mul_hi_u32 s6, s46, s6
	s_add_i32 s46, s46, s6
	s_cmp_lt_i32 s10, 0
	s_mul_hi_u32 s9, s3, s46
	s_cbranch_scc0 .LBB113_7
; %bb.6:
	s_mul_i32 s6, s16, s38
	s_add_i32 s6, s8, s6
	s_mul_i32 s6, s6, s10
	s_sub_i32 s47, 1, s6
	s_mov_b64 s[6:7], 0
	s_branch .LBB113_8
.LBB113_7:
	s_mov_b64 s[6:7], -1
                                        ; implicit-def: $sgpr47
.LBB113_8:
	s_load_dwordx2 s[30:31], s[0:1], 0x38
	s_ashr_i32 s11, s11, 31
	s_andn2_b64 vcc, exec, s[6:7]
	s_ashr_i32 s48, s19, 31
	s_cbranch_vccnz .LBB113_10
; %bb.9:
	s_mul_i32 s6, s5, s16
	s_add_i32 s6, s6, s2
	s_mul_i32 s6, s6, s10
	s_add_i32 s47, s6, 1
.LBB113_10:
	s_load_dword s6, s[0:1], 0x48
	s_load_dwordx2 s[36:37], s[0:1], 0x28
	s_load_dword s25, s[0:1], 0x98
	s_load_dwordx4 s[20:23], s[0:1], 0x0
	s_load_dwordx2 s[26:27], s[0:1], 0x10
	s_mul_i32 s7, s9, s33
	s_waitcnt lgkmcnt(0)
	s_mul_i32 s34, s28, s6
	s_sub_i32 s3, s3, s7
	s_ashr_i32 s35, s34, 31
	s_xor_b32 s6, s11, s48
	s_add_i32 s7, s9, 1
	s_sub_i32 s10, s3, s33
	s_cmp_ge_u32 s3, s33
	s_cselect_b32 s7, s7, s9
	s_cselect_b32 s3, s10, s3
	s_add_i32 s9, s7, 1
	s_cmp_ge_u32 s3, s33
	s_cselect_b32 s3, s9, s7
	s_xor_b32 s3, s3, s6
	s_sub_i32 s12, s3, s6
	s_add_i32 s3, s29, 31
	s_ashr_i32 s6, s3, 31
	s_lshr_b32 s6, s6, 27
	s_add_i32 s3, s3, s6
	s_lshl_b32 s16, s4, 4
	s_ashr_i32 s3, s3, 5
	s_add_i32 s6, s16, 16
	v_lshrrev_b32_e32 v39, 6, v0
	s_min_i32 s49, s6, s3
	v_or_b32_e32 v14, s16, v39
	v_cmp_gt_i32_e64 s[10:11], s49, v14
	v_mov_b32_e32 v43, 0xff7fffff
	s_mul_i32 s14, s8, s14
	v_ashrrev_i32_e32 v15, 31, v14
	v_lshl_add_u32 v1, v39, 5, s50
	v_mbcnt_lo_u32_b32 v40, -1, 0
	s_and_saveexec_b64 s[40:41], s[10:11]
	s_cbranch_execz .LBB113_20
; %bb.11:
	s_load_dwordx2 s[0:1], s[0:1], 0x20
	s_ashr_i32 s15, s14, 31
	s_sub_i32 s19, s12, s17
	s_lshl_b64 s[8:9], s[14:15], 1
	v_bfe_u32 v41, v0, 1, 5
	s_waitcnt lgkmcnt(0)
	s_add_u32 s0, s0, s8
	s_addc_u32 s1, s1, s9
	s_abs_i32 s15, s18
	v_cvt_f32_u32_e32 v5, s15
	v_lshlrev_b32_e32 v2, 4, v41
	v_mov_b32_e32 v3, 0
	v_lshl_add_u64 v[6:7], s[0:1], 0, v[2:3]
	v_rcp_iflag_f32_e32 v5, v5
	v_and_b32_e32 v2, 8, v38
	v_lshl_add_u64 v[2:3], v[6:7], 0, v[2:3]
	s_sub_i32 s0, 0, s15
	v_mul_f32_e32 v5, 0x4f7ffffe, v5
	v_cvt_u32_f32_e32 v5, v5
	v_lshlrev_b32_e32 v6, 2, v41
	v_cmp_eq_u32_e64 s[6:7], 0, v4
	v_mul_u32_u24_e32 v42, 0x78, v4
	v_mul_lo_u32 v4, s0, v5
	s_lshl_b64 s[0:1], s[34:35], 2
	v_lshl_or_b32 v6, v39, 7, v6
	s_add_u32 s0, s30, s0
	v_add_u32_e32 v46, 0x100, v6
	v_subrev_u32_e32 v6, s29, v41
	v_mbcnt_hi_u32_b32 v49, -1, v40
	v_mul_hi_u32 v4, v5, v4
	s_addc_u32 s1, s31, s1
	v_add_u32_e32 v47, 1, v6
	v_and_b32_e32 v6, 64, v49
	s_mov_b32 s38, s13
	v_cmp_neq_f32_e64 s[8:9], s51, 0
	v_add_u32_e32 v44, v5, v4
	v_lshl_add_u64 v[4:5], v[14:15], 2, s[0:1]
	v_lshl_add_u32 v45, v39, 5, s50
	s_mov_b64 s[42:43], 0
	v_mov_b32_e32 v48, 0xff7fffff
	s_movk_i32 s52, 0x1000
	v_xor_b32_e32 v50, 1, v49
	v_add_u32_e32 v51, 64, v6
	v_mov_b32_e32 v43, 0xff7fffff
	v_mov_b32_e32 v52, v14
	s_branch .LBB113_14
.LBB113_12:                             ;   in Loop: Header=BB113_14 Depth=1
	s_or_b64 exec, exec, s[44:45]
.LBB113_13:                             ;   in Loop: Header=BB113_14 Depth=1
	s_or_b64 exec, exec, s[0:1]
	v_add_u32_e32 v52, 2, v52
	v_cmp_le_i32_e32 vcc, s49, v52
	v_lshl_add_u64 v[4:5], v[4:5], 0, 8
	v_add_u32_e32 v45, 64, v45
	s_or_b64 s[42:43], vcc, s[42:43]
	v_add_u32_e32 v46, 0x100, v46
	s_andn2_b64 exec, exec, s[42:43]
	s_cbranch_execz .LBB113_19
.LBB113_14:                             ; =>This Inner Loop Header: Depth=1
	s_waitcnt lgkmcnt(0)
	v_sub_u32_e32 v7, 0, v45
	v_max_i32_e32 v7, v45, v7
	v_mul_hi_u32 v8, v7, s46
	v_mul_lo_u32 v9, v8, s33
	v_sub_u32_e32 v7, v7, v9
	v_add_u32_e32 v9, 1, v8
	v_cmp_le_u32_e32 vcc, s33, v7
	v_ashrrev_i32_e32 v6, 31, v45
	v_xor_b32_e32 v6, s48, v6
	v_cndmask_b32_e32 v8, v8, v9, vcc
	v_subrev_u32_e32 v9, s33, v7
	v_cndmask_b32_e32 v7, v7, v9, vcc
	v_add_u32_e32 v9, 1, v8
	v_cmp_le_u32_e32 vcc, s33, v7
	s_nop 1
	v_cndmask_b32_e32 v7, v8, v9, vcc
	v_xor_b32_e32 v7, v7, v6
	v_sub_u32_e32 v6, v7, v6
	v_add_u32_e32 v7, s47, v6
	v_sub_u32_e32 v9, 0, v7
	v_ashrrev_i32_e32 v8, 31, v7
	v_max_i32_e32 v7, v7, v9
	v_mul_hi_u32 v9, v7, v44
	v_mul_lo_u32 v9, v9, s15
	v_sub_u32_e32 v7, v7, v9
	v_subrev_u32_e32 v9, s15, v7
	v_cmp_le_u32_e32 vcc, s15, v7
	v_cmp_ge_i32_e64 s[0:1], s19, v6
	s_nop 0
	v_cndmask_b32_e32 v7, v7, v9, vcc
	v_subrev_u32_e32 v9, s15, v7
	v_cmp_le_u32_e32 vcc, s15, v7
	s_nop 1
	v_cndmask_b32_e32 v7, v7, v9, vcc
	v_xor_b32_e32 v7, v7, v8
	v_sub_u32_e32 v7, v7, v8
	v_cmp_ne_u32_e32 vcc, 0, v7
	s_and_b64 s[0:1], vcc, s[0:1]
	s_and_b64 s[54:55], s[6:7], s[0:1]
	s_and_saveexec_b64 s[44:45], s[54:55]
	s_cbranch_execz .LBB113_16
; %bb.15:                               ;   in Loop: Header=BB113_14 Depth=1
	ds_write_b32 v46, v48
.LBB113_16:                             ;   in Loop: Header=BB113_14 Depth=1
	s_or_b64 exec, exec, s[44:45]
	s_xor_b64 s[44:45], s[0:1], -1
	s_and_saveexec_b64 s[0:1], s[44:45]
	s_cbranch_execz .LBB113_13
; %bb.17:                               ;   in Loop: Header=BB113_14 Depth=1
	global_load_dword v6, v[4:5], off
	s_waitcnt vmcnt(0)
	v_mad_i64_i32 v[6:7], s[44:45], v6, s38, 0
	v_lshl_add_u64 v[6:7], v[6:7], 1, v[2:3]
	global_load_dwordx2 v[36:37], v[6:7], off
	global_load_dwordx2 v[34:35], v[6:7], off offset:512
	global_load_dwordx2 v[32:33], v[6:7], off offset:1024
	;; [unrolled: 1-line block ×7, first 2 shown]
	v_add_co_u32_e32 v12, vcc, s52, v6
	s_waitcnt vmcnt(7)
	v_lshrrev_b32_e32 v57, 16, v36
	v_addc_co_u32_e32 v13, vcc, 0, v7, vcc
	global_load_dwordx2 v[20:21], v[12:13], off
	ds_read_b64 v[6:7], v42
	v_and_b32_e32 v36, 0xffff, v36
	v_lshrrev_b32_e32 v58, 16, v37
	v_and_b32_e32 v37, 0xffff, v37
	s_waitcnt vmcnt(1)
	v_lshrrev_b32_e32 v73, 16, v22
	s_waitcnt lgkmcnt(0)
	v_lshrrev_b32_e32 v53, 16, v6
	v_and_b32_e32 v54, 0xffff, v6
	v_lshrrev_b32_e32 v55, 16, v7
	v_and_b32_e32 v56, 0xffff, v7
	global_load_dwordx2 v[10:11], v[12:13], off offset:512
	global_load_dwordx2 v[8:9], v[12:13], off offset:1024
	;; [unrolled: 1-line block ×5, first 2 shown]
	s_nop 0
	global_load_dwordx2 v[12:13], v[12:13], off offset:3072
	;;#ASMSTART
	v_cvt_f32_f16 v54, v54;
	;;#ASMEND
	;;#ASMSTART
	v_cvt_f32_f16 v53, v53;
	;;#ASMEND
	v_and_b32_e32 v74, 0xffff, v22
	v_lshrrev_b32_e32 v75, 16, v23
	v_and_b32_e32 v76, 0xffff, v23
	;;#ASMSTART
	v_cvt_f32_f16 v36, v36;
	;;#ASMEND
	;;#ASMSTART
	v_cvt_f32_f16 v57, v57;
	;;#ASMEND
	;; [unrolled: 3-line block ×6, first 2 shown]
	ds_read_b64 v[22:23], v42 offset:8
	v_lshrrev_b32_e32 v59, 16, v34
	v_and_b32_e32 v34, 0xffff, v34
	v_lshrrev_b32_e32 v60, 16, v35
	v_and_b32_e32 v35, 0xffff, v35
	;; [unrolled: 2-line block ×12, first 2 shown]
	v_cmp_lt_i32_e32 vcc, v50, v51
	s_waitcnt vmcnt(6)
	v_lshrrev_b32_e32 v77, 16, v20
	v_and_b32_e32 v78, 0xffff, v20
	v_lshrrev_b32_e32 v79, 16, v21
	v_and_b32_e32 v80, 0xffff, v21
	s_waitcnt lgkmcnt(0)
	v_lshrrev_b32_e32 v20, 16, v22
	v_and_b32_e32 v21, 0xffff, v22
	v_lshrrev_b32_e32 v22, 16, v23
	v_and_b32_e32 v23, 0xffff, v23
	;;#ASMSTART
	v_cvt_f32_f16 v21, v21;
	;;#ASMEND
	;;#ASMSTART
	v_cvt_f32_f16 v81, v20;
	;;#ASMEND
	;; [unrolled: 3-line block ×8, first 2 shown]
	ds_read_b64 v[24:25], v42 offset:16
	v_mul_f32_e32 v20, v21, v20
	v_mul_f32_e32 v21, v81, v34
	;; [unrolled: 1-line block ×4, first 2 shown]
	s_waitcnt lgkmcnt(0)
	v_lshrrev_b32_e32 v34, 16, v24
	v_and_b32_e32 v24, 0xffff, v24
	v_lshrrev_b32_e32 v35, 16, v25
	v_and_b32_e32 v25, 0xffff, v25
	v_fmac_f32_e32 v20, v54, v36
	v_fmac_f32_e32 v21, v53, v57
	;; [unrolled: 1-line block ×3, first 2 shown]
	;;#ASMSTART
	v_cvt_f32_f16 v36, v24;
	;;#ASMEND
	;;#ASMSTART
	v_cvt_f32_f16 v34, v34;
	;;#ASMEND
	;; [unrolled: 3-line block ×8, first 2 shown]
	ds_read_b64 v[24:25], v42 offset:24
	v_fmac_f32_e32 v23, v55, v58
	v_fmac_f32_e32 v20, v36, v32
	;; [unrolled: 1-line block ×4, first 2 shown]
	s_waitcnt lgkmcnt(0)
	v_lshrrev_b32_e32 v32, 16, v24
	v_and_b32_e32 v24, 0xffff, v24
	v_lshrrev_b32_e32 v33, 16, v25
	v_and_b32_e32 v25, 0xffff, v25
	v_fmac_f32_e32 v23, v35, v54
	;;#ASMSTART
	v_cvt_f32_f16 v34, v24;
	;;#ASMEND
	;;#ASMSTART
	v_cvt_f32_f16 v32, v32;
	;;#ASMEND
	;;#ASMSTART
	v_cvt_f32_f16 v30, v30;
	;;#ASMEND
	;;#ASMSTART
	v_cvt_f32_f16 v35, v63;
	;;#ASMEND
	;;#ASMSTART
	v_cvt_f32_f16 v36, v25;
	;;#ASMEND
	;;#ASMSTART
	v_cvt_f32_f16 v33, v33;
	;;#ASMEND
	;;#ASMSTART
	v_cvt_f32_f16 v31, v31;
	;;#ASMEND
	;;#ASMSTART
	v_cvt_f32_f16 v37, v64;
	;;#ASMEND
	ds_read_b64 v[24:25], v42 offset:32
	v_fmac_f32_e32 v20, v34, v30
	v_fmac_f32_e32 v22, v36, v31
	v_fmac_f32_e32 v21, v32, v35
	v_fmac_f32_e32 v23, v33, v37
	s_waitcnt lgkmcnt(0)
	v_lshrrev_b32_e32 v30, 16, v24
	v_and_b32_e32 v24, 0xffff, v24
	v_lshrrev_b32_e32 v31, 16, v25
	v_and_b32_e32 v25, 0xffff, v25
	;;#ASMSTART
	v_cvt_f32_f16 v32, v24;
	;;#ASMEND
	;;#ASMSTART
	v_cvt_f32_f16 v30, v30;
	;;#ASMEND
	;;#ASMSTART
	v_cvt_f32_f16 v28, v28;
	;;#ASMEND
	;;#ASMSTART
	v_cvt_f32_f16 v33, v65;
	;;#ASMEND
	;;#ASMSTART
	v_cvt_f32_f16 v34, v25;
	;;#ASMEND
	;;#ASMSTART
	v_cvt_f32_f16 v31, v31;
	;;#ASMEND
	;;#ASMSTART
	v_cvt_f32_f16 v29, v29;
	;;#ASMEND
	;;#ASMSTART
	v_cvt_f32_f16 v35, v66;
	;;#ASMEND
	ds_read_b64 v[24:25], v42 offset:40
	v_fmac_f32_e32 v20, v32, v28
	v_fmac_f32_e32 v22, v34, v29
	v_fmac_f32_e32 v21, v30, v33
	v_fmac_f32_e32 v23, v31, v35
	s_waitcnt lgkmcnt(0)
	v_lshrrev_b32_e32 v28, 16, v24
	v_and_b32_e32 v24, 0xffff, v24
	v_lshrrev_b32_e32 v29, 16, v25
	v_and_b32_e32 v25, 0xffff, v25
	;; [unrolled: 34-line block ×5, first 2 shown]
	;;#ASMSTART
	v_cvt_f32_f16 v28, v24;
	;;#ASMEND
	;;#ASMSTART
	v_cvt_f32_f16 v26, v26;
	;;#ASMEND
	;; [unrolled: 3-line block ×8, first 2 shown]
	ds_read_b64 v[24:25], v42 offset:72
	v_fmac_f32_e32 v21, v26, v30
	v_fmac_f32_e32 v23, v27, v33
	s_waitcnt vmcnt(5)
	v_lshrrev_b32_e32 v27, 16, v10
	v_and_b32_e32 v10, 0xffff, v10
	s_waitcnt lgkmcnt(0)
	v_lshrrev_b32_e32 v26, 16, v24
	v_and_b32_e32 v24, 0xffff, v24
	v_fmac_f32_e32 v20, v28, v29
	;;#ASMSTART
	v_cvt_f32_f16 v24, v24;
	;;#ASMEND
	;;#ASMSTART
	v_cvt_f32_f16 v26, v26;
	;;#ASMEND
	;;#ASMSTART
	v_cvt_f32_f16 v28, v10;
	;;#ASMEND
	v_lshrrev_b32_e32 v10, 16, v25
	v_and_b32_e32 v25, 0xffff, v25
	;;#ASMSTART
	v_cvt_f32_f16 v27, v27;
	;;#ASMEND
	;;#ASMSTART
	v_cvt_f32_f16 v25, v25;
	;;#ASMEND
	;;#ASMSTART
	v_cvt_f32_f16 v29, v10;
	;;#ASMEND
	v_lshrrev_b32_e32 v10, 16, v11
	v_and_b32_e32 v11, 0xffff, v11
	v_fmac_f32_e32 v22, v31, v32
	;;#ASMSTART
	v_cvt_f32_f16 v30, v11;
	;;#ASMEND
	;;#ASMSTART
	v_cvt_f32_f16 v31, v10;
	;;#ASMEND
	ds_read_b64 v[10:11], v42 offset:80
	v_fmac_f32_e32 v20, v24, v28
	v_fmac_f32_e32 v22, v25, v30
	s_waitcnt vmcnt(4)
	v_lshrrev_b32_e32 v25, 16, v8
	v_and_b32_e32 v8, 0xffff, v8
	s_waitcnt lgkmcnt(0)
	v_lshrrev_b32_e32 v24, 16, v10
	v_and_b32_e32 v10, 0xffff, v10
	v_fmac_f32_e32 v21, v26, v27
	;;#ASMSTART
	v_cvt_f32_f16 v10, v10;
	;;#ASMEND
	;;#ASMSTART
	v_cvt_f32_f16 v24, v24;
	;;#ASMEND
	;;#ASMSTART
	v_cvt_f32_f16 v26, v8;
	;;#ASMEND
	v_lshrrev_b32_e32 v8, 16, v11
	v_and_b32_e32 v11, 0xffff, v11
	;;#ASMSTART
	v_cvt_f32_f16 v25, v25;
	;;#ASMEND
	;;#ASMSTART
	v_cvt_f32_f16 v11, v11;
	;;#ASMEND
	;;#ASMSTART
	v_cvt_f32_f16 v27, v8;
	;;#ASMEND
	v_lshrrev_b32_e32 v8, 16, v9
	v_and_b32_e32 v9, 0xffff, v9
	v_fmac_f32_e32 v23, v29, v31
	;;#ASMSTART
	v_cvt_f32_f16 v28, v9;
	;;#ASMEND
	;;#ASMSTART
	v_cvt_f32_f16 v29, v8;
	;;#ASMEND
	;; [unrolled: 39-line block ×3, first 2 shown]
	ds_read_b64 v[6:7], v42 offset:96
	v_fmac_f32_e32 v20, v8, v24
	v_fmac_f32_e32 v21, v10, v11
	;; [unrolled: 1-line block ×3, first 2 shown]
	s_waitcnt vmcnt(2)
	v_and_b32_e32 v10, 0xffff, v18
	s_waitcnt lgkmcnt(0)
	v_lshrrev_b32_e32 v8, 16, v6
	v_and_b32_e32 v6, 0xffff, v6
	;;#ASMSTART
	v_cvt_f32_f16 v9, v6;
	;;#ASMEND
	v_lshrrev_b32_e32 v6, 16, v18
	;;#ASMSTART
	v_cvt_f32_f16 v8, v8;
	;;#ASMEND
	;;#ASMSTART
	v_cvt_f32_f16 v10, v10;
	;;#ASMEND
	;; [unrolled: 3-line block ×3, first 2 shown]
	v_lshrrev_b32_e32 v6, 16, v7
	v_and_b32_e32 v7, 0xffff, v7
	;;#ASMSTART
	v_cvt_f32_f16 v18, v7;
	;;#ASMEND
	;;#ASMSTART
	v_cvt_f32_f16 v24, v6;
	;;#ASMEND
	v_lshrrev_b32_e32 v6, 16, v19
	v_and_b32_e32 v7, 0xffff, v19
	v_fmac_f32_e32 v23, v25, v27
	;;#ASMSTART
	v_cvt_f32_f16 v19, v7;
	;;#ASMEND
	;;#ASMSTART
	v_cvt_f32_f16 v25, v6;
	;;#ASMEND
	ds_read_b64 v[6:7], v42 offset:104
	v_fmac_f32_e32 v21, v8, v11
	v_fmac_f32_e32 v20, v9, v10
	s_waitcnt vmcnt(1)
	v_and_b32_e32 v10, 0xffff, v16
	v_fmac_f32_e32 v22, v18, v19
	s_waitcnt lgkmcnt(0)
	v_lshrrev_b32_e32 v8, 16, v6
	v_and_b32_e32 v6, 0xffff, v6
	;;#ASMSTART
	v_cvt_f32_f16 v9, v6;
	;;#ASMEND
	v_lshrrev_b32_e32 v6, 16, v16
	;;#ASMSTART
	v_cvt_f32_f16 v8, v8;
	;;#ASMEND
	;;#ASMSTART
	v_cvt_f32_f16 v10, v10;
	;;#ASMEND
	;; [unrolled: 3-line block ×3, first 2 shown]
	v_lshrrev_b32_e32 v6, 16, v7
	v_and_b32_e32 v7, 0xffff, v7
	;;#ASMSTART
	v_cvt_f32_f16 v16, v7;
	;;#ASMEND
	;;#ASMSTART
	v_cvt_f32_f16 v18, v6;
	;;#ASMEND
	v_lshrrev_b32_e32 v6, 16, v17
	v_and_b32_e32 v7, 0xffff, v17
	;;#ASMSTART
	v_cvt_f32_f16 v17, v7;
	;;#ASMEND
	;;#ASMSTART
	v_cvt_f32_f16 v19, v6;
	;;#ASMEND
	ds_read_b64 v[6:7], v42 offset:112
	v_fmac_f32_e32 v21, v8, v11
	v_fmac_f32_e32 v20, v9, v10
	s_waitcnt vmcnt(0)
	v_lshrrev_b32_e32 v9, 16, v12
	v_and_b32_e32 v10, 0xffff, v12
	s_waitcnt lgkmcnt(0)
	v_lshrrev_b32_e32 v8, 16, v6
	v_and_b32_e32 v6, 0xffff, v6
	;;#ASMSTART
	v_cvt_f32_f16 v6, v6;
	;;#ASMEND
	v_fmac_f32_e32 v23, v24, v25
	;;#ASMSTART
	v_cvt_f32_f16 v8, v8;
	;;#ASMEND
	;;#ASMSTART
	v_cvt_f32_f16 v10, v10;
	;;#ASMEND
	;; [unrolled: 3-line block ×3, first 2 shown]
	v_fmac_f32_e32 v22, v16, v17
	v_fmac_f32_e32 v20, v6, v10
	v_lshrrev_b32_e32 v6, 16, v7
	v_and_b32_e32 v7, 0xffff, v7
	v_fmac_f32_e32 v23, v18, v19
	v_fmac_f32_e32 v21, v8, v9
	;;#ASMSTART
	v_cvt_f32_f16 v7, v7;
	;;#ASMEND
	;;#ASMSTART
	v_cvt_f32_f16 v6, v6;
	;;#ASMEND
	v_lshrrev_b32_e32 v8, 16, v13
	v_and_b32_e32 v9, 0xffff, v13
	;;#ASMSTART
	v_cvt_f32_f16 v9, v9;
	;;#ASMEND
	;;#ASMSTART
	v_cvt_f32_f16 v8, v8;
	;;#ASMEND
	s_nop 0
	v_fmac_f32_e32 v22, v7, v9
	v_fmac_f32_e32 v23, v6, v8
	v_add_f32_e32 v6, v20, v21
	v_add_f32_e32 v6, v6, v22
	v_cndmask_b32_e32 v7, v49, v50, vcc
	v_add_f32_e32 v6, v23, v6
	v_lshlrev_b32_e32 v7, 2, v7
	ds_bpermute_b32 v7, v7, v6
	s_and_saveexec_b64 s[44:45], s[6:7]
	s_cbranch_execz .LBB113_12
; %bb.18:                               ;   in Loop: Header=BB113_14 Depth=1
	v_add_u32_e32 v8, v47, v45
	v_cvt_f32_i32_e32 v8, v8
	s_waitcnt lgkmcnt(0)
	v_add_f32_e32 v6, v6, v7
	v_add_u32_e32 v9, v41, v45
	v_cmp_gt_i32_e32 vcc, s29, v9
	v_mul_f32_e32 v7, s51, v8
	v_cndmask_b32_e64 v7, 0, v7, s[8:9]
	v_fmac_f32_e32 v7, s39, v6
	v_cndmask_b32_e32 v6, 0, v7, vcc
	ds_write_b32 v46, v6
	v_max_f32_e32 v6, v43, v43
	v_max_f32_e32 v6, v6, v7
	v_cndmask_b32_e32 v43, v43, v6, vcc
	s_branch .LBB113_12
.LBB113_19:
	s_or_b64 exec, exec, s[42:43]
.LBB113_20:
	s_or_b64 exec, exec, s[40:41]
	v_mbcnt_hi_u32_b32 v5, -1, v40
	v_and_b32_e32 v2, 64, v5
	v_add_u32_e32 v10, 64, v2
	v_xor_b32_e32 v2, 32, v5
	v_cmp_lt_i32_e32 vcc, v2, v10
	v_xor_b32_e32 v6, 16, v5
	v_max_f32_e32 v4, v43, v43
	v_cndmask_b32_e32 v2, v5, v2, vcc
	v_lshlrev_b32_e32 v2, 2, v2
	ds_bpermute_b32 v3, v2, v43
	v_cmp_lt_i32_e32 vcc, v6, v10
	s_waitcnt lgkmcnt(1)
	v_xor_b32_e32 v7, 8, v5
	v_xor_b32_e32 v8, 4, v5
	v_xor_b32_e32 v11, 2, v5
	s_waitcnt lgkmcnt(0)
	v_max_f32_e32 v3, v3, v3
	v_max_f32_e32 v4, v4, v3
	v_cndmask_b32_e32 v3, v5, v6, vcc
	v_lshlrev_b32_e32 v3, 2, v3
	ds_bpermute_b32 v6, v3, v4
	v_cmp_lt_i32_e32 vcc, v7, v10
	s_waitcnt lgkmcnt(0)
	v_max_f32_e32 v6, v6, v6
	v_max_f32_e32 v4, v4, v6
	v_cndmask_b32_e32 v6, v5, v7, vcc
	v_lshlrev_b32_e32 v6, 2, v6
	ds_bpermute_b32 v7, v6, v4
	v_cmp_lt_i32_e32 vcc, v8, v10
	s_waitcnt lgkmcnt(0)
	v_max_f32_e32 v7, v7, v7
	v_max_f32_e32 v4, v4, v7
	v_cndmask_b32_e32 v7, v5, v8, vcc
	v_lshlrev_b32_e32 v7, 2, v7
	ds_bpermute_b32 v8, v7, v4
	v_cmp_lt_i32_e32 vcc, v11, v10
	s_waitcnt lgkmcnt(0)
	v_max_f32_e32 v8, v8, v8
	v_max_f32_e32 v9, v4, v8
	v_cndmask_b32_e32 v4, v5, v11, vcc
	v_lshlrev_b32_e32 v32, 2, v4
	ds_bpermute_b32 v11, v32, v9
	v_and_b32_e32 v4, 63, v0
	v_cmp_eq_u32_e32 vcc, 0, v4
	v_lshlrev_b32_e32 v8, 2, v39
	s_and_saveexec_b64 s[0:1], vcc
	s_cbranch_execz .LBB113_22
; %bb.21:
	s_waitcnt lgkmcnt(0)
	v_max_f32_e32 v11, v11, v11
	v_max_f32_e32 v9, v9, v9
	;; [unrolled: 1-line block ×3, first 2 shown]
	ds_write_b32 v8, v9 offset:240
.LBB113_22:
	s_or_b64 exec, exec, s[0:1]
	v_cmp_gt_u32_e64 s[0:1], 2, v4
	s_waitcnt lgkmcnt(0)
	v_mov_b32_e32 v11, 0xff7fffff
	v_lshlrev_b32_e32 v9, 2, v4
	s_barrier
	s_and_saveexec_b64 s[6:7], s[0:1]
	s_cbranch_execz .LBB113_24
; %bb.23:
	ds_read_b32 v11, v9 offset:240
.LBB113_24:
	s_or_b64 exec, exec, s[6:7]
	v_xor_b32_e32 v12, 1, v5
	v_cmp_lt_i32_e64 s[6:7], v12, v10
	s_nop 1
	v_cndmask_b32_e64 v10, v5, v12, s[6:7]
	v_lshlrev_b32_e32 v33, 2, v10
	s_waitcnt lgkmcnt(0)
	ds_bpermute_b32 v10, v33, v11
	v_max_f32_e32 v11, v11, v11
	v_lshlrev_b32_e32 v5, 2, v5
	s_sub_i32 s6, s49, s16
	s_lshl_b32 s6, s6, 5
	s_waitcnt lgkmcnt(0)
	v_max_f32_e32 v10, v10, v10
	v_max_f32_e32 v11, v11, v10
	v_and_b32_e32 v10, 0x100, v5
	ds_bpermute_b32 v5, v10, v11
	s_add_i32 s6, s6, s50
	s_min_i32 s16, s6, s29
	s_sub_i32 s15, s16, s50
	v_cmp_gt_i32_e64 s[6:7], s15, v0
	v_mov_b32_e32 v11, 0
	s_and_saveexec_b64 s[38:39], s[6:7]
	s_cbranch_execz .LBB113_28
; %bb.25:
	v_mov_b32_e32 v11, 0x100
	v_lshl_add_u32 v12, v0, 2, v11
	s_mov_b64 s[40:41], 0
	v_mov_b32_e32 v11, 0
	v_mov_b32_e32 v13, v0
.LBB113_26:                             ; =>This Inner Loop Header: Depth=1
	ds_read_b32 v16, v12
	v_add_u32_e32 v13, 0x80, v13
	v_cmp_le_i32_e64 s[8:9], s15, v13
	s_or_b64 s[40:41], s[8:9], s[40:41]
	s_waitcnt lgkmcnt(0)
	v_sub_f32_e32 v16, v16, v5
	v_mul_f32_e32 v16, 0x3fb8aa3b, v16
	v_exp_f32_e32 v16, v16
	ds_write_b32 v12, v16
	v_add_f32_e32 v11, v11, v16
	v_add_u32_e32 v12, 0x200, v12
	s_andn2_b64 exec, exec, s[40:41]
	s_cbranch_execnz .LBB113_26
; %bb.27:
	s_or_b64 exec, exec, s[40:41]
.LBB113_28:
	s_or_b64 exec, exec, s[38:39]
	ds_bpermute_b32 v2, v2, v11
	s_waitcnt lgkmcnt(0)
	v_add_f32_e32 v2, v11, v2
	ds_bpermute_b32 v3, v3, v2
	s_waitcnt lgkmcnt(0)
	v_add_f32_e32 v2, v2, v3
	ds_bpermute_b32 v3, v6, v2
	s_waitcnt lgkmcnt(0)
	v_add_f32_e32 v2, v2, v3
	ds_bpermute_b32 v3, v7, v2
	s_waitcnt lgkmcnt(0)
	v_add_f32_e32 v2, v2, v3
	ds_bpermute_b32 v3, v32, v2
	s_waitcnt lgkmcnt(0)
	v_add_f32_e32 v2, v2, v3
	ds_bpermute_b32 v3, v33, v2
	s_waitcnt lgkmcnt(0)
	v_add_f32_e32 v2, v2, v3
	s_and_saveexec_b64 s[8:9], vcc
	s_cbranch_execz .LBB113_30
; %bb.29:
	ds_write_b32 v8, v2 offset:248
.LBB113_30:
	s_or_b64 exec, exec, s[8:9]
	s_waitcnt lgkmcnt(0)
	s_barrier
	s_and_saveexec_b64 s[8:9], s[0:1]
	s_cbranch_execz .LBB113_32
; %bb.31:
	ds_read_b32 v2, v9 offset:248
.LBB113_32:
	s_or_b64 exec, exec, s[8:9]
	s_waitcnt lgkmcnt(0)
	ds_bpermute_b32 v3, v33, v2
	s_waitcnt lgkmcnt(0)
	v_add_f32_e32 v2, v2, v3
	ds_bpermute_b32 v6, v10, v2
	s_and_saveexec_b64 s[0:1], s[6:7]
	s_cbranch_execz .LBB113_45
; %bb.33:
	s_waitcnt lgkmcnt(0)
	v_add_f32_e32 v2, 0x358637bd, v6
	v_div_scale_f32 v3, s[6:7], v2, v2, 1.0
	v_rcp_f32_e32 v7, v3
	v_div_scale_f32 v8, vcc, 1.0, v2, 1.0
	s_movk_i32 s6, 0x7f
	v_fma_f32 v9, -v3, v7, 1.0
	v_fmac_f32_e32 v7, v9, v7
	v_mul_f32_e32 v9, v8, v7
	v_fma_f32 v10, -v3, v9, v8
	v_fmac_f32_e32 v9, v10, v7
	v_fma_f32 v3, -v3, v9, v8
	v_div_fmas_f32 v3, v3, v7, v9
	v_div_fixup_f32 v2, v3, v2, 1.0
	v_xad_u32 v3, v0, -1, s16
	v_subrev_u32_e32 v7, s50, v3
	v_cmp_lt_u32_e32 vcc, s6, v7
	s_mov_b64 s[8:9], -1
	v_mov_b32_e32 v3, v0
	s_and_saveexec_b64 s[6:7], vcc
	s_cbranch_execz .LBB113_42
; %bb.34:
	v_lshrrev_b32_e32 v7, 7, v7
	v_add_u32_e32 v9, -1, v7
	v_lshrrev_b32_e32 v8, 1, v9
	v_mov_b32_e32 v3, v2
	v_add_u32_e32 v8, 1, v8
	v_cmp_lt_u32_e32 vcc, 13, v9
	v_mov_b32_e32 v11, 0
	s_and_saveexec_b64 s[8:9], vcc
	s_cbranch_execz .LBB113_38
; %bb.35:
	v_mov_b32_e32 v10, 0x100
	v_and_b32_e32 v9, -8, v8
	v_lshl_add_u32 v10, v0, 2, v10
	s_mov_b32 s16, 0
	s_mov_b64 s[38:39], 0
.LBB113_36:                             ; =>This Inner Loop Header: Depth=1
	ds_read2st64_b32 v[12:13], v10 offset1:2
	ds_read2st64_b32 v[16:17], v10 offset0:4 offset1:6
	ds_read2st64_b32 v[18:19], v10 offset0:8 offset1:10
	;; [unrolled: 1-line block ×3, first 2 shown]
	v_add_u32_e32 v9, -8, v9
	s_waitcnt lgkmcnt(3)
	v_pk_mul_f32 v[12:13], v[2:3], v[12:13]
	s_waitcnt lgkmcnt(2)
	v_pk_mul_f32 v[16:17], v[2:3], v[16:17]
	ds_write2st64_b32 v10, v12, v13 offset1:2
	ds_write2st64_b32 v10, v16, v17 offset0:4 offset1:6
	ds_read2st64_b32 v[16:17], v10 offset0:16 offset1:18
	s_waitcnt lgkmcnt(4)
	v_pk_mul_f32 v[12:13], v[2:3], v[18:19]
	ds_write2st64_b32 v10, v12, v13 offset0:8 offset1:10
	s_waitcnt lgkmcnt(4)
	v_pk_mul_f32 v[12:13], v[2:3], v[20:21]
	ds_write2st64_b32 v10, v12, v13 offset0:12 offset1:14
	ds_read2st64_b32 v[12:13], v10 offset0:20 offset1:22
	s_waitcnt lgkmcnt(3)
	v_pk_mul_f32 v[16:17], v[2:3], v[16:17]
	ds_read2st64_b32 v[18:19], v10 offset0:24 offset1:26
	ds_write2st64_b32 v10, v16, v17 offset0:16 offset1:18
	ds_read2st64_b32 v[16:17], v10 offset0:28 offset1:30
	s_waitcnt lgkmcnt(3)
	v_pk_mul_f32 v[12:13], v[2:3], v[12:13]
	ds_write2st64_b32 v10, v12, v13 offset0:20 offset1:22
	s_waitcnt lgkmcnt(3)
	v_pk_mul_f32 v[12:13], v[2:3], v[18:19]
	ds_write2st64_b32 v10, v12, v13 offset0:24 offset1:26
	s_waitcnt lgkmcnt(2)
	v_pk_mul_f32 v[12:13], v[2:3], v[16:17]
	s_add_i32 s16, s16, 16
	v_cmp_eq_u32_e32 vcc, 0, v9
	ds_write2st64_b32 v10, v12, v13 offset0:28 offset1:30
	v_add_u32_e32 v10, 0x2000, v10
	s_or_b64 s[38:39], vcc, s[38:39]
	v_mov_b32_e32 v11, s16
	s_andn2_b64 exec, exec, s[38:39]
	s_cbranch_execnz .LBB113_36
; %bb.37:
	s_or_b64 exec, exec, s[38:39]
.LBB113_38:
	s_or_b64 exec, exec, s[8:9]
	v_and_b32_e32 v8, 7, v8
	v_cmp_ne_u32_e32 vcc, 0, v8
	s_and_saveexec_b64 s[8:9], vcc
	s_cbranch_execz .LBB113_41
; %bb.39:
	v_lshlrev_b32_e32 v9, 9, v11
	v_lshlrev_b32_e32 v10, 2, v0
	s_movk_i32 s16, 0x100
	v_add3_u32 v9, v9, v10, s16
	s_mov_b64 s[38:39], 0
.LBB113_40:                             ; =>This Inner Loop Header: Depth=1
	ds_read2st64_b32 v[10:11], v9 offset1:2
	v_add_u32_e32 v8, -1, v8
	v_cmp_eq_u32_e32 vcc, 0, v8
	s_or_b64 s[38:39], vcc, s[38:39]
	s_waitcnt lgkmcnt(0)
	v_pk_mul_f32 v[10:11], v[2:3], v[10:11]
	ds_write2st64_b32 v9, v10, v11 offset1:2
	v_add_u32_e32 v9, 0x400, v9
	s_andn2_b64 exec, exec, s[38:39]
	s_cbranch_execnz .LBB113_40
.LBB113_41:
	s_or_b64 exec, exec, s[8:9]
	v_add_u32_e32 v7, 1, v7
	v_and_b32_e32 v8, 0x3fffffe, v7
	v_cmp_ne_u32_e32 vcc, v7, v8
	v_lshl_add_u32 v3, v8, 7, v0
	s_orn2_b64 s[8:9], vcc, exec
.LBB113_42:
	s_or_b64 exec, exec, s[6:7]
	s_and_b64 exec, exec, s[8:9]
	s_cbranch_execz .LBB113_45
; %bb.43:
	v_mov_b32_e32 v7, 0x100
	v_lshl_add_u32 v7, v3, 2, v7
	s_mov_b64 s[6:7], 0
.LBB113_44:                             ; =>This Inner Loop Header: Depth=1
	ds_read_b32 v8, v7
	v_add_u32_e32 v3, 0x80, v3
	v_cmp_le_i32_e32 vcc, s15, v3
	s_or_b64 s[6:7], vcc, s[6:7]
	s_waitcnt lgkmcnt(0)
	v_mul_f32_e32 v8, v2, v8
	ds_write_b32 v7, v8
	v_add_u32_e32 v7, 0x200, v7
	s_andn2_b64 exec, exec, s[6:7]
	s_cbranch_execnz .LBB113_44
.LBB113_45:
	s_or_b64 exec, exec, s[0:1]
	s_mul_i32 s0, s25, s28
	v_cmp_eq_u32_e32 vcc, 0, v0
	s_mul_i32 s6, s0, s5
	s_waitcnt lgkmcnt(0)
	s_barrier
	s_and_saveexec_b64 s[0:1], vcc
	s_cbranch_execz .LBB113_47
; %bb.46:
	s_ashr_i32 s7, s6, 31
	s_lshl_b64 s[8:9], s[6:7], 2
	s_add_u32 s5, s22, s8
	s_mul_i32 s22, s25, s2
	s_addc_u32 s7, s23, s9
	s_ashr_i32 s23, s22, 31
	s_lshl_b64 s[22:23], s[22:23], 2
	s_add_u32 s2, s5, s22
	s_addc_u32 s7, s7, s23
	s_ashr_i32 s5, s4, 31
	s_lshl_b64 s[38:39], s[4:5], 2
	s_add_u32 s40, s2, s38
	s_addc_u32 s41, s7, s39
	s_add_u32 s2, s20, s8
	s_addc_u32 s5, s21, s9
	;; [unrolled: 2-line block ×3, first 2 shown]
	s_add_u32 s8, s2, s38
	v_mov_b32_e32 v2, 0
	s_addc_u32 s9, s5, s39
	global_store_dword v2, v5, s[40:41]
	global_store_dword v2, v6, s[8:9]
.LBB113_47:
	s_or_b64 exec, exec, s[0:1]
	s_mov_b32 s8, 0
	v_mov_b32_e32 v9, 0
	v_lshrrev_b32_e32 v35, 2, v4
	v_and_b32_e32 v34, 3, v0
	v_mov_b32_e32 v8, 0
	v_mov_b32_e32 v7, 0
	;; [unrolled: 1-line block ×7, first 2 shown]
	s_and_saveexec_b64 s[20:21], s[10:11]
	s_cbranch_execz .LBB113_71
; %bb.48:
	s_ashr_i32 s15, s14, 31
	s_sub_i32 s5, s12, s17
	s_lshl_b64 s[0:1], s[14:15], 1
	s_add_u32 s16, s36, s0
	s_addc_u32 s17, s37, s1
	s_abs_i32 s23, s18
	v_cvt_f32_u32_e32 v3, s23
	v_and_b32_e32 v36, 24, v38
	v_or_b32_e32 v2, 0x70, v35
	s_movk_i32 s0, 0x78
	v_cmp_gt_u32_e32 vcc, s0, v2
	v_lshl_or_b32 v26, v2, 5, v36
	v_rcp_iflag_f32_e32 v2, v3
	s_sub_i32 s0, 0, s23
	s_add_i32 s22, s3, -1
	v_lshl_or_b32 v10, v35, 5, v36
	v_mul_f32_e32 v2, 0x4f7ffffe, v2
	v_cvt_u32_f32_e32 v2, v2
	s_mov_b32 s9, s8
	s_mov_b32 s7, s13
	v_or_b32_e32 v12, 0x800, v10
	v_mul_lo_u32 v3, s0, v2
	v_mul_hi_u32 v3, v2, v3
	s_lshl_b64 s[0:1], s[34:35], 2
	v_add_u32_e32 v37, v2, v3
	s_add_u32 s0, s30, s0
	v_lshlrev_b32_e32 v2, 5, v34
	s_addc_u32 s1, s31, s1
	v_lshl_or_b32 v2, v39, 7, v2
	v_or_b32_e32 v22, 0xa00, v10
	v_or_b32_e32 v24, 0xc00, v10
	v_lshl_add_u64 v[18:19], v[14:15], 2, s[0:1]
	v_add_u32_e32 v15, 0x100, v2
	s_mov_b32 s10, s8
	s_mov_b32 s11, s8
	;; [unrolled: 1-line block ×6, first 2 shown]
	v_mov_b64_e32 v[2:3], s[8:9]
	v_mov_b32_e32 v17, 0
	s_mov_b32 s28, s29
	s_mov_b32 s36, s29
	;; [unrolled: 1-line block ×7, first 2 shown]
	s_mov_b64 s[18:19], 0
	v_mov_b64_e32 v[4:5], s[10:11]
	v_mov_b64_e32 v[6:7], s[12:13]
	v_mov_b64_e32 v[8:9], s[14:15]
	v_lshlrev_b32_e32 v20, 1, v10
	s_mov_b32 s12, 0x5040100
	v_lshlrev_b32_e32 v16, 1, v12
	v_lshlrev_b32_e32 v22, 1, v22
	;; [unrolled: 1-line block ×4, first 2 shown]
	s_branch .LBB113_52
.LBB113_49:                             ;   in Loop: Header=BB113_52 Depth=1
	s_or_b64 exec, exec, s[10:11]
	s_waitcnt vmcnt(0)
	;;#ASMSTART
	v_pk_mul_f16 v10, v41, v10;

	;;#ASMEND
	;;#ASMSTART
	v_pk_mul_f16 v11, v40, v11;

	;;#ASMEND
	;; [unrolled: 4-line block ×4, first 2 shown]
	s_nop 0
	;;#ASMSTART
	v_pk_add_f16 v10, v10, v11;

	;;#ASMEND
	s_nop 0
	;;#ASMSTART
	v_pk_add_f16 v10, v10, v12;

	;;#ASMEND
	;; [unrolled: 5-line block ×3, first 2 shown]
	s_nop 0
	v_lshrrev_b32_e32 v11, 16, v10
	v_and_b32_e32 v10, 0xffff, v10
	;;#ASMSTART
	v_cvt_f32_f16 v10, v10;
	;;#ASMEND
	;;#ASMSTART
	v_cvt_f32_f16 v11, v11;
	;;#ASMEND
	s_nop 0
	v_add_f32_e32 v10, v10, v11
	v_add_f32_e32 v9, v9, v10
.LBB113_50:                             ;   in Loop: Header=BB113_52 Depth=1
	s_or_b64 exec, exec, s[2:3]
.LBB113_51:                             ;   in Loop: Header=BB113_52 Depth=1
	s_or_b64 exec, exec, s[8:9]
	v_add_u32_e32 v14, 2, v14
	v_cmp_le_i32_e64 s[0:1], s49, v14
	v_lshl_add_u64 v[18:19], v[18:19], 0, 8
	v_add_u32_e32 v1, 64, v1
	s_or_b64 s[18:19], s[0:1], s[18:19]
	v_add_u32_e32 v15, 0x100, v15
	s_andn2_b64 exec, exec, s[18:19]
	s_cbranch_execz .LBB113_70
.LBB113_52:                             ; =>This Inner Loop Header: Depth=1
	v_sub_u32_e32 v11, 0, v1
	v_max_i32_e32 v11, v1, v11
	v_mul_hi_u32 v12, v11, s46
	v_mul_lo_u32 v13, v12, s33
	v_sub_u32_e32 v11, v11, v13
	v_add_u32_e32 v13, 1, v12
	v_cmp_le_u32_e64 s[0:1], s33, v11
	v_ashrrev_i32_e32 v10, 31, v1
	v_xor_b32_e32 v10, s48, v10
	v_cndmask_b32_e64 v12, v12, v13, s[0:1]
	v_subrev_u32_e32 v13, s33, v11
	v_cndmask_b32_e64 v11, v11, v13, s[0:1]
	v_add_u32_e32 v13, 1, v12
	v_cmp_le_u32_e64 s[0:1], s33, v11
	s_nop 1
	v_cndmask_b32_e64 v11, v12, v13, s[0:1]
	v_xor_b32_e32 v11, v11, v10
	v_sub_u32_e32 v10, v11, v10
	v_add_u32_e32 v11, s47, v10
	v_sub_u32_e32 v13, 0, v11
	v_ashrrev_i32_e32 v12, 31, v11
	v_max_i32_e32 v11, v11, v13
	v_mul_hi_u32 v13, v11, v37
	v_mul_lo_u32 v13, v13, s23
	v_sub_u32_e32 v11, v11, v13
	v_subrev_u32_e32 v13, s23, v11
	v_cmp_le_u32_e64 s[0:1], s23, v11
	v_cmp_lt_i32_e64 s[2:3], s5, v10
	s_nop 0
	v_cndmask_b32_e64 v11, v11, v13, s[0:1]
	v_subrev_u32_e32 v13, s23, v11
	v_cmp_le_u32_e64 s[0:1], s23, v11
	s_nop 1
	v_cndmask_b32_e64 v11, v11, v13, s[0:1]
	v_xor_b32_e32 v11, v11, v12
	v_sub_u32_e32 v11, v11, v12
	v_cmp_eq_u32_e64 s[0:1], 0, v11
	s_or_b64 s[0:1], s[0:1], s[2:3]
	s_and_saveexec_b64 s[8:9], s[0:1]
	s_cbranch_execz .LBB113_51
; %bb.53:                               ;   in Loop: Header=BB113_52 Depth=1
	global_load_dword v21, v[18:19], off
	ds_read2_b64 v[10:13], v15 offset1:1
	ds_read2_b64 v[28:31], v15 offset0:2 offset1:3
	s_waitcnt lgkmcnt(1)
	;;#ASMSTART
	v_cvt_f16_f32 v23, v10;

	;;#ASMEND
	;;#ASMSTART
	v_cvt_f16_f32 v25, v11;

	;;#ASMEND
	;; [unrolled: 4-line block ×4, first 2 shown]
	s_waitcnt lgkmcnt(0)
	;;#ASMSTART
	v_cvt_f16_f32 v39, v28;

	;;#ASMEND
	;;#ASMSTART
	v_cvt_f16_f32 v42, v29;

	;;#ASMEND
	;; [unrolled: 4-line block ×4, first 2 shown]
	s_waitcnt vmcnt(0)
	v_mad_i64_i32 v[10:11], s[0:1], v21, s7, 0
	v_lshl_add_u64 v[28:29], v[10:11], 1, s[16:17]
	v_mov_b32_e32 v21, v17
	v_lshl_add_u64 v[30:31], v[28:29], 0, v[20:21]
	global_load_dwordx4 v[10:13], v[30:31], off
	v_add_u32_e32 v21, v36, v1
	v_cmp_eq_u32_e64 s[0:1], s22, v14
	s_and_saveexec_b64 s[10:11], s[0:1]
	s_cbranch_execz .LBB113_55
; %bb.54:                               ;   in Loop: Header=BB113_52 Depth=1
	v_or_b32_e32 v48, 7, v21
	v_or_b32_e32 v49, 6, v21
	s_waitcnt vmcnt(0)
	v_lshrrev_b32_e32 v50, 16, v13
	v_cmp_gt_i32_e64 s[2:3], s41, v48
	v_or_b32_e32 v46, 5, v21
	v_or_b32_e32 v47, 4, v21
	v_cndmask_b32_e64 v48, 0, v50, s[2:3]
	v_cmp_gt_i32_e64 s[2:3], s40, v49
	v_or_b32_e32 v41, 3, v21
	v_or_b32_e32 v45, 2, v21
	v_cndmask_b32_e64 v13, 0, v13, s[2:3]
	v_perm_b32 v13, v48, v13, s12
	v_lshrrev_b32_e32 v48, 16, v12
	v_cmp_gt_i32_e64 s[2:3], s39, v46
	v_add_u32_e32 v40, 1, v21
	s_nop 0
	v_cndmask_b32_e64 v46, 0, v48, s[2:3]
	v_cmp_gt_i32_e64 s[2:3], s38, v47
	s_nop 1
	v_cndmask_b32_e64 v12, 0, v12, s[2:3]
	v_perm_b32 v12, v46, v12, s12
	v_lshrrev_b32_e32 v46, 16, v11
	v_cmp_gt_i32_e64 s[2:3], s37, v41
	s_nop 1
	v_cndmask_b32_e64 v41, 0, v46, s[2:3]
	v_cmp_gt_i32_e64 s[2:3], s36, v45
	s_nop 1
	v_cndmask_b32_e64 v11, 0, v11, s[2:3]
	v_perm_b32 v11, v41, v11, s12
	v_lshrrev_b32_e32 v41, 16, v10
	v_cmp_gt_i32_e64 s[2:3], s28, v40
	s_nop 1
	v_cndmask_b32_e64 v40, 0, v41, s[2:3]
	v_cmp_gt_i32_e64 s[2:3], s29, v21
	s_nop 1
	v_cndmask_b32_e64 v10, 0, v10, s[2:3]
	v_perm_b32 v10, v40, v10, s12
.LBB113_55:                             ;   in Loop: Header=BB113_52 Depth=1
	s_or_b64 exec, exec, s[10:11]
	v_and_b32_e32 v23, 0xffff, v23
	v_lshl_or_b32 v41, v25, 16, v23
	v_and_b32_e32 v23, 0xffff, v27
	v_lshl_or_b32 v40, v38, 16, v23
	v_and_b32_e32 v23, 0xffff, v39
	v_lshl_or_b32 v39, v42, 16, v23
	v_and_b32_e32 v23, 0xffff, v43
	s_waitcnt vmcnt(0)
	;;#ASMSTART
	v_pk_mul_f16 v10, v41, v10;

	;;#ASMEND
	v_lshl_or_b32 v38, v44, 16, v23
	;;#ASMSTART
	v_pk_mul_f16 v11, v40, v11;

	;;#ASMEND
	;;#ASMSTART
	v_pk_mul_f16 v12, v39, v12;

	;;#ASMEND
	;; [unrolled: 4-line block ×3, first 2 shown]
	s_nop 0
	;;#ASMSTART
	v_pk_add_f16 v10, v10, v11;

	;;#ASMEND
	s_nop 0
	;;#ASMSTART
	v_pk_add_f16 v10, v10, v12;

	;;#ASMEND
	;; [unrolled: 5-line block ×3, first 2 shown]
	s_nop 0
	v_lshrrev_b32_e32 v11, 16, v10
	v_and_b32_e32 v10, 0xffff, v10
	;;#ASMSTART
	v_cvt_f32_f16 v27, v10;
	;;#ASMEND
	;;#ASMSTART
	v_cvt_f32_f16 v42, v11;
	;;#ASMEND
	global_load_dwordx4 v[10:13], v[30:31], off offset:1024
	s_and_saveexec_b64 s[10:11], s[0:1]
	s_cbranch_execz .LBB113_57
; %bb.56:                               ;   in Loop: Header=BB113_52 Depth=1
	v_or_b32_e32 v46, 7, v21
	v_or_b32_e32 v47, 6, v21
	s_waitcnt vmcnt(0)
	v_lshrrev_b32_e32 v48, 16, v13
	v_cmp_gt_i32_e64 s[2:3], s41, v46
	v_or_b32_e32 v44, 5, v21
	v_or_b32_e32 v45, 4, v21
	v_cndmask_b32_e64 v46, 0, v48, s[2:3]
	v_cmp_gt_i32_e64 s[2:3], s40, v47
	v_or_b32_e32 v25, 3, v21
	v_or_b32_e32 v43, 2, v21
	v_cndmask_b32_e64 v13, 0, v13, s[2:3]
	v_perm_b32 v13, v46, v13, s12
	v_lshrrev_b32_e32 v46, 16, v12
	v_cmp_gt_i32_e64 s[2:3], s39, v44
	v_add_u32_e32 v23, 1, v21
	s_nop 0
	v_cndmask_b32_e64 v44, 0, v46, s[2:3]
	v_cmp_gt_i32_e64 s[2:3], s38, v45
	s_nop 1
	v_cndmask_b32_e64 v12, 0, v12, s[2:3]
	v_perm_b32 v12, v44, v12, s12
	v_lshrrev_b32_e32 v44, 16, v11
	v_cmp_gt_i32_e64 s[2:3], s37, v25
	s_nop 1
	v_cndmask_b32_e64 v25, 0, v44, s[2:3]
	v_cmp_gt_i32_e64 s[2:3], s36, v43
	s_nop 1
	v_cndmask_b32_e64 v11, 0, v11, s[2:3]
	v_perm_b32 v11, v25, v11, s12
	v_lshrrev_b32_e32 v25, 16, v10
	v_cmp_gt_i32_e64 s[2:3], s28, v23
	s_nop 1
	v_cndmask_b32_e64 v23, 0, v25, s[2:3]
	v_cmp_gt_i32_e64 s[2:3], s29, v21
	s_nop 1
	v_cndmask_b32_e64 v10, 0, v10, s[2:3]
	v_perm_b32 v10, v23, v10, s12
.LBB113_57:                             ;   in Loop: Header=BB113_52 Depth=1
	s_or_b64 exec, exec, s[10:11]
	s_waitcnt vmcnt(0)
	;;#ASMSTART
	v_pk_mul_f16 v10, v41, v10;

	;;#ASMEND
	;;#ASMSTART
	v_pk_mul_f16 v11, v40, v11;

	;;#ASMEND
	;; [unrolled: 4-line block ×4, first 2 shown]
	s_nop 0
	;;#ASMSTART
	v_pk_add_f16 v10, v10, v11;

	;;#ASMEND
	s_nop 0
	;;#ASMSTART
	v_pk_add_f16 v10, v10, v12;

	;;#ASMEND
	;; [unrolled: 5-line block ×3, first 2 shown]
	s_nop 0
	v_lshrrev_b32_e32 v11, 16, v10
	v_and_b32_e32 v10, 0xffff, v10
	;;#ASMSTART
	v_cvt_f32_f16 v43, v10;
	;;#ASMEND
	;;#ASMSTART
	v_cvt_f32_f16 v44, v11;
	;;#ASMEND
	global_load_dwordx4 v[10:13], v[30:31], off offset:2048
	s_and_saveexec_b64 s[10:11], s[0:1]
	s_cbranch_execz .LBB113_59
; %bb.58:                               ;   in Loop: Header=BB113_52 Depth=1
	v_or_b32_e32 v48, 7, v21
	v_or_b32_e32 v49, 6, v21
	s_waitcnt vmcnt(0)
	v_lshrrev_b32_e32 v50, 16, v13
	v_cmp_gt_i32_e64 s[2:3], s41, v48
	v_or_b32_e32 v46, 5, v21
	v_or_b32_e32 v47, 4, v21
	v_cndmask_b32_e64 v48, 0, v50, s[2:3]
	v_cmp_gt_i32_e64 s[2:3], s40, v49
	v_or_b32_e32 v25, 3, v21
	v_or_b32_e32 v45, 2, v21
	v_cndmask_b32_e64 v13, 0, v13, s[2:3]
	v_perm_b32 v13, v48, v13, s12
	v_lshrrev_b32_e32 v48, 16, v12
	v_cmp_gt_i32_e64 s[2:3], s39, v46
	v_add_u32_e32 v23, 1, v21
	s_nop 0
	v_cndmask_b32_e64 v46, 0, v48, s[2:3]
	v_cmp_gt_i32_e64 s[2:3], s38, v47
	s_nop 1
	v_cndmask_b32_e64 v12, 0, v12, s[2:3]
	v_perm_b32 v12, v46, v12, s12
	v_lshrrev_b32_e32 v46, 16, v11
	v_cmp_gt_i32_e64 s[2:3], s37, v25
	s_nop 1
	v_cndmask_b32_e64 v25, 0, v46, s[2:3]
	v_cmp_gt_i32_e64 s[2:3], s36, v45
	s_nop 1
	v_cndmask_b32_e64 v11, 0, v11, s[2:3]
	v_perm_b32 v11, v25, v11, s12
	v_lshrrev_b32_e32 v25, 16, v10
	v_cmp_gt_i32_e64 s[2:3], s28, v23
	s_nop 1
	v_cndmask_b32_e64 v23, 0, v25, s[2:3]
	v_cmp_gt_i32_e64 s[2:3], s29, v21
	s_nop 1
	v_cndmask_b32_e64 v10, 0, v10, s[2:3]
	v_perm_b32 v10, v23, v10, s12
.LBB113_59:                             ;   in Loop: Header=BB113_52 Depth=1
	s_or_b64 exec, exec, s[10:11]
	s_waitcnt vmcnt(0)
	;;#ASMSTART
	v_pk_mul_f16 v10, v41, v10;

	;;#ASMEND
	;;#ASMSTART
	v_pk_mul_f16 v11, v40, v11;

	;;#ASMEND
	;; [unrolled: 4-line block ×4, first 2 shown]
	s_nop 0
	;;#ASMSTART
	v_pk_add_f16 v10, v10, v11;

	;;#ASMEND
	s_nop 0
	;;#ASMSTART
	v_pk_add_f16 v10, v10, v12;

	;;#ASMEND
	;; [unrolled: 5-line block ×3, first 2 shown]
	s_nop 0
	v_lshrrev_b32_e32 v11, 16, v10
	v_and_b32_e32 v10, 0xffff, v10
	;;#ASMSTART
	v_cvt_f32_f16 v45, v10;
	;;#ASMEND
	;;#ASMSTART
	v_cvt_f32_f16 v46, v11;
	;;#ASMEND
	global_load_dwordx4 v[10:13], v[30:31], off offset:3072
	s_and_saveexec_b64 s[10:11], s[0:1]
	s_cbranch_execz .LBB113_61
; %bb.60:                               ;   in Loop: Header=BB113_52 Depth=1
	v_or_b32_e32 v48, 7, v21
	v_or_b32_e32 v49, 6, v21
	s_waitcnt vmcnt(0)
	v_lshrrev_b32_e32 v50, 16, v13
	v_cmp_gt_i32_e64 s[2:3], s41, v48
	v_or_b32_e32 v31, 5, v21
	v_or_b32_e32 v47, 4, v21
	v_cndmask_b32_e64 v48, 0, v50, s[2:3]
	v_cmp_gt_i32_e64 s[2:3], s40, v49
	v_or_b32_e32 v25, 3, v21
	v_or_b32_e32 v30, 2, v21
	v_cndmask_b32_e64 v13, 0, v13, s[2:3]
	v_perm_b32 v13, v48, v13, s12
	v_lshrrev_b32_e32 v48, 16, v12
	v_cmp_gt_i32_e64 s[2:3], s39, v31
	v_add_u32_e32 v23, 1, v21
	s_nop 0
	v_cndmask_b32_e64 v31, 0, v48, s[2:3]
	v_cmp_gt_i32_e64 s[2:3], s38, v47
	s_nop 1
	v_cndmask_b32_e64 v12, 0, v12, s[2:3]
	v_perm_b32 v12, v31, v12, s12
	v_lshrrev_b32_e32 v31, 16, v11
	v_cmp_gt_i32_e64 s[2:3], s37, v25
	s_nop 1
	v_cndmask_b32_e64 v25, 0, v31, s[2:3]
	v_cmp_gt_i32_e64 s[2:3], s36, v30
	s_nop 1
	v_cndmask_b32_e64 v11, 0, v11, s[2:3]
	v_perm_b32 v11, v25, v11, s12
	v_lshrrev_b32_e32 v25, 16, v10
	v_cmp_gt_i32_e64 s[2:3], s28, v23
	s_nop 1
	v_cndmask_b32_e64 v23, 0, v25, s[2:3]
	v_cmp_gt_i32_e64 s[2:3], s29, v21
	s_nop 1
	v_cndmask_b32_e64 v10, 0, v10, s[2:3]
	v_perm_b32 v10, v23, v10, s12
.LBB113_61:                             ;   in Loop: Header=BB113_52 Depth=1
	s_or_b64 exec, exec, s[10:11]
	s_waitcnt vmcnt(0)
	;;#ASMSTART
	v_pk_mul_f16 v10, v41, v10;

	;;#ASMEND
	;;#ASMSTART
	v_pk_mul_f16 v11, v40, v11;

	;;#ASMEND
	;; [unrolled: 4-line block ×4, first 2 shown]
	s_nop 0
	;;#ASMSTART
	v_pk_add_f16 v10, v10, v11;

	;;#ASMEND
	s_nop 0
	;;#ASMSTART
	v_pk_add_f16 v10, v10, v12;

	;;#ASMEND
	;; [unrolled: 5-line block ×3, first 2 shown]
	s_nop 0
	v_lshrrev_b32_e32 v11, 16, v10
	v_and_b32_e32 v10, 0xffff, v10
	;;#ASMSTART
	v_cvt_f32_f16 v30, v10;
	;;#ASMEND
	;;#ASMSTART
	v_cvt_f32_f16 v31, v11;
	;;#ASMEND
	v_lshl_add_u64 v[10:11], v[28:29], 0, v[16:17]
	global_load_dwordx4 v[10:13], v[10:11], off
	s_and_saveexec_b64 s[10:11], s[0:1]
	s_cbranch_execz .LBB113_63
; %bb.62:                               ;   in Loop: Header=BB113_52 Depth=1
	v_or_b32_e32 v50, 7, v21
	v_or_b32_e32 v51, 6, v21
	s_waitcnt vmcnt(0)
	v_lshrrev_b32_e32 v52, 16, v13
	v_cmp_gt_i32_e64 s[2:3], s41, v50
	v_or_b32_e32 v48, 5, v21
	v_or_b32_e32 v49, 4, v21
	v_cndmask_b32_e64 v50, 0, v52, s[2:3]
	v_cmp_gt_i32_e64 s[2:3], s40, v51
	v_or_b32_e32 v25, 3, v21
	v_or_b32_e32 v47, 2, v21
	v_cndmask_b32_e64 v13, 0, v13, s[2:3]
	v_perm_b32 v13, v50, v13, s12
	v_lshrrev_b32_e32 v50, 16, v12
	v_cmp_gt_i32_e64 s[2:3], s39, v48
	v_add_u32_e32 v23, 1, v21
	s_nop 0
	v_cndmask_b32_e64 v48, 0, v50, s[2:3]
	v_cmp_gt_i32_e64 s[2:3], s38, v49
	s_nop 1
	v_cndmask_b32_e64 v12, 0, v12, s[2:3]
	v_perm_b32 v12, v48, v12, s12
	v_lshrrev_b32_e32 v48, 16, v11
	v_cmp_gt_i32_e64 s[2:3], s37, v25
	s_nop 1
	v_cndmask_b32_e64 v25, 0, v48, s[2:3]
	v_cmp_gt_i32_e64 s[2:3], s36, v47
	s_nop 1
	v_cndmask_b32_e64 v11, 0, v11, s[2:3]
	v_perm_b32 v11, v25, v11, s12
	v_lshrrev_b32_e32 v25, 16, v10
	v_cmp_gt_i32_e64 s[2:3], s28, v23
	s_nop 1
	v_cndmask_b32_e64 v23, 0, v25, s[2:3]
	v_cmp_gt_i32_e64 s[2:3], s29, v21
	s_nop 1
	v_cndmask_b32_e64 v10, 0, v10, s[2:3]
	v_perm_b32 v10, v23, v10, s12
.LBB113_63:                             ;   in Loop: Header=BB113_52 Depth=1
	s_or_b64 exec, exec, s[10:11]
	s_waitcnt vmcnt(0)
	;;#ASMSTART
	v_pk_mul_f16 v10, v41, v10;

	;;#ASMEND
	;;#ASMSTART
	v_pk_mul_f16 v11, v40, v11;

	;;#ASMEND
	;; [unrolled: 4-line block ×4, first 2 shown]
	v_mov_b32_e32 v23, v17
	;;#ASMSTART
	v_pk_add_f16 v10, v10, v11;

	;;#ASMEND
	s_nop 0
	;;#ASMSTART
	v_pk_add_f16 v10, v10, v12;

	;;#ASMEND
	s_nop 0
	;; [unrolled: 5-line block ×3, first 2 shown]
	v_lshrrev_b32_e32 v11, 16, v10
	v_and_b32_e32 v10, 0xffff, v10
	;;#ASMSTART
	v_cvt_f32_f16 v47, v10;
	;;#ASMEND
	;;#ASMSTART
	v_cvt_f32_f16 v48, v11;
	;;#ASMEND
	v_lshl_add_u64 v[10:11], v[28:29], 0, v[22:23]
	global_load_dwordx4 v[10:13], v[10:11], off
	s_and_saveexec_b64 s[10:11], s[0:1]
	s_cbranch_execz .LBB113_65
; %bb.64:                               ;   in Loop: Header=BB113_52 Depth=1
	v_or_b32_e32 v52, 7, v21
	v_or_b32_e32 v53, 6, v21
	s_waitcnt vmcnt(0)
	v_lshrrev_b32_e32 v54, 16, v13
	v_cmp_gt_i32_e64 s[2:3], s41, v52
	v_or_b32_e32 v50, 5, v21
	v_or_b32_e32 v51, 4, v21
	v_cndmask_b32_e64 v52, 0, v54, s[2:3]
	v_cmp_gt_i32_e64 s[2:3], s40, v53
	v_or_b32_e32 v25, 3, v21
	v_or_b32_e32 v49, 2, v21
	v_cndmask_b32_e64 v13, 0, v13, s[2:3]
	v_perm_b32 v13, v52, v13, s12
	v_lshrrev_b32_e32 v52, 16, v12
	v_cmp_gt_i32_e64 s[2:3], s39, v50
	v_add_u32_e32 v23, 1, v21
	s_nop 0
	v_cndmask_b32_e64 v50, 0, v52, s[2:3]
	v_cmp_gt_i32_e64 s[2:3], s38, v51
	s_nop 1
	v_cndmask_b32_e64 v12, 0, v12, s[2:3]
	v_perm_b32 v12, v50, v12, s12
	v_lshrrev_b32_e32 v50, 16, v11
	v_cmp_gt_i32_e64 s[2:3], s37, v25
	s_nop 1
	v_cndmask_b32_e64 v25, 0, v50, s[2:3]
	v_cmp_gt_i32_e64 s[2:3], s36, v49
	s_nop 1
	v_cndmask_b32_e64 v11, 0, v11, s[2:3]
	v_perm_b32 v11, v25, v11, s12
	v_lshrrev_b32_e32 v25, 16, v10
	v_cmp_gt_i32_e64 s[2:3], s28, v23
	s_nop 1
	v_cndmask_b32_e64 v23, 0, v25, s[2:3]
	v_cmp_gt_i32_e64 s[2:3], s29, v21
	s_nop 1
	v_cndmask_b32_e64 v10, 0, v10, s[2:3]
	v_perm_b32 v10, v23, v10, s12
.LBB113_65:                             ;   in Loop: Header=BB113_52 Depth=1
	s_or_b64 exec, exec, s[10:11]
	s_waitcnt vmcnt(0)
	;;#ASMSTART
	v_pk_mul_f16 v10, v41, v10;

	;;#ASMEND
	;;#ASMSTART
	v_pk_mul_f16 v11, v40, v11;

	;;#ASMEND
	;; [unrolled: 4-line block ×4, first 2 shown]
	v_mov_b32_e32 v25, v17
	;;#ASMSTART
	v_pk_add_f16 v10, v10, v11;

	;;#ASMEND
	s_nop 0
	;;#ASMSTART
	v_pk_add_f16 v10, v10, v12;

	;;#ASMEND
	s_nop 0
	;; [unrolled: 5-line block ×3, first 2 shown]
	v_lshrrev_b32_e32 v11, 16, v10
	v_and_b32_e32 v10, 0xffff, v10
	;;#ASMSTART
	v_cvt_f32_f16 v23, v10;
	;;#ASMEND
	;;#ASMSTART
	v_cvt_f32_f16 v49, v11;
	;;#ASMEND
	v_lshl_add_u64 v[10:11], v[28:29], 0, v[24:25]
	global_load_dwordx4 v[10:13], v[10:11], off
	s_and_saveexec_b64 s[10:11], s[0:1]
	s_cbranch_execz .LBB113_67
; %bb.66:                               ;   in Loop: Header=BB113_52 Depth=1
	v_or_b32_e32 v54, 7, v21
	v_or_b32_e32 v55, 6, v21
	s_waitcnt vmcnt(0)
	v_lshrrev_b32_e32 v56, 16, v13
	v_cmp_gt_i32_e64 s[2:3], s41, v54
	v_or_b32_e32 v52, 5, v21
	v_or_b32_e32 v53, 4, v21
	v_cndmask_b32_e64 v54, 0, v56, s[2:3]
	v_cmp_gt_i32_e64 s[2:3], s40, v55
	v_or_b32_e32 v50, 3, v21
	v_or_b32_e32 v51, 2, v21
	v_cndmask_b32_e64 v13, 0, v13, s[2:3]
	v_perm_b32 v13, v54, v13, s12
	v_lshrrev_b32_e32 v54, 16, v12
	v_cmp_gt_i32_e64 s[2:3], s39, v52
	v_add_u32_e32 v25, 1, v21
	s_nop 0
	v_cndmask_b32_e64 v52, 0, v54, s[2:3]
	v_cmp_gt_i32_e64 s[2:3], s38, v53
	s_nop 1
	v_cndmask_b32_e64 v12, 0, v12, s[2:3]
	v_perm_b32 v12, v52, v12, s12
	v_lshrrev_b32_e32 v52, 16, v11
	v_cmp_gt_i32_e64 s[2:3], s37, v50
	s_nop 1
	v_cndmask_b32_e64 v50, 0, v52, s[2:3]
	v_cmp_gt_i32_e64 s[2:3], s36, v51
	s_nop 1
	v_cndmask_b32_e64 v11, 0, v11, s[2:3]
	v_perm_b32 v11, v50, v11, s12
	v_lshrrev_b32_e32 v50, 16, v10
	v_cmp_gt_i32_e64 s[2:3], s28, v25
	s_nop 1
	v_cndmask_b32_e64 v25, 0, v50, s[2:3]
	v_cmp_gt_i32_e64 s[2:3], s29, v21
	s_nop 1
	v_cndmask_b32_e64 v10, 0, v10, s[2:3]
	v_perm_b32 v10, v25, v10, s12
.LBB113_67:                             ;   in Loop: Header=BB113_52 Depth=1
	s_or_b64 exec, exec, s[10:11]
	s_waitcnt vmcnt(0)
	;;#ASMSTART
	v_pk_mul_f16 v10, v41, v10;

	;;#ASMEND
	;;#ASMSTART
	v_pk_mul_f16 v11, v40, v11;

	;;#ASMEND
	;; [unrolled: 4-line block ×4, first 2 shown]
	v_add_f32_e32 v25, v27, v42
	;;#ASMSTART
	v_pk_add_f16 v10, v10, v11;

	;;#ASMEND
	v_add_f32_e32 v2, v2, v25
	;;#ASMSTART
	v_pk_add_f16 v10, v10, v12;

	;;#ASMEND
	;; [unrolled: 5-line block ×3, first 2 shown]
	v_add_f32_e32 v3, v3, v25
	v_add_f32_e32 v25, v45, v46
	v_lshrrev_b32_e32 v11, 16, v10
	v_and_b32_e32 v10, 0xffff, v10
	v_add_f32_e32 v4, v4, v25
	v_add_f32_e32 v25, v30, v31
	;;#ASMSTART
	v_cvt_f32_f16 v10, v10;
	;;#ASMEND
	v_add_f32_e32 v5, v5, v25
	v_add_f32_e32 v25, v47, v48
	;; [unrolled: 1-line block ×3, first 2 shown]
	;;#ASMSTART
	v_cvt_f32_f16 v11, v11;
	;;#ASMEND
	v_add_f32_e32 v6, v6, v25
	v_add_f32_e32 v10, v10, v11
	;; [unrolled: 1-line block ×4, first 2 shown]
	s_and_saveexec_b64 s[2:3], vcc
	s_cbranch_execz .LBB113_50
; %bb.68:                               ;   in Loop: Header=BB113_52 Depth=1
	v_mov_b32_e32 v27, v17
	v_lshl_add_u64 v[10:11], v[28:29], 0, v[26:27]
	global_load_dwordx4 v[10:13], v[10:11], off
	s_and_saveexec_b64 s[10:11], s[0:1]
	s_cbranch_execz .LBB113_49
; %bb.69:                               ;   in Loop: Header=BB113_52 Depth=1
	v_or_b32_e32 v30, 7, v21
	v_or_b32_e32 v31, 6, v21
	s_waitcnt vmcnt(0)
	v_lshrrev_b32_e32 v42, 16, v13
	v_cmp_gt_i32_e64 s[0:1], s41, v30
	v_or_b32_e32 v28, 5, v21
	v_or_b32_e32 v29, 4, v21
	v_cndmask_b32_e64 v30, 0, v42, s[0:1]
	v_cmp_gt_i32_e64 s[0:1], s40, v31
	v_or_b32_e32 v25, 3, v21
	v_or_b32_e32 v27, 2, v21
	v_cndmask_b32_e64 v13, 0, v13, s[0:1]
	v_perm_b32 v13, v30, v13, s12
	v_lshrrev_b32_e32 v30, 16, v12
	v_cmp_gt_i32_e64 s[0:1], s39, v28
	v_add_u32_e32 v23, 1, v21
	s_nop 0
	v_cndmask_b32_e64 v28, 0, v30, s[0:1]
	v_cmp_gt_i32_e64 s[0:1], s38, v29
	s_nop 1
	v_cndmask_b32_e64 v12, 0, v12, s[0:1]
	v_perm_b32 v12, v28, v12, s12
	v_lshrrev_b32_e32 v28, 16, v11
	v_cmp_gt_i32_e64 s[0:1], s37, v25
	s_nop 1
	v_cndmask_b32_e64 v25, 0, v28, s[0:1]
	v_cmp_gt_i32_e64 s[0:1], s36, v27
	s_nop 1
	v_cndmask_b32_e64 v11, 0, v11, s[0:1]
	v_perm_b32 v11, v25, v11, s12
	v_lshrrev_b32_e32 v25, 16, v10
	v_cmp_gt_i32_e64 s[0:1], s28, v23
	s_nop 1
	v_cndmask_b32_e64 v23, 0, v25, s[0:1]
	v_cmp_gt_i32_e64 s[0:1], s29, v21
	s_nop 1
	v_cndmask_b32_e64 v10, 0, v10, s[0:1]
	v_perm_b32 v10, v23, v10, s12
	s_branch .LBB113_49
.LBB113_70:
	s_or_b64 exec, exec, s[18:19]
.LBB113_71:
	s_or_b64 exec, exec, s[20:21]
	ds_bpermute_b32 v12, v32, v4
	ds_bpermute_b32 v13, v32, v5
	;; [unrolled: 1-line block ×6, first 2 shown]
	s_waitcnt lgkmcnt(4)
	v_pk_add_f32 v[4:5], v[4:5], v[12:13]
	ds_bpermute_b32 v12, v32, v6
	ds_bpermute_b32 v13, v32, v7
	s_waitcnt lgkmcnt(4)
	v_pk_add_f32 v[2:3], v[2:3], v[10:11]
	s_waitcnt lgkmcnt(2)
	v_pk_add_f32 v[16:17], v[8:9], v[16:17]
	ds_bpermute_b32 v10, v33, v2
	ds_bpermute_b32 v11, v33, v3
	s_waitcnt lgkmcnt(2)
	v_pk_add_f32 v[12:13], v[6:7], v[12:13]
	ds_bpermute_b32 v14, v33, v4
	ds_bpermute_b32 v15, v33, v5
	;; [unrolled: 1-line block ×6, first 2 shown]
	v_and_b32_e32 v1, 0x3c0, v0
	s_waitcnt lgkmcnt(6)
	v_pk_add_f32 v[8:9], v[2:3], v[10:11]
	s_waitcnt lgkmcnt(4)
	v_pk_add_f32 v[6:7], v[4:5], v[14:15]
	s_waitcnt lgkmcnt(2)
	v_pk_add_f32 v[4:5], v[12:13], v[18:19]
	s_waitcnt lgkmcnt(0)
	v_pk_add_f32 v[2:3], v[16:17], v[20:21]
	v_cmp_eq_u32_e32 vcc, 64, v1
	s_barrier
	s_and_saveexec_b64 s[2:3], vcc
	s_cbranch_execz .LBB113_76
; %bb.72:
	v_cmp_eq_u32_e32 vcc, 0, v34
	s_and_saveexec_b64 s[0:1], vcc
	s_cbranch_execz .LBB113_74
; %bb.73:
	v_mov_b32_e32 v1, 0x100
	v_lshl_add_u32 v1, v35, 2, v1
	ds_write2_b32 v1, v8, v9 offset1:16
	ds_write2_b32 v1, v6, v7 offset0:32 offset1:48
	ds_write2_b32 v1, v4, v5 offset0:64 offset1:80
	ds_write_b32 v1, v2 offset:384
.LBB113_74:
	s_or_b64 exec, exec, s[0:1]
	v_or_b32_e32 v1, 0x70, v35
	s_movk_i32 s0, 0x78
	v_cmp_gt_u32_e64 s[0:1], s0, v1
	s_and_b64 s[0:1], vcc, s[0:1]
	s_and_b64 exec, exec, s[0:1]
	s_cbranch_execz .LBB113_76
; %bb.75:
	v_mov_b32_e32 v1, 0x100
	v_lshl_add_u32 v1, v35, 2, v1
	ds_write_b32 v1, v3 offset:448
.LBB113_76:
	s_or_b64 exec, exec, s[2:3]
	v_cmp_gt_u32_e32 vcc, 64, v0
	v_lshrrev_b32_e32 v0, 2, v0
	s_waitcnt lgkmcnt(0)
	s_barrier
	s_and_saveexec_b64 s[8:9], vcc
	s_cbranch_execz .LBB113_88
; %bb.77:
	v_cmp_eq_u32_e64 s[0:1], 0, v34
	s_and_saveexec_b64 s[2:3], s[0:1]
	s_cbranch_execnz .LBB113_94
; %bb.78:
	s_or_b64 exec, exec, s[2:3]
	s_and_saveexec_b64 s[2:3], s[0:1]
	s_cbranch_execnz .LBB113_95
.LBB113_79:
	s_or_b64 exec, exec, s[2:3]
	s_and_saveexec_b64 s[2:3], s[0:1]
	s_cbranch_execnz .LBB113_96
.LBB113_80:
	s_or_b64 exec, exec, s[2:3]
	s_and_saveexec_b64 s[2:3], s[0:1]
	s_cbranch_execnz .LBB113_97
.LBB113_81:
	s_or_b64 exec, exec, s[2:3]
	s_and_saveexec_b64 s[2:3], s[0:1]
	s_cbranch_execnz .LBB113_98
.LBB113_82:
	s_or_b64 exec, exec, s[2:3]
	s_and_saveexec_b64 s[2:3], s[0:1]
	s_cbranch_execnz .LBB113_99
.LBB113_83:
	s_or_b64 exec, exec, s[2:3]
	s_and_saveexec_b64 s[2:3], s[0:1]
	s_cbranch_execz .LBB113_85
.LBB113_84:
	v_mov_b32_e32 v1, 0x100
	v_lshl_add_u32 v1, v0, 2, v1
	ds_read_b32 v1, v1 offset:384
	s_waitcnt lgkmcnt(0)
	v_add_f32_e32 v2, v2, v1
.LBB113_85:
	s_or_b64 exec, exec, s[2:3]
	v_or_b32_e32 v1, 0x70, v0
	s_movk_i32 s2, 0x78
	v_cmp_gt_u32_e64 s[2:3], s2, v1
	s_and_b64 s[2:3], s[0:1], s[2:3]
	s_and_saveexec_b64 s[0:1], s[2:3]
	s_cbranch_execz .LBB113_87
; %bb.86:
	v_mov_b32_e32 v1, 0x100
	v_lshl_add_u32 v1, v0, 2, v1
	ds_read_b32 v1, v1 offset:448
	s_waitcnt lgkmcnt(0)
	v_add_f32_e32 v3, v3, v1
.LBB113_87:
	s_or_b64 exec, exec, s[0:1]
.LBB113_88:
	s_or_b64 exec, exec, s[8:9]
	s_barrier
	s_and_saveexec_b64 s[0:1], vcc
	s_cbranch_execz .LBB113_93
; %bb.89:
	s_mul_i32 s0, s6, 0x78
	s_ashr_i32 s1, s0, 31
	s_lshl_b64 s[0:1], s[0:1], 1
	s_add_u32 s2, s26, s0
	s_mul_i32 s0, s25, s24
	s_addc_u32 s3, s27, s1
	s_ashr_i32 s1, s0, 31
	s_lshl_b64 s[0:1], s[0:1], 1
	s_add_u32 s2, s2, s0
	s_mul_i32 s0, s4, 0x78
	s_addc_u32 s3, s3, s1
	s_ashr_i32 s1, s0, 31
	s_lshl_b64 s[0:1], s[0:1], 1
	s_add_u32 s2, s2, s0
	s_movk_i32 s5, 0x78
	s_addc_u32 s3, s3, s1
	v_cmp_eq_u32_e32 vcc, 0, v34
	v_lshlrev_b32_e32 v1, 1, v0
	s_and_saveexec_b64 s[0:1], vcc
	s_cbranch_execz .LBB113_91
; %bb.90:
	;;#ASMSTART
	v_cvt_f16_f32 v8, v8;

	;;#ASMEND
	global_store_short v1, v8, s[2:3]
	;;#ASMSTART
	v_cvt_f16_f32 v8, v9;

	;;#ASMEND
	global_store_short v1, v8, s[2:3] offset:32
	;;#ASMSTART
	v_cvt_f16_f32 v6, v6;

	;;#ASMEND
	global_store_short v1, v6, s[2:3] offset:64
	;; [unrolled: 5-line block ×6, first 2 shown]
.LBB113_91:
	s_or_b64 exec, exec, s[0:1]
	v_or_b32_e32 v0, 0x70, v0
	v_cmp_gt_u32_e64 s[0:1], s5, v0
	s_and_b64 s[0:1], vcc, s[0:1]
	s_and_b64 exec, exec, s[0:1]
	s_cbranch_execz .LBB113_93
; %bb.92:
	;;#ASMSTART
	v_cvt_f16_f32 v0, v3;

	;;#ASMEND
	global_store_short v1, v0, s[2:3] offset:224
.LBB113_93:
	s_endpgm
.LBB113_94:
	v_mov_b32_e32 v1, 0x100
	v_lshl_add_u32 v1, v0, 2, v1
	ds_read_b32 v1, v1
	s_waitcnt lgkmcnt(0)
	v_add_f32_e32 v8, v8, v1
	s_or_b64 exec, exec, s[2:3]
	s_and_saveexec_b64 s[2:3], s[0:1]
	s_cbranch_execz .LBB113_79
.LBB113_95:
	v_mov_b32_e32 v1, 0x100
	v_lshl_add_u32 v1, v0, 2, v1
	ds_read_b32 v1, v1 offset:64
	s_waitcnt lgkmcnt(0)
	v_add_f32_e32 v9, v9, v1
	s_or_b64 exec, exec, s[2:3]
	s_and_saveexec_b64 s[2:3], s[0:1]
	s_cbranch_execz .LBB113_80
.LBB113_96:
	v_mov_b32_e32 v1, 0x100
	v_lshl_add_u32 v1, v0, 2, v1
	ds_read_b32 v1, v1 offset:128
	s_waitcnt lgkmcnt(0)
	v_add_f32_e32 v6, v6, v1
	s_or_b64 exec, exec, s[2:3]
	s_and_saveexec_b64 s[2:3], s[0:1]
	s_cbranch_execz .LBB113_81
.LBB113_97:
	v_mov_b32_e32 v1, 0x100
	v_lshl_add_u32 v1, v0, 2, v1
	ds_read_b32 v1, v1 offset:192
	s_waitcnt lgkmcnt(0)
	v_add_f32_e32 v7, v7, v1
	s_or_b64 exec, exec, s[2:3]
	s_and_saveexec_b64 s[2:3], s[0:1]
	s_cbranch_execz .LBB113_82
.LBB113_98:
	v_mov_b32_e32 v1, 0x100
	v_lshl_add_u32 v1, v0, 2, v1
	ds_read_b32 v1, v1 offset:256
	s_waitcnt lgkmcnt(0)
	v_add_f32_e32 v4, v4, v1
	s_or_b64 exec, exec, s[2:3]
	s_and_saveexec_b64 s[2:3], s[0:1]
	s_cbranch_execz .LBB113_83
.LBB113_99:
	v_mov_b32_e32 v1, 0x100
	v_lshl_add_u32 v1, v0, 2, v1
	ds_read_b32 v1, v1 offset:320
	s_waitcnt lgkmcnt(0)
	v_add_f32_e32 v5, v5, v1
	s_or_b64 exec, exec, s[2:3]
	s_and_saveexec_b64 s[2:3], s[0:1]
	s_cbranch_execnz .LBB113_84
	s_branch .LBB113_85
	.section	.rodata,"a",@progbits
	.p2align	6, 0x0
	.amdhsa_kernel _ZN4vllm25paged_attention_v2_kernelIttLi120ELi32ELi128ELNS_18Fp8KVCacheDataTypeE0ELb1ELi512EEEvPfS2_PT_PKS3_PKT0_S9_ifPKiSB_iPKfiiiSD_SD_iiiii
		.amdhsa_group_segment_fixed_size 256
		.amdhsa_private_segment_fixed_size 0
		.amdhsa_kernarg_size 400
		.amdhsa_user_sgpr_count 2
		.amdhsa_user_sgpr_dispatch_ptr 0
		.amdhsa_user_sgpr_queue_ptr 0
		.amdhsa_user_sgpr_kernarg_segment_ptr 1
		.amdhsa_user_sgpr_dispatch_id 0
		.amdhsa_user_sgpr_kernarg_preload_length 0
		.amdhsa_user_sgpr_kernarg_preload_offset 0
		.amdhsa_user_sgpr_private_segment_size 0
		.amdhsa_uses_dynamic_stack 0
		.amdhsa_enable_private_segment 0
		.amdhsa_system_sgpr_workgroup_id_x 1
		.amdhsa_system_sgpr_workgroup_id_y 1
		.amdhsa_system_sgpr_workgroup_id_z 1
		.amdhsa_system_sgpr_workgroup_info 0
		.amdhsa_system_vgpr_workitem_id 0
		.amdhsa_next_free_vgpr 82
		.amdhsa_next_free_sgpr 56
		.amdhsa_accum_offset 84
		.amdhsa_reserve_vcc 1
		.amdhsa_float_round_mode_32 0
		.amdhsa_float_round_mode_16_64 0
		.amdhsa_float_denorm_mode_32 3
		.amdhsa_float_denorm_mode_16_64 3
		.amdhsa_dx10_clamp 1
		.amdhsa_ieee_mode 1
		.amdhsa_fp16_overflow 0
		.amdhsa_tg_split 0
		.amdhsa_exception_fp_ieee_invalid_op 0
		.amdhsa_exception_fp_denorm_src 0
		.amdhsa_exception_fp_ieee_div_zero 0
		.amdhsa_exception_fp_ieee_overflow 0
		.amdhsa_exception_fp_ieee_underflow 0
		.amdhsa_exception_fp_ieee_inexact 0
		.amdhsa_exception_int_div_zero 0
	.end_amdhsa_kernel
	.section	.text._ZN4vllm25paged_attention_v2_kernelIttLi120ELi32ELi128ELNS_18Fp8KVCacheDataTypeE0ELb1ELi512EEEvPfS2_PT_PKS3_PKT0_S9_ifPKiSB_iPKfiiiSD_SD_iiiii,"axG",@progbits,_ZN4vllm25paged_attention_v2_kernelIttLi120ELi32ELi128ELNS_18Fp8KVCacheDataTypeE0ELb1ELi512EEEvPfS2_PT_PKS3_PKT0_S9_ifPKiSB_iPKfiiiSD_SD_iiiii,comdat
.Lfunc_end113:
	.size	_ZN4vllm25paged_attention_v2_kernelIttLi120ELi32ELi128ELNS_18Fp8KVCacheDataTypeE0ELb1ELi512EEEvPfS2_PT_PKS3_PKT0_S9_ifPKiSB_iPKfiiiSD_SD_iiiii, .Lfunc_end113-_ZN4vllm25paged_attention_v2_kernelIttLi120ELi32ELi128ELNS_18Fp8KVCacheDataTypeE0ELb1ELi512EEEvPfS2_PT_PKS3_PKT0_S9_ifPKiSB_iPKfiiiSD_SD_iiiii
                                        ; -- End function
	.section	.AMDGPU.csdata,"",@progbits
; Kernel info:
; codeLenInByte = 10164
; NumSgprs: 62
; NumVgprs: 82
; NumAgprs: 0
; TotalNumVgprs: 82
; ScratchSize: 0
; MemoryBound: 0
; FloatMode: 240
; IeeeMode: 1
; LDSByteSize: 256 bytes/workgroup (compile time only)
; SGPRBlocks: 7
; VGPRBlocks: 10
; NumSGPRsForWavesPerEU: 62
; NumVGPRsForWavesPerEU: 82
; AccumOffset: 84
; Occupancy: 5
; WaveLimiterHint : 1
; COMPUTE_PGM_RSRC2:SCRATCH_EN: 0
; COMPUTE_PGM_RSRC2:USER_SGPR: 2
; COMPUTE_PGM_RSRC2:TRAP_HANDLER: 0
; COMPUTE_PGM_RSRC2:TGID_X_EN: 1
; COMPUTE_PGM_RSRC2:TGID_Y_EN: 1
; COMPUTE_PGM_RSRC2:TGID_Z_EN: 1
; COMPUTE_PGM_RSRC2:TIDIG_COMP_CNT: 0
; COMPUTE_PGM_RSRC3_GFX90A:ACCUM_OFFSET: 20
; COMPUTE_PGM_RSRC3_GFX90A:TG_SPLIT: 0
	.section	.text._ZN4vllm25paged_attention_v2_kernelIttLi128ELi32ELi128ELNS_18Fp8KVCacheDataTypeE0ELb1ELi512EEEvPfS2_PT_PKS3_PKT0_S9_ifPKiSB_iPKfiiiSD_SD_iiiii,"axG",@progbits,_ZN4vllm25paged_attention_v2_kernelIttLi128ELi32ELi128ELNS_18Fp8KVCacheDataTypeE0ELb1ELi512EEEvPfS2_PT_PKS3_PKT0_S9_ifPKiSB_iPKfiiiSD_SD_iiiii,comdat
	.protected	_ZN4vllm25paged_attention_v2_kernelIttLi128ELi32ELi128ELNS_18Fp8KVCacheDataTypeE0ELb1ELi512EEEvPfS2_PT_PKS3_PKT0_S9_ifPKiSB_iPKfiiiSD_SD_iiiii ; -- Begin function _ZN4vllm25paged_attention_v2_kernelIttLi128ELi32ELi128ELNS_18Fp8KVCacheDataTypeE0ELb1ELi512EEEvPfS2_PT_PKS3_PKT0_S9_ifPKiSB_iPKfiiiSD_SD_iiiii
	.globl	_ZN4vllm25paged_attention_v2_kernelIttLi128ELi32ELi128ELNS_18Fp8KVCacheDataTypeE0ELb1ELi512EEEvPfS2_PT_PKS3_PKT0_S9_ifPKiSB_iPKfiiiSD_SD_iiiii
	.p2align	8
	.type	_ZN4vllm25paged_attention_v2_kernelIttLi128ELi32ELi128ELNS_18Fp8KVCacheDataTypeE0ELb1ELi512EEEvPfS2_PT_PKS3_PKT0_S9_ifPKiSB_iPKfiiiSD_SD_iiiii,@function
_ZN4vllm25paged_attention_v2_kernelIttLi128ELi32ELi128ELNS_18Fp8KVCacheDataTypeE0ELb1ELi512EEEvPfS2_PT_PKS3_PKT0_S9_ifPKiSB_iPKfiiiSD_SD_iiiii: ; @_ZN4vllm25paged_attention_v2_kernelIttLi128ELi32ELi128ELNS_18Fp8KVCacheDataTypeE0ELb1ELi512EEEvPfS2_PT_PKS3_PKT0_S9_ifPKiSB_iPKfiiiSD_SD_iiiii
; %bb.0:
	s_load_dwordx2 s[6:7], s[0:1], 0x40
	s_mov_b32 s28, s3
	s_ashr_i32 s29, s3, 31
	s_lshl_b64 s[8:9], s[28:29], 2
	s_waitcnt lgkmcnt(0)
	s_add_u32 s6, s6, s8
	s_addc_u32 s7, s7, s9
	s_load_dword s29, s[6:7], 0x0
	s_lshl_b32 s50, s4, 9
	s_waitcnt lgkmcnt(0)
	s_cmp_ge_i32 s50, s29
	s_cbranch_scc1 .LBB114_84
; %bb.1:
	s_load_dword s5, s[0:1], 0x90
	s_load_dwordx2 s[38:39], s[0:1], 0x30
	s_waitcnt lgkmcnt(0)
	s_abs_i32 s7, s5
	s_abs_i32 s3, s38
	v_cvt_f32_u32_e32 v1, s3
	s_sub_i32 s8, 0, s3
	s_xor_b32 s6, s5, s38
	s_ashr_i32 s6, s6, 31
	v_rcp_iflag_f32_e32 v1, v1
	s_nop 0
	v_mul_f32_e32 v1, 0x4f7ffffe, v1
	v_cvt_u32_f32_e32 v1, v1
	s_nop 0
	v_readfirstlane_b32 s9, v1
	s_mul_i32 s8, s8, s9
	s_mul_hi_u32 s8, s9, s8
	s_add_i32 s9, s9, s8
	s_mul_hi_u32 s8, s7, s9
	s_mul_i32 s9, s8, s3
	s_sub_i32 s7, s7, s9
	s_add_i32 s10, s8, 1
	s_sub_i32 s9, s7, s3
	s_cmp_ge_u32 s7, s3
	s_cselect_b32 s8, s10, s8
	s_cselect_b32 s7, s9, s7
	s_add_i32 s9, s8, 1
	s_cmp_ge_u32 s7, s3
	s_cselect_b32 s3, s9, s8
	s_xor_b32 s3, s3, s6
	s_sub_i32 s12, s3, s6
	s_abs_i32 s8, s12
	v_cvt_f32_u32_e32 v1, s8
	s_load_dwordx2 s[6:7], s[0:1], 0x50
	s_sub_i32 s10, 0, s8
	s_abs_i32 s9, s2
	v_rcp_iflag_f32_e32 v1, v1
	s_mov_b32 s3, 0
	v_mul_f32_e32 v1, 0x4f7ffffe, v1
	v_cvt_u32_f32_e32 v1, v1
	s_nop 0
	v_readfirstlane_b32 s11, v1
	s_mul_i32 s10, s10, s11
	s_mul_hi_u32 s10, s11, s10
	s_add_i32 s11, s11, s10
	s_waitcnt lgkmcnt(0)
	s_cmp_eq_u64 s[6:7], 0
	s_mul_hi_u32 s10, s9, s11
	s_cbranch_scc1 .LBB114_3
; %bb.2:
	s_ashr_i32 s3, s2, 31
	s_lshl_b64 s[14:15], s[2:3], 2
	s_add_u32 s6, s6, s14
	s_addc_u32 s7, s7, s15
	s_load_dword s3, s[6:7], 0x0
.LBB114_3:
	s_ashr_i32 s16, s12, 31
	s_load_dwordx4 s[12:15], s[0:1], 0x58
	s_ashr_i32 s11, s2, 31
	v_and_b32_e32 v4, 1, v0
	s_lshl_b32 s24, s2, 7
	v_cmp_gt_u32_e32 vcc, 32, v0
	v_lshlrev_b32_e32 v32, 3, v0
	s_and_saveexec_b64 s[6:7], vcc
	s_cbranch_execz .LBB114_5
; %bb.4:
	s_load_dwordx2 s[18:19], s[0:1], 0x18
	s_waitcnt lgkmcnt(0)
	s_mul_i32 s20, s28, s12
	s_ashr_i32 s21, s20, 31
	s_lshl_b64 s[20:21], s[20:21], 1
	v_lshlrev_b32_e32 v1, 2, v0
	s_add_u32 s12, s18, s20
	s_addc_u32 s15, s19, s21
	s_ashr_i32 s25, s24, 31
	s_lshl_b64 s[18:19], s[24:25], 1
	s_add_u32 s18, s12, s18
	s_addc_u32 s19, s15, s19
	global_load_dwordx2 v[2:3], v32, s[18:19]
	v_and_b32_e32 v1, 0xff8, v1
	v_lshl_add_u32 v1, v4, 7, v1
	s_waitcnt vmcnt(0)
	ds_write_b64 v1, v[2:3]
.LBB114_5:
	s_or_b64 exec, exec, s[6:7]
	s_mul_i32 s7, s10, s8
	s_sub_i32 s7, s9, s7
	s_xor_b32 s6, s11, s16
	s_add_i32 s9, s10, 1
	s_sub_i32 s11, s7, s8
	s_load_dwordx4 s[16:19], s[0:1], 0x78
	s_cmp_ge_u32 s7, s8
	s_cselect_b32 s9, s9, s10
	s_cselect_b32 s7, s11, s7
	s_load_dword s11, s[0:1], 0x88
	s_add_i32 s10, s9, 1
	s_cmp_ge_u32 s7, s8
	s_cselect_b32 s7, s10, s9
	s_waitcnt lgkmcnt(0)
	s_abs_i32 s33, s19
	v_cvt_f32_u32_e32 v1, s33
	s_xor_b32 s7, s7, s6
	s_sub_i32 s8, s7, s6
	s_sub_i32 s6, 0, s33
	v_rcp_iflag_f32_e32 v1, v1
	s_add_i32 s12, s29, -1
	s_abs_i32 s9, s12
	v_mul_f32_e32 v1, 0x4f7ffffe, v1
	v_cvt_u32_f32_e32 v1, v1
	s_barrier
	v_readfirstlane_b32 s46, v1
	s_mul_i32 s6, s6, s46
	s_mul_hi_u32 s6, s46, s6
	s_add_i32 s46, s46, s6
	s_cmp_lt_i32 s11, 0
	s_mul_hi_u32 s10, s9, s46
	s_cbranch_scc0 .LBB114_7
; %bb.6:
	s_mul_i32 s6, s16, s38
	s_add_i32 s6, s8, s6
	s_mul_i32 s6, s6, s11
	s_sub_i32 s47, 1, s6
	s_mov_b64 s[6:7], 0
	s_branch .LBB114_8
.LBB114_7:
	s_mov_b64 s[6:7], -1
                                        ; implicit-def: $sgpr47
.LBB114_8:
	s_load_dwordx2 s[30:31], s[0:1], 0x38
	s_ashr_i32 s12, s12, 31
	s_andn2_b64 vcc, exec, s[6:7]
	s_ashr_i32 s48, s19, 31
	s_cbranch_vccnz .LBB114_10
; %bb.9:
	s_mul_i32 s6, s5, s16
	s_add_i32 s6, s6, s2
	s_mul_i32 s6, s6, s11
	s_add_i32 s47, s6, 1
.LBB114_10:
	s_load_dword s6, s[0:1], 0x48
	s_load_dwordx2 s[36:37], s[0:1], 0x28
	s_load_dword s25, s[0:1], 0x98
	s_load_dwordx4 s[20:23], s[0:1], 0x0
	s_load_dwordx2 s[26:27], s[0:1], 0x10
	s_mul_i32 s7, s10, s33
	s_waitcnt lgkmcnt(0)
	s_mul_i32 s34, s28, s6
	s_sub_i32 s7, s9, s7
	s_ashr_i32 s35, s34, 31
	s_xor_b32 s6, s12, s48
	s_add_i32 s9, s10, 1
	s_sub_i32 s11, s7, s33
	s_cmp_ge_u32 s7, s33
	s_cselect_b32 s9, s9, s10
	s_cselect_b32 s7, s11, s7
	s_add_i32 s10, s9, 1
	s_cmp_ge_u32 s7, s33
	s_cselect_b32 s7, s10, s9
	s_xor_b32 s7, s7, s6
	s_sub_i32 s16, s7, s6
	s_add_i32 s6, s29, 31
	s_ashr_i32 s7, s6, 31
	s_lshr_b32 s7, s7, 27
	s_add_i32 s6, s6, s7
	s_lshl_b32 s19, s4, 4
	s_ashr_i32 s12, s6, 5
	s_add_i32 s6, s19, 16
	v_lshrrev_b32_e32 v33, 6, v0
	s_min_i32 s49, s6, s12
	v_or_b32_e32 v14, s19, v33
	v_cmp_gt_i32_e64 s[10:11], s49, v14
	v_mov_b32_e32 v37, 0xff7fffff
	s_mul_i32 s14, s8, s14
	v_ashrrev_i32_e32 v15, 31, v14
	v_lshl_add_u32 v1, v33, 5, s50
	v_mbcnt_lo_u32_b32 v34, -1, 0
	s_and_saveexec_b64 s[40:41], s[10:11]
	s_cbranch_execz .LBB114_20
; %bb.11:
	s_load_dwordx2 s[0:1], s[0:1], 0x20
	s_ashr_i32 s15, s14, 31
	s_sub_i32 s38, s16, s17
	s_lshl_b64 s[8:9], s[14:15], 1
	v_bfe_u32 v35, v0, 1, 5
	s_waitcnt lgkmcnt(0)
	s_add_u32 s0, s0, s8
	s_addc_u32 s1, s1, s9
	s_abs_i32 s15, s18
	v_cvt_f32_u32_e32 v5, s15
	v_lshlrev_b32_e32 v2, 4, v35
	v_mov_b32_e32 v3, 0
	v_lshl_add_u64 v[6:7], s[0:1], 0, v[2:3]
	v_rcp_iflag_f32_e32 v5, v5
	v_and_b32_e32 v2, 8, v32
	v_lshl_add_u64 v[2:3], v[6:7], 0, v[2:3]
	s_sub_i32 s0, 0, s15
	v_mul_f32_e32 v5, 0x4f7ffffe, v5
	v_cvt_u32_f32_e32 v5, v5
	v_lshlrev_b32_e32 v6, 2, v35
	v_cmp_eq_u32_e64 s[6:7], 0, v4
	v_lshlrev_b32_e32 v36, 7, v4
	v_mul_lo_u32 v4, s0, v5
	s_lshl_b64 s[0:1], s[34:35], 2
	v_lshl_or_b32 v6, v33, 7, v6
	s_add_u32 s0, s30, s0
	v_add_u32_e32 v40, 0x110, v6
	v_subrev_u32_e32 v6, s29, v35
	v_mbcnt_hi_u32_b32 v43, -1, v34
	v_mul_hi_u32 v4, v5, v4
	s_addc_u32 s1, s31, s1
	v_add_u32_e32 v41, 1, v6
	v_and_b32_e32 v6, 64, v43
	s_mov_b32 s51, s13
	v_cmp_neq_f32_e64 s[8:9], s3, 0
	v_add_u32_e32 v38, v5, v4
	v_lshl_add_u64 v[4:5], v[14:15], 2, s[0:1]
	v_lshl_add_u32 v39, v33, 5, s50
	s_mov_b64 s[42:43], 0
	v_mov_b32_e32 v42, 0xff7fffff
	s_movk_i32 s52, 0x1000
	v_xor_b32_e32 v44, 1, v43
	v_add_u32_e32 v45, 64, v6
	v_mov_b32_e32 v37, 0xff7fffff
	v_mov_b32_e32 v46, v14
	s_branch .LBB114_14
.LBB114_12:                             ;   in Loop: Header=BB114_14 Depth=1
	s_or_b64 exec, exec, s[44:45]
.LBB114_13:                             ;   in Loop: Header=BB114_14 Depth=1
	s_or_b64 exec, exec, s[0:1]
	v_add_u32_e32 v46, 2, v46
	v_cmp_le_i32_e32 vcc, s49, v46
	v_lshl_add_u64 v[4:5], v[4:5], 0, 8
	v_add_u32_e32 v39, 64, v39
	s_or_b64 s[42:43], vcc, s[42:43]
	v_add_u32_e32 v40, 0x100, v40
	s_andn2_b64 exec, exec, s[42:43]
	s_cbranch_execz .LBB114_19
.LBB114_14:                             ; =>This Inner Loop Header: Depth=1
	s_waitcnt lgkmcnt(0)
	v_sub_u32_e32 v7, 0, v39
	v_max_i32_e32 v7, v39, v7
	v_mul_hi_u32 v8, v7, s46
	v_mul_lo_u32 v9, v8, s33
	v_sub_u32_e32 v7, v7, v9
	v_add_u32_e32 v9, 1, v8
	v_cmp_le_u32_e32 vcc, s33, v7
	v_ashrrev_i32_e32 v6, 31, v39
	v_xor_b32_e32 v6, s48, v6
	v_cndmask_b32_e32 v8, v8, v9, vcc
	v_subrev_u32_e32 v9, s33, v7
	v_cndmask_b32_e32 v7, v7, v9, vcc
	v_add_u32_e32 v9, 1, v8
	v_cmp_le_u32_e32 vcc, s33, v7
	s_nop 1
	v_cndmask_b32_e32 v7, v8, v9, vcc
	v_xor_b32_e32 v7, v7, v6
	v_sub_u32_e32 v6, v7, v6
	v_add_u32_e32 v7, s47, v6
	v_sub_u32_e32 v9, 0, v7
	v_ashrrev_i32_e32 v8, 31, v7
	v_max_i32_e32 v7, v7, v9
	v_mul_hi_u32 v9, v7, v38
	v_mul_lo_u32 v9, v9, s15
	v_sub_u32_e32 v7, v7, v9
	v_subrev_u32_e32 v9, s15, v7
	v_cmp_le_u32_e32 vcc, s15, v7
	v_cmp_ge_i32_e64 s[0:1], s38, v6
	s_nop 0
	v_cndmask_b32_e32 v7, v7, v9, vcc
	v_subrev_u32_e32 v9, s15, v7
	v_cmp_le_u32_e32 vcc, s15, v7
	s_nop 1
	v_cndmask_b32_e32 v7, v7, v9, vcc
	v_xor_b32_e32 v7, v7, v8
	v_sub_u32_e32 v7, v7, v8
	v_cmp_ne_u32_e32 vcc, 0, v7
	s_and_b64 s[0:1], vcc, s[0:1]
	s_and_b64 s[54:55], s[6:7], s[0:1]
	s_and_saveexec_b64 s[44:45], s[54:55]
	s_cbranch_execz .LBB114_16
; %bb.15:                               ;   in Loop: Header=BB114_14 Depth=1
	ds_write_b32 v40, v42
.LBB114_16:                             ;   in Loop: Header=BB114_14 Depth=1
	s_or_b64 exec, exec, s[44:45]
	s_xor_b64 s[44:45], s[0:1], -1
	s_and_saveexec_b64 s[0:1], s[44:45]
	s_cbranch_execz .LBB114_13
; %bb.17:                               ;   in Loop: Header=BB114_14 Depth=1
	global_load_dword v6, v[4:5], off
	s_waitcnt vmcnt(0)
	v_mad_i64_i32 v[6:7], s[44:45], v6, s51, 0
	v_lshl_add_u64 v[6:7], v[6:7], 1, v[2:3]
	global_load_dwordx2 v[50:51], v[6:7], off
	global_load_dwordx2 v[52:53], v[6:7], off offset:512
	global_load_dwordx2 v[54:55], v[6:7], off offset:1024
	;; [unrolled: 1-line block ×7, first 2 shown]
	v_add_co_u32_e32 v6, vcc, s52, v6
	ds_read_b64 v[8:9], v36
	s_nop 0
	v_addc_co_u32_e32 v7, vcc, 0, v7, vcc
	global_load_dwordx2 v[22:23], v[6:7], off
	v_cmp_lt_i32_e32 vcc, v44, v45
	s_waitcnt lgkmcnt(0)
	v_lshrrev_b32_e32 v48, 16, v8
	v_and_b32_e32 v47, 0xffff, v8
	v_lshrrev_b32_e32 v49, 16, v9
	v_and_b32_e32 v58, 0xffff, v9
	global_load_dwordx2 v[20:21], v[6:7], off offset:512
	global_load_dwordx2 v[18:19], v[6:7], off offset:1024
	;; [unrolled: 1-line block ×6, first 2 shown]
	s_nop 0
	global_load_dwordx2 v[6:7], v[6:7], off offset:3584
	;;#ASMSTART
	v_cvt_f32_f16 v47, v47;
	;;#ASMEND
	;;#ASMSTART
	v_cvt_f32_f16 v48, v48;
	;;#ASMEND
	s_waitcnt vmcnt(15)
	v_lshrrev_b32_e32 v59, 16, v50
	v_and_b32_e32 v50, 0xffff, v50
	v_lshrrev_b32_e32 v60, 16, v51
	v_and_b32_e32 v51, 0xffff, v51
	;;#ASMSTART
	v_cvt_f32_f16 v50, v50;
	;;#ASMEND
	;;#ASMSTART
	v_cvt_f32_f16 v59, v59;
	;;#ASMEND
	;; [unrolled: 3-line block ×3, first 2 shown]
	s_waitcnt vmcnt(8)
	v_lshrrev_b32_e32 v75, 16, v24
	v_and_b32_e32 v76, 0xffff, v24
	v_lshrrev_b32_e32 v77, 16, v25
	v_and_b32_e32 v78, 0xffff, v25
	;;#ASMSTART
	v_cvt_f32_f16 v49, v49;
	;;#ASMEND
	;;#ASMSTART
	v_cvt_f32_f16 v51, v51;
	;;#ASMEND
	;; [unrolled: 3-line block ×3, first 2 shown]
	ds_read_b64 v[24:25], v36 offset:8
	v_lshrrev_b32_e32 v61, 16, v52
	v_and_b32_e32 v52, 0xffff, v52
	v_lshrrev_b32_e32 v62, 16, v53
	v_and_b32_e32 v53, 0xffff, v53
	s_waitcnt vmcnt(7)
	v_lshrrev_b32_e32 v79, 16, v22
	v_and_b32_e32 v80, 0xffff, v22
	v_lshrrev_b32_e32 v81, 16, v23
	v_and_b32_e32 v82, 0xffff, v23
	s_waitcnt lgkmcnt(0)
	v_and_b32_e32 v22, 0xffff, v24
	v_lshrrev_b32_e32 v23, 16, v24
	v_lshrrev_b32_e32 v24, 16, v25
	v_and_b32_e32 v25, 0xffff, v25
	v_lshrrev_b32_e32 v71, 16, v26
	v_and_b32_e32 v72, 0xffff, v26
	;; [unrolled: 2-line block ×3, first 2 shown]
	;;#ASMSTART
	v_cvt_f32_f16 v22, v22;
	;;#ASMEND
	;;#ASMSTART
	v_cvt_f32_f16 v23, v23;
	;;#ASMEND
	;; [unrolled: 3-line block ×8, first 2 shown]
	ds_read_b64 v[26:27], v36 offset:16
	v_mul_f32_e32 v22, v22, v52
	v_mul_f32_e32 v23, v23, v61
	v_lshrrev_b32_e32 v63, 16, v54
	v_and_b32_e32 v54, 0xffff, v54
	v_mul_f32_e32 v24, v25, v24
	v_mul_f32_e32 v25, v83, v53
	v_fmac_f32_e32 v22, v47, v50
	v_fmac_f32_e32 v23, v48, v59
	s_waitcnt lgkmcnt(0)
	v_lshrrev_b32_e32 v47, 16, v26
	v_and_b32_e32 v26, 0xffff, v26
	v_lshrrev_b32_e32 v48, 16, v27
	v_and_b32_e32 v27, 0xffff, v27
	;; [unrolled: 2-line block ×3, first 2 shown]
	v_fmac_f32_e32 v24, v58, v51
	v_fmac_f32_e32 v25, v49, v60
	;;#ASMSTART
	v_cvt_f32_f16 v49, v26;
	;;#ASMEND
	;;#ASMSTART
	v_cvt_f32_f16 v47, v47;
	;;#ASMEND
	;; [unrolled: 3-line block ×8, first 2 shown]
	ds_read_b64 v[26:27], v36 offset:24
	v_fmac_f32_e32 v23, v47, v51
	v_fmac_f32_e32 v25, v48, v54
	v_lshrrev_b32_e32 v65, 16, v56
	v_and_b32_e32 v56, 0xffff, v56
	s_waitcnt lgkmcnt(0)
	v_lshrrev_b32_e32 v47, 16, v26
	v_and_b32_e32 v26, 0xffff, v26
	v_lshrrev_b32_e32 v48, 16, v27
	v_and_b32_e32 v27, 0xffff, v27
	;; [unrolled: 2-line block ×3, first 2 shown]
	v_fmac_f32_e32 v22, v49, v50
	v_fmac_f32_e32 v24, v52, v53
	;;#ASMSTART
	v_cvt_f32_f16 v49, v26;
	;;#ASMEND
	;;#ASMSTART
	v_cvt_f32_f16 v47, v47;
	;;#ASMEND
	;; [unrolled: 3-line block ×8, first 2 shown]
	ds_read_b64 v[26:27], v36 offset:32
	v_lshrrev_b32_e32 v67, 16, v30
	v_and_b32_e32 v30, 0xffff, v30
	v_lshrrev_b32_e32 v68, 16, v31
	v_and_b32_e32 v31, 0xffff, v31
	v_fmac_f32_e32 v23, v47, v51
	v_fmac_f32_e32 v25, v48, v54
	s_waitcnt lgkmcnt(0)
	v_lshrrev_b32_e32 v47, 16, v26
	v_and_b32_e32 v26, 0xffff, v26
	v_lshrrev_b32_e32 v48, 16, v27
	v_and_b32_e32 v27, 0xffff, v27
	v_fmac_f32_e32 v22, v49, v50
	v_fmac_f32_e32 v24, v52, v53
	;;#ASMSTART
	v_cvt_f32_f16 v49, v26;
	;;#ASMEND
	;;#ASMSTART
	v_cvt_f32_f16 v47, v47;
	;;#ASMEND
	;;#ASMSTART
	v_cvt_f32_f16 v30, v30;
	;;#ASMEND
	;;#ASMSTART
	v_cvt_f32_f16 v50, v67;
	;;#ASMEND
	;;#ASMSTART
	v_cvt_f32_f16 v51, v27;
	;;#ASMEND
	;;#ASMSTART
	v_cvt_f32_f16 v48, v48;
	;;#ASMEND
	;;#ASMSTART
	v_cvt_f32_f16 v31, v31;
	;;#ASMEND
	;;#ASMSTART
	v_cvt_f32_f16 v52, v68;
	;;#ASMEND
	ds_read_b64 v[26:27], v36 offset:40
	v_lshrrev_b32_e32 v69, 16, v28
	v_and_b32_e32 v28, 0xffff, v28
	v_lshrrev_b32_e32 v70, 16, v29
	v_and_b32_e32 v29, 0xffff, v29
	v_fmac_f32_e32 v22, v49, v30
	v_fmac_f32_e32 v24, v51, v31
	s_waitcnt lgkmcnt(0)
	v_lshrrev_b32_e32 v30, 16, v26
	v_and_b32_e32 v26, 0xffff, v26
	v_lshrrev_b32_e32 v31, 16, v27
	v_and_b32_e32 v27, 0xffff, v27
	v_fmac_f32_e32 v23, v47, v50
	v_fmac_f32_e32 v25, v48, v52
	;;#ASMSTART
	v_cvt_f32_f16 v47, v26;
	;;#ASMEND
	;;#ASMSTART
	v_cvt_f32_f16 v30, v30;
	;;#ASMEND
	;;#ASMSTART
	v_cvt_f32_f16 v28, v28;
	;;#ASMEND
	;;#ASMSTART
	v_cvt_f32_f16 v48, v69;
	;;#ASMEND
	;;#ASMSTART
	v_cvt_f32_f16 v49, v27;
	;;#ASMEND
	;;#ASMSTART
	v_cvt_f32_f16 v31, v31;
	;;#ASMEND
	;;#ASMSTART
	v_cvt_f32_f16 v29, v29;
	;;#ASMEND
	;;#ASMSTART
	v_cvt_f32_f16 v50, v70;
	;;#ASMEND
	ds_read_b64 v[26:27], v36 offset:48
	v_fmac_f32_e32 v22, v47, v28
	v_fmac_f32_e32 v24, v49, v29
	v_fmac_f32_e32 v23, v30, v48
	v_fmac_f32_e32 v25, v31, v50
	s_waitcnt lgkmcnt(0)
	v_lshrrev_b32_e32 v28, 16, v26
	v_and_b32_e32 v26, 0xffff, v26
	v_lshrrev_b32_e32 v29, 16, v27
	v_and_b32_e32 v27, 0xffff, v27
	;;#ASMSTART
	v_cvt_f32_f16 v30, v26;
	;;#ASMEND
	;;#ASMSTART
	v_cvt_f32_f16 v28, v28;
	;;#ASMEND
	;;#ASMSTART
	v_cvt_f32_f16 v31, v72;
	;;#ASMEND
	;;#ASMSTART
	v_cvt_f32_f16 v47, v71;
	;;#ASMEND
	;;#ASMSTART
	v_cvt_f32_f16 v48, v27;
	;;#ASMEND
	;;#ASMSTART
	v_cvt_f32_f16 v29, v29;
	;;#ASMEND
	;;#ASMSTART
	v_cvt_f32_f16 v49, v74;
	;;#ASMEND
	;;#ASMSTART
	v_cvt_f32_f16 v50, v73;
	;;#ASMEND
	ds_read_b64 v[26:27], v36 offset:56
	v_fmac_f32_e32 v23, v28, v47
	v_fmac_f32_e32 v25, v29, v50
	v_fmac_f32_e32 v22, v30, v31
	v_fmac_f32_e32 v24, v48, v49
	s_waitcnt lgkmcnt(0)
	v_lshrrev_b32_e32 v28, 16, v26
	v_and_b32_e32 v26, 0xffff, v26
	v_lshrrev_b32_e32 v29, 16, v27
	v_and_b32_e32 v27, 0xffff, v27
	;; [unrolled: 34-line block ×3, first 2 shown]
	;;#ASMSTART
	v_cvt_f32_f16 v30, v26;
	;;#ASMEND
	;;#ASMSTART
	v_cvt_f32_f16 v28, v28;
	;;#ASMEND
	;; [unrolled: 3-line block ×8, first 2 shown]
	ds_read_b64 v[26:27], v36 offset:72
	v_fmac_f32_e32 v23, v28, v47
	v_fmac_f32_e32 v25, v29, v50
	s_waitcnt vmcnt(6)
	v_lshrrev_b32_e32 v29, 16, v20
	v_and_b32_e32 v20, 0xffff, v20
	s_waitcnt lgkmcnt(0)
	v_lshrrev_b32_e32 v28, 16, v26
	v_and_b32_e32 v26, 0xffff, v26
	v_fmac_f32_e32 v22, v30, v31
	;;#ASMSTART
	v_cvt_f32_f16 v26, v26;
	;;#ASMEND
	;;#ASMSTART
	v_cvt_f32_f16 v28, v28;
	;;#ASMEND
	;;#ASMSTART
	v_cvt_f32_f16 v30, v20;
	;;#ASMEND
	v_lshrrev_b32_e32 v20, 16, v27
	v_and_b32_e32 v27, 0xffff, v27
	;;#ASMSTART
	v_cvt_f32_f16 v29, v29;
	;;#ASMEND
	;;#ASMSTART
	v_cvt_f32_f16 v27, v27;
	;;#ASMEND
	;;#ASMSTART
	v_cvt_f32_f16 v31, v20;
	;;#ASMEND
	v_lshrrev_b32_e32 v20, 16, v21
	v_and_b32_e32 v21, 0xffff, v21
	v_fmac_f32_e32 v24, v48, v49
	;;#ASMSTART
	v_cvt_f32_f16 v47, v21;
	;;#ASMEND
	;;#ASMSTART
	v_cvt_f32_f16 v48, v20;
	;;#ASMEND
	ds_read_b64 v[20:21], v36 offset:80
	v_fmac_f32_e32 v22, v26, v30
	v_fmac_f32_e32 v24, v27, v47
	s_waitcnt vmcnt(5)
	v_lshrrev_b32_e32 v27, 16, v18
	v_and_b32_e32 v18, 0xffff, v18
	s_waitcnt lgkmcnt(0)
	v_lshrrev_b32_e32 v26, 16, v20
	v_and_b32_e32 v20, 0xffff, v20
	v_fmac_f32_e32 v23, v28, v29
	;;#ASMSTART
	v_cvt_f32_f16 v20, v20;
	;;#ASMEND
	;;#ASMSTART
	v_cvt_f32_f16 v26, v26;
	;;#ASMEND
	;;#ASMSTART
	v_cvt_f32_f16 v28, v18;
	;;#ASMEND
	v_lshrrev_b32_e32 v18, 16, v21
	v_and_b32_e32 v21, 0xffff, v21
	;;#ASMSTART
	v_cvt_f32_f16 v27, v27;
	;;#ASMEND
	;;#ASMSTART
	v_cvt_f32_f16 v21, v21;
	;;#ASMEND
	;;#ASMSTART
	v_cvt_f32_f16 v29, v18;
	;;#ASMEND
	v_lshrrev_b32_e32 v18, 16, v19
	v_and_b32_e32 v19, 0xffff, v19
	v_fmac_f32_e32 v25, v31, v48
	;;#ASMSTART
	v_cvt_f32_f16 v30, v19;
	;;#ASMEND
	;;#ASMSTART
	v_cvt_f32_f16 v31, v18;
	;;#ASMEND
	ds_read_b64 v[18:19], v36 offset:88
	v_fmac_f32_e32 v22, v20, v28
	v_fmac_f32_e32 v24, v21, v30
	s_waitcnt vmcnt(4)
	v_lshrrev_b32_e32 v21, 16, v16
	v_and_b32_e32 v16, 0xffff, v16
	s_waitcnt lgkmcnt(0)
	v_lshrrev_b32_e32 v20, 16, v18
	v_and_b32_e32 v18, 0xffff, v18
	v_fmac_f32_e32 v23, v26, v27
	;;#ASMSTART
	v_cvt_f32_f16 v18, v18;
	;;#ASMEND
	;;#ASMSTART
	v_cvt_f32_f16 v20, v20;
	;;#ASMEND
	;;#ASMSTART
	v_cvt_f32_f16 v26, v16;
	;;#ASMEND
	v_lshrrev_b32_e32 v16, 16, v19
	v_and_b32_e32 v19, 0xffff, v19
	;;#ASMSTART
	v_cvt_f32_f16 v21, v21;
	;;#ASMEND
	;;#ASMSTART
	v_cvt_f32_f16 v19, v19;
	;;#ASMEND
	;;#ASMSTART
	v_cvt_f32_f16 v27, v16;
	;;#ASMEND
	v_lshrrev_b32_e32 v16, 16, v17
	v_and_b32_e32 v17, 0xffff, v17
	v_fmac_f32_e32 v25, v29, v31
	;;#ASMSTART
	v_cvt_f32_f16 v28, v17;
	;;#ASMEND
	;;#ASMSTART
	v_cvt_f32_f16 v29, v16;
	;;#ASMEND
	ds_read_b64 v[16:17], v36 offset:96
	v_fmac_f32_e32 v22, v18, v26
	v_fmac_f32_e32 v24, v19, v28
	s_waitcnt vmcnt(3)
	v_lshrrev_b32_e32 v19, 16, v12
	v_and_b32_e32 v12, 0xffff, v12
	s_waitcnt lgkmcnt(0)
	v_lshrrev_b32_e32 v18, 16, v16
	v_and_b32_e32 v16, 0xffff, v16
	v_fmac_f32_e32 v23, v20, v21
	;;#ASMSTART
	v_cvt_f32_f16 v16, v16;
	;;#ASMEND
	;;#ASMSTART
	v_cvt_f32_f16 v18, v18;
	;;#ASMEND
	;;#ASMSTART
	v_cvt_f32_f16 v20, v12;
	;;#ASMEND
	v_lshrrev_b32_e32 v12, 16, v17
	v_and_b32_e32 v17, 0xffff, v17
	;;#ASMSTART
	v_cvt_f32_f16 v19, v19;
	;;#ASMEND
	;;#ASMSTART
	v_cvt_f32_f16 v17, v17;
	;;#ASMEND
	;;#ASMSTART
	v_cvt_f32_f16 v21, v12;
	;;#ASMEND
	v_lshrrev_b32_e32 v12, 16, v13
	v_and_b32_e32 v13, 0xffff, v13
	v_fmac_f32_e32 v25, v27, v29
	;;#ASMSTART
	v_cvt_f32_f16 v26, v13;
	;;#ASMEND
	;;#ASMSTART
	v_cvt_f32_f16 v27, v12;
	;;#ASMEND
	ds_read_b64 v[12:13], v36 offset:104
	v_fmac_f32_e32 v22, v16, v20
	v_fmac_f32_e32 v24, v17, v26
	s_waitcnt vmcnt(2)
	v_lshrrev_b32_e32 v17, 16, v10
	v_and_b32_e32 v10, 0xffff, v10
	s_waitcnt lgkmcnt(0)
	v_lshrrev_b32_e32 v16, 16, v12
	v_and_b32_e32 v12, 0xffff, v12
	v_fmac_f32_e32 v23, v18, v19
	;;#ASMSTART
	v_cvt_f32_f16 v12, v12;
	;;#ASMEND
	;;#ASMSTART
	v_cvt_f32_f16 v16, v16;
	;;#ASMEND
	;;#ASMSTART
	v_cvt_f32_f16 v18, v10;
	;;#ASMEND
	v_lshrrev_b32_e32 v10, 16, v13
	v_and_b32_e32 v13, 0xffff, v13
	;;#ASMSTART
	v_cvt_f32_f16 v17, v17;
	;;#ASMEND
	;;#ASMSTART
	v_cvt_f32_f16 v13, v13;
	;;#ASMEND
	;;#ASMSTART
	v_cvt_f32_f16 v19, v10;
	;;#ASMEND
	v_lshrrev_b32_e32 v10, 16, v11
	v_and_b32_e32 v11, 0xffff, v11
	v_fmac_f32_e32 v25, v21, v27
	;;#ASMSTART
	v_cvt_f32_f16 v20, v11;
	;;#ASMEND
	;;#ASMSTART
	v_cvt_f32_f16 v21, v10;
	;;#ASMEND
	ds_read_b64 v[10:11], v36 offset:112
	v_fmac_f32_e32 v22, v12, v18
	v_fmac_f32_e32 v24, v13, v20
	s_waitcnt vmcnt(1)
	v_lshrrev_b32_e32 v13, 16, v8
	v_and_b32_e32 v8, 0xffff, v8
	s_waitcnt lgkmcnt(0)
	v_lshrrev_b32_e32 v12, 16, v10
	v_and_b32_e32 v10, 0xffff, v10
	v_fmac_f32_e32 v23, v16, v17
	;;#ASMSTART
	v_cvt_f32_f16 v10, v10;
	;;#ASMEND
	;;#ASMSTART
	v_cvt_f32_f16 v12, v12;
	;;#ASMEND
	;;#ASMSTART
	v_cvt_f32_f16 v16, v8;
	;;#ASMEND
	v_lshrrev_b32_e32 v8, 16, v11
	v_and_b32_e32 v11, 0xffff, v11
	;;#ASMSTART
	v_cvt_f32_f16 v13, v13;
	;;#ASMEND
	;;#ASMSTART
	v_cvt_f32_f16 v11, v11;
	;;#ASMEND
	;;#ASMSTART
	v_cvt_f32_f16 v17, v8;
	;;#ASMEND
	v_lshrrev_b32_e32 v8, 16, v9
	v_and_b32_e32 v9, 0xffff, v9
	v_fmac_f32_e32 v25, v19, v21
	;;#ASMSTART
	v_cvt_f32_f16 v18, v9;
	;;#ASMEND
	;;#ASMSTART
	v_cvt_f32_f16 v19, v8;
	;;#ASMEND
	ds_read_b64 v[8:9], v36 offset:120
	v_fmac_f32_e32 v22, v10, v16
	v_fmac_f32_e32 v24, v11, v18
	s_waitcnt vmcnt(0)
	v_lshrrev_b32_e32 v11, 16, v6
	v_and_b32_e32 v6, 0xffff, v6
	s_waitcnt lgkmcnt(0)
	v_lshrrev_b32_e32 v10, 16, v8
	v_and_b32_e32 v8, 0xffff, v8
	;;#ASMSTART
	v_cvt_f32_f16 v8, v8;
	;;#ASMEND
	;;#ASMSTART
	v_cvt_f32_f16 v10, v10;
	;;#ASMEND
	;; [unrolled: 3-line block ×3, first 2 shown]
	v_fmac_f32_e32 v23, v12, v13
	v_fmac_f32_e32 v22, v8, v6
	v_lshrrev_b32_e32 v6, 16, v9
	v_and_b32_e32 v8, 0xffff, v9
	v_fmac_f32_e32 v25, v17, v19
	;;#ASMSTART
	v_cvt_f32_f16 v11, v11;
	;;#ASMEND
	;;#ASMSTART
	v_cvt_f32_f16 v8, v8;
	;;#ASMEND
	;; [unrolled: 3-line block ×3, first 2 shown]
	v_lshrrev_b32_e32 v9, 16, v7
	v_fmac_f32_e32 v23, v10, v11
	v_and_b32_e32 v7, 0xffff, v7
	;;#ASMSTART
	v_cvt_f32_f16 v7, v7;
	;;#ASMEND
	;;#ASMSTART
	v_cvt_f32_f16 v9, v9;
	;;#ASMEND
	s_nop 0
	v_fmac_f32_e32 v24, v8, v7
	v_fmac_f32_e32 v25, v6, v9
	v_add_f32_e32 v6, v22, v23
	v_add_f32_e32 v6, v6, v24
	v_cndmask_b32_e32 v7, v43, v44, vcc
	v_add_f32_e32 v6, v25, v6
	v_lshlrev_b32_e32 v7, 2, v7
	ds_bpermute_b32 v7, v7, v6
	s_and_saveexec_b64 s[44:45], s[6:7]
	s_cbranch_execz .LBB114_12
; %bb.18:                               ;   in Loop: Header=BB114_14 Depth=1
	v_add_u32_e32 v8, v41, v39
	v_cvt_f32_i32_e32 v8, v8
	s_waitcnt lgkmcnt(0)
	v_add_f32_e32 v6, v6, v7
	v_add_u32_e32 v9, v35, v39
	v_cmp_gt_i32_e32 vcc, s29, v9
	v_mul_f32_e32 v7, s3, v8
	v_cndmask_b32_e64 v7, 0, v7, s[8:9]
	v_fmac_f32_e32 v7, s39, v6
	v_cndmask_b32_e32 v6, 0, v7, vcc
	ds_write_b32 v40, v6
	v_max_f32_e32 v6, v37, v37
	v_max_f32_e32 v6, v6, v7
	v_cndmask_b32_e32 v37, v37, v6, vcc
	s_branch .LBB114_12
.LBB114_19:
	s_or_b64 exec, exec, s[42:43]
.LBB114_20:
	s_or_b64 exec, exec, s[40:41]
	v_mbcnt_hi_u32_b32 v4, -1, v34
	v_and_b32_e32 v2, 64, v4
	v_add_u32_e32 v9, 64, v2
	v_xor_b32_e32 v2, 32, v4
	v_cmp_lt_i32_e32 vcc, v2, v9
	v_xor_b32_e32 v6, 16, v4
	v_max_f32_e32 v5, v37, v37
	v_cndmask_b32_e32 v2, v4, v2, vcc
	v_lshlrev_b32_e32 v2, 2, v2
	ds_bpermute_b32 v3, v2, v37
	v_cmp_lt_i32_e32 vcc, v6, v9
	s_waitcnt lgkmcnt(1)
	v_xor_b32_e32 v7, 8, v4
	v_xor_b32_e32 v8, 4, v4
	;; [unrolled: 1-line block ×3, first 2 shown]
	s_waitcnt lgkmcnt(0)
	v_max_f32_e32 v3, v3, v3
	v_max_f32_e32 v5, v5, v3
	v_cndmask_b32_e32 v3, v4, v6, vcc
	v_lshlrev_b32_e32 v3, 2, v3
	ds_bpermute_b32 v6, v3, v5
	v_cmp_lt_i32_e32 vcc, v7, v9
	v_and_b32_e32 v34, 63, v0
	s_waitcnt lgkmcnt(0)
	v_max_f32_e32 v6, v6, v6
	v_max_f32_e32 v6, v5, v6
	v_cndmask_b32_e32 v5, v4, v7, vcc
	v_lshlrev_b32_e32 v5, 2, v5
	ds_bpermute_b32 v7, v5, v6
	v_cmp_lt_i32_e32 vcc, v8, v9
	s_waitcnt lgkmcnt(0)
	v_max_f32_e32 v7, v7, v7
	v_max_f32_e32 v7, v6, v7
	v_cndmask_b32_e32 v6, v4, v8, vcc
	v_lshlrev_b32_e32 v6, 2, v6
	ds_bpermute_b32 v8, v6, v7
	v_cmp_lt_i32_e32 vcc, v10, v9
	s_waitcnt lgkmcnt(0)
	v_max_f32_e32 v8, v8, v8
	v_max_f32_e32 v8, v7, v8
	v_cndmask_b32_e32 v7, v4, v10, vcc
	v_lshlrev_b32_e32 v35, 2, v7
	ds_bpermute_b32 v10, v35, v8
	v_cmp_eq_u32_e32 vcc, 0, v34
	v_lshlrev_b32_e32 v7, 2, v33
	s_and_saveexec_b64 s[0:1], vcc
	s_cbranch_execz .LBB114_22
; %bb.21:
	s_waitcnt lgkmcnt(0)
	v_max_f32_e32 v10, v10, v10
	v_max_f32_e32 v8, v8, v8
	;; [unrolled: 1-line block ×3, first 2 shown]
	ds_write_b32 v7, v8 offset:256
.LBB114_22:
	s_or_b64 exec, exec, s[0:1]
	v_cmp_gt_u32_e64 s[0:1], 2, v34
	s_waitcnt lgkmcnt(0)
	v_mov_b32_e32 v10, 0xff7fffff
	v_lshlrev_b32_e32 v8, 2, v34
	s_barrier
	s_and_saveexec_b64 s[6:7], s[0:1]
	s_cbranch_execz .LBB114_24
; %bb.23:
	ds_read_b32 v10, v8 offset:256
.LBB114_24:
	s_or_b64 exec, exec, s[6:7]
	v_xor_b32_e32 v11, 1, v4
	v_cmp_lt_i32_e64 s[6:7], v11, v9
	s_sub_i32 s3, s49, s19
	s_lshl_b32 s3, s3, 5
	v_cndmask_b32_e64 v9, v4, v11, s[6:7]
	v_lshlrev_b32_e32 v36, 2, v9
	s_waitcnt lgkmcnt(0)
	ds_bpermute_b32 v9, v36, v10
	v_max_f32_e32 v10, v10, v10
	v_lshlrev_b32_e32 v4, 2, v4
	s_add_i32 s3, s3, s50
	s_min_i32 s15, s3, s29
	s_waitcnt lgkmcnt(0)
	v_max_f32_e32 v9, v9, v9
	v_max_f32_e32 v10, v10, v9
	v_and_b32_e32 v9, 0x100, v4
	ds_bpermute_b32 v4, v9, v10
	s_sub_i32 s3, s15, s50
	v_cmp_gt_i32_e64 s[6:7], s3, v0
	v_mov_b32_e32 v10, 0
	s_and_saveexec_b64 s[38:39], s[6:7]
	s_cbranch_execz .LBB114_28
; %bb.25:
	v_mov_b32_e32 v10, 0x110
	v_lshl_add_u32 v11, v0, 2, v10
	s_mov_b64 s[40:41], 0
	v_mov_b32_e32 v10, 0
	v_mov_b32_e32 v12, v0
.LBB114_26:                             ; =>This Inner Loop Header: Depth=1
	ds_read_b32 v13, v11
	v_add_u32_e32 v12, 0x80, v12
	v_cmp_le_i32_e64 s[8:9], s3, v12
	s_or_b64 s[40:41], s[8:9], s[40:41]
	s_waitcnt lgkmcnt(0)
	v_sub_f32_e32 v13, v13, v4
	v_mul_f32_e32 v13, 0x3fb8aa3b, v13
	v_exp_f32_e32 v13, v13
	ds_write_b32 v11, v13
	v_add_f32_e32 v10, v10, v13
	v_add_u32_e32 v11, 0x200, v11
	s_andn2_b64 exec, exec, s[40:41]
	s_cbranch_execnz .LBB114_26
; %bb.27:
	s_or_b64 exec, exec, s[40:41]
.LBB114_28:
	s_or_b64 exec, exec, s[38:39]
	ds_bpermute_b32 v2, v2, v10
	s_waitcnt lgkmcnt(0)
	v_add_f32_e32 v2, v10, v2
	ds_bpermute_b32 v3, v3, v2
	s_waitcnt lgkmcnt(0)
	v_add_f32_e32 v2, v2, v3
	;; [unrolled: 3-line block ×6, first 2 shown]
	s_and_saveexec_b64 s[8:9], vcc
	s_cbranch_execz .LBB114_30
; %bb.29:
	ds_write_b32 v7, v2 offset:264
.LBB114_30:
	s_or_b64 exec, exec, s[8:9]
	s_waitcnt lgkmcnt(0)
	s_barrier
	s_and_saveexec_b64 s[8:9], s[0:1]
	s_cbranch_execz .LBB114_32
; %bb.31:
	ds_read_b32 v2, v8 offset:264
.LBB114_32:
	s_or_b64 exec, exec, s[8:9]
	s_waitcnt lgkmcnt(0)
	ds_bpermute_b32 v3, v36, v2
	s_waitcnt lgkmcnt(0)
	v_add_f32_e32 v2, v2, v3
	ds_bpermute_b32 v5, v9, v2
	s_and_saveexec_b64 s[0:1], s[6:7]
	s_cbranch_execz .LBB114_45
; %bb.33:
	s_waitcnt lgkmcnt(0)
	v_add_f32_e32 v2, 0x358637bd, v5
	v_div_scale_f32 v3, s[6:7], v2, v2, 1.0
	v_rcp_f32_e32 v6, v3
	v_div_scale_f32 v7, vcc, 1.0, v2, 1.0
	s_movk_i32 s6, 0x7f
	v_fma_f32 v8, -v3, v6, 1.0
	v_fmac_f32_e32 v6, v8, v6
	v_mul_f32_e32 v8, v7, v6
	v_fma_f32 v9, -v3, v8, v7
	v_fmac_f32_e32 v8, v9, v6
	v_fma_f32 v3, -v3, v8, v7
	v_div_fmas_f32 v3, v3, v6, v8
	v_div_fixup_f32 v2, v3, v2, 1.0
	v_xad_u32 v3, v0, -1, s15
	v_subrev_u32_e32 v6, s50, v3
	v_cmp_lt_u32_e32 vcc, s6, v6
	s_mov_b64 s[8:9], -1
	v_mov_b32_e32 v3, v0
	s_and_saveexec_b64 s[6:7], vcc
	s_cbranch_execz .LBB114_42
; %bb.34:
	v_lshrrev_b32_e32 v6, 7, v6
	v_add_u32_e32 v8, -1, v6
	v_lshrrev_b32_e32 v7, 1, v8
	v_mov_b32_e32 v3, v2
	v_add_u32_e32 v7, 1, v7
	v_cmp_lt_u32_e32 vcc, 13, v8
	v_mov_b32_e32 v10, 0
	s_and_saveexec_b64 s[8:9], vcc
	s_cbranch_execz .LBB114_38
; %bb.35:
	v_mov_b32_e32 v9, 0x110
	v_and_b32_e32 v8, -8, v7
	v_lshl_add_u32 v9, v0, 2, v9
	s_mov_b32 s15, 0
	s_mov_b64 s[38:39], 0
.LBB114_36:                             ; =>This Inner Loop Header: Depth=1
	ds_read2st64_b32 v[10:11], v9 offset1:2
	ds_read2st64_b32 v[12:13], v9 offset0:4 offset1:6
	ds_read2st64_b32 v[16:17], v9 offset0:8 offset1:10
	;; [unrolled: 1-line block ×3, first 2 shown]
	v_add_u32_e32 v8, -8, v8
	s_waitcnt lgkmcnt(3)
	v_pk_mul_f32 v[10:11], v[2:3], v[10:11]
	s_waitcnt lgkmcnt(2)
	v_pk_mul_f32 v[12:13], v[2:3], v[12:13]
	ds_write2st64_b32 v9, v10, v11 offset1:2
	ds_write2st64_b32 v9, v12, v13 offset0:4 offset1:6
	ds_read2st64_b32 v[12:13], v9 offset0:16 offset1:18
	s_waitcnt lgkmcnt(4)
	v_pk_mul_f32 v[10:11], v[2:3], v[16:17]
	ds_write2st64_b32 v9, v10, v11 offset0:8 offset1:10
	s_waitcnt lgkmcnt(4)
	v_pk_mul_f32 v[10:11], v[2:3], v[18:19]
	ds_write2st64_b32 v9, v10, v11 offset0:12 offset1:14
	ds_read2st64_b32 v[10:11], v9 offset0:20 offset1:22
	s_waitcnt lgkmcnt(3)
	v_pk_mul_f32 v[12:13], v[2:3], v[12:13]
	ds_read2st64_b32 v[16:17], v9 offset0:24 offset1:26
	ds_write2st64_b32 v9, v12, v13 offset0:16 offset1:18
	ds_read2st64_b32 v[12:13], v9 offset0:28 offset1:30
	s_waitcnt lgkmcnt(3)
	v_pk_mul_f32 v[10:11], v[2:3], v[10:11]
	ds_write2st64_b32 v9, v10, v11 offset0:20 offset1:22
	s_waitcnt lgkmcnt(3)
	v_pk_mul_f32 v[10:11], v[2:3], v[16:17]
	ds_write2st64_b32 v9, v10, v11 offset0:24 offset1:26
	s_waitcnt lgkmcnt(2)
	v_pk_mul_f32 v[10:11], v[2:3], v[12:13]
	s_add_i32 s15, s15, 16
	v_cmp_eq_u32_e32 vcc, 0, v8
	ds_write2st64_b32 v9, v10, v11 offset0:28 offset1:30
	v_add_u32_e32 v9, 0x2000, v9
	s_or_b64 s[38:39], vcc, s[38:39]
	v_mov_b32_e32 v10, s15
	s_andn2_b64 exec, exec, s[38:39]
	s_cbranch_execnz .LBB114_36
; %bb.37:
	s_or_b64 exec, exec, s[38:39]
.LBB114_38:
	s_or_b64 exec, exec, s[8:9]
	v_and_b32_e32 v7, 7, v7
	v_cmp_ne_u32_e32 vcc, 0, v7
	s_and_saveexec_b64 s[8:9], vcc
	s_cbranch_execz .LBB114_41
; %bb.39:
	v_lshlrev_b32_e32 v8, 9, v10
	v_lshlrev_b32_e32 v9, 2, v0
	s_movk_i32 s15, 0x110
	v_add3_u32 v8, v8, v9, s15
	s_mov_b64 s[38:39], 0
.LBB114_40:                             ; =>This Inner Loop Header: Depth=1
	ds_read2st64_b32 v[10:11], v8 offset1:2
	v_add_u32_e32 v7, -1, v7
	v_cmp_eq_u32_e32 vcc, 0, v7
	s_or_b64 s[38:39], vcc, s[38:39]
	s_waitcnt lgkmcnt(0)
	v_pk_mul_f32 v[10:11], v[2:3], v[10:11]
	ds_write2st64_b32 v8, v10, v11 offset1:2
	v_add_u32_e32 v8, 0x400, v8
	s_andn2_b64 exec, exec, s[38:39]
	s_cbranch_execnz .LBB114_40
.LBB114_41:
	s_or_b64 exec, exec, s[8:9]
	v_add_u32_e32 v6, 1, v6
	v_and_b32_e32 v7, 0x3fffffe, v6
	v_cmp_ne_u32_e32 vcc, v6, v7
	v_lshl_add_u32 v3, v7, 7, v0
	s_orn2_b64 s[8:9], vcc, exec
.LBB114_42:
	s_or_b64 exec, exec, s[6:7]
	s_and_b64 exec, exec, s[8:9]
	s_cbranch_execz .LBB114_45
; %bb.43:
	v_mov_b32_e32 v6, 0x110
	v_lshl_add_u32 v6, v3, 2, v6
	s_mov_b64 s[6:7], 0
.LBB114_44:                             ; =>This Inner Loop Header: Depth=1
	ds_read_b32 v7, v6
	v_add_u32_e32 v3, 0x80, v3
	v_cmp_le_i32_e32 vcc, s3, v3
	s_or_b64 s[6:7], vcc, s[6:7]
	s_waitcnt lgkmcnt(0)
	v_mul_f32_e32 v7, v2, v7
	ds_write_b32 v6, v7
	v_add_u32_e32 v6, 0x200, v6
	s_andn2_b64 exec, exec, s[6:7]
	s_cbranch_execnz .LBB114_44
.LBB114_45:
	s_or_b64 exec, exec, s[0:1]
	s_mul_i32 s0, s25, s28
	v_cmp_eq_u32_e32 vcc, 0, v0
	s_mul_i32 s6, s0, s5
	s_waitcnt lgkmcnt(0)
	s_barrier
	s_and_saveexec_b64 s[0:1], vcc
	s_cbranch_execz .LBB114_47
; %bb.46:
	s_ashr_i32 s7, s6, 31
	s_lshl_b64 s[8:9], s[6:7], 2
	s_add_u32 s5, s22, s8
	s_mul_i32 s2, s25, s2
	s_addc_u32 s7, s23, s9
	s_ashr_i32 s3, s2, 31
	s_lshl_b64 s[2:3], s[2:3], 2
	s_add_u32 s15, s5, s2
	s_addc_u32 s7, s7, s3
	s_ashr_i32 s5, s4, 31
	s_lshl_b64 s[22:23], s[4:5], 2
	s_add_u32 s38, s15, s22
	s_addc_u32 s39, s7, s23
	s_add_u32 s5, s20, s8
	s_addc_u32 s7, s21, s9
	;; [unrolled: 2-line block ×3, first 2 shown]
	s_add_u32 s2, s2, s22
	v_mov_b32_e32 v2, 0
	s_addc_u32 s3, s3, s23
	global_store_dword v2, v4, s[38:39]
	global_store_dword v2, v5, s[2:3]
.LBB114_47:
	s_or_b64 exec, exec, s[0:1]
	s_mov_b32 s8, 0
	v_mov_b32_e32 v9, 0
	v_and_b32_e32 v37, 3, v0
	v_mov_b32_e32 v8, 0
	v_mov_b32_e32 v7, 0
	;; [unrolled: 1-line block ×7, first 2 shown]
	s_and_saveexec_b64 s[2:3], s[10:11]
	s_cbranch_execz .LBB114_69
; %bb.48:
	s_ashr_i32 s15, s14, 31
	s_sub_i32 s5, s16, s17
	s_lshl_b64 s[0:1], s[14:15], 1
	s_add_u32 s16, s36, s0
	s_addc_u32 s17, s37, s1
	s_abs_i32 s21, s18
	v_cvt_f32_u32_e32 v2, s21
	s_sub_i32 s0, 0, s21
	s_add_i32 s20, s12, -1
	v_and_b32_e32 v38, 24, v32
	v_rcp_iflag_f32_e32 v2, v2
	v_and_b32_e32 v10, 0x1f8, v32
	s_mov_b32 s9, s8
	s_mov_b32 s7, s13
	v_mul_f32_e32 v2, 0x4f7ffffe, v2
	v_cvt_u32_f32_e32 v2, v2
	v_or_b32_e32 v12, 0x800, v10
	v_or_b32_e32 v22, 0xa00, v10
	;; [unrolled: 1-line block ×3, first 2 shown]
	v_mul_lo_u32 v3, s0, v2
	v_mul_hi_u32 v3, v2, v3
	s_lshl_b64 s[0:1], s[34:35], 2
	v_add_u32_e32 v32, v2, v3
	s_add_u32 s0, s30, s0
	v_lshlrev_b32_e32 v2, 5, v37
	s_addc_u32 s1, s31, s1
	v_lshl_or_b32 v2, v33, 7, v2
	v_or_b32_e32 v26, 0xe00, v10
	v_lshl_add_u64 v[18:19], v[14:15], 2, s[0:1]
	v_add_u32_e32 v15, 0x110, v2
	s_mov_b32 s10, s8
	s_mov_b32 s11, s8
	;; [unrolled: 1-line block ×6, first 2 shown]
	v_mov_b64_e32 v[2:3], s[8:9]
	v_mov_b32_e32 v17, 0
	s_mov_b32 s22, s29
	s_mov_b32 s23, s29
	;; [unrolled: 1-line block ×7, first 2 shown]
	s_mov_b64 s[18:19], 0
	v_mov_b64_e32 v[4:5], s[10:11]
	v_mov_b64_e32 v[6:7], s[12:13]
	;; [unrolled: 1-line block ×3, first 2 shown]
	v_lshlrev_b32_e32 v20, 1, v10
	s_mov_b32 s12, 0x5040100
	v_lshlrev_b32_e32 v16, 1, v12
	v_lshlrev_b32_e32 v22, 1, v22
	;; [unrolled: 1-line block ×4, first 2 shown]
	s_branch .LBB114_51
.LBB114_49:                             ;   in Loop: Header=BB114_51 Depth=1
	s_or_b64 exec, exec, s[0:1]
	v_add_f32_e32 v21, v49, v50
	s_waitcnt vmcnt(0)
	;;#ASMSTART
	v_pk_mul_f16 v10, v48, v10;

	;;#ASMEND
	v_add_f32_e32 v2, v2, v21
	v_add_f32_e32 v21, v51, v52
	;;#ASMSTART
	v_pk_mul_f16 v11, v47, v11;

	;;#ASMEND
	;;#ASMSTART
	v_pk_mul_f16 v12, v46, v12;

	;;#ASMEND
	;; [unrolled: 4-line block ×3, first 2 shown]
	v_add_f32_e32 v3, v3, v21
	;;#ASMSTART
	v_pk_add_f16 v10, v10, v11;

	;;#ASMEND
	v_add_f32_e32 v21, v53, v54
	;;#ASMSTART
	v_pk_add_f16 v10, v10, v12;

	;;#ASMEND
	v_add_f32_e32 v4, v4, v21
	v_add_f32_e32 v21, v30, v31
	;;#ASMSTART
	v_pk_add_f16 v10, v10, v13;

	;;#ASMEND
	v_add_f32_e32 v5, v5, v21
	v_add_f32_e32 v21, v55, v56
	v_lshrrev_b32_e32 v11, 16, v10
	v_and_b32_e32 v10, 0xffff, v10
	v_add_f32_e32 v6, v6, v21
	v_add_f32_e32 v21, v23, v57
	;;#ASMSTART
	v_cvt_f32_f16 v10, v10;
	;;#ASMEND
	v_add_f32_e32 v7, v7, v21
	v_add_f32_e32 v21, v25, v58
	;;#ASMSTART
	v_cvt_f32_f16 v11, v11;
	;;#ASMEND
	v_add_f32_e32 v8, v8, v21
	v_add_f32_e32 v10, v10, v11
	;; [unrolled: 1-line block ×3, first 2 shown]
.LBB114_50:                             ;   in Loop: Header=BB114_51 Depth=1
	s_or_b64 exec, exec, s[8:9]
	v_add_u32_e32 v14, 2, v14
	v_cmp_le_i32_e32 vcc, s49, v14
	v_lshl_add_u64 v[18:19], v[18:19], 0, 8
	v_add_u32_e32 v1, 64, v1
	s_or_b64 s[18:19], vcc, s[18:19]
	v_add_u32_e32 v15, 0x100, v15
	s_andn2_b64 exec, exec, s[18:19]
	s_cbranch_execz .LBB114_68
.LBB114_51:                             ; =>This Inner Loop Header: Depth=1
	v_sub_u32_e32 v11, 0, v1
	v_max_i32_e32 v11, v1, v11
	v_mul_hi_u32 v12, v11, s46
	v_mul_lo_u32 v13, v12, s33
	v_sub_u32_e32 v11, v11, v13
	v_add_u32_e32 v13, 1, v12
	v_cmp_le_u32_e32 vcc, s33, v11
	v_ashrrev_i32_e32 v10, 31, v1
	v_xor_b32_e32 v10, s48, v10
	v_cndmask_b32_e32 v12, v12, v13, vcc
	v_subrev_u32_e32 v13, s33, v11
	v_cndmask_b32_e32 v11, v11, v13, vcc
	v_add_u32_e32 v13, 1, v12
	v_cmp_le_u32_e32 vcc, s33, v11
	s_nop 1
	v_cndmask_b32_e32 v11, v12, v13, vcc
	v_xor_b32_e32 v11, v11, v10
	v_sub_u32_e32 v10, v11, v10
	v_add_u32_e32 v11, s47, v10
	v_sub_u32_e32 v13, 0, v11
	v_ashrrev_i32_e32 v12, 31, v11
	v_max_i32_e32 v11, v11, v13
	v_mul_hi_u32 v13, v11, v32
	v_mul_lo_u32 v13, v13, s21
	v_sub_u32_e32 v11, v11, v13
	v_subrev_u32_e32 v13, s21, v11
	v_cmp_le_u32_e32 vcc, s21, v11
	v_cmp_lt_i32_e64 s[0:1], s5, v10
	s_nop 0
	v_cndmask_b32_e32 v11, v11, v13, vcc
	v_subrev_u32_e32 v13, s21, v11
	v_cmp_le_u32_e32 vcc, s21, v11
	s_nop 1
	v_cndmask_b32_e32 v11, v11, v13, vcc
	v_xor_b32_e32 v11, v11, v12
	v_sub_u32_e32 v11, v11, v12
	v_cmp_eq_u32_e32 vcc, 0, v11
	s_or_b64 s[0:1], vcc, s[0:1]
	s_and_saveexec_b64 s[8:9], s[0:1]
	s_cbranch_execz .LBB114_50
; %bb.52:                               ;   in Loop: Header=BB114_51 Depth=1
	global_load_dword v21, v[18:19], off
	ds_read2_b64 v[10:13], v15 offset1:1
	ds_read2_b64 v[28:31], v15 offset0:2 offset1:3
	v_cmp_eq_u32_e32 vcc, s20, v14
	s_waitcnt lgkmcnt(1)
	;;#ASMSTART
	v_cvt_f16_f32 v23, v10;

	;;#ASMEND
	;;#ASMSTART
	v_cvt_f16_f32 v25, v11;

	;;#ASMEND
	;; [unrolled: 4-line block ×4, first 2 shown]
	s_waitcnt lgkmcnt(0)
	;;#ASMSTART
	v_cvt_f16_f32 v46, v28;

	;;#ASMEND
	;;#ASMSTART
	v_cvt_f16_f32 v49, v29;

	;;#ASMEND
	;; [unrolled: 4-line block ×4, first 2 shown]
	s_waitcnt vmcnt(0)
	v_mad_i64_i32 v[10:11], s[0:1], v21, s7, 0
	v_lshl_add_u64 v[28:29], v[10:11], 1, s[16:17]
	v_mov_b32_e32 v21, v17
	v_lshl_add_u64 v[30:31], v[28:29], 0, v[20:21]
	global_load_dwordx4 v[10:13], v[30:31], off
	v_add_u32_e32 v21, v38, v1
	v_add_u32_e32 v33, 1, v21
	v_or_b32_e32 v40, 3, v21
	v_or_b32_e32 v39, 2, v21
	;; [unrolled: 1-line block ×6, first 2 shown]
	s_and_saveexec_b64 s[10:11], vcc
	s_cbranch_execz .LBB114_54
; %bb.53:                               ;   in Loop: Header=BB114_51 Depth=1
	s_waitcnt vmcnt(0)
	v_lshrrev_b32_e32 v47, 16, v13
	v_cmp_gt_i32_e64 s[0:1], s39, v44
	s_nop 1
	v_cndmask_b32_e64 v47, 0, v47, s[0:1]
	v_cmp_gt_i32_e64 s[0:1], s38, v43
	s_nop 1
	v_cndmask_b32_e64 v13, 0, v13, s[0:1]
	v_perm_b32 v13, v47, v13, s12
	v_lshrrev_b32_e32 v47, 16, v12
	v_cmp_gt_i32_e64 s[0:1], s37, v42
	s_nop 1
	v_cndmask_b32_e64 v47, 0, v47, s[0:1]
	v_cmp_gt_i32_e64 s[0:1], s36, v41
	s_nop 1
	v_cndmask_b32_e64 v12, 0, v12, s[0:1]
	v_perm_b32 v12, v47, v12, s12
	;; [unrolled: 8-line block ×4, first 2 shown]
.LBB114_54:                             ;   in Loop: Header=BB114_51 Depth=1
	s_or_b64 exec, exec, s[10:11]
	v_and_b32_e32 v23, 0xffff, v23
	v_lshl_or_b32 v48, v25, 16, v23
	v_and_b32_e32 v23, 0xffff, v27
	v_lshl_or_b32 v47, v45, 16, v23
	;; [unrolled: 2-line block ×3, first 2 shown]
	v_and_b32_e32 v23, 0xffff, v50
	s_waitcnt vmcnt(0)
	;;#ASMSTART
	v_pk_mul_f16 v10, v48, v10;

	;;#ASMEND
	v_lshl_or_b32 v45, v51, 16, v23
	;;#ASMSTART
	v_pk_mul_f16 v11, v47, v11;

	;;#ASMEND
	;;#ASMSTART
	v_pk_mul_f16 v12, v46, v12;

	;;#ASMEND
	;;#ASMSTART
	v_pk_mul_f16 v13, v45, v13;

	;;#ASMEND
	s_nop 0
	;;#ASMSTART
	v_pk_add_f16 v10, v10, v11;

	;;#ASMEND
	s_nop 0
	;;#ASMSTART
	v_pk_add_f16 v10, v10, v12;

	;;#ASMEND
	;; [unrolled: 5-line block ×3, first 2 shown]
	s_nop 0
	v_lshrrev_b32_e32 v11, 16, v10
	v_and_b32_e32 v10, 0xffff, v10
	;;#ASMSTART
	v_cvt_f32_f16 v49, v10;
	;;#ASMEND
	;;#ASMSTART
	v_cvt_f32_f16 v50, v11;
	;;#ASMEND
	global_load_dwordx4 v[10:13], v[30:31], off offset:1024
	s_and_saveexec_b64 s[10:11], vcc
	s_cbranch_execz .LBB114_56
; %bb.55:                               ;   in Loop: Header=BB114_51 Depth=1
	s_waitcnt vmcnt(0)
	v_lshrrev_b32_e32 v23, 16, v13
	v_cmp_gt_i32_e64 s[0:1], s39, v44
	s_nop 1
	v_cndmask_b32_e64 v23, 0, v23, s[0:1]
	v_cmp_gt_i32_e64 s[0:1], s38, v43
	s_nop 1
	v_cndmask_b32_e64 v13, 0, v13, s[0:1]
	v_perm_b32 v13, v23, v13, s12
	v_lshrrev_b32_e32 v23, 16, v12
	v_cmp_gt_i32_e64 s[0:1], s37, v42
	s_nop 1
	v_cndmask_b32_e64 v23, 0, v23, s[0:1]
	v_cmp_gt_i32_e64 s[0:1], s36, v41
	s_nop 1
	v_cndmask_b32_e64 v12, 0, v12, s[0:1]
	v_perm_b32 v12, v23, v12, s12
	;; [unrolled: 8-line block ×4, first 2 shown]
.LBB114_56:                             ;   in Loop: Header=BB114_51 Depth=1
	s_or_b64 exec, exec, s[10:11]
	s_waitcnt vmcnt(0)
	;;#ASMSTART
	v_pk_mul_f16 v10, v48, v10;

	;;#ASMEND
	;;#ASMSTART
	v_pk_mul_f16 v11, v47, v11;

	;;#ASMEND
	;; [unrolled: 4-line block ×4, first 2 shown]
	s_nop 0
	;;#ASMSTART
	v_pk_add_f16 v10, v10, v11;

	;;#ASMEND
	s_nop 0
	;;#ASMSTART
	v_pk_add_f16 v10, v10, v12;

	;;#ASMEND
	;; [unrolled: 5-line block ×3, first 2 shown]
	s_nop 0
	v_lshrrev_b32_e32 v11, 16, v10
	v_and_b32_e32 v10, 0xffff, v10
	;;#ASMSTART
	v_cvt_f32_f16 v51, v10;
	;;#ASMEND
	;;#ASMSTART
	v_cvt_f32_f16 v52, v11;
	;;#ASMEND
	global_load_dwordx4 v[10:13], v[30:31], off offset:2048
	s_and_saveexec_b64 s[10:11], vcc
	s_cbranch_execz .LBB114_58
; %bb.57:                               ;   in Loop: Header=BB114_51 Depth=1
	s_waitcnt vmcnt(0)
	v_lshrrev_b32_e32 v23, 16, v13
	v_cmp_gt_i32_e64 s[0:1], s39, v44
	s_nop 1
	v_cndmask_b32_e64 v23, 0, v23, s[0:1]
	v_cmp_gt_i32_e64 s[0:1], s38, v43
	s_nop 1
	v_cndmask_b32_e64 v13, 0, v13, s[0:1]
	v_perm_b32 v13, v23, v13, s12
	v_lshrrev_b32_e32 v23, 16, v12
	v_cmp_gt_i32_e64 s[0:1], s37, v42
	s_nop 1
	v_cndmask_b32_e64 v23, 0, v23, s[0:1]
	v_cmp_gt_i32_e64 s[0:1], s36, v41
	s_nop 1
	v_cndmask_b32_e64 v12, 0, v12, s[0:1]
	v_perm_b32 v12, v23, v12, s12
	;; [unrolled: 8-line block ×4, first 2 shown]
.LBB114_58:                             ;   in Loop: Header=BB114_51 Depth=1
	s_or_b64 exec, exec, s[10:11]
	s_waitcnt vmcnt(0)
	;;#ASMSTART
	v_pk_mul_f16 v10, v48, v10;

	;;#ASMEND
	;;#ASMSTART
	v_pk_mul_f16 v11, v47, v11;

	;;#ASMEND
	;; [unrolled: 4-line block ×4, first 2 shown]
	s_nop 0
	;;#ASMSTART
	v_pk_add_f16 v10, v10, v11;

	;;#ASMEND
	s_nop 0
	;;#ASMSTART
	v_pk_add_f16 v10, v10, v12;

	;;#ASMEND
	;; [unrolled: 5-line block ×3, first 2 shown]
	s_nop 0
	v_lshrrev_b32_e32 v11, 16, v10
	v_and_b32_e32 v10, 0xffff, v10
	;;#ASMSTART
	v_cvt_f32_f16 v53, v10;
	;;#ASMEND
	;;#ASMSTART
	v_cvt_f32_f16 v54, v11;
	;;#ASMEND
	global_load_dwordx4 v[10:13], v[30:31], off offset:3072
	s_and_saveexec_b64 s[10:11], vcc
	s_cbranch_execz .LBB114_60
; %bb.59:                               ;   in Loop: Header=BB114_51 Depth=1
	s_waitcnt vmcnt(0)
	v_lshrrev_b32_e32 v23, 16, v13
	v_cmp_gt_i32_e64 s[0:1], s39, v44
	s_nop 1
	v_cndmask_b32_e64 v23, 0, v23, s[0:1]
	v_cmp_gt_i32_e64 s[0:1], s38, v43
	s_nop 1
	v_cndmask_b32_e64 v13, 0, v13, s[0:1]
	v_perm_b32 v13, v23, v13, s12
	v_lshrrev_b32_e32 v23, 16, v12
	v_cmp_gt_i32_e64 s[0:1], s37, v42
	s_nop 1
	v_cndmask_b32_e64 v23, 0, v23, s[0:1]
	v_cmp_gt_i32_e64 s[0:1], s36, v41
	s_nop 1
	v_cndmask_b32_e64 v12, 0, v12, s[0:1]
	v_perm_b32 v12, v23, v12, s12
	;; [unrolled: 8-line block ×4, first 2 shown]
.LBB114_60:                             ;   in Loop: Header=BB114_51 Depth=1
	s_or_b64 exec, exec, s[10:11]
	s_waitcnt vmcnt(0)
	;;#ASMSTART
	v_pk_mul_f16 v10, v48, v10;

	;;#ASMEND
	;;#ASMSTART
	v_pk_mul_f16 v11, v47, v11;

	;;#ASMEND
	;; [unrolled: 4-line block ×4, first 2 shown]
	s_nop 0
	;;#ASMSTART
	v_pk_add_f16 v10, v10, v11;

	;;#ASMEND
	s_nop 0
	;;#ASMSTART
	v_pk_add_f16 v10, v10, v12;

	;;#ASMEND
	s_nop 0
	;;#ASMSTART
	v_pk_add_f16 v10, v10, v13;

	;;#ASMEND
	s_nop 0
	v_lshrrev_b32_e32 v11, 16, v10
	v_and_b32_e32 v10, 0xffff, v10
	;;#ASMSTART
	v_cvt_f32_f16 v30, v10;
	;;#ASMEND
	;;#ASMSTART
	v_cvt_f32_f16 v31, v11;
	;;#ASMEND
	v_lshl_add_u64 v[10:11], v[28:29], 0, v[16:17]
	global_load_dwordx4 v[10:13], v[10:11], off
	s_and_saveexec_b64 s[10:11], vcc
	s_cbranch_execz .LBB114_62
; %bb.61:                               ;   in Loop: Header=BB114_51 Depth=1
	s_waitcnt vmcnt(0)
	v_lshrrev_b32_e32 v23, 16, v13
	v_cmp_gt_i32_e64 s[0:1], s39, v44
	s_nop 1
	v_cndmask_b32_e64 v23, 0, v23, s[0:1]
	v_cmp_gt_i32_e64 s[0:1], s38, v43
	s_nop 1
	v_cndmask_b32_e64 v13, 0, v13, s[0:1]
	v_perm_b32 v13, v23, v13, s12
	v_lshrrev_b32_e32 v23, 16, v12
	v_cmp_gt_i32_e64 s[0:1], s37, v42
	s_nop 1
	v_cndmask_b32_e64 v23, 0, v23, s[0:1]
	v_cmp_gt_i32_e64 s[0:1], s36, v41
	s_nop 1
	v_cndmask_b32_e64 v12, 0, v12, s[0:1]
	v_perm_b32 v12, v23, v12, s12
	;; [unrolled: 8-line block ×4, first 2 shown]
.LBB114_62:                             ;   in Loop: Header=BB114_51 Depth=1
	s_or_b64 exec, exec, s[10:11]
	s_waitcnt vmcnt(0)
	;;#ASMSTART
	v_pk_mul_f16 v10, v48, v10;

	;;#ASMEND
	;;#ASMSTART
	v_pk_mul_f16 v11, v47, v11;

	;;#ASMEND
	;; [unrolled: 4-line block ×4, first 2 shown]
	v_mov_b32_e32 v23, v17
	;;#ASMSTART
	v_pk_add_f16 v10, v10, v11;

	;;#ASMEND
	s_nop 0
	;;#ASMSTART
	v_pk_add_f16 v10, v10, v12;

	;;#ASMEND
	s_nop 0
	;;#ASMSTART
	v_pk_add_f16 v10, v10, v13;

	;;#ASMEND
	s_nop 0
	v_lshrrev_b32_e32 v11, 16, v10
	v_and_b32_e32 v10, 0xffff, v10
	;;#ASMSTART
	v_cvt_f32_f16 v55, v10;
	;;#ASMEND
	;;#ASMSTART
	v_cvt_f32_f16 v56, v11;
	;;#ASMEND
	v_lshl_add_u64 v[10:11], v[28:29], 0, v[22:23]
	global_load_dwordx4 v[10:13], v[10:11], off
	s_and_saveexec_b64 s[10:11], vcc
	s_cbranch_execz .LBB114_64
; %bb.63:                               ;   in Loop: Header=BB114_51 Depth=1
	s_waitcnt vmcnt(0)
	v_lshrrev_b32_e32 v23, 16, v13
	v_cmp_gt_i32_e64 s[0:1], s39, v44
	s_nop 1
	v_cndmask_b32_e64 v23, 0, v23, s[0:1]
	v_cmp_gt_i32_e64 s[0:1], s38, v43
	s_nop 1
	v_cndmask_b32_e64 v13, 0, v13, s[0:1]
	v_perm_b32 v13, v23, v13, s12
	v_lshrrev_b32_e32 v23, 16, v12
	v_cmp_gt_i32_e64 s[0:1], s37, v42
	s_nop 1
	v_cndmask_b32_e64 v23, 0, v23, s[0:1]
	v_cmp_gt_i32_e64 s[0:1], s36, v41
	s_nop 1
	v_cndmask_b32_e64 v12, 0, v12, s[0:1]
	v_perm_b32 v12, v23, v12, s12
	;; [unrolled: 8-line block ×4, first 2 shown]
.LBB114_64:                             ;   in Loop: Header=BB114_51 Depth=1
	s_or_b64 exec, exec, s[10:11]
	s_waitcnt vmcnt(0)
	;;#ASMSTART
	v_pk_mul_f16 v10, v48, v10;

	;;#ASMEND
	;;#ASMSTART
	v_pk_mul_f16 v11, v47, v11;

	;;#ASMEND
	;; [unrolled: 4-line block ×4, first 2 shown]
	v_mov_b32_e32 v25, v17
	;;#ASMSTART
	v_pk_add_f16 v10, v10, v11;

	;;#ASMEND
	s_nop 0
	;;#ASMSTART
	v_pk_add_f16 v10, v10, v12;

	;;#ASMEND
	s_nop 0
	;; [unrolled: 5-line block ×3, first 2 shown]
	v_lshrrev_b32_e32 v11, 16, v10
	v_and_b32_e32 v10, 0xffff, v10
	;;#ASMSTART
	v_cvt_f32_f16 v23, v10;
	;;#ASMEND
	;;#ASMSTART
	v_cvt_f32_f16 v57, v11;
	;;#ASMEND
	v_lshl_add_u64 v[10:11], v[28:29], 0, v[24:25]
	global_load_dwordx4 v[10:13], v[10:11], off
	s_and_saveexec_b64 s[10:11], vcc
	s_cbranch_execz .LBB114_66
; %bb.65:                               ;   in Loop: Header=BB114_51 Depth=1
	s_waitcnt vmcnt(0)
	v_lshrrev_b32_e32 v25, 16, v13
	v_cmp_gt_i32_e64 s[0:1], s39, v44
	s_nop 1
	v_cndmask_b32_e64 v25, 0, v25, s[0:1]
	v_cmp_gt_i32_e64 s[0:1], s38, v43
	s_nop 1
	v_cndmask_b32_e64 v13, 0, v13, s[0:1]
	v_perm_b32 v13, v25, v13, s12
	v_lshrrev_b32_e32 v25, 16, v12
	v_cmp_gt_i32_e64 s[0:1], s37, v42
	s_nop 1
	v_cndmask_b32_e64 v25, 0, v25, s[0:1]
	v_cmp_gt_i32_e64 s[0:1], s36, v41
	s_nop 1
	v_cndmask_b32_e64 v12, 0, v12, s[0:1]
	v_perm_b32 v12, v25, v12, s12
	v_lshrrev_b32_e32 v25, 16, v11
	v_cmp_gt_i32_e64 s[0:1], s28, v40
	s_nop 1
	v_cndmask_b32_e64 v25, 0, v25, s[0:1]
	v_cmp_gt_i32_e64 s[0:1], s23, v39
	s_nop 1
	v_cndmask_b32_e64 v11, 0, v11, s[0:1]
	v_perm_b32 v11, v25, v11, s12
	v_lshrrev_b32_e32 v25, 16, v10
	v_cmp_gt_i32_e64 s[0:1], s22, v33
	s_nop 1
	v_cndmask_b32_e64 v25, 0, v25, s[0:1]
	v_cmp_gt_i32_e64 s[0:1], s29, v21
	s_nop 1
	v_cndmask_b32_e64 v10, 0, v10, s[0:1]
	v_perm_b32 v10, v25, v10, s12
.LBB114_66:                             ;   in Loop: Header=BB114_51 Depth=1
	s_or_b64 exec, exec, s[10:11]
	s_waitcnt vmcnt(0)
	;;#ASMSTART
	v_pk_mul_f16 v10, v48, v10;

	;;#ASMEND
	;;#ASMSTART
	v_pk_mul_f16 v11, v47, v11;

	;;#ASMEND
	;; [unrolled: 4-line block ×4, first 2 shown]
	v_mov_b32_e32 v27, v17
	;;#ASMSTART
	v_pk_add_f16 v10, v10, v11;

	;;#ASMEND
	s_nop 0
	;;#ASMSTART
	v_pk_add_f16 v10, v10, v12;

	;;#ASMEND
	s_nop 0
	;; [unrolled: 5-line block ×3, first 2 shown]
	v_lshrrev_b32_e32 v11, 16, v10
	v_and_b32_e32 v10, 0xffff, v10
	;;#ASMSTART
	v_cvt_f32_f16 v25, v10;
	;;#ASMEND
	;;#ASMSTART
	v_cvt_f32_f16 v58, v11;
	;;#ASMEND
	v_lshl_add_u64 v[10:11], v[28:29], 0, v[26:27]
	global_load_dwordx4 v[10:13], v[10:11], off
	s_and_saveexec_b64 s[0:1], vcc
	s_cbranch_execz .LBB114_49
; %bb.67:                               ;   in Loop: Header=BB114_51 Depth=1
	s_waitcnt vmcnt(0)
	v_lshrrev_b32_e32 v27, 16, v13
	v_cmp_gt_i32_e32 vcc, s39, v44
	s_nop 1
	v_cndmask_b32_e32 v27, 0, v27, vcc
	v_cmp_gt_i32_e32 vcc, s38, v43
	s_nop 1
	v_cndmask_b32_e32 v13, 0, v13, vcc
	v_perm_b32 v13, v27, v13, s12
	v_lshrrev_b32_e32 v27, 16, v12
	v_cmp_gt_i32_e32 vcc, s37, v42
	s_nop 1
	v_cndmask_b32_e32 v27, 0, v27, vcc
	v_cmp_gt_i32_e32 vcc, s36, v41
	s_nop 1
	v_cndmask_b32_e32 v12, 0, v12, vcc
	v_perm_b32 v12, v27, v12, s12
	;; [unrolled: 8-line block ×4, first 2 shown]
	s_branch .LBB114_49
.LBB114_68:
	s_or_b64 exec, exec, s[18:19]
.LBB114_69:
	s_or_b64 exec, exec, s[2:3]
	ds_bpermute_b32 v12, v35, v4
	ds_bpermute_b32 v13, v35, v5
	;; [unrolled: 1-line block ×6, first 2 shown]
	s_waitcnt lgkmcnt(4)
	v_pk_add_f32 v[4:5], v[4:5], v[12:13]
	ds_bpermute_b32 v12, v35, v6
	ds_bpermute_b32 v13, v35, v7
	s_waitcnt lgkmcnt(4)
	v_pk_add_f32 v[2:3], v[2:3], v[10:11]
	s_waitcnt lgkmcnt(2)
	v_pk_add_f32 v[16:17], v[8:9], v[16:17]
	ds_bpermute_b32 v10, v36, v2
	ds_bpermute_b32 v11, v36, v3
	s_waitcnt lgkmcnt(2)
	v_pk_add_f32 v[12:13], v[6:7], v[12:13]
	ds_bpermute_b32 v14, v36, v4
	ds_bpermute_b32 v15, v36, v5
	;; [unrolled: 1-line block ×6, first 2 shown]
	v_and_b32_e32 v1, 0x3c3, v0
	s_waitcnt lgkmcnt(6)
	v_pk_add_f32 v[8:9], v[2:3], v[10:11]
	s_waitcnt lgkmcnt(4)
	v_pk_add_f32 v[6:7], v[4:5], v[14:15]
	;; [unrolled: 2-line block ×4, first 2 shown]
	v_cmp_eq_u32_e32 vcc, 64, v1
	s_barrier
	s_and_saveexec_b64 s[0:1], vcc
	s_cbranch_execz .LBB114_71
; %bb.70:
	v_add_u32_e32 v10, 0x110, v34
	ds_write2_b32 v10, v8, v9 offset1:16
	ds_write2_b32 v10, v6, v7 offset0:32 offset1:48
	ds_write2_b32 v10, v4, v5 offset0:64 offset1:80
	;; [unrolled: 1-line block ×3, first 2 shown]
.LBB114_71:
	s_or_b64 exec, exec, s[0:1]
	v_cmp_gt_u32_e32 vcc, 64, v0
	s_waitcnt lgkmcnt(0)
	s_barrier
	s_and_saveexec_b64 s[0:1], vcc
	s_cbranch_execz .LBB114_82
; %bb.72:
	v_cmp_eq_u32_e32 vcc, 0, v37
	v_lshrrev_b32_e32 v10, 2, v0
	s_and_saveexec_b64 s[2:3], vcc
	s_cbranch_execnz .LBB114_85
; %bb.73:
	s_or_b64 exec, exec, s[2:3]
	s_and_saveexec_b64 s[2:3], vcc
	s_cbranch_execnz .LBB114_86
.LBB114_74:
	s_or_b64 exec, exec, s[2:3]
	s_and_saveexec_b64 s[2:3], vcc
	s_cbranch_execnz .LBB114_87
.LBB114_75:
	s_or_b64 exec, exec, s[2:3]
	s_and_saveexec_b64 s[2:3], vcc
	s_cbranch_execnz .LBB114_88
.LBB114_76:
	s_or_b64 exec, exec, s[2:3]
	s_and_saveexec_b64 s[2:3], vcc
	s_cbranch_execnz .LBB114_89
.LBB114_77:
	s_or_b64 exec, exec, s[2:3]
	s_and_saveexec_b64 s[2:3], vcc
	s_cbranch_execnz .LBB114_90
.LBB114_78:
	s_or_b64 exec, exec, s[2:3]
	s_and_saveexec_b64 s[2:3], vcc
	s_cbranch_execnz .LBB114_91
.LBB114_79:
	s_or_b64 exec, exec, s[2:3]
	s_and_saveexec_b64 s[2:3], vcc
	s_cbranch_execz .LBB114_81
.LBB114_80:
	v_mov_b32_e32 v11, 0x110
	v_lshl_add_u32 v10, v10, 2, v11
	ds_read_b32 v10, v10 offset:448
	s_waitcnt lgkmcnt(0)
	v_add_f32_e32 v3, v3, v10
.LBB114_81:
	s_or_b64 exec, exec, s[2:3]
.LBB114_82:
	s_or_b64 exec, exec, s[0:1]
	v_cmp_eq_u32_e32 vcc, 0, v1
	s_barrier
	s_and_saveexec_b64 s[0:1], vcc
	s_cbranch_execz .LBB114_84
; %bb.83:
	s_lshl_b32 s0, s6, 7
	s_ashr_i32 s1, s0, 31
	s_lshl_b64 s[0:1], s[0:1], 1
	s_add_u32 s2, s26, s0
	s_mul_i32 s0, s25, s24
	s_addc_u32 s3, s27, s1
	s_ashr_i32 s1, s0, 31
	s_lshl_b64 s[0:1], s[0:1], 1
	s_add_u32 s2, s2, s0
	s_addc_u32 s3, s3, s1
	s_lshl_b32 s0, s4, 7
	s_ashr_i32 s1, s0, 31
	s_lshl_b64 s[0:1], s[0:1], 1
	s_add_u32 s0, s2, s0
	s_addc_u32 s1, s3, s1
	v_lshrrev_b32_e32 v0, 1, v0
	;;#ASMSTART
	v_cvt_f16_f32 v1, v8;

	;;#ASMEND
	global_store_short v0, v1, s[0:1]
	;;#ASMSTART
	v_cvt_f16_f32 v1, v9;

	;;#ASMEND
	global_store_short v0, v1, s[0:1] offset:32
	;;#ASMSTART
	v_cvt_f16_f32 v1, v6;

	;;#ASMEND
	global_store_short v0, v1, s[0:1] offset:64
	;; [unrolled: 5-line block ×7, first 2 shown]
.LBB114_84:
	s_endpgm
.LBB114_85:
	v_mov_b32_e32 v11, 0x110
	v_lshl_add_u32 v11, v10, 2, v11
	ds_read_b32 v11, v11
	s_waitcnt lgkmcnt(0)
	v_add_f32_e32 v8, v8, v11
	s_or_b64 exec, exec, s[2:3]
	s_and_saveexec_b64 s[2:3], vcc
	s_cbranch_execz .LBB114_74
.LBB114_86:
	v_mov_b32_e32 v11, 0x110
	v_lshl_add_u32 v11, v10, 2, v11
	ds_read_b32 v11, v11 offset:64
	s_waitcnt lgkmcnt(0)
	v_add_f32_e32 v9, v9, v11
	s_or_b64 exec, exec, s[2:3]
	s_and_saveexec_b64 s[2:3], vcc
	s_cbranch_execz .LBB114_75
.LBB114_87:
	v_mov_b32_e32 v11, 0x110
	v_lshl_add_u32 v11, v10, 2, v11
	ds_read_b32 v11, v11 offset:128
	s_waitcnt lgkmcnt(0)
	v_add_f32_e32 v6, v6, v11
	s_or_b64 exec, exec, s[2:3]
	s_and_saveexec_b64 s[2:3], vcc
	s_cbranch_execz .LBB114_76
.LBB114_88:
	v_mov_b32_e32 v11, 0x110
	v_lshl_add_u32 v11, v10, 2, v11
	ds_read_b32 v11, v11 offset:192
	s_waitcnt lgkmcnt(0)
	v_add_f32_e32 v7, v7, v11
	s_or_b64 exec, exec, s[2:3]
	s_and_saveexec_b64 s[2:3], vcc
	s_cbranch_execz .LBB114_77
.LBB114_89:
	v_mov_b32_e32 v11, 0x110
	v_lshl_add_u32 v11, v10, 2, v11
	ds_read_b32 v11, v11 offset:256
	s_waitcnt lgkmcnt(0)
	v_add_f32_e32 v4, v4, v11
	s_or_b64 exec, exec, s[2:3]
	s_and_saveexec_b64 s[2:3], vcc
	s_cbranch_execz .LBB114_78
.LBB114_90:
	v_mov_b32_e32 v11, 0x110
	v_lshl_add_u32 v11, v10, 2, v11
	ds_read_b32 v11, v11 offset:320
	s_waitcnt lgkmcnt(0)
	v_add_f32_e32 v5, v5, v11
	s_or_b64 exec, exec, s[2:3]
	s_and_saveexec_b64 s[2:3], vcc
	s_cbranch_execz .LBB114_79
.LBB114_91:
	v_mov_b32_e32 v11, 0x110
	v_lshl_add_u32 v11, v10, 2, v11
	ds_read_b32 v11, v11 offset:384
	s_waitcnt lgkmcnt(0)
	v_add_f32_e32 v2, v2, v11
	s_or_b64 exec, exec, s[2:3]
	s_and_saveexec_b64 s[2:3], vcc
	s_cbranch_execnz .LBB114_80
	s_branch .LBB114_81
	.section	.rodata,"a",@progbits
	.p2align	6, 0x0
	.amdhsa_kernel _ZN4vllm25paged_attention_v2_kernelIttLi128ELi32ELi128ELNS_18Fp8KVCacheDataTypeE0ELb1ELi512EEEvPfS2_PT_PKS3_PKT0_S9_ifPKiSB_iPKfiiiSD_SD_iiiii
		.amdhsa_group_segment_fixed_size 272
		.amdhsa_private_segment_fixed_size 0
		.amdhsa_kernarg_size 400
		.amdhsa_user_sgpr_count 2
		.amdhsa_user_sgpr_dispatch_ptr 0
		.amdhsa_user_sgpr_queue_ptr 0
		.amdhsa_user_sgpr_kernarg_segment_ptr 1
		.amdhsa_user_sgpr_dispatch_id 0
		.amdhsa_user_sgpr_kernarg_preload_length 0
		.amdhsa_user_sgpr_kernarg_preload_offset 0
		.amdhsa_user_sgpr_private_segment_size 0
		.amdhsa_uses_dynamic_stack 0
		.amdhsa_enable_private_segment 0
		.amdhsa_system_sgpr_workgroup_id_x 1
		.amdhsa_system_sgpr_workgroup_id_y 1
		.amdhsa_system_sgpr_workgroup_id_z 1
		.amdhsa_system_sgpr_workgroup_info 0
		.amdhsa_system_vgpr_workitem_id 0
		.amdhsa_next_free_vgpr 84
		.amdhsa_next_free_sgpr 56
		.amdhsa_accum_offset 84
		.amdhsa_reserve_vcc 1
		.amdhsa_float_round_mode_32 0
		.amdhsa_float_round_mode_16_64 0
		.amdhsa_float_denorm_mode_32 3
		.amdhsa_float_denorm_mode_16_64 3
		.amdhsa_dx10_clamp 1
		.amdhsa_ieee_mode 1
		.amdhsa_fp16_overflow 0
		.amdhsa_tg_split 0
		.amdhsa_exception_fp_ieee_invalid_op 0
		.amdhsa_exception_fp_denorm_src 0
		.amdhsa_exception_fp_ieee_div_zero 0
		.amdhsa_exception_fp_ieee_overflow 0
		.amdhsa_exception_fp_ieee_underflow 0
		.amdhsa_exception_fp_ieee_inexact 0
		.amdhsa_exception_int_div_zero 0
	.end_amdhsa_kernel
	.section	.text._ZN4vllm25paged_attention_v2_kernelIttLi128ELi32ELi128ELNS_18Fp8KVCacheDataTypeE0ELb1ELi512EEEvPfS2_PT_PKS3_PKT0_S9_ifPKiSB_iPKfiiiSD_SD_iiiii,"axG",@progbits,_ZN4vllm25paged_attention_v2_kernelIttLi128ELi32ELi128ELNS_18Fp8KVCacheDataTypeE0ELb1ELi512EEEvPfS2_PT_PKS3_PKT0_S9_ifPKiSB_iPKfiiiSD_SD_iiiii,comdat
.Lfunc_end114:
	.size	_ZN4vllm25paged_attention_v2_kernelIttLi128ELi32ELi128ELNS_18Fp8KVCacheDataTypeE0ELb1ELi512EEEvPfS2_PT_PKS3_PKT0_S9_ifPKiSB_iPKfiiiSD_SD_iiiii, .Lfunc_end114-_ZN4vllm25paged_attention_v2_kernelIttLi128ELi32ELi128ELNS_18Fp8KVCacheDataTypeE0ELb1ELi512EEEvPfS2_PT_PKS3_PKT0_S9_ifPKiSB_iPKfiiiSD_SD_iiiii
                                        ; -- End function
	.section	.AMDGPU.csdata,"",@progbits
; Kernel info:
; codeLenInByte = 9864
; NumSgprs: 62
; NumVgprs: 84
; NumAgprs: 0
; TotalNumVgprs: 84
; ScratchSize: 0
; MemoryBound: 0
; FloatMode: 240
; IeeeMode: 1
; LDSByteSize: 272 bytes/workgroup (compile time only)
; SGPRBlocks: 7
; VGPRBlocks: 10
; NumSGPRsForWavesPerEU: 62
; NumVGPRsForWavesPerEU: 84
; AccumOffset: 84
; Occupancy: 5
; WaveLimiterHint : 1
; COMPUTE_PGM_RSRC2:SCRATCH_EN: 0
; COMPUTE_PGM_RSRC2:USER_SGPR: 2
; COMPUTE_PGM_RSRC2:TRAP_HANDLER: 0
; COMPUTE_PGM_RSRC2:TGID_X_EN: 1
; COMPUTE_PGM_RSRC2:TGID_Y_EN: 1
; COMPUTE_PGM_RSRC2:TGID_Z_EN: 1
; COMPUTE_PGM_RSRC2:TIDIG_COMP_CNT: 0
; COMPUTE_PGM_RSRC3_GFX90A:ACCUM_OFFSET: 20
; COMPUTE_PGM_RSRC3_GFX90A:TG_SPLIT: 0
	.section	.text._ZN4vllm25paged_attention_v2_kernelIttLi192ELi32ELi128ELNS_18Fp8KVCacheDataTypeE0ELb1ELi512EEEvPfS2_PT_PKS3_PKT0_S9_ifPKiSB_iPKfiiiSD_SD_iiiii,"axG",@progbits,_ZN4vllm25paged_attention_v2_kernelIttLi192ELi32ELi128ELNS_18Fp8KVCacheDataTypeE0ELb1ELi512EEEvPfS2_PT_PKS3_PKT0_S9_ifPKiSB_iPKfiiiSD_SD_iiiii,comdat
	.protected	_ZN4vllm25paged_attention_v2_kernelIttLi192ELi32ELi128ELNS_18Fp8KVCacheDataTypeE0ELb1ELi512EEEvPfS2_PT_PKS3_PKT0_S9_ifPKiSB_iPKfiiiSD_SD_iiiii ; -- Begin function _ZN4vllm25paged_attention_v2_kernelIttLi192ELi32ELi128ELNS_18Fp8KVCacheDataTypeE0ELb1ELi512EEEvPfS2_PT_PKS3_PKT0_S9_ifPKiSB_iPKfiiiSD_SD_iiiii
	.globl	_ZN4vllm25paged_attention_v2_kernelIttLi192ELi32ELi128ELNS_18Fp8KVCacheDataTypeE0ELb1ELi512EEEvPfS2_PT_PKS3_PKT0_S9_ifPKiSB_iPKfiiiSD_SD_iiiii
	.p2align	8
	.type	_ZN4vllm25paged_attention_v2_kernelIttLi192ELi32ELi128ELNS_18Fp8KVCacheDataTypeE0ELb1ELi512EEEvPfS2_PT_PKS3_PKT0_S9_ifPKiSB_iPKfiiiSD_SD_iiiii,@function
_ZN4vllm25paged_attention_v2_kernelIttLi192ELi32ELi128ELNS_18Fp8KVCacheDataTypeE0ELb1ELi512EEEvPfS2_PT_PKS3_PKT0_S9_ifPKiSB_iPKfiiiSD_SD_iiiii: ; @_ZN4vllm25paged_attention_v2_kernelIttLi192ELi32ELi128ELNS_18Fp8KVCacheDataTypeE0ELb1ELi512EEEvPfS2_PT_PKS3_PKT0_S9_ifPKiSB_iPKfiiiSD_SD_iiiii
; %bb.0:
	s_load_dwordx2 s[6:7], s[0:1], 0x40
	s_mov_b32 s28, s3
	s_ashr_i32 s29, s3, 31
	s_lshl_b64 s[8:9], s[28:29], 2
	s_waitcnt lgkmcnt(0)
	s_add_u32 s6, s6, s8
	s_addc_u32 s7, s7, s9
	s_load_dword s29, s[6:7], 0x0
	s_lshl_b32 s49, s4, 9
	s_waitcnt lgkmcnt(0)
	s_cmp_ge_i32 s49, s29
	s_cbranch_scc1 .LBB115_98
; %bb.1:
	s_load_dword s5, s[0:1], 0x90
	s_load_dwordx2 s[38:39], s[0:1], 0x30
	s_waitcnt lgkmcnt(0)
	s_abs_i32 s7, s5
	s_abs_i32 s3, s38
	v_cvt_f32_u32_e32 v1, s3
	s_sub_i32 s8, 0, s3
	s_xor_b32 s6, s5, s38
	s_ashr_i32 s6, s6, 31
	v_rcp_iflag_f32_e32 v1, v1
	s_nop 0
	v_mul_f32_e32 v1, 0x4f7ffffe, v1
	v_cvt_u32_f32_e32 v1, v1
	s_nop 0
	v_readfirstlane_b32 s9, v1
	s_mul_i32 s8, s8, s9
	s_mul_hi_u32 s8, s9, s8
	s_add_i32 s9, s9, s8
	s_mul_hi_u32 s8, s7, s9
	s_mul_i32 s9, s8, s3
	s_sub_i32 s7, s7, s9
	s_add_i32 s10, s8, 1
	s_sub_i32 s9, s7, s3
	s_cmp_ge_u32 s7, s3
	s_cselect_b32 s8, s10, s8
	s_cselect_b32 s7, s9, s7
	s_add_i32 s9, s8, 1
	s_cmp_ge_u32 s7, s3
	s_cselect_b32 s3, s9, s8
	s_xor_b32 s3, s3, s6
	s_sub_i32 s12, s3, s6
	s_abs_i32 s8, s12
	v_cvt_f32_u32_e32 v1, s8
	s_load_dwordx2 s[6:7], s[0:1], 0x50
	s_sub_i32 s10, 0, s8
	s_abs_i32 s9, s2
	v_rcp_iflag_f32_e32 v1, v1
	s_mov_b32 s3, 0
	v_mul_f32_e32 v1, 0x4f7ffffe, v1
	v_cvt_u32_f32_e32 v1, v1
	s_nop 0
	v_readfirstlane_b32 s11, v1
	s_mul_i32 s10, s10, s11
	s_mul_hi_u32 s10, s11, s10
	s_add_i32 s11, s11, s10
	s_waitcnt lgkmcnt(0)
	s_cmp_eq_u64 s[6:7], 0
	s_mul_hi_u32 s10, s9, s11
	s_cbranch_scc1 .LBB115_3
; %bb.2:
	s_ashr_i32 s3, s2, 31
	s_lshl_b64 s[14:15], s[2:3], 2
	s_add_u32 s6, s6, s14
	s_addc_u32 s7, s7, s15
	s_load_dword s3, s[6:7], 0x0
.LBB115_3:
	s_ashr_i32 s16, s12, 31
	s_load_dwordx4 s[12:15], s[0:1], 0x58
	s_ashr_i32 s11, s2, 31
	v_and_b32_e32 v4, 1, v0
	s_waitcnt lgkmcnt(0)
	s_movk_i32 s15, 0xc0
	s_mul_i32 s24, s2, 0xc0
	v_cmp_gt_u32_e32 vcc, 48, v0
	v_lshlrev_b32_e32 v54, 3, v0
	s_and_saveexec_b64 s[6:7], vcc
	s_cbranch_execz .LBB115_5
; %bb.4:
	s_load_dwordx2 s[18:19], s[0:1], 0x18
	s_mul_i32 s20, s28, s12
	s_ashr_i32 s21, s20, 31
	s_lshl_b64 s[20:21], s[20:21], 1
	v_lshlrev_b32_e32 v1, 2, v0
	s_waitcnt lgkmcnt(0)
	s_add_u32 s12, s18, s20
	s_addc_u32 s17, s19, s21
	s_ashr_i32 s25, s24, 31
	s_lshl_b64 s[18:19], s[24:25], 1
	s_add_u32 s18, s12, s18
	s_addc_u32 s19, s17, s19
	global_load_dwordx2 v[2:3], v54, s[18:19]
	v_and_b32_e32 v1, 0xff8, v1
	v_mad_u32_u24 v1, v4, s15, v1
	s_waitcnt vmcnt(0)
	ds_write_b64 v1, v[2:3]
.LBB115_5:
	s_or_b64 exec, exec, s[6:7]
	s_mul_i32 s7, s10, s8
	s_sub_i32 s7, s9, s7
	s_xor_b32 s6, s11, s16
	s_add_i32 s9, s10, 1
	s_sub_i32 s11, s7, s8
	s_load_dwordx4 s[16:19], s[0:1], 0x78
	s_cmp_ge_u32 s7, s8
	s_cselect_b32 s9, s9, s10
	s_cselect_b32 s7, s11, s7
	s_load_dword s11, s[0:1], 0x88
	s_add_i32 s10, s9, 1
	s_cmp_ge_u32 s7, s8
	s_cselect_b32 s7, s10, s9
	s_waitcnt lgkmcnt(0)
	s_abs_i32 s25, s19
	v_cvt_f32_u32_e32 v1, s25
	s_xor_b32 s7, s7, s6
	s_sub_i32 s8, s7, s6
	s_sub_i32 s6, 0, s25
	v_rcp_iflag_f32_e32 v1, v1
	s_add_i32 s12, s29, -1
	s_abs_i32 s9, s12
	v_mul_f32_e32 v1, 0x4f7ffffe, v1
	v_cvt_u32_f32_e32 v1, v1
	s_barrier
	v_readfirstlane_b32 s33, v1
	s_mul_i32 s6, s6, s33
	s_mul_hi_u32 s6, s33, s6
	s_add_i32 s33, s33, s6
	s_cmp_lt_i32 s11, 0
	s_mul_hi_u32 s10, s9, s33
	s_cbranch_scc0 .LBB115_7
; %bb.6:
	s_mul_i32 s6, s16, s38
	s_add_i32 s6, s8, s6
	s_mul_i32 s6, s6, s11
	s_sub_i32 s46, 1, s6
	s_mov_b64 s[6:7], 0
	s_branch .LBB115_8
.LBB115_7:
	s_mov_b64 s[6:7], -1
                                        ; implicit-def: $sgpr46
.LBB115_8:
	s_load_dwordx2 s[30:31], s[0:1], 0x38
	s_ashr_i32 s12, s12, 31
	s_andn2_b64 vcc, exec, s[6:7]
	s_ashr_i32 s19, s19, 31
	s_cbranch_vccnz .LBB115_10
; %bb.9:
	s_mul_i32 s6, s5, s16
	s_add_i32 s6, s6, s2
	s_mul_i32 s6, s6, s11
	s_add_i32 s46, s6, 1
.LBB115_10:
	s_load_dword s6, s[0:1], 0x48
	s_load_dwordx2 s[36:37], s[0:1], 0x28
	s_load_dword s16, s[0:1], 0x98
	s_load_dwordx4 s[20:23], s[0:1], 0x0
	s_load_dwordx2 s[26:27], s[0:1], 0x10
	s_mul_i32 s7, s10, s25
	s_waitcnt lgkmcnt(0)
	s_mul_i32 s34, s28, s6
	s_sub_i32 s7, s9, s7
	s_ashr_i32 s35, s34, 31
	s_xor_b32 s6, s12, s19
	s_add_i32 s9, s10, 1
	s_sub_i32 s11, s7, s25
	s_cmp_ge_u32 s7, s25
	s_cselect_b32 s9, s9, s10
	s_cselect_b32 s7, s11, s7
	s_add_i32 s10, s9, 1
	s_cmp_ge_u32 s7, s25
	s_cselect_b32 s7, s10, s9
	s_xor_b32 s7, s7, s6
	s_sub_i32 s48, s7, s6
	s_add_i32 s6, s29, 31
	s_ashr_i32 s7, s6, 31
	s_lshr_b32 s7, s7, 27
	s_add_i32 s6, s6, s7
	s_lshl_b32 s38, s4, 4
	s_ashr_i32 s12, s6, 5
	s_add_i32 s6, s38, 16
	v_lshrrev_b32_e32 v55, 6, v0
	s_min_i32 s47, s6, s12
	v_or_b32_e32 v6, s38, v55
	v_cmp_gt_i32_e64 s[10:11], s47, v6
	v_mov_b32_e32 v59, 0xff7fffff
	s_mul_i32 s14, s8, s14
	v_ashrrev_i32_e32 v7, 31, v6
	v_lshl_add_u32 v1, v55, 5, s49
	v_mbcnt_lo_u32_b32 v56, -1, 0
	s_and_saveexec_b64 s[40:41], s[10:11]
	s_cbranch_execz .LBB115_20
; %bb.11:
	s_load_dwordx2 s[0:1], s[0:1], 0x20
	s_ashr_i32 s15, s14, 31
	s_sub_i32 s50, s48, s17
	s_lshl_b64 s[8:9], s[14:15], 1
	v_bfe_u32 v57, v0, 1, 5
	s_waitcnt lgkmcnt(0)
	s_add_u32 s0, s0, s8
	s_addc_u32 s1, s1, s9
	s_abs_i32 s15, s18
	v_cvt_f32_u32_e32 v5, s15
	v_lshlrev_b32_e32 v2, 4, v57
	v_mov_b32_e32 v3, 0
	v_lshl_add_u64 v[8:9], s[0:1], 0, v[2:3]
	v_rcp_iflag_f32_e32 v5, v5
	v_and_b32_e32 v2, 8, v54
	v_lshl_add_u64 v[2:3], v[8:9], 0, v[2:3]
	s_sub_i32 s0, 0, s15
	v_mul_f32_e32 v5, 0x4f7ffffe, v5
	v_cvt_u32_f32_e32 v5, v5
	v_lshlrev_b32_e32 v8, 2, v57
	v_cmp_eq_u32_e64 s[6:7], 0, v4
	v_mul_u32_u24_e32 v58, 0xc0, v4
	v_mul_lo_u32 v4, s0, v5
	s_lshl_b64 s[0:1], s[34:35], 2
	v_lshl_or_b32 v8, v55, 7, v8
	s_add_u32 s0, s30, s0
	v_add_u32_e32 v62, 0x190, v8
	v_subrev_u32_e32 v8, s29, v57
	v_mbcnt_hi_u32_b32 v65, -1, v56
	v_mul_hi_u32 v4, v5, v4
	s_addc_u32 s1, s31, s1
	v_add_u32_e32 v63, 1, v8
	v_and_b32_e32 v8, 64, v65
	s_mov_b32 s51, s13
	v_cmp_neq_f32_e64 s[8:9], s3, 0
	v_add_u32_e32 v60, v5, v4
	v_lshl_add_u64 v[4:5], v[6:7], 2, s[0:1]
	v_lshl_add_u32 v61, v55, 5, s49
	s_mov_b64 s[42:43], 0
	v_mov_b32_e32 v64, 0xff7fffff
	s_movk_i32 s52, 0x1000
	s_movk_i32 s53, 0x2000
	v_xor_b32_e32 v66, 1, v65
	v_add_u32_e32 v67, 64, v8
	v_mov_b32_e32 v59, 0xff7fffff
	v_mov_b32_e32 v68, v6
	s_branch .LBB115_14
.LBB115_12:                             ;   in Loop: Header=BB115_14 Depth=1
	s_or_b64 exec, exec, s[0:1]
.LBB115_13:                             ;   in Loop: Header=BB115_14 Depth=1
	s_or_b64 exec, exec, s[44:45]
	v_add_u32_e32 v68, 2, v68
	v_cmp_le_i32_e32 vcc, s47, v68
	v_lshl_add_u64 v[4:5], v[4:5], 0, 8
	v_add_u32_e32 v61, 64, v61
	s_or_b64 s[42:43], vcc, s[42:43]
	v_add_u32_e32 v62, 0x100, v62
	s_andn2_b64 exec, exec, s[42:43]
	s_cbranch_execz .LBB115_19
.LBB115_14:                             ; =>This Inner Loop Header: Depth=1
	s_waitcnt lgkmcnt(0)
	v_sub_u32_e32 v9, 0, v61
	v_max_i32_e32 v9, v61, v9
	v_mul_hi_u32 v10, v9, s33
	v_mul_lo_u32 v11, v10, s25
	v_sub_u32_e32 v9, v9, v11
	v_add_u32_e32 v11, 1, v10
	v_cmp_le_u32_e32 vcc, s25, v9
	v_ashrrev_i32_e32 v8, 31, v61
	v_xor_b32_e32 v8, s19, v8
	v_cndmask_b32_e32 v10, v10, v11, vcc
	v_subrev_u32_e32 v11, s25, v9
	v_cndmask_b32_e32 v9, v9, v11, vcc
	v_add_u32_e32 v11, 1, v10
	v_cmp_le_u32_e32 vcc, s25, v9
	s_nop 1
	v_cndmask_b32_e32 v9, v10, v11, vcc
	v_xor_b32_e32 v9, v9, v8
	v_sub_u32_e32 v8, v9, v8
	v_add_u32_e32 v9, s46, v8
	v_sub_u32_e32 v11, 0, v9
	v_ashrrev_i32_e32 v10, 31, v9
	v_max_i32_e32 v9, v9, v11
	v_mul_hi_u32 v11, v9, v60
	v_mul_lo_u32 v11, v11, s15
	v_sub_u32_e32 v9, v9, v11
	v_subrev_u32_e32 v11, s15, v9
	v_cmp_le_u32_e32 vcc, s15, v9
	v_cmp_ge_i32_e64 s[0:1], s50, v8
	s_nop 0
	v_cndmask_b32_e32 v9, v9, v11, vcc
	v_subrev_u32_e32 v11, s15, v9
	v_cmp_le_u32_e32 vcc, s15, v9
	s_nop 1
	v_cndmask_b32_e32 v9, v9, v11, vcc
	v_xor_b32_e32 v9, v9, v10
	v_sub_u32_e32 v9, v9, v10
	v_cmp_ne_u32_e32 vcc, 0, v9
	s_and_b64 s[0:1], vcc, s[0:1]
	s_and_b64 s[54:55], s[6:7], s[0:1]
	s_and_saveexec_b64 s[44:45], s[54:55]
	s_cbranch_execz .LBB115_16
; %bb.15:                               ;   in Loop: Header=BB115_14 Depth=1
	ds_write_b32 v62, v64
.LBB115_16:                             ;   in Loop: Header=BB115_14 Depth=1
	s_or_b64 exec, exec, s[44:45]
	s_xor_b64 s[0:1], s[0:1], -1
	s_and_saveexec_b64 s[44:45], s[0:1]
	s_cbranch_execz .LBB115_13
; %bb.17:                               ;   in Loop: Header=BB115_14 Depth=1
	global_load_dword v8, v[4:5], off
	s_waitcnt vmcnt(0)
	v_mad_i64_i32 v[8:9], s[0:1], v8, s51, 0
	v_lshl_add_u64 v[8:9], v[8:9], 1, v[2:3]
	global_load_dwordx2 v[72:73], v[8:9], off
	global_load_dwordx2 v[50:51], v[8:9], off offset:512
	global_load_dwordx2 v[52:53], v[8:9], off offset:1024
	;; [unrolled: 1-line block ×7, first 2 shown]
	v_add_co_u32_e32 v10, vcc, s52, v8
	s_mov_b64 s[0:1], vcc
	v_add_co_u32_e32 v70, vcc, s53, v8
	ds_read_b64 v[12:13], v58
	s_nop 0
	v_addc_co_u32_e32 v71, vcc, 0, v9, vcc
	global_load_dwordx2 v[38:39], v[70:71], off offset:-4096
	v_addc_co_u32_e64 v11, vcc, 0, v9, s[0:1]
	global_load_dwordx2 v[28:29], v[10:11], off offset:2560
	global_load_dwordx2 v[26:27], v[10:11], off offset:3072
	;; [unrolled: 1-line block ×3, first 2 shown]
	s_waitcnt lgkmcnt(0)
	v_lshrrev_b32_e32 v74, 16, v12
	v_and_b32_e32 v69, 0xffff, v12
	v_lshrrev_b32_e32 v76, 16, v13
	v_and_b32_e32 v77, 0xffff, v13
	global_load_dwordx2 v[36:37], v[10:11], off offset:512
	global_load_dwordx2 v[34:35], v[10:11], off offset:1024
	;; [unrolled: 1-line block ×4, first 2 shown]
	global_load_dwordx2 v[22:23], v[70:71], off
	global_load_dwordx2 v[20:21], v[70:71], off offset:512
	global_load_dwordx2 v[18:19], v[70:71], off offset:1024
	;; [unrolled: 1-line block ×7, first 2 shown]
	;;#ASMSTART
	v_cvt_f32_f16 v69, v69;
	;;#ASMEND
	;;#ASMSTART
	v_cvt_f32_f16 v70, v74;
	;;#ASMEND
	v_cmp_lt_i32_e32 vcc, v66, v67
	s_waitcnt vmcnt(23)
	v_lshrrev_b32_e32 v79, 16, v72
	v_and_b32_e32 v80, 0xffff, v72
	v_lshrrev_b32_e32 v81, 16, v73
	v_and_b32_e32 v82, 0xffff, v73
	;;#ASMSTART
	v_cvt_f32_f16 v80, v80;
	;;#ASMEND
	;;#ASMSTART
	v_cvt_f32_f16 v79, v79;
	;;#ASMEND
	s_waitcnt vmcnt(17)
	v_lshrrev_b32_e32 v89, 16, v42
	v_and_b32_e32 v90, 0xffff, v42
	v_lshrrev_b32_e32 v91, 16, v43
	v_and_b32_e32 v92, 0xffff, v43
	;;#ASMSTART
	v_cvt_f32_f16 v77, v77;
	;;#ASMEND
	;;#ASMSTART
	v_cvt_f32_f16 v76, v76;
	;;#ASMEND
	;;#ASMSTART
	v_cvt_f32_f16 v82, v82;
	;;#ASMEND
	;;#ASMSTART
	v_cvt_f32_f16 v81, v81;
	;;#ASMEND
	ds_read_b64 v[42:43], v58 offset:8
	v_and_b32_e32 v71, 0xffff, v50
	v_lshrrev_b32_e32 v50, 16, v50
	v_lshrrev_b32_e32 v72, 16, v51
	v_and_b32_e32 v51, 0xffff, v51
	s_waitcnt vmcnt(16)
	v_lshrrev_b32_e32 v93, 16, v40
	v_and_b32_e32 v94, 0xffff, v40
	v_lshrrev_b32_e32 v95, 16, v41
	v_and_b32_e32 v96, 0xffff, v41
	s_waitcnt lgkmcnt(0)
	v_and_b32_e32 v40, 0xffff, v42
	v_lshrrev_b32_e32 v41, 16, v42
	v_lshrrev_b32_e32 v42, 16, v43
	v_and_b32_e32 v43, 0xffff, v43
	v_lshrrev_b32_e32 v85, 16, v44
	v_and_b32_e32 v86, 0xffff, v44
	;; [unrolled: 2-line block ×3, first 2 shown]
	;;#ASMSTART
	v_cvt_f32_f16 v40, v40;
	;;#ASMEND
	;;#ASMSTART
	v_cvt_f32_f16 v41, v41;
	;;#ASMEND
	;; [unrolled: 3-line block ×8, first 2 shown]
	ds_read_b64 v[44:45], v58 offset:16
	v_and_b32_e32 v73, 0xffff, v52
	v_lshrrev_b32_e32 v52, 16, v52
	v_lshrrev_b32_e32 v74, 16, v53
	v_and_b32_e32 v53, 0xffff, v53
	v_mul_f32_e32 v40, v40, v71
	v_mul_f32_e32 v41, v41, v50
	v_mul_f32_e32 v42, v43, v42
	v_mul_f32_e32 v43, v98, v51
	s_waitcnt lgkmcnt(0)
	v_lshrrev_b32_e32 v50, 16, v44
	v_and_b32_e32 v44, 0xffff, v44
	v_lshrrev_b32_e32 v51, 16, v45
	v_and_b32_e32 v45, 0xffff, v45
	v_fmac_f32_e32 v40, v69, v80
	v_fmac_f32_e32 v41, v70, v79
	;;#ASMSTART
	v_cvt_f32_f16 v69, v44;
	;;#ASMEND
	;;#ASMSTART
	v_cvt_f32_f16 v50, v50;
	;;#ASMEND
	;; [unrolled: 3-line block ×8, first 2 shown]
	ds_read_b64 v[44:45], v58 offset:24
	v_fmac_f32_e32 v43, v76, v81
	v_lshrrev_b32_e32 v75, 16, v48
	v_and_b32_e32 v48, 0xffff, v48
	v_lshrrev_b32_e32 v78, 16, v49
	v_and_b32_e32 v49, 0xffff, v49
	v_fmac_f32_e32 v42, v77, v82
	v_fmac_f32_e32 v41, v50, v52
	;; [unrolled: 1-line block ×3, first 2 shown]
	s_waitcnt lgkmcnt(0)
	v_lshrrev_b32_e32 v50, 16, v44
	v_and_b32_e32 v44, 0xffff, v44
	v_lshrrev_b32_e32 v51, 16, v45
	v_and_b32_e32 v45, 0xffff, v45
	v_fmac_f32_e32 v40, v69, v70
	v_fmac_f32_e32 v42, v71, v53
	;;#ASMSTART
	v_cvt_f32_f16 v52, v44;
	;;#ASMEND
	;;#ASMSTART
	v_cvt_f32_f16 v50, v50;
	;;#ASMEND
	;; [unrolled: 3-line block ×8, first 2 shown]
	ds_read_b64 v[44:45], v58 offset:32
	v_lshrrev_b32_e32 v83, 16, v46
	v_and_b32_e32 v46, 0xffff, v46
	v_lshrrev_b32_e32 v84, 16, v47
	v_and_b32_e32 v47, 0xffff, v47
	v_fmac_f32_e32 v40, v52, v48
	v_fmac_f32_e32 v42, v69, v49
	s_waitcnt lgkmcnt(0)
	v_lshrrev_b32_e32 v48, 16, v44
	v_and_b32_e32 v44, 0xffff, v44
	v_lshrrev_b32_e32 v49, 16, v45
	v_and_b32_e32 v45, 0xffff, v45
	v_fmac_f32_e32 v41, v50, v53
	v_fmac_f32_e32 v43, v51, v70
	;;#ASMSTART
	v_cvt_f32_f16 v50, v44;
	;;#ASMEND
	;;#ASMSTART
	v_cvt_f32_f16 v48, v48;
	;;#ASMEND
	;;#ASMSTART
	v_cvt_f32_f16 v46, v46;
	;;#ASMEND
	;;#ASMSTART
	v_cvt_f32_f16 v51, v83;
	;;#ASMEND
	;;#ASMSTART
	v_cvt_f32_f16 v52, v45;
	;;#ASMEND
	;;#ASMSTART
	v_cvt_f32_f16 v49, v49;
	;;#ASMEND
	;;#ASMSTART
	v_cvt_f32_f16 v47, v47;
	;;#ASMEND
	;;#ASMSTART
	v_cvt_f32_f16 v53, v84;
	;;#ASMEND
	ds_read_b64 v[44:45], v58 offset:40
	v_fmac_f32_e32 v40, v50, v46
	v_fmac_f32_e32 v42, v52, v47
	v_fmac_f32_e32 v41, v48, v51
	v_fmac_f32_e32 v43, v49, v53
	s_waitcnt lgkmcnt(0)
	v_lshrrev_b32_e32 v46, 16, v44
	v_and_b32_e32 v44, 0xffff, v44
	v_lshrrev_b32_e32 v47, 16, v45
	v_and_b32_e32 v45, 0xffff, v45
	;;#ASMSTART
	v_cvt_f32_f16 v48, v44;
	;;#ASMEND
	;;#ASMSTART
	v_cvt_f32_f16 v46, v46;
	;;#ASMEND
	;;#ASMSTART
	v_cvt_f32_f16 v49, v86;
	;;#ASMEND
	;;#ASMSTART
	v_cvt_f32_f16 v50, v85;
	;;#ASMEND
	;;#ASMSTART
	v_cvt_f32_f16 v51, v45;
	;;#ASMEND
	;;#ASMSTART
	v_cvt_f32_f16 v47, v47;
	;;#ASMEND
	;;#ASMSTART
	v_cvt_f32_f16 v52, v88;
	;;#ASMEND
	;;#ASMSTART
	v_cvt_f32_f16 v53, v87;
	;;#ASMEND
	ds_read_b64 v[44:45], v58 offset:48
	v_fmac_f32_e32 v41, v46, v50
	v_fmac_f32_e32 v43, v47, v53
	v_fmac_f32_e32 v40, v48, v49
	v_fmac_f32_e32 v42, v51, v52
	s_waitcnt lgkmcnt(0)
	v_lshrrev_b32_e32 v46, 16, v44
	v_and_b32_e32 v44, 0xffff, v44
	v_lshrrev_b32_e32 v47, 16, v45
	v_and_b32_e32 v45, 0xffff, v45
	;;#ASMSTART
	v_cvt_f32_f16 v48, v44;
	;;#ASMEND
	;;#ASMSTART
	v_cvt_f32_f16 v46, v46;
	;;#ASMEND
	;;#ASMSTART
	v_cvt_f32_f16 v49, v90;
	;;#ASMEND
	;;#ASMSTART
	v_cvt_f32_f16 v50, v89;
	;;#ASMEND
	;;#ASMSTART
	v_cvt_f32_f16 v51, v45;
	;;#ASMEND
	;;#ASMSTART
	v_cvt_f32_f16 v47, v47;
	;;#ASMEND
	;;#ASMSTART
	v_cvt_f32_f16 v52, v92;
	;;#ASMEND
	;;#ASMSTART
	v_cvt_f32_f16 v53, v91;
	;;#ASMEND
	ds_read_b64 v[44:45], v58 offset:56
	v_fmac_f32_e32 v41, v46, v50
	v_fmac_f32_e32 v43, v47, v53
	v_fmac_f32_e32 v40, v48, v49
	v_fmac_f32_e32 v42, v51, v52
	s_waitcnt lgkmcnt(0)
	v_lshrrev_b32_e32 v46, 16, v44
	v_and_b32_e32 v44, 0xffff, v44
	v_lshrrev_b32_e32 v47, 16, v45
	v_and_b32_e32 v45, 0xffff, v45
	;;#ASMSTART
	v_cvt_f32_f16 v48, v44;
	;;#ASMEND
	;;#ASMSTART
	v_cvt_f32_f16 v46, v46;
	;;#ASMEND
	;;#ASMSTART
	v_cvt_f32_f16 v49, v94;
	;;#ASMEND
	;;#ASMSTART
	v_cvt_f32_f16 v50, v93;
	;;#ASMEND
	;;#ASMSTART
	v_cvt_f32_f16 v51, v45;
	;;#ASMEND
	;;#ASMSTART
	v_cvt_f32_f16 v47, v47;
	;;#ASMEND
	;;#ASMSTART
	v_cvt_f32_f16 v52, v96;
	;;#ASMEND
	;;#ASMSTART
	v_cvt_f32_f16 v53, v95;
	;;#ASMEND
	ds_read_b64 v[44:45], v58 offset:64
	s_waitcnt vmcnt(15)
	v_lshrrev_b32_e32 v97, 16, v38
	v_fmac_f32_e32 v41, v46, v50
	v_and_b32_e32 v38, 0xffff, v38
	v_fmac_f32_e32 v43, v47, v53
	s_waitcnt lgkmcnt(0)
	v_lshrrev_b32_e32 v46, 16, v44
	v_and_b32_e32 v44, 0xffff, v44
	;;#ASMSTART
	v_cvt_f32_f16 v44, v44;
	;;#ASMEND
	;;#ASMSTART
	v_cvt_f32_f16 v46, v46;
	;;#ASMEND
	;; [unrolled: 3-line block ×3, first 2 shown]
	v_lshrrev_b32_e32 v38, 16, v45
	v_and_b32_e32 v45, 0xffff, v45
	v_fmac_f32_e32 v40, v48, v49
	;;#ASMSTART
	v_cvt_f32_f16 v48, v97;
	;;#ASMEND
	;;#ASMSTART
	v_cvt_f32_f16 v45, v45;
	;;#ASMEND
	;;#ASMSTART
	v_cvt_f32_f16 v49, v38;
	;;#ASMEND
	v_lshrrev_b32_e32 v38, 16, v39
	v_and_b32_e32 v39, 0xffff, v39
	v_fmac_f32_e32 v42, v51, v52
	;;#ASMSTART
	v_cvt_f32_f16 v50, v39;
	;;#ASMEND
	;;#ASMSTART
	v_cvt_f32_f16 v51, v38;
	;;#ASMEND
	ds_read_b64 v[38:39], v58 offset:72
	v_fmac_f32_e32 v40, v44, v47
	v_fmac_f32_e32 v42, v45, v50
	s_waitcnt vmcnt(11)
	v_lshrrev_b32_e32 v45, 16, v36
	v_and_b32_e32 v36, 0xffff, v36
	s_waitcnt lgkmcnt(0)
	v_lshrrev_b32_e32 v44, 16, v38
	v_and_b32_e32 v38, 0xffff, v38
	v_fmac_f32_e32 v41, v46, v48
	;;#ASMSTART
	v_cvt_f32_f16 v38, v38;
	;;#ASMEND
	;;#ASMSTART
	v_cvt_f32_f16 v44, v44;
	;;#ASMEND
	;;#ASMSTART
	v_cvt_f32_f16 v46, v36;
	;;#ASMEND
	v_lshrrev_b32_e32 v36, 16, v39
	v_and_b32_e32 v39, 0xffff, v39
	;;#ASMSTART
	v_cvt_f32_f16 v45, v45;
	;;#ASMEND
	;;#ASMSTART
	v_cvt_f32_f16 v39, v39;
	;;#ASMEND
	;;#ASMSTART
	v_cvt_f32_f16 v47, v36;
	;;#ASMEND
	v_lshrrev_b32_e32 v36, 16, v37
	v_and_b32_e32 v37, 0xffff, v37
	v_fmac_f32_e32 v43, v49, v51
	;;#ASMSTART
	v_cvt_f32_f16 v48, v37;
	;;#ASMEND
	;;#ASMSTART
	v_cvt_f32_f16 v49, v36;
	;;#ASMEND
	ds_read_b64 v[36:37], v58 offset:80
	v_fmac_f32_e32 v40, v38, v46
	v_fmac_f32_e32 v42, v39, v48
	s_waitcnt vmcnt(10)
	v_lshrrev_b32_e32 v39, 16, v34
	v_and_b32_e32 v34, 0xffff, v34
	s_waitcnt lgkmcnt(0)
	v_lshrrev_b32_e32 v38, 16, v36
	v_and_b32_e32 v36, 0xffff, v36
	v_fmac_f32_e32 v41, v44, v45
	;;#ASMSTART
	v_cvt_f32_f16 v36, v36;
	;;#ASMEND
	;;#ASMSTART
	v_cvt_f32_f16 v38, v38;
	;;#ASMEND
	;;#ASMSTART
	v_cvt_f32_f16 v44, v34;
	;;#ASMEND
	v_lshrrev_b32_e32 v34, 16, v37
	v_and_b32_e32 v37, 0xffff, v37
	;; [unrolled: 39-line block ×4, first 2 shown]
	;;#ASMSTART
	v_cvt_f32_f16 v35, v35;
	;;#ASMEND
	;;#ASMSTART
	v_cvt_f32_f16 v33, v33;
	;;#ASMEND
	;;#ASMSTART
	v_cvt_f32_f16 v37, v30;
	;;#ASMEND
	v_lshrrev_b32_e32 v30, 16, v31
	v_and_b32_e32 v31, 0xffff, v31
	v_fmac_f32_e32 v43, v39, v45
	;;#ASMSTART
	v_cvt_f32_f16 v38, v31;
	;;#ASMEND
	;;#ASMSTART
	v_cvt_f32_f16 v39, v30;
	;;#ASMEND
	ds_read_b64 v[30:31], v58 offset:104
	v_fmac_f32_e32 v40, v32, v36
	v_fmac_f32_e32 v42, v33, v38
	v_lshrrev_b32_e32 v33, 16, v28
	v_and_b32_e32 v28, 0xffff, v28
	s_waitcnt lgkmcnt(0)
	v_lshrrev_b32_e32 v32, 16, v30
	v_and_b32_e32 v30, 0xffff, v30
	v_fmac_f32_e32 v41, v34, v35
	;;#ASMSTART
	v_cvt_f32_f16 v30, v30;
	;;#ASMEND
	;;#ASMSTART
	v_cvt_f32_f16 v32, v32;
	;;#ASMEND
	;;#ASMSTART
	v_cvt_f32_f16 v34, v28;
	;;#ASMEND
	v_lshrrev_b32_e32 v28, 16, v31
	v_and_b32_e32 v31, 0xffff, v31
	;;#ASMSTART
	v_cvt_f32_f16 v33, v33;
	;;#ASMEND
	;;#ASMSTART
	v_cvt_f32_f16 v31, v31;
	;;#ASMEND
	;;#ASMSTART
	v_cvt_f32_f16 v35, v28;
	;;#ASMEND
	v_lshrrev_b32_e32 v28, 16, v29
	v_and_b32_e32 v29, 0xffff, v29
	v_fmac_f32_e32 v43, v37, v39
	;;#ASMSTART
	v_cvt_f32_f16 v36, v29;
	;;#ASMEND
	;;#ASMSTART
	v_cvt_f32_f16 v37, v28;
	;;#ASMEND
	ds_read_b64 v[28:29], v58 offset:112
	v_fmac_f32_e32 v40, v30, v34
	v_fmac_f32_e32 v42, v31, v36
	v_lshrrev_b32_e32 v31, 16, v26
	v_and_b32_e32 v26, 0xffff, v26
	s_waitcnt lgkmcnt(0)
	v_lshrrev_b32_e32 v30, 16, v28
	v_and_b32_e32 v28, 0xffff, v28
	v_fmac_f32_e32 v41, v32, v33
	;;#ASMSTART
	v_cvt_f32_f16 v28, v28;
	;;#ASMEND
	;;#ASMSTART
	v_cvt_f32_f16 v30, v30;
	;;#ASMEND
	;;#ASMSTART
	v_cvt_f32_f16 v32, v26;
	;;#ASMEND
	v_lshrrev_b32_e32 v26, 16, v29
	v_and_b32_e32 v29, 0xffff, v29
	;; [unrolled: 38-line block ×3, first 2 shown]
	;;#ASMSTART
	v_cvt_f32_f16 v29, v29;
	;;#ASMEND
	;;#ASMSTART
	v_cvt_f32_f16 v27, v27;
	;;#ASMEND
	;;#ASMSTART
	v_cvt_f32_f16 v31, v24;
	;;#ASMEND
	v_lshrrev_b32_e32 v24, 16, v25
	v_and_b32_e32 v25, 0xffff, v25
	v_fmac_f32_e32 v43, v33, v35
	;;#ASMSTART
	v_cvt_f32_f16 v32, v25;
	;;#ASMEND
	;;#ASMSTART
	v_cvt_f32_f16 v33, v24;
	;;#ASMEND
	ds_read_b64 v[24:25], v58 offset:128
	v_fmac_f32_e32 v40, v26, v30
	v_fmac_f32_e32 v42, v27, v32
	s_waitcnt vmcnt(7)
	v_lshrrev_b32_e32 v27, 16, v22
	v_and_b32_e32 v22, 0xffff, v22
	s_waitcnt lgkmcnt(0)
	v_lshrrev_b32_e32 v26, 16, v24
	v_and_b32_e32 v24, 0xffff, v24
	v_fmac_f32_e32 v41, v28, v29
	;;#ASMSTART
	v_cvt_f32_f16 v24, v24;
	;;#ASMEND
	;;#ASMSTART
	v_cvt_f32_f16 v26, v26;
	;;#ASMEND
	;;#ASMSTART
	v_cvt_f32_f16 v28, v22;
	;;#ASMEND
	v_lshrrev_b32_e32 v22, 16, v25
	v_and_b32_e32 v25, 0xffff, v25
	;;#ASMSTART
	v_cvt_f32_f16 v27, v27;
	;;#ASMEND
	;;#ASMSTART
	v_cvt_f32_f16 v25, v25;
	;;#ASMEND
	;;#ASMSTART
	v_cvt_f32_f16 v29, v22;
	;;#ASMEND
	v_lshrrev_b32_e32 v22, 16, v23
	v_and_b32_e32 v23, 0xffff, v23
	v_fmac_f32_e32 v43, v31, v33
	;;#ASMSTART
	v_cvt_f32_f16 v30, v23;
	;;#ASMEND
	;;#ASMSTART
	v_cvt_f32_f16 v31, v22;
	;;#ASMEND
	ds_read_b64 v[22:23], v58 offset:136
	v_fmac_f32_e32 v40, v24, v28
	v_fmac_f32_e32 v42, v25, v30
	s_waitcnt vmcnt(6)
	v_lshrrev_b32_e32 v25, 16, v20
	v_and_b32_e32 v20, 0xffff, v20
	s_waitcnt lgkmcnt(0)
	v_lshrrev_b32_e32 v24, 16, v22
	v_and_b32_e32 v22, 0xffff, v22
	v_fmac_f32_e32 v41, v26, v27
	;;#ASMSTART
	v_cvt_f32_f16 v22, v22;
	;;#ASMEND
	;;#ASMSTART
	v_cvt_f32_f16 v24, v24;
	;;#ASMEND
	;;#ASMSTART
	v_cvt_f32_f16 v26, v20;
	;;#ASMEND
	v_lshrrev_b32_e32 v20, 16, v23
	v_and_b32_e32 v23, 0xffff, v23
	;; [unrolled: 39-line block ×7, first 2 shown]
	;;#ASMSTART
	v_cvt_f32_f16 v15, v15;
	;;#ASMEND
	;;#ASMSTART
	v_cvt_f32_f16 v13, v13;
	;;#ASMEND
	;; [unrolled: 3-line block ×3, first 2 shown]
	v_lshrrev_b32_e32 v10, 16, v11
	v_and_b32_e32 v11, 0xffff, v11
	v_fmac_f32_e32 v43, v19, v21
	;;#ASMSTART
	v_cvt_f32_f16 v18, v11;
	;;#ASMEND
	;;#ASMSTART
	v_cvt_f32_f16 v19, v10;
	;;#ASMEND
	ds_read_b64 v[10:11], v58 offset:184
	v_fmac_f32_e32 v40, v12, v16
	v_fmac_f32_e32 v42, v13, v18
	s_waitcnt vmcnt(0)
	v_lshrrev_b32_e32 v13, 16, v8
	v_and_b32_e32 v8, 0xffff, v8
	s_waitcnt lgkmcnt(0)
	v_lshrrev_b32_e32 v12, 16, v10
	v_and_b32_e32 v10, 0xffff, v10
	;;#ASMSTART
	v_cvt_f32_f16 v10, v10;
	;;#ASMEND
	;;#ASMSTART
	v_cvt_f32_f16 v12, v12;
	;;#ASMEND
	;; [unrolled: 3-line block ×3, first 2 shown]
	v_fmac_f32_e32 v41, v14, v15
	v_fmac_f32_e32 v40, v10, v8
	v_lshrrev_b32_e32 v8, 16, v11
	v_and_b32_e32 v10, 0xffff, v11
	v_fmac_f32_e32 v43, v17, v19
	;;#ASMSTART
	v_cvt_f32_f16 v13, v13;
	;;#ASMEND
	;;#ASMSTART
	v_cvt_f32_f16 v10, v10;
	;;#ASMEND
	;; [unrolled: 3-line block ×3, first 2 shown]
	v_lshrrev_b32_e32 v11, 16, v9
	v_fmac_f32_e32 v41, v12, v13
	v_and_b32_e32 v9, 0xffff, v9
	;;#ASMSTART
	v_cvt_f32_f16 v9, v9;
	;;#ASMEND
	;;#ASMSTART
	v_cvt_f32_f16 v11, v11;
	;;#ASMEND
	s_nop 0
	v_fmac_f32_e32 v42, v10, v9
	v_fmac_f32_e32 v43, v8, v11
	v_add_f32_e32 v8, v40, v41
	v_add_f32_e32 v8, v8, v42
	v_cndmask_b32_e32 v9, v65, v66, vcc
	v_add_f32_e32 v8, v43, v8
	v_lshlrev_b32_e32 v9, 2, v9
	ds_bpermute_b32 v9, v9, v8
	s_and_saveexec_b64 s[0:1], s[6:7]
	s_cbranch_execz .LBB115_12
; %bb.18:                               ;   in Loop: Header=BB115_14 Depth=1
	v_add_u32_e32 v10, v63, v61
	v_cvt_f32_i32_e32 v10, v10
	s_waitcnt lgkmcnt(0)
	v_add_f32_e32 v8, v8, v9
	v_add_u32_e32 v11, v57, v61
	v_cmp_gt_i32_e32 vcc, s29, v11
	v_mul_f32_e32 v9, s3, v10
	v_cndmask_b32_e64 v9, 0, v9, s[8:9]
	v_fmac_f32_e32 v9, s39, v8
	v_cndmask_b32_e32 v8, 0, v9, vcc
	ds_write_b32 v62, v8
	v_max_f32_e32 v8, v59, v59
	v_max_f32_e32 v8, v8, v9
	v_cndmask_b32_e32 v59, v59, v8, vcc
	s_branch .LBB115_12
.LBB115_19:
	s_or_b64 exec, exec, s[42:43]
.LBB115_20:
	s_or_b64 exec, exec, s[40:41]
	v_mbcnt_hi_u32_b32 v4, -1, v56
	v_and_b32_e32 v2, 64, v4
	v_add_u32_e32 v11, 64, v2
	v_xor_b32_e32 v2, 32, v4
	v_cmp_lt_i32_e32 vcc, v2, v11
	v_xor_b32_e32 v8, 16, v4
	v_max_f32_e32 v5, v59, v59
	v_cndmask_b32_e32 v2, v4, v2, vcc
	v_lshlrev_b32_e32 v2, 2, v2
	ds_bpermute_b32 v3, v2, v59
	v_cmp_lt_i32_e32 vcc, v8, v11
	s_waitcnt lgkmcnt(1)
	v_xor_b32_e32 v9, 8, v4
	v_xor_b32_e32 v10, 4, v4
	v_xor_b32_e32 v12, 2, v4
	s_waitcnt lgkmcnt(0)
	v_max_f32_e32 v3, v3, v3
	v_max_f32_e32 v5, v5, v3
	v_cndmask_b32_e32 v3, v4, v8, vcc
	v_lshlrev_b32_e32 v3, 2, v3
	ds_bpermute_b32 v8, v3, v5
	v_cmp_lt_i32_e32 vcc, v9, v11
	v_and_b32_e32 v44, 63, v0
	s_waitcnt lgkmcnt(0)
	v_max_f32_e32 v8, v8, v8
	v_max_f32_e32 v8, v5, v8
	v_cndmask_b32_e32 v5, v4, v9, vcc
	v_lshlrev_b32_e32 v5, 2, v5
	ds_bpermute_b32 v9, v5, v8
	v_cmp_lt_i32_e32 vcc, v10, v11
	s_waitcnt lgkmcnt(0)
	v_max_f32_e32 v9, v9, v9
	v_max_f32_e32 v9, v8, v9
	v_cndmask_b32_e32 v8, v4, v10, vcc
	v_lshlrev_b32_e32 v8, 2, v8
	ds_bpermute_b32 v10, v8, v9
	v_cmp_lt_i32_e32 vcc, v12, v11
	s_waitcnt lgkmcnt(0)
	v_max_f32_e32 v10, v10, v10
	v_max_f32_e32 v10, v9, v10
	v_cndmask_b32_e32 v9, v4, v12, vcc
	v_lshlrev_b32_e32 v45, 2, v9
	ds_bpermute_b32 v12, v45, v10
	v_cmp_eq_u32_e32 vcc, 0, v44
	v_lshlrev_b32_e32 v9, 2, v55
	s_and_saveexec_b64 s[0:1], vcc
	s_cbranch_execz .LBB115_22
; %bb.21:
	s_waitcnt lgkmcnt(0)
	v_max_f32_e32 v12, v12, v12
	v_max_f32_e32 v10, v10, v10
	;; [unrolled: 1-line block ×3, first 2 shown]
	ds_write_b32 v9, v10 offset:384
.LBB115_22:
	s_or_b64 exec, exec, s[0:1]
	v_cmp_gt_u32_e64 s[0:1], 2, v44
	s_waitcnt lgkmcnt(0)
	v_mov_b32_e32 v12, 0xff7fffff
	v_lshlrev_b32_e32 v10, 2, v44
	s_barrier
	s_and_saveexec_b64 s[6:7], s[0:1]
	s_cbranch_execz .LBB115_24
; %bb.23:
	ds_read_b32 v12, v10 offset:384
.LBB115_24:
	s_or_b64 exec, exec, s[6:7]
	v_xor_b32_e32 v13, 1, v4
	v_cmp_lt_i32_e64 s[6:7], v13, v11
	s_sub_i32 s3, s47, s38
	s_lshl_b32 s3, s3, 5
	v_cndmask_b32_e64 v11, v4, v13, s[6:7]
	v_lshlrev_b32_e32 v46, 2, v11
	s_waitcnt lgkmcnt(0)
	ds_bpermute_b32 v11, v46, v12
	v_max_f32_e32 v12, v12, v12
	v_lshlrev_b32_e32 v4, 2, v4
	s_add_i32 s3, s3, s49
	s_min_i32 s15, s3, s29
	s_waitcnt lgkmcnt(0)
	v_max_f32_e32 v11, v11, v11
	v_max_f32_e32 v12, v12, v11
	v_and_b32_e32 v11, 0x100, v4
	ds_bpermute_b32 v4, v11, v12
	s_sub_i32 s3, s15, s49
	v_cmp_gt_i32_e64 s[6:7], s3, v0
	v_mov_b32_e32 v12, 0
	s_and_saveexec_b64 s[38:39], s[6:7]
	s_cbranch_execz .LBB115_28
; %bb.25:
	v_mov_b32_e32 v12, 0x190
	v_lshl_add_u32 v13, v0, 2, v12
	s_mov_b64 s[40:41], 0
	v_mov_b32_e32 v12, 0
	v_mov_b32_e32 v14, v0
.LBB115_26:                             ; =>This Inner Loop Header: Depth=1
	ds_read_b32 v15, v13
	v_add_u32_e32 v14, 0x80, v14
	v_cmp_le_i32_e64 s[8:9], s3, v14
	s_or_b64 s[40:41], s[8:9], s[40:41]
	s_waitcnt lgkmcnt(0)
	v_sub_f32_e32 v15, v15, v4
	v_mul_f32_e32 v15, 0x3fb8aa3b, v15
	v_exp_f32_e32 v15, v15
	ds_write_b32 v13, v15
	v_add_f32_e32 v12, v12, v15
	v_add_u32_e32 v13, 0x200, v13
	s_andn2_b64 exec, exec, s[40:41]
	s_cbranch_execnz .LBB115_26
; %bb.27:
	s_or_b64 exec, exec, s[40:41]
.LBB115_28:
	s_or_b64 exec, exec, s[38:39]
	ds_bpermute_b32 v2, v2, v12
	s_waitcnt lgkmcnt(0)
	v_add_f32_e32 v2, v12, v2
	ds_bpermute_b32 v3, v3, v2
	s_waitcnt lgkmcnt(0)
	v_add_f32_e32 v2, v2, v3
	;; [unrolled: 3-line block ×6, first 2 shown]
	s_and_saveexec_b64 s[8:9], vcc
	s_cbranch_execz .LBB115_30
; %bb.29:
	ds_write_b32 v9, v2 offset:392
.LBB115_30:
	s_or_b64 exec, exec, s[8:9]
	s_waitcnt lgkmcnt(0)
	s_barrier
	s_and_saveexec_b64 s[8:9], s[0:1]
	s_cbranch_execz .LBB115_32
; %bb.31:
	ds_read_b32 v2, v10 offset:392
.LBB115_32:
	s_or_b64 exec, exec, s[8:9]
	s_waitcnt lgkmcnt(0)
	ds_bpermute_b32 v3, v46, v2
	s_waitcnt lgkmcnt(0)
	v_add_f32_e32 v2, v2, v3
	ds_bpermute_b32 v5, v11, v2
	s_and_saveexec_b64 s[0:1], s[6:7]
	s_cbranch_execz .LBB115_45
; %bb.33:
	s_waitcnt lgkmcnt(0)
	v_add_f32_e32 v2, 0x358637bd, v5
	v_div_scale_f32 v3, s[6:7], v2, v2, 1.0
	v_rcp_f32_e32 v8, v3
	v_div_scale_f32 v9, vcc, 1.0, v2, 1.0
	s_movk_i32 s6, 0x7f
	v_fma_f32 v10, -v3, v8, 1.0
	v_fmac_f32_e32 v8, v10, v8
	v_mul_f32_e32 v10, v9, v8
	v_fma_f32 v11, -v3, v10, v9
	v_fmac_f32_e32 v10, v11, v8
	v_fma_f32 v3, -v3, v10, v9
	v_div_fmas_f32 v3, v3, v8, v10
	v_div_fixup_f32 v2, v3, v2, 1.0
	v_xad_u32 v3, v0, -1, s15
	v_subrev_u32_e32 v8, s49, v3
	v_cmp_lt_u32_e32 vcc, s6, v8
	s_mov_b64 s[8:9], -1
	v_mov_b32_e32 v3, v0
	s_and_saveexec_b64 s[6:7], vcc
	s_cbranch_execz .LBB115_42
; %bb.34:
	v_lshrrev_b32_e32 v8, 7, v8
	v_add_u32_e32 v10, -1, v8
	v_lshrrev_b32_e32 v9, 1, v10
	v_mov_b32_e32 v3, v2
	v_add_u32_e32 v9, 1, v9
	v_cmp_lt_u32_e32 vcc, 13, v10
	v_mov_b32_e32 v12, 0
	s_and_saveexec_b64 s[8:9], vcc
	s_cbranch_execz .LBB115_38
; %bb.35:
	v_mov_b32_e32 v11, 0x190
	v_and_b32_e32 v10, -8, v9
	v_lshl_add_u32 v11, v0, 2, v11
	s_mov_b32 s15, 0
	s_mov_b64 s[38:39], 0
.LBB115_36:                             ; =>This Inner Loop Header: Depth=1
	ds_read2st64_b32 v[12:13], v11 offset1:2
	ds_read2st64_b32 v[14:15], v11 offset0:4 offset1:6
	ds_read2st64_b32 v[16:17], v11 offset0:8 offset1:10
	;; [unrolled: 1-line block ×3, first 2 shown]
	v_add_u32_e32 v10, -8, v10
	s_waitcnt lgkmcnt(3)
	v_pk_mul_f32 v[12:13], v[2:3], v[12:13]
	s_waitcnt lgkmcnt(2)
	v_pk_mul_f32 v[14:15], v[2:3], v[14:15]
	ds_write2st64_b32 v11, v12, v13 offset1:2
	ds_write2st64_b32 v11, v14, v15 offset0:4 offset1:6
	ds_read2st64_b32 v[14:15], v11 offset0:16 offset1:18
	s_waitcnt lgkmcnt(4)
	v_pk_mul_f32 v[12:13], v[2:3], v[16:17]
	ds_write2st64_b32 v11, v12, v13 offset0:8 offset1:10
	s_waitcnt lgkmcnt(4)
	v_pk_mul_f32 v[12:13], v[2:3], v[18:19]
	ds_write2st64_b32 v11, v12, v13 offset0:12 offset1:14
	ds_read2st64_b32 v[12:13], v11 offset0:20 offset1:22
	s_waitcnt lgkmcnt(3)
	v_pk_mul_f32 v[14:15], v[2:3], v[14:15]
	ds_read2st64_b32 v[16:17], v11 offset0:24 offset1:26
	ds_write2st64_b32 v11, v14, v15 offset0:16 offset1:18
	ds_read2st64_b32 v[14:15], v11 offset0:28 offset1:30
	s_waitcnt lgkmcnt(3)
	v_pk_mul_f32 v[12:13], v[2:3], v[12:13]
	ds_write2st64_b32 v11, v12, v13 offset0:20 offset1:22
	s_waitcnt lgkmcnt(3)
	v_pk_mul_f32 v[12:13], v[2:3], v[16:17]
	ds_write2st64_b32 v11, v12, v13 offset0:24 offset1:26
	s_waitcnt lgkmcnt(2)
	v_pk_mul_f32 v[12:13], v[2:3], v[14:15]
	s_add_i32 s15, s15, 16
	v_cmp_eq_u32_e32 vcc, 0, v10
	ds_write2st64_b32 v11, v12, v13 offset0:28 offset1:30
	v_add_u32_e32 v11, 0x2000, v11
	s_or_b64 s[38:39], vcc, s[38:39]
	v_mov_b32_e32 v12, s15
	s_andn2_b64 exec, exec, s[38:39]
	s_cbranch_execnz .LBB115_36
; %bb.37:
	s_or_b64 exec, exec, s[38:39]
.LBB115_38:
	s_or_b64 exec, exec, s[8:9]
	v_and_b32_e32 v9, 7, v9
	v_cmp_ne_u32_e32 vcc, 0, v9
	s_and_saveexec_b64 s[8:9], vcc
	s_cbranch_execz .LBB115_41
; %bb.39:
	v_lshlrev_b32_e32 v10, 9, v12
	v_lshlrev_b32_e32 v11, 2, v0
	s_movk_i32 s15, 0x190
	v_add3_u32 v10, v10, v11, s15
	s_mov_b64 s[38:39], 0
.LBB115_40:                             ; =>This Inner Loop Header: Depth=1
	ds_read2st64_b32 v[12:13], v10 offset1:2
	v_add_u32_e32 v9, -1, v9
	v_cmp_eq_u32_e32 vcc, 0, v9
	s_or_b64 s[38:39], vcc, s[38:39]
	s_waitcnt lgkmcnt(0)
	v_pk_mul_f32 v[12:13], v[2:3], v[12:13]
	ds_write2st64_b32 v10, v12, v13 offset1:2
	v_add_u32_e32 v10, 0x400, v10
	s_andn2_b64 exec, exec, s[38:39]
	s_cbranch_execnz .LBB115_40
.LBB115_41:
	s_or_b64 exec, exec, s[8:9]
	v_add_u32_e32 v8, 1, v8
	v_and_b32_e32 v9, 0x3fffffe, v8
	v_cmp_ne_u32_e32 vcc, v8, v9
	v_lshl_add_u32 v3, v9, 7, v0
	s_orn2_b64 s[8:9], vcc, exec
.LBB115_42:
	s_or_b64 exec, exec, s[6:7]
	s_and_b64 exec, exec, s[8:9]
	s_cbranch_execz .LBB115_45
; %bb.43:
	v_mov_b32_e32 v8, 0x190
	v_lshl_add_u32 v8, v3, 2, v8
	s_mov_b64 s[6:7], 0
.LBB115_44:                             ; =>This Inner Loop Header: Depth=1
	ds_read_b32 v9, v8
	v_add_u32_e32 v3, 0x80, v3
	v_cmp_le_i32_e32 vcc, s3, v3
	s_or_b64 s[6:7], vcc, s[6:7]
	s_waitcnt lgkmcnt(0)
	v_mul_f32_e32 v9, v2, v9
	ds_write_b32 v8, v9
	v_add_u32_e32 v8, 0x200, v8
	s_andn2_b64 exec, exec, s[6:7]
	s_cbranch_execnz .LBB115_44
.LBB115_45:
	s_or_b64 exec, exec, s[0:1]
	s_mul_i32 s0, s16, s28
	v_cmp_eq_u32_e32 vcc, 0, v0
	s_mul_i32 s6, s0, s5
	s_waitcnt lgkmcnt(0)
	s_barrier
	s_and_saveexec_b64 s[0:1], vcc
	s_cbranch_execz .LBB115_47
; %bb.46:
	s_ashr_i32 s7, s6, 31
	s_lshl_b64 s[8:9], s[6:7], 2
	s_add_u32 s5, s22, s8
	s_mul_i32 s2, s16, s2
	s_addc_u32 s7, s23, s9
	s_ashr_i32 s3, s2, 31
	s_lshl_b64 s[2:3], s[2:3], 2
	s_add_u32 s15, s5, s2
	s_addc_u32 s7, s7, s3
	s_ashr_i32 s5, s4, 31
	s_lshl_b64 s[22:23], s[4:5], 2
	s_add_u32 s38, s15, s22
	s_addc_u32 s39, s7, s23
	s_add_u32 s5, s20, s8
	s_addc_u32 s7, s21, s9
	;; [unrolled: 2-line block ×3, first 2 shown]
	s_add_u32 s2, s2, s22
	v_mov_b32_e32 v2, 0
	s_addc_u32 s3, s3, s23
	global_store_dword v2, v4, s[38:39]
	global_store_dword v2, v5, s[2:3]
.LBB115_47:
	s_or_b64 exec, exec, s[0:1]
	v_mov_b32_e32 v9, 0
	v_and_b32_e32 v47, 3, v0
	v_mov_b32_e32 v8, 0
	v_mov_b32_e32 v11, 0
	;; [unrolled: 1-line block ×11, first 2 shown]
	s_and_saveexec_b64 s[2:3], s[10:11]
	s_cbranch_execz .LBB115_77
; %bb.48:
	s_ashr_i32 s15, s14, 31
	s_sub_i32 s5, s48, s17
	s_lshl_b64 s[0:1], s[14:15], 1
	s_add_u32 s8, s36, s0
	s_addc_u32 s9, s37, s1
	s_abs_i32 s18, s18
	v_cvt_f32_u32_e32 v3, s18
	s_sub_i32 s0, 0, s18
	s_add_i32 s17, s12, -1
	v_and_b32_e32 v2, 0x1f8, v54
	v_rcp_iflag_f32_e32 v3, v3
	v_mov_b32_e32 v19, 0
	v_or_b32_e32 v4, 0x800, v2
	v_or_b32_e32 v8, 0xa00, v2
	v_mul_f32_e32 v3, 0x4f7ffffe, v3
	v_cvt_u32_f32_e32 v3, v3
	v_or_b32_e32 v10, 0xc00, v2
	v_or_b32_e32 v12, 0xe00, v2
	;; [unrolled: 1-line block ×3, first 2 shown]
	v_mul_lo_u32 v5, s0, v3
	v_mul_hi_u32 v5, v3, v5
	s_lshl_b64 s[0:1], s[34:35], 2
	v_add_u32_e32 v49, v3, v5
	s_add_u32 s0, s30, s0
	v_lshlrev_b32_e32 v3, 5, v47
	v_or_b32_e32 v16, 0x1200, v2
	v_or_b32_e32 v20, 0x1400, v2
	;; [unrolled: 1-line block ×3, first 2 shown]
	s_addc_u32 s1, s31, s1
	v_lshl_or_b32 v3, v55, 7, v3
	v_and_b32_e32 v48, 24, v54
	s_mov_b32 s7, s13
	s_mov_b32 s20, s29
	;; [unrolled: 1-line block ×8, first 2 shown]
	v_lshl_add_u64 v[22:23], v[6:7], 2, s[0:1]
	v_add_u32_e32 v7, 0x190, v3
	s_mov_b64 s[10:11], 0
	v_lshlrev_b32_e32 v24, 1, v2
	s_mov_b32 s30, 0x5040100
	v_lshlrev_b32_e32 v18, 1, v4
	v_lshlrev_b32_e32 v26, 1, v8
	;; [unrolled: 1-line block ×8, first 2 shown]
	v_mov_b32_e32 v20, v19
	v_mov_b32_e32 v21, v19
	v_mov_b32_e32 v16, v19
	v_mov_b32_e32 v17, v19
	v_mov_b32_e32 v14, v19
	v_mov_b32_e32 v15, v19
	v_mov_b32_e32 v12, v19
	v_mov_b32_e32 v13, v19
	v_mov_b32_e32 v10, v19
	v_mov_b32_e32 v11, v19
	v_mov_b32_e32 v8, v19
	v_mov_b32_e32 v9, v19
	s_branch .LBB115_51
.LBB115_49:                             ;   in Loop: Header=BB115_51 Depth=1
	s_or_b64 exec, exec, s[0:1]
	v_add_f32_e32 v25, v37, v74
	v_add_f32_e32 v8, v8, v25
	;; [unrolled: 1-line block ×9, first 2 shown]
	s_waitcnt vmcnt(0)
	;;#ASMSTART
	v_pk_mul_f16 v2, v58, v2;

	;;#ASMEND
	v_add_f32_e32 v12, v12, v25
	v_add_f32_e32 v25, v27, v69
	;;#ASMSTART
	v_pk_mul_f16 v3, v57, v3;

	;;#ASMEND
	;;#ASMSTART
	v_pk_mul_f16 v4, v56, v4;

	;;#ASMEND
	;; [unrolled: 4-line block ×3, first 2 shown]
	v_add_f32_e32 v15, v15, v25
	;;#ASMSTART
	v_pk_add_f16 v2, v2, v3;

	;;#ASMEND
	v_add_f32_e32 v25, v67, v68
	;;#ASMSTART
	v_pk_add_f16 v2, v2, v4;

	;;#ASMEND
	v_add_f32_e32 v14, v14, v25
	v_add_f32_e32 v25, v42, v43
	;;#ASMSTART
	v_pk_add_f16 v2, v2, v5;

	;;#ASMEND
	v_add_f32_e32 v17, v17, v25
	v_add_f32_e32 v25, v65, v66
	v_lshrrev_b32_e32 v3, 16, v2
	v_and_b32_e32 v2, 0xffff, v2
	v_add_f32_e32 v16, v16, v25
	v_add_f32_e32 v25, v63, v64
	;;#ASMSTART
	v_cvt_f32_f16 v2, v2;
	;;#ASMEND
	v_add_f32_e32 v21, v21, v25
	v_add_f32_e32 v25, v61, v62
	;;#ASMSTART
	v_cvt_f32_f16 v3, v3;
	;;#ASMEND
	v_add_f32_e32 v20, v20, v25
	v_add_f32_e32 v2, v2, v3
	v_add_f32_e32 v9, v9, v2
.LBB115_50:                             ;   in Loop: Header=BB115_51 Depth=1
	s_or_b64 exec, exec, s[12:13]
	v_add_u32_e32 v6, 2, v6
	v_cmp_le_i32_e32 vcc, s47, v6
	v_lshl_add_u64 v[22:23], v[22:23], 0, 8
	v_add_u32_e32 v1, 64, v1
	s_or_b64 s[10:11], vcc, s[10:11]
	v_add_u32_e32 v7, 0x100, v7
	s_andn2_b64 exec, exec, s[10:11]
	s_cbranch_execz .LBB115_76
.LBB115_51:                             ; =>This Inner Loop Header: Depth=1
	v_sub_u32_e32 v3, 0, v1
	v_max_i32_e32 v3, v1, v3
	v_mul_hi_u32 v4, v3, s33
	v_mul_lo_u32 v5, v4, s25
	v_sub_u32_e32 v3, v3, v5
	v_add_u32_e32 v5, 1, v4
	v_cmp_le_u32_e32 vcc, s25, v3
	v_ashrrev_i32_e32 v2, 31, v1
	v_xor_b32_e32 v2, s19, v2
	v_cndmask_b32_e32 v4, v4, v5, vcc
	v_subrev_u32_e32 v5, s25, v3
	v_cndmask_b32_e32 v3, v3, v5, vcc
	v_add_u32_e32 v5, 1, v4
	v_cmp_le_u32_e32 vcc, s25, v3
	s_nop 1
	v_cndmask_b32_e32 v3, v4, v5, vcc
	v_xor_b32_e32 v3, v3, v2
	v_sub_u32_e32 v2, v3, v2
	v_add_u32_e32 v3, s46, v2
	v_sub_u32_e32 v5, 0, v3
	v_ashrrev_i32_e32 v4, 31, v3
	v_max_i32_e32 v3, v3, v5
	v_mul_hi_u32 v5, v3, v49
	v_mul_lo_u32 v5, v5, s18
	v_sub_u32_e32 v3, v3, v5
	v_subrev_u32_e32 v5, s18, v3
	v_cmp_le_u32_e32 vcc, s18, v3
	v_cmp_lt_i32_e64 s[0:1], s5, v2
	s_nop 0
	v_cndmask_b32_e32 v3, v3, v5, vcc
	v_subrev_u32_e32 v5, s18, v3
	v_cmp_le_u32_e32 vcc, s18, v3
	s_nop 1
	v_cndmask_b32_e32 v3, v3, v5, vcc
	v_xor_b32_e32 v3, v3, v4
	v_sub_u32_e32 v3, v3, v4
	v_cmp_eq_u32_e32 vcc, 0, v3
	s_or_b64 s[0:1], vcc, s[0:1]
	s_and_saveexec_b64 s[12:13], s[0:1]
	s_cbranch_execz .LBB115_50
; %bb.52:                               ;   in Loop: Header=BB115_51 Depth=1
	global_load_dword v25, v[22:23], off
	ds_read2_b64 v[2:5], v7 offset1:1
	ds_read2_b64 v[40:43], v7 offset0:2 offset1:3
	v_cmp_eq_u32_e32 vcc, s17, v6
	s_waitcnt lgkmcnt(1)
	;;#ASMSTART
	v_cvt_f16_f32 v27, v2;

	;;#ASMEND
	;;#ASMSTART
	v_cvt_f16_f32 v29, v3;

	;;#ASMEND
	;; [unrolled: 4-line block ×4, first 2 shown]
	s_waitcnt lgkmcnt(0)
	;;#ASMSTART
	v_cvt_f16_f32 v35, v40;

	;;#ASMEND
	;;#ASMSTART
	v_cvt_f16_f32 v37, v41;

	;;#ASMEND
	;; [unrolled: 4-line block ×4, first 2 shown]
	s_waitcnt vmcnt(0)
	v_mad_i64_i32 v[2:3], s[0:1], v25, s7, 0
	v_lshl_add_u64 v[40:41], v[2:3], 1, s[8:9]
	v_mov_b32_e32 v25, v19
	v_lshl_add_u64 v[42:43], v[40:41], 0, v[24:25]
	global_load_dwordx4 v[2:5], v[42:43], off
	v_add_u32_e32 v25, v48, v1
	v_add_u32_e32 v50, 1, v25
	v_or_b32_e32 v52, 3, v25
	v_or_b32_e32 v51, 2, v25
	;; [unrolled: 1-line block ×6, first 2 shown]
	s_and_saveexec_b64 s[14:15], vcc
	s_cbranch_execz .LBB115_54
; %bb.53:                               ;   in Loop: Header=BB115_51 Depth=1
	s_waitcnt vmcnt(0)
	v_lshrrev_b32_e32 v56, 16, v5
	v_cmp_gt_i32_e64 s[0:1], s37, v60
	s_nop 1
	v_cndmask_b32_e64 v56, 0, v56, s[0:1]
	v_cmp_gt_i32_e64 s[0:1], s36, v59
	s_nop 1
	v_cndmask_b32_e64 v5, 0, v5, s[0:1]
	v_perm_b32 v5, v56, v5, s30
	v_lshrrev_b32_e32 v56, 16, v4
	v_cmp_gt_i32_e64 s[0:1], s28, v54
	s_nop 1
	v_cndmask_b32_e64 v56, 0, v56, s[0:1]
	v_cmp_gt_i32_e64 s[0:1], s23, v53
	s_nop 1
	v_cndmask_b32_e64 v4, 0, v4, s[0:1]
	v_perm_b32 v4, v56, v4, s30
	;; [unrolled: 8-line block ×4, first 2 shown]
.LBB115_54:                             ;   in Loop: Header=BB115_51 Depth=1
	s_or_b64 exec, exec, s[14:15]
	v_and_b32_e32 v27, 0xffff, v27
	v_lshl_or_b32 v58, v29, 16, v27
	v_and_b32_e32 v27, 0xffff, v31
	v_lshl_or_b32 v57, v33, 16, v27
	;; [unrolled: 2-line block ×3, first 2 shown]
	v_and_b32_e32 v27, 0xffff, v39
	s_waitcnt vmcnt(0)
	;;#ASMSTART
	v_pk_mul_f16 v2, v58, v2;

	;;#ASMEND
	v_lshl_or_b32 v55, v55, 16, v27
	;;#ASMSTART
	v_pk_mul_f16 v3, v57, v3;

	;;#ASMEND
	;;#ASMSTART
	v_pk_mul_f16 v4, v56, v4;

	;;#ASMEND
	;; [unrolled: 4-line block ×3, first 2 shown]
	s_nop 0
	;;#ASMSTART
	v_pk_add_f16 v2, v2, v3;

	;;#ASMEND
	s_nop 0
	;;#ASMSTART
	v_pk_add_f16 v2, v2, v4;

	;;#ASMEND
	;; [unrolled: 5-line block ×3, first 2 shown]
	s_nop 0
	v_lshrrev_b32_e32 v3, 16, v2
	v_and_b32_e32 v2, 0xffff, v2
	;;#ASMSTART
	v_cvt_f32_f16 v61, v2;
	;;#ASMEND
	;;#ASMSTART
	v_cvt_f32_f16 v62, v3;
	;;#ASMEND
	global_load_dwordx4 v[2:5], v[42:43], off offset:1024
	s_and_saveexec_b64 s[14:15], vcc
	s_cbranch_execz .LBB115_56
; %bb.55:                               ;   in Loop: Header=BB115_51 Depth=1
	s_waitcnt vmcnt(0)
	v_lshrrev_b32_e32 v27, 16, v5
	v_cmp_gt_i32_e64 s[0:1], s37, v60
	s_nop 1
	v_cndmask_b32_e64 v27, 0, v27, s[0:1]
	v_cmp_gt_i32_e64 s[0:1], s36, v59
	s_nop 1
	v_cndmask_b32_e64 v5, 0, v5, s[0:1]
	v_perm_b32 v5, v27, v5, s30
	v_lshrrev_b32_e32 v27, 16, v4
	v_cmp_gt_i32_e64 s[0:1], s28, v54
	s_nop 1
	v_cndmask_b32_e64 v27, 0, v27, s[0:1]
	v_cmp_gt_i32_e64 s[0:1], s23, v53
	s_nop 1
	v_cndmask_b32_e64 v4, 0, v4, s[0:1]
	v_perm_b32 v4, v27, v4, s30
	v_lshrrev_b32_e32 v27, 16, v3
	v_cmp_gt_i32_e64 s[0:1], s22, v52
	s_nop 1
	v_cndmask_b32_e64 v27, 0, v27, s[0:1]
	v_cmp_gt_i32_e64 s[0:1], s21, v51
	s_nop 1
	v_cndmask_b32_e64 v3, 0, v3, s[0:1]
	v_perm_b32 v3, v27, v3, s30
	v_lshrrev_b32_e32 v27, 16, v2
	v_cmp_gt_i32_e64 s[0:1], s20, v50
	s_nop 1
	v_cndmask_b32_e64 v27, 0, v27, s[0:1]
	v_cmp_gt_i32_e64 s[0:1], s29, v25
	s_nop 1
	v_cndmask_b32_e64 v2, 0, v2, s[0:1]
	v_perm_b32 v2, v27, v2, s30
.LBB115_56:                             ;   in Loop: Header=BB115_51 Depth=1
	s_or_b64 exec, exec, s[14:15]
	s_waitcnt vmcnt(0)
	;;#ASMSTART
	v_pk_mul_f16 v2, v58, v2;

	;;#ASMEND
	;;#ASMSTART
	v_pk_mul_f16 v3, v57, v3;

	;;#ASMEND
	;; [unrolled: 4-line block ×4, first 2 shown]
	s_nop 0
	;;#ASMSTART
	v_pk_add_f16 v2, v2, v3;

	;;#ASMEND
	s_nop 0
	;;#ASMSTART
	v_pk_add_f16 v2, v2, v4;

	;;#ASMEND
	s_nop 0
	;;#ASMSTART
	v_pk_add_f16 v2, v2, v5;

	;;#ASMEND
	s_nop 0
	v_lshrrev_b32_e32 v3, 16, v2
	v_and_b32_e32 v2, 0xffff, v2
	;;#ASMSTART
	v_cvt_f32_f16 v63, v2;
	;;#ASMEND
	;;#ASMSTART
	v_cvt_f32_f16 v64, v3;
	;;#ASMEND
	global_load_dwordx4 v[2:5], v[42:43], off offset:2048
	s_and_saveexec_b64 s[14:15], vcc
	s_cbranch_execz .LBB115_58
; %bb.57:                               ;   in Loop: Header=BB115_51 Depth=1
	s_waitcnt vmcnt(0)
	v_lshrrev_b32_e32 v27, 16, v5
	v_cmp_gt_i32_e64 s[0:1], s37, v60
	s_nop 1
	v_cndmask_b32_e64 v27, 0, v27, s[0:1]
	v_cmp_gt_i32_e64 s[0:1], s36, v59
	s_nop 1
	v_cndmask_b32_e64 v5, 0, v5, s[0:1]
	v_perm_b32 v5, v27, v5, s30
	v_lshrrev_b32_e32 v27, 16, v4
	v_cmp_gt_i32_e64 s[0:1], s28, v54
	s_nop 1
	v_cndmask_b32_e64 v27, 0, v27, s[0:1]
	v_cmp_gt_i32_e64 s[0:1], s23, v53
	s_nop 1
	v_cndmask_b32_e64 v4, 0, v4, s[0:1]
	v_perm_b32 v4, v27, v4, s30
	;; [unrolled: 8-line block ×4, first 2 shown]
.LBB115_58:                             ;   in Loop: Header=BB115_51 Depth=1
	s_or_b64 exec, exec, s[14:15]
	s_waitcnt vmcnt(0)
	;;#ASMSTART
	v_pk_mul_f16 v2, v58, v2;

	;;#ASMEND
	;;#ASMSTART
	v_pk_mul_f16 v3, v57, v3;

	;;#ASMEND
	;; [unrolled: 4-line block ×4, first 2 shown]
	s_nop 0
	;;#ASMSTART
	v_pk_add_f16 v2, v2, v3;

	;;#ASMEND
	s_nop 0
	;;#ASMSTART
	v_pk_add_f16 v2, v2, v4;

	;;#ASMEND
	;; [unrolled: 5-line block ×3, first 2 shown]
	s_nop 0
	v_lshrrev_b32_e32 v3, 16, v2
	v_and_b32_e32 v2, 0xffff, v2
	;;#ASMSTART
	v_cvt_f32_f16 v65, v2;
	;;#ASMEND
	;;#ASMSTART
	v_cvt_f32_f16 v66, v3;
	;;#ASMEND
	global_load_dwordx4 v[2:5], v[42:43], off offset:3072
	s_and_saveexec_b64 s[14:15], vcc
	s_cbranch_execz .LBB115_60
; %bb.59:                               ;   in Loop: Header=BB115_51 Depth=1
	s_waitcnt vmcnt(0)
	v_lshrrev_b32_e32 v27, 16, v5
	v_cmp_gt_i32_e64 s[0:1], s37, v60
	s_nop 1
	v_cndmask_b32_e64 v27, 0, v27, s[0:1]
	v_cmp_gt_i32_e64 s[0:1], s36, v59
	s_nop 1
	v_cndmask_b32_e64 v5, 0, v5, s[0:1]
	v_perm_b32 v5, v27, v5, s30
	v_lshrrev_b32_e32 v27, 16, v4
	v_cmp_gt_i32_e64 s[0:1], s28, v54
	s_nop 1
	v_cndmask_b32_e64 v27, 0, v27, s[0:1]
	v_cmp_gt_i32_e64 s[0:1], s23, v53
	s_nop 1
	v_cndmask_b32_e64 v4, 0, v4, s[0:1]
	v_perm_b32 v4, v27, v4, s30
	;; [unrolled: 8-line block ×4, first 2 shown]
.LBB115_60:                             ;   in Loop: Header=BB115_51 Depth=1
	s_or_b64 exec, exec, s[14:15]
	s_waitcnt vmcnt(0)
	;;#ASMSTART
	v_pk_mul_f16 v2, v58, v2;

	;;#ASMEND
	;;#ASMSTART
	v_pk_mul_f16 v3, v57, v3;

	;;#ASMEND
	;; [unrolled: 4-line block ×4, first 2 shown]
	s_nop 0
	;;#ASMSTART
	v_pk_add_f16 v2, v2, v3;

	;;#ASMEND
	s_nop 0
	;;#ASMSTART
	v_pk_add_f16 v2, v2, v4;

	;;#ASMEND
	;; [unrolled: 5-line block ×3, first 2 shown]
	s_nop 0
	v_lshrrev_b32_e32 v3, 16, v2
	v_and_b32_e32 v2, 0xffff, v2
	;;#ASMSTART
	v_cvt_f32_f16 v42, v2;
	;;#ASMEND
	;;#ASMSTART
	v_cvt_f32_f16 v43, v3;
	;;#ASMEND
	v_lshl_add_u64 v[2:3], v[40:41], 0, v[18:19]
	global_load_dwordx4 v[2:5], v[2:3], off
	s_and_saveexec_b64 s[14:15], vcc
	s_cbranch_execz .LBB115_62
; %bb.61:                               ;   in Loop: Header=BB115_51 Depth=1
	s_waitcnt vmcnt(0)
	v_lshrrev_b32_e32 v27, 16, v5
	v_cmp_gt_i32_e64 s[0:1], s37, v60
	s_nop 1
	v_cndmask_b32_e64 v27, 0, v27, s[0:1]
	v_cmp_gt_i32_e64 s[0:1], s36, v59
	s_nop 1
	v_cndmask_b32_e64 v5, 0, v5, s[0:1]
	v_perm_b32 v5, v27, v5, s30
	v_lshrrev_b32_e32 v27, 16, v4
	v_cmp_gt_i32_e64 s[0:1], s28, v54
	s_nop 1
	v_cndmask_b32_e64 v27, 0, v27, s[0:1]
	v_cmp_gt_i32_e64 s[0:1], s23, v53
	s_nop 1
	v_cndmask_b32_e64 v4, 0, v4, s[0:1]
	v_perm_b32 v4, v27, v4, s30
	;; [unrolled: 8-line block ×4, first 2 shown]
.LBB115_62:                             ;   in Loop: Header=BB115_51 Depth=1
	s_or_b64 exec, exec, s[14:15]
	s_waitcnt vmcnt(0)
	;;#ASMSTART
	v_pk_mul_f16 v2, v58, v2;

	;;#ASMEND
	;;#ASMSTART
	v_pk_mul_f16 v3, v57, v3;

	;;#ASMEND
	;; [unrolled: 4-line block ×4, first 2 shown]
	v_mov_b32_e32 v27, v19
	;;#ASMSTART
	v_pk_add_f16 v2, v2, v3;

	;;#ASMEND
	s_nop 0
	;;#ASMSTART
	v_pk_add_f16 v2, v2, v4;

	;;#ASMEND
	s_nop 0
	;; [unrolled: 5-line block ×3, first 2 shown]
	v_lshrrev_b32_e32 v3, 16, v2
	v_and_b32_e32 v2, 0xffff, v2
	;;#ASMSTART
	v_cvt_f32_f16 v67, v2;
	;;#ASMEND
	;;#ASMSTART
	v_cvt_f32_f16 v68, v3;
	;;#ASMEND
	v_lshl_add_u64 v[2:3], v[40:41], 0, v[26:27]
	global_load_dwordx4 v[2:5], v[2:3], off
	s_and_saveexec_b64 s[14:15], vcc
	s_cbranch_execz .LBB115_64
; %bb.63:                               ;   in Loop: Header=BB115_51 Depth=1
	s_waitcnt vmcnt(0)
	v_lshrrev_b32_e32 v27, 16, v5
	v_cmp_gt_i32_e64 s[0:1], s37, v60
	s_nop 1
	v_cndmask_b32_e64 v27, 0, v27, s[0:1]
	v_cmp_gt_i32_e64 s[0:1], s36, v59
	s_nop 1
	v_cndmask_b32_e64 v5, 0, v5, s[0:1]
	v_perm_b32 v5, v27, v5, s30
	v_lshrrev_b32_e32 v27, 16, v4
	v_cmp_gt_i32_e64 s[0:1], s28, v54
	s_nop 1
	v_cndmask_b32_e64 v27, 0, v27, s[0:1]
	v_cmp_gt_i32_e64 s[0:1], s23, v53
	s_nop 1
	v_cndmask_b32_e64 v4, 0, v4, s[0:1]
	v_perm_b32 v4, v27, v4, s30
	;; [unrolled: 8-line block ×4, first 2 shown]
.LBB115_64:                             ;   in Loop: Header=BB115_51 Depth=1
	s_or_b64 exec, exec, s[14:15]
	s_waitcnt vmcnt(0)
	;;#ASMSTART
	v_pk_mul_f16 v2, v58, v2;

	;;#ASMEND
	;;#ASMSTART
	v_pk_mul_f16 v3, v57, v3;

	;;#ASMEND
	;;#ASMSTART
	v_pk_mul_f16 v4, v56, v4;

	;;#ASMEND
	;;#ASMSTART
	v_pk_mul_f16 v5, v55, v5;

	;;#ASMEND
	v_mov_b32_e32 v29, v19
	;;#ASMSTART
	v_pk_add_f16 v2, v2, v3;

	;;#ASMEND
	s_nop 0
	;;#ASMSTART
	v_pk_add_f16 v2, v2, v4;

	;;#ASMEND
	s_nop 0
	;;#ASMSTART
	v_pk_add_f16 v2, v2, v5;

	;;#ASMEND
	s_nop 0
	v_lshrrev_b32_e32 v3, 16, v2
	v_and_b32_e32 v2, 0xffff, v2
	;;#ASMSTART
	v_cvt_f32_f16 v27, v2;
	;;#ASMEND
	;;#ASMSTART
	v_cvt_f32_f16 v69, v3;
	;;#ASMEND
	v_lshl_add_u64 v[2:3], v[40:41], 0, v[28:29]
	global_load_dwordx4 v[2:5], v[2:3], off
	s_and_saveexec_b64 s[14:15], vcc
	s_cbranch_execz .LBB115_66
; %bb.65:                               ;   in Loop: Header=BB115_51 Depth=1
	s_waitcnt vmcnt(0)
	v_lshrrev_b32_e32 v29, 16, v5
	v_cmp_gt_i32_e64 s[0:1], s37, v60
	s_nop 1
	v_cndmask_b32_e64 v29, 0, v29, s[0:1]
	v_cmp_gt_i32_e64 s[0:1], s36, v59
	s_nop 1
	v_cndmask_b32_e64 v5, 0, v5, s[0:1]
	v_perm_b32 v5, v29, v5, s30
	v_lshrrev_b32_e32 v29, 16, v4
	v_cmp_gt_i32_e64 s[0:1], s28, v54
	s_nop 1
	v_cndmask_b32_e64 v29, 0, v29, s[0:1]
	v_cmp_gt_i32_e64 s[0:1], s23, v53
	s_nop 1
	v_cndmask_b32_e64 v4, 0, v4, s[0:1]
	v_perm_b32 v4, v29, v4, s30
	;; [unrolled: 8-line block ×4, first 2 shown]
.LBB115_66:                             ;   in Loop: Header=BB115_51 Depth=1
	s_or_b64 exec, exec, s[14:15]
	s_waitcnt vmcnt(0)
	;;#ASMSTART
	v_pk_mul_f16 v2, v58, v2;

	;;#ASMEND
	;;#ASMSTART
	v_pk_mul_f16 v3, v57, v3;

	;;#ASMEND
	;; [unrolled: 4-line block ×4, first 2 shown]
	v_mov_b32_e32 v31, v19
	;;#ASMSTART
	v_pk_add_f16 v2, v2, v3;

	;;#ASMEND
	s_nop 0
	;;#ASMSTART
	v_pk_add_f16 v2, v2, v4;

	;;#ASMEND
	s_nop 0
	;;#ASMSTART
	v_pk_add_f16 v2, v2, v5;

	;;#ASMEND
	s_nop 0
	v_lshrrev_b32_e32 v3, 16, v2
	v_and_b32_e32 v2, 0xffff, v2
	;;#ASMSTART
	v_cvt_f32_f16 v29, v2;
	;;#ASMEND
	;;#ASMSTART
	v_cvt_f32_f16 v70, v3;
	;;#ASMEND
	v_lshl_add_u64 v[2:3], v[40:41], 0, v[30:31]
	global_load_dwordx4 v[2:5], v[2:3], off
	s_and_saveexec_b64 s[14:15], vcc
	s_cbranch_execz .LBB115_68
; %bb.67:                               ;   in Loop: Header=BB115_51 Depth=1
	s_waitcnt vmcnt(0)
	v_lshrrev_b32_e32 v31, 16, v5
	v_cmp_gt_i32_e64 s[0:1], s37, v60
	s_nop 1
	v_cndmask_b32_e64 v31, 0, v31, s[0:1]
	v_cmp_gt_i32_e64 s[0:1], s36, v59
	s_nop 1
	v_cndmask_b32_e64 v5, 0, v5, s[0:1]
	v_perm_b32 v5, v31, v5, s30
	v_lshrrev_b32_e32 v31, 16, v4
	v_cmp_gt_i32_e64 s[0:1], s28, v54
	s_nop 1
	v_cndmask_b32_e64 v31, 0, v31, s[0:1]
	v_cmp_gt_i32_e64 s[0:1], s23, v53
	s_nop 1
	v_cndmask_b32_e64 v4, 0, v4, s[0:1]
	v_perm_b32 v4, v31, v4, s30
	;; [unrolled: 8-line block ×4, first 2 shown]
.LBB115_68:                             ;   in Loop: Header=BB115_51 Depth=1
	s_or_b64 exec, exec, s[14:15]
	s_waitcnt vmcnt(0)
	;;#ASMSTART
	v_pk_mul_f16 v2, v58, v2;

	;;#ASMEND
	;;#ASMSTART
	v_pk_mul_f16 v3, v57, v3;

	;;#ASMEND
	;; [unrolled: 4-line block ×4, first 2 shown]
	v_mov_b32_e32 v33, v19
	;;#ASMSTART
	v_pk_add_f16 v2, v2, v3;

	;;#ASMEND
	s_nop 0
	;;#ASMSTART
	v_pk_add_f16 v2, v2, v4;

	;;#ASMEND
	s_nop 0
	;; [unrolled: 5-line block ×3, first 2 shown]
	v_lshrrev_b32_e32 v3, 16, v2
	v_and_b32_e32 v2, 0xffff, v2
	;;#ASMSTART
	v_cvt_f32_f16 v31, v2;
	;;#ASMEND
	;;#ASMSTART
	v_cvt_f32_f16 v71, v3;
	;;#ASMEND
	v_lshl_add_u64 v[2:3], v[40:41], 0, v[32:33]
	global_load_dwordx4 v[2:5], v[2:3], off
	s_and_saveexec_b64 s[14:15], vcc
	s_cbranch_execz .LBB115_70
; %bb.69:                               ;   in Loop: Header=BB115_51 Depth=1
	s_waitcnt vmcnt(0)
	v_lshrrev_b32_e32 v33, 16, v5
	v_cmp_gt_i32_e64 s[0:1], s37, v60
	s_nop 1
	v_cndmask_b32_e64 v33, 0, v33, s[0:1]
	v_cmp_gt_i32_e64 s[0:1], s36, v59
	s_nop 1
	v_cndmask_b32_e64 v5, 0, v5, s[0:1]
	v_perm_b32 v5, v33, v5, s30
	v_lshrrev_b32_e32 v33, 16, v4
	v_cmp_gt_i32_e64 s[0:1], s28, v54
	s_nop 1
	v_cndmask_b32_e64 v33, 0, v33, s[0:1]
	v_cmp_gt_i32_e64 s[0:1], s23, v53
	s_nop 1
	v_cndmask_b32_e64 v4, 0, v4, s[0:1]
	v_perm_b32 v4, v33, v4, s30
	;; [unrolled: 8-line block ×4, first 2 shown]
.LBB115_70:                             ;   in Loop: Header=BB115_51 Depth=1
	s_or_b64 exec, exec, s[14:15]
	s_waitcnt vmcnt(0)
	;;#ASMSTART
	v_pk_mul_f16 v2, v58, v2;

	;;#ASMEND
	;;#ASMSTART
	v_pk_mul_f16 v3, v57, v3;

	;;#ASMEND
	;; [unrolled: 4-line block ×4, first 2 shown]
	v_mov_b32_e32 v35, v19
	;;#ASMSTART
	v_pk_add_f16 v2, v2, v3;

	;;#ASMEND
	s_nop 0
	;;#ASMSTART
	v_pk_add_f16 v2, v2, v4;

	;;#ASMEND
	s_nop 0
	;; [unrolled: 5-line block ×3, first 2 shown]
	v_lshrrev_b32_e32 v3, 16, v2
	v_and_b32_e32 v2, 0xffff, v2
	;;#ASMSTART
	v_cvt_f32_f16 v33, v2;
	;;#ASMEND
	;;#ASMSTART
	v_cvt_f32_f16 v72, v3;
	;;#ASMEND
	v_lshl_add_u64 v[2:3], v[40:41], 0, v[34:35]
	global_load_dwordx4 v[2:5], v[2:3], off
	s_and_saveexec_b64 s[14:15], vcc
	s_cbranch_execz .LBB115_72
; %bb.71:                               ;   in Loop: Header=BB115_51 Depth=1
	s_waitcnt vmcnt(0)
	v_lshrrev_b32_e32 v35, 16, v5
	v_cmp_gt_i32_e64 s[0:1], s37, v60
	s_nop 1
	v_cndmask_b32_e64 v35, 0, v35, s[0:1]
	v_cmp_gt_i32_e64 s[0:1], s36, v59
	s_nop 1
	v_cndmask_b32_e64 v5, 0, v5, s[0:1]
	v_perm_b32 v5, v35, v5, s30
	v_lshrrev_b32_e32 v35, 16, v4
	v_cmp_gt_i32_e64 s[0:1], s28, v54
	s_nop 1
	v_cndmask_b32_e64 v35, 0, v35, s[0:1]
	v_cmp_gt_i32_e64 s[0:1], s23, v53
	s_nop 1
	v_cndmask_b32_e64 v4, 0, v4, s[0:1]
	v_perm_b32 v4, v35, v4, s30
	;; [unrolled: 8-line block ×4, first 2 shown]
.LBB115_72:                             ;   in Loop: Header=BB115_51 Depth=1
	s_or_b64 exec, exec, s[14:15]
	s_waitcnt vmcnt(0)
	;;#ASMSTART
	v_pk_mul_f16 v2, v58, v2;

	;;#ASMEND
	;;#ASMSTART
	v_pk_mul_f16 v3, v57, v3;

	;;#ASMEND
	;; [unrolled: 4-line block ×4, first 2 shown]
	v_mov_b32_e32 v37, v19
	;;#ASMSTART
	v_pk_add_f16 v2, v2, v3;

	;;#ASMEND
	s_nop 0
	;;#ASMSTART
	v_pk_add_f16 v2, v2, v4;

	;;#ASMEND
	s_nop 0
	;; [unrolled: 5-line block ×3, first 2 shown]
	v_lshrrev_b32_e32 v3, 16, v2
	v_and_b32_e32 v2, 0xffff, v2
	;;#ASMSTART
	v_cvt_f32_f16 v35, v2;
	;;#ASMEND
	;;#ASMSTART
	v_cvt_f32_f16 v73, v3;
	;;#ASMEND
	v_lshl_add_u64 v[2:3], v[40:41], 0, v[36:37]
	global_load_dwordx4 v[2:5], v[2:3], off
	s_and_saveexec_b64 s[14:15], vcc
	s_cbranch_execz .LBB115_74
; %bb.73:                               ;   in Loop: Header=BB115_51 Depth=1
	s_waitcnt vmcnt(0)
	v_lshrrev_b32_e32 v37, 16, v5
	v_cmp_gt_i32_e64 s[0:1], s37, v60
	s_nop 1
	v_cndmask_b32_e64 v37, 0, v37, s[0:1]
	v_cmp_gt_i32_e64 s[0:1], s36, v59
	s_nop 1
	v_cndmask_b32_e64 v5, 0, v5, s[0:1]
	v_perm_b32 v5, v37, v5, s30
	v_lshrrev_b32_e32 v37, 16, v4
	v_cmp_gt_i32_e64 s[0:1], s28, v54
	s_nop 1
	v_cndmask_b32_e64 v37, 0, v37, s[0:1]
	v_cmp_gt_i32_e64 s[0:1], s23, v53
	s_nop 1
	v_cndmask_b32_e64 v4, 0, v4, s[0:1]
	v_perm_b32 v4, v37, v4, s30
	;; [unrolled: 8-line block ×4, first 2 shown]
.LBB115_74:                             ;   in Loop: Header=BB115_51 Depth=1
	s_or_b64 exec, exec, s[14:15]
	s_waitcnt vmcnt(0)
	;;#ASMSTART
	v_pk_mul_f16 v2, v58, v2;

	;;#ASMEND
	;;#ASMSTART
	v_pk_mul_f16 v3, v57, v3;

	;;#ASMEND
	;;#ASMSTART
	v_pk_mul_f16 v4, v56, v4;

	;;#ASMEND
	;;#ASMSTART
	v_pk_mul_f16 v5, v55, v5;

	;;#ASMEND
	v_mov_b32_e32 v39, v19
	;;#ASMSTART
	v_pk_add_f16 v2, v2, v3;

	;;#ASMEND
	s_nop 0
	;;#ASMSTART
	v_pk_add_f16 v2, v2, v4;

	;;#ASMEND
	s_nop 0
	;; [unrolled: 5-line block ×3, first 2 shown]
	v_lshrrev_b32_e32 v3, 16, v2
	v_and_b32_e32 v2, 0xffff, v2
	;;#ASMSTART
	v_cvt_f32_f16 v37, v2;
	;;#ASMEND
	;;#ASMSTART
	v_cvt_f32_f16 v74, v3;
	;;#ASMEND
	v_lshl_add_u64 v[2:3], v[40:41], 0, v[38:39]
	global_load_dwordx4 v[2:5], v[2:3], off
	s_and_saveexec_b64 s[0:1], vcc
	s_cbranch_execz .LBB115_49
; %bb.75:                               ;   in Loop: Header=BB115_51 Depth=1
	s_waitcnt vmcnt(0)
	v_lshrrev_b32_e32 v39, 16, v5
	v_cmp_gt_i32_e32 vcc, s37, v60
	s_nop 1
	v_cndmask_b32_e32 v39, 0, v39, vcc
	v_cmp_gt_i32_e32 vcc, s36, v59
	s_nop 1
	v_cndmask_b32_e32 v5, 0, v5, vcc
	v_perm_b32 v5, v39, v5, s30
	v_lshrrev_b32_e32 v39, 16, v4
	v_cmp_gt_i32_e32 vcc, s28, v54
	s_nop 1
	v_cndmask_b32_e32 v39, 0, v39, vcc
	v_cmp_gt_i32_e32 vcc, s23, v53
	s_nop 1
	v_cndmask_b32_e32 v4, 0, v4, vcc
	v_perm_b32 v4, v39, v4, s30
	;; [unrolled: 8-line block ×4, first 2 shown]
	s_branch .LBB115_49
.LBB115_76:
	s_or_b64 exec, exec, s[10:11]
.LBB115_77:
	s_or_b64 exec, exec, s[2:3]
	ds_bpermute_b32 v2, v45, v20
	ds_bpermute_b32 v3, v45, v21
	;; [unrolled: 1-line block ×6, first 2 shown]
	s_waitcnt lgkmcnt(4)
	v_pk_add_f32 v[2:3], v[20:21], v[2:3]
	ds_bpermute_b32 v6, v46, v2
	ds_bpermute_b32 v7, v46, v3
	;; [unrolled: 1-line block ×6, first 2 shown]
	s_waitcnt lgkmcnt(4)
	v_pk_add_f32 v[2:3], v[2:3], v[6:7]
	v_pk_add_f32 v[6:7], v[14:15], v[18:19]
	ds_bpermute_b32 v14, v45, v12
	ds_bpermute_b32 v15, v45, v13
	;; [unrolled: 1-line block ×4, first 2 shown]
	v_pk_add_f32 v[4:5], v[16:17], v[4:5]
	s_waitcnt lgkmcnt(6)
	v_pk_add_f32 v[20:21], v[10:11], v[20:21]
	s_waitcnt lgkmcnt(2)
	v_pk_add_f32 v[14:15], v[12:13], v[14:15]
	ds_bpermute_b32 v22, v46, v14
	ds_bpermute_b32 v23, v46, v15
	;; [unrolled: 1-line block ×6, first 2 shown]
	v_pk_add_f32 v[8:9], v[8:9], v[26:27]
	s_waitcnt lgkmcnt(6)
	v_pk_add_f32 v[10:11], v[6:7], v[18:19]
	s_waitcnt lgkmcnt(4)
	v_pk_add_f32 v[6:7], v[14:15], v[22:23]
	ds_bpermute_b32 v14, v46, v8
	ds_bpermute_b32 v15, v46, v9
	v_and_b32_e32 v1, 0x3c3, v0
	s_waitcnt lgkmcnt(4)
	v_pk_add_f32 v[12:13], v[4:5], v[16:17]
	s_waitcnt lgkmcnt(2)
	v_pk_add_f32 v[4:5], v[20:21], v[24:25]
	v_cmp_ne_u32_e32 vcc, 64, v1
	s_waitcnt lgkmcnt(0)
	s_barrier
	s_and_saveexec_b64 s[0:1], vcc
	s_xor_b64 s[0:1], exec, s[0:1]
; %bb.78:
                                        ; implicit-def: $vgpr44
; %bb.79:
	s_or_saveexec_b64 s[0:1], s[0:1]
	v_pk_add_f32 v[8:9], v[8:9], v[14:15]
	s_xor_b64 exec, exec, s[0:1]
	s_cbranch_execz .LBB115_81
; %bb.80:
	v_add_u32_e32 v14, 0x190, v44
	ds_write2_b32 v14, v2, v3 offset1:16
	ds_write2_b32 v14, v12, v13 offset0:32 offset1:48
	ds_write2_b32 v14, v10, v11 offset0:64 offset1:80
	;; [unrolled: 1-line block ×5, first 2 shown]
.LBB115_81:
	s_or_b64 exec, exec, s[0:1]
	v_cmp_gt_u32_e32 vcc, 64, v0
	s_waitcnt lgkmcnt(0)
	s_barrier
	s_and_saveexec_b64 s[0:1], vcc
	s_cbranch_execz .LBB115_96
; %bb.82:
	v_cmp_eq_u32_e32 vcc, 0, v47
	v_lshrrev_b32_e32 v14, 2, v0
	s_and_saveexec_b64 s[2:3], vcc
	s_cbranch_execnz .LBB115_99
; %bb.83:
	s_or_b64 exec, exec, s[2:3]
	s_and_saveexec_b64 s[2:3], vcc
	s_cbranch_execnz .LBB115_100
.LBB115_84:
	s_or_b64 exec, exec, s[2:3]
	s_and_saveexec_b64 s[2:3], vcc
	s_cbranch_execnz .LBB115_101
.LBB115_85:
	s_or_b64 exec, exec, s[2:3]
	s_and_saveexec_b64 s[2:3], vcc
	s_cbranch_execnz .LBB115_102
.LBB115_86:
	s_or_b64 exec, exec, s[2:3]
	s_and_saveexec_b64 s[2:3], vcc
	s_cbranch_execnz .LBB115_103
.LBB115_87:
	s_or_b64 exec, exec, s[2:3]
	s_and_saveexec_b64 s[2:3], vcc
	s_cbranch_execnz .LBB115_104
.LBB115_88:
	s_or_b64 exec, exec, s[2:3]
	s_and_saveexec_b64 s[2:3], vcc
	s_cbranch_execnz .LBB115_105
.LBB115_89:
	s_or_b64 exec, exec, s[2:3]
	s_and_saveexec_b64 s[2:3], vcc
	s_cbranch_execnz .LBB115_106
.LBB115_90:
	s_or_b64 exec, exec, s[2:3]
	s_and_saveexec_b64 s[2:3], vcc
	s_cbranch_execnz .LBB115_107
.LBB115_91:
	s_or_b64 exec, exec, s[2:3]
	s_and_saveexec_b64 s[2:3], vcc
	s_cbranch_execnz .LBB115_108
.LBB115_92:
	s_or_b64 exec, exec, s[2:3]
	s_and_saveexec_b64 s[2:3], vcc
	s_cbranch_execnz .LBB115_109
.LBB115_93:
	s_or_b64 exec, exec, s[2:3]
	s_and_saveexec_b64 s[2:3], vcc
	s_cbranch_execz .LBB115_95
.LBB115_94:
	v_mov_b32_e32 v15, 0x190
	v_lshl_add_u32 v14, v14, 2, v15
	ds_read_b32 v14, v14 offset:704
	s_waitcnt lgkmcnt(0)
	v_add_f32_e32 v9, v9, v14
.LBB115_95:
	s_or_b64 exec, exec, s[2:3]
.LBB115_96:
	s_or_b64 exec, exec, s[0:1]
	v_cmp_eq_u32_e32 vcc, 0, v1
	s_barrier
	s_and_saveexec_b64 s[0:1], vcc
	s_cbranch_execz .LBB115_98
; %bb.97:
	s_mul_i32 s0, s6, 0xc0
	s_ashr_i32 s1, s0, 31
	s_lshl_b64 s[0:1], s[0:1], 1
	s_add_u32 s2, s26, s0
	s_mul_i32 s0, s16, s24
	s_addc_u32 s3, s27, s1
	s_ashr_i32 s1, s0, 31
	s_lshl_b64 s[0:1], s[0:1], 1
	s_add_u32 s2, s2, s0
	s_mul_i32 s0, s4, 0xc0
	s_addc_u32 s3, s3, s1
	s_ashr_i32 s1, s0, 31
	s_lshl_b64 s[0:1], s[0:1], 1
	s_add_u32 s0, s2, s0
	s_addc_u32 s1, s3, s1
	v_lshrrev_b32_e32 v0, 1, v0
	;;#ASMSTART
	v_cvt_f16_f32 v1, v2;

	;;#ASMEND
	global_store_short v0, v1, s[0:1]
	;;#ASMSTART
	v_cvt_f16_f32 v1, v3;

	;;#ASMEND
	global_store_short v0, v1, s[0:1] offset:32
	;;#ASMSTART
	v_cvt_f16_f32 v1, v12;

	;;#ASMEND
	global_store_short v0, v1, s[0:1] offset:64
	;; [unrolled: 5-line block ×11, first 2 shown]
.LBB115_98:
	s_endpgm
.LBB115_99:
	v_mov_b32_e32 v15, 0x190
	v_lshl_add_u32 v15, v14, 2, v15
	ds_read_b32 v15, v15
	s_waitcnt lgkmcnt(0)
	v_add_f32_e32 v2, v2, v15
	s_or_b64 exec, exec, s[2:3]
	s_and_saveexec_b64 s[2:3], vcc
	s_cbranch_execz .LBB115_84
.LBB115_100:
	v_mov_b32_e32 v15, 0x190
	v_lshl_add_u32 v15, v14, 2, v15
	ds_read_b32 v15, v15 offset:64
	s_waitcnt lgkmcnt(0)
	v_add_f32_e32 v3, v3, v15
	s_or_b64 exec, exec, s[2:3]
	s_and_saveexec_b64 s[2:3], vcc
	s_cbranch_execz .LBB115_85
.LBB115_101:
	v_mov_b32_e32 v15, 0x190
	v_lshl_add_u32 v15, v14, 2, v15
	ds_read_b32 v15, v15 offset:128
	s_waitcnt lgkmcnt(0)
	v_add_f32_e32 v12, v12, v15
	s_or_b64 exec, exec, s[2:3]
	s_and_saveexec_b64 s[2:3], vcc
	s_cbranch_execz .LBB115_86
.LBB115_102:
	v_mov_b32_e32 v15, 0x190
	v_lshl_add_u32 v15, v14, 2, v15
	ds_read_b32 v15, v15 offset:192
	s_waitcnt lgkmcnt(0)
	v_add_f32_e32 v13, v13, v15
	s_or_b64 exec, exec, s[2:3]
	s_and_saveexec_b64 s[2:3], vcc
	s_cbranch_execz .LBB115_87
.LBB115_103:
	v_mov_b32_e32 v15, 0x190
	v_lshl_add_u32 v15, v14, 2, v15
	ds_read_b32 v15, v15 offset:256
	s_waitcnt lgkmcnt(0)
	v_add_f32_e32 v10, v10, v15
	s_or_b64 exec, exec, s[2:3]
	s_and_saveexec_b64 s[2:3], vcc
	s_cbranch_execz .LBB115_88
.LBB115_104:
	v_mov_b32_e32 v15, 0x190
	v_lshl_add_u32 v15, v14, 2, v15
	ds_read_b32 v15, v15 offset:320
	s_waitcnt lgkmcnt(0)
	v_add_f32_e32 v11, v11, v15
	s_or_b64 exec, exec, s[2:3]
	s_and_saveexec_b64 s[2:3], vcc
	s_cbranch_execz .LBB115_89
.LBB115_105:
	v_mov_b32_e32 v15, 0x190
	v_lshl_add_u32 v15, v14, 2, v15
	ds_read_b32 v15, v15 offset:384
	s_waitcnt lgkmcnt(0)
	v_add_f32_e32 v6, v6, v15
	s_or_b64 exec, exec, s[2:3]
	s_and_saveexec_b64 s[2:3], vcc
	s_cbranch_execz .LBB115_90
.LBB115_106:
	v_mov_b32_e32 v15, 0x190
	v_lshl_add_u32 v15, v14, 2, v15
	ds_read_b32 v15, v15 offset:448
	s_waitcnt lgkmcnt(0)
	v_add_f32_e32 v7, v7, v15
	s_or_b64 exec, exec, s[2:3]
	s_and_saveexec_b64 s[2:3], vcc
	s_cbranch_execz .LBB115_91
.LBB115_107:
	v_mov_b32_e32 v15, 0x190
	v_lshl_add_u32 v15, v14, 2, v15
	ds_read_b32 v15, v15 offset:512
	s_waitcnt lgkmcnt(0)
	v_add_f32_e32 v4, v4, v15
	s_or_b64 exec, exec, s[2:3]
	s_and_saveexec_b64 s[2:3], vcc
	s_cbranch_execz .LBB115_92
.LBB115_108:
	v_mov_b32_e32 v15, 0x190
	v_lshl_add_u32 v15, v14, 2, v15
	ds_read_b32 v15, v15 offset:576
	s_waitcnt lgkmcnt(0)
	v_add_f32_e32 v5, v5, v15
	s_or_b64 exec, exec, s[2:3]
	s_and_saveexec_b64 s[2:3], vcc
	s_cbranch_execz .LBB115_93
.LBB115_109:
	v_mov_b32_e32 v15, 0x190
	v_lshl_add_u32 v15, v14, 2, v15
	ds_read_b32 v15, v15 offset:640
	s_waitcnt lgkmcnt(0)
	v_add_f32_e32 v8, v8, v15
	s_or_b64 exec, exec, s[2:3]
	s_and_saveexec_b64 s[2:3], vcc
	s_cbranch_execnz .LBB115_94
	s_branch .LBB115_95
	.section	.rodata,"a",@progbits
	.p2align	6, 0x0
	.amdhsa_kernel _ZN4vllm25paged_attention_v2_kernelIttLi192ELi32ELi128ELNS_18Fp8KVCacheDataTypeE0ELb1ELi512EEEvPfS2_PT_PKS3_PKT0_S9_ifPKiSB_iPKfiiiSD_SD_iiiii
		.amdhsa_group_segment_fixed_size 400
		.amdhsa_private_segment_fixed_size 0
		.amdhsa_kernarg_size 400
		.amdhsa_user_sgpr_count 2
		.amdhsa_user_sgpr_dispatch_ptr 0
		.amdhsa_user_sgpr_queue_ptr 0
		.amdhsa_user_sgpr_kernarg_segment_ptr 1
		.amdhsa_user_sgpr_dispatch_id 0
		.amdhsa_user_sgpr_kernarg_preload_length 0
		.amdhsa_user_sgpr_kernarg_preload_offset 0
		.amdhsa_user_sgpr_private_segment_size 0
		.amdhsa_uses_dynamic_stack 0
		.amdhsa_enable_private_segment 0
		.amdhsa_system_sgpr_workgroup_id_x 1
		.amdhsa_system_sgpr_workgroup_id_y 1
		.amdhsa_system_sgpr_workgroup_id_z 1
		.amdhsa_system_sgpr_workgroup_info 0
		.amdhsa_system_vgpr_workitem_id 0
		.amdhsa_next_free_vgpr 99
		.amdhsa_next_free_sgpr 56
		.amdhsa_accum_offset 100
		.amdhsa_reserve_vcc 1
		.amdhsa_float_round_mode_32 0
		.amdhsa_float_round_mode_16_64 0
		.amdhsa_float_denorm_mode_32 3
		.amdhsa_float_denorm_mode_16_64 3
		.amdhsa_dx10_clamp 1
		.amdhsa_ieee_mode 1
		.amdhsa_fp16_overflow 0
		.amdhsa_tg_split 0
		.amdhsa_exception_fp_ieee_invalid_op 0
		.amdhsa_exception_fp_denorm_src 0
		.amdhsa_exception_fp_ieee_div_zero 0
		.amdhsa_exception_fp_ieee_overflow 0
		.amdhsa_exception_fp_ieee_underflow 0
		.amdhsa_exception_fp_ieee_inexact 0
		.amdhsa_exception_int_div_zero 0
	.end_amdhsa_kernel
	.section	.text._ZN4vllm25paged_attention_v2_kernelIttLi192ELi32ELi128ELNS_18Fp8KVCacheDataTypeE0ELb1ELi512EEEvPfS2_PT_PKS3_PKT0_S9_ifPKiSB_iPKfiiiSD_SD_iiiii,"axG",@progbits,_ZN4vllm25paged_attention_v2_kernelIttLi192ELi32ELi128ELNS_18Fp8KVCacheDataTypeE0ELb1ELi512EEEvPfS2_PT_PKS3_PKT0_S9_ifPKiSB_iPKfiiiSD_SD_iiiii,comdat
.Lfunc_end115:
	.size	_ZN4vllm25paged_attention_v2_kernelIttLi192ELi32ELi128ELNS_18Fp8KVCacheDataTypeE0ELb1ELi512EEEvPfS2_PT_PKS3_PKT0_S9_ifPKiSB_iPKfiiiSD_SD_iiiii, .Lfunc_end115-_ZN4vllm25paged_attention_v2_kernelIttLi192ELi32ELi128ELNS_18Fp8KVCacheDataTypeE0ELb1ELi512EEEvPfS2_PT_PKS3_PKT0_S9_ifPKiSB_iPKfiiiSD_SD_iiiii
                                        ; -- End function
	.section	.AMDGPU.csdata,"",@progbits
; Kernel info:
; codeLenInByte = 13000
; NumSgprs: 62
; NumVgprs: 99
; NumAgprs: 0
; TotalNumVgprs: 99
; ScratchSize: 0
; MemoryBound: 0
; FloatMode: 240
; IeeeMode: 1
; LDSByteSize: 400 bytes/workgroup (compile time only)
; SGPRBlocks: 7
; VGPRBlocks: 12
; NumSGPRsForWavesPerEU: 62
; NumVGPRsForWavesPerEU: 99
; AccumOffset: 100
; Occupancy: 4
; WaveLimiterHint : 1
; COMPUTE_PGM_RSRC2:SCRATCH_EN: 0
; COMPUTE_PGM_RSRC2:USER_SGPR: 2
; COMPUTE_PGM_RSRC2:TRAP_HANDLER: 0
; COMPUTE_PGM_RSRC2:TGID_X_EN: 1
; COMPUTE_PGM_RSRC2:TGID_Y_EN: 1
; COMPUTE_PGM_RSRC2:TGID_Z_EN: 1
; COMPUTE_PGM_RSRC2:TIDIG_COMP_CNT: 0
; COMPUTE_PGM_RSRC3_GFX90A:ACCUM_OFFSET: 24
; COMPUTE_PGM_RSRC3_GFX90A:TG_SPLIT: 0
	.section	.text._ZN4vllm25paged_attention_v2_kernelIttLi256ELi32ELi128ELNS_18Fp8KVCacheDataTypeE0ELb1ELi512EEEvPfS2_PT_PKS3_PKT0_S9_ifPKiSB_iPKfiiiSD_SD_iiiii,"axG",@progbits,_ZN4vllm25paged_attention_v2_kernelIttLi256ELi32ELi128ELNS_18Fp8KVCacheDataTypeE0ELb1ELi512EEEvPfS2_PT_PKS3_PKT0_S9_ifPKiSB_iPKfiiiSD_SD_iiiii,comdat
	.protected	_ZN4vllm25paged_attention_v2_kernelIttLi256ELi32ELi128ELNS_18Fp8KVCacheDataTypeE0ELb1ELi512EEEvPfS2_PT_PKS3_PKT0_S9_ifPKiSB_iPKfiiiSD_SD_iiiii ; -- Begin function _ZN4vllm25paged_attention_v2_kernelIttLi256ELi32ELi128ELNS_18Fp8KVCacheDataTypeE0ELb1ELi512EEEvPfS2_PT_PKS3_PKT0_S9_ifPKiSB_iPKfiiiSD_SD_iiiii
	.globl	_ZN4vllm25paged_attention_v2_kernelIttLi256ELi32ELi128ELNS_18Fp8KVCacheDataTypeE0ELb1ELi512EEEvPfS2_PT_PKS3_PKT0_S9_ifPKiSB_iPKfiiiSD_SD_iiiii
	.p2align	8
	.type	_ZN4vllm25paged_attention_v2_kernelIttLi256ELi32ELi128ELNS_18Fp8KVCacheDataTypeE0ELb1ELi512EEEvPfS2_PT_PKS3_PKT0_S9_ifPKiSB_iPKfiiiSD_SD_iiiii,@function
_ZN4vllm25paged_attention_v2_kernelIttLi256ELi32ELi128ELNS_18Fp8KVCacheDataTypeE0ELb1ELi512EEEvPfS2_PT_PKS3_PKT0_S9_ifPKiSB_iPKfiiiSD_SD_iiiii: ; @_ZN4vllm25paged_attention_v2_kernelIttLi256ELi32ELi128ELNS_18Fp8KVCacheDataTypeE0ELb1ELi512EEEvPfS2_PT_PKS3_PKT0_S9_ifPKiSB_iPKfiiiSD_SD_iiiii
; %bb.0:
	s_load_dwordx2 s[6:7], s[0:1], 0x40
	s_mov_b32 s30, s3
	s_ashr_i32 s31, s3, 31
	s_lshl_b64 s[8:9], s[30:31], 2
	s_waitcnt lgkmcnt(0)
	s_add_u32 s6, s6, s8
	s_addc_u32 s7, s7, s9
	s_load_dword s31, s[6:7], 0x0
	s_lshl_b32 s51, s4, 9
	s_waitcnt lgkmcnt(0)
	s_cmp_ge_i32 s51, s31
	s_cbranch_scc1 .LBB116_110
; %bb.1:
	s_load_dword s5, s[0:1], 0x90
	s_load_dwordx2 s[40:41], s[0:1], 0x30
	s_waitcnt lgkmcnt(0)
	s_abs_i32 s7, s5
	s_abs_i32 s3, s40
	v_cvt_f32_u32_e32 v1, s3
	s_sub_i32 s8, 0, s3
	s_xor_b32 s6, s5, s40
	s_ashr_i32 s6, s6, 31
	v_rcp_iflag_f32_e32 v1, v1
	s_nop 0
	v_mul_f32_e32 v1, 0x4f7ffffe, v1
	v_cvt_u32_f32_e32 v1, v1
	s_nop 0
	v_readfirstlane_b32 s9, v1
	s_mul_i32 s8, s8, s9
	s_mul_hi_u32 s8, s9, s8
	s_add_i32 s9, s9, s8
	s_mul_hi_u32 s8, s7, s9
	s_mul_i32 s9, s8, s3
	s_sub_i32 s7, s7, s9
	s_add_i32 s10, s8, 1
	s_sub_i32 s9, s7, s3
	s_cmp_ge_u32 s7, s3
	s_cselect_b32 s8, s10, s8
	s_cselect_b32 s7, s9, s7
	s_add_i32 s9, s8, 1
	s_cmp_ge_u32 s7, s3
	s_cselect_b32 s3, s9, s8
	s_xor_b32 s3, s3, s6
	s_sub_i32 s12, s3, s6
	s_abs_i32 s8, s12
	v_cvt_f32_u32_e32 v1, s8
	s_load_dwordx2 s[6:7], s[0:1], 0x50
	s_sub_i32 s10, 0, s8
	s_abs_i32 s9, s2
	v_rcp_iflag_f32_e32 v1, v1
	s_mov_b32 s3, 0
	v_mul_f32_e32 v1, 0x4f7ffffe, v1
	v_cvt_u32_f32_e32 v1, v1
	s_nop 0
	v_readfirstlane_b32 s11, v1
	s_mul_i32 s10, s10, s11
	s_mul_hi_u32 s10, s11, s10
	s_add_i32 s11, s11, s10
	s_waitcnt lgkmcnt(0)
	s_cmp_eq_u64 s[6:7], 0
	s_mul_hi_u32 s10, s9, s11
	s_cbranch_scc1 .LBB116_3
; %bb.2:
	s_ashr_i32 s3, s2, 31
	s_lshl_b64 s[14:15], s[2:3], 2
	s_add_u32 s6, s6, s14
	s_addc_u32 s7, s7, s15
	s_load_dword s3, s[6:7], 0x0
.LBB116_3:
	s_load_dwordx4 s[16:19], s[0:1], 0x58
	s_ashr_i32 s11, s2, 31
	s_ashr_i32 s20, s12, 31
	v_and_b32_e32 v4, 1, v0
	s_lshl_b32 s14, s2, 8
	v_cmp_gt_u32_e64 s[12:13], 64, v0
	v_lshlrev_b32_e32 v72, 3, v0
	s_and_saveexec_b64 s[6:7], s[12:13]
	s_cbranch_execz .LBB116_5
; %bb.4:
	s_load_dwordx2 s[22:23], s[0:1], 0x18
	s_waitcnt lgkmcnt(0)
	s_mul_i32 s24, s30, s16
	s_ashr_i32 s25, s24, 31
	s_lshl_b64 s[24:25], s[24:25], 1
	v_lshlrev_b32_e32 v1, 2, v0
	s_add_u32 s16, s22, s24
	s_addc_u32 s19, s23, s25
	s_ashr_i32 s15, s14, 31
	s_lshl_b64 s[22:23], s[14:15], 1
	s_add_u32 s22, s16, s22
	s_addc_u32 s23, s19, s23
	global_load_dwordx2 v[2:3], v72, s[22:23]
	v_and_b32_e32 v1, 0xff8, v1
	v_lshl_add_u32 v1, v4, 8, v1
	s_waitcnt vmcnt(0)
	ds_write_b64 v1, v[2:3]
.LBB116_5:
	s_or_b64 exec, exec, s[6:7]
	s_mul_i32 s7, s10, s8
	s_sub_i32 s7, s9, s7
	s_xor_b32 s6, s11, s20
	s_add_i32 s9, s10, 1
	s_sub_i32 s11, s7, s8
	s_load_dwordx4 s[20:23], s[0:1], 0x78
	s_cmp_ge_u32 s7, s8
	s_cselect_b32 s9, s9, s10
	s_cselect_b32 s7, s11, s7
	s_load_dword s11, s[0:1], 0x88
	s_add_i32 s10, s9, 1
	s_cmp_ge_u32 s7, s8
	s_cselect_b32 s7, s10, s9
	s_waitcnt lgkmcnt(0)
	s_abs_i32 s33, s23
	v_cvt_f32_u32_e32 v1, s33
	s_xor_b32 s7, s7, s6
	s_sub_i32 s8, s7, s6
	s_sub_i32 s6, 0, s33
	v_rcp_iflag_f32_e32 v1, v1
	s_add_i32 s15, s31, -1
	s_abs_i32 s9, s15
	v_mul_f32_e32 v1, 0x4f7ffffe, v1
	v_cvt_u32_f32_e32 v1, v1
	s_barrier
	v_readfirstlane_b32 s48, v1
	s_mul_i32 s6, s6, s48
	s_mul_hi_u32 s6, s48, s6
	s_add_i32 s48, s48, s6
	s_cmp_lt_i32 s11, 0
	s_mul_hi_u32 s10, s9, s48
	s_cbranch_scc0 .LBB116_7
; %bb.6:
	s_mul_i32 s6, s20, s40
	s_add_i32 s6, s8, s6
	s_mul_i32 s6, s6, s11
	s_sub_i32 s49, 1, s6
	s_mov_b64 s[6:7], 0
	s_branch .LBB116_8
.LBB116_7:
	s_mov_b64 s[6:7], -1
                                        ; implicit-def: $sgpr49
.LBB116_8:
	s_load_dwordx2 s[34:35], s[0:1], 0x38
	s_ashr_i32 s16, s15, 31
	s_andn2_b64 vcc, exec, s[6:7]
	s_ashr_i32 s23, s23, 31
	s_cbranch_vccnz .LBB116_10
; %bb.9:
	s_mul_i32 s6, s5, s20
	s_add_i32 s6, s6, s2
	s_mul_i32 s6, s6, s11
	s_add_i32 s49, s6, 1
.LBB116_10:
	s_load_dword s6, s[0:1], 0x48
	s_load_dwordx2 s[38:39], s[0:1], 0x28
	s_load_dword s15, s[0:1], 0x98
	s_load_dwordx4 s[24:27], s[0:1], 0x0
	s_load_dwordx2 s[28:29], s[0:1], 0x10
	s_mul_i32 s7, s10, s33
	s_waitcnt lgkmcnt(0)
	s_mul_i32 s36, s30, s6
	s_sub_i32 s7, s9, s7
	s_ashr_i32 s37, s36, 31
	s_xor_b32 s6, s16, s23
	s_add_i32 s9, s10, 1
	s_sub_i32 s11, s7, s33
	s_cmp_ge_u32 s7, s33
	s_cselect_b32 s9, s9, s10
	s_cselect_b32 s7, s11, s7
	s_add_i32 s10, s9, 1
	s_cmp_ge_u32 s7, s33
	s_cselect_b32 s7, s10, s9
	s_xor_b32 s7, s7, s6
	s_sub_i32 s50, s7, s6
	s_add_i32 s6, s31, 31
	s_ashr_i32 s7, s6, 31
	s_lshr_b32 s7, s7, 27
	s_add_i32 s6, s6, s7
	s_lshl_b32 s40, s4, 4
	s_ashr_i32 s16, s6, 5
	s_add_i32 s6, s40, 16
	v_lshrrev_b32_e32 v73, 6, v0
	s_min_i32 s20, s6, s16
	v_or_b32_e32 v6, s40, v73
	v_cmp_gt_i32_e64 s[6:7], s20, v6
	v_mov_b32_e32 v77, 0xff7fffff
	s_mul_i32 s18, s8, s18
	v_ashrrev_i32_e32 v7, 31, v6
	v_lshl_add_u32 v1, v73, 5, s51
	v_mbcnt_lo_u32_b32 v74, -1, 0
	s_and_saveexec_b64 s[42:43], s[6:7]
	s_cbranch_execz .LBB116_20
; %bb.11:
	s_load_dwordx2 s[0:1], s[0:1], 0x20
	s_ashr_i32 s19, s18, 31
	s_sub_i32 s52, s50, s21
	s_lshl_b64 s[10:11], s[18:19], 1
	v_bfe_u32 v75, v0, 1, 5
	s_waitcnt lgkmcnt(0)
	s_add_u32 s0, s0, s10
	s_addc_u32 s1, s1, s11
	s_abs_i32 s19, s22
	v_cvt_f32_u32_e32 v5, s19
	v_lshlrev_b32_e32 v2, 4, v75
	v_mov_b32_e32 v3, 0
	v_lshl_add_u64 v[8:9], s[0:1], 0, v[2:3]
	v_rcp_iflag_f32_e32 v5, v5
	v_and_b32_e32 v2, 8, v72
	v_lshl_add_u64 v[2:3], v[8:9], 0, v[2:3]
	s_sub_i32 s0, 0, s19
	v_mul_f32_e32 v5, 0x4f7ffffe, v5
	v_cvt_u32_f32_e32 v5, v5
	v_lshlrev_b32_e32 v8, 2, v75
	v_cmp_eq_u32_e64 s[8:9], 0, v4
	v_lshlrev_b32_e32 v76, 8, v4
	v_mul_lo_u32 v4, s0, v5
	s_lshl_b64 s[0:1], s[36:37], 2
	v_lshl_or_b32 v8, v73, 7, v8
	s_add_u32 s0, s34, s0
	v_add_u32_e32 v80, 0x210, v8
	v_subrev_u32_e32 v8, s31, v75
	v_mbcnt_hi_u32_b32 v83, -1, v74
	v_mul_hi_u32 v4, v5, v4
	s_addc_u32 s1, s35, s1
	v_add_u32_e32 v81, 1, v8
	v_and_b32_e32 v8, 64, v83
	s_mov_b32 s53, s17
	v_cmp_neq_f32_e64 s[10:11], s3, 0
	v_add_u32_e32 v78, v5, v4
	v_lshl_add_u64 v[4:5], v[6:7], 2, s[0:1]
	v_lshl_add_u32 v79, v73, 5, s51
	s_mov_b64 s[44:45], 0
	v_mov_b32_e32 v82, 0xff7fffff
	s_movk_i32 s54, 0x1000
	s_movk_i32 s55, 0x2000
	;; [unrolled: 1-line block ×3, first 2 shown]
	v_xor_b32_e32 v84, 1, v83
	v_add_u32_e32 v85, 64, v8
	v_mov_b32_e32 v77, 0xff7fffff
	v_mov_b32_e32 v86, v6
	s_branch .LBB116_14
.LBB116_12:                             ;   in Loop: Header=BB116_14 Depth=1
	s_or_b64 exec, exec, s[0:1]
.LBB116_13:                             ;   in Loop: Header=BB116_14 Depth=1
	s_or_b64 exec, exec, s[46:47]
	v_add_u32_e32 v86, 2, v86
	v_cmp_le_i32_e32 vcc, s20, v86
	v_lshl_add_u64 v[4:5], v[4:5], 0, 8
	v_add_u32_e32 v79, 64, v79
	s_or_b64 s[44:45], vcc, s[44:45]
	v_add_u32_e32 v80, 0x100, v80
	s_andn2_b64 exec, exec, s[44:45]
	s_cbranch_execz .LBB116_19
.LBB116_14:                             ; =>This Inner Loop Header: Depth=1
	s_waitcnt lgkmcnt(0)
	v_sub_u32_e32 v9, 0, v79
	v_max_i32_e32 v9, v79, v9
	v_mul_hi_u32 v10, v9, s48
	v_mul_lo_u32 v11, v10, s33
	v_sub_u32_e32 v9, v9, v11
	v_add_u32_e32 v11, 1, v10
	v_cmp_le_u32_e32 vcc, s33, v9
	v_ashrrev_i32_e32 v8, 31, v79
	v_xor_b32_e32 v8, s23, v8
	v_cndmask_b32_e32 v10, v10, v11, vcc
	v_subrev_u32_e32 v11, s33, v9
	v_cndmask_b32_e32 v9, v9, v11, vcc
	v_add_u32_e32 v11, 1, v10
	v_cmp_le_u32_e32 vcc, s33, v9
	s_nop 1
	v_cndmask_b32_e32 v9, v10, v11, vcc
	v_xor_b32_e32 v9, v9, v8
	v_sub_u32_e32 v8, v9, v8
	v_add_u32_e32 v9, s49, v8
	v_sub_u32_e32 v11, 0, v9
	v_ashrrev_i32_e32 v10, 31, v9
	v_max_i32_e32 v9, v9, v11
	v_mul_hi_u32 v11, v9, v78
	v_mul_lo_u32 v11, v11, s19
	v_sub_u32_e32 v9, v9, v11
	v_subrev_u32_e32 v11, s19, v9
	v_cmp_le_u32_e32 vcc, s19, v9
	v_cmp_ge_i32_e64 s[0:1], s52, v8
	s_nop 0
	v_cndmask_b32_e32 v9, v9, v11, vcc
	v_subrev_u32_e32 v11, s19, v9
	v_cmp_le_u32_e32 vcc, s19, v9
	s_nop 1
	v_cndmask_b32_e32 v9, v9, v11, vcc
	v_xor_b32_e32 v9, v9, v10
	v_sub_u32_e32 v9, v9, v10
	v_cmp_ne_u32_e32 vcc, 0, v9
	s_and_b64 s[0:1], vcc, s[0:1]
	s_and_b64 s[58:59], s[8:9], s[0:1]
	s_and_saveexec_b64 s[46:47], s[58:59]
	s_cbranch_execz .LBB116_16
; %bb.15:                               ;   in Loop: Header=BB116_14 Depth=1
	ds_write_b32 v80, v82
.LBB116_16:                             ;   in Loop: Header=BB116_14 Depth=1
	s_or_b64 exec, exec, s[46:47]
	s_xor_b64 s[0:1], s[0:1], -1
	s_and_saveexec_b64 s[46:47], s[0:1]
	s_cbranch_execz .LBB116_13
; %bb.17:                               ;   in Loop: Header=BB116_14 Depth=1
	global_load_dword v8, v[4:5], off
	s_waitcnt vmcnt(0)
	v_mad_i64_i32 v[8:9], s[0:1], v8, s53, 0
	v_lshl_add_u64 v[8:9], v[8:9], 1, v[2:3]
	global_load_dwordx2 v[70:71], v[8:9], off
	global_load_dwordx2 v[66:67], v[8:9], off offset:512
	global_load_dwordx2 v[68:69], v[8:9], off offset:1024
	;; [unrolled: 1-line block ×7, first 2 shown]
	ds_read_b64 v[10:11], v76
	v_add_co_u32_e64 v24, s[0:1], s56, v8
	s_waitcnt lgkmcnt(0)
	v_lshrrev_b32_e32 v88, 16, v10
	v_and_b32_e32 v87, 0xffff, v10
	v_add_co_u32_e32 v10, vcc, s54, v8
	v_addc_co_u32_e64 v25, s[0:1], 0, v9, s[0:1]
	s_mov_b64 s[0:1], vcc
	v_lshrrev_b32_e32 v89, 16, v11
	v_and_b32_e32 v90, 0xffff, v11
	v_add_co_u32_e32 v92, vcc, s55, v8
	v_addc_co_u32_e64 v11, s[0:1], 0, v9, s[0:1]
	global_load_dwordx2 v[20:21], v[24:25], off offset:512
	global_load_dwordx2 v[18:19], v[24:25], off offset:1024
	;; [unrolled: 1-line block ×4, first 2 shown]
	v_addc_co_u32_e32 v93, vcc, 0, v9, vcc
	global_load_dwordx2 v[52:53], v[10:11], off offset:512
	global_load_dwordx2 v[50:51], v[10:11], off offset:1024
	;; [unrolled: 1-line block ×6, first 2 shown]
	global_load_dwordx2 v[22:23], v[24:25], off
	global_load_dwordx2 v[40:41], v[10:11], off offset:3584
	global_load_dwordx2 v[12:13], v[24:25], off offset:2560
	s_nop 0
	global_load_dwordx2 v[10:11], v[24:25], off offset:3072
	global_load_dwordx2 v[8:9], v[24:25], off offset:3584
	global_load_dwordx2 v[56:57], v[92:93], off offset:-4096
	global_load_dwordx2 v[38:39], v[92:93], off
	global_load_dwordx2 v[36:37], v[92:93], off offset:512
	global_load_dwordx2 v[34:35], v[92:93], off offset:1024
	;; [unrolled: 1-line block ×7, first 2 shown]
	;;#ASMSTART
	v_cvt_f32_f16 v87, v87;
	;;#ASMEND
	;;#ASMSTART
	v_cvt_f32_f16 v88, v88;
	;;#ASMEND
	v_cmp_lt_i32_e32 vcc, v84, v85
	s_waitcnt vmcnt(31)
	v_lshrrev_b32_e32 v91, 16, v70
	v_and_b32_e32 v92, 0xffff, v70
	v_lshrrev_b32_e32 v93, 16, v71
	v_and_b32_e32 v71, 0xffff, v71
	;;#ASMSTART
	v_cvt_f32_f16 v92, v92;
	;;#ASMEND
	s_waitcnt vmcnt(26)
	v_and_b32_e32 v103, 0xffff, v60
	v_lshrrev_b32_e32 v104, 16, v60
	v_and_b32_e32 v105, 0xffff, v61
	v_lshrrev_b32_e32 v106, 16, v61
	;;#ASMSTART
	v_cvt_f32_f16 v91, v91;
	;;#ASMEND
	;;#ASMSTART
	v_cvt_f32_f16 v90, v90;
	;;#ASMEND
	;; [unrolled: 3-line block ×5, first 2 shown]
	ds_read_b64 v[60:61], v76 offset:8
	v_and_b32_e32 v70, 0xffff, v66
	v_lshrrev_b32_e32 v66, 16, v66
	v_and_b32_e32 v94, 0xffff, v67
	v_lshrrev_b32_e32 v67, 16, v67
	s_waitcnt vmcnt(25)
	v_and_b32_e32 v107, 0xffff, v58
	v_lshrrev_b32_e32 v108, 16, v58
	v_and_b32_e32 v109, 0xffff, v59
	v_lshrrev_b32_e32 v110, 16, v59
	s_waitcnt vmcnt(24)
	v_and_b32_e32 v111, 0xffff, v54
	v_lshrrev_b32_e32 v112, 16, v54
	s_waitcnt lgkmcnt(0)
	v_and_b32_e32 v54, 0xffff, v60
	v_lshrrev_b32_e32 v58, 16, v60
	v_lshrrev_b32_e32 v59, 16, v61
	v_and_b32_e32 v60, 0xffff, v61
	v_and_b32_e32 v99, 0xffff, v62
	v_lshrrev_b32_e32 v100, 16, v62
	v_and_b32_e32 v101, 0xffff, v63
	v_lshrrev_b32_e32 v102, 16, v63
	;;#ASMSTART
	v_cvt_f32_f16 v54, v54;
	;;#ASMEND
	;;#ASMSTART
	v_cvt_f32_f16 v58, v58;
	;;#ASMEND
	;; [unrolled: 3-line block ×8, first 2 shown]
	ds_read_b64 v[62:63], v76 offset:16
	v_and_b32_e32 v95, 0xffff, v68
	v_lshrrev_b32_e32 v68, 16, v68
	v_and_b32_e32 v96, 0xffff, v69
	v_lshrrev_b32_e32 v69, 16, v69
	v_mul_f32_e32 v54, v54, v61
	v_mul_f32_e32 v58, v58, v66
	;; [unrolled: 1-line block ×3, first 2 shown]
	s_waitcnt lgkmcnt(0)
	v_and_b32_e32 v61, 0xffff, v62
	v_lshrrev_b32_e32 v62, 16, v62
	v_lshrrev_b32_e32 v66, 16, v63
	v_and_b32_e32 v63, 0xffff, v63
	v_mul_f32_e32 v60, v70, v67
	v_fmac_f32_e32 v54, v87, v92
	v_fmac_f32_e32 v59, v90, v71
	;;#ASMSTART
	v_cvt_f32_f16 v61, v61;
	;;#ASMEND
	;;#ASMSTART
	v_cvt_f32_f16 v67, v62;
	;;#ASMEND
	;; [unrolled: 3-line block ×8, first 2 shown]
	ds_read_b64 v[62:63], v76 offset:24
	v_fmac_f32_e32 v60, v89, v93
	v_and_b32_e32 v97, 0xffff, v64
	v_lshrrev_b32_e32 v64, 16, v64
	v_and_b32_e32 v98, 0xffff, v65
	v_lshrrev_b32_e32 v65, 16, v65
	v_fmac_f32_e32 v58, v88, v91
	v_fmac_f32_e32 v54, v61, v70
	;; [unrolled: 1-line block ×3, first 2 shown]
	s_waitcnt lgkmcnt(0)
	v_and_b32_e32 v61, 0xffff, v62
	v_lshrrev_b32_e32 v62, 16, v62
	v_lshrrev_b32_e32 v66, 16, v63
	v_and_b32_e32 v63, 0xffff, v63
	v_fmac_f32_e32 v58, v67, v68
	;;#ASMSTART
	v_cvt_f32_f16 v61, v61;
	;;#ASMEND
	;;#ASMSTART
	v_cvt_f32_f16 v67, v62;
	;;#ASMEND
	;; [unrolled: 3-line block ×8, first 2 shown]
	ds_read_b64 v[62:63], v76 offset:32
	v_fmac_f32_e32 v59, v71, v87
	v_fmac_f32_e32 v54, v61, v68
	v_fmac_f32_e32 v58, v67, v64
	v_fmac_f32_e32 v59, v69, v70
	s_waitcnt lgkmcnt(0)
	v_and_b32_e32 v61, 0xffff, v62
	v_lshrrev_b32_e32 v62, 16, v62
	v_lshrrev_b32_e32 v64, 16, v63
	v_and_b32_e32 v63, 0xffff, v63
	v_fmac_f32_e32 v60, v66, v65
	;;#ASMSTART
	v_cvt_f32_f16 v61, v61;
	;;#ASMEND
	;;#ASMSTART
	v_cvt_f32_f16 v65, v62;
	;;#ASMEND
	;; [unrolled: 3-line block ×8, first 2 shown]
	ds_read_b64 v[62:63], v76 offset:40
	v_fmac_f32_e32 v54, v61, v66
	v_fmac_f32_e32 v60, v64, v70
	;; [unrolled: 1-line block ×4, first 2 shown]
	s_waitcnt lgkmcnt(0)
	v_and_b32_e32 v61, 0xffff, v62
	v_lshrrev_b32_e32 v62, 16, v62
	v_lshrrev_b32_e32 v64, 16, v63
	v_and_b32_e32 v63, 0xffff, v63
	;;#ASMSTART
	v_cvt_f32_f16 v61, v61;
	;;#ASMEND
	;;#ASMSTART
	v_cvt_f32_f16 v65, v62;
	;;#ASMEND
	;;#ASMSTART
	v_cvt_f32_f16 v66, v103;
	;;#ASMEND
	;;#ASMSTART
	v_cvt_f32_f16 v67, v104;
	;;#ASMEND
	;;#ASMSTART
	v_cvt_f32_f16 v68, v63;
	;;#ASMEND
	;;#ASMSTART
	v_cvt_f32_f16 v64, v64;
	;;#ASMEND
	;;#ASMSTART
	v_cvt_f32_f16 v69, v105;
	;;#ASMEND
	;;#ASMSTART
	v_cvt_f32_f16 v70, v106;
	;;#ASMEND
	ds_read_b64 v[62:63], v76 offset:48
	v_fmac_f32_e32 v54, v61, v66
	v_fmac_f32_e32 v60, v64, v70
	v_fmac_f32_e32 v58, v65, v67
	v_fmac_f32_e32 v59, v68, v69
	s_waitcnt lgkmcnt(0)
	v_and_b32_e32 v61, 0xffff, v62
	v_lshrrev_b32_e32 v62, 16, v62
	v_lshrrev_b32_e32 v64, 16, v63
	v_and_b32_e32 v63, 0xffff, v63
	;;#ASMSTART
	v_cvt_f32_f16 v61, v61;
	;;#ASMEND
	;;#ASMSTART
	v_cvt_f32_f16 v65, v62;
	;;#ASMEND
	;; [unrolled: 3-line block ×8, first 2 shown]
	ds_read_b64 v[62:63], v76 offset:56
	v_fmac_f32_e32 v54, v61, v66
	v_fmac_f32_e32 v60, v64, v70
	;; [unrolled: 1-line block ×4, first 2 shown]
	s_waitcnt lgkmcnt(0)
	v_and_b32_e32 v61, 0xffff, v62
	v_lshrrev_b32_e32 v62, 16, v62
	;;#ASMSTART
	v_cvt_f32_f16 v61, v61;
	;;#ASMEND
	;;#ASMSTART
	v_cvt_f32_f16 v64, v62;
	;;#ASMEND
	v_lshrrev_b32_e32 v62, 16, v63
	;;#ASMSTART
	v_cvt_f32_f16 v65, v111;
	;;#ASMEND
	;;#ASMSTART
	v_cvt_f32_f16 v66, v112;
	;;#ASMEND
	v_and_b32_e32 v63, 0xffff, v63
	;;#ASMSTART
	v_cvt_f32_f16 v67, v63;
	;;#ASMEND
	;;#ASMSTART
	v_cvt_f32_f16 v68, v62;
	;;#ASMEND
	v_and_b32_e32 v62, 0xffff, v55
	v_lshrrev_b32_e32 v55, 16, v55
	;;#ASMSTART
	v_cvt_f32_f16 v69, v62;
	;;#ASMEND
	;;#ASMSTART
	v_cvt_f32_f16 v55, v55;
	;;#ASMEND
	ds_read_b64 v[62:63], v76 offset:64
	v_fmac_f32_e32 v54, v61, v65
	v_fmac_f32_e32 v60, v68, v55
	;; [unrolled: 1-line block ×4, first 2 shown]
	s_waitcnt lgkmcnt(0)
	v_and_b32_e32 v55, 0xffff, v62
	v_lshrrev_b32_e32 v61, 16, v62
	s_waitcnt vmcnt(8)
	v_and_b32_e32 v62, 0xffff, v56
	v_lshrrev_b32_e32 v56, 16, v56
	;;#ASMSTART
	v_cvt_f32_f16 v55, v55;
	;;#ASMEND
	;;#ASMSTART
	v_cvt_f32_f16 v61, v61;
	;;#ASMEND
	;; [unrolled: 3-line block ×4, first 2 shown]
	v_lshrrev_b32_e32 v56, 16, v63
	v_and_b32_e32 v63, 0xffff, v63
	;;#ASMSTART
	v_cvt_f32_f16 v63, v63;
	;;#ASMEND
	;;#ASMSTART
	v_cvt_f32_f16 v65, v56;
	;;#ASMEND
	v_and_b32_e32 v56, 0xffff, v57
	;;#ASMSTART
	v_cvt_f32_f16 v66, v56;
	;;#ASMEND
	v_lshrrev_b32_e32 v56, 16, v57
	;;#ASMSTART
	v_cvt_f32_f16 v67, v56;
	;;#ASMEND
	ds_read_b64 v[56:57], v76 offset:72
	v_fmac_f32_e32 v54, v55, v62
	v_fmac_f32_e32 v58, v61, v64
	v_and_b32_e32 v61, 0xffff, v52
	v_lshrrev_b32_e32 v52, 16, v52
	s_waitcnt lgkmcnt(0)
	v_and_b32_e32 v55, 0xffff, v56
	v_lshrrev_b32_e32 v56, 16, v56
	v_fmac_f32_e32 v59, v63, v66
	;;#ASMSTART
	v_cvt_f32_f16 v55, v55;
	;;#ASMEND
	;;#ASMSTART
	v_cvt_f32_f16 v56, v56;
	;;#ASMEND
	;; [unrolled: 3-line block ×4, first 2 shown]
	v_lshrrev_b32_e32 v52, 16, v57
	v_and_b32_e32 v57, 0xffff, v57
	v_lshrrev_b32_e32 v63, 16, v53
	v_and_b32_e32 v53, 0xffff, v53
	v_fmac_f32_e32 v60, v65, v67
	;;#ASMSTART
	v_cvt_f32_f16 v57, v57;
	;;#ASMEND
	;;#ASMSTART
	v_cvt_f32_f16 v64, v52;
	;;#ASMEND
	;; [unrolled: 3-line block ×4, first 2 shown]
	ds_read_b64 v[52:53], v76 offset:80
	v_fmac_f32_e32 v54, v55, v61
	v_fmac_f32_e32 v58, v56, v62
	v_and_b32_e32 v56, 0xffff, v50
	v_lshrrev_b32_e32 v50, 16, v50
	s_waitcnt lgkmcnt(0)
	v_lshrrev_b32_e32 v55, 16, v52
	v_and_b32_e32 v52, 0xffff, v52
	v_fmac_f32_e32 v59, v57, v65
	;;#ASMSTART
	v_cvt_f32_f16 v52, v52;
	;;#ASMEND
	;;#ASMSTART
	v_cvt_f32_f16 v55, v55;
	;;#ASMEND
	;; [unrolled: 3-line block ×4, first 2 shown]
	v_lshrrev_b32_e32 v50, 16, v53
	v_and_b32_e32 v53, 0xffff, v53
	;;#ASMSTART
	v_cvt_f32_f16 v53, v53;
	;;#ASMEND
	;;#ASMSTART
	v_cvt_f32_f16 v61, v50;
	;;#ASMEND
	v_lshrrev_b32_e32 v50, 16, v51
	v_and_b32_e32 v51, 0xffff, v51
	v_fmac_f32_e32 v60, v64, v63
	;;#ASMSTART
	v_cvt_f32_f16 v62, v51;
	;;#ASMEND
	;;#ASMSTART
	v_cvt_f32_f16 v63, v50;
	;;#ASMEND
	ds_read_b64 v[50:51], v76 offset:88
	v_fmac_f32_e32 v54, v52, v56
	v_fmac_f32_e32 v59, v53, v62
	v_lshrrev_b32_e32 v53, 16, v48
	v_and_b32_e32 v48, 0xffff, v48
	s_waitcnt lgkmcnt(0)
	v_lshrrev_b32_e32 v52, 16, v50
	v_and_b32_e32 v50, 0xffff, v50
	v_fmac_f32_e32 v58, v55, v57
	;;#ASMSTART
	v_cvt_f32_f16 v50, v50;
	;;#ASMEND
	;;#ASMSTART
	v_cvt_f32_f16 v52, v52;
	;;#ASMEND
	;;#ASMSTART
	v_cvt_f32_f16 v55, v48;
	;;#ASMEND
	v_lshrrev_b32_e32 v48, 16, v51
	v_and_b32_e32 v51, 0xffff, v51
	;;#ASMSTART
	v_cvt_f32_f16 v53, v53;
	;;#ASMEND
	;;#ASMSTART
	v_cvt_f32_f16 v51, v51;
	;;#ASMEND
	;;#ASMSTART
	v_cvt_f32_f16 v56, v48;
	;;#ASMEND
	v_lshrrev_b32_e32 v48, 16, v49
	v_and_b32_e32 v49, 0xffff, v49
	v_fmac_f32_e32 v60, v61, v63
	;;#ASMSTART
	v_cvt_f32_f16 v57, v49;
	;;#ASMEND
	;;#ASMSTART
	v_cvt_f32_f16 v61, v48;
	;;#ASMEND
	ds_read_b64 v[48:49], v76 offset:96
	v_fmac_f32_e32 v54, v50, v55
	v_fmac_f32_e32 v59, v51, v57
	v_lshrrev_b32_e32 v51, 16, v46
	v_and_b32_e32 v46, 0xffff, v46
	s_waitcnt lgkmcnt(0)
	v_lshrrev_b32_e32 v50, 16, v48
	v_and_b32_e32 v48, 0xffff, v48
	v_fmac_f32_e32 v58, v52, v53
	;;#ASMSTART
	v_cvt_f32_f16 v48, v48;
	;;#ASMEND
	;;#ASMSTART
	v_cvt_f32_f16 v50, v50;
	;;#ASMEND
	;;#ASMSTART
	v_cvt_f32_f16 v52, v46;
	;;#ASMEND
	v_lshrrev_b32_e32 v46, 16, v49
	v_and_b32_e32 v49, 0xffff, v49
	;;#ASMSTART
	v_cvt_f32_f16 v51, v51;
	;;#ASMEND
	;; [unrolled: 38-line block ×5, first 2 shown]
	;;#ASMSTART
	v_cvt_f32_f16 v43, v43;
	;;#ASMEND
	;;#ASMSTART
	v_cvt_f32_f16 v47, v40;
	;;#ASMEND
	v_lshrrev_b32_e32 v40, 16, v41
	v_and_b32_e32 v41, 0xffff, v41
	v_fmac_f32_e32 v60, v49, v51
	;;#ASMSTART
	v_cvt_f32_f16 v48, v41;
	;;#ASMEND
	;;#ASMSTART
	v_cvt_f32_f16 v49, v40;
	;;#ASMEND
	ds_read_b64 v[40:41], v76 offset:128
	v_fmac_f32_e32 v54, v42, v46
	v_fmac_f32_e32 v59, v43, v48
	s_waitcnt vmcnt(7)
	v_lshrrev_b32_e32 v43, 16, v38
	v_and_b32_e32 v38, 0xffff, v38
	s_waitcnt lgkmcnt(0)
	v_lshrrev_b32_e32 v42, 16, v40
	v_and_b32_e32 v40, 0xffff, v40
	v_fmac_f32_e32 v58, v44, v45
	;;#ASMSTART
	v_cvt_f32_f16 v40, v40;
	;;#ASMEND
	;;#ASMSTART
	v_cvt_f32_f16 v42, v42;
	;;#ASMEND
	;;#ASMSTART
	v_cvt_f32_f16 v44, v38;
	;;#ASMEND
	v_lshrrev_b32_e32 v38, 16, v41
	v_and_b32_e32 v41, 0xffff, v41
	;;#ASMSTART
	v_cvt_f32_f16 v43, v43;
	;;#ASMEND
	;;#ASMSTART
	v_cvt_f32_f16 v41, v41;
	;;#ASMEND
	;;#ASMSTART
	v_cvt_f32_f16 v45, v38;
	;;#ASMEND
	v_lshrrev_b32_e32 v38, 16, v39
	v_and_b32_e32 v39, 0xffff, v39
	v_fmac_f32_e32 v60, v47, v49
	;;#ASMSTART
	v_cvt_f32_f16 v46, v39;
	;;#ASMEND
	;;#ASMSTART
	v_cvt_f32_f16 v47, v38;
	;;#ASMEND
	ds_read_b64 v[38:39], v76 offset:136
	v_fmac_f32_e32 v54, v40, v44
	v_fmac_f32_e32 v59, v41, v46
	s_waitcnt vmcnt(6)
	v_lshrrev_b32_e32 v41, 16, v36
	v_and_b32_e32 v36, 0xffff, v36
	s_waitcnt lgkmcnt(0)
	v_lshrrev_b32_e32 v40, 16, v38
	v_and_b32_e32 v38, 0xffff, v38
	v_fmac_f32_e32 v58, v42, v43
	;;#ASMSTART
	v_cvt_f32_f16 v38, v38;
	;;#ASMEND
	;;#ASMSTART
	v_cvt_f32_f16 v40, v40;
	;;#ASMEND
	;;#ASMSTART
	v_cvt_f32_f16 v42, v36;
	;;#ASMEND
	v_lshrrev_b32_e32 v36, 16, v39
	v_and_b32_e32 v39, 0xffff, v39
	;;#ASMSTART
	v_cvt_f32_f16 v41, v41;
	;;#ASMEND
	;; [unrolled: 39-line block ×8, first 2 shown]
	;;#ASMSTART
	v_cvt_f32_f16 v27, v27;
	;;#ASMEND
	;;#ASMSTART
	v_cvt_f32_f16 v31, v24;
	;;#ASMEND
	v_lshrrev_b32_e32 v24, 16, v25
	v_and_b32_e32 v25, 0xffff, v25
	v_fmac_f32_e32 v60, v33, v35
	;;#ASMSTART
	v_cvt_f32_f16 v32, v25;
	;;#ASMEND
	;;#ASMSTART
	v_cvt_f32_f16 v33, v24;
	;;#ASMEND
	ds_read_b64 v[24:25], v76 offset:192
	v_fmac_f32_e32 v54, v26, v30
	v_fmac_f32_e32 v59, v27, v32
	v_lshrrev_b32_e32 v27, 16, v22
	v_and_b32_e32 v22, 0xffff, v22
	s_waitcnt lgkmcnt(0)
	v_lshrrev_b32_e32 v26, 16, v24
	v_and_b32_e32 v24, 0xffff, v24
	v_fmac_f32_e32 v58, v28, v29
	;;#ASMSTART
	v_cvt_f32_f16 v24, v24;
	;;#ASMEND
	;;#ASMSTART
	v_cvt_f32_f16 v26, v26;
	;;#ASMEND
	;;#ASMSTART
	v_cvt_f32_f16 v28, v22;
	;;#ASMEND
	v_lshrrev_b32_e32 v22, 16, v25
	v_and_b32_e32 v25, 0xffff, v25
	;;#ASMSTART
	v_cvt_f32_f16 v27, v27;
	;;#ASMEND
	;;#ASMSTART
	v_cvt_f32_f16 v25, v25;
	;;#ASMEND
	;;#ASMSTART
	v_cvt_f32_f16 v29, v22;
	;;#ASMEND
	v_lshrrev_b32_e32 v22, 16, v23
	v_and_b32_e32 v23, 0xffff, v23
	v_fmac_f32_e32 v60, v31, v33
	;;#ASMSTART
	v_cvt_f32_f16 v30, v23;
	;;#ASMEND
	;;#ASMSTART
	v_cvt_f32_f16 v31, v22;
	;;#ASMEND
	ds_read_b64 v[22:23], v76 offset:200
	v_fmac_f32_e32 v54, v24, v28
	v_fmac_f32_e32 v59, v25, v30
	v_lshrrev_b32_e32 v25, 16, v20
	v_and_b32_e32 v20, 0xffff, v20
	s_waitcnt lgkmcnt(0)
	v_lshrrev_b32_e32 v24, 16, v22
	v_and_b32_e32 v22, 0xffff, v22
	v_fmac_f32_e32 v58, v26, v27
	;;#ASMSTART
	v_cvt_f32_f16 v22, v22;
	;;#ASMEND
	;;#ASMSTART
	v_cvt_f32_f16 v24, v24;
	;;#ASMEND
	;;#ASMSTART
	v_cvt_f32_f16 v26, v20;
	;;#ASMEND
	v_lshrrev_b32_e32 v20, 16, v23
	v_and_b32_e32 v23, 0xffff, v23
	;;#ASMSTART
	v_cvt_f32_f16 v25, v25;
	;;#ASMEND
	;;#ASMSTART
	v_cvt_f32_f16 v23, v23;
	;;#ASMEND
	;;#ASMSTART
	v_cvt_f32_f16 v27, v20;
	;;#ASMEND
	v_lshrrev_b32_e32 v20, 16, v21
	v_and_b32_e32 v21, 0xffff, v21
	v_fmac_f32_e32 v60, v29, v31
	;;#ASMSTART
	v_cvt_f32_f16 v28, v21;
	;;#ASMEND
	;;#ASMSTART
	v_cvt_f32_f16 v29, v20;
	;;#ASMEND
	ds_read_b64 v[20:21], v76 offset:208
	v_fmac_f32_e32 v54, v22, v26
	v_fmac_f32_e32 v59, v23, v28
	v_lshrrev_b32_e32 v23, 16, v18
	v_and_b32_e32 v18, 0xffff, v18
	s_waitcnt lgkmcnt(0)
	v_lshrrev_b32_e32 v22, 16, v20
	v_and_b32_e32 v20, 0xffff, v20
	v_fmac_f32_e32 v58, v24, v25
	;;#ASMSTART
	v_cvt_f32_f16 v20, v20;
	;;#ASMEND
	;;#ASMSTART
	v_cvt_f32_f16 v22, v22;
	;;#ASMEND
	;;#ASMSTART
	v_cvt_f32_f16 v24, v18;
	;;#ASMEND
	v_lshrrev_b32_e32 v18, 16, v21
	v_and_b32_e32 v21, 0xffff, v21
	;;#ASMSTART
	v_cvt_f32_f16 v23, v23;
	;;#ASMEND
	;;#ASMSTART
	v_cvt_f32_f16 v21, v21;
	;;#ASMEND
	;;#ASMSTART
	v_cvt_f32_f16 v25, v18;
	;;#ASMEND
	v_lshrrev_b32_e32 v18, 16, v19
	v_and_b32_e32 v19, 0xffff, v19
	v_fmac_f32_e32 v60, v27, v29
	;;#ASMSTART
	v_cvt_f32_f16 v26, v19;
	;;#ASMEND
	;;#ASMSTART
	v_cvt_f32_f16 v27, v18;
	;;#ASMEND
	ds_read_b64 v[18:19], v76 offset:216
	v_fmac_f32_e32 v54, v20, v24
	v_fmac_f32_e32 v59, v21, v26
	v_lshrrev_b32_e32 v21, 16, v16
	v_and_b32_e32 v16, 0xffff, v16
	s_waitcnt lgkmcnt(0)
	v_lshrrev_b32_e32 v20, 16, v18
	v_and_b32_e32 v18, 0xffff, v18
	v_fmac_f32_e32 v58, v22, v23
	;;#ASMSTART
	v_cvt_f32_f16 v18, v18;
	;;#ASMEND
	;;#ASMSTART
	v_cvt_f32_f16 v20, v20;
	;;#ASMEND
	;;#ASMSTART
	v_cvt_f32_f16 v22, v16;
	;;#ASMEND
	v_lshrrev_b32_e32 v16, 16, v19
	v_and_b32_e32 v19, 0xffff, v19
	;;#ASMSTART
	v_cvt_f32_f16 v21, v21;
	;;#ASMEND
	;;#ASMSTART
	v_cvt_f32_f16 v19, v19;
	;;#ASMEND
	;;#ASMSTART
	v_cvt_f32_f16 v23, v16;
	;;#ASMEND
	v_lshrrev_b32_e32 v16, 16, v17
	v_and_b32_e32 v17, 0xffff, v17
	v_fmac_f32_e32 v60, v25, v27
	;;#ASMSTART
	v_cvt_f32_f16 v24, v17;
	;;#ASMEND
	;;#ASMSTART
	v_cvt_f32_f16 v25, v16;
	;;#ASMEND
	ds_read_b64 v[16:17], v76 offset:224
	v_fmac_f32_e32 v54, v18, v22
	v_fmac_f32_e32 v59, v19, v24
	v_lshrrev_b32_e32 v19, 16, v14
	v_and_b32_e32 v14, 0xffff, v14
	s_waitcnt lgkmcnt(0)
	v_lshrrev_b32_e32 v18, 16, v16
	v_and_b32_e32 v16, 0xffff, v16
	v_fmac_f32_e32 v58, v20, v21
	;;#ASMSTART
	v_cvt_f32_f16 v16, v16;
	;;#ASMEND
	;;#ASMSTART
	v_cvt_f32_f16 v18, v18;
	;;#ASMEND
	;;#ASMSTART
	v_cvt_f32_f16 v20, v14;
	;;#ASMEND
	v_lshrrev_b32_e32 v14, 16, v17
	v_and_b32_e32 v17, 0xffff, v17
	;;#ASMSTART
	v_cvt_f32_f16 v19, v19;
	;;#ASMEND
	;;#ASMSTART
	v_cvt_f32_f16 v17, v17;
	;;#ASMEND
	;;#ASMSTART
	v_cvt_f32_f16 v21, v14;
	;;#ASMEND
	v_lshrrev_b32_e32 v14, 16, v15
	v_and_b32_e32 v15, 0xffff, v15
	v_fmac_f32_e32 v60, v23, v25
	;;#ASMSTART
	v_cvt_f32_f16 v22, v15;
	;;#ASMEND
	;;#ASMSTART
	v_cvt_f32_f16 v23, v14;
	;;#ASMEND
	ds_read_b64 v[14:15], v76 offset:232
	v_fmac_f32_e32 v54, v16, v20
	v_fmac_f32_e32 v59, v17, v22
	v_lshrrev_b32_e32 v17, 16, v12
	v_and_b32_e32 v12, 0xffff, v12
	s_waitcnt lgkmcnt(0)
	v_lshrrev_b32_e32 v16, 16, v14
	v_and_b32_e32 v14, 0xffff, v14
	v_fmac_f32_e32 v58, v18, v19
	;;#ASMSTART
	v_cvt_f32_f16 v14, v14;
	;;#ASMEND
	;;#ASMSTART
	v_cvt_f32_f16 v16, v16;
	;;#ASMEND
	;;#ASMSTART
	v_cvt_f32_f16 v18, v12;
	;;#ASMEND
	v_lshrrev_b32_e32 v12, 16, v15
	v_and_b32_e32 v15, 0xffff, v15
	;;#ASMSTART
	v_cvt_f32_f16 v17, v17;
	;;#ASMEND
	;;#ASMSTART
	v_cvt_f32_f16 v15, v15;
	;;#ASMEND
	;;#ASMSTART
	v_cvt_f32_f16 v19, v12;
	;;#ASMEND
	v_lshrrev_b32_e32 v12, 16, v13
	v_and_b32_e32 v13, 0xffff, v13
	v_fmac_f32_e32 v60, v21, v23
	;;#ASMSTART
	v_cvt_f32_f16 v20, v13;
	;;#ASMEND
	;;#ASMSTART
	v_cvt_f32_f16 v21, v12;
	;;#ASMEND
	ds_read_b64 v[12:13], v76 offset:240
	v_fmac_f32_e32 v54, v14, v18
	v_fmac_f32_e32 v59, v15, v20
	v_lshrrev_b32_e32 v15, 16, v10
	v_and_b32_e32 v10, 0xffff, v10
	s_waitcnt lgkmcnt(0)
	v_lshrrev_b32_e32 v14, 16, v12
	v_and_b32_e32 v12, 0xffff, v12
	v_fmac_f32_e32 v58, v16, v17
	;;#ASMSTART
	v_cvt_f32_f16 v12, v12;
	;;#ASMEND
	;;#ASMSTART
	v_cvt_f32_f16 v14, v14;
	;;#ASMEND
	;;#ASMSTART
	v_cvt_f32_f16 v16, v10;
	;;#ASMEND
	v_lshrrev_b32_e32 v10, 16, v13
	v_and_b32_e32 v13, 0xffff, v13
	;;#ASMSTART
	v_cvt_f32_f16 v15, v15;
	;;#ASMEND
	;;#ASMSTART
	v_cvt_f32_f16 v13, v13;
	;;#ASMEND
	;;#ASMSTART
	v_cvt_f32_f16 v17, v10;
	;;#ASMEND
	v_lshrrev_b32_e32 v10, 16, v11
	v_and_b32_e32 v11, 0xffff, v11
	v_fmac_f32_e32 v60, v19, v21
	;;#ASMSTART
	v_cvt_f32_f16 v18, v11;
	;;#ASMEND
	;;#ASMSTART
	v_cvt_f32_f16 v19, v10;
	;;#ASMEND
	ds_read_b64 v[10:11], v76 offset:248
	v_fmac_f32_e32 v54, v12, v16
	v_fmac_f32_e32 v59, v13, v18
	v_lshrrev_b32_e32 v13, 16, v8
	v_and_b32_e32 v8, 0xffff, v8
	s_waitcnt lgkmcnt(0)
	v_lshrrev_b32_e32 v12, 16, v10
	v_and_b32_e32 v10, 0xffff, v10
	;;#ASMSTART
	v_cvt_f32_f16 v10, v10;
	;;#ASMEND
	;;#ASMSTART
	v_cvt_f32_f16 v12, v12;
	;;#ASMEND
	;; [unrolled: 3-line block ×3, first 2 shown]
	v_fmac_f32_e32 v58, v14, v15
	v_fmac_f32_e32 v54, v10, v8
	v_lshrrev_b32_e32 v8, 16, v11
	v_and_b32_e32 v10, 0xffff, v11
	v_fmac_f32_e32 v60, v17, v19
	;;#ASMSTART
	v_cvt_f32_f16 v13, v13;
	;;#ASMEND
	;;#ASMSTART
	v_cvt_f32_f16 v10, v10;
	;;#ASMEND
	;; [unrolled: 3-line block ×3, first 2 shown]
	v_lshrrev_b32_e32 v11, 16, v9
	v_fmac_f32_e32 v58, v12, v13
	v_and_b32_e32 v9, 0xffff, v9
	;;#ASMSTART
	v_cvt_f32_f16 v9, v9;
	;;#ASMEND
	;;#ASMSTART
	v_cvt_f32_f16 v11, v11;
	;;#ASMEND
	s_nop 0
	v_fmac_f32_e32 v59, v10, v9
	v_fmac_f32_e32 v60, v8, v11
	v_add_f32_e32 v8, v54, v58
	v_add_f32_e32 v8, v8, v59
	v_cndmask_b32_e32 v9, v83, v84, vcc
	v_add_f32_e32 v8, v60, v8
	v_lshlrev_b32_e32 v9, 2, v9
	ds_bpermute_b32 v9, v9, v8
	s_and_saveexec_b64 s[0:1], s[8:9]
	s_cbranch_execz .LBB116_12
; %bb.18:                               ;   in Loop: Header=BB116_14 Depth=1
	v_add_u32_e32 v10, v81, v79
	v_cvt_f32_i32_e32 v10, v10
	s_waitcnt lgkmcnt(0)
	v_add_f32_e32 v8, v8, v9
	v_add_u32_e32 v11, v75, v79
	v_cmp_gt_i32_e32 vcc, s31, v11
	v_mul_f32_e32 v9, s3, v10
	v_cndmask_b32_e64 v9, 0, v9, s[10:11]
	v_fmac_f32_e32 v9, s41, v8
	v_cndmask_b32_e32 v8, 0, v9, vcc
	ds_write_b32 v80, v8
	v_max_f32_e32 v8, v77, v77
	v_max_f32_e32 v8, v8, v9
	v_cndmask_b32_e32 v77, v77, v8, vcc
	s_branch .LBB116_12
.LBB116_19:
	s_or_b64 exec, exec, s[44:45]
.LBB116_20:
	s_or_b64 exec, exec, s[42:43]
	v_mbcnt_hi_u32_b32 v4, -1, v74
	v_and_b32_e32 v2, 64, v4
	v_add_u32_e32 v11, 64, v2
	v_xor_b32_e32 v2, 32, v4
	v_cmp_lt_i32_e32 vcc, v2, v11
	v_xor_b32_e32 v8, 16, v4
	v_max_f32_e32 v5, v77, v77
	v_cndmask_b32_e32 v2, v4, v2, vcc
	v_lshlrev_b32_e32 v2, 2, v2
	ds_bpermute_b32 v3, v2, v77
	v_cmp_lt_i32_e32 vcc, v8, v11
	s_waitcnt lgkmcnt(1)
	v_xor_b32_e32 v9, 8, v4
	v_xor_b32_e32 v10, 4, v4
	;; [unrolled: 1-line block ×3, first 2 shown]
	s_waitcnt lgkmcnt(0)
	v_max_f32_e32 v3, v3, v3
	v_max_f32_e32 v5, v5, v3
	v_cndmask_b32_e32 v3, v4, v8, vcc
	v_lshlrev_b32_e32 v3, 2, v3
	ds_bpermute_b32 v8, v3, v5
	v_cmp_lt_i32_e32 vcc, v9, v11
	v_and_b32_e32 v56, 63, v0
	s_waitcnt lgkmcnt(0)
	v_max_f32_e32 v8, v8, v8
	v_max_f32_e32 v8, v5, v8
	v_cndmask_b32_e32 v5, v4, v9, vcc
	v_lshlrev_b32_e32 v5, 2, v5
	ds_bpermute_b32 v9, v5, v8
	v_cmp_lt_i32_e32 vcc, v10, v11
	s_waitcnt lgkmcnt(0)
	v_max_f32_e32 v9, v9, v9
	v_max_f32_e32 v9, v8, v9
	v_cndmask_b32_e32 v8, v4, v10, vcc
	v_lshlrev_b32_e32 v8, 2, v8
	ds_bpermute_b32 v10, v8, v9
	v_cmp_lt_i32_e32 vcc, v12, v11
	s_waitcnt lgkmcnt(0)
	v_max_f32_e32 v10, v10, v10
	v_max_f32_e32 v10, v9, v10
	v_cndmask_b32_e32 v9, v4, v12, vcc
	v_lshlrev_b32_e32 v57, 2, v9
	ds_bpermute_b32 v12, v57, v10
	v_cmp_eq_u32_e32 vcc, 0, v56
	v_lshlrev_b32_e32 v9, 2, v73
	s_and_saveexec_b64 s[0:1], vcc
	s_cbranch_execz .LBB116_22
; %bb.21:
	s_waitcnt lgkmcnt(0)
	v_max_f32_e32 v12, v12, v12
	v_max_f32_e32 v10, v10, v10
	;; [unrolled: 1-line block ×3, first 2 shown]
	ds_write_b32 v9, v10 offset:512
.LBB116_22:
	s_or_b64 exec, exec, s[0:1]
	v_cmp_gt_u32_e64 s[0:1], 2, v56
	s_waitcnt lgkmcnt(0)
	v_mov_b32_e32 v12, 0xff7fffff
	v_lshlrev_b32_e32 v10, 2, v56
	s_barrier
	s_and_saveexec_b64 s[8:9], s[0:1]
	s_cbranch_execz .LBB116_24
; %bb.23:
	ds_read_b32 v12, v10 offset:512
.LBB116_24:
	s_or_b64 exec, exec, s[8:9]
	v_xor_b32_e32 v13, 1, v4
	v_cmp_lt_i32_e64 s[8:9], v13, v11
	s_sub_i32 s3, s20, s40
	s_lshl_b32 s3, s3, 5
	v_cndmask_b32_e64 v11, v4, v13, s[8:9]
	v_lshlrev_b32_e32 v58, 2, v11
	s_waitcnt lgkmcnt(0)
	ds_bpermute_b32 v11, v58, v12
	v_max_f32_e32 v12, v12, v12
	v_lshlrev_b32_e32 v4, 2, v4
	s_add_i32 s3, s3, s51
	s_min_i32 s19, s3, s31
	s_waitcnt lgkmcnt(0)
	v_max_f32_e32 v11, v11, v11
	v_max_f32_e32 v12, v12, v11
	v_and_b32_e32 v11, 0x100, v4
	ds_bpermute_b32 v4, v11, v12
	s_sub_i32 s3, s19, s51
	v_cmp_gt_i32_e64 s[8:9], s3, v0
	v_mov_b32_e32 v12, 0
	s_and_saveexec_b64 s[40:41], s[8:9]
	s_cbranch_execz .LBB116_28
; %bb.25:
	v_mov_b32_e32 v12, 0x210
	v_lshl_add_u32 v13, v0, 2, v12
	s_mov_b64 s[42:43], 0
	v_mov_b32_e32 v12, 0
	v_mov_b32_e32 v14, v0
.LBB116_26:                             ; =>This Inner Loop Header: Depth=1
	ds_read_b32 v15, v13
	v_add_u32_e32 v14, 0x80, v14
	v_cmp_le_i32_e64 s[10:11], s3, v14
	s_or_b64 s[42:43], s[10:11], s[42:43]
	s_waitcnt lgkmcnt(0)
	v_sub_f32_e32 v15, v15, v4
	v_mul_f32_e32 v15, 0x3fb8aa3b, v15
	v_exp_f32_e32 v15, v15
	ds_write_b32 v13, v15
	v_add_f32_e32 v12, v12, v15
	v_add_u32_e32 v13, 0x200, v13
	s_andn2_b64 exec, exec, s[42:43]
	s_cbranch_execnz .LBB116_26
; %bb.27:
	s_or_b64 exec, exec, s[42:43]
.LBB116_28:
	s_or_b64 exec, exec, s[40:41]
	ds_bpermute_b32 v2, v2, v12
	s_waitcnt lgkmcnt(0)
	v_add_f32_e32 v2, v12, v2
	ds_bpermute_b32 v3, v3, v2
	s_waitcnt lgkmcnt(0)
	v_add_f32_e32 v2, v2, v3
	;; [unrolled: 3-line block ×6, first 2 shown]
	s_and_saveexec_b64 s[10:11], vcc
	s_cbranch_execz .LBB116_30
; %bb.29:
	ds_write_b32 v9, v2 offset:520
.LBB116_30:
	s_or_b64 exec, exec, s[10:11]
	s_waitcnt lgkmcnt(0)
	s_barrier
	s_and_saveexec_b64 s[10:11], s[0:1]
	s_cbranch_execz .LBB116_32
; %bb.31:
	ds_read_b32 v2, v10 offset:520
.LBB116_32:
	s_or_b64 exec, exec, s[10:11]
	s_waitcnt lgkmcnt(0)
	ds_bpermute_b32 v3, v58, v2
	s_waitcnt lgkmcnt(0)
	v_add_f32_e32 v2, v2, v3
	ds_bpermute_b32 v5, v11, v2
	s_and_saveexec_b64 s[0:1], s[8:9]
	s_cbranch_execz .LBB116_45
; %bb.33:
	s_waitcnt lgkmcnt(0)
	v_add_f32_e32 v2, 0x358637bd, v5
	v_div_scale_f32 v3, s[8:9], v2, v2, 1.0
	v_rcp_f32_e32 v8, v3
	v_div_scale_f32 v9, vcc, 1.0, v2, 1.0
	s_movk_i32 s8, 0x7f
	v_fma_f32 v10, -v3, v8, 1.0
	v_fmac_f32_e32 v8, v10, v8
	v_mul_f32_e32 v10, v9, v8
	v_fma_f32 v11, -v3, v10, v9
	v_fmac_f32_e32 v10, v11, v8
	v_fma_f32 v3, -v3, v10, v9
	v_div_fmas_f32 v3, v3, v8, v10
	v_div_fixup_f32 v2, v3, v2, 1.0
	v_xad_u32 v3, v0, -1, s19
	v_subrev_u32_e32 v8, s51, v3
	v_cmp_lt_u32_e32 vcc, s8, v8
	s_mov_b64 s[10:11], -1
	v_mov_b32_e32 v3, v0
	s_and_saveexec_b64 s[8:9], vcc
	s_cbranch_execz .LBB116_42
; %bb.34:
	v_lshrrev_b32_e32 v8, 7, v8
	v_add_u32_e32 v10, -1, v8
	v_lshrrev_b32_e32 v9, 1, v10
	v_mov_b32_e32 v3, v2
	v_add_u32_e32 v9, 1, v9
	v_cmp_lt_u32_e32 vcc, 13, v10
	v_mov_b32_e32 v12, 0
	s_and_saveexec_b64 s[10:11], vcc
	s_cbranch_execz .LBB116_38
; %bb.35:
	v_mov_b32_e32 v11, 0x210
	v_and_b32_e32 v10, -8, v9
	v_lshl_add_u32 v11, v0, 2, v11
	s_mov_b32 s19, 0
	s_mov_b64 s[40:41], 0
.LBB116_36:                             ; =>This Inner Loop Header: Depth=1
	ds_read2st64_b32 v[12:13], v11 offset1:2
	ds_read2st64_b32 v[14:15], v11 offset0:4 offset1:6
	ds_read2st64_b32 v[16:17], v11 offset0:8 offset1:10
	;; [unrolled: 1-line block ×3, first 2 shown]
	v_add_u32_e32 v10, -8, v10
	s_waitcnt lgkmcnt(3)
	v_pk_mul_f32 v[12:13], v[2:3], v[12:13]
	s_waitcnt lgkmcnt(2)
	v_pk_mul_f32 v[14:15], v[2:3], v[14:15]
	ds_write2st64_b32 v11, v12, v13 offset1:2
	ds_write2st64_b32 v11, v14, v15 offset0:4 offset1:6
	ds_read2st64_b32 v[14:15], v11 offset0:16 offset1:18
	s_waitcnt lgkmcnt(4)
	v_pk_mul_f32 v[12:13], v[2:3], v[16:17]
	ds_write2st64_b32 v11, v12, v13 offset0:8 offset1:10
	s_waitcnt lgkmcnt(4)
	v_pk_mul_f32 v[12:13], v[2:3], v[18:19]
	ds_write2st64_b32 v11, v12, v13 offset0:12 offset1:14
	ds_read2st64_b32 v[12:13], v11 offset0:20 offset1:22
	s_waitcnt lgkmcnt(3)
	v_pk_mul_f32 v[14:15], v[2:3], v[14:15]
	ds_read2st64_b32 v[16:17], v11 offset0:24 offset1:26
	ds_write2st64_b32 v11, v14, v15 offset0:16 offset1:18
	ds_read2st64_b32 v[14:15], v11 offset0:28 offset1:30
	s_waitcnt lgkmcnt(3)
	v_pk_mul_f32 v[12:13], v[2:3], v[12:13]
	ds_write2st64_b32 v11, v12, v13 offset0:20 offset1:22
	s_waitcnt lgkmcnt(3)
	v_pk_mul_f32 v[12:13], v[2:3], v[16:17]
	ds_write2st64_b32 v11, v12, v13 offset0:24 offset1:26
	s_waitcnt lgkmcnt(2)
	v_pk_mul_f32 v[12:13], v[2:3], v[14:15]
	s_add_i32 s19, s19, 16
	v_cmp_eq_u32_e32 vcc, 0, v10
	ds_write2st64_b32 v11, v12, v13 offset0:28 offset1:30
	v_add_u32_e32 v11, 0x2000, v11
	s_or_b64 s[40:41], vcc, s[40:41]
	v_mov_b32_e32 v12, s19
	s_andn2_b64 exec, exec, s[40:41]
	s_cbranch_execnz .LBB116_36
; %bb.37:
	s_or_b64 exec, exec, s[40:41]
.LBB116_38:
	s_or_b64 exec, exec, s[10:11]
	v_and_b32_e32 v9, 7, v9
	v_cmp_ne_u32_e32 vcc, 0, v9
	s_and_saveexec_b64 s[10:11], vcc
	s_cbranch_execz .LBB116_41
; %bb.39:
	v_lshlrev_b32_e32 v10, 9, v12
	v_lshlrev_b32_e32 v11, 2, v0
	s_movk_i32 s19, 0x210
	v_add3_u32 v10, v10, v11, s19
	s_mov_b64 s[40:41], 0
.LBB116_40:                             ; =>This Inner Loop Header: Depth=1
	ds_read2st64_b32 v[12:13], v10 offset1:2
	v_add_u32_e32 v9, -1, v9
	v_cmp_eq_u32_e32 vcc, 0, v9
	s_or_b64 s[40:41], vcc, s[40:41]
	s_waitcnt lgkmcnt(0)
	v_pk_mul_f32 v[12:13], v[2:3], v[12:13]
	ds_write2st64_b32 v10, v12, v13 offset1:2
	v_add_u32_e32 v10, 0x400, v10
	s_andn2_b64 exec, exec, s[40:41]
	s_cbranch_execnz .LBB116_40
.LBB116_41:
	s_or_b64 exec, exec, s[10:11]
	v_add_u32_e32 v8, 1, v8
	v_and_b32_e32 v9, 0x3fffffe, v8
	v_cmp_ne_u32_e32 vcc, v8, v9
	v_lshl_add_u32 v3, v9, 7, v0
	s_orn2_b64 s[10:11], vcc, exec
.LBB116_42:
	s_or_b64 exec, exec, s[8:9]
	s_and_b64 exec, exec, s[10:11]
	s_cbranch_execz .LBB116_45
; %bb.43:
	v_mov_b32_e32 v8, 0x210
	v_lshl_add_u32 v8, v3, 2, v8
	s_mov_b64 s[8:9], 0
.LBB116_44:                             ; =>This Inner Loop Header: Depth=1
	ds_read_b32 v9, v8
	v_add_u32_e32 v3, 0x80, v3
	v_cmp_le_i32_e32 vcc, s3, v3
	s_or_b64 s[8:9], vcc, s[8:9]
	s_waitcnt lgkmcnt(0)
	v_mul_f32_e32 v9, v2, v9
	ds_write_b32 v8, v9
	v_add_u32_e32 v8, 0x200, v8
	s_andn2_b64 exec, exec, s[8:9]
	s_cbranch_execnz .LBB116_44
.LBB116_45:
	s_or_b64 exec, exec, s[0:1]
	s_mul_i32 s0, s15, s30
	v_cmp_eq_u32_e32 vcc, 0, v0
	s_mul_i32 s8, s0, s5
	s_waitcnt lgkmcnt(0)
	s_barrier
	s_and_saveexec_b64 s[0:1], vcc
	s_cbranch_execz .LBB116_47
; %bb.46:
	s_ashr_i32 s9, s8, 31
	s_lshl_b64 s[10:11], s[8:9], 2
	s_add_u32 s5, s26, s10
	s_mul_i32 s2, s15, s2
	s_addc_u32 s9, s27, s11
	s_ashr_i32 s3, s2, 31
	s_lshl_b64 s[2:3], s[2:3], 2
	s_add_u32 s19, s5, s2
	s_addc_u32 s9, s9, s3
	s_ashr_i32 s5, s4, 31
	s_lshl_b64 s[26:27], s[4:5], 2
	s_add_u32 s40, s19, s26
	s_addc_u32 s41, s9, s27
	s_add_u32 s5, s24, s10
	s_addc_u32 s9, s25, s11
	;; [unrolled: 2-line block ×3, first 2 shown]
	s_add_u32 s2, s2, s26
	v_mov_b32_e32 v2, 0
	s_addc_u32 s3, s3, s27
	global_store_dword v2, v4, s[40:41]
	global_store_dword v2, v5, s[2:3]
.LBB116_47:
	s_or_b64 exec, exec, s[0:1]
	v_mov_b32_e32 v24, 0
	v_and_b32_e32 v59, 3, v0
	v_mov_b32_e32 v25, 0
	v_mov_b32_e32 v22, 0
	;; [unrolled: 1-line block ×15, first 2 shown]
	s_and_saveexec_b64 s[2:3], s[6:7]
	s_cbranch_execz .LBB116_85
; %bb.48:
	s_ashr_i32 s19, s18, 31
	s_sub_i32 s5, s50, s21
	s_lshl_b64 s[0:1], s[18:19], 1
	s_add_u32 s6, s38, s0
	s_addc_u32 s7, s39, s1
	s_abs_i32 s22, s22
	v_cvt_f32_u32_e32 v3, s22
	s_sub_i32 s0, 0, s22
	s_add_i32 s21, s16, -1
	v_and_b32_e32 v2, 0x1f8, v72
	v_rcp_iflag_f32_e32 v3, v3
	v_mov_b32_e32 v21, 0
	v_or_b32_e32 v4, 0x800, v2
	v_or_b32_e32 v8, 0xa00, v2
	v_mul_f32_e32 v3, 0x4f7ffffe, v3
	v_cvt_u32_f32_e32 v3, v3
	v_or_b32_e32 v10, 0xc00, v2
	v_or_b32_e32 v12, 0xe00, v2
	;; [unrolled: 1-line block ×3, first 2 shown]
	v_mul_lo_u32 v5, s0, v3
	v_mul_hi_u32 v5, v3, v5
	s_lshl_b64 s[0:1], s[36:37], 2
	v_add_u32_e32 v61, v3, v5
	s_add_u32 s0, s34, s0
	v_lshlrev_b32_e32 v3, 5, v59
	v_or_b32_e32 v16, 0x1200, v2
	v_or_b32_e32 v18, 0x1400, v2
	;; [unrolled: 1-line block ×7, first 2 shown]
	s_addc_u32 s1, s35, s1
	v_lshl_or_b32 v3, v73, 7, v3
	v_and_b32_e32 v60, 24, v72
	s_mov_b32 s9, s17
	s_mov_b32 s24, s31
	;; [unrolled: 1-line block ×8, first 2 shown]
	v_lshl_add_u64 v[26:27], v[6:7], 2, s[0:1]
	v_add_u32_e32 v7, 0x210, v3
	s_mov_b64 s[10:11], 0
	v_lshlrev_b32_e32 v28, 1, v2
	s_mov_b32 s34, 0x5040100
	v_lshlrev_b32_e32 v20, 1, v4
	v_lshlrev_b32_e32 v30, 1, v8
	;; [unrolled: 1-line block ×12, first 2 shown]
	v_mov_b32_e32 v9, v21
	v_mov_b32_e32 v8, v21
	;; [unrolled: 1-line block ×16, first 2 shown]
	s_branch .LBB116_51
.LBB116_49:                             ;   in Loop: Header=BB116_51 Depth=1
	s_or_b64 exec, exec, s[0:1]
	v_add_f32_e32 v29, v49, v90
	v_add_f32_e32 v8, v8, v29
	v_add_f32_e32 v29, v47, v89
	v_add_f32_e32 v11, v11, v29
	v_add_f32_e32 v29, v45, v88
	v_add_f32_e32 v10, v10, v29
	v_add_f32_e32 v29, v43, v87
	v_add_f32_e32 v13, v13, v29
	v_add_f32_e32 v29, v41, v86
	v_add_f32_e32 v12, v12, v29
	v_add_f32_e32 v29, v39, v85
	v_add_f32_e32 v15, v15, v29
	v_add_f32_e32 v29, v37, v84
	v_add_f32_e32 v14, v14, v29
	v_add_f32_e32 v29, v35, v83
	v_add_f32_e32 v17, v17, v29
	v_add_f32_e32 v29, v33, v82
	s_waitcnt vmcnt(0)
	;;#ASMSTART
	v_pk_mul_f16 v2, v68, v2;

	;;#ASMEND
	v_add_f32_e32 v16, v16, v29
	v_add_f32_e32 v29, v31, v81
	;;#ASMSTART
	v_pk_mul_f16 v3, v67, v3;

	;;#ASMEND
	;;#ASMSTART
	v_pk_mul_f16 v4, v66, v4;

	;;#ASMEND
	;;#ASMSTART
	v_pk_mul_f16 v5, v65, v5;

	;;#ASMEND
	v_add_f32_e32 v19, v19, v29
	;;#ASMSTART
	v_pk_add_f16 v2, v2, v3;

	;;#ASMEND
	v_add_f32_e32 v29, v79, v80
	;;#ASMSTART
	v_pk_add_f16 v2, v2, v4;

	;;#ASMEND
	v_add_f32_e32 v18, v18, v29
	v_add_f32_e32 v29, v54, v55
	;;#ASMSTART
	v_pk_add_f16 v2, v2, v5;

	;;#ASMEND
	v_add_f32_e32 v23, v23, v29
	v_add_f32_e32 v29, v77, v78
	v_lshrrev_b32_e32 v3, 16, v2
	v_and_b32_e32 v2, 0xffff, v2
	v_add_f32_e32 v22, v22, v29
	v_add_f32_e32 v29, v75, v76
	;;#ASMSTART
	v_cvt_f32_f16 v2, v2;
	;;#ASMEND
	v_add_f32_e32 v25, v25, v29
	v_add_f32_e32 v29, v73, v74
	;;#ASMSTART
	v_cvt_f32_f16 v3, v3;
	;;#ASMEND
	v_add_f32_e32 v24, v24, v29
	v_add_f32_e32 v2, v2, v3
	;; [unrolled: 1-line block ×3, first 2 shown]
.LBB116_50:                             ;   in Loop: Header=BB116_51 Depth=1
	s_or_b64 exec, exec, s[16:17]
	v_add_u32_e32 v6, 2, v6
	v_cmp_le_i32_e32 vcc, s20, v6
	v_lshl_add_u64 v[26:27], v[26:27], 0, 8
	v_add_u32_e32 v1, 64, v1
	s_or_b64 s[10:11], vcc, s[10:11]
	v_add_u32_e32 v7, 0x100, v7
	s_andn2_b64 exec, exec, s[10:11]
	s_cbranch_execz .LBB116_84
.LBB116_51:                             ; =>This Inner Loop Header: Depth=1
	v_sub_u32_e32 v3, 0, v1
	v_max_i32_e32 v3, v1, v3
	v_mul_hi_u32 v4, v3, s48
	v_mul_lo_u32 v5, v4, s33
	v_sub_u32_e32 v3, v3, v5
	v_add_u32_e32 v5, 1, v4
	v_cmp_le_u32_e32 vcc, s33, v3
	v_ashrrev_i32_e32 v2, 31, v1
	v_xor_b32_e32 v2, s23, v2
	v_cndmask_b32_e32 v4, v4, v5, vcc
	v_subrev_u32_e32 v5, s33, v3
	v_cndmask_b32_e32 v3, v3, v5, vcc
	v_add_u32_e32 v5, 1, v4
	v_cmp_le_u32_e32 vcc, s33, v3
	s_nop 1
	v_cndmask_b32_e32 v3, v4, v5, vcc
	v_xor_b32_e32 v3, v3, v2
	v_sub_u32_e32 v2, v3, v2
	v_add_u32_e32 v3, s49, v2
	v_sub_u32_e32 v5, 0, v3
	v_ashrrev_i32_e32 v4, 31, v3
	v_max_i32_e32 v3, v3, v5
	v_mul_hi_u32 v5, v3, v61
	v_mul_lo_u32 v5, v5, s22
	v_sub_u32_e32 v3, v3, v5
	v_subrev_u32_e32 v5, s22, v3
	v_cmp_le_u32_e32 vcc, s22, v3
	v_cmp_lt_i32_e64 s[0:1], s5, v2
	s_nop 0
	v_cndmask_b32_e32 v3, v3, v5, vcc
	v_subrev_u32_e32 v5, s22, v3
	v_cmp_le_u32_e32 vcc, s22, v3
	s_nop 1
	v_cndmask_b32_e32 v3, v3, v5, vcc
	v_xor_b32_e32 v3, v3, v4
	v_sub_u32_e32 v3, v3, v4
	v_cmp_eq_u32_e32 vcc, 0, v3
	s_or_b64 s[0:1], vcc, s[0:1]
	s_and_saveexec_b64 s[16:17], s[0:1]
	s_cbranch_execz .LBB116_50
; %bb.52:                               ;   in Loop: Header=BB116_51 Depth=1
	global_load_dword v29, v[26:27], off
	ds_read2_b64 v[2:5], v7 offset1:1
	ds_read2_b64 v[52:55], v7 offset0:2 offset1:3
	v_cmp_eq_u32_e32 vcc, s21, v6
	s_waitcnt lgkmcnt(1)
	;;#ASMSTART
	v_cvt_f16_f32 v31, v2;

	;;#ASMEND
	;;#ASMSTART
	v_cvt_f16_f32 v33, v3;

	;;#ASMEND
	;; [unrolled: 4-line block ×4, first 2 shown]
	s_waitcnt lgkmcnt(0)
	;;#ASMSTART
	v_cvt_f16_f32 v39, v52;

	;;#ASMEND
	;;#ASMSTART
	v_cvt_f16_f32 v41, v53;

	;;#ASMEND
	;; [unrolled: 4-line block ×4, first 2 shown]
	s_waitcnt vmcnt(0)
	v_mad_i64_i32 v[2:3], s[0:1], v29, s9, 0
	v_lshl_add_u64 v[52:53], v[2:3], 1, s[6:7]
	v_mov_b32_e32 v29, v21
	v_lshl_add_u64 v[54:55], v[52:53], 0, v[28:29]
	global_load_dwordx4 v[2:5], v[54:55], off
	v_add_u32_e32 v29, v60, v1
	v_add_u32_e32 v62, 1, v29
	v_or_b32_e32 v64, 3, v29
	v_or_b32_e32 v63, 2, v29
	;; [unrolled: 1-line block ×6, first 2 shown]
	s_and_saveexec_b64 s[18:19], vcc
	s_cbranch_execz .LBB116_54
; %bb.53:                               ;   in Loop: Header=BB116_51 Depth=1
	s_waitcnt vmcnt(0)
	v_lshrrev_b32_e32 v47, 16, v5
	v_cmp_gt_i32_e64 s[0:1], s39, v72
	s_nop 1
	v_cndmask_b32_e64 v47, 0, v47, s[0:1]
	v_cmp_gt_i32_e64 s[0:1], s38, v71
	s_nop 1
	v_cndmask_b32_e64 v5, 0, v5, s[0:1]
	v_perm_b32 v5, v47, v5, s34
	v_lshrrev_b32_e32 v47, 16, v4
	v_cmp_gt_i32_e64 s[0:1], s30, v70
	s_nop 1
	v_cndmask_b32_e64 v47, 0, v47, s[0:1]
	v_cmp_gt_i32_e64 s[0:1], s27, v69
	s_nop 1
	v_cndmask_b32_e64 v4, 0, v4, s[0:1]
	v_perm_b32 v4, v47, v4, s34
	;; [unrolled: 8-line block ×4, first 2 shown]
.LBB116_54:                             ;   in Loop: Header=BB116_51 Depth=1
	s_or_b64 exec, exec, s[18:19]
	v_and_b32_e32 v31, 0xffff, v31
	v_lshl_or_b32 v68, v33, 16, v31
	v_and_b32_e32 v31, 0xffff, v35
	v_lshl_or_b32 v67, v37, 16, v31
	;; [unrolled: 2-line block ×3, first 2 shown]
	v_and_b32_e32 v31, 0xffff, v43
	s_waitcnt vmcnt(0)
	;;#ASMSTART
	v_pk_mul_f16 v2, v68, v2;

	;;#ASMEND
	v_lshl_or_b32 v65, v45, 16, v31
	;;#ASMSTART
	v_pk_mul_f16 v3, v67, v3;

	;;#ASMEND
	;;#ASMSTART
	v_pk_mul_f16 v4, v66, v4;

	;;#ASMEND
	;; [unrolled: 4-line block ×3, first 2 shown]
	s_nop 0
	;;#ASMSTART
	v_pk_add_f16 v2, v2, v3;

	;;#ASMEND
	s_nop 0
	;;#ASMSTART
	v_pk_add_f16 v2, v2, v4;

	;;#ASMEND
	s_nop 0
	;;#ASMSTART
	v_pk_add_f16 v2, v2, v5;

	;;#ASMEND
	s_nop 0
	v_lshrrev_b32_e32 v3, 16, v2
	v_and_b32_e32 v2, 0xffff, v2
	;;#ASMSTART
	v_cvt_f32_f16 v73, v2;
	;;#ASMEND
	;;#ASMSTART
	v_cvt_f32_f16 v74, v3;
	;;#ASMEND
	global_load_dwordx4 v[2:5], v[54:55], off offset:1024
	s_and_saveexec_b64 s[18:19], vcc
	s_cbranch_execz .LBB116_56
; %bb.55:                               ;   in Loop: Header=BB116_51 Depth=1
	s_waitcnt vmcnt(0)
	v_lshrrev_b32_e32 v31, 16, v5
	v_cmp_gt_i32_e64 s[0:1], s39, v72
	s_nop 1
	v_cndmask_b32_e64 v31, 0, v31, s[0:1]
	v_cmp_gt_i32_e64 s[0:1], s38, v71
	s_nop 1
	v_cndmask_b32_e64 v5, 0, v5, s[0:1]
	v_perm_b32 v5, v31, v5, s34
	v_lshrrev_b32_e32 v31, 16, v4
	v_cmp_gt_i32_e64 s[0:1], s30, v70
	s_nop 1
	v_cndmask_b32_e64 v31, 0, v31, s[0:1]
	v_cmp_gt_i32_e64 s[0:1], s27, v69
	s_nop 1
	v_cndmask_b32_e64 v4, 0, v4, s[0:1]
	v_perm_b32 v4, v31, v4, s34
	;; [unrolled: 8-line block ×4, first 2 shown]
.LBB116_56:                             ;   in Loop: Header=BB116_51 Depth=1
	s_or_b64 exec, exec, s[18:19]
	s_waitcnt vmcnt(0)
	;;#ASMSTART
	v_pk_mul_f16 v2, v68, v2;

	;;#ASMEND
	;;#ASMSTART
	v_pk_mul_f16 v3, v67, v3;

	;;#ASMEND
	;; [unrolled: 4-line block ×4, first 2 shown]
	s_nop 0
	;;#ASMSTART
	v_pk_add_f16 v2, v2, v3;

	;;#ASMEND
	s_nop 0
	;;#ASMSTART
	v_pk_add_f16 v2, v2, v4;

	;;#ASMEND
	;; [unrolled: 5-line block ×3, first 2 shown]
	s_nop 0
	v_lshrrev_b32_e32 v3, 16, v2
	v_and_b32_e32 v2, 0xffff, v2
	;;#ASMSTART
	v_cvt_f32_f16 v75, v2;
	;;#ASMEND
	;;#ASMSTART
	v_cvt_f32_f16 v76, v3;
	;;#ASMEND
	global_load_dwordx4 v[2:5], v[54:55], off offset:2048
	s_and_saveexec_b64 s[18:19], vcc
	s_cbranch_execz .LBB116_58
; %bb.57:                               ;   in Loop: Header=BB116_51 Depth=1
	s_waitcnt vmcnt(0)
	v_lshrrev_b32_e32 v31, 16, v5
	v_cmp_gt_i32_e64 s[0:1], s39, v72
	s_nop 1
	v_cndmask_b32_e64 v31, 0, v31, s[0:1]
	v_cmp_gt_i32_e64 s[0:1], s38, v71
	s_nop 1
	v_cndmask_b32_e64 v5, 0, v5, s[0:1]
	v_perm_b32 v5, v31, v5, s34
	v_lshrrev_b32_e32 v31, 16, v4
	v_cmp_gt_i32_e64 s[0:1], s30, v70
	s_nop 1
	v_cndmask_b32_e64 v31, 0, v31, s[0:1]
	v_cmp_gt_i32_e64 s[0:1], s27, v69
	s_nop 1
	v_cndmask_b32_e64 v4, 0, v4, s[0:1]
	v_perm_b32 v4, v31, v4, s34
	;; [unrolled: 8-line block ×4, first 2 shown]
.LBB116_58:                             ;   in Loop: Header=BB116_51 Depth=1
	s_or_b64 exec, exec, s[18:19]
	s_waitcnt vmcnt(0)
	;;#ASMSTART
	v_pk_mul_f16 v2, v68, v2;

	;;#ASMEND
	;;#ASMSTART
	v_pk_mul_f16 v3, v67, v3;

	;;#ASMEND
	;; [unrolled: 4-line block ×4, first 2 shown]
	s_nop 0
	;;#ASMSTART
	v_pk_add_f16 v2, v2, v3;

	;;#ASMEND
	s_nop 0
	;;#ASMSTART
	v_pk_add_f16 v2, v2, v4;

	;;#ASMEND
	;; [unrolled: 5-line block ×3, first 2 shown]
	s_nop 0
	v_lshrrev_b32_e32 v3, 16, v2
	v_and_b32_e32 v2, 0xffff, v2
	;;#ASMSTART
	v_cvt_f32_f16 v77, v2;
	;;#ASMEND
	;;#ASMSTART
	v_cvt_f32_f16 v78, v3;
	;;#ASMEND
	global_load_dwordx4 v[2:5], v[54:55], off offset:3072
	s_and_saveexec_b64 s[18:19], vcc
	s_cbranch_execz .LBB116_60
; %bb.59:                               ;   in Loop: Header=BB116_51 Depth=1
	s_waitcnt vmcnt(0)
	v_lshrrev_b32_e32 v31, 16, v5
	v_cmp_gt_i32_e64 s[0:1], s39, v72
	s_nop 1
	v_cndmask_b32_e64 v31, 0, v31, s[0:1]
	v_cmp_gt_i32_e64 s[0:1], s38, v71
	s_nop 1
	v_cndmask_b32_e64 v5, 0, v5, s[0:1]
	v_perm_b32 v5, v31, v5, s34
	v_lshrrev_b32_e32 v31, 16, v4
	v_cmp_gt_i32_e64 s[0:1], s30, v70
	s_nop 1
	v_cndmask_b32_e64 v31, 0, v31, s[0:1]
	v_cmp_gt_i32_e64 s[0:1], s27, v69
	s_nop 1
	v_cndmask_b32_e64 v4, 0, v4, s[0:1]
	v_perm_b32 v4, v31, v4, s34
	;; [unrolled: 8-line block ×4, first 2 shown]
.LBB116_60:                             ;   in Loop: Header=BB116_51 Depth=1
	s_or_b64 exec, exec, s[18:19]
	s_waitcnt vmcnt(0)
	;;#ASMSTART
	v_pk_mul_f16 v2, v68, v2;

	;;#ASMEND
	;;#ASMSTART
	v_pk_mul_f16 v3, v67, v3;

	;;#ASMEND
	;; [unrolled: 4-line block ×4, first 2 shown]
	s_nop 0
	;;#ASMSTART
	v_pk_add_f16 v2, v2, v3;

	;;#ASMEND
	s_nop 0
	;;#ASMSTART
	v_pk_add_f16 v2, v2, v4;

	;;#ASMEND
	;; [unrolled: 5-line block ×3, first 2 shown]
	s_nop 0
	v_lshrrev_b32_e32 v3, 16, v2
	v_and_b32_e32 v2, 0xffff, v2
	;;#ASMSTART
	v_cvt_f32_f16 v54, v2;
	;;#ASMEND
	;;#ASMSTART
	v_cvt_f32_f16 v55, v3;
	;;#ASMEND
	v_lshl_add_u64 v[2:3], v[52:53], 0, v[20:21]
	global_load_dwordx4 v[2:5], v[2:3], off
	s_and_saveexec_b64 s[18:19], vcc
	s_cbranch_execz .LBB116_62
; %bb.61:                               ;   in Loop: Header=BB116_51 Depth=1
	s_waitcnt vmcnt(0)
	v_lshrrev_b32_e32 v31, 16, v5
	v_cmp_gt_i32_e64 s[0:1], s39, v72
	s_nop 1
	v_cndmask_b32_e64 v31, 0, v31, s[0:1]
	v_cmp_gt_i32_e64 s[0:1], s38, v71
	s_nop 1
	v_cndmask_b32_e64 v5, 0, v5, s[0:1]
	v_perm_b32 v5, v31, v5, s34
	v_lshrrev_b32_e32 v31, 16, v4
	v_cmp_gt_i32_e64 s[0:1], s30, v70
	s_nop 1
	v_cndmask_b32_e64 v31, 0, v31, s[0:1]
	v_cmp_gt_i32_e64 s[0:1], s27, v69
	s_nop 1
	v_cndmask_b32_e64 v4, 0, v4, s[0:1]
	v_perm_b32 v4, v31, v4, s34
	;; [unrolled: 8-line block ×4, first 2 shown]
.LBB116_62:                             ;   in Loop: Header=BB116_51 Depth=1
	s_or_b64 exec, exec, s[18:19]
	s_waitcnt vmcnt(0)
	;;#ASMSTART
	v_pk_mul_f16 v2, v68, v2;

	;;#ASMEND
	;;#ASMSTART
	v_pk_mul_f16 v3, v67, v3;

	;;#ASMEND
	;; [unrolled: 4-line block ×4, first 2 shown]
	v_mov_b32_e32 v31, v21
	;;#ASMSTART
	v_pk_add_f16 v2, v2, v3;

	;;#ASMEND
	s_nop 0
	;;#ASMSTART
	v_pk_add_f16 v2, v2, v4;

	;;#ASMEND
	s_nop 0
	;; [unrolled: 5-line block ×3, first 2 shown]
	v_lshrrev_b32_e32 v3, 16, v2
	v_and_b32_e32 v2, 0xffff, v2
	;;#ASMSTART
	v_cvt_f32_f16 v79, v2;
	;;#ASMEND
	;;#ASMSTART
	v_cvt_f32_f16 v80, v3;
	;;#ASMEND
	v_lshl_add_u64 v[2:3], v[52:53], 0, v[30:31]
	global_load_dwordx4 v[2:5], v[2:3], off
	s_and_saveexec_b64 s[18:19], vcc
	s_cbranch_execz .LBB116_64
; %bb.63:                               ;   in Loop: Header=BB116_51 Depth=1
	s_waitcnt vmcnt(0)
	v_lshrrev_b32_e32 v31, 16, v5
	v_cmp_gt_i32_e64 s[0:1], s39, v72
	s_nop 1
	v_cndmask_b32_e64 v31, 0, v31, s[0:1]
	v_cmp_gt_i32_e64 s[0:1], s38, v71
	s_nop 1
	v_cndmask_b32_e64 v5, 0, v5, s[0:1]
	v_perm_b32 v5, v31, v5, s34
	v_lshrrev_b32_e32 v31, 16, v4
	v_cmp_gt_i32_e64 s[0:1], s30, v70
	s_nop 1
	v_cndmask_b32_e64 v31, 0, v31, s[0:1]
	v_cmp_gt_i32_e64 s[0:1], s27, v69
	s_nop 1
	v_cndmask_b32_e64 v4, 0, v4, s[0:1]
	v_perm_b32 v4, v31, v4, s34
	;; [unrolled: 8-line block ×4, first 2 shown]
.LBB116_64:                             ;   in Loop: Header=BB116_51 Depth=1
	s_or_b64 exec, exec, s[18:19]
	s_waitcnt vmcnt(0)
	;;#ASMSTART
	v_pk_mul_f16 v2, v68, v2;

	;;#ASMEND
	;;#ASMSTART
	v_pk_mul_f16 v3, v67, v3;

	;;#ASMEND
	;; [unrolled: 4-line block ×4, first 2 shown]
	v_mov_b32_e32 v33, v21
	;;#ASMSTART
	v_pk_add_f16 v2, v2, v3;

	;;#ASMEND
	s_nop 0
	;;#ASMSTART
	v_pk_add_f16 v2, v2, v4;

	;;#ASMEND
	s_nop 0
	;; [unrolled: 5-line block ×3, first 2 shown]
	v_lshrrev_b32_e32 v3, 16, v2
	v_and_b32_e32 v2, 0xffff, v2
	;;#ASMSTART
	v_cvt_f32_f16 v31, v2;
	;;#ASMEND
	;;#ASMSTART
	v_cvt_f32_f16 v81, v3;
	;;#ASMEND
	v_lshl_add_u64 v[2:3], v[52:53], 0, v[32:33]
	global_load_dwordx4 v[2:5], v[2:3], off
	s_and_saveexec_b64 s[18:19], vcc
	s_cbranch_execz .LBB116_66
; %bb.65:                               ;   in Loop: Header=BB116_51 Depth=1
	s_waitcnt vmcnt(0)
	v_lshrrev_b32_e32 v33, 16, v5
	v_cmp_gt_i32_e64 s[0:1], s39, v72
	s_nop 1
	v_cndmask_b32_e64 v33, 0, v33, s[0:1]
	v_cmp_gt_i32_e64 s[0:1], s38, v71
	s_nop 1
	v_cndmask_b32_e64 v5, 0, v5, s[0:1]
	v_perm_b32 v5, v33, v5, s34
	v_lshrrev_b32_e32 v33, 16, v4
	v_cmp_gt_i32_e64 s[0:1], s30, v70
	s_nop 1
	v_cndmask_b32_e64 v33, 0, v33, s[0:1]
	v_cmp_gt_i32_e64 s[0:1], s27, v69
	s_nop 1
	v_cndmask_b32_e64 v4, 0, v4, s[0:1]
	v_perm_b32 v4, v33, v4, s34
	v_lshrrev_b32_e32 v33, 16, v3
	v_cmp_gt_i32_e64 s[0:1], s26, v64
	s_nop 1
	v_cndmask_b32_e64 v33, 0, v33, s[0:1]
	v_cmp_gt_i32_e64 s[0:1], s25, v63
	s_nop 1
	v_cndmask_b32_e64 v3, 0, v3, s[0:1]
	v_perm_b32 v3, v33, v3, s34
	v_lshrrev_b32_e32 v33, 16, v2
	v_cmp_gt_i32_e64 s[0:1], s24, v62
	s_nop 1
	v_cndmask_b32_e64 v33, 0, v33, s[0:1]
	v_cmp_gt_i32_e64 s[0:1], s31, v29
	s_nop 1
	v_cndmask_b32_e64 v2, 0, v2, s[0:1]
	v_perm_b32 v2, v33, v2, s34
.LBB116_66:                             ;   in Loop: Header=BB116_51 Depth=1
	s_or_b64 exec, exec, s[18:19]
	s_waitcnt vmcnt(0)
	;;#ASMSTART
	v_pk_mul_f16 v2, v68, v2;

	;;#ASMEND
	;;#ASMSTART
	v_pk_mul_f16 v3, v67, v3;

	;;#ASMEND
	;; [unrolled: 4-line block ×4, first 2 shown]
	v_mov_b32_e32 v35, v21
	;;#ASMSTART
	v_pk_add_f16 v2, v2, v3;

	;;#ASMEND
	s_nop 0
	;;#ASMSTART
	v_pk_add_f16 v2, v2, v4;

	;;#ASMEND
	s_nop 0
	;; [unrolled: 5-line block ×3, first 2 shown]
	v_lshrrev_b32_e32 v3, 16, v2
	v_and_b32_e32 v2, 0xffff, v2
	;;#ASMSTART
	v_cvt_f32_f16 v33, v2;
	;;#ASMEND
	;;#ASMSTART
	v_cvt_f32_f16 v82, v3;
	;;#ASMEND
	v_lshl_add_u64 v[2:3], v[52:53], 0, v[34:35]
	global_load_dwordx4 v[2:5], v[2:3], off
	s_and_saveexec_b64 s[18:19], vcc
	s_cbranch_execz .LBB116_68
; %bb.67:                               ;   in Loop: Header=BB116_51 Depth=1
	s_waitcnt vmcnt(0)
	v_lshrrev_b32_e32 v35, 16, v5
	v_cmp_gt_i32_e64 s[0:1], s39, v72
	s_nop 1
	v_cndmask_b32_e64 v35, 0, v35, s[0:1]
	v_cmp_gt_i32_e64 s[0:1], s38, v71
	s_nop 1
	v_cndmask_b32_e64 v5, 0, v5, s[0:1]
	v_perm_b32 v5, v35, v5, s34
	v_lshrrev_b32_e32 v35, 16, v4
	v_cmp_gt_i32_e64 s[0:1], s30, v70
	s_nop 1
	v_cndmask_b32_e64 v35, 0, v35, s[0:1]
	v_cmp_gt_i32_e64 s[0:1], s27, v69
	s_nop 1
	v_cndmask_b32_e64 v4, 0, v4, s[0:1]
	v_perm_b32 v4, v35, v4, s34
	;; [unrolled: 8-line block ×4, first 2 shown]
.LBB116_68:                             ;   in Loop: Header=BB116_51 Depth=1
	s_or_b64 exec, exec, s[18:19]
	s_waitcnt vmcnt(0)
	;;#ASMSTART
	v_pk_mul_f16 v2, v68, v2;

	;;#ASMEND
	;;#ASMSTART
	v_pk_mul_f16 v3, v67, v3;

	;;#ASMEND
	;; [unrolled: 4-line block ×4, first 2 shown]
	v_mov_b32_e32 v37, v21
	;;#ASMSTART
	v_pk_add_f16 v2, v2, v3;

	;;#ASMEND
	s_nop 0
	;;#ASMSTART
	v_pk_add_f16 v2, v2, v4;

	;;#ASMEND
	s_nop 0
	;; [unrolled: 5-line block ×3, first 2 shown]
	v_lshrrev_b32_e32 v3, 16, v2
	v_and_b32_e32 v2, 0xffff, v2
	;;#ASMSTART
	v_cvt_f32_f16 v35, v2;
	;;#ASMEND
	;;#ASMSTART
	v_cvt_f32_f16 v83, v3;
	;;#ASMEND
	v_lshl_add_u64 v[2:3], v[52:53], 0, v[36:37]
	global_load_dwordx4 v[2:5], v[2:3], off
	s_and_saveexec_b64 s[18:19], vcc
	s_cbranch_execz .LBB116_70
; %bb.69:                               ;   in Loop: Header=BB116_51 Depth=1
	s_waitcnt vmcnt(0)
	v_lshrrev_b32_e32 v37, 16, v5
	v_cmp_gt_i32_e64 s[0:1], s39, v72
	s_nop 1
	v_cndmask_b32_e64 v37, 0, v37, s[0:1]
	v_cmp_gt_i32_e64 s[0:1], s38, v71
	s_nop 1
	v_cndmask_b32_e64 v5, 0, v5, s[0:1]
	v_perm_b32 v5, v37, v5, s34
	v_lshrrev_b32_e32 v37, 16, v4
	v_cmp_gt_i32_e64 s[0:1], s30, v70
	s_nop 1
	v_cndmask_b32_e64 v37, 0, v37, s[0:1]
	v_cmp_gt_i32_e64 s[0:1], s27, v69
	s_nop 1
	v_cndmask_b32_e64 v4, 0, v4, s[0:1]
	v_perm_b32 v4, v37, v4, s34
	;; [unrolled: 8-line block ×4, first 2 shown]
.LBB116_70:                             ;   in Loop: Header=BB116_51 Depth=1
	s_or_b64 exec, exec, s[18:19]
	s_waitcnt vmcnt(0)
	;;#ASMSTART
	v_pk_mul_f16 v2, v68, v2;

	;;#ASMEND
	;;#ASMSTART
	v_pk_mul_f16 v3, v67, v3;

	;;#ASMEND
	;; [unrolled: 4-line block ×4, first 2 shown]
	v_mov_b32_e32 v39, v21
	;;#ASMSTART
	v_pk_add_f16 v2, v2, v3;

	;;#ASMEND
	s_nop 0
	;;#ASMSTART
	v_pk_add_f16 v2, v2, v4;

	;;#ASMEND
	s_nop 0
	;; [unrolled: 5-line block ×3, first 2 shown]
	v_lshrrev_b32_e32 v3, 16, v2
	v_and_b32_e32 v2, 0xffff, v2
	;;#ASMSTART
	v_cvt_f32_f16 v37, v2;
	;;#ASMEND
	;;#ASMSTART
	v_cvt_f32_f16 v84, v3;
	;;#ASMEND
	v_lshl_add_u64 v[2:3], v[52:53], 0, v[38:39]
	global_load_dwordx4 v[2:5], v[2:3], off
	s_and_saveexec_b64 s[18:19], vcc
	s_cbranch_execz .LBB116_72
; %bb.71:                               ;   in Loop: Header=BB116_51 Depth=1
	s_waitcnt vmcnt(0)
	v_lshrrev_b32_e32 v39, 16, v5
	v_cmp_gt_i32_e64 s[0:1], s39, v72
	s_nop 1
	v_cndmask_b32_e64 v39, 0, v39, s[0:1]
	v_cmp_gt_i32_e64 s[0:1], s38, v71
	s_nop 1
	v_cndmask_b32_e64 v5, 0, v5, s[0:1]
	v_perm_b32 v5, v39, v5, s34
	v_lshrrev_b32_e32 v39, 16, v4
	v_cmp_gt_i32_e64 s[0:1], s30, v70
	s_nop 1
	v_cndmask_b32_e64 v39, 0, v39, s[0:1]
	v_cmp_gt_i32_e64 s[0:1], s27, v69
	s_nop 1
	v_cndmask_b32_e64 v4, 0, v4, s[0:1]
	v_perm_b32 v4, v39, v4, s34
	;; [unrolled: 8-line block ×4, first 2 shown]
.LBB116_72:                             ;   in Loop: Header=BB116_51 Depth=1
	s_or_b64 exec, exec, s[18:19]
	s_waitcnt vmcnt(0)
	;;#ASMSTART
	v_pk_mul_f16 v2, v68, v2;

	;;#ASMEND
	;;#ASMSTART
	v_pk_mul_f16 v3, v67, v3;

	;;#ASMEND
	;; [unrolled: 4-line block ×4, first 2 shown]
	v_mov_b32_e32 v41, v21
	;;#ASMSTART
	v_pk_add_f16 v2, v2, v3;

	;;#ASMEND
	s_nop 0
	;;#ASMSTART
	v_pk_add_f16 v2, v2, v4;

	;;#ASMEND
	s_nop 0
	;; [unrolled: 5-line block ×3, first 2 shown]
	v_lshrrev_b32_e32 v3, 16, v2
	v_and_b32_e32 v2, 0xffff, v2
	;;#ASMSTART
	v_cvt_f32_f16 v39, v2;
	;;#ASMEND
	;;#ASMSTART
	v_cvt_f32_f16 v85, v3;
	;;#ASMEND
	v_lshl_add_u64 v[2:3], v[52:53], 0, v[40:41]
	global_load_dwordx4 v[2:5], v[2:3], off
	s_and_saveexec_b64 s[18:19], vcc
	s_cbranch_execz .LBB116_74
; %bb.73:                               ;   in Loop: Header=BB116_51 Depth=1
	s_waitcnt vmcnt(0)
	v_lshrrev_b32_e32 v41, 16, v5
	v_cmp_gt_i32_e64 s[0:1], s39, v72
	s_nop 1
	v_cndmask_b32_e64 v41, 0, v41, s[0:1]
	v_cmp_gt_i32_e64 s[0:1], s38, v71
	s_nop 1
	v_cndmask_b32_e64 v5, 0, v5, s[0:1]
	v_perm_b32 v5, v41, v5, s34
	v_lshrrev_b32_e32 v41, 16, v4
	v_cmp_gt_i32_e64 s[0:1], s30, v70
	s_nop 1
	v_cndmask_b32_e64 v41, 0, v41, s[0:1]
	v_cmp_gt_i32_e64 s[0:1], s27, v69
	s_nop 1
	v_cndmask_b32_e64 v4, 0, v4, s[0:1]
	v_perm_b32 v4, v41, v4, s34
	;; [unrolled: 8-line block ×4, first 2 shown]
.LBB116_74:                             ;   in Loop: Header=BB116_51 Depth=1
	s_or_b64 exec, exec, s[18:19]
	s_waitcnt vmcnt(0)
	;;#ASMSTART
	v_pk_mul_f16 v2, v68, v2;

	;;#ASMEND
	;;#ASMSTART
	v_pk_mul_f16 v3, v67, v3;

	;;#ASMEND
	;;#ASMSTART
	v_pk_mul_f16 v4, v66, v4;

	;;#ASMEND
	;;#ASMSTART
	v_pk_mul_f16 v5, v65, v5;

	;;#ASMEND
	v_mov_b32_e32 v43, v21
	;;#ASMSTART
	v_pk_add_f16 v2, v2, v3;

	;;#ASMEND
	s_nop 0
	;;#ASMSTART
	v_pk_add_f16 v2, v2, v4;

	;;#ASMEND
	s_nop 0
	;; [unrolled: 5-line block ×3, first 2 shown]
	v_lshrrev_b32_e32 v3, 16, v2
	v_and_b32_e32 v2, 0xffff, v2
	;;#ASMSTART
	v_cvt_f32_f16 v41, v2;
	;;#ASMEND
	;;#ASMSTART
	v_cvt_f32_f16 v86, v3;
	;;#ASMEND
	v_lshl_add_u64 v[2:3], v[52:53], 0, v[42:43]
	global_load_dwordx4 v[2:5], v[2:3], off
	s_and_saveexec_b64 s[18:19], vcc
	s_cbranch_execz .LBB116_76
; %bb.75:                               ;   in Loop: Header=BB116_51 Depth=1
	s_waitcnt vmcnt(0)
	v_lshrrev_b32_e32 v43, 16, v5
	v_cmp_gt_i32_e64 s[0:1], s39, v72
	s_nop 1
	v_cndmask_b32_e64 v43, 0, v43, s[0:1]
	v_cmp_gt_i32_e64 s[0:1], s38, v71
	s_nop 1
	v_cndmask_b32_e64 v5, 0, v5, s[0:1]
	v_perm_b32 v5, v43, v5, s34
	v_lshrrev_b32_e32 v43, 16, v4
	v_cmp_gt_i32_e64 s[0:1], s30, v70
	s_nop 1
	v_cndmask_b32_e64 v43, 0, v43, s[0:1]
	v_cmp_gt_i32_e64 s[0:1], s27, v69
	s_nop 1
	v_cndmask_b32_e64 v4, 0, v4, s[0:1]
	v_perm_b32 v4, v43, v4, s34
	;; [unrolled: 8-line block ×4, first 2 shown]
.LBB116_76:                             ;   in Loop: Header=BB116_51 Depth=1
	s_or_b64 exec, exec, s[18:19]
	s_waitcnt vmcnt(0)
	;;#ASMSTART
	v_pk_mul_f16 v2, v68, v2;

	;;#ASMEND
	;;#ASMSTART
	v_pk_mul_f16 v3, v67, v3;

	;;#ASMEND
	;;#ASMSTART
	v_pk_mul_f16 v4, v66, v4;

	;;#ASMEND
	;;#ASMSTART
	v_pk_mul_f16 v5, v65, v5;

	;;#ASMEND
	v_mov_b32_e32 v45, v21
	;;#ASMSTART
	v_pk_add_f16 v2, v2, v3;

	;;#ASMEND
	s_nop 0
	;;#ASMSTART
	v_pk_add_f16 v2, v2, v4;

	;;#ASMEND
	s_nop 0
	;; [unrolled: 5-line block ×3, first 2 shown]
	v_lshrrev_b32_e32 v3, 16, v2
	v_and_b32_e32 v2, 0xffff, v2
	;;#ASMSTART
	v_cvt_f32_f16 v43, v2;
	;;#ASMEND
	;;#ASMSTART
	v_cvt_f32_f16 v87, v3;
	;;#ASMEND
	v_lshl_add_u64 v[2:3], v[52:53], 0, v[44:45]
	global_load_dwordx4 v[2:5], v[2:3], off
	s_and_saveexec_b64 s[18:19], vcc
	s_cbranch_execz .LBB116_78
; %bb.77:                               ;   in Loop: Header=BB116_51 Depth=1
	s_waitcnt vmcnt(0)
	v_lshrrev_b32_e32 v45, 16, v5
	v_cmp_gt_i32_e64 s[0:1], s39, v72
	s_nop 1
	v_cndmask_b32_e64 v45, 0, v45, s[0:1]
	v_cmp_gt_i32_e64 s[0:1], s38, v71
	s_nop 1
	v_cndmask_b32_e64 v5, 0, v5, s[0:1]
	v_perm_b32 v5, v45, v5, s34
	v_lshrrev_b32_e32 v45, 16, v4
	v_cmp_gt_i32_e64 s[0:1], s30, v70
	s_nop 1
	v_cndmask_b32_e64 v45, 0, v45, s[0:1]
	v_cmp_gt_i32_e64 s[0:1], s27, v69
	s_nop 1
	v_cndmask_b32_e64 v4, 0, v4, s[0:1]
	v_perm_b32 v4, v45, v4, s34
	;; [unrolled: 8-line block ×4, first 2 shown]
.LBB116_78:                             ;   in Loop: Header=BB116_51 Depth=1
	s_or_b64 exec, exec, s[18:19]
	s_waitcnt vmcnt(0)
	;;#ASMSTART
	v_pk_mul_f16 v2, v68, v2;

	;;#ASMEND
	;;#ASMSTART
	v_pk_mul_f16 v3, v67, v3;

	;;#ASMEND
	;; [unrolled: 4-line block ×4, first 2 shown]
	v_mov_b32_e32 v47, v21
	;;#ASMSTART
	v_pk_add_f16 v2, v2, v3;

	;;#ASMEND
	s_nop 0
	;;#ASMSTART
	v_pk_add_f16 v2, v2, v4;

	;;#ASMEND
	s_nop 0
	;; [unrolled: 5-line block ×3, first 2 shown]
	v_lshrrev_b32_e32 v3, 16, v2
	v_and_b32_e32 v2, 0xffff, v2
	;;#ASMSTART
	v_cvt_f32_f16 v45, v2;
	;;#ASMEND
	;;#ASMSTART
	v_cvt_f32_f16 v88, v3;
	;;#ASMEND
	v_lshl_add_u64 v[2:3], v[52:53], 0, v[46:47]
	global_load_dwordx4 v[2:5], v[2:3], off
	s_and_saveexec_b64 s[18:19], vcc
	s_cbranch_execz .LBB116_80
; %bb.79:                               ;   in Loop: Header=BB116_51 Depth=1
	s_waitcnt vmcnt(0)
	v_lshrrev_b32_e32 v47, 16, v5
	v_cmp_gt_i32_e64 s[0:1], s39, v72
	s_nop 1
	v_cndmask_b32_e64 v47, 0, v47, s[0:1]
	v_cmp_gt_i32_e64 s[0:1], s38, v71
	s_nop 1
	v_cndmask_b32_e64 v5, 0, v5, s[0:1]
	v_perm_b32 v5, v47, v5, s34
	v_lshrrev_b32_e32 v47, 16, v4
	v_cmp_gt_i32_e64 s[0:1], s30, v70
	s_nop 1
	v_cndmask_b32_e64 v47, 0, v47, s[0:1]
	v_cmp_gt_i32_e64 s[0:1], s27, v69
	s_nop 1
	v_cndmask_b32_e64 v4, 0, v4, s[0:1]
	v_perm_b32 v4, v47, v4, s34
	;; [unrolled: 8-line block ×4, first 2 shown]
.LBB116_80:                             ;   in Loop: Header=BB116_51 Depth=1
	s_or_b64 exec, exec, s[18:19]
	s_waitcnt vmcnt(0)
	;;#ASMSTART
	v_pk_mul_f16 v2, v68, v2;

	;;#ASMEND
	;;#ASMSTART
	v_pk_mul_f16 v3, v67, v3;

	;;#ASMEND
	;; [unrolled: 4-line block ×4, first 2 shown]
	v_mov_b32_e32 v49, v21
	;;#ASMSTART
	v_pk_add_f16 v2, v2, v3;

	;;#ASMEND
	s_nop 0
	;;#ASMSTART
	v_pk_add_f16 v2, v2, v4;

	;;#ASMEND
	s_nop 0
	;; [unrolled: 5-line block ×3, first 2 shown]
	v_lshrrev_b32_e32 v3, 16, v2
	v_and_b32_e32 v2, 0xffff, v2
	;;#ASMSTART
	v_cvt_f32_f16 v47, v2;
	;;#ASMEND
	;;#ASMSTART
	v_cvt_f32_f16 v89, v3;
	;;#ASMEND
	v_lshl_add_u64 v[2:3], v[52:53], 0, v[48:49]
	global_load_dwordx4 v[2:5], v[2:3], off
	s_and_saveexec_b64 s[18:19], vcc
	s_cbranch_execz .LBB116_82
; %bb.81:                               ;   in Loop: Header=BB116_51 Depth=1
	s_waitcnt vmcnt(0)
	v_lshrrev_b32_e32 v49, 16, v5
	v_cmp_gt_i32_e64 s[0:1], s39, v72
	s_nop 1
	v_cndmask_b32_e64 v49, 0, v49, s[0:1]
	v_cmp_gt_i32_e64 s[0:1], s38, v71
	s_nop 1
	v_cndmask_b32_e64 v5, 0, v5, s[0:1]
	v_perm_b32 v5, v49, v5, s34
	v_lshrrev_b32_e32 v49, 16, v4
	v_cmp_gt_i32_e64 s[0:1], s30, v70
	s_nop 1
	v_cndmask_b32_e64 v49, 0, v49, s[0:1]
	v_cmp_gt_i32_e64 s[0:1], s27, v69
	s_nop 1
	v_cndmask_b32_e64 v4, 0, v4, s[0:1]
	v_perm_b32 v4, v49, v4, s34
	;; [unrolled: 8-line block ×4, first 2 shown]
.LBB116_82:                             ;   in Loop: Header=BB116_51 Depth=1
	s_or_b64 exec, exec, s[18:19]
	s_waitcnt vmcnt(0)
	;;#ASMSTART
	v_pk_mul_f16 v2, v68, v2;

	;;#ASMEND
	;;#ASMSTART
	v_pk_mul_f16 v3, v67, v3;

	;;#ASMEND
	;; [unrolled: 4-line block ×4, first 2 shown]
	v_mov_b32_e32 v51, v21
	;;#ASMSTART
	v_pk_add_f16 v2, v2, v3;

	;;#ASMEND
	s_nop 0
	;;#ASMSTART
	v_pk_add_f16 v2, v2, v4;

	;;#ASMEND
	s_nop 0
	;; [unrolled: 5-line block ×3, first 2 shown]
	v_lshrrev_b32_e32 v3, 16, v2
	v_and_b32_e32 v2, 0xffff, v2
	;;#ASMSTART
	v_cvt_f32_f16 v49, v2;
	;;#ASMEND
	;;#ASMSTART
	v_cvt_f32_f16 v90, v3;
	;;#ASMEND
	v_lshl_add_u64 v[2:3], v[52:53], 0, v[50:51]
	global_load_dwordx4 v[2:5], v[2:3], off
	s_and_saveexec_b64 s[0:1], vcc
	s_cbranch_execz .LBB116_49
; %bb.83:                               ;   in Loop: Header=BB116_51 Depth=1
	s_waitcnt vmcnt(0)
	v_lshrrev_b32_e32 v51, 16, v5
	v_cmp_gt_i32_e32 vcc, s39, v72
	s_nop 1
	v_cndmask_b32_e32 v51, 0, v51, vcc
	v_cmp_gt_i32_e32 vcc, s38, v71
	s_nop 1
	v_cndmask_b32_e32 v5, 0, v5, vcc
	v_perm_b32 v5, v51, v5, s34
	v_lshrrev_b32_e32 v51, 16, v4
	v_cmp_gt_i32_e32 vcc, s30, v70
	s_nop 1
	v_cndmask_b32_e32 v51, 0, v51, vcc
	v_cmp_gt_i32_e32 vcc, s27, v69
	s_nop 1
	v_cndmask_b32_e32 v4, 0, v4, vcc
	v_perm_b32 v4, v51, v4, s34
	;; [unrolled: 8-line block ×4, first 2 shown]
	s_branch .LBB116_49
.LBB116_84:
	s_or_b64 exec, exec, s[10:11]
.LBB116_85:
	s_or_b64 exec, exec, s[2:3]
	ds_bpermute_b32 v2, v57, v24
	ds_bpermute_b32 v3, v57, v25
	;; [unrolled: 1-line block ×6, first 2 shown]
	s_waitcnt lgkmcnt(4)
	v_pk_add_f32 v[2:3], v[24:25], v[2:3]
	ds_bpermute_b32 v6, v58, v2
	ds_bpermute_b32 v7, v58, v3
	s_waitcnt lgkmcnt(4)
	v_pk_add_f32 v[4:5], v[22:23], v[4:5]
	ds_bpermute_b32 v22, v58, v4
	ds_bpermute_b32 v23, v58, v5
	;; [unrolled: 1-line block ×3, first 2 shown]
	s_waitcnt lgkmcnt(3)
	v_pk_add_f32 v[2:3], v[2:3], v[6:7]
	v_pk_add_f32 v[6:7], v[18:19], v[20:21]
	ds_bpermute_b32 v20, v57, v16
	ds_bpermute_b32 v21, v57, v17
	;; [unrolled: 1-line block ×4, first 2 shown]
	s_waitcnt lgkmcnt(5)
	v_pk_add_f32 v[4:5], v[4:5], v[22:23]
	ds_bpermute_b32 v22, v57, v14
	ds_bpermute_b32 v23, v57, v15
	s_waitcnt lgkmcnt(4)
	v_pk_add_f32 v[16:17], v[16:17], v[20:21]
	ds_bpermute_b32 v20, v57, v12
	ds_bpermute_b32 v21, v57, v13
	;; [unrolled: 1-line block ×5, first 2 shown]
	s_waitcnt lgkmcnt(7)
	v_pk_add_f32 v[6:7], v[6:7], v[18:19]
	ds_bpermute_b32 v18, v58, v16
	ds_bpermute_b32 v19, v58, v17
	s_waitcnt lgkmcnt(7)
	v_pk_add_f32 v[14:15], v[14:15], v[22:23]
	s_waitcnt lgkmcnt(5)
	v_pk_add_f32 v[12:13], v[12:13], v[20:21]
	;; [unrolled: 2-line block ×3, first 2 shown]
	ds_bpermute_b32 v22, v58, v14
	ds_bpermute_b32 v23, v58, v15
	;; [unrolled: 1-line block ×6, first 2 shown]
	s_waitcnt lgkmcnt(8)
	v_pk_add_f32 v[8:9], v[8:9], v[26:27]
	s_waitcnt lgkmcnt(6)
	v_pk_add_f32 v[16:17], v[16:17], v[18:19]
	ds_bpermute_b32 v18, v58, v8
	ds_bpermute_b32 v19, v58, v9
	v_and_b32_e32 v1, 0x3c3, v0
	s_waitcnt lgkmcnt(6)
	v_pk_add_f32 v[14:15], v[14:15], v[22:23]
	s_waitcnt lgkmcnt(4)
	v_pk_add_f32 v[12:13], v[12:13], v[20:21]
	s_waitcnt lgkmcnt(2)
	v_pk_add_f32 v[10:11], v[10:11], v[24:25]
	v_cmp_ne_u32_e32 vcc, 64, v1
	s_waitcnt lgkmcnt(0)
	s_barrier
	s_and_saveexec_b64 s[0:1], vcc
	s_xor_b64 s[0:1], exec, s[0:1]
; %bb.86:
                                        ; implicit-def: $vgpr56
; %bb.87:
	s_or_saveexec_b64 s[0:1], s[0:1]
	v_pk_add_f32 v[8:9], v[8:9], v[18:19]
	s_xor_b64 exec, exec, s[0:1]
	s_cbranch_execz .LBB116_89
; %bb.88:
	v_add_u32_e32 v18, 0x210, v56
	ds_write2_b32 v18, v2, v3 offset1:16
	ds_write2_b32 v18, v4, v5 offset0:32 offset1:48
	ds_write2_b32 v18, v6, v7 offset0:64 offset1:80
	;; [unrolled: 1-line block ×7, first 2 shown]
.LBB116_89:
	s_or_b64 exec, exec, s[0:1]
	s_waitcnt lgkmcnt(0)
	s_barrier
	s_and_saveexec_b64 s[0:1], s[12:13]
	s_cbranch_execz .LBB116_108
; %bb.90:
	v_cmp_eq_u32_e32 vcc, 0, v59
	v_lshrrev_b32_e32 v18, 2, v0
	s_and_saveexec_b64 s[2:3], vcc
	s_cbranch_execnz .LBB116_111
; %bb.91:
	s_or_b64 exec, exec, s[2:3]
	s_and_saveexec_b64 s[2:3], vcc
	s_cbranch_execnz .LBB116_112
.LBB116_92:
	s_or_b64 exec, exec, s[2:3]
	s_and_saveexec_b64 s[2:3], vcc
	s_cbranch_execnz .LBB116_113
.LBB116_93:
	s_or_b64 exec, exec, s[2:3]
	s_and_saveexec_b64 s[2:3], vcc
	s_cbranch_execnz .LBB116_114
.LBB116_94:
	s_or_b64 exec, exec, s[2:3]
	s_and_saveexec_b64 s[2:3], vcc
	s_cbranch_execnz .LBB116_115
.LBB116_95:
	s_or_b64 exec, exec, s[2:3]
	s_and_saveexec_b64 s[2:3], vcc
	s_cbranch_execnz .LBB116_116
.LBB116_96:
	s_or_b64 exec, exec, s[2:3]
	s_and_saveexec_b64 s[2:3], vcc
	s_cbranch_execnz .LBB116_117
.LBB116_97:
	s_or_b64 exec, exec, s[2:3]
	s_and_saveexec_b64 s[2:3], vcc
	s_cbranch_execnz .LBB116_118
.LBB116_98:
	s_or_b64 exec, exec, s[2:3]
	s_and_saveexec_b64 s[2:3], vcc
	s_cbranch_execnz .LBB116_119
.LBB116_99:
	s_or_b64 exec, exec, s[2:3]
	s_and_saveexec_b64 s[2:3], vcc
	s_cbranch_execnz .LBB116_120
.LBB116_100:
	s_or_b64 exec, exec, s[2:3]
	s_and_saveexec_b64 s[2:3], vcc
	s_cbranch_execnz .LBB116_121
.LBB116_101:
	s_or_b64 exec, exec, s[2:3]
	s_and_saveexec_b64 s[2:3], vcc
	s_cbranch_execnz .LBB116_122
.LBB116_102:
	s_or_b64 exec, exec, s[2:3]
	s_and_saveexec_b64 s[2:3], vcc
	s_cbranch_execnz .LBB116_123
.LBB116_103:
	s_or_b64 exec, exec, s[2:3]
	s_and_saveexec_b64 s[2:3], vcc
	s_cbranch_execnz .LBB116_124
.LBB116_104:
	s_or_b64 exec, exec, s[2:3]
	s_and_saveexec_b64 s[2:3], vcc
	s_cbranch_execnz .LBB116_125
.LBB116_105:
	s_or_b64 exec, exec, s[2:3]
	s_and_saveexec_b64 s[2:3], vcc
	s_cbranch_execz .LBB116_107
.LBB116_106:
	v_mov_b32_e32 v19, 0x210
	v_lshl_add_u32 v18, v18, 2, v19
	ds_read_b32 v18, v18 offset:960
	s_waitcnt lgkmcnt(0)
	v_add_f32_e32 v9, v9, v18
.LBB116_107:
	s_or_b64 exec, exec, s[2:3]
.LBB116_108:
	s_or_b64 exec, exec, s[0:1]
	v_cmp_eq_u32_e32 vcc, 0, v1
	s_barrier
	s_and_saveexec_b64 s[0:1], vcc
	s_cbranch_execz .LBB116_110
; %bb.109:
	s_lshl_b32 s0, s8, 8
	s_ashr_i32 s1, s0, 31
	s_lshl_b64 s[0:1], s[0:1], 1
	s_add_u32 s2, s28, s0
	s_mul_i32 s0, s15, s14
	s_addc_u32 s3, s29, s1
	s_ashr_i32 s1, s0, 31
	s_lshl_b64 s[0:1], s[0:1], 1
	s_add_u32 s2, s2, s0
	s_addc_u32 s3, s3, s1
	s_lshl_b32 s0, s4, 8
	s_ashr_i32 s1, s0, 31
	s_lshl_b64 s[0:1], s[0:1], 1
	s_add_u32 s0, s2, s0
	s_addc_u32 s1, s3, s1
	v_lshrrev_b32_e32 v0, 1, v0
	;;#ASMSTART
	v_cvt_f16_f32 v1, v2;

	;;#ASMEND
	global_store_short v0, v1, s[0:1]
	;;#ASMSTART
	v_cvt_f16_f32 v1, v3;

	;;#ASMEND
	global_store_short v0, v1, s[0:1] offset:32
	;;#ASMSTART
	v_cvt_f16_f32 v1, v4;

	;;#ASMEND
	global_store_short v0, v1, s[0:1] offset:64
	;; [unrolled: 5-line block ×15, first 2 shown]
.LBB116_110:
	s_endpgm
.LBB116_111:
	v_mov_b32_e32 v19, 0x210
	v_lshl_add_u32 v19, v18, 2, v19
	ds_read_b32 v19, v19
	s_waitcnt lgkmcnt(0)
	v_add_f32_e32 v2, v2, v19
	s_or_b64 exec, exec, s[2:3]
	s_and_saveexec_b64 s[2:3], vcc
	s_cbranch_execz .LBB116_92
.LBB116_112:
	v_mov_b32_e32 v19, 0x210
	v_lshl_add_u32 v19, v18, 2, v19
	ds_read_b32 v19, v19 offset:64
	s_waitcnt lgkmcnt(0)
	v_add_f32_e32 v3, v3, v19
	s_or_b64 exec, exec, s[2:3]
	s_and_saveexec_b64 s[2:3], vcc
	s_cbranch_execz .LBB116_93
.LBB116_113:
	v_mov_b32_e32 v19, 0x210
	v_lshl_add_u32 v19, v18, 2, v19
	ds_read_b32 v19, v19 offset:128
	s_waitcnt lgkmcnt(0)
	v_add_f32_e32 v4, v4, v19
	s_or_b64 exec, exec, s[2:3]
	s_and_saveexec_b64 s[2:3], vcc
	s_cbranch_execz .LBB116_94
.LBB116_114:
	v_mov_b32_e32 v19, 0x210
	v_lshl_add_u32 v19, v18, 2, v19
	ds_read_b32 v19, v19 offset:192
	s_waitcnt lgkmcnt(0)
	v_add_f32_e32 v5, v5, v19
	s_or_b64 exec, exec, s[2:3]
	s_and_saveexec_b64 s[2:3], vcc
	s_cbranch_execz .LBB116_95
.LBB116_115:
	v_mov_b32_e32 v19, 0x210
	v_lshl_add_u32 v19, v18, 2, v19
	ds_read_b32 v19, v19 offset:256
	s_waitcnt lgkmcnt(0)
	v_add_f32_e32 v6, v6, v19
	s_or_b64 exec, exec, s[2:3]
	s_and_saveexec_b64 s[2:3], vcc
	s_cbranch_execz .LBB116_96
.LBB116_116:
	v_mov_b32_e32 v19, 0x210
	v_lshl_add_u32 v19, v18, 2, v19
	ds_read_b32 v19, v19 offset:320
	s_waitcnt lgkmcnt(0)
	v_add_f32_e32 v7, v7, v19
	s_or_b64 exec, exec, s[2:3]
	s_and_saveexec_b64 s[2:3], vcc
	s_cbranch_execz .LBB116_97
.LBB116_117:
	v_mov_b32_e32 v19, 0x210
	v_lshl_add_u32 v19, v18, 2, v19
	ds_read_b32 v19, v19 offset:384
	s_waitcnt lgkmcnt(0)
	v_add_f32_e32 v16, v16, v19
	s_or_b64 exec, exec, s[2:3]
	s_and_saveexec_b64 s[2:3], vcc
	s_cbranch_execz .LBB116_98
.LBB116_118:
	v_mov_b32_e32 v19, 0x210
	v_lshl_add_u32 v19, v18, 2, v19
	ds_read_b32 v19, v19 offset:448
	s_waitcnt lgkmcnt(0)
	v_add_f32_e32 v17, v17, v19
	s_or_b64 exec, exec, s[2:3]
	s_and_saveexec_b64 s[2:3], vcc
	s_cbranch_execz .LBB116_99
.LBB116_119:
	v_mov_b32_e32 v19, 0x210
	v_lshl_add_u32 v19, v18, 2, v19
	ds_read_b32 v19, v19 offset:512
	s_waitcnt lgkmcnt(0)
	v_add_f32_e32 v14, v14, v19
	s_or_b64 exec, exec, s[2:3]
	s_and_saveexec_b64 s[2:3], vcc
	s_cbranch_execz .LBB116_100
.LBB116_120:
	v_mov_b32_e32 v19, 0x210
	v_lshl_add_u32 v19, v18, 2, v19
	ds_read_b32 v19, v19 offset:576
	s_waitcnt lgkmcnt(0)
	v_add_f32_e32 v15, v15, v19
	s_or_b64 exec, exec, s[2:3]
	s_and_saveexec_b64 s[2:3], vcc
	s_cbranch_execz .LBB116_101
.LBB116_121:
	v_mov_b32_e32 v19, 0x210
	v_lshl_add_u32 v19, v18, 2, v19
	ds_read_b32 v19, v19 offset:640
	s_waitcnt lgkmcnt(0)
	v_add_f32_e32 v12, v12, v19
	s_or_b64 exec, exec, s[2:3]
	s_and_saveexec_b64 s[2:3], vcc
	s_cbranch_execz .LBB116_102
.LBB116_122:
	v_mov_b32_e32 v19, 0x210
	v_lshl_add_u32 v19, v18, 2, v19
	ds_read_b32 v19, v19 offset:704
	s_waitcnt lgkmcnt(0)
	v_add_f32_e32 v13, v13, v19
	s_or_b64 exec, exec, s[2:3]
	s_and_saveexec_b64 s[2:3], vcc
	s_cbranch_execz .LBB116_103
.LBB116_123:
	v_mov_b32_e32 v19, 0x210
	v_lshl_add_u32 v19, v18, 2, v19
	ds_read_b32 v19, v19 offset:768
	s_waitcnt lgkmcnt(0)
	v_add_f32_e32 v10, v10, v19
	s_or_b64 exec, exec, s[2:3]
	s_and_saveexec_b64 s[2:3], vcc
	s_cbranch_execz .LBB116_104
.LBB116_124:
	v_mov_b32_e32 v19, 0x210
	v_lshl_add_u32 v19, v18, 2, v19
	ds_read_b32 v19, v19 offset:832
	s_waitcnt lgkmcnt(0)
	v_add_f32_e32 v11, v11, v19
	s_or_b64 exec, exec, s[2:3]
	s_and_saveexec_b64 s[2:3], vcc
	s_cbranch_execz .LBB116_105
.LBB116_125:
	v_mov_b32_e32 v19, 0x210
	v_lshl_add_u32 v19, v18, 2, v19
	ds_read_b32 v19, v19 offset:896
	s_waitcnt lgkmcnt(0)
	v_add_f32_e32 v8, v8, v19
	s_or_b64 exec, exec, s[2:3]
	s_and_saveexec_b64 s[2:3], vcc
	s_cbranch_execnz .LBB116_106
	s_branch .LBB116_107
	.section	.rodata,"a",@progbits
	.p2align	6, 0x0
	.amdhsa_kernel _ZN4vllm25paged_attention_v2_kernelIttLi256ELi32ELi128ELNS_18Fp8KVCacheDataTypeE0ELb1ELi512EEEvPfS2_PT_PKS3_PKT0_S9_ifPKiSB_iPKfiiiSD_SD_iiiii
		.amdhsa_group_segment_fixed_size 528
		.amdhsa_private_segment_fixed_size 0
		.amdhsa_kernarg_size 400
		.amdhsa_user_sgpr_count 2
		.amdhsa_user_sgpr_dispatch_ptr 0
		.amdhsa_user_sgpr_queue_ptr 0
		.amdhsa_user_sgpr_kernarg_segment_ptr 1
		.amdhsa_user_sgpr_dispatch_id 0
		.amdhsa_user_sgpr_kernarg_preload_length 0
		.amdhsa_user_sgpr_kernarg_preload_offset 0
		.amdhsa_user_sgpr_private_segment_size 0
		.amdhsa_uses_dynamic_stack 0
		.amdhsa_enable_private_segment 0
		.amdhsa_system_sgpr_workgroup_id_x 1
		.amdhsa_system_sgpr_workgroup_id_y 1
		.amdhsa_system_sgpr_workgroup_id_z 1
		.amdhsa_system_sgpr_workgroup_info 0
		.amdhsa_system_vgpr_workitem_id 0
		.amdhsa_next_free_vgpr 113
		.amdhsa_next_free_sgpr 60
		.amdhsa_accum_offset 116
		.amdhsa_reserve_vcc 1
		.amdhsa_float_round_mode_32 0
		.amdhsa_float_round_mode_16_64 0
		.amdhsa_float_denorm_mode_32 3
		.amdhsa_float_denorm_mode_16_64 3
		.amdhsa_dx10_clamp 1
		.amdhsa_ieee_mode 1
		.amdhsa_fp16_overflow 0
		.amdhsa_tg_split 0
		.amdhsa_exception_fp_ieee_invalid_op 0
		.amdhsa_exception_fp_denorm_src 0
		.amdhsa_exception_fp_ieee_div_zero 0
		.amdhsa_exception_fp_ieee_overflow 0
		.amdhsa_exception_fp_ieee_underflow 0
		.amdhsa_exception_fp_ieee_inexact 0
		.amdhsa_exception_int_div_zero 0
	.end_amdhsa_kernel
	.section	.text._ZN4vllm25paged_attention_v2_kernelIttLi256ELi32ELi128ELNS_18Fp8KVCacheDataTypeE0ELb1ELi512EEEvPfS2_PT_PKS3_PKT0_S9_ifPKiSB_iPKfiiiSD_SD_iiiii,"axG",@progbits,_ZN4vllm25paged_attention_v2_kernelIttLi256ELi32ELi128ELNS_18Fp8KVCacheDataTypeE0ELb1ELi512EEEvPfS2_PT_PKS3_PKT0_S9_ifPKiSB_iPKfiiiSD_SD_iiiii,comdat
.Lfunc_end116:
	.size	_ZN4vllm25paged_attention_v2_kernelIttLi256ELi32ELi128ELNS_18Fp8KVCacheDataTypeE0ELb1ELi512EEEvPfS2_PT_PKS3_PKT0_S9_ifPKiSB_iPKfiiiSD_SD_iiiii, .Lfunc_end116-_ZN4vllm25paged_attention_v2_kernelIttLi256ELi32ELi128ELNS_18Fp8KVCacheDataTypeE0ELb1ELi512EEEvPfS2_PT_PKS3_PKT0_S9_ifPKiSB_iPKfiiiSD_SD_iiiii
                                        ; -- End function
	.section	.AMDGPU.csdata,"",@progbits
; Kernel info:
; codeLenInByte = 16080
; NumSgprs: 66
; NumVgprs: 113
; NumAgprs: 0
; TotalNumVgprs: 113
; ScratchSize: 0
; MemoryBound: 0
; FloatMode: 240
; IeeeMode: 1
; LDSByteSize: 528 bytes/workgroup (compile time only)
; SGPRBlocks: 8
; VGPRBlocks: 14
; NumSGPRsForWavesPerEU: 66
; NumVGPRsForWavesPerEU: 113
; AccumOffset: 116
; Occupancy: 4
; WaveLimiterHint : 1
; COMPUTE_PGM_RSRC2:SCRATCH_EN: 0
; COMPUTE_PGM_RSRC2:USER_SGPR: 2
; COMPUTE_PGM_RSRC2:TRAP_HANDLER: 0
; COMPUTE_PGM_RSRC2:TGID_X_EN: 1
; COMPUTE_PGM_RSRC2:TGID_Y_EN: 1
; COMPUTE_PGM_RSRC2:TGID_Z_EN: 1
; COMPUTE_PGM_RSRC2:TIDIG_COMP_CNT: 0
; COMPUTE_PGM_RSRC3_GFX90A:ACCUM_OFFSET: 28
; COMPUTE_PGM_RSRC3_GFX90A:TG_SPLIT: 0
	.section	.text._ZN4vllm25paged_attention_v2_kernelIttLi32ELi32ELi128ELNS_18Fp8KVCacheDataTypeE0ELb0ELi512EEEvPfS2_PT_PKS3_PKT0_S9_ifPKiSB_iPKfiiiSD_SD_iiiii,"axG",@progbits,_ZN4vllm25paged_attention_v2_kernelIttLi32ELi32ELi128ELNS_18Fp8KVCacheDataTypeE0ELb0ELi512EEEvPfS2_PT_PKS3_PKT0_S9_ifPKiSB_iPKfiiiSD_SD_iiiii,comdat
	.protected	_ZN4vllm25paged_attention_v2_kernelIttLi32ELi32ELi128ELNS_18Fp8KVCacheDataTypeE0ELb0ELi512EEEvPfS2_PT_PKS3_PKT0_S9_ifPKiSB_iPKfiiiSD_SD_iiiii ; -- Begin function _ZN4vllm25paged_attention_v2_kernelIttLi32ELi32ELi128ELNS_18Fp8KVCacheDataTypeE0ELb0ELi512EEEvPfS2_PT_PKS3_PKT0_S9_ifPKiSB_iPKfiiiSD_SD_iiiii
	.globl	_ZN4vllm25paged_attention_v2_kernelIttLi32ELi32ELi128ELNS_18Fp8KVCacheDataTypeE0ELb0ELi512EEEvPfS2_PT_PKS3_PKT0_S9_ifPKiSB_iPKfiiiSD_SD_iiiii
	.p2align	8
	.type	_ZN4vllm25paged_attention_v2_kernelIttLi32ELi32ELi128ELNS_18Fp8KVCacheDataTypeE0ELb0ELi512EEEvPfS2_PT_PKS3_PKT0_S9_ifPKiSB_iPKfiiiSD_SD_iiiii,@function
_ZN4vllm25paged_attention_v2_kernelIttLi32ELi32ELi128ELNS_18Fp8KVCacheDataTypeE0ELb0ELi512EEEvPfS2_PT_PKS3_PKT0_S9_ifPKiSB_iPKfiiiSD_SD_iiiii: ; @_ZN4vllm25paged_attention_v2_kernelIttLi32ELi32ELi128ELNS_18Fp8KVCacheDataTypeE0ELb0ELi512EEEvPfS2_PT_PKS3_PKT0_S9_ifPKiSB_iPKfiiiSD_SD_iiiii
; %bb.0:
	s_load_dwordx2 s[6:7], s[0:1], 0x40
	s_mov_b32 s24, s3
	s_ashr_i32 s25, s3, 31
	s_lshl_b64 s[8:9], s[24:25], 2
	s_waitcnt lgkmcnt(0)
	s_add_u32 s6, s6, s8
	s_addc_u32 s7, s7, s9
	s_load_dword s25, s[6:7], 0x0
	s_lshl_b32 s33, s4, 9
	s_waitcnt lgkmcnt(0)
	s_cmp_ge_i32 s33, s25
	s_cbranch_scc1 .LBB117_58
; %bb.1:
	s_load_dword s5, s[0:1], 0x90
	s_load_dwordx2 s[10:11], s[0:1], 0x30
	s_waitcnt lgkmcnt(0)
	s_abs_i32 s7, s5
	s_abs_i32 s3, s10
	v_cvt_f32_u32_e32 v1, s3
	s_sub_i32 s8, 0, s3
	s_xor_b32 s6, s5, s10
	s_ashr_i32 s6, s6, 31
	v_rcp_iflag_f32_e32 v1, v1
	s_nop 0
	v_mul_f32_e32 v1, 0x4f7ffffe, v1
	v_cvt_u32_f32_e32 v1, v1
	s_nop 0
	v_readfirstlane_b32 s9, v1
	s_mul_i32 s8, s8, s9
	s_mul_hi_u32 s8, s9, s8
	s_add_i32 s9, s9, s8
	s_mul_hi_u32 s8, s7, s9
	s_mul_i32 s9, s8, s3
	s_sub_i32 s7, s7, s9
	s_add_i32 s10, s8, 1
	s_sub_i32 s9, s7, s3
	s_cmp_ge_u32 s7, s3
	s_cselect_b32 s8, s10, s8
	s_cselect_b32 s7, s9, s7
	s_add_i32 s9, s8, 1
	s_cmp_ge_u32 s7, s3
	s_cselect_b32 s3, s9, s8
	s_xor_b32 s3, s3, s6
	s_sub_i32 s12, s3, s6
	s_abs_i32 s8, s12
	v_cvt_f32_u32_e32 v1, s8
	s_load_dwordx2 s[6:7], s[0:1], 0x50
	s_sub_i32 s3, 0, s8
	s_abs_i32 s9, s2
	v_rcp_iflag_f32_e32 v1, v1
	s_mov_b32 s10, 0
	v_mul_f32_e32 v1, 0x4f7ffffe, v1
	v_cvt_u32_f32_e32 v1, v1
	s_nop 0
	v_readfirstlane_b32 s13, v1
	s_mul_i32 s3, s3, s13
	s_mul_hi_u32 s3, s13, s3
	s_add_i32 s13, s13, s3
	s_waitcnt lgkmcnt(0)
	s_cmp_eq_u64 s[6:7], 0
	s_mul_hi_u32 s16, s9, s13
	s_cbranch_scc1 .LBB117_3
; %bb.2:
	s_ashr_i32 s3, s2, 31
	s_lshl_b64 s[14:15], s[2:3], 2
	s_add_u32 s6, s6, s14
	s_addc_u32 s7, s7, s15
	s_load_dword s10, s[6:7], 0x0
.LBB117_3:
	s_ashr_i32 s18, s12, 31
	s_load_dwordx4 s[12:15], s[0:1], 0x58
	s_ashr_i32 s17, s2, 31
	v_and_b32_e32 v4, 1, v0
	s_lshl_b32 s20, s2, 5
	v_cmp_gt_u32_e32 vcc, 8, v0
	v_lshlrev_b32_e32 v1, 3, v0
	s_and_saveexec_b64 s[6:7], vcc
	s_cbranch_execz .LBB117_5
; %bb.4:
	s_load_dwordx2 s[22:23], s[0:1], 0x18
	s_waitcnt lgkmcnt(0)
	s_mul_i32 s26, s24, s12
	s_ashr_i32 s27, s26, 31
	s_lshl_b64 s[26:27], s[26:27], 1
	v_lshlrev_b32_e32 v5, 2, v0
	s_add_u32 s3, s22, s26
	s_addc_u32 s12, s23, s27
	s_ashr_i32 s21, s20, 31
	s_lshl_b64 s[22:23], s[20:21], 1
	s_add_u32 s22, s3, s22
	s_addc_u32 s23, s12, s23
	global_load_dwordx2 v[2:3], v1, s[22:23]
	v_and_b32_e32 v5, 0xff8, v5
	v_lshl_add_u32 v5, v4, 5, v5
	s_waitcnt vmcnt(0)
	ds_write_b64 v5, v[2:3]
.LBB117_5:
	s_or_b64 exec, exec, s[6:7]
	s_add_i32 s3, s25, 31
	s_ashr_i32 s6, s3, 31
	s_lshr_b32 s6, s6, 27
	s_add_i32 s3, s3, s6
	s_ashr_i32 s40, s3, 5
	s_lshl_b32 s3, s4, 4
	s_mul_i32 s7, s16, s8
	s_add_i32 s6, s3, 16
	s_sub_i32 s7, s9, s7
	s_min_i32 s21, s6, s40
	s_xor_b32 s6, s17, s18
	s_add_i32 s9, s16, 1
	s_waitcnt lgkmcnt(0)
	s_sub_i32 s12, s7, s8
	s_cmp_ge_u32 s7, s8
	s_cselect_b32 s9, s9, s16
	s_cselect_b32 s7, s12, s7
	s_add_i32 s12, s9, 1
	s_cmp_ge_u32 s7, s8
	s_load_dwordx2 s[26:27], s[0:1], 0x38
	s_load_dword s8, s[0:1], 0x48
	v_lshrrev_b32_e32 v12, 6, v0
	s_cselect_b32 s7, s12, s9
	s_xor_b32 s7, s7, s6
	v_or_b32_e32 v6, s3, v12
	s_waitcnt lgkmcnt(0)
	s_mul_i32 s28, s24, s8
	s_sub_i32 s15, s7, s6
	s_ashr_i32 s29, s28, 31
	v_cmp_gt_i32_e64 s[8:9], s21, v6
	v_cmp_le_i32_e32 vcc, s21, v6
	v_mbcnt_lo_u32_b32 v8, -1, 0
	s_barrier
	s_waitcnt lgkmcnt(0)
                                        ; implicit-def: $sgpr36
                                        ; implicit-def: $vgpr10
                                        ; implicit-def: $vgpr11
	s_and_saveexec_b64 s[6:7], vcc
	s_xor_b64 s[6:7], exec, s[6:7]
; %bb.6:
	v_mbcnt_hi_u32_b32 v10, -1, v8
	v_and_b32_e32 v2, 64, v10
	v_add_u32_e32 v11, 64, v2
	s_mov_b32 s36, 0xff7fffff
                                        ; implicit-def: $vgpr4
                                        ; implicit-def: $vgpr8
; %bb.7:
	s_or_saveexec_b64 s[34:35], s[6:7]
	s_load_dwordx4 s[16:19], s[0:1], 0x0
	s_load_dwordx2 s[22:23], s[0:1], 0x10
	s_load_dwordx2 s[30:31], s[0:1], 0x28
	s_load_dword s12, s[0:1], 0x98
	v_mov_b32_e32 v14, s36
	s_mul_i32 s14, s15, s14
	v_ashrrev_i32_e32 v7, 31, v6
	v_lshlrev_b32_e32 v13, 5, v12
	s_xor_b64 exec, exec, s[34:35]
	s_cbranch_execz .LBB117_13
; %bb.8:
	s_load_dwordx2 s[0:1], s[0:1], 0x20
	s_ashr_i32 s15, s14, 31
	s_lshl_b64 s[6:7], s[14:15], 1
	v_bfe_u32 v5, v0, 1, 5
	v_lshlrev_b32_e32 v2, 4, v5
	s_waitcnt lgkmcnt(0)
	s_add_u32 s0, s0, s6
	s_addc_u32 s1, s1, s7
	v_mov_b32_e32 v3, 0
	v_lshl_add_u64 v[10:11], s[0:1], 0, v[2:3]
	v_and_b32_e32 v2, 8, v1
	s_sub_i32 s15, 1, s25
	s_lshl_b64 s[0:1], s[28:29], 2
	v_lshl_add_u64 v[2:3], v[10:11], 0, v[2:3]
	v_lshlrev_b32_e32 v15, 5, v4
	v_cmp_eq_u32_e32 vcc, 0, v4
	v_lshlrev_b32_e32 v4, 2, v5
	s_add_u32 s0, s26, s0
	v_mbcnt_hi_u32_b32 v10, -1, v8
	v_lshl_or_b32 v4, v12, 7, v4
	s_addc_u32 s1, s27, s1
	v_and_b32_e32 v8, 64, v10
	s_mov_b32 s41, s13
	v_cmp_neq_f32_e64 s[6:7], s10, 0
	v_add3_u32 v16, s33, v13, v5
	v_add_u32_e32 v17, 0x50, v4
	v_lshl_add_u64 v[4:5], v[6:7], 2, s[0:1]
	s_mov_b64 s[36:37], 0
	v_mov_b32_e32 v14, 0xff7fffff
	v_xor_b32_e32 v18, 1, v10
	v_add_u32_e32 v11, 64, v8
	v_mov_b32_e32 v19, v6
	s_branch .LBB117_10
.LBB117_9:                              ;   in Loop: Header=BB117_10 Depth=1
	s_or_b64 exec, exec, s[38:39]
	v_add_u32_e32 v19, 2, v19
	v_cmp_le_i32_e64 s[0:1], s21, v19
	v_add_u32_e32 v16, 64, v16
	v_add_u32_e32 v17, 0x100, v17
	s_or_b64 s[36:37], s[0:1], s[36:37]
	v_lshl_add_u64 v[4:5], v[4:5], 0, 8
	s_andn2_b64 exec, exec, s[36:37]
	s_cbranch_execz .LBB117_12
.LBB117_10:                             ; =>This Inner Loop Header: Depth=1
	global_load_dword v8, v[4:5], off
	s_waitcnt vmcnt(0) lgkmcnt(0)
	v_mad_i64_i32 v[8:9], s[0:1], v8, s41, 0
	v_lshl_add_u64 v[20:21], v[8:9], 1, v[2:3]
	global_load_dwordx2 v[22:23], v[20:21], off
	global_load_dwordx2 v[24:25], v[20:21], off offset:512
	global_load_dwordx2 v[26:27], v[20:21], off offset:1024
	;; [unrolled: 1-line block ×3, first 2 shown]
	ds_read_b64 v[20:21], v15
	v_cmp_lt_i32_e64 s[0:1], v18, v11
	s_waitcnt lgkmcnt(0)
	v_lshrrev_b32_e32 v29, 16, v20
	v_and_b32_e32 v20, 0xffff, v20
	v_lshrrev_b32_e32 v30, 16, v21
	v_and_b32_e32 v21, 0xffff, v21
	;;#ASMSTART
	v_cvt_f32_f16 v31, v20;
	;;#ASMEND
	;;#ASMSTART
	v_cvt_f32_f16 v29, v29;
	;;#ASMEND
	v_cndmask_b32_e64 v28, v10, v18, s[0:1]
	s_waitcnt vmcnt(3)
	v_lshrrev_b32_e32 v20, 16, v22
	v_and_b32_e32 v22, 0xffff, v22
	v_lshrrev_b32_e32 v32, 16, v23
	v_and_b32_e32 v23, 0xffff, v23
	;;#ASMSTART
	v_cvt_f32_f16 v22, v22;
	;;#ASMEND
	;;#ASMSTART
	v_cvt_f32_f16 v37, v20;
	;;#ASMEND
	;;#ASMSTART
	v_cvt_f32_f16 v38, v21;
	;;#ASMEND
	;;#ASMSTART
	v_cvt_f32_f16 v30, v30;
	;;#ASMEND
	;;#ASMSTART
	v_cvt_f32_f16 v23, v23;
	;;#ASMEND
	;;#ASMSTART
	v_cvt_f32_f16 v32, v32;
	;;#ASMEND
	ds_read_b64 v[20:21], v15 offset:8
	s_waitcnt vmcnt(2)
	v_lshrrev_b32_e32 v33, 16, v24
	v_and_b32_e32 v24, 0xffff, v24
	v_lshrrev_b32_e32 v34, 16, v25
	v_and_b32_e32 v25, 0xffff, v25
	s_waitcnt vmcnt(0)
	v_lshrrev_b32_e32 v39, 16, v8
	v_and_b32_e32 v40, 0xffff, v8
	v_lshrrev_b32_e32 v41, 16, v9
	v_and_b32_e32 v42, 0xffff, v9
	s_waitcnt lgkmcnt(0)
	v_lshrrev_b32_e32 v8, 16, v20
	v_and_b32_e32 v9, 0xffff, v20
	v_lshrrev_b32_e32 v20, 16, v21
	v_and_b32_e32 v21, 0xffff, v21
	;;#ASMSTART
	v_cvt_f32_f16 v43, v9;
	;;#ASMEND
	;;#ASMSTART
	v_cvt_f32_f16 v44, v8;
	;;#ASMEND
	;; [unrolled: 3-line block ×8, first 2 shown]
	ds_read_b64 v[8:9], v15 offset:16
	v_mul_f32_e32 v24, v43, v24
	v_mul_f32_e32 v21, v21, v25
	v_lshrrev_b32_e32 v35, 16, v26
	v_and_b32_e32 v26, 0xffff, v26
	v_lshrrev_b32_e32 v36, 16, v27
	v_and_b32_e32 v27, 0xffff, v27
	v_mul_f32_e32 v33, v44, v33
	v_mul_f32_e32 v20, v20, v34
	v_fmac_f32_e32 v24, v31, v22
	v_fmac_f32_e32 v21, v38, v23
	s_waitcnt lgkmcnt(0)
	v_lshrrev_b32_e32 v22, 16, v8
	v_and_b32_e32 v8, 0xffff, v8
	v_lshrrev_b32_e32 v23, 16, v9
	v_and_b32_e32 v9, 0xffff, v9
	v_fmac_f32_e32 v33, v29, v37
	v_fmac_f32_e32 v20, v30, v32
	;;#ASMSTART
	v_cvt_f32_f16 v25, v8;
	;;#ASMEND
	;;#ASMSTART
	v_cvt_f32_f16 v22, v22;
	;;#ASMEND
	;; [unrolled: 3-line block ×8, first 2 shown]
	ds_read_b64 v[8:9], v15 offset:24
	v_fmac_f32_e32 v24, v25, v26
	v_fmac_f32_e32 v33, v22, v29
	v_fmac_f32_e32 v21, v30, v27
	v_fmac_f32_e32 v20, v23, v31
	s_waitcnt lgkmcnt(0)
	v_lshrrev_b32_e32 v22, 16, v8
	v_and_b32_e32 v8, 0xffff, v8
	v_lshrrev_b32_e32 v23, 16, v9
	v_and_b32_e32 v9, 0xffff, v9
	;;#ASMSTART
	v_cvt_f32_f16 v8, v8;
	;;#ASMEND
	;;#ASMSTART
	v_cvt_f32_f16 v22, v22;
	;;#ASMEND
	;; [unrolled: 3-line block ×8, first 2 shown]
	s_nop 0
	v_fmac_f32_e32 v24, v8, v25
	v_fmac_f32_e32 v33, v22, v26
	;; [unrolled: 1-line block ×3, first 2 shown]
	v_add_f32_e32 v8, v24, v33
	v_fmac_f32_e32 v20, v23, v29
	v_add_f32_e32 v8, v8, v21
	v_add_f32_e32 v8, v20, v8
	v_lshlrev_b32_e32 v9, 2, v28
	ds_bpermute_b32 v9, v9, v8
	s_and_saveexec_b64 s[38:39], vcc
	s_cbranch_execz .LBB117_9
; %bb.11:                               ;   in Loop: Header=BB117_10 Depth=1
	v_add_u32_e32 v20, s15, v16
	v_cvt_f32_i32_e32 v20, v20
	s_waitcnt lgkmcnt(0)
	v_add_f32_e32 v8, v8, v9
	v_cmp_gt_i32_e64 s[0:1], s25, v16
	v_max_f32_e32 v9, v14, v14
	v_mul_f32_e32 v20, s10, v20
	v_cndmask_b32_e64 v20, 0, v20, s[6:7]
	v_fmac_f32_e32 v20, s11, v8
	v_cndmask_b32_e64 v8, 0, v20, s[0:1]
	ds_write_b32 v17, v8
	v_max_f32_e32 v8, v9, v20
	v_cndmask_b32_e64 v14, v14, v8, s[0:1]
	s_branch .LBB117_9
.LBB117_12:
	s_or_b64 exec, exec, s[36:37]
.LBB117_13:
	s_or_b64 exec, exec, s[34:35]
	v_xor_b32_e32 v2, 32, v10
	v_cmp_lt_i32_e32 vcc, v2, v11
	v_xor_b32_e32 v5, 16, v10
	v_max_f32_e32 v4, v14, v14
	v_cndmask_b32_e32 v2, v10, v2, vcc
	v_lshlrev_b32_e32 v2, 2, v2
	ds_bpermute_b32 v3, v2, v14
	v_cmp_lt_i32_e32 vcc, v5, v11
	v_xor_b32_e32 v8, 8, v10
	s_waitcnt lgkmcnt(0)
	v_xor_b32_e32 v9, 4, v10
	v_xor_b32_e32 v14, 2, v10
	v_max_f32_e32 v3, v3, v3
	v_max_f32_e32 v4, v4, v3
	v_cndmask_b32_e32 v3, v10, v5, vcc
	v_lshlrev_b32_e32 v3, 2, v3
	ds_bpermute_b32 v5, v3, v4
	v_cmp_lt_i32_e32 vcc, v8, v11
	v_and_b32_e32 v16, 63, v0
	s_waitcnt lgkmcnt(0)
	v_max_f32_e32 v5, v5, v5
	v_max_f32_e32 v4, v4, v5
	v_cndmask_b32_e32 v5, v10, v8, vcc
	v_lshlrev_b32_e32 v5, 2, v5
	ds_bpermute_b32 v8, v5, v4
	v_cmp_lt_i32_e32 vcc, v9, v11
	s_waitcnt lgkmcnt(0)
	v_max_f32_e32 v8, v8, v8
	v_max_f32_e32 v4, v4, v8
	v_cndmask_b32_e32 v8, v10, v9, vcc
	v_lshlrev_b32_e32 v8, 2, v8
	ds_bpermute_b32 v9, v8, v4
	v_cmp_lt_i32_e32 vcc, v14, v11
	s_waitcnt lgkmcnt(0)
	v_max_f32_e32 v9, v9, v9
	v_max_f32_e32 v4, v4, v9
	v_cndmask_b32_e32 v9, v10, v14, vcc
	v_lshlrev_b32_e32 v17, 2, v9
	ds_bpermute_b32 v14, v17, v4
	v_cmp_eq_u32_e32 vcc, 0, v16
	v_lshlrev_b32_e32 v9, 2, v12
	s_and_saveexec_b64 s[0:1], vcc
	s_cbranch_execz .LBB117_15
; %bb.14:
	s_waitcnt lgkmcnt(0)
	v_max_f32_e32 v14, v14, v14
	v_max_f32_e32 v4, v4, v4
	;; [unrolled: 1-line block ×3, first 2 shown]
	ds_write_b32 v9, v4 offset:64
.LBB117_15:
	s_or_b64 exec, exec, s[0:1]
	v_cmp_gt_u32_e64 s[0:1], 2, v16
	v_mov_b32_e32 v4, 0xff7fffff
	s_waitcnt lgkmcnt(0)
	v_lshlrev_b32_e32 v14, 2, v16
	s_barrier
	s_and_saveexec_b64 s[6:7], s[0:1]
	s_cbranch_execz .LBB117_17
; %bb.16:
	ds_read_b32 v4, v14 offset:64
.LBB117_17:
	s_or_b64 exec, exec, s[6:7]
	v_xor_b32_e32 v15, 1, v10
	v_cmp_lt_i32_e64 s[6:7], v15, v11
	s_sub_i32 s3, s21, s3
	s_lshl_b32 s3, s3, 5
	v_cndmask_b32_e64 v11, v10, v15, s[6:7]
	v_lshlrev_b32_e32 v18, 2, v11
	s_waitcnt lgkmcnt(0)
	ds_bpermute_b32 v11, v18, v4
	v_max_f32_e32 v4, v4, v4
	v_lshlrev_b32_e32 v10, 2, v10
	v_and_b32_e32 v10, 0xffffff00, v10
	s_add_i32 s3, s3, s33
	s_waitcnt lgkmcnt(0)
	v_max_f32_e32 v11, v11, v11
	v_max_f32_e32 v4, v4, v11
	ds_bpermute_b32 v4, v10, v4
	s_min_i32 s15, s3, s25
	s_sub_i32 s3, s15, s33
	v_cmp_gt_i32_e64 s[6:7], s3, v0
	v_mov_b32_e32 v11, 0
	s_and_saveexec_b64 s[34:35], s[6:7]
	s_cbranch_execz .LBB117_21
; %bb.18:
	v_mov_b32_e32 v11, 0x50
	v_lshl_add_u32 v15, v0, 2, v11
	s_mov_b64 s[36:37], 0
	v_mov_b32_e32 v11, 0
	v_mov_b32_e32 v19, v0
.LBB117_19:                             ; =>This Inner Loop Header: Depth=1
	ds_read_b32 v20, v15
	v_add_u32_e32 v19, 0x80, v19
	v_cmp_le_i32_e64 s[10:11], s3, v19
	s_or_b64 s[36:37], s[10:11], s[36:37]
	s_waitcnt lgkmcnt(0)
	v_sub_f32_e32 v20, v20, v4
	v_mul_f32_e32 v20, 0x3fb8aa3b, v20
	v_exp_f32_e32 v20, v20
	ds_write_b32 v15, v20
	v_add_f32_e32 v11, v11, v20
	v_add_u32_e32 v15, 0x200, v15
	s_andn2_b64 exec, exec, s[36:37]
	s_cbranch_execnz .LBB117_19
; %bb.20:
	s_or_b64 exec, exec, s[36:37]
.LBB117_21:
	s_or_b64 exec, exec, s[34:35]
	ds_bpermute_b32 v2, v2, v11
	s_waitcnt lgkmcnt(0)
	v_add_f32_e32 v2, v11, v2
	ds_bpermute_b32 v3, v3, v2
	s_waitcnt lgkmcnt(0)
	v_add_f32_e32 v2, v2, v3
	;; [unrolled: 3-line block ×6, first 2 shown]
	s_and_saveexec_b64 s[10:11], vcc
	s_cbranch_execz .LBB117_23
; %bb.22:
	ds_write_b32 v9, v2 offset:72
.LBB117_23:
	s_or_b64 exec, exec, s[10:11]
	s_waitcnt lgkmcnt(0)
	s_barrier
	s_and_saveexec_b64 s[10:11], s[0:1]
	s_cbranch_execz .LBB117_25
; %bb.24:
	ds_read_b32 v2, v14 offset:72
.LBB117_25:
	s_or_b64 exec, exec, s[10:11]
	s_waitcnt lgkmcnt(0)
	ds_bpermute_b32 v3, v18, v2
	s_waitcnt lgkmcnt(0)
	v_add_f32_e32 v2, v2, v3
	ds_bpermute_b32 v5, v10, v2
	s_and_saveexec_b64 s[0:1], s[6:7]
	s_cbranch_execz .LBB117_38
; %bb.26:
	s_waitcnt lgkmcnt(0)
	v_add_f32_e32 v2, 0x358637bd, v5
	v_div_scale_f32 v3, s[6:7], v2, v2, 1.0
	v_rcp_f32_e32 v8, v3
	v_div_scale_f32 v9, vcc, 1.0, v2, 1.0
	s_movk_i32 s6, 0x7f
	v_fma_f32 v10, -v3, v8, 1.0
	v_fmac_f32_e32 v8, v10, v8
	v_mul_f32_e32 v10, v9, v8
	v_fma_f32 v11, -v3, v10, v9
	v_fmac_f32_e32 v10, v11, v8
	v_fma_f32 v3, -v3, v10, v9
	v_div_fmas_f32 v3, v3, v8, v10
	v_div_fixup_f32 v2, v3, v2, 1.0
	v_xad_u32 v3, v0, -1, s15
	v_subrev_u32_e32 v8, s33, v3
	v_cmp_lt_u32_e32 vcc, s6, v8
	s_mov_b64 s[10:11], -1
	v_mov_b32_e32 v3, v0
	s_and_saveexec_b64 s[6:7], vcc
	s_cbranch_execz .LBB117_35
; %bb.27:
	v_lshrrev_b32_e32 v8, 7, v8
	v_add_u32_e32 v10, -1, v8
	v_lshrrev_b32_e32 v9, 1, v10
	v_mov_b32_e32 v3, v2
	v_add_u32_e32 v9, 1, v9
	v_cmp_lt_u32_e32 vcc, 13, v10
	v_mov_b32_e32 v14, 0
	s_and_saveexec_b64 s[10:11], vcc
	s_cbranch_execz .LBB117_31
; %bb.28:
	v_mov_b32_e32 v11, 0x50
	v_and_b32_e32 v10, -8, v9
	v_lshl_add_u32 v11, v0, 2, v11
	s_mov_b32 s15, 0
	s_mov_b64 s[34:35], 0
.LBB117_29:                             ; =>This Inner Loop Header: Depth=1
	ds_read2st64_b32 v[14:15], v11 offset1:2
	ds_read2st64_b32 v[20:21], v11 offset0:4 offset1:6
	ds_read2st64_b32 v[22:23], v11 offset0:8 offset1:10
	;; [unrolled: 1-line block ×3, first 2 shown]
	v_add_u32_e32 v10, -8, v10
	s_waitcnt lgkmcnt(3)
	v_pk_mul_f32 v[14:15], v[2:3], v[14:15]
	s_waitcnt lgkmcnt(2)
	v_pk_mul_f32 v[20:21], v[2:3], v[20:21]
	ds_write2st64_b32 v11, v14, v15 offset1:2
	ds_write2st64_b32 v11, v20, v21 offset0:4 offset1:6
	ds_read2st64_b32 v[20:21], v11 offset0:16 offset1:18
	s_waitcnt lgkmcnt(4)
	v_pk_mul_f32 v[14:15], v[2:3], v[22:23]
	ds_write2st64_b32 v11, v14, v15 offset0:8 offset1:10
	s_waitcnt lgkmcnt(4)
	v_pk_mul_f32 v[14:15], v[2:3], v[24:25]
	ds_write2st64_b32 v11, v14, v15 offset0:12 offset1:14
	ds_read2st64_b32 v[14:15], v11 offset0:20 offset1:22
	s_waitcnt lgkmcnt(3)
	v_pk_mul_f32 v[20:21], v[2:3], v[20:21]
	ds_read2st64_b32 v[22:23], v11 offset0:24 offset1:26
	ds_write2st64_b32 v11, v20, v21 offset0:16 offset1:18
	ds_read2st64_b32 v[20:21], v11 offset0:28 offset1:30
	s_waitcnt lgkmcnt(3)
	v_pk_mul_f32 v[14:15], v[2:3], v[14:15]
	ds_write2st64_b32 v11, v14, v15 offset0:20 offset1:22
	s_waitcnt lgkmcnt(3)
	v_pk_mul_f32 v[14:15], v[2:3], v[22:23]
	ds_write2st64_b32 v11, v14, v15 offset0:24 offset1:26
	s_waitcnt lgkmcnt(2)
	v_pk_mul_f32 v[14:15], v[2:3], v[20:21]
	s_add_i32 s15, s15, 16
	v_cmp_eq_u32_e32 vcc, 0, v10
	ds_write2st64_b32 v11, v14, v15 offset0:28 offset1:30
	v_add_u32_e32 v11, 0x2000, v11
	s_or_b64 s[34:35], vcc, s[34:35]
	v_mov_b32_e32 v14, s15
	s_andn2_b64 exec, exec, s[34:35]
	s_cbranch_execnz .LBB117_29
; %bb.30:
	s_or_b64 exec, exec, s[34:35]
.LBB117_31:
	s_or_b64 exec, exec, s[10:11]
	v_and_b32_e32 v9, 7, v9
	v_cmp_ne_u32_e32 vcc, 0, v9
	s_and_saveexec_b64 s[10:11], vcc
	s_cbranch_execz .LBB117_34
; %bb.32:
	v_lshlrev_b32_e32 v10, 9, v14
	v_lshlrev_b32_e32 v11, 2, v0
	s_movk_i32 s15, 0x50
	v_add3_u32 v10, v10, v11, s15
	s_mov_b64 s[34:35], 0
.LBB117_33:                             ; =>This Inner Loop Header: Depth=1
	ds_read2st64_b32 v[14:15], v10 offset1:2
	v_add_u32_e32 v9, -1, v9
	v_cmp_eq_u32_e32 vcc, 0, v9
	s_or_b64 s[34:35], vcc, s[34:35]
	s_waitcnt lgkmcnt(0)
	v_pk_mul_f32 v[14:15], v[2:3], v[14:15]
	ds_write2st64_b32 v10, v14, v15 offset1:2
	v_add_u32_e32 v10, 0x400, v10
	s_andn2_b64 exec, exec, s[34:35]
	s_cbranch_execnz .LBB117_33
.LBB117_34:
	s_or_b64 exec, exec, s[10:11]
	v_add_u32_e32 v8, 1, v8
	v_and_b32_e32 v9, 0x3fffffe, v8
	v_cmp_ne_u32_e32 vcc, v8, v9
	v_lshl_add_u32 v3, v9, 7, v0
	s_orn2_b64 s[10:11], vcc, exec
.LBB117_35:
	s_or_b64 exec, exec, s[6:7]
	s_and_b64 exec, exec, s[10:11]
	s_cbranch_execz .LBB117_38
; %bb.36:
	v_mov_b32_e32 v8, 0x50
	v_lshl_add_u32 v8, v3, 2, v8
	s_mov_b64 s[6:7], 0
.LBB117_37:                             ; =>This Inner Loop Header: Depth=1
	ds_read_b32 v9, v8
	v_add_u32_e32 v3, 0x80, v3
	v_cmp_le_i32_e32 vcc, s3, v3
	s_or_b64 s[6:7], vcc, s[6:7]
	s_waitcnt lgkmcnt(0)
	v_mul_f32_e32 v9, v2, v9
	ds_write_b32 v8, v9
	v_add_u32_e32 v8, 0x200, v8
	s_andn2_b64 exec, exec, s[6:7]
	s_cbranch_execnz .LBB117_37
.LBB117_38:
	s_or_b64 exec, exec, s[0:1]
	s_mul_i32 s0, s12, s24
	v_cmp_eq_u32_e32 vcc, 0, v0
	s_mul_i32 s6, s0, s5
	s_waitcnt lgkmcnt(0)
	s_barrier
	s_and_saveexec_b64 s[0:1], vcc
	s_cbranch_execz .LBB117_40
; %bb.39:
	s_ashr_i32 s7, s6, 31
	s_lshl_b64 s[10:11], s[6:7], 2
	s_add_u32 s5, s18, s10
	s_mul_i32 s2, s12, s2
	s_addc_u32 s7, s19, s11
	s_ashr_i32 s3, s2, 31
	s_lshl_b64 s[2:3], s[2:3], 2
	s_add_u32 s15, s5, s2
	s_addc_u32 s7, s7, s3
	s_ashr_i32 s5, s4, 31
	s_lshl_b64 s[18:19], s[4:5], 2
	s_add_u32 s34, s15, s18
	s_addc_u32 s35, s7, s19
	s_add_u32 s5, s16, s10
	s_addc_u32 s7, s17, s11
	;; [unrolled: 2-line block ×3, first 2 shown]
	s_add_u32 s2, s2, s18
	v_mov_b32_e32 v2, 0
	s_addc_u32 s3, s3, s19
	global_store_dword v2, v4, s[34:35]
	global_store_dword v2, v5, s[2:3]
.LBB117_40:
	s_or_b64 exec, exec, s[0:1]
	v_mov_b32_e32 v9, 0
	v_and_b32_e32 v19, 3, v0
	v_mov_b32_e32 v8, 0
	s_and_saveexec_b64 s[2:3], s[8:9]
	s_cbranch_execz .LBB117_48
; %bb.41:
	s_ashr_i32 s15, s14, 31
	s_lshl_b64 s[0:1], s[14:15], 1
	s_add_u32 s0, s30, s0
	v_lshlrev_b32_e32 v2, 4, v0
	s_addc_u32 s1, s31, s1
	v_and_b32_e32 v8, 0x3f0, v2
	v_mov_b32_e32 v9, 0
	s_add_i32 s40, s40, -1
	v_lshl_add_u64 v[10:11], s[0:1], 0, v[8:9]
	s_lshl_b64 s[0:1], s[28:29], 2
	v_lshlrev_b32_e32 v2, 5, v19
	s_add_u32 s0, s26, s0
	v_and_b32_e32 v1, 24, v1
	v_lshl_or_b32 v2, v12, 7, v2
	s_addc_u32 s1, s27, s1
	s_mov_b32 s5, s13
	s_mov_b32 s7, s25
	;; [unrolled: 1-line block ×8, first 2 shown]
	v_add3_u32 v1, s33, v13, v1
	v_add_u32_e32 v20, 0x50, v2
	v_lshl_add_u64 v[12:13], v[6:7], 2, s[0:1]
	s_mov_b64 s[8:9], 0
	s_mov_b32 s19, 0x5040100
	v_mov_b32_e32 v8, v9
	s_branch .LBB117_43
.LBB117_42:                             ;   in Loop: Header=BB117_43 Depth=1
	s_or_b64 exec, exec, s[0:1]
	s_waitcnt vmcnt(0)
	;;#ASMSTART
	v_pk_mul_f16 v2, v30, v2;

	;;#ASMEND
	;;#ASMSTART
	v_pk_mul_f16 v3, v29, v3;

	;;#ASMEND
	;; [unrolled: 4-line block ×4, first 2 shown]
	v_add_u32_e32 v6, 2, v6
	;;#ASMSTART
	v_pk_add_f16 v2, v2, v3;

	;;#ASMEND
	v_add_f32_e32 v7, v31, v32
	;;#ASMSTART
	v_pk_add_f16 v2, v2, v4;

	;;#ASMEND
	v_cmp_le_i32_e32 vcc, s21, v6
	;;#ASMSTART
	v_pk_add_f16 v2, v2, v5;

	;;#ASMEND
	v_add_f32_e32 v8, v8, v7
	v_lshrrev_b32_e32 v3, 16, v2
	v_and_b32_e32 v2, 0xffff, v2
	;;#ASMSTART
	v_cvt_f32_f16 v2, v2;
	;;#ASMEND
	;;#ASMSTART
	v_cvt_f32_f16 v3, v3;
	;;#ASMEND
	v_add_u32_e32 v1, 64, v1
	v_add_f32_e32 v2, v2, v3
	v_add_f32_e32 v9, v9, v2
	v_add_u32_e32 v20, 0x100, v20
	s_or_b64 s[8:9], vcc, s[8:9]
	v_lshl_add_u64 v[12:13], v[12:13], 0, 8
	s_andn2_b64 exec, exec, s[8:9]
	s_cbranch_execz .LBB117_47
.LBB117_43:                             ; =>This Inner Loop Header: Depth=1
	global_load_dword v7, v[12:13], off
	ds_read2_b64 v[2:5], v20 offset1:1
	ds_read2_b64 v[22:25], v20 offset0:2 offset1:3
	v_cmp_eq_u32_e32 vcc, s40, v6
	v_or_b32_e32 v21, 2, v1
	s_waitcnt lgkmcnt(1)
	;;#ASMSTART
	v_cvt_f16_f32 v27, v2;

	;;#ASMEND
	;;#ASMSTART
	v_cvt_f16_f32 v28, v3;

	;;#ASMEND
	;; [unrolled: 4-line block ×4, first 2 shown]
	s_waitcnt lgkmcnt(0)
	;;#ASMSTART
	v_cvt_f16_f32 v32, v22;

	;;#ASMEND
	;;#ASMSTART
	v_cvt_f16_f32 v33, v23;

	;;#ASMEND
	;; [unrolled: 4-line block ×4, first 2 shown]
	v_or_b32_e32 v22, 3, v1
	v_or_b32_e32 v24, 5, v1
	;; [unrolled: 1-line block ×5, first 2 shown]
	s_waitcnt vmcnt(0)
	v_mad_i64_i32 v[2:3], s[0:1], v7, s5, 0
	v_lshl_add_u64 v[14:15], v[2:3], 1, v[10:11]
	global_load_dwordx4 v[2:5], v[14:15], off
	v_add_u32_e32 v7, 1, v1
	s_and_saveexec_b64 s[10:11], vcc
	s_cbranch_execz .LBB117_45
; %bb.44:                               ;   in Loop: Header=BB117_43 Depth=1
	s_waitcnt vmcnt(0)
	v_lshrrev_b32_e32 v30, 16, v5
	v_cmp_gt_i32_e64 s[0:1], s18, v26
	s_nop 1
	v_cndmask_b32_e64 v30, 0, v30, s[0:1]
	v_cmp_gt_i32_e64 s[0:1], s17, v25
	s_nop 1
	v_cndmask_b32_e64 v5, 0, v5, s[0:1]
	v_perm_b32 v5, v30, v5, s19
	v_lshrrev_b32_e32 v30, 16, v4
	v_cmp_gt_i32_e64 s[0:1], s16, v24
	s_nop 1
	v_cndmask_b32_e64 v30, 0, v30, s[0:1]
	v_cmp_gt_i32_e64 s[0:1], s15, v23
	s_nop 1
	v_cndmask_b32_e64 v4, 0, v4, s[0:1]
	v_perm_b32 v4, v30, v4, s19
	;; [unrolled: 8-line block ×4, first 2 shown]
.LBB117_45:                             ;   in Loop: Header=BB117_43 Depth=1
	s_or_b64 exec, exec, s[10:11]
	v_and_b32_e32 v27, 0xffff, v27
	v_lshl_or_b32 v30, v28, 16, v27
	v_and_b32_e32 v27, 0xffff, v29
	v_lshl_or_b32 v29, v31, 16, v27
	;; [unrolled: 2-line block ×3, first 2 shown]
	v_and_b32_e32 v27, 0xffff, v34
	s_waitcnt vmcnt(0)
	;;#ASMSTART
	v_pk_mul_f16 v2, v30, v2;

	;;#ASMEND
	v_lshl_or_b32 v27, v35, 16, v27
	;;#ASMSTART
	v_pk_mul_f16 v3, v29, v3;

	;;#ASMEND
	;;#ASMSTART
	v_pk_mul_f16 v4, v28, v4;

	;;#ASMEND
	;; [unrolled: 4-line block ×3, first 2 shown]
	s_nop 0
	;;#ASMSTART
	v_pk_add_f16 v2, v2, v3;

	;;#ASMEND
	s_nop 0
	;;#ASMSTART
	v_pk_add_f16 v2, v2, v4;

	;;#ASMEND
	;; [unrolled: 5-line block ×3, first 2 shown]
	s_nop 0
	v_lshrrev_b32_e32 v3, 16, v2
	v_and_b32_e32 v2, 0xffff, v2
	;;#ASMSTART
	v_cvt_f32_f16 v31, v2;
	;;#ASMEND
	;;#ASMSTART
	v_cvt_f32_f16 v32, v3;
	;;#ASMEND
	global_load_dwordx4 v[2:5], v[14:15], off offset:1024
	s_and_saveexec_b64 s[0:1], vcc
	s_cbranch_execz .LBB117_42
; %bb.46:                               ;   in Loop: Header=BB117_43 Depth=1
	s_waitcnt vmcnt(0)
	v_lshrrev_b32_e32 v14, 16, v5
	v_cmp_gt_i32_e32 vcc, s18, v26
	s_nop 1
	v_cndmask_b32_e32 v14, 0, v14, vcc
	v_cmp_gt_i32_e32 vcc, s17, v25
	s_nop 1
	v_cndmask_b32_e32 v5, 0, v5, vcc
	v_perm_b32 v5, v14, v5, s19
	v_lshrrev_b32_e32 v14, 16, v4
	v_cmp_gt_i32_e32 vcc, s16, v24
	s_nop 1
	v_cndmask_b32_e32 v14, 0, v14, vcc
	v_cmp_gt_i32_e32 vcc, s15, v23
	s_nop 1
	v_cndmask_b32_e32 v4, 0, v4, vcc
	v_perm_b32 v4, v14, v4, s19
	;; [unrolled: 8-line block ×4, first 2 shown]
	s_branch .LBB117_42
.LBB117_47:
	s_or_b64 exec, exec, s[8:9]
.LBB117_48:
	s_or_b64 exec, exec, s[2:3]
	ds_bpermute_b32 v2, v17, v8
	ds_bpermute_b32 v3, v17, v9
	v_and_b32_e32 v1, 0x3c3, v0
	v_cmp_eq_u32_e32 vcc, 64, v1
	s_waitcnt lgkmcnt(0)
	s_barrier
	v_pk_add_f32 v[2:3], v[8:9], v[2:3]
	ds_bpermute_b32 v4, v18, v2
	ds_bpermute_b32 v5, v18, v3
	s_waitcnt lgkmcnt(0)
	v_pk_add_f32 v[2:3], v[2:3], v[4:5]
	s_and_saveexec_b64 s[0:1], vcc
	s_cbranch_execz .LBB117_50
; %bb.49:
	v_add_u32_e32 v5, 0x50, v16
	v_add_u32_e32 v4, 0x50, v0
	ds_write_b32 v5, v2
	ds_write_b32 v4, v3
.LBB117_50:
	s_or_b64 exec, exec, s[0:1]
	v_cmp_gt_u32_e32 vcc, 64, v0
	s_waitcnt lgkmcnt(0)
	s_barrier
	s_and_saveexec_b64 s[0:1], vcc
	s_cbranch_execz .LBB117_56
; %bb.51:
	v_cmp_eq_u32_e32 vcc, 0, v19
	v_lshrrev_b32_e32 v4, 2, v0
	s_and_saveexec_b64 s[2:3], vcc
	s_cbranch_execz .LBB117_53
; %bb.52:
	v_mov_b32_e32 v5, 0x50
	v_lshl_add_u32 v5, v4, 2, v5
	ds_read_b32 v5, v5
	s_waitcnt lgkmcnt(0)
	v_add_f32_e32 v2, v2, v5
.LBB117_53:
	s_or_b64 exec, exec, s[2:3]
	s_and_saveexec_b64 s[2:3], vcc
	s_cbranch_execz .LBB117_55
; %bb.54:
	v_mov_b32_e32 v5, 0x50
	v_lshl_add_u32 v4, v4, 2, v5
	ds_read_b32 v4, v4 offset:64
	s_waitcnt lgkmcnt(0)
	v_add_f32_e32 v3, v3, v4
.LBB117_55:
	s_or_b64 exec, exec, s[2:3]
.LBB117_56:
	s_or_b64 exec, exec, s[0:1]
	v_cmp_eq_u32_e32 vcc, 0, v1
	s_barrier
	s_and_saveexec_b64 s[0:1], vcc
	s_cbranch_execz .LBB117_58
; %bb.57:
	s_lshl_b32 s0, s6, 5
	s_ashr_i32 s1, s0, 31
	s_lshl_b64 s[0:1], s[0:1], 1
	s_add_u32 s2, s22, s0
	s_mul_i32 s0, s12, s20
	s_addc_u32 s3, s23, s1
	s_ashr_i32 s1, s0, 31
	s_lshl_b64 s[0:1], s[0:1], 1
	s_add_u32 s2, s2, s0
	s_addc_u32 s3, s3, s1
	s_lshl_b32 s0, s4, 5
	s_ashr_i32 s1, s0, 31
	s_lshl_b64 s[0:1], s[0:1], 1
	s_add_u32 s0, s2, s0
	s_addc_u32 s1, s3, s1
	v_lshrrev_b32_e32 v0, 1, v0
	;;#ASMSTART
	v_cvt_f16_f32 v1, v2;

	;;#ASMEND
	global_store_short v0, v1, s[0:1]
	;;#ASMSTART
	v_cvt_f16_f32 v1, v3;

	;;#ASMEND
	global_store_short v0, v1, s[0:1] offset:32
.LBB117_58:
	s_endpgm
	.section	.rodata,"a",@progbits
	.p2align	6, 0x0
	.amdhsa_kernel _ZN4vllm25paged_attention_v2_kernelIttLi32ELi32ELi128ELNS_18Fp8KVCacheDataTypeE0ELb0ELi512EEEvPfS2_PT_PKS3_PKT0_S9_ifPKiSB_iPKfiiiSD_SD_iiiii
		.amdhsa_group_segment_fixed_size 80
		.amdhsa_private_segment_fixed_size 0
		.amdhsa_kernarg_size 400
		.amdhsa_user_sgpr_count 2
		.amdhsa_user_sgpr_dispatch_ptr 0
		.amdhsa_user_sgpr_queue_ptr 0
		.amdhsa_user_sgpr_kernarg_segment_ptr 1
		.amdhsa_user_sgpr_dispatch_id 0
		.amdhsa_user_sgpr_kernarg_preload_length 0
		.amdhsa_user_sgpr_kernarg_preload_offset 0
		.amdhsa_user_sgpr_private_segment_size 0
		.amdhsa_uses_dynamic_stack 0
		.amdhsa_enable_private_segment 0
		.amdhsa_system_sgpr_workgroup_id_x 1
		.amdhsa_system_sgpr_workgroup_id_y 1
		.amdhsa_system_sgpr_workgroup_id_z 1
		.amdhsa_system_sgpr_workgroup_info 0
		.amdhsa_system_vgpr_workitem_id 0
		.amdhsa_next_free_vgpr 45
		.amdhsa_next_free_sgpr 42
		.amdhsa_accum_offset 48
		.amdhsa_reserve_vcc 1
		.amdhsa_float_round_mode_32 0
		.amdhsa_float_round_mode_16_64 0
		.amdhsa_float_denorm_mode_32 3
		.amdhsa_float_denorm_mode_16_64 3
		.amdhsa_dx10_clamp 1
		.amdhsa_ieee_mode 1
		.amdhsa_fp16_overflow 0
		.amdhsa_tg_split 0
		.amdhsa_exception_fp_ieee_invalid_op 0
		.amdhsa_exception_fp_denorm_src 0
		.amdhsa_exception_fp_ieee_div_zero 0
		.amdhsa_exception_fp_ieee_overflow 0
		.amdhsa_exception_fp_ieee_underflow 0
		.amdhsa_exception_fp_ieee_inexact 0
		.amdhsa_exception_int_div_zero 0
	.end_amdhsa_kernel
	.section	.text._ZN4vllm25paged_attention_v2_kernelIttLi32ELi32ELi128ELNS_18Fp8KVCacheDataTypeE0ELb0ELi512EEEvPfS2_PT_PKS3_PKT0_S9_ifPKiSB_iPKfiiiSD_SD_iiiii,"axG",@progbits,_ZN4vllm25paged_attention_v2_kernelIttLi32ELi32ELi128ELNS_18Fp8KVCacheDataTypeE0ELb0ELi512EEEvPfS2_PT_PKS3_PKT0_S9_ifPKiSB_iPKfiiiSD_SD_iiiii,comdat
.Lfunc_end117:
	.size	_ZN4vllm25paged_attention_v2_kernelIttLi32ELi32ELi128ELNS_18Fp8KVCacheDataTypeE0ELb0ELi512EEEvPfS2_PT_PKS3_PKT0_S9_ifPKiSB_iPKfiiiSD_SD_iiiii, .Lfunc_end117-_ZN4vllm25paged_attention_v2_kernelIttLi32ELi32ELi128ELNS_18Fp8KVCacheDataTypeE0ELb0ELi512EEEvPfS2_PT_PKS3_PKT0_S9_ifPKiSB_iPKfiiiSD_SD_iiiii
                                        ; -- End function
	.section	.AMDGPU.csdata,"",@progbits
; Kernel info:
; codeLenInByte = 4528
; NumSgprs: 48
; NumVgprs: 45
; NumAgprs: 0
; TotalNumVgprs: 45
; ScratchSize: 0
; MemoryBound: 0
; FloatMode: 240
; IeeeMode: 1
; LDSByteSize: 80 bytes/workgroup (compile time only)
; SGPRBlocks: 5
; VGPRBlocks: 5
; NumSGPRsForWavesPerEU: 48
; NumVGPRsForWavesPerEU: 45
; AccumOffset: 48
; Occupancy: 8
; WaveLimiterHint : 1
; COMPUTE_PGM_RSRC2:SCRATCH_EN: 0
; COMPUTE_PGM_RSRC2:USER_SGPR: 2
; COMPUTE_PGM_RSRC2:TRAP_HANDLER: 0
; COMPUTE_PGM_RSRC2:TGID_X_EN: 1
; COMPUTE_PGM_RSRC2:TGID_Y_EN: 1
; COMPUTE_PGM_RSRC2:TGID_Z_EN: 1
; COMPUTE_PGM_RSRC2:TIDIG_COMP_CNT: 0
; COMPUTE_PGM_RSRC3_GFX90A:ACCUM_OFFSET: 11
; COMPUTE_PGM_RSRC3_GFX90A:TG_SPLIT: 0
	.section	.text._ZN4vllm25paged_attention_v2_kernelIttLi64ELi32ELi128ELNS_18Fp8KVCacheDataTypeE0ELb0ELi512EEEvPfS2_PT_PKS3_PKT0_S9_ifPKiSB_iPKfiiiSD_SD_iiiii,"axG",@progbits,_ZN4vllm25paged_attention_v2_kernelIttLi64ELi32ELi128ELNS_18Fp8KVCacheDataTypeE0ELb0ELi512EEEvPfS2_PT_PKS3_PKT0_S9_ifPKiSB_iPKfiiiSD_SD_iiiii,comdat
	.protected	_ZN4vllm25paged_attention_v2_kernelIttLi64ELi32ELi128ELNS_18Fp8KVCacheDataTypeE0ELb0ELi512EEEvPfS2_PT_PKS3_PKT0_S9_ifPKiSB_iPKfiiiSD_SD_iiiii ; -- Begin function _ZN4vllm25paged_attention_v2_kernelIttLi64ELi32ELi128ELNS_18Fp8KVCacheDataTypeE0ELb0ELi512EEEvPfS2_PT_PKS3_PKT0_S9_ifPKiSB_iPKfiiiSD_SD_iiiii
	.globl	_ZN4vllm25paged_attention_v2_kernelIttLi64ELi32ELi128ELNS_18Fp8KVCacheDataTypeE0ELb0ELi512EEEvPfS2_PT_PKS3_PKT0_S9_ifPKiSB_iPKfiiiSD_SD_iiiii
	.p2align	8
	.type	_ZN4vllm25paged_attention_v2_kernelIttLi64ELi32ELi128ELNS_18Fp8KVCacheDataTypeE0ELb0ELi512EEEvPfS2_PT_PKS3_PKT0_S9_ifPKiSB_iPKfiiiSD_SD_iiiii,@function
_ZN4vllm25paged_attention_v2_kernelIttLi64ELi32ELi128ELNS_18Fp8KVCacheDataTypeE0ELb0ELi512EEEvPfS2_PT_PKS3_PKT0_S9_ifPKiSB_iPKfiiiSD_SD_iiiii: ; @_ZN4vllm25paged_attention_v2_kernelIttLi64ELi32ELi128ELNS_18Fp8KVCacheDataTypeE0ELb0ELi512EEEvPfS2_PT_PKS3_PKT0_S9_ifPKiSB_iPKfiiiSD_SD_iiiii
; %bb.0:
	s_load_dwordx2 s[6:7], s[0:1], 0x40
	s_mov_b32 s24, s3
	s_ashr_i32 s25, s3, 31
	s_lshl_b64 s[8:9], s[24:25], 2
	s_waitcnt lgkmcnt(0)
	s_add_u32 s6, s6, s8
	s_addc_u32 s7, s7, s9
	s_load_dword s25, s[6:7], 0x0
	s_lshl_b32 s33, s4, 9
	s_waitcnt lgkmcnt(0)
	s_cmp_ge_i32 s33, s25
	s_cbranch_scc1 .LBB118_63
; %bb.1:
	s_load_dword s5, s[0:1], 0x90
	s_load_dwordx2 s[10:11], s[0:1], 0x30
	s_waitcnt lgkmcnt(0)
	s_abs_i32 s7, s5
	s_abs_i32 s3, s10
	v_cvt_f32_u32_e32 v1, s3
	s_sub_i32 s8, 0, s3
	s_xor_b32 s6, s5, s10
	s_ashr_i32 s6, s6, 31
	v_rcp_iflag_f32_e32 v1, v1
	s_nop 0
	v_mul_f32_e32 v1, 0x4f7ffffe, v1
	v_cvt_u32_f32_e32 v1, v1
	s_nop 0
	v_readfirstlane_b32 s9, v1
	s_mul_i32 s8, s8, s9
	s_mul_hi_u32 s8, s9, s8
	s_add_i32 s9, s9, s8
	s_mul_hi_u32 s8, s7, s9
	s_mul_i32 s9, s8, s3
	s_sub_i32 s7, s7, s9
	s_add_i32 s10, s8, 1
	s_sub_i32 s9, s7, s3
	s_cmp_ge_u32 s7, s3
	s_cselect_b32 s8, s10, s8
	s_cselect_b32 s7, s9, s7
	s_add_i32 s9, s8, 1
	s_cmp_ge_u32 s7, s3
	s_cselect_b32 s3, s9, s8
	s_xor_b32 s3, s3, s6
	s_sub_i32 s12, s3, s6
	s_abs_i32 s8, s12
	v_cvt_f32_u32_e32 v1, s8
	s_load_dwordx2 s[6:7], s[0:1], 0x50
	s_sub_i32 s3, 0, s8
	s_abs_i32 s9, s2
	v_rcp_iflag_f32_e32 v1, v1
	s_mov_b32 s10, 0
	v_mul_f32_e32 v1, 0x4f7ffffe, v1
	v_cvt_u32_f32_e32 v1, v1
	s_nop 0
	v_readfirstlane_b32 s13, v1
	s_mul_i32 s3, s3, s13
	s_mul_hi_u32 s3, s13, s3
	s_add_i32 s13, s13, s3
	s_waitcnt lgkmcnt(0)
	s_cmp_eq_u64 s[6:7], 0
	s_mul_hi_u32 s16, s9, s13
	s_cbranch_scc1 .LBB118_3
; %bb.2:
	s_ashr_i32 s3, s2, 31
	s_lshl_b64 s[14:15], s[2:3], 2
	s_add_u32 s6, s6, s14
	s_addc_u32 s7, s7, s15
	s_load_dword s10, s[6:7], 0x0
.LBB118_3:
	s_ashr_i32 s18, s12, 31
	s_load_dwordx4 s[12:15], s[0:1], 0x58
	s_ashr_i32 s17, s2, 31
	v_and_b32_e32 v4, 1, v0
	s_lshl_b32 s20, s2, 6
	v_cmp_gt_u32_e32 vcc, 16, v0
	v_lshlrev_b32_e32 v1, 3, v0
	s_and_saveexec_b64 s[6:7], vcc
	s_cbranch_execz .LBB118_5
; %bb.4:
	s_load_dwordx2 s[22:23], s[0:1], 0x18
	s_waitcnt lgkmcnt(0)
	s_mul_i32 s26, s24, s12
	s_ashr_i32 s27, s26, 31
	s_lshl_b64 s[26:27], s[26:27], 1
	v_lshlrev_b32_e32 v5, 2, v0
	s_add_u32 s3, s22, s26
	s_addc_u32 s12, s23, s27
	s_ashr_i32 s21, s20, 31
	s_lshl_b64 s[22:23], s[20:21], 1
	s_add_u32 s22, s3, s22
	s_addc_u32 s23, s12, s23
	global_load_dwordx2 v[2:3], v1, s[22:23]
	v_and_b32_e32 v5, 0xff8, v5
	v_lshl_add_u32 v5, v4, 6, v5
	s_waitcnt vmcnt(0)
	ds_write_b64 v5, v[2:3]
.LBB118_5:
	s_or_b64 exec, exec, s[6:7]
	s_add_i32 s3, s25, 31
	s_ashr_i32 s6, s3, 31
	s_lshr_b32 s6, s6, 27
	s_add_i32 s3, s3, s6
	s_ashr_i32 s40, s3, 5
	s_lshl_b32 s3, s4, 4
	s_mul_i32 s7, s16, s8
	s_add_i32 s6, s3, 16
	s_sub_i32 s7, s9, s7
	s_min_i32 s21, s6, s40
	s_xor_b32 s6, s17, s18
	s_add_i32 s9, s16, 1
	s_waitcnt lgkmcnt(0)
	s_sub_i32 s12, s7, s8
	s_cmp_ge_u32 s7, s8
	s_cselect_b32 s9, s9, s16
	s_cselect_b32 s7, s12, s7
	s_add_i32 s12, s9, 1
	s_cmp_ge_u32 s7, s8
	s_load_dwordx2 s[26:27], s[0:1], 0x38
	s_load_dword s8, s[0:1], 0x48
	v_lshrrev_b32_e32 v26, 6, v0
	s_cselect_b32 s7, s12, s9
	s_xor_b32 s7, s7, s6
	v_or_b32_e32 v6, s3, v26
	s_waitcnt lgkmcnt(0)
	s_mul_i32 s28, s24, s8
	s_sub_i32 s15, s7, s6
	s_ashr_i32 s29, s28, 31
	v_cmp_gt_i32_e64 s[8:9], s21, v6
	v_cmp_le_i32_e32 vcc, s21, v6
	v_mbcnt_lo_u32_b32 v8, -1, 0
	s_barrier
	s_waitcnt lgkmcnt(0)
                                        ; implicit-def: $sgpr36
                                        ; implicit-def: $vgpr28
                                        ; implicit-def: $vgpr29
	s_and_saveexec_b64 s[6:7], vcc
	s_xor_b64 s[6:7], exec, s[6:7]
; %bb.6:
	v_mbcnt_hi_u32_b32 v28, -1, v8
	v_and_b32_e32 v2, 64, v28
	v_add_u32_e32 v29, 64, v2
	s_mov_b32 s36, 0xff7fffff
                                        ; implicit-def: $vgpr4
                                        ; implicit-def: $vgpr8
; %bb.7:
	s_or_saveexec_b64 s[34:35], s[6:7]
	s_load_dwordx4 s[16:19], s[0:1], 0x0
	s_load_dwordx2 s[22:23], s[0:1], 0x10
	s_load_dwordx2 s[30:31], s[0:1], 0x28
	s_load_dword s12, s[0:1], 0x98
	v_mov_b32_e32 v30, s36
	s_mul_i32 s14, s15, s14
	v_ashrrev_i32_e32 v7, 31, v6
	v_lshlrev_b32_e32 v27, 5, v26
	s_xor_b64 exec, exec, s[34:35]
	s_cbranch_execz .LBB118_13
; %bb.8:
	s_load_dwordx2 s[0:1], s[0:1], 0x20
	s_ashr_i32 s15, s14, 31
	s_lshl_b64 s[6:7], s[14:15], 1
	v_bfe_u32 v5, v0, 1, 5
	v_lshlrev_b32_e32 v2, 4, v5
	s_waitcnt lgkmcnt(0)
	s_add_u32 s0, s0, s6
	s_addc_u32 s1, s1, s7
	v_mov_b32_e32 v3, 0
	v_lshl_add_u64 v[10:11], s[0:1], 0, v[2:3]
	s_sub_i32 s15, 1, s25
	s_lshl_b64 s[0:1], s[28:29], 2
	v_lshlrev_b32_e32 v31, 6, v4
	v_cmp_eq_u32_e32 vcc, 0, v4
	v_lshlrev_b32_e32 v4, 2, v5
	s_add_u32 s0, s26, s0
	v_mbcnt_hi_u32_b32 v28, -1, v8
	v_and_b32_e32 v2, 8, v1
	v_lshl_or_b32 v4, v26, 7, v4
	s_addc_u32 s1, s27, s1
	v_and_b32_e32 v8, 64, v28
	s_mov_b32 s41, s13
	v_lshl_add_u64 v[2:3], v[10:11], 0, v[2:3]
	v_cmp_neq_f32_e64 s[6:7], s10, 0
	v_add3_u32 v32, s33, v27, v5
	v_add_u32_e32 v33, 0x90, v4
	v_lshl_add_u64 v[4:5], v[6:7], 2, s[0:1]
	s_mov_b64 s[36:37], 0
	v_mov_b32_e32 v30, 0xff7fffff
	v_xor_b32_e32 v34, 1, v28
	v_add_u32_e32 v29, 64, v8
	v_mov_b32_e32 v35, v6
	s_branch .LBB118_10
.LBB118_9:                              ;   in Loop: Header=BB118_10 Depth=1
	s_or_b64 exec, exec, s[38:39]
	v_add_u32_e32 v35, 2, v35
	v_cmp_le_i32_e64 s[0:1], s21, v35
	v_add_u32_e32 v32, 64, v32
	v_add_u32_e32 v33, 0x100, v33
	s_or_b64 s[36:37], s[0:1], s[36:37]
	v_lshl_add_u64 v[4:5], v[4:5], 0, 8
	s_andn2_b64 exec, exec, s[36:37]
	s_cbranch_execz .LBB118_12
.LBB118_10:                             ; =>This Inner Loop Header: Depth=1
	global_load_dword v8, v[4:5], off
	s_waitcnt vmcnt(0) lgkmcnt(0)
	v_mad_i64_i32 v[8:9], s[0:1], v8, s41, 0
	v_lshl_add_u64 v[24:25], v[8:9], 1, v[2:3]
	global_load_dwordx2 v[22:23], v[24:25], off
	global_load_dwordx2 v[20:21], v[24:25], off offset:512
	global_load_dwordx2 v[18:19], v[24:25], off offset:1024
	global_load_dwordx2 v[16:17], v[24:25], off offset:1536
	global_load_dwordx2 v[14:15], v[24:25], off offset:2048
	global_load_dwordx2 v[12:13], v[24:25], off offset:2560
	global_load_dwordx2 v[10:11], v[24:25], off offset:3072
	global_load_dwordx2 v[8:9], v[24:25], off offset:3584
	ds_read_b64 v[24:25], v31
	v_cmp_lt_i32_e64 s[0:1], v34, v29
	s_waitcnt lgkmcnt(0)
	v_lshrrev_b32_e32 v37, 16, v24
	v_and_b32_e32 v24, 0xffff, v24
	v_lshrrev_b32_e32 v38, 16, v25
	v_and_b32_e32 v25, 0xffff, v25
	;;#ASMSTART
	v_cvt_f32_f16 v24, v24;
	;;#ASMEND
	;;#ASMSTART
	v_cvt_f32_f16 v37, v37;
	;;#ASMEND
	v_cndmask_b32_e64 v36, v28, v34, s[0:1]
	s_waitcnt vmcnt(7)
	v_lshrrev_b32_e32 v39, 16, v22
	v_and_b32_e32 v22, 0xffff, v22
	v_lshrrev_b32_e32 v40, 16, v23
	v_and_b32_e32 v23, 0xffff, v23
	;;#ASMSTART
	v_cvt_f32_f16 v22, v22;
	;;#ASMEND
	;;#ASMSTART
	v_cvt_f32_f16 v39, v39;
	;;#ASMEND
	s_waitcnt vmcnt(1)
	v_lshrrev_b32_e32 v51, 16, v10
	v_and_b32_e32 v52, 0xffff, v10
	v_lshrrev_b32_e32 v53, 16, v11
	v_and_b32_e32 v54, 0xffff, v11
	;;#ASMSTART
	v_cvt_f32_f16 v25, v25;
	;;#ASMEND
	;;#ASMSTART
	v_cvt_f32_f16 v38, v38;
	;;#ASMEND
	;; [unrolled: 3-line block ×4, first 2 shown]
	ds_read_b64 v[10:11], v31 offset:8
	v_lshrrev_b32_e32 v41, 16, v20
	v_and_b32_e32 v20, 0xffff, v20
	v_lshrrev_b32_e32 v42, 16, v21
	v_and_b32_e32 v21, 0xffff, v21
	s_waitcnt vmcnt(0)
	v_lshrrev_b32_e32 v55, 16, v8
	v_and_b32_e32 v56, 0xffff, v8
	v_lshrrev_b32_e32 v57, 16, v9
	v_and_b32_e32 v58, 0xffff, v9
	s_waitcnt lgkmcnt(0)
	v_lshrrev_b32_e32 v8, 16, v10
	v_and_b32_e32 v9, 0xffff, v10
	v_lshrrev_b32_e32 v10, 16, v11
	v_and_b32_e32 v11, 0xffff, v11
	;;#ASMSTART
	v_cvt_f32_f16 v59, v9;
	;;#ASMEND
	;;#ASMSTART
	v_cvt_f32_f16 v60, v8;
	;;#ASMEND
	;; [unrolled: 3-line block ×8, first 2 shown]
	ds_read_b64 v[8:9], v31 offset:16
	v_mul_f32_e32 v20, v59, v20
	v_lshrrev_b32_e32 v43, 16, v18
	v_and_b32_e32 v18, 0xffff, v18
	v_lshrrev_b32_e32 v44, 16, v19
	v_and_b32_e32 v19, 0xffff, v19
	v_mul_f32_e32 v41, v60, v41
	v_mul_f32_e32 v11, v11, v21
	v_fmac_f32_e32 v20, v24, v22
	s_waitcnt lgkmcnt(0)
	v_lshrrev_b32_e32 v21, 16, v8
	v_and_b32_e32 v8, 0xffff, v8
	v_lshrrev_b32_e32 v22, 16, v9
	v_and_b32_e32 v9, 0xffff, v9
	v_fmac_f32_e32 v41, v37, v39
	v_fmac_f32_e32 v11, v25, v23
	;;#ASMSTART
	v_cvt_f32_f16 v23, v8;
	;;#ASMEND
	;;#ASMSTART
	v_cvt_f32_f16 v21, v21;
	;;#ASMEND
	;; [unrolled: 3-line block ×8, first 2 shown]
	ds_read_b64 v[8:9], v31 offset:24
	v_mul_f32_e32 v10, v10, v42
	v_lshrrev_b32_e32 v45, 16, v16
	v_and_b32_e32 v16, 0xffff, v16
	v_lshrrev_b32_e32 v46, 16, v17
	v_and_b32_e32 v17, 0xffff, v17
	v_fmac_f32_e32 v10, v38, v40
	v_fmac_f32_e32 v20, v23, v18
	;; [unrolled: 1-line block ×3, first 2 shown]
	s_waitcnt lgkmcnt(0)
	v_lshrrev_b32_e32 v18, 16, v8
	v_and_b32_e32 v8, 0xffff, v8
	v_lshrrev_b32_e32 v19, 16, v9
	v_and_b32_e32 v9, 0xffff, v9
	v_fmac_f32_e32 v41, v21, v24
	v_fmac_f32_e32 v10, v22, v37
	;;#ASMSTART
	v_cvt_f32_f16 v21, v8;
	;;#ASMEND
	;;#ASMSTART
	v_cvt_f32_f16 v18, v18;
	;;#ASMEND
	;;#ASMSTART
	v_cvt_f32_f16 v16, v16;
	;;#ASMEND
	;;#ASMSTART
	v_cvt_f32_f16 v22, v45;
	;;#ASMEND
	;;#ASMSTART
	v_cvt_f32_f16 v23, v9;
	;;#ASMEND
	;;#ASMSTART
	v_cvt_f32_f16 v19, v19;
	;;#ASMEND
	;;#ASMSTART
	v_cvt_f32_f16 v17, v17;
	;;#ASMEND
	;;#ASMSTART
	v_cvt_f32_f16 v24, v46;
	;;#ASMEND
	ds_read_b64 v[8:9], v31 offset:32
	v_lshrrev_b32_e32 v47, 16, v14
	v_and_b32_e32 v14, 0xffff, v14
	v_lshrrev_b32_e32 v48, 16, v15
	v_and_b32_e32 v15, 0xffff, v15
	v_fmac_f32_e32 v20, v21, v16
	v_fmac_f32_e32 v11, v23, v17
	s_waitcnt lgkmcnt(0)
	v_lshrrev_b32_e32 v16, 16, v8
	v_and_b32_e32 v8, 0xffff, v8
	v_lshrrev_b32_e32 v17, 16, v9
	v_and_b32_e32 v9, 0xffff, v9
	v_fmac_f32_e32 v41, v18, v22
	v_fmac_f32_e32 v10, v19, v24
	;;#ASMSTART
	v_cvt_f32_f16 v18, v8;
	;;#ASMEND
	;;#ASMSTART
	v_cvt_f32_f16 v16, v16;
	;;#ASMEND
	;; [unrolled: 3-line block ×8, first 2 shown]
	ds_read_b64 v[8:9], v31 offset:40
	v_lshrrev_b32_e32 v49, 16, v12
	v_and_b32_e32 v12, 0xffff, v12
	v_lshrrev_b32_e32 v50, 16, v13
	v_and_b32_e32 v13, 0xffff, v13
	v_fmac_f32_e32 v20, v18, v14
	v_fmac_f32_e32 v11, v21, v15
	s_waitcnt lgkmcnt(0)
	v_lshrrev_b32_e32 v14, 16, v8
	v_and_b32_e32 v8, 0xffff, v8
	v_lshrrev_b32_e32 v15, 16, v9
	v_and_b32_e32 v9, 0xffff, v9
	v_fmac_f32_e32 v41, v16, v19
	v_fmac_f32_e32 v10, v17, v22
	;;#ASMSTART
	v_cvt_f32_f16 v16, v8;
	;;#ASMEND
	;;#ASMSTART
	v_cvt_f32_f16 v14, v14;
	;;#ASMEND
	;; [unrolled: 3-line block ×8, first 2 shown]
	ds_read_b64 v[8:9], v31 offset:48
	v_fmac_f32_e32 v20, v16, v12
	v_fmac_f32_e32 v11, v18, v13
	;; [unrolled: 1-line block ×4, first 2 shown]
	s_waitcnt lgkmcnt(0)
	v_lshrrev_b32_e32 v12, 16, v8
	v_and_b32_e32 v8, 0xffff, v8
	v_lshrrev_b32_e32 v13, 16, v9
	v_and_b32_e32 v9, 0xffff, v9
	;;#ASMSTART
	v_cvt_f32_f16 v14, v8;
	;;#ASMEND
	;;#ASMSTART
	v_cvt_f32_f16 v12, v12;
	;;#ASMEND
	;; [unrolled: 3-line block ×8, first 2 shown]
	ds_read_b64 v[8:9], v31 offset:56
	v_fmac_f32_e32 v20, v14, v15
	v_fmac_f32_e32 v41, v12, v16
	;; [unrolled: 1-line block ×4, first 2 shown]
	s_waitcnt lgkmcnt(0)
	v_lshrrev_b32_e32 v12, 16, v8
	v_and_b32_e32 v8, 0xffff, v8
	v_lshrrev_b32_e32 v13, 16, v9
	v_and_b32_e32 v9, 0xffff, v9
	;;#ASMSTART
	v_cvt_f32_f16 v8, v8;
	;;#ASMEND
	;;#ASMSTART
	v_cvt_f32_f16 v12, v12;
	;;#ASMEND
	;; [unrolled: 3-line block ×8, first 2 shown]
	s_nop 0
	v_fmac_f32_e32 v20, v8, v14
	v_fmac_f32_e32 v41, v12, v15
	;; [unrolled: 1-line block ×3, first 2 shown]
	v_add_f32_e32 v8, v20, v41
	v_fmac_f32_e32 v10, v13, v17
	v_add_f32_e32 v8, v8, v11
	v_add_f32_e32 v8, v10, v8
	v_lshlrev_b32_e32 v9, 2, v36
	ds_bpermute_b32 v9, v9, v8
	s_and_saveexec_b64 s[38:39], vcc
	s_cbranch_execz .LBB118_9
; %bb.11:                               ;   in Loop: Header=BB118_10 Depth=1
	v_add_u32_e32 v10, s15, v32
	v_cvt_f32_i32_e32 v10, v10
	s_waitcnt lgkmcnt(0)
	v_add_f32_e32 v8, v8, v9
	v_cmp_gt_i32_e64 s[0:1], s25, v32
	v_max_f32_e32 v9, v30, v30
	v_mul_f32_e32 v10, s10, v10
	v_cndmask_b32_e64 v10, 0, v10, s[6:7]
	v_fmac_f32_e32 v10, s11, v8
	v_cndmask_b32_e64 v8, 0, v10, s[0:1]
	ds_write_b32 v33, v8
	v_max_f32_e32 v8, v9, v10
	v_cndmask_b32_e64 v30, v30, v8, s[0:1]
	s_branch .LBB118_9
.LBB118_12:
	s_or_b64 exec, exec, s[36:37]
.LBB118_13:
	s_or_b64 exec, exec, s[34:35]
	v_xor_b32_e32 v2, 32, v28
	v_cmp_lt_i32_e32 vcc, v2, v29
	v_xor_b32_e32 v5, 16, v28
	v_max_f32_e32 v4, v30, v30
	v_cndmask_b32_e32 v2, v28, v2, vcc
	v_lshlrev_b32_e32 v2, 2, v2
	ds_bpermute_b32 v3, v2, v30
	v_cmp_lt_i32_e32 vcc, v5, v29
	v_xor_b32_e32 v8, 8, v28
	s_waitcnt lgkmcnt(0)
	v_xor_b32_e32 v9, 4, v28
	v_xor_b32_e32 v10, 2, v28
	v_max_f32_e32 v3, v3, v3
	v_max_f32_e32 v4, v4, v3
	v_cndmask_b32_e32 v3, v28, v5, vcc
	v_lshlrev_b32_e32 v3, 2, v3
	ds_bpermute_b32 v5, v3, v4
	v_cmp_lt_i32_e32 vcc, v8, v29
	v_and_b32_e32 v18, 63, v0
	s_waitcnt lgkmcnt(0)
	v_max_f32_e32 v5, v5, v5
	v_max_f32_e32 v4, v4, v5
	v_cndmask_b32_e32 v5, v28, v8, vcc
	v_lshlrev_b32_e32 v5, 2, v5
	ds_bpermute_b32 v8, v5, v4
	v_cmp_lt_i32_e32 vcc, v9, v29
	s_waitcnt lgkmcnt(0)
	v_max_f32_e32 v8, v8, v8
	v_max_f32_e32 v4, v4, v8
	v_cndmask_b32_e32 v8, v28, v9, vcc
	v_lshlrev_b32_e32 v8, 2, v8
	ds_bpermute_b32 v9, v8, v4
	v_cmp_lt_i32_e32 vcc, v10, v29
	s_waitcnt lgkmcnt(0)
	v_max_f32_e32 v9, v9, v9
	v_max_f32_e32 v4, v4, v9
	v_cndmask_b32_e32 v9, v28, v10, vcc
	v_lshlrev_b32_e32 v19, 2, v9
	ds_bpermute_b32 v10, v19, v4
	v_cmp_eq_u32_e32 vcc, 0, v18
	v_lshlrev_b32_e32 v9, 2, v26
	s_and_saveexec_b64 s[0:1], vcc
	s_cbranch_execz .LBB118_15
; %bb.14:
	s_waitcnt lgkmcnt(0)
	v_max_f32_e32 v10, v10, v10
	v_max_f32_e32 v4, v4, v4
	;; [unrolled: 1-line block ×3, first 2 shown]
	ds_write_b32 v9, v4 offset:128
.LBB118_15:
	s_or_b64 exec, exec, s[0:1]
	v_cmp_gt_u32_e64 s[0:1], 2, v18
	v_mov_b32_e32 v4, 0xff7fffff
	s_waitcnt lgkmcnt(0)
	v_lshlrev_b32_e32 v10, 2, v18
	s_barrier
	s_and_saveexec_b64 s[6:7], s[0:1]
	s_cbranch_execz .LBB118_17
; %bb.16:
	ds_read_b32 v4, v10 offset:128
.LBB118_17:
	s_or_b64 exec, exec, s[6:7]
	v_xor_b32_e32 v11, 1, v28
	v_cmp_lt_i32_e64 s[6:7], v11, v29
	s_sub_i32 s3, s21, s3
	s_lshl_b32 s3, s3, 5
	v_cndmask_b32_e64 v11, v28, v11, s[6:7]
	v_lshlrev_b32_e32 v20, 2, v11
	s_waitcnt lgkmcnt(0)
	ds_bpermute_b32 v11, v20, v4
	v_max_f32_e32 v4, v4, v4
	s_add_i32 s3, s3, s33
	s_min_i32 s15, s3, s25
	s_sub_i32 s3, s15, s33
	s_waitcnt lgkmcnt(0)
	v_max_f32_e32 v11, v11, v11
	v_max_f32_e32 v4, v4, v11
	v_lshlrev_b32_e32 v11, 2, v28
	v_and_b32_e32 v11, 0xffffff00, v11
	ds_bpermute_b32 v4, v11, v4
	v_cmp_gt_i32_e64 s[6:7], s3, v0
	v_mov_b32_e32 v12, 0
	s_and_saveexec_b64 s[34:35], s[6:7]
	s_cbranch_execz .LBB118_21
; %bb.18:
	v_mov_b32_e32 v12, 0x90
	v_lshl_add_u32 v13, v0, 2, v12
	s_mov_b64 s[36:37], 0
	v_mov_b32_e32 v12, 0
	v_mov_b32_e32 v14, v0
.LBB118_19:                             ; =>This Inner Loop Header: Depth=1
	ds_read_b32 v15, v13
	v_add_u32_e32 v14, 0x80, v14
	v_cmp_le_i32_e64 s[10:11], s3, v14
	s_or_b64 s[36:37], s[10:11], s[36:37]
	s_waitcnt lgkmcnt(0)
	v_sub_f32_e32 v15, v15, v4
	v_mul_f32_e32 v15, 0x3fb8aa3b, v15
	v_exp_f32_e32 v15, v15
	ds_write_b32 v13, v15
	v_add_f32_e32 v12, v12, v15
	v_add_u32_e32 v13, 0x200, v13
	s_andn2_b64 exec, exec, s[36:37]
	s_cbranch_execnz .LBB118_19
; %bb.20:
	s_or_b64 exec, exec, s[36:37]
.LBB118_21:
	s_or_b64 exec, exec, s[34:35]
	ds_bpermute_b32 v2, v2, v12
	s_waitcnt lgkmcnt(0)
	v_add_f32_e32 v2, v12, v2
	ds_bpermute_b32 v3, v3, v2
	s_waitcnt lgkmcnt(0)
	v_add_f32_e32 v2, v2, v3
	;; [unrolled: 3-line block ×6, first 2 shown]
	s_and_saveexec_b64 s[10:11], vcc
	s_cbranch_execz .LBB118_23
; %bb.22:
	ds_write_b32 v9, v2 offset:136
.LBB118_23:
	s_or_b64 exec, exec, s[10:11]
	s_waitcnt lgkmcnt(0)
	s_barrier
	s_and_saveexec_b64 s[10:11], s[0:1]
	s_cbranch_execz .LBB118_25
; %bb.24:
	ds_read_b32 v2, v10 offset:136
.LBB118_25:
	s_or_b64 exec, exec, s[10:11]
	s_waitcnt lgkmcnt(0)
	ds_bpermute_b32 v3, v20, v2
	s_waitcnt lgkmcnt(0)
	v_add_f32_e32 v2, v2, v3
	ds_bpermute_b32 v5, v11, v2
	s_and_saveexec_b64 s[0:1], s[6:7]
	s_cbranch_execz .LBB118_38
; %bb.26:
	s_waitcnt lgkmcnt(0)
	v_add_f32_e32 v2, 0x358637bd, v5
	v_div_scale_f32 v3, s[6:7], v2, v2, 1.0
	v_rcp_f32_e32 v8, v3
	v_div_scale_f32 v9, vcc, 1.0, v2, 1.0
	s_movk_i32 s6, 0x7f
	v_fma_f32 v10, -v3, v8, 1.0
	v_fmac_f32_e32 v8, v10, v8
	v_mul_f32_e32 v10, v9, v8
	v_fma_f32 v11, -v3, v10, v9
	v_fmac_f32_e32 v10, v11, v8
	v_fma_f32 v3, -v3, v10, v9
	v_div_fmas_f32 v3, v3, v8, v10
	v_div_fixup_f32 v2, v3, v2, 1.0
	v_xad_u32 v3, v0, -1, s15
	v_subrev_u32_e32 v8, s33, v3
	v_cmp_lt_u32_e32 vcc, s6, v8
	s_mov_b64 s[10:11], -1
	v_mov_b32_e32 v3, v0
	s_and_saveexec_b64 s[6:7], vcc
	s_cbranch_execz .LBB118_35
; %bb.27:
	v_lshrrev_b32_e32 v8, 7, v8
	v_add_u32_e32 v10, -1, v8
	v_lshrrev_b32_e32 v9, 1, v10
	v_mov_b32_e32 v3, v2
	v_add_u32_e32 v9, 1, v9
	v_cmp_lt_u32_e32 vcc, 13, v10
	v_mov_b32_e32 v12, 0
	s_and_saveexec_b64 s[10:11], vcc
	s_cbranch_execz .LBB118_31
; %bb.28:
	v_mov_b32_e32 v11, 0x90
	v_and_b32_e32 v10, -8, v9
	v_lshl_add_u32 v11, v0, 2, v11
	s_mov_b32 s15, 0
	s_mov_b64 s[34:35], 0
.LBB118_29:                             ; =>This Inner Loop Header: Depth=1
	ds_read2st64_b32 v[12:13], v11 offset1:2
	ds_read2st64_b32 v[14:15], v11 offset0:4 offset1:6
	ds_read2st64_b32 v[16:17], v11 offset0:8 offset1:10
	ds_read2st64_b32 v[22:23], v11 offset0:12 offset1:14
	v_add_u32_e32 v10, -8, v10
	s_waitcnt lgkmcnt(3)
	v_pk_mul_f32 v[12:13], v[2:3], v[12:13]
	s_waitcnt lgkmcnt(2)
	v_pk_mul_f32 v[14:15], v[2:3], v[14:15]
	ds_write2st64_b32 v11, v12, v13 offset1:2
	ds_write2st64_b32 v11, v14, v15 offset0:4 offset1:6
	ds_read2st64_b32 v[14:15], v11 offset0:16 offset1:18
	s_waitcnt lgkmcnt(4)
	v_pk_mul_f32 v[12:13], v[2:3], v[16:17]
	ds_write2st64_b32 v11, v12, v13 offset0:8 offset1:10
	s_waitcnt lgkmcnt(4)
	v_pk_mul_f32 v[12:13], v[2:3], v[22:23]
	ds_write2st64_b32 v11, v12, v13 offset0:12 offset1:14
	ds_read2st64_b32 v[12:13], v11 offset0:20 offset1:22
	s_waitcnt lgkmcnt(3)
	v_pk_mul_f32 v[14:15], v[2:3], v[14:15]
	ds_read2st64_b32 v[16:17], v11 offset0:24 offset1:26
	ds_write2st64_b32 v11, v14, v15 offset0:16 offset1:18
	ds_read2st64_b32 v[14:15], v11 offset0:28 offset1:30
	s_waitcnt lgkmcnt(3)
	v_pk_mul_f32 v[12:13], v[2:3], v[12:13]
	ds_write2st64_b32 v11, v12, v13 offset0:20 offset1:22
	s_waitcnt lgkmcnt(3)
	v_pk_mul_f32 v[12:13], v[2:3], v[16:17]
	ds_write2st64_b32 v11, v12, v13 offset0:24 offset1:26
	s_waitcnt lgkmcnt(2)
	v_pk_mul_f32 v[12:13], v[2:3], v[14:15]
	s_add_i32 s15, s15, 16
	v_cmp_eq_u32_e32 vcc, 0, v10
	ds_write2st64_b32 v11, v12, v13 offset0:28 offset1:30
	v_add_u32_e32 v11, 0x2000, v11
	s_or_b64 s[34:35], vcc, s[34:35]
	v_mov_b32_e32 v12, s15
	s_andn2_b64 exec, exec, s[34:35]
	s_cbranch_execnz .LBB118_29
; %bb.30:
	s_or_b64 exec, exec, s[34:35]
.LBB118_31:
	s_or_b64 exec, exec, s[10:11]
	v_and_b32_e32 v9, 7, v9
	v_cmp_ne_u32_e32 vcc, 0, v9
	s_and_saveexec_b64 s[10:11], vcc
	s_cbranch_execz .LBB118_34
; %bb.32:
	v_lshlrev_b32_e32 v10, 9, v12
	v_lshlrev_b32_e32 v11, 2, v0
	s_movk_i32 s15, 0x90
	v_add3_u32 v10, v10, v11, s15
	s_mov_b64 s[34:35], 0
.LBB118_33:                             ; =>This Inner Loop Header: Depth=1
	ds_read2st64_b32 v[12:13], v10 offset1:2
	v_add_u32_e32 v9, -1, v9
	v_cmp_eq_u32_e32 vcc, 0, v9
	s_or_b64 s[34:35], vcc, s[34:35]
	s_waitcnt lgkmcnt(0)
	v_pk_mul_f32 v[12:13], v[2:3], v[12:13]
	ds_write2st64_b32 v10, v12, v13 offset1:2
	v_add_u32_e32 v10, 0x400, v10
	s_andn2_b64 exec, exec, s[34:35]
	s_cbranch_execnz .LBB118_33
.LBB118_34:
	s_or_b64 exec, exec, s[10:11]
	v_add_u32_e32 v8, 1, v8
	v_and_b32_e32 v9, 0x3fffffe, v8
	v_cmp_ne_u32_e32 vcc, v8, v9
	v_lshl_add_u32 v3, v9, 7, v0
	s_orn2_b64 s[10:11], vcc, exec
.LBB118_35:
	s_or_b64 exec, exec, s[6:7]
	s_and_b64 exec, exec, s[10:11]
	s_cbranch_execz .LBB118_38
; %bb.36:
	v_mov_b32_e32 v8, 0x90
	v_lshl_add_u32 v8, v3, 2, v8
	s_mov_b64 s[6:7], 0
.LBB118_37:                             ; =>This Inner Loop Header: Depth=1
	ds_read_b32 v9, v8
	v_add_u32_e32 v3, 0x80, v3
	v_cmp_le_i32_e32 vcc, s3, v3
	s_or_b64 s[6:7], vcc, s[6:7]
	s_waitcnt lgkmcnt(0)
	v_mul_f32_e32 v9, v2, v9
	ds_write_b32 v8, v9
	v_add_u32_e32 v8, 0x200, v8
	s_andn2_b64 exec, exec, s[6:7]
	s_cbranch_execnz .LBB118_37
.LBB118_38:
	s_or_b64 exec, exec, s[0:1]
	s_mul_i32 s0, s12, s24
	v_cmp_eq_u32_e32 vcc, 0, v0
	s_mul_i32 s6, s0, s5
	s_waitcnt lgkmcnt(0)
	s_barrier
	s_and_saveexec_b64 s[0:1], vcc
	s_cbranch_execz .LBB118_40
; %bb.39:
	s_ashr_i32 s7, s6, 31
	s_lshl_b64 s[10:11], s[6:7], 2
	s_add_u32 s5, s18, s10
	s_mul_i32 s2, s12, s2
	s_addc_u32 s7, s19, s11
	s_ashr_i32 s3, s2, 31
	s_lshl_b64 s[2:3], s[2:3], 2
	s_add_u32 s15, s5, s2
	s_addc_u32 s7, s7, s3
	s_ashr_i32 s5, s4, 31
	s_lshl_b64 s[18:19], s[4:5], 2
	s_add_u32 s34, s15, s18
	s_addc_u32 s35, s7, s19
	s_add_u32 s5, s16, s10
	s_addc_u32 s7, s17, s11
	;; [unrolled: 2-line block ×3, first 2 shown]
	s_add_u32 s2, s2, s18
	v_mov_b32_e32 v2, 0
	s_addc_u32 s3, s3, s19
	global_store_dword v2, v4, s[34:35]
	global_store_dword v2, v5, s[2:3]
.LBB118_40:
	s_or_b64 exec, exec, s[0:1]
	v_mov_b32_e32 v11, 0
	v_and_b32_e32 v21, 3, v0
	v_mov_b32_e32 v10, 0
	v_mov_b32_e32 v9, 0
	;; [unrolled: 1-line block ×3, first 2 shown]
	s_and_saveexec_b64 s[2:3], s[8:9]
	s_cbranch_execz .LBB118_52
; %bb.41:
	s_ashr_i32 s15, s14, 31
	s_lshl_b64 s[0:1], s[14:15], 1
	s_add_u32 s0, s30, s0
	v_lshlrev_b32_e32 v2, 4, v0
	s_addc_u32 s1, s31, s1
	v_and_b32_e32 v8, 0x3f0, v2
	v_mov_b32_e32 v9, 0
	s_add_i32 s40, s40, -1
	v_lshl_add_u64 v[12:13], s[0:1], 0, v[8:9]
	s_lshl_b64 s[0:1], s[28:29], 2
	v_lshlrev_b32_e32 v2, 5, v21
	s_add_u32 s0, s26, s0
	v_and_b32_e32 v1, 24, v1
	v_lshl_or_b32 v2, v26, 7, v2
	s_addc_u32 s1, s27, s1
	s_mov_b32 s5, s13
	s_mov_b32 s7, s25
	;; [unrolled: 1-line block ×8, first 2 shown]
	v_add3_u32 v1, s33, v27, v1
	v_add_u32_e32 v22, 0x90, v2
	v_lshl_add_u64 v[14:15], v[6:7], 2, s[0:1]
	s_mov_b64 s[8:9], 0
	s_mov_b32 s19, 0x5040100
	v_mov_b32_e32 v8, v9
	v_mov_b32_e32 v10, v9
	;; [unrolled: 1-line block ×3, first 2 shown]
	s_branch .LBB118_43
.LBB118_42:                             ;   in Loop: Header=BB118_43 Depth=1
	s_or_b64 exec, exec, s[0:1]
	s_waitcnt vmcnt(0)
	;;#ASMSTART
	v_pk_mul_f16 v2, v32, v2;

	;;#ASMEND
	;;#ASMSTART
	v_pk_mul_f16 v3, v31, v3;

	;;#ASMEND
	;;#ASMSTART
	v_pk_mul_f16 v4, v30, v4;

	;;#ASMEND
	;;#ASMSTART
	v_pk_mul_f16 v5, v29, v5;

	;;#ASMEND
	v_add_f32_e32 v7, v33, v34
	;;#ASMSTART
	v_pk_add_f16 v2, v2, v3;

	;;#ASMEND
	v_add_f32_e32 v8, v8, v7
	;;#ASMSTART
	v_pk_add_f16 v2, v2, v4;

	;;#ASMEND
	;; [unrolled: 5-line block ×3, first 2 shown]
	v_add_u32_e32 v6, 2, v6
	v_lshrrev_b32_e32 v3, 16, v2
	v_and_b32_e32 v2, 0xffff, v2
	;;#ASMSTART
	v_cvt_f32_f16 v2, v2;
	;;#ASMEND
	v_add_f32_e32 v9, v9, v7
	v_add_f32_e32 v7, v37, v38
	;;#ASMSTART
	v_cvt_f32_f16 v3, v3;
	;;#ASMEND
	v_cmp_le_i32_e32 vcc, s21, v6
	v_add_f32_e32 v2, v2, v3
	v_add_f32_e32 v10, v10, v7
	;; [unrolled: 1-line block ×3, first 2 shown]
	v_add_u32_e32 v1, 64, v1
	v_add_u32_e32 v22, 0x100, v22
	s_or_b64 s[8:9], vcc, s[8:9]
	v_lshl_add_u64 v[14:15], v[14:15], 0, 8
	s_andn2_b64 exec, exec, s[8:9]
	s_cbranch_execz .LBB118_51
.LBB118_43:                             ; =>This Inner Loop Header: Depth=1
	global_load_dword v7, v[14:15], off
	ds_read2_b64 v[2:5], v22 offset1:1
	ds_read2_b64 v[24:27], v22 offset0:2 offset1:3
	v_cmp_eq_u32_e32 vcc, s40, v6
	v_or_b32_e32 v23, 2, v1
	s_waitcnt lgkmcnt(1)
	;;#ASMSTART
	v_cvt_f16_f32 v29, v2;

	;;#ASMEND
	;;#ASMSTART
	v_cvt_f16_f32 v30, v3;

	;;#ASMEND
	;; [unrolled: 4-line block ×4, first 2 shown]
	s_waitcnt lgkmcnt(0)
	;;#ASMSTART
	v_cvt_f16_f32 v34, v24;

	;;#ASMEND
	;;#ASMSTART
	v_cvt_f16_f32 v35, v25;

	;;#ASMEND
	;; [unrolled: 4-line block ×4, first 2 shown]
	v_or_b32_e32 v24, 3, v1
	v_or_b32_e32 v26, 5, v1
	;; [unrolled: 1-line block ×5, first 2 shown]
	s_waitcnt vmcnt(0)
	v_mad_i64_i32 v[2:3], s[0:1], v7, s5, 0
	v_lshl_add_u64 v[16:17], v[2:3], 1, v[12:13]
	global_load_dwordx4 v[2:5], v[16:17], off
	v_add_u32_e32 v7, 1, v1
	s_and_saveexec_b64 s[10:11], vcc
	s_cbranch_execz .LBB118_45
; %bb.44:                               ;   in Loop: Header=BB118_43 Depth=1
	s_waitcnt vmcnt(0)
	v_lshrrev_b32_e32 v32, 16, v5
	v_cmp_gt_i32_e64 s[0:1], s18, v28
	s_nop 1
	v_cndmask_b32_e64 v32, 0, v32, s[0:1]
	v_cmp_gt_i32_e64 s[0:1], s17, v27
	s_nop 1
	v_cndmask_b32_e64 v5, 0, v5, s[0:1]
	v_perm_b32 v5, v32, v5, s19
	v_lshrrev_b32_e32 v32, 16, v4
	v_cmp_gt_i32_e64 s[0:1], s16, v26
	s_nop 1
	v_cndmask_b32_e64 v32, 0, v32, s[0:1]
	v_cmp_gt_i32_e64 s[0:1], s15, v25
	s_nop 1
	v_cndmask_b32_e64 v4, 0, v4, s[0:1]
	v_perm_b32 v4, v32, v4, s19
	;; [unrolled: 8-line block ×4, first 2 shown]
.LBB118_45:                             ;   in Loop: Header=BB118_43 Depth=1
	s_or_b64 exec, exec, s[10:11]
	v_and_b32_e32 v29, 0xffff, v29
	v_lshl_or_b32 v32, v30, 16, v29
	v_and_b32_e32 v29, 0xffff, v31
	v_lshl_or_b32 v31, v33, 16, v29
	;; [unrolled: 2-line block ×3, first 2 shown]
	v_and_b32_e32 v29, 0xffff, v36
	s_waitcnt vmcnt(0)
	;;#ASMSTART
	v_pk_mul_f16 v2, v32, v2;

	;;#ASMEND
	v_lshl_or_b32 v29, v37, 16, v29
	;;#ASMSTART
	v_pk_mul_f16 v3, v31, v3;

	;;#ASMEND
	;;#ASMSTART
	v_pk_mul_f16 v4, v30, v4;

	;;#ASMEND
	;; [unrolled: 4-line block ×3, first 2 shown]
	s_nop 0
	;;#ASMSTART
	v_pk_add_f16 v2, v2, v3;

	;;#ASMEND
	s_nop 0
	;;#ASMSTART
	v_pk_add_f16 v2, v2, v4;

	;;#ASMEND
	;; [unrolled: 5-line block ×3, first 2 shown]
	s_nop 0
	v_lshrrev_b32_e32 v3, 16, v2
	v_and_b32_e32 v2, 0xffff, v2
	;;#ASMSTART
	v_cvt_f32_f16 v33, v2;
	;;#ASMEND
	;;#ASMSTART
	v_cvt_f32_f16 v34, v3;
	;;#ASMEND
	global_load_dwordx4 v[2:5], v[16:17], off offset:1024
	s_and_saveexec_b64 s[10:11], vcc
	s_cbranch_execz .LBB118_47
; %bb.46:                               ;   in Loop: Header=BB118_43 Depth=1
	s_waitcnt vmcnt(0)
	v_lshrrev_b32_e32 v35, 16, v5
	v_cmp_gt_i32_e64 s[0:1], s18, v28
	s_nop 1
	v_cndmask_b32_e64 v35, 0, v35, s[0:1]
	v_cmp_gt_i32_e64 s[0:1], s17, v27
	s_nop 1
	v_cndmask_b32_e64 v5, 0, v5, s[0:1]
	v_perm_b32 v5, v35, v5, s19
	v_lshrrev_b32_e32 v35, 16, v4
	v_cmp_gt_i32_e64 s[0:1], s16, v26
	s_nop 1
	v_cndmask_b32_e64 v35, 0, v35, s[0:1]
	v_cmp_gt_i32_e64 s[0:1], s15, v25
	s_nop 1
	v_cndmask_b32_e64 v4, 0, v4, s[0:1]
	v_perm_b32 v4, v35, v4, s19
	;; [unrolled: 8-line block ×4, first 2 shown]
.LBB118_47:                             ;   in Loop: Header=BB118_43 Depth=1
	s_or_b64 exec, exec, s[10:11]
	s_waitcnt vmcnt(0)
	;;#ASMSTART
	v_pk_mul_f16 v2, v32, v2;

	;;#ASMEND
	;;#ASMSTART
	v_pk_mul_f16 v3, v31, v3;

	;;#ASMEND
	;; [unrolled: 4-line block ×4, first 2 shown]
	s_nop 0
	;;#ASMSTART
	v_pk_add_f16 v2, v2, v3;

	;;#ASMEND
	s_nop 0
	;;#ASMSTART
	v_pk_add_f16 v2, v2, v4;

	;;#ASMEND
	;; [unrolled: 5-line block ×3, first 2 shown]
	s_nop 0
	v_lshrrev_b32_e32 v3, 16, v2
	v_and_b32_e32 v2, 0xffff, v2
	;;#ASMSTART
	v_cvt_f32_f16 v35, v2;
	;;#ASMEND
	;;#ASMSTART
	v_cvt_f32_f16 v36, v3;
	;;#ASMEND
	global_load_dwordx4 v[2:5], v[16:17], off offset:2048
	s_and_saveexec_b64 s[10:11], vcc
	s_cbranch_execz .LBB118_49
; %bb.48:                               ;   in Loop: Header=BB118_43 Depth=1
	s_waitcnt vmcnt(0)
	v_lshrrev_b32_e32 v37, 16, v5
	v_cmp_gt_i32_e64 s[0:1], s18, v28
	s_nop 1
	v_cndmask_b32_e64 v37, 0, v37, s[0:1]
	v_cmp_gt_i32_e64 s[0:1], s17, v27
	s_nop 1
	v_cndmask_b32_e64 v5, 0, v5, s[0:1]
	v_perm_b32 v5, v37, v5, s19
	v_lshrrev_b32_e32 v37, 16, v4
	v_cmp_gt_i32_e64 s[0:1], s16, v26
	s_nop 1
	v_cndmask_b32_e64 v37, 0, v37, s[0:1]
	v_cmp_gt_i32_e64 s[0:1], s15, v25
	s_nop 1
	v_cndmask_b32_e64 v4, 0, v4, s[0:1]
	v_perm_b32 v4, v37, v4, s19
	;; [unrolled: 8-line block ×4, first 2 shown]
.LBB118_49:                             ;   in Loop: Header=BB118_43 Depth=1
	s_or_b64 exec, exec, s[10:11]
	s_waitcnt vmcnt(0)
	;;#ASMSTART
	v_pk_mul_f16 v2, v32, v2;

	;;#ASMEND
	;;#ASMSTART
	v_pk_mul_f16 v3, v31, v3;

	;;#ASMEND
	;;#ASMSTART
	v_pk_mul_f16 v4, v30, v4;

	;;#ASMEND
	;;#ASMSTART
	v_pk_mul_f16 v5, v29, v5;

	;;#ASMEND
	s_nop 0
	;;#ASMSTART
	v_pk_add_f16 v2, v2, v3;

	;;#ASMEND
	s_nop 0
	;;#ASMSTART
	v_pk_add_f16 v2, v2, v4;

	;;#ASMEND
	;; [unrolled: 5-line block ×3, first 2 shown]
	s_nop 0
	v_lshrrev_b32_e32 v3, 16, v2
	v_and_b32_e32 v2, 0xffff, v2
	;;#ASMSTART
	v_cvt_f32_f16 v37, v2;
	;;#ASMEND
	;;#ASMSTART
	v_cvt_f32_f16 v38, v3;
	;;#ASMEND
	global_load_dwordx4 v[2:5], v[16:17], off offset:3072
	s_and_saveexec_b64 s[0:1], vcc
	s_cbranch_execz .LBB118_42
; %bb.50:                               ;   in Loop: Header=BB118_43 Depth=1
	s_waitcnt vmcnt(0)
	v_lshrrev_b32_e32 v16, 16, v5
	v_cmp_gt_i32_e32 vcc, s18, v28
	s_nop 1
	v_cndmask_b32_e32 v16, 0, v16, vcc
	v_cmp_gt_i32_e32 vcc, s17, v27
	s_nop 1
	v_cndmask_b32_e32 v5, 0, v5, vcc
	v_perm_b32 v5, v16, v5, s19
	v_lshrrev_b32_e32 v16, 16, v4
	v_cmp_gt_i32_e32 vcc, s16, v26
	s_nop 1
	v_cndmask_b32_e32 v16, 0, v16, vcc
	v_cmp_gt_i32_e32 vcc, s15, v25
	s_nop 1
	v_cndmask_b32_e32 v4, 0, v4, vcc
	v_perm_b32 v4, v16, v4, s19
	;; [unrolled: 8-line block ×4, first 2 shown]
	s_branch .LBB118_42
.LBB118_51:
	s_or_b64 exec, exec, s[8:9]
.LBB118_52:
	s_or_b64 exec, exec, s[2:3]
	ds_bpermute_b32 v2, v19, v8
	ds_bpermute_b32 v3, v19, v9
	;; [unrolled: 1-line block ×4, first 2 shown]
	v_and_b32_e32 v1, 0x3c3, v0
	v_cmp_eq_u32_e32 vcc, 64, v1
	s_waitcnt lgkmcnt(2)
	v_pk_add_f32 v[2:3], v[8:9], v[2:3]
	ds_bpermute_b32 v6, v20, v2
	s_waitcnt lgkmcnt(1)
	v_pk_add_f32 v[8:9], v[10:11], v[4:5]
	ds_bpermute_b32 v7, v20, v3
	ds_bpermute_b32 v10, v20, v8
	;; [unrolled: 1-line block ×3, first 2 shown]
	s_waitcnt lgkmcnt(0)
	s_barrier
	v_pk_add_f32 v[4:5], v[2:3], v[6:7]
	v_pk_add_f32 v[2:3], v[8:9], v[10:11]
	s_and_saveexec_b64 s[0:1], vcc
	s_cbranch_execz .LBB118_54
; %bb.53:
	v_add_u32_e32 v6, 0x90, v18
	ds_write2_b32 v6, v4, v5 offset1:16
	ds_write2_b32 v6, v2, v3 offset0:32 offset1:48
.LBB118_54:
	s_or_b64 exec, exec, s[0:1]
	v_cmp_gt_u32_e32 vcc, 64, v0
	s_waitcnt lgkmcnt(0)
	s_barrier
	s_and_saveexec_b64 s[0:1], vcc
	s_cbranch_execz .LBB118_61
; %bb.55:
	v_cmp_eq_u32_e32 vcc, 0, v21
	v_lshrrev_b32_e32 v6, 2, v0
	s_and_saveexec_b64 s[2:3], vcc
	s_cbranch_execnz .LBB118_64
; %bb.56:
	s_or_b64 exec, exec, s[2:3]
	s_and_saveexec_b64 s[2:3], vcc
	s_cbranch_execnz .LBB118_65
.LBB118_57:
	s_or_b64 exec, exec, s[2:3]
	s_and_saveexec_b64 s[2:3], vcc
	s_cbranch_execnz .LBB118_66
.LBB118_58:
	s_or_b64 exec, exec, s[2:3]
	s_and_saveexec_b64 s[2:3], vcc
	s_cbranch_execz .LBB118_60
.LBB118_59:
	v_mov_b32_e32 v7, 0x90
	v_lshl_add_u32 v6, v6, 2, v7
	ds_read_b32 v6, v6 offset:192
	s_waitcnt lgkmcnt(0)
	v_add_f32_e32 v3, v3, v6
.LBB118_60:
	s_or_b64 exec, exec, s[2:3]
.LBB118_61:
	s_or_b64 exec, exec, s[0:1]
	v_cmp_eq_u32_e32 vcc, 0, v1
	s_barrier
	s_and_saveexec_b64 s[0:1], vcc
	s_cbranch_execz .LBB118_63
; %bb.62:
	s_lshl_b32 s0, s6, 6
	s_ashr_i32 s1, s0, 31
	s_lshl_b64 s[0:1], s[0:1], 1
	s_add_u32 s2, s22, s0
	s_mul_i32 s0, s12, s20
	s_addc_u32 s3, s23, s1
	s_ashr_i32 s1, s0, 31
	s_lshl_b64 s[0:1], s[0:1], 1
	s_add_u32 s2, s2, s0
	s_addc_u32 s3, s3, s1
	s_lshl_b32 s0, s4, 6
	s_ashr_i32 s1, s0, 31
	s_lshl_b64 s[0:1], s[0:1], 1
	s_add_u32 s0, s2, s0
	s_addc_u32 s1, s3, s1
	v_lshrrev_b32_e32 v0, 1, v0
	;;#ASMSTART
	v_cvt_f16_f32 v1, v4;

	;;#ASMEND
	global_store_short v0, v1, s[0:1]
	;;#ASMSTART
	v_cvt_f16_f32 v1, v5;

	;;#ASMEND
	global_store_short v0, v1, s[0:1] offset:32
	;;#ASMSTART
	v_cvt_f16_f32 v1, v2;

	;;#ASMEND
	global_store_short v0, v1, s[0:1] offset:64
	;; [unrolled: 5-line block ×3, first 2 shown]
.LBB118_63:
	s_endpgm
.LBB118_64:
	v_mov_b32_e32 v7, 0x90
	v_lshl_add_u32 v7, v6, 2, v7
	ds_read_b32 v7, v7
	s_waitcnt lgkmcnt(0)
	v_add_f32_e32 v4, v4, v7
	s_or_b64 exec, exec, s[2:3]
	s_and_saveexec_b64 s[2:3], vcc
	s_cbranch_execz .LBB118_57
.LBB118_65:
	v_mov_b32_e32 v7, 0x90
	v_lshl_add_u32 v7, v6, 2, v7
	ds_read_b32 v7, v7 offset:64
	s_waitcnt lgkmcnt(0)
	v_add_f32_e32 v5, v5, v7
	s_or_b64 exec, exec, s[2:3]
	s_and_saveexec_b64 s[2:3], vcc
	s_cbranch_execz .LBB118_58
.LBB118_66:
	v_mov_b32_e32 v7, 0x90
	v_lshl_add_u32 v7, v6, 2, v7
	ds_read_b32 v7, v7 offset:128
	s_waitcnt lgkmcnt(0)
	v_add_f32_e32 v2, v2, v7
	s_or_b64 exec, exec, s[2:3]
	s_and_saveexec_b64 s[2:3], vcc
	s_cbranch_execnz .LBB118_59
	s_branch .LBB118_60
	.section	.rodata,"a",@progbits
	.p2align	6, 0x0
	.amdhsa_kernel _ZN4vllm25paged_attention_v2_kernelIttLi64ELi32ELi128ELNS_18Fp8KVCacheDataTypeE0ELb0ELi512EEEvPfS2_PT_PKS3_PKT0_S9_ifPKiSB_iPKfiiiSD_SD_iiiii
		.amdhsa_group_segment_fixed_size 144
		.amdhsa_private_segment_fixed_size 0
		.amdhsa_kernarg_size 400
		.amdhsa_user_sgpr_count 2
		.amdhsa_user_sgpr_dispatch_ptr 0
		.amdhsa_user_sgpr_queue_ptr 0
		.amdhsa_user_sgpr_kernarg_segment_ptr 1
		.amdhsa_user_sgpr_dispatch_id 0
		.amdhsa_user_sgpr_kernarg_preload_length 0
		.amdhsa_user_sgpr_kernarg_preload_offset 0
		.amdhsa_user_sgpr_private_segment_size 0
		.amdhsa_uses_dynamic_stack 0
		.amdhsa_enable_private_segment 0
		.amdhsa_system_sgpr_workgroup_id_x 1
		.amdhsa_system_sgpr_workgroup_id_y 1
		.amdhsa_system_sgpr_workgroup_id_z 1
		.amdhsa_system_sgpr_workgroup_info 0
		.amdhsa_system_vgpr_workitem_id 0
		.amdhsa_next_free_vgpr 61
		.amdhsa_next_free_sgpr 42
		.amdhsa_accum_offset 64
		.amdhsa_reserve_vcc 1
		.amdhsa_float_round_mode_32 0
		.amdhsa_float_round_mode_16_64 0
		.amdhsa_float_denorm_mode_32 3
		.amdhsa_float_denorm_mode_16_64 3
		.amdhsa_dx10_clamp 1
		.amdhsa_ieee_mode 1
		.amdhsa_fp16_overflow 0
		.amdhsa_tg_split 0
		.amdhsa_exception_fp_ieee_invalid_op 0
		.amdhsa_exception_fp_denorm_src 0
		.amdhsa_exception_fp_ieee_div_zero 0
		.amdhsa_exception_fp_ieee_overflow 0
		.amdhsa_exception_fp_ieee_underflow 0
		.amdhsa_exception_fp_ieee_inexact 0
		.amdhsa_exception_int_div_zero 0
	.end_amdhsa_kernel
	.section	.text._ZN4vllm25paged_attention_v2_kernelIttLi64ELi32ELi128ELNS_18Fp8KVCacheDataTypeE0ELb0ELi512EEEvPfS2_PT_PKS3_PKT0_S9_ifPKiSB_iPKfiiiSD_SD_iiiii,"axG",@progbits,_ZN4vllm25paged_attention_v2_kernelIttLi64ELi32ELi128ELNS_18Fp8KVCacheDataTypeE0ELb0ELi512EEEvPfS2_PT_PKS3_PKT0_S9_ifPKiSB_iPKfiiiSD_SD_iiiii,comdat
.Lfunc_end118:
	.size	_ZN4vllm25paged_attention_v2_kernelIttLi64ELi32ELi128ELNS_18Fp8KVCacheDataTypeE0ELb0ELi512EEEvPfS2_PT_PKS3_PKT0_S9_ifPKiSB_iPKfiiiSD_SD_iiiii, .Lfunc_end118-_ZN4vllm25paged_attention_v2_kernelIttLi64ELi32ELi128ELNS_18Fp8KVCacheDataTypeE0ELb0ELi512EEEvPfS2_PT_PKS3_PKT0_S9_ifPKiSB_iPKfiiiSD_SD_iiiii
                                        ; -- End function
	.section	.AMDGPU.csdata,"",@progbits
; Kernel info:
; codeLenInByte = 6028
; NumSgprs: 48
; NumVgprs: 61
; NumAgprs: 0
; TotalNumVgprs: 61
; ScratchSize: 0
; MemoryBound: 0
; FloatMode: 240
; IeeeMode: 1
; LDSByteSize: 144 bytes/workgroup (compile time only)
; SGPRBlocks: 5
; VGPRBlocks: 7
; NumSGPRsForWavesPerEU: 48
; NumVGPRsForWavesPerEU: 61
; AccumOffset: 64
; Occupancy: 8
; WaveLimiterHint : 1
; COMPUTE_PGM_RSRC2:SCRATCH_EN: 0
; COMPUTE_PGM_RSRC2:USER_SGPR: 2
; COMPUTE_PGM_RSRC2:TRAP_HANDLER: 0
; COMPUTE_PGM_RSRC2:TGID_X_EN: 1
; COMPUTE_PGM_RSRC2:TGID_Y_EN: 1
; COMPUTE_PGM_RSRC2:TGID_Z_EN: 1
; COMPUTE_PGM_RSRC2:TIDIG_COMP_CNT: 0
; COMPUTE_PGM_RSRC3_GFX90A:ACCUM_OFFSET: 15
; COMPUTE_PGM_RSRC3_GFX90A:TG_SPLIT: 0
	.section	.text._ZN4vllm25paged_attention_v2_kernelIttLi80ELi32ELi128ELNS_18Fp8KVCacheDataTypeE0ELb0ELi512EEEvPfS2_PT_PKS3_PKT0_S9_ifPKiSB_iPKfiiiSD_SD_iiiii,"axG",@progbits,_ZN4vllm25paged_attention_v2_kernelIttLi80ELi32ELi128ELNS_18Fp8KVCacheDataTypeE0ELb0ELi512EEEvPfS2_PT_PKS3_PKT0_S9_ifPKiSB_iPKfiiiSD_SD_iiiii,comdat
	.protected	_ZN4vllm25paged_attention_v2_kernelIttLi80ELi32ELi128ELNS_18Fp8KVCacheDataTypeE0ELb0ELi512EEEvPfS2_PT_PKS3_PKT0_S9_ifPKiSB_iPKfiiiSD_SD_iiiii ; -- Begin function _ZN4vllm25paged_attention_v2_kernelIttLi80ELi32ELi128ELNS_18Fp8KVCacheDataTypeE0ELb0ELi512EEEvPfS2_PT_PKS3_PKT0_S9_ifPKiSB_iPKfiiiSD_SD_iiiii
	.globl	_ZN4vllm25paged_attention_v2_kernelIttLi80ELi32ELi128ELNS_18Fp8KVCacheDataTypeE0ELb0ELi512EEEvPfS2_PT_PKS3_PKT0_S9_ifPKiSB_iPKfiiiSD_SD_iiiii
	.p2align	8
	.type	_ZN4vllm25paged_attention_v2_kernelIttLi80ELi32ELi128ELNS_18Fp8KVCacheDataTypeE0ELb0ELi512EEEvPfS2_PT_PKS3_PKT0_S9_ifPKiSB_iPKfiiiSD_SD_iiiii,@function
_ZN4vllm25paged_attention_v2_kernelIttLi80ELi32ELi128ELNS_18Fp8KVCacheDataTypeE0ELb0ELi512EEEvPfS2_PT_PKS3_PKT0_S9_ifPKiSB_iPKfiiiSD_SD_iiiii: ; @_ZN4vllm25paged_attention_v2_kernelIttLi80ELi32ELi128ELNS_18Fp8KVCacheDataTypeE0ELb0ELi512EEEvPfS2_PT_PKS3_PKT0_S9_ifPKiSB_iPKfiiiSD_SD_iiiii
; %bb.0:
	s_load_dwordx2 s[6:7], s[0:1], 0x40
	s_mov_b32 s24, s3
	s_ashr_i32 s25, s3, 31
	s_lshl_b64 s[8:9], s[24:25], 2
	s_waitcnt lgkmcnt(0)
	s_add_u32 s6, s6, s8
	s_addc_u32 s7, s7, s9
	s_load_dword s25, s[6:7], 0x0
	s_lshl_b32 s40, s4, 9
	s_waitcnt lgkmcnt(0)
	s_cmp_ge_i32 s40, s25
	s_cbranch_scc1 .LBB119_66
; %bb.1:
	s_load_dword s5, s[0:1], 0x90
	s_load_dwordx2 s[10:11], s[0:1], 0x30
	s_waitcnt lgkmcnt(0)
	s_abs_i32 s7, s5
	s_abs_i32 s3, s10
	v_cvt_f32_u32_e32 v1, s3
	s_sub_i32 s8, 0, s3
	s_xor_b32 s6, s5, s10
	s_ashr_i32 s6, s6, 31
	v_rcp_iflag_f32_e32 v1, v1
	s_nop 0
	v_mul_f32_e32 v1, 0x4f7ffffe, v1
	v_cvt_u32_f32_e32 v1, v1
	s_nop 0
	v_readfirstlane_b32 s9, v1
	s_mul_i32 s8, s8, s9
	s_mul_hi_u32 s8, s9, s8
	s_add_i32 s9, s9, s8
	s_mul_hi_u32 s8, s7, s9
	s_mul_i32 s9, s8, s3
	s_sub_i32 s7, s7, s9
	s_add_i32 s10, s8, 1
	s_sub_i32 s9, s7, s3
	s_cmp_ge_u32 s7, s3
	s_cselect_b32 s8, s10, s8
	s_cselect_b32 s7, s9, s7
	s_add_i32 s9, s8, 1
	s_cmp_ge_u32 s7, s3
	s_cselect_b32 s3, s9, s8
	s_xor_b32 s3, s3, s6
	s_sub_i32 s12, s3, s6
	s_abs_i32 s8, s12
	v_cvt_f32_u32_e32 v1, s8
	s_load_dwordx2 s[6:7], s[0:1], 0x50
	s_sub_i32 s3, 0, s8
	s_abs_i32 s9, s2
	v_rcp_iflag_f32_e32 v1, v1
	s_mov_b32 s10, 0
	v_mul_f32_e32 v1, 0x4f7ffffe, v1
	v_cvt_u32_f32_e32 v1, v1
	s_nop 0
	v_readfirstlane_b32 s13, v1
	s_mul_i32 s3, s3, s13
	s_mul_hi_u32 s3, s13, s3
	s_add_i32 s13, s13, s3
	s_waitcnt lgkmcnt(0)
	s_cmp_eq_u64 s[6:7], 0
	s_mul_hi_u32 s16, s9, s13
	s_cbranch_scc1 .LBB119_3
; %bb.2:
	s_ashr_i32 s3, s2, 31
	s_lshl_b64 s[14:15], s[2:3], 2
	s_add_u32 s6, s6, s14
	s_addc_u32 s7, s7, s15
	s_load_dword s10, s[6:7], 0x0
.LBB119_3:
	s_ashr_i32 s18, s12, 31
	s_load_dwordx4 s[12:15], s[0:1], 0x58
	s_ashr_i32 s17, s2, 31
	v_and_b32_e32 v4, 1, v0
	s_movk_i32 s3, 0x50
	s_mul_i32 s20, s2, 0x50
	v_cmp_gt_u32_e32 vcc, 20, v0
	v_lshlrev_b32_e32 v1, 3, v0
	s_and_saveexec_b64 s[6:7], vcc
	s_cbranch_execz .LBB119_5
; %bb.4:
	s_load_dwordx2 s[22:23], s[0:1], 0x18
	s_waitcnt lgkmcnt(0)
	s_mul_i32 s26, s24, s12
	s_ashr_i32 s27, s26, 31
	s_lshl_b64 s[26:27], s[26:27], 1
	v_lshlrev_b32_e32 v5, 2, v0
	s_add_u32 s12, s22, s26
	s_addc_u32 s15, s23, s27
	s_ashr_i32 s21, s20, 31
	s_lshl_b64 s[22:23], s[20:21], 1
	s_add_u32 s22, s12, s22
	s_addc_u32 s23, s15, s23
	global_load_dwordx2 v[2:3], v1, s[22:23]
	v_and_b32_e32 v5, 0xff8, v5
	v_mad_u32_u24 v5, v4, s3, v5
	s_waitcnt vmcnt(0)
	ds_write_b64 v5, v[2:3]
.LBB119_5:
	s_or_b64 exec, exec, s[6:7]
	s_add_i32 s3, s25, 31
	s_ashr_i32 s6, s3, 31
	s_lshr_b32 s6, s6, 27
	s_add_i32 s3, s3, s6
	s_waitcnt lgkmcnt(0)
	s_ashr_i32 s12, s3, 5
	s_lshl_b32 s3, s4, 4
	s_mul_i32 s7, s16, s8
	s_add_i32 s6, s3, 16
	s_sub_i32 s7, s9, s7
	s_min_i32 s33, s6, s12
	s_xor_b32 s6, s17, s18
	s_add_i32 s9, s16, 1
	s_sub_i32 s15, s7, s8
	s_cmp_ge_u32 s7, s8
	s_cselect_b32 s9, s9, s16
	s_cselect_b32 s7, s15, s7
	s_add_i32 s15, s9, 1
	s_cmp_ge_u32 s7, s8
	s_load_dwordx2 s[26:27], s[0:1], 0x38
	s_load_dword s8, s[0:1], 0x48
	v_lshrrev_b32_e32 v20, 6, v0
	s_cselect_b32 s7, s15, s9
	s_xor_b32 s7, s7, s6
	v_or_b32_e32 v6, s3, v20
	s_waitcnt lgkmcnt(0)
	s_mul_i32 s28, s24, s8
	s_sub_i32 s15, s7, s6
	s_ashr_i32 s29, s28, 31
	v_cmp_gt_i32_e64 s[8:9], s33, v6
	v_cmp_le_i32_e32 vcc, s33, v6
	v_mbcnt_lo_u32_b32 v8, -1, 0
	s_barrier
	s_waitcnt lgkmcnt(0)
                                        ; implicit-def: $sgpr36
                                        ; implicit-def: $vgpr25
                                        ; implicit-def: $vgpr24
	s_and_saveexec_b64 s[6:7], vcc
	s_xor_b64 s[6:7], exec, s[6:7]
; %bb.6:
	v_mbcnt_hi_u32_b32 v25, -1, v8
	v_and_b32_e32 v2, 64, v25
	v_add_u32_e32 v24, 64, v2
	s_mov_b32 s36, 0xff7fffff
                                        ; implicit-def: $vgpr4
                                        ; implicit-def: $vgpr8
; %bb.7:
	s_or_saveexec_b64 s[34:35], s[6:7]
	s_load_dwordx4 s[16:19], s[0:1], 0x0
	s_load_dwordx2 s[22:23], s[0:1], 0x10
	s_load_dwordx2 s[30:31], s[0:1], 0x28
	s_load_dword s21, s[0:1], 0x98
	v_mov_b32_e32 v22, s36
	s_mul_i32 s14, s15, s14
	v_ashrrev_i32_e32 v7, 31, v6
	v_lshlrev_b32_e32 v21, 5, v20
	s_xor_b64 exec, exec, s[34:35]
	s_cbranch_execz .LBB119_13
; %bb.8:
	s_load_dwordx2 s[0:1], s[0:1], 0x20
	s_ashr_i32 s15, s14, 31
	s_lshl_b64 s[6:7], s[14:15], 1
	v_bfe_u32 v5, v0, 1, 5
	v_lshlrev_b32_e32 v2, 4, v5
	s_waitcnt lgkmcnt(0)
	s_add_u32 s0, s0, s6
	s_addc_u32 s1, s1, s7
	v_mov_b32_e32 v3, 0
	v_lshl_add_u64 v[10:11], s[0:1], 0, v[2:3]
	s_sub_i32 s15, 1, s25
	s_lshl_b64 s[0:1], s[28:29], 2
	v_mul_u32_u24_e32 v23, 0x50, v4
	v_cmp_eq_u32_e32 vcc, 0, v4
	v_lshlrev_b32_e32 v4, 2, v5
	s_add_u32 s0, s26, s0
	v_mbcnt_hi_u32_b32 v25, -1, v8
	v_and_b32_e32 v2, 8, v1
	v_lshl_or_b32 v4, v20, 7, v4
	s_addc_u32 s1, s27, s1
	v_and_b32_e32 v8, 64, v25
	s_mov_b32 s41, s13
	v_lshl_add_u64 v[2:3], v[10:11], 0, v[2:3]
	v_cmp_neq_f32_e64 s[6:7], s10, 0
	v_add3_u32 v26, s40, v21, v5
	v_add_u32_e32 v27, 0xb0, v4
	v_lshl_add_u64 v[4:5], v[6:7], 2, s[0:1]
	s_mov_b64 s[36:37], 0
	v_mov_b32_e32 v22, 0xff7fffff
	s_movk_i32 s42, 0x1000
	v_xor_b32_e32 v28, 1, v25
	v_add_u32_e32 v24, 64, v8
	v_mov_b32_e32 v29, v6
	s_branch .LBB119_10
.LBB119_9:                              ;   in Loop: Header=BB119_10 Depth=1
	s_or_b64 exec, exec, s[38:39]
	v_add_u32_e32 v29, 2, v29
	v_cmp_le_i32_e64 s[0:1], s33, v29
	v_add_u32_e32 v26, 64, v26
	v_add_u32_e32 v27, 0x100, v27
	s_or_b64 s[36:37], s[0:1], s[36:37]
	v_lshl_add_u64 v[4:5], v[4:5], 0, 8
	s_andn2_b64 exec, exec, s[36:37]
	s_cbranch_execz .LBB119_12
.LBB119_10:                             ; =>This Inner Loop Header: Depth=1
	global_load_dword v8, v[4:5], off
	s_waitcnt vmcnt(0) lgkmcnt(0)
	v_mad_i64_i32 v[8:9], s[0:1], v8, s41, 0
	v_lshl_add_u64 v[8:9], v[8:9], 1, v[2:3]
	global_load_dwordx2 v[30:31], v[8:9], off
	global_load_dwordx2 v[32:33], v[8:9], off offset:512
	global_load_dwordx2 v[34:35], v[8:9], off offset:1024
	;; [unrolled: 1-line block ×7, first 2 shown]
	v_add_co_u32_e64 v38, s[0:1], s42, v8
	s_waitcnt vmcnt(7)
	v_lshrrev_b32_e32 v42, 16, v30
	v_addc_co_u32_e64 v39, s[0:1], 0, v9, s[0:1]
	global_load_dwordx2 v[10:11], v[38:39], off
	global_load_dwordx2 v[8:9], v[38:39], off offset:512
	ds_read_b64 v[38:39], v23
	v_and_b32_e32 v30, 0xffff, v30
	v_lshrrev_b32_e32 v43, 16, v31
	v_and_b32_e32 v31, 0xffff, v31
	s_waitcnt vmcnt(2)
	v_lshrrev_b32_e32 v56, 16, v12
	s_waitcnt lgkmcnt(0)
	v_lshrrev_b32_e32 v40, 16, v38
	v_and_b32_e32 v38, 0xffff, v38
	v_lshrrev_b32_e32 v41, 16, v39
	v_and_b32_e32 v39, 0xffff, v39
	;;#ASMSTART
	v_cvt_f32_f16 v38, v38;
	;;#ASMEND
	;;#ASMSTART
	v_cvt_f32_f16 v40, v40;
	;;#ASMEND
	v_and_b32_e32 v57, 0xffff, v12
	v_lshrrev_b32_e32 v58, 16, v13
	v_and_b32_e32 v59, 0xffff, v13
	;;#ASMSTART
	v_cvt_f32_f16 v30, v30;
	;;#ASMEND
	;;#ASMSTART
	v_cvt_f32_f16 v42, v42;
	;;#ASMEND
	;; [unrolled: 3-line block ×6, first 2 shown]
	ds_read_b64 v[12:13], v23 offset:8
	v_lshrrev_b32_e32 v44, 16, v32
	v_and_b32_e32 v32, 0xffff, v32
	v_lshrrev_b32_e32 v45, 16, v33
	v_and_b32_e32 v33, 0xffff, v33
	;; [unrolled: 2-line block ×12, first 2 shown]
	v_cmp_lt_i32_e64 s[0:1], v28, v24
	s_waitcnt vmcnt(1)
	v_lshrrev_b32_e32 v60, 16, v10
	v_and_b32_e32 v61, 0xffff, v10
	v_lshrrev_b32_e32 v62, 16, v11
	v_and_b32_e32 v63, 0xffff, v11
	s_waitcnt lgkmcnt(0)
	v_lshrrev_b32_e32 v10, 16, v12
	v_and_b32_e32 v11, 0xffff, v12
	v_lshrrev_b32_e32 v12, 16, v13
	v_and_b32_e32 v13, 0xffff, v13
	;;#ASMSTART
	v_cvt_f32_f16 v65, v11;
	;;#ASMEND
	;;#ASMSTART
	v_cvt_f32_f16 v66, v10;
	;;#ASMEND
	;;#ASMSTART
	v_cvt_f32_f16 v32, v32;
	;;#ASMEND
	;;#ASMSTART
	v_cvt_f32_f16 v44, v44;
	;;#ASMEND
	;;#ASMSTART
	v_cvt_f32_f16 v13, v13;
	;;#ASMEND
	;;#ASMSTART
	v_cvt_f32_f16 v12, v12;
	;;#ASMEND
	;;#ASMSTART
	v_cvt_f32_f16 v33, v33;
	;;#ASMEND
	;;#ASMSTART
	v_cvt_f32_f16 v45, v45;
	;;#ASMEND
	ds_read_b64 v[10:11], v23 offset:16
	v_mul_f32_e32 v32, v65, v32
	v_mul_f32_e32 v13, v13, v33
	;; [unrolled: 1-line block ×3, first 2 shown]
	v_fmac_f32_e32 v32, v38, v30
	v_fmac_f32_e32 v13, v39, v31
	s_waitcnt lgkmcnt(0)
	v_lshrrev_b32_e32 v30, 16, v10
	v_and_b32_e32 v10, 0xffff, v10
	v_lshrrev_b32_e32 v31, 16, v11
	v_and_b32_e32 v11, 0xffff, v11
	v_fmac_f32_e32 v44, v40, v42
	;;#ASMSTART
	v_cvt_f32_f16 v33, v10;
	;;#ASMEND
	;;#ASMSTART
	v_cvt_f32_f16 v30, v30;
	;;#ASMEND
	;; [unrolled: 3-line block ×8, first 2 shown]
	ds_read_b64 v[10:11], v23 offset:24
	v_mul_f32_e32 v12, v12, v45
	v_fmac_f32_e32 v12, v41, v43
	v_fmac_f32_e32 v44, v30, v38
	;; [unrolled: 1-line block ×3, first 2 shown]
	s_waitcnt lgkmcnt(0)
	v_lshrrev_b32_e32 v30, 16, v10
	v_and_b32_e32 v10, 0xffff, v10
	v_lshrrev_b32_e32 v31, 16, v11
	v_and_b32_e32 v11, 0xffff, v11
	v_fmac_f32_e32 v32, v33, v34
	v_fmac_f32_e32 v13, v39, v35
	;;#ASMSTART
	v_cvt_f32_f16 v33, v10;
	;;#ASMEND
	;;#ASMSTART
	v_cvt_f32_f16 v30, v30;
	;;#ASMEND
	;;#ASMSTART
	v_cvt_f32_f16 v34, v36;
	;;#ASMEND
	;;#ASMSTART
	v_cvt_f32_f16 v35, v48;
	;;#ASMEND
	;;#ASMSTART
	v_cvt_f32_f16 v36, v11;
	;;#ASMEND
	;;#ASMSTART
	v_cvt_f32_f16 v31, v31;
	;;#ASMEND
	;;#ASMSTART
	v_cvt_f32_f16 v37, v37;
	;;#ASMEND
	;;#ASMSTART
	v_cvt_f32_f16 v38, v49;
	;;#ASMEND
	ds_read_b64 v[10:11], v23 offset:32
	v_fmac_f32_e32 v44, v30, v35
	v_fmac_f32_e32 v12, v31, v38
	v_fmac_f32_e32 v32, v33, v34
	v_fmac_f32_e32 v13, v36, v37
	s_waitcnt lgkmcnt(0)
	v_lshrrev_b32_e32 v30, 16, v10
	v_and_b32_e32 v10, 0xffff, v10
	v_lshrrev_b32_e32 v31, 16, v11
	v_and_b32_e32 v11, 0xffff, v11
	;;#ASMSTART
	v_cvt_f32_f16 v33, v10;
	;;#ASMEND
	;;#ASMSTART
	v_cvt_f32_f16 v30, v30;
	;;#ASMEND
	;;#ASMSTART
	v_cvt_f32_f16 v18, v18;
	;;#ASMEND
	;;#ASMSTART
	v_cvt_f32_f16 v34, v50;
	;;#ASMEND
	;;#ASMSTART
	v_cvt_f32_f16 v35, v11;
	;;#ASMEND
	;;#ASMSTART
	v_cvt_f32_f16 v31, v31;
	;;#ASMEND
	;;#ASMSTART
	v_cvt_f32_f16 v19, v19;
	;;#ASMEND
	;;#ASMSTART
	v_cvt_f32_f16 v36, v51;
	;;#ASMEND
	ds_read_b64 v[10:11], v23 offset:40
	v_fmac_f32_e32 v32, v33, v18
	v_fmac_f32_e32 v13, v35, v19
	v_fmac_f32_e32 v44, v30, v34
	v_fmac_f32_e32 v12, v31, v36
	s_waitcnt lgkmcnt(0)
	v_lshrrev_b32_e32 v18, 16, v10
	v_and_b32_e32 v10, 0xffff, v10
	v_lshrrev_b32_e32 v19, 16, v11
	v_and_b32_e32 v11, 0xffff, v11
	;; [unrolled: 34-line block ×5, first 2 shown]
	;;#ASMSTART
	v_cvt_f32_f16 v16, v10;
	;;#ASMEND
	;;#ASMSTART
	v_cvt_f32_f16 v14, v14;
	;;#ASMEND
	;; [unrolled: 3-line block ×8, first 2 shown]
	ds_read_b64 v[10:11], v23 offset:72
	s_waitcnt vmcnt(0)
	v_lshrrev_b32_e32 v64, 16, v8
	v_and_b32_e32 v8, 0xffff, v8
	v_fmac_f32_e32 v44, v14, v18
	v_fmac_f32_e32 v32, v16, v17
	s_waitcnt lgkmcnt(0)
	v_lshrrev_b32_e32 v14, 16, v10
	v_and_b32_e32 v10, 0xffff, v10
	;;#ASMSTART
	v_cvt_f32_f16 v10, v10;
	;;#ASMEND
	;;#ASMSTART
	v_cvt_f32_f16 v14, v14;
	;;#ASMEND
	;; [unrolled: 3-line block ×3, first 2 shown]
	v_fmac_f32_e32 v13, v19, v30
	v_fmac_f32_e32 v32, v10, v8
	v_and_b32_e32 v8, 0xffff, v11
	v_fmac_f32_e32 v12, v15, v31
	v_lshrrev_b32_e32 v15, 16, v11
	;;#ASMSTART
	v_cvt_f32_f16 v16, v64;
	;;#ASMEND
	;;#ASMSTART
	v_cvt_f32_f16 v8, v8;
	;;#ASMEND
	v_lshrrev_b32_e32 v11, 16, v9
	v_fmac_f32_e32 v44, v14, v16
	v_and_b32_e32 v9, 0xffff, v9
	;;#ASMSTART
	v_cvt_f32_f16 v10, v15;
	;;#ASMEND
	;;#ASMSTART
	v_cvt_f32_f16 v9, v9;
	;;#ASMEND
	;; [unrolled: 3-line block ×3, first 2 shown]
	s_nop 0
	v_fmac_f32_e32 v13, v8, v9
	v_add_f32_e32 v8, v32, v44
	v_fmac_f32_e32 v12, v10, v11
	v_add_f32_e32 v8, v8, v13
	v_cndmask_b32_e64 v9, v25, v28, s[0:1]
	v_add_f32_e32 v8, v12, v8
	v_lshlrev_b32_e32 v9, 2, v9
	ds_bpermute_b32 v9, v9, v8
	s_and_saveexec_b64 s[38:39], vcc
	s_cbranch_execz .LBB119_9
; %bb.11:                               ;   in Loop: Header=BB119_10 Depth=1
	v_add_u32_e32 v10, s15, v26
	v_cvt_f32_i32_e32 v10, v10
	s_waitcnt lgkmcnt(0)
	v_add_f32_e32 v8, v8, v9
	v_cmp_gt_i32_e64 s[0:1], s25, v26
	v_max_f32_e32 v9, v22, v22
	v_mul_f32_e32 v10, s10, v10
	v_cndmask_b32_e64 v10, 0, v10, s[6:7]
	v_fmac_f32_e32 v10, s11, v8
	v_cndmask_b32_e64 v8, 0, v10, s[0:1]
	ds_write_b32 v27, v8
	v_max_f32_e32 v8, v9, v10
	v_cndmask_b32_e64 v22, v22, v8, s[0:1]
	s_branch .LBB119_9
.LBB119_12:
	s_or_b64 exec, exec, s[36:37]
.LBB119_13:
	s_or_b64 exec, exec, s[34:35]
	v_xor_b32_e32 v2, 32, v25
	v_cmp_lt_i32_e32 vcc, v2, v24
	v_xor_b32_e32 v5, 16, v25
	v_max_f32_e32 v4, v22, v22
	v_cndmask_b32_e32 v2, v25, v2, vcc
	v_lshlrev_b32_e32 v2, 2, v2
	ds_bpermute_b32 v3, v2, v22
	v_cmp_lt_i32_e32 vcc, v5, v24
	v_xor_b32_e32 v8, 8, v25
	s_waitcnt lgkmcnt(0)
	v_xor_b32_e32 v9, 4, v25
	v_xor_b32_e32 v10, 2, v25
	v_max_f32_e32 v3, v3, v3
	v_max_f32_e32 v4, v4, v3
	v_cndmask_b32_e32 v3, v25, v5, vcc
	v_lshlrev_b32_e32 v3, 2, v3
	ds_bpermute_b32 v5, v3, v4
	v_cmp_lt_i32_e32 vcc, v8, v24
	v_and_b32_e32 v22, 63, v0
	s_waitcnt lgkmcnt(0)
	v_max_f32_e32 v5, v5, v5
	v_max_f32_e32 v4, v4, v5
	v_cndmask_b32_e32 v5, v25, v8, vcc
	v_lshlrev_b32_e32 v5, 2, v5
	ds_bpermute_b32 v8, v5, v4
	v_cmp_lt_i32_e32 vcc, v9, v24
	s_waitcnt lgkmcnt(0)
	v_max_f32_e32 v8, v8, v8
	v_max_f32_e32 v4, v4, v8
	v_cndmask_b32_e32 v8, v25, v9, vcc
	v_lshlrev_b32_e32 v8, 2, v8
	ds_bpermute_b32 v9, v8, v4
	v_cmp_lt_i32_e32 vcc, v10, v24
	s_waitcnt lgkmcnt(0)
	v_max_f32_e32 v9, v9, v9
	v_max_f32_e32 v4, v4, v9
	v_cndmask_b32_e32 v9, v25, v10, vcc
	v_lshlrev_b32_e32 v23, 2, v9
	ds_bpermute_b32 v10, v23, v4
	v_cmp_eq_u32_e32 vcc, 0, v22
	v_lshlrev_b32_e32 v9, 2, v20
	s_and_saveexec_b64 s[0:1], vcc
	s_cbranch_execz .LBB119_15
; %bb.14:
	s_waitcnt lgkmcnt(0)
	v_max_f32_e32 v10, v10, v10
	v_max_f32_e32 v4, v4, v4
	;; [unrolled: 1-line block ×3, first 2 shown]
	ds_write_b32 v9, v4 offset:160
.LBB119_15:
	s_or_b64 exec, exec, s[0:1]
	v_cmp_gt_u32_e64 s[0:1], 2, v22
	v_mov_b32_e32 v4, 0xff7fffff
	s_waitcnt lgkmcnt(0)
	v_lshlrev_b32_e32 v10, 2, v22
	s_barrier
	s_and_saveexec_b64 s[6:7], s[0:1]
	s_cbranch_execz .LBB119_17
; %bb.16:
	ds_read_b32 v4, v10 offset:160
.LBB119_17:
	s_or_b64 exec, exec, s[6:7]
	v_xor_b32_e32 v11, 1, v25
	v_cmp_lt_i32_e64 s[6:7], v11, v24
	s_sub_i32 s3, s33, s3
	s_lshl_b32 s3, s3, 5
	v_cndmask_b32_e64 v11, v25, v11, s[6:7]
	v_lshlrev_b32_e32 v24, 2, v11
	s_waitcnt lgkmcnt(0)
	ds_bpermute_b32 v11, v24, v4
	v_max_f32_e32 v4, v4, v4
	s_add_i32 s3, s3, s40
	s_min_i32 s15, s3, s25
	s_sub_i32 s3, s15, s40
	s_waitcnt lgkmcnt(0)
	v_max_f32_e32 v11, v11, v11
	v_max_f32_e32 v4, v4, v11
	v_lshlrev_b32_e32 v11, 2, v25
	v_and_b32_e32 v11, 0xffffff00, v11
	ds_bpermute_b32 v4, v11, v4
	v_cmp_gt_i32_e64 s[6:7], s3, v0
	v_mov_b32_e32 v12, 0
	s_and_saveexec_b64 s[34:35], s[6:7]
	s_cbranch_execz .LBB119_21
; %bb.18:
	v_mov_b32_e32 v12, 0xb0
	v_lshl_add_u32 v13, v0, 2, v12
	s_mov_b64 s[36:37], 0
	v_mov_b32_e32 v12, 0
	v_mov_b32_e32 v14, v0
.LBB119_19:                             ; =>This Inner Loop Header: Depth=1
	ds_read_b32 v15, v13
	v_add_u32_e32 v14, 0x80, v14
	v_cmp_le_i32_e64 s[10:11], s3, v14
	s_or_b64 s[36:37], s[10:11], s[36:37]
	s_waitcnt lgkmcnt(0)
	v_sub_f32_e32 v15, v15, v4
	v_mul_f32_e32 v15, 0x3fb8aa3b, v15
	v_exp_f32_e32 v15, v15
	ds_write_b32 v13, v15
	v_add_f32_e32 v12, v12, v15
	v_add_u32_e32 v13, 0x200, v13
	s_andn2_b64 exec, exec, s[36:37]
	s_cbranch_execnz .LBB119_19
; %bb.20:
	s_or_b64 exec, exec, s[36:37]
.LBB119_21:
	s_or_b64 exec, exec, s[34:35]
	ds_bpermute_b32 v2, v2, v12
	s_waitcnt lgkmcnt(0)
	v_add_f32_e32 v2, v12, v2
	ds_bpermute_b32 v3, v3, v2
	s_waitcnt lgkmcnt(0)
	v_add_f32_e32 v2, v2, v3
	;; [unrolled: 3-line block ×6, first 2 shown]
	s_and_saveexec_b64 s[10:11], vcc
	s_cbranch_execz .LBB119_23
; %bb.22:
	ds_write_b32 v9, v2 offset:168
.LBB119_23:
	s_or_b64 exec, exec, s[10:11]
	s_waitcnt lgkmcnt(0)
	s_barrier
	s_and_saveexec_b64 s[10:11], s[0:1]
	s_cbranch_execz .LBB119_25
; %bb.24:
	ds_read_b32 v2, v10 offset:168
.LBB119_25:
	s_or_b64 exec, exec, s[10:11]
	s_waitcnt lgkmcnt(0)
	ds_bpermute_b32 v3, v24, v2
	s_waitcnt lgkmcnt(0)
	v_add_f32_e32 v2, v2, v3
	ds_bpermute_b32 v5, v11, v2
	s_and_saveexec_b64 s[0:1], s[6:7]
	s_cbranch_execz .LBB119_38
; %bb.26:
	s_waitcnt lgkmcnt(0)
	v_add_f32_e32 v2, 0x358637bd, v5
	v_div_scale_f32 v3, s[6:7], v2, v2, 1.0
	v_rcp_f32_e32 v8, v3
	v_div_scale_f32 v9, vcc, 1.0, v2, 1.0
	s_movk_i32 s6, 0x7f
	v_fma_f32 v10, -v3, v8, 1.0
	v_fmac_f32_e32 v8, v10, v8
	v_mul_f32_e32 v10, v9, v8
	v_fma_f32 v11, -v3, v10, v9
	v_fmac_f32_e32 v10, v11, v8
	v_fma_f32 v3, -v3, v10, v9
	v_div_fmas_f32 v3, v3, v8, v10
	v_div_fixup_f32 v2, v3, v2, 1.0
	v_xad_u32 v3, v0, -1, s15
	v_subrev_u32_e32 v8, s40, v3
	v_cmp_lt_u32_e32 vcc, s6, v8
	s_mov_b64 s[10:11], -1
	v_mov_b32_e32 v3, v0
	s_and_saveexec_b64 s[6:7], vcc
	s_cbranch_execz .LBB119_35
; %bb.27:
	v_lshrrev_b32_e32 v8, 7, v8
	v_add_u32_e32 v10, -1, v8
	v_lshrrev_b32_e32 v9, 1, v10
	v_mov_b32_e32 v3, v2
	v_add_u32_e32 v9, 1, v9
	v_cmp_lt_u32_e32 vcc, 13, v10
	v_mov_b32_e32 v12, 0
	s_and_saveexec_b64 s[10:11], vcc
	s_cbranch_execz .LBB119_31
; %bb.28:
	v_mov_b32_e32 v11, 0xb0
	v_and_b32_e32 v10, -8, v9
	v_lshl_add_u32 v11, v0, 2, v11
	s_mov_b32 s15, 0
	s_mov_b64 s[34:35], 0
.LBB119_29:                             ; =>This Inner Loop Header: Depth=1
	ds_read2st64_b32 v[12:13], v11 offset1:2
	ds_read2st64_b32 v[14:15], v11 offset0:4 offset1:6
	ds_read2st64_b32 v[16:17], v11 offset0:8 offset1:10
	;; [unrolled: 1-line block ×3, first 2 shown]
	v_add_u32_e32 v10, -8, v10
	s_waitcnt lgkmcnt(3)
	v_pk_mul_f32 v[12:13], v[2:3], v[12:13]
	s_waitcnt lgkmcnt(2)
	v_pk_mul_f32 v[14:15], v[2:3], v[14:15]
	ds_write2st64_b32 v11, v12, v13 offset1:2
	ds_write2st64_b32 v11, v14, v15 offset0:4 offset1:6
	ds_read2st64_b32 v[14:15], v11 offset0:16 offset1:18
	s_waitcnt lgkmcnt(4)
	v_pk_mul_f32 v[12:13], v[2:3], v[16:17]
	ds_write2st64_b32 v11, v12, v13 offset0:8 offset1:10
	s_waitcnt lgkmcnt(4)
	v_pk_mul_f32 v[12:13], v[2:3], v[18:19]
	ds_write2st64_b32 v11, v12, v13 offset0:12 offset1:14
	ds_read2st64_b32 v[12:13], v11 offset0:20 offset1:22
	s_waitcnt lgkmcnt(3)
	v_pk_mul_f32 v[14:15], v[2:3], v[14:15]
	ds_read2st64_b32 v[16:17], v11 offset0:24 offset1:26
	ds_write2st64_b32 v11, v14, v15 offset0:16 offset1:18
	ds_read2st64_b32 v[14:15], v11 offset0:28 offset1:30
	s_waitcnt lgkmcnt(3)
	v_pk_mul_f32 v[12:13], v[2:3], v[12:13]
	ds_write2st64_b32 v11, v12, v13 offset0:20 offset1:22
	s_waitcnt lgkmcnt(3)
	v_pk_mul_f32 v[12:13], v[2:3], v[16:17]
	ds_write2st64_b32 v11, v12, v13 offset0:24 offset1:26
	s_waitcnt lgkmcnt(2)
	v_pk_mul_f32 v[12:13], v[2:3], v[14:15]
	s_add_i32 s15, s15, 16
	v_cmp_eq_u32_e32 vcc, 0, v10
	ds_write2st64_b32 v11, v12, v13 offset0:28 offset1:30
	v_add_u32_e32 v11, 0x2000, v11
	s_or_b64 s[34:35], vcc, s[34:35]
	v_mov_b32_e32 v12, s15
	s_andn2_b64 exec, exec, s[34:35]
	s_cbranch_execnz .LBB119_29
; %bb.30:
	s_or_b64 exec, exec, s[34:35]
.LBB119_31:
	s_or_b64 exec, exec, s[10:11]
	v_and_b32_e32 v9, 7, v9
	v_cmp_ne_u32_e32 vcc, 0, v9
	s_and_saveexec_b64 s[10:11], vcc
	s_cbranch_execz .LBB119_34
; %bb.32:
	v_lshlrev_b32_e32 v10, 9, v12
	v_lshlrev_b32_e32 v11, 2, v0
	s_movk_i32 s15, 0xb0
	v_add3_u32 v10, v10, v11, s15
	s_mov_b64 s[34:35], 0
.LBB119_33:                             ; =>This Inner Loop Header: Depth=1
	ds_read2st64_b32 v[12:13], v10 offset1:2
	v_add_u32_e32 v9, -1, v9
	v_cmp_eq_u32_e32 vcc, 0, v9
	s_or_b64 s[34:35], vcc, s[34:35]
	s_waitcnt lgkmcnt(0)
	v_pk_mul_f32 v[12:13], v[2:3], v[12:13]
	ds_write2st64_b32 v10, v12, v13 offset1:2
	v_add_u32_e32 v10, 0x400, v10
	s_andn2_b64 exec, exec, s[34:35]
	s_cbranch_execnz .LBB119_33
.LBB119_34:
	s_or_b64 exec, exec, s[10:11]
	v_add_u32_e32 v8, 1, v8
	v_and_b32_e32 v9, 0x3fffffe, v8
	v_cmp_ne_u32_e32 vcc, v8, v9
	v_lshl_add_u32 v3, v9, 7, v0
	s_orn2_b64 s[10:11], vcc, exec
.LBB119_35:
	s_or_b64 exec, exec, s[6:7]
	s_and_b64 exec, exec, s[10:11]
	s_cbranch_execz .LBB119_38
; %bb.36:
	v_mov_b32_e32 v8, 0xb0
	v_lshl_add_u32 v8, v3, 2, v8
	s_mov_b64 s[6:7], 0
.LBB119_37:                             ; =>This Inner Loop Header: Depth=1
	ds_read_b32 v9, v8
	v_add_u32_e32 v3, 0x80, v3
	v_cmp_le_i32_e32 vcc, s3, v3
	s_or_b64 s[6:7], vcc, s[6:7]
	s_waitcnt lgkmcnt(0)
	v_mul_f32_e32 v9, v2, v9
	ds_write_b32 v8, v9
	v_add_u32_e32 v8, 0x200, v8
	s_andn2_b64 exec, exec, s[6:7]
	s_cbranch_execnz .LBB119_37
.LBB119_38:
	s_or_b64 exec, exec, s[0:1]
	s_mul_i32 s0, s21, s24
	v_cmp_eq_u32_e32 vcc, 0, v0
	s_mul_i32 s6, s0, s5
	s_waitcnt lgkmcnt(0)
	s_barrier
	s_and_saveexec_b64 s[0:1], vcc
	s_cbranch_execz .LBB119_40
; %bb.39:
	s_ashr_i32 s7, s6, 31
	s_lshl_b64 s[10:11], s[6:7], 2
	s_add_u32 s5, s18, s10
	s_mul_i32 s2, s21, s2
	s_addc_u32 s7, s19, s11
	s_ashr_i32 s3, s2, 31
	s_lshl_b64 s[2:3], s[2:3], 2
	s_add_u32 s15, s5, s2
	s_addc_u32 s7, s7, s3
	s_ashr_i32 s5, s4, 31
	s_lshl_b64 s[18:19], s[4:5], 2
	s_add_u32 s34, s15, s18
	s_addc_u32 s35, s7, s19
	s_add_u32 s5, s16, s10
	s_addc_u32 s7, s17, s11
	;; [unrolled: 2-line block ×3, first 2 shown]
	s_add_u32 s2, s2, s18
	v_mov_b32_e32 v2, 0
	s_addc_u32 s3, s3, s19
	global_store_dword v2, v4, s[34:35]
	global_store_dword v2, v5, s[2:3]
.LBB119_40:
	s_or_b64 exec, exec, s[0:1]
	v_mov_b32_e32 v26, 0
	v_and_b32_e32 v25, 3, v0
	v_mov_b32_e32 v9, 0
	v_mov_b32_e32 v8, 0
	;; [unrolled: 1-line block ×4, first 2 shown]
	s_and_saveexec_b64 s[2:3], s[8:9]
	s_cbranch_execz .LBB119_54
; %bb.41:
	s_ashr_i32 s15, s14, 31
	s_lshl_b64 s[0:1], s[14:15], 1
	s_add_u32 s8, s30, s0
	v_and_b32_e32 v3, 24, v1
	s_addc_u32 s9, s31, s1
	s_add_i32 s7, s12, -1
	s_lshl_b64 s[0:1], s[28:29], 2
	v_and_b32_e32 v2, 0x1f8, v1
	v_add3_u32 v1, s40, v21, v3
	v_lshlrev_b32_e32 v3, 5, v25
	s_add_u32 s0, s26, s0
	v_mov_b32_e32 v13, 0
	v_or_b32_e32 v4, 0x800, v2
	v_lshl_or_b32 v3, v20, 7, v3
	s_addc_u32 s1, s27, s1
	s_mov_b32 s5, s13
	s_mov_b32 s14, s25
	;; [unrolled: 1-line block ×8, first 2 shown]
	v_add_u32_e32 v27, 0xb0, v3
	v_lshl_add_u64 v[14:15], v[6:7], 2, s[0:1]
	s_mov_b64 s[10:11], 0
	v_lshlrev_b32_e32 v16, 1, v2
	v_mov_b32_e32 v17, v13
	s_mov_b32 s26, 0x5040100
	v_lshlrev_b32_e32 v12, 1, v4
	v_mov_b32_e32 v10, v13
	v_mov_b32_e32 v11, v13
	;; [unrolled: 1-line block ×5, first 2 shown]
	s_branch .LBB119_43
.LBB119_42:                             ;   in Loop: Header=BB119_43 Depth=1
	s_or_b64 exec, exec, s[0:1]
	s_waitcnt vmcnt(0)
	;;#ASMSTART
	v_pk_mul_f16 v2, v37, v2;

	;;#ASMEND
	;;#ASMSTART
	v_pk_mul_f16 v3, v36, v3;

	;;#ASMEND
	;; [unrolled: 4-line block ×4, first 2 shown]
	v_add_f32_e32 v7, v38, v39
	;;#ASMSTART
	v_pk_add_f16 v2, v2, v3;

	;;#ASMEND
	v_add_f32_e32 v10, v10, v7
	;;#ASMSTART
	v_pk_add_f16 v2, v2, v4;

	;;#ASMEND
	;; [unrolled: 5-line block ×3, first 2 shown]
	v_add_f32_e32 v11, v11, v7
	v_lshrrev_b32_e32 v3, 16, v2
	v_and_b32_e32 v2, 0xffff, v2
	v_add_f32_e32 v7, v42, v43
	;;#ASMSTART
	v_cvt_f32_f16 v2, v2;
	;;#ASMEND
	v_add_u32_e32 v6, 2, v6
	v_add_f32_e32 v8, v8, v7
	v_add_f32_e32 v7, v20, v21
	;;#ASMSTART
	v_cvt_f32_f16 v3, v3;
	;;#ASMEND
	v_cmp_le_i32_e32 vcc, s33, v6
	v_add_f32_e32 v2, v2, v3
	v_add_f32_e32 v9, v9, v7
	;; [unrolled: 1-line block ×3, first 2 shown]
	v_add_u32_e32 v1, 64, v1
	v_add_u32_e32 v27, 0x100, v27
	s_or_b64 s[10:11], vcc, s[10:11]
	v_lshl_add_u64 v[14:15], v[14:15], 0, 8
	s_andn2_b64 exec, exec, s[10:11]
	s_cbranch_execz .LBB119_53
.LBB119_43:                             ; =>This Inner Loop Header: Depth=1
	global_load_dword v7, v[14:15], off
	ds_read2_b64 v[2:5], v27 offset1:1
	ds_read2_b64 v[18:21], v27 offset0:2 offset1:3
	v_cmp_eq_u32_e32 vcc, s7, v6
	v_or_b32_e32 v29, 3, v1
	s_waitcnt lgkmcnt(1)
	;;#ASMSTART
	v_cvt_f16_f32 v34, v2;

	;;#ASMEND
	;;#ASMSTART
	v_cvt_f16_f32 v35, v3;

	;;#ASMEND
	;; [unrolled: 4-line block ×4, first 2 shown]
	s_waitcnt lgkmcnt(0)
	;;#ASMSTART
	v_cvt_f16_f32 v39, v18;

	;;#ASMEND
	;;#ASMSTART
	v_cvt_f16_f32 v40, v19;

	;;#ASMEND
	;; [unrolled: 4-line block ×4, first 2 shown]
	v_or_b32_e32 v28, 2, v1
	v_or_b32_e32 v31, 5, v1
	;; [unrolled: 1-line block ×5, first 2 shown]
	s_waitcnt vmcnt(0)
	v_mad_i64_i32 v[2:3], s[0:1], v7, s5, 0
	v_lshl_add_u64 v[18:19], v[2:3], 1, s[8:9]
	v_lshl_add_u64 v[20:21], v[18:19], 0, v[16:17]
	global_load_dwordx4 v[2:5], v[20:21], off
	v_add_u32_e32 v7, 1, v1
	s_and_saveexec_b64 s[12:13], vcc
	s_cbranch_execz .LBB119_45
; %bb.44:                               ;   in Loop: Header=BB119_43 Depth=1
	s_waitcnt vmcnt(0)
	v_lshrrev_b32_e32 v37, 16, v5
	v_cmp_gt_i32_e64 s[0:1], s24, v33
	s_nop 1
	v_cndmask_b32_e64 v37, 0, v37, s[0:1]
	v_cmp_gt_i32_e64 s[0:1], s19, v32
	s_nop 1
	v_cndmask_b32_e64 v5, 0, v5, s[0:1]
	v_perm_b32 v5, v37, v5, s26
	v_lshrrev_b32_e32 v37, 16, v4
	v_cmp_gt_i32_e64 s[0:1], s18, v31
	s_nop 1
	v_cndmask_b32_e64 v37, 0, v37, s[0:1]
	v_cmp_gt_i32_e64 s[0:1], s17, v30
	s_nop 1
	v_cndmask_b32_e64 v4, 0, v4, s[0:1]
	v_perm_b32 v4, v37, v4, s26
	;; [unrolled: 8-line block ×4, first 2 shown]
.LBB119_45:                             ;   in Loop: Header=BB119_43 Depth=1
	s_or_b64 exec, exec, s[12:13]
	v_and_b32_e32 v34, 0xffff, v34
	v_lshl_or_b32 v37, v35, 16, v34
	v_and_b32_e32 v34, 0xffff, v36
	v_lshl_or_b32 v36, v38, 16, v34
	;; [unrolled: 2-line block ×3, first 2 shown]
	v_and_b32_e32 v34, 0xffff, v41
	s_waitcnt vmcnt(0)
	;;#ASMSTART
	v_pk_mul_f16 v2, v37, v2;

	;;#ASMEND
	v_lshl_or_b32 v34, v42, 16, v34
	;;#ASMSTART
	v_pk_mul_f16 v3, v36, v3;

	;;#ASMEND
	;;#ASMSTART
	v_pk_mul_f16 v4, v35, v4;

	;;#ASMEND
	;; [unrolled: 4-line block ×3, first 2 shown]
	s_nop 0
	;;#ASMSTART
	v_pk_add_f16 v2, v2, v3;

	;;#ASMEND
	s_nop 0
	;;#ASMSTART
	v_pk_add_f16 v2, v2, v4;

	;;#ASMEND
	;; [unrolled: 5-line block ×3, first 2 shown]
	s_nop 0
	v_lshrrev_b32_e32 v3, 16, v2
	v_and_b32_e32 v2, 0xffff, v2
	;;#ASMSTART
	v_cvt_f32_f16 v38, v2;
	;;#ASMEND
	;;#ASMSTART
	v_cvt_f32_f16 v39, v3;
	;;#ASMEND
	global_load_dwordx4 v[2:5], v[20:21], off offset:1024
	s_and_saveexec_b64 s[12:13], vcc
	s_cbranch_execz .LBB119_47
; %bb.46:                               ;   in Loop: Header=BB119_43 Depth=1
	s_waitcnt vmcnt(0)
	v_lshrrev_b32_e32 v40, 16, v5
	v_cmp_gt_i32_e64 s[0:1], s24, v33
	s_nop 1
	v_cndmask_b32_e64 v40, 0, v40, s[0:1]
	v_cmp_gt_i32_e64 s[0:1], s19, v32
	s_nop 1
	v_cndmask_b32_e64 v5, 0, v5, s[0:1]
	v_perm_b32 v5, v40, v5, s26
	v_lshrrev_b32_e32 v40, 16, v4
	v_cmp_gt_i32_e64 s[0:1], s18, v31
	s_nop 1
	v_cndmask_b32_e64 v40, 0, v40, s[0:1]
	v_cmp_gt_i32_e64 s[0:1], s17, v30
	s_nop 1
	v_cndmask_b32_e64 v4, 0, v4, s[0:1]
	v_perm_b32 v4, v40, v4, s26
	;; [unrolled: 8-line block ×4, first 2 shown]
.LBB119_47:                             ;   in Loop: Header=BB119_43 Depth=1
	s_or_b64 exec, exec, s[12:13]
	s_waitcnt vmcnt(0)
	;;#ASMSTART
	v_pk_mul_f16 v2, v37, v2;

	;;#ASMEND
	;;#ASMSTART
	v_pk_mul_f16 v3, v36, v3;

	;;#ASMEND
	;;#ASMSTART
	v_pk_mul_f16 v4, v35, v4;

	;;#ASMEND
	;;#ASMSTART
	v_pk_mul_f16 v5, v34, v5;

	;;#ASMEND
	s_nop 0
	;;#ASMSTART
	v_pk_add_f16 v2, v2, v3;

	;;#ASMEND
	s_nop 0
	;;#ASMSTART
	v_pk_add_f16 v2, v2, v4;

	;;#ASMEND
	;; [unrolled: 5-line block ×3, first 2 shown]
	s_nop 0
	v_lshrrev_b32_e32 v3, 16, v2
	v_and_b32_e32 v2, 0xffff, v2
	;;#ASMSTART
	v_cvt_f32_f16 v40, v2;
	;;#ASMEND
	;;#ASMSTART
	v_cvt_f32_f16 v41, v3;
	;;#ASMEND
	global_load_dwordx4 v[2:5], v[20:21], off offset:2048
	s_and_saveexec_b64 s[12:13], vcc
	s_cbranch_execz .LBB119_49
; %bb.48:                               ;   in Loop: Header=BB119_43 Depth=1
	s_waitcnt vmcnt(0)
	v_lshrrev_b32_e32 v42, 16, v5
	v_cmp_gt_i32_e64 s[0:1], s24, v33
	s_nop 1
	v_cndmask_b32_e64 v42, 0, v42, s[0:1]
	v_cmp_gt_i32_e64 s[0:1], s19, v32
	s_nop 1
	v_cndmask_b32_e64 v5, 0, v5, s[0:1]
	v_perm_b32 v5, v42, v5, s26
	v_lshrrev_b32_e32 v42, 16, v4
	v_cmp_gt_i32_e64 s[0:1], s18, v31
	s_nop 1
	v_cndmask_b32_e64 v42, 0, v42, s[0:1]
	v_cmp_gt_i32_e64 s[0:1], s17, v30
	s_nop 1
	v_cndmask_b32_e64 v4, 0, v4, s[0:1]
	v_perm_b32 v4, v42, v4, s26
	v_lshrrev_b32_e32 v42, 16, v3
	v_cmp_gt_i32_e64 s[0:1], s16, v29
	s_nop 1
	v_cndmask_b32_e64 v42, 0, v42, s[0:1]
	v_cmp_gt_i32_e64 s[0:1], s15, v28
	s_nop 1
	v_cndmask_b32_e64 v3, 0, v3, s[0:1]
	v_perm_b32 v3, v42, v3, s26
	v_lshrrev_b32_e32 v42, 16, v2
	v_cmp_gt_i32_e64 s[0:1], s14, v7
	s_nop 1
	v_cndmask_b32_e64 v42, 0, v42, s[0:1]
	v_cmp_gt_i32_e64 s[0:1], s25, v1
	s_nop 1
	v_cndmask_b32_e64 v2, 0, v2, s[0:1]
	v_perm_b32 v2, v42, v2, s26
.LBB119_49:                             ;   in Loop: Header=BB119_43 Depth=1
	s_or_b64 exec, exec, s[12:13]
	s_waitcnt vmcnt(0)
	;;#ASMSTART
	v_pk_mul_f16 v2, v37, v2;

	;;#ASMEND
	;;#ASMSTART
	v_pk_mul_f16 v3, v36, v3;

	;;#ASMEND
	;; [unrolled: 4-line block ×4, first 2 shown]
	s_nop 0
	;;#ASMSTART
	v_pk_add_f16 v2, v2, v3;

	;;#ASMEND
	s_nop 0
	;;#ASMSTART
	v_pk_add_f16 v2, v2, v4;

	;;#ASMEND
	;; [unrolled: 5-line block ×3, first 2 shown]
	s_nop 0
	v_lshrrev_b32_e32 v3, 16, v2
	v_and_b32_e32 v2, 0xffff, v2
	;;#ASMSTART
	v_cvt_f32_f16 v42, v2;
	;;#ASMEND
	;;#ASMSTART
	v_cvt_f32_f16 v43, v3;
	;;#ASMEND
	global_load_dwordx4 v[2:5], v[20:21], off offset:3072
	s_and_saveexec_b64 s[12:13], vcc
	s_cbranch_execz .LBB119_51
; %bb.50:                               ;   in Loop: Header=BB119_43 Depth=1
	s_waitcnt vmcnt(0)
	v_lshrrev_b32_e32 v20, 16, v5
	v_cmp_gt_i32_e64 s[0:1], s24, v33
	s_nop 1
	v_cndmask_b32_e64 v20, 0, v20, s[0:1]
	v_cmp_gt_i32_e64 s[0:1], s19, v32
	s_nop 1
	v_cndmask_b32_e64 v5, 0, v5, s[0:1]
	v_perm_b32 v5, v20, v5, s26
	v_lshrrev_b32_e32 v20, 16, v4
	v_cmp_gt_i32_e64 s[0:1], s18, v31
	s_nop 1
	v_cndmask_b32_e64 v20, 0, v20, s[0:1]
	v_cmp_gt_i32_e64 s[0:1], s17, v30
	s_nop 1
	v_cndmask_b32_e64 v4, 0, v4, s[0:1]
	v_perm_b32 v4, v20, v4, s26
	;; [unrolled: 8-line block ×4, first 2 shown]
.LBB119_51:                             ;   in Loop: Header=BB119_43 Depth=1
	s_or_b64 exec, exec, s[12:13]
	s_waitcnt vmcnt(0)
	;;#ASMSTART
	v_pk_mul_f16 v2, v37, v2;

	;;#ASMEND
	;;#ASMSTART
	v_pk_mul_f16 v3, v36, v3;

	;;#ASMEND
	;; [unrolled: 4-line block ×4, first 2 shown]
	s_nop 0
	;;#ASMSTART
	v_pk_add_f16 v2, v2, v3;

	;;#ASMEND
	s_nop 0
	;;#ASMSTART
	v_pk_add_f16 v2, v2, v4;

	;;#ASMEND
	;; [unrolled: 5-line block ×3, first 2 shown]
	s_nop 0
	v_lshrrev_b32_e32 v3, 16, v2
	v_and_b32_e32 v2, 0xffff, v2
	;;#ASMSTART
	v_cvt_f32_f16 v20, v2;
	;;#ASMEND
	;;#ASMSTART
	v_cvt_f32_f16 v21, v3;
	;;#ASMEND
	v_lshl_add_u64 v[2:3], v[18:19], 0, v[12:13]
	global_load_dwordx4 v[2:5], v[2:3], off
	s_and_saveexec_b64 s[0:1], vcc
	s_cbranch_execz .LBB119_42
; %bb.52:                               ;   in Loop: Header=BB119_43 Depth=1
	s_waitcnt vmcnt(0)
	v_lshrrev_b32_e32 v18, 16, v5
	v_cmp_gt_i32_e32 vcc, s24, v33
	s_nop 1
	v_cndmask_b32_e32 v18, 0, v18, vcc
	v_cmp_gt_i32_e32 vcc, s19, v32
	s_nop 1
	v_cndmask_b32_e32 v5, 0, v5, vcc
	v_perm_b32 v5, v18, v5, s26
	v_lshrrev_b32_e32 v18, 16, v4
	v_cmp_gt_i32_e32 vcc, s18, v31
	s_nop 1
	v_cndmask_b32_e32 v18, 0, v18, vcc
	v_cmp_gt_i32_e32 vcc, s17, v30
	s_nop 1
	v_cndmask_b32_e32 v4, 0, v4, vcc
	v_perm_b32 v4, v18, v4, s26
	;; [unrolled: 8-line block ×4, first 2 shown]
	s_branch .LBB119_42
.LBB119_53:
	s_or_b64 exec, exec, s[10:11]
.LBB119_54:
	s_or_b64 exec, exec, s[2:3]
	ds_bpermute_b32 v2, v23, v10
	ds_bpermute_b32 v3, v23, v11
	;; [unrolled: 1-line block ×5, first 2 shown]
	s_waitcnt lgkmcnt(0)
	v_pk_add_f32 v[2:3], v[10:11], v[2:3]
	ds_bpermute_b32 v6, v24, v2
	v_pk_add_f32 v[4:5], v[8:9], v[4:5]
	v_add_f32_e32 v1, v26, v1
	ds_bpermute_b32 v7, v24, v3
	ds_bpermute_b32 v8, v24, v4
	;; [unrolled: 1-line block ×4, first 2 shown]
	s_barrier
	s_waitcnt lgkmcnt(3)
	v_pk_add_f32 v[6:7], v[2:3], v[6:7]
	s_waitcnt lgkmcnt(0)
	v_pk_add_f32 v[2:3], v[4:5], v[8:9]
	v_add_f32_e32 v4, v1, v10
	v_and_b32_e32 v1, 0x3c3, v0
	v_cmp_eq_u32_e32 vcc, 64, v1
	s_and_saveexec_b64 s[0:1], vcc
	s_cbranch_execz .LBB119_56
; %bb.55:
	v_add_u32_e32 v5, 0xb0, v22
	ds_write2_b32 v5, v6, v7 offset1:16
	ds_write2_b32 v5, v2, v3 offset0:32 offset1:48
	ds_write_b32 v5, v4 offset:256
.LBB119_56:
	s_or_b64 exec, exec, s[0:1]
	v_cmp_gt_u32_e32 vcc, 64, v0
	s_waitcnt lgkmcnt(0)
	s_barrier
	s_and_saveexec_b64 s[0:1], vcc
	s_cbranch_execz .LBB119_64
; %bb.57:
	v_cmp_eq_u32_e32 vcc, 0, v25
	v_lshrrev_b32_e32 v5, 2, v0
	s_and_saveexec_b64 s[2:3], vcc
	s_cbranch_execnz .LBB119_67
; %bb.58:
	s_or_b64 exec, exec, s[2:3]
	s_and_saveexec_b64 s[2:3], vcc
	s_cbranch_execnz .LBB119_68
.LBB119_59:
	s_or_b64 exec, exec, s[2:3]
	s_and_saveexec_b64 s[2:3], vcc
	s_cbranch_execnz .LBB119_69
.LBB119_60:
	s_or_b64 exec, exec, s[2:3]
	s_and_saveexec_b64 s[2:3], vcc
	s_cbranch_execnz .LBB119_70
.LBB119_61:
	s_or_b64 exec, exec, s[2:3]
	s_and_saveexec_b64 s[2:3], vcc
	s_cbranch_execz .LBB119_63
.LBB119_62:
	v_mov_b32_e32 v8, 0xb0
	v_lshl_add_u32 v5, v5, 2, v8
	ds_read_b32 v5, v5 offset:256
	s_waitcnt lgkmcnt(0)
	v_add_f32_e32 v4, v4, v5
.LBB119_63:
	s_or_b64 exec, exec, s[2:3]
.LBB119_64:
	s_or_b64 exec, exec, s[0:1]
	v_cmp_eq_u32_e32 vcc, 0, v1
	s_barrier
	s_and_saveexec_b64 s[0:1], vcc
	s_cbranch_execz .LBB119_66
; %bb.65:
	s_mul_i32 s0, s6, 0x50
	s_ashr_i32 s1, s0, 31
	s_lshl_b64 s[0:1], s[0:1], 1
	s_add_u32 s2, s22, s0
	s_mul_i32 s0, s21, s20
	s_addc_u32 s3, s23, s1
	s_ashr_i32 s1, s0, 31
	s_lshl_b64 s[0:1], s[0:1], 1
	s_add_u32 s2, s2, s0
	s_mul_i32 s0, s4, 0x50
	s_addc_u32 s3, s3, s1
	s_ashr_i32 s1, s0, 31
	s_lshl_b64 s[0:1], s[0:1], 1
	s_add_u32 s0, s2, s0
	s_addc_u32 s1, s3, s1
	v_lshrrev_b32_e32 v0, 1, v0
	;;#ASMSTART
	v_cvt_f16_f32 v1, v6;

	;;#ASMEND
	global_store_short v0, v1, s[0:1]
	;;#ASMSTART
	v_cvt_f16_f32 v1, v7;

	;;#ASMEND
	global_store_short v0, v1, s[0:1] offset:32
	;;#ASMSTART
	v_cvt_f16_f32 v1, v2;

	;;#ASMEND
	global_store_short v0, v1, s[0:1] offset:64
	;; [unrolled: 5-line block ×4, first 2 shown]
.LBB119_66:
	s_endpgm
.LBB119_67:
	v_mov_b32_e32 v8, 0xb0
	v_lshl_add_u32 v8, v5, 2, v8
	ds_read_b32 v8, v8
	s_waitcnt lgkmcnt(0)
	v_add_f32_e32 v6, v6, v8
	s_or_b64 exec, exec, s[2:3]
	s_and_saveexec_b64 s[2:3], vcc
	s_cbranch_execz .LBB119_59
.LBB119_68:
	v_mov_b32_e32 v8, 0xb0
	v_lshl_add_u32 v8, v5, 2, v8
	ds_read_b32 v8, v8 offset:64
	s_waitcnt lgkmcnt(0)
	v_add_f32_e32 v7, v7, v8
	s_or_b64 exec, exec, s[2:3]
	s_and_saveexec_b64 s[2:3], vcc
	s_cbranch_execz .LBB119_60
.LBB119_69:
	v_mov_b32_e32 v8, 0xb0
	v_lshl_add_u32 v8, v5, 2, v8
	ds_read_b32 v8, v8 offset:128
	s_waitcnt lgkmcnt(0)
	v_add_f32_e32 v2, v2, v8
	s_or_b64 exec, exec, s[2:3]
	s_and_saveexec_b64 s[2:3], vcc
	s_cbranch_execz .LBB119_61
.LBB119_70:
	v_mov_b32_e32 v8, 0xb0
	v_lshl_add_u32 v8, v5, 2, v8
	ds_read_b32 v8, v8 offset:192
	s_waitcnt lgkmcnt(0)
	v_add_f32_e32 v3, v3, v8
	s_or_b64 exec, exec, s[2:3]
	s_and_saveexec_b64 s[2:3], vcc
	s_cbranch_execnz .LBB119_62
	s_branch .LBB119_63
	.section	.rodata,"a",@progbits
	.p2align	6, 0x0
	.amdhsa_kernel _ZN4vllm25paged_attention_v2_kernelIttLi80ELi32ELi128ELNS_18Fp8KVCacheDataTypeE0ELb0ELi512EEEvPfS2_PT_PKS3_PKT0_S9_ifPKiSB_iPKfiiiSD_SD_iiiii
		.amdhsa_group_segment_fixed_size 176
		.amdhsa_private_segment_fixed_size 0
		.amdhsa_kernarg_size 400
		.amdhsa_user_sgpr_count 2
		.amdhsa_user_sgpr_dispatch_ptr 0
		.amdhsa_user_sgpr_queue_ptr 0
		.amdhsa_user_sgpr_kernarg_segment_ptr 1
		.amdhsa_user_sgpr_dispatch_id 0
		.amdhsa_user_sgpr_kernarg_preload_length 0
		.amdhsa_user_sgpr_kernarg_preload_offset 0
		.amdhsa_user_sgpr_private_segment_size 0
		.amdhsa_uses_dynamic_stack 0
		.amdhsa_enable_private_segment 0
		.amdhsa_system_sgpr_workgroup_id_x 1
		.amdhsa_system_sgpr_workgroup_id_y 1
		.amdhsa_system_sgpr_workgroup_id_z 1
		.amdhsa_system_sgpr_workgroup_info 0
		.amdhsa_system_vgpr_workitem_id 0
		.amdhsa_next_free_vgpr 67
		.amdhsa_next_free_sgpr 43
		.amdhsa_accum_offset 68
		.amdhsa_reserve_vcc 1
		.amdhsa_float_round_mode_32 0
		.amdhsa_float_round_mode_16_64 0
		.amdhsa_float_denorm_mode_32 3
		.amdhsa_float_denorm_mode_16_64 3
		.amdhsa_dx10_clamp 1
		.amdhsa_ieee_mode 1
		.amdhsa_fp16_overflow 0
		.amdhsa_tg_split 0
		.amdhsa_exception_fp_ieee_invalid_op 0
		.amdhsa_exception_fp_denorm_src 0
		.amdhsa_exception_fp_ieee_div_zero 0
		.amdhsa_exception_fp_ieee_overflow 0
		.amdhsa_exception_fp_ieee_underflow 0
		.amdhsa_exception_fp_ieee_inexact 0
		.amdhsa_exception_int_div_zero 0
	.end_amdhsa_kernel
	.section	.text._ZN4vllm25paged_attention_v2_kernelIttLi80ELi32ELi128ELNS_18Fp8KVCacheDataTypeE0ELb0ELi512EEEvPfS2_PT_PKS3_PKT0_S9_ifPKiSB_iPKfiiiSD_SD_iiiii,"axG",@progbits,_ZN4vllm25paged_attention_v2_kernelIttLi80ELi32ELi128ELNS_18Fp8KVCacheDataTypeE0ELb0ELi512EEEvPfS2_PT_PKS3_PKT0_S9_ifPKiSB_iPKfiiiSD_SD_iiiii,comdat
.Lfunc_end119:
	.size	_ZN4vllm25paged_attention_v2_kernelIttLi80ELi32ELi128ELNS_18Fp8KVCacheDataTypeE0ELb0ELi512EEEvPfS2_PT_PKS3_PKT0_S9_ifPKiSB_iPKfiiiSD_SD_iiiii, .Lfunc_end119-_ZN4vllm25paged_attention_v2_kernelIttLi80ELi32ELi128ELNS_18Fp8KVCacheDataTypeE0ELb0ELi512EEEvPfS2_PT_PKS3_PKT0_S9_ifPKiSB_iPKfiiiSD_SD_iiiii
                                        ; -- End function
	.section	.AMDGPU.csdata,"",@progbits
; Kernel info:
; codeLenInByte = 6852
; NumSgprs: 49
; NumVgprs: 67
; NumAgprs: 0
; TotalNumVgprs: 67
; ScratchSize: 0
; MemoryBound: 0
; FloatMode: 240
; IeeeMode: 1
; LDSByteSize: 176 bytes/workgroup (compile time only)
; SGPRBlocks: 6
; VGPRBlocks: 8
; NumSGPRsForWavesPerEU: 49
; NumVGPRsForWavesPerEU: 67
; AccumOffset: 68
; Occupancy: 7
; WaveLimiterHint : 1
; COMPUTE_PGM_RSRC2:SCRATCH_EN: 0
; COMPUTE_PGM_RSRC2:USER_SGPR: 2
; COMPUTE_PGM_RSRC2:TRAP_HANDLER: 0
; COMPUTE_PGM_RSRC2:TGID_X_EN: 1
; COMPUTE_PGM_RSRC2:TGID_Y_EN: 1
; COMPUTE_PGM_RSRC2:TGID_Z_EN: 1
; COMPUTE_PGM_RSRC2:TIDIG_COMP_CNT: 0
; COMPUTE_PGM_RSRC3_GFX90A:ACCUM_OFFSET: 16
; COMPUTE_PGM_RSRC3_GFX90A:TG_SPLIT: 0
	.section	.text._ZN4vllm25paged_attention_v2_kernelIttLi96ELi32ELi128ELNS_18Fp8KVCacheDataTypeE0ELb0ELi512EEEvPfS2_PT_PKS3_PKT0_S9_ifPKiSB_iPKfiiiSD_SD_iiiii,"axG",@progbits,_ZN4vllm25paged_attention_v2_kernelIttLi96ELi32ELi128ELNS_18Fp8KVCacheDataTypeE0ELb0ELi512EEEvPfS2_PT_PKS3_PKT0_S9_ifPKiSB_iPKfiiiSD_SD_iiiii,comdat
	.protected	_ZN4vllm25paged_attention_v2_kernelIttLi96ELi32ELi128ELNS_18Fp8KVCacheDataTypeE0ELb0ELi512EEEvPfS2_PT_PKS3_PKT0_S9_ifPKiSB_iPKfiiiSD_SD_iiiii ; -- Begin function _ZN4vllm25paged_attention_v2_kernelIttLi96ELi32ELi128ELNS_18Fp8KVCacheDataTypeE0ELb0ELi512EEEvPfS2_PT_PKS3_PKT0_S9_ifPKiSB_iPKfiiiSD_SD_iiiii
	.globl	_ZN4vllm25paged_attention_v2_kernelIttLi96ELi32ELi128ELNS_18Fp8KVCacheDataTypeE0ELb0ELi512EEEvPfS2_PT_PKS3_PKT0_S9_ifPKiSB_iPKfiiiSD_SD_iiiii
	.p2align	8
	.type	_ZN4vllm25paged_attention_v2_kernelIttLi96ELi32ELi128ELNS_18Fp8KVCacheDataTypeE0ELb0ELi512EEEvPfS2_PT_PKS3_PKT0_S9_ifPKiSB_iPKfiiiSD_SD_iiiii,@function
_ZN4vllm25paged_attention_v2_kernelIttLi96ELi32ELi128ELNS_18Fp8KVCacheDataTypeE0ELb0ELi512EEEvPfS2_PT_PKS3_PKT0_S9_ifPKiSB_iPKfiiiSD_SD_iiiii: ; @_ZN4vllm25paged_attention_v2_kernelIttLi96ELi32ELi128ELNS_18Fp8KVCacheDataTypeE0ELb0ELi512EEEvPfS2_PT_PKS3_PKT0_S9_ifPKiSB_iPKfiiiSD_SD_iiiii
; %bb.0:
	s_load_dwordx2 s[6:7], s[0:1], 0x40
	s_mov_b32 s24, s3
	s_ashr_i32 s25, s3, 31
	s_lshl_b64 s[8:9], s[24:25], 2
	s_waitcnt lgkmcnt(0)
	s_add_u32 s6, s6, s8
	s_addc_u32 s7, s7, s9
	s_load_dword s25, s[6:7], 0x0
	s_lshl_b32 s40, s4, 9
	s_waitcnt lgkmcnt(0)
	s_cmp_ge_i32 s40, s25
	s_cbranch_scc1 .LBB120_69
; %bb.1:
	s_load_dword s5, s[0:1], 0x90
	s_load_dwordx2 s[10:11], s[0:1], 0x30
	s_waitcnt lgkmcnt(0)
	s_abs_i32 s7, s5
	s_abs_i32 s3, s10
	v_cvt_f32_u32_e32 v1, s3
	s_sub_i32 s8, 0, s3
	s_xor_b32 s6, s5, s10
	s_ashr_i32 s6, s6, 31
	v_rcp_iflag_f32_e32 v1, v1
	s_nop 0
	v_mul_f32_e32 v1, 0x4f7ffffe, v1
	v_cvt_u32_f32_e32 v1, v1
	s_nop 0
	v_readfirstlane_b32 s9, v1
	s_mul_i32 s8, s8, s9
	s_mul_hi_u32 s8, s9, s8
	s_add_i32 s9, s9, s8
	s_mul_hi_u32 s8, s7, s9
	s_mul_i32 s9, s8, s3
	s_sub_i32 s7, s7, s9
	s_add_i32 s10, s8, 1
	s_sub_i32 s9, s7, s3
	s_cmp_ge_u32 s7, s3
	s_cselect_b32 s8, s10, s8
	s_cselect_b32 s7, s9, s7
	s_add_i32 s9, s8, 1
	s_cmp_ge_u32 s7, s3
	s_cselect_b32 s3, s9, s8
	s_xor_b32 s3, s3, s6
	s_sub_i32 s12, s3, s6
	s_abs_i32 s8, s12
	v_cvt_f32_u32_e32 v1, s8
	s_load_dwordx2 s[6:7], s[0:1], 0x50
	s_sub_i32 s3, 0, s8
	s_abs_i32 s9, s2
	v_rcp_iflag_f32_e32 v1, v1
	s_mov_b32 s10, 0
	v_mul_f32_e32 v1, 0x4f7ffffe, v1
	v_cvt_u32_f32_e32 v1, v1
	s_nop 0
	v_readfirstlane_b32 s13, v1
	s_mul_i32 s3, s3, s13
	s_mul_hi_u32 s3, s13, s3
	s_add_i32 s13, s13, s3
	s_waitcnt lgkmcnt(0)
	s_cmp_eq_u64 s[6:7], 0
	s_mul_hi_u32 s16, s9, s13
	s_cbranch_scc1 .LBB120_3
; %bb.2:
	s_ashr_i32 s3, s2, 31
	s_lshl_b64 s[14:15], s[2:3], 2
	s_add_u32 s6, s6, s14
	s_addc_u32 s7, s7, s15
	s_load_dword s10, s[6:7], 0x0
.LBB120_3:
	s_ashr_i32 s18, s12, 31
	s_load_dwordx4 s[12:15], s[0:1], 0x58
	s_ashr_i32 s17, s2, 31
	v_and_b32_e32 v4, 1, v0
	s_movk_i32 s3, 0x60
	s_mul_i32 s20, s2, 0x60
	v_cmp_gt_u32_e32 vcc, 24, v0
	v_lshlrev_b32_e32 v1, 3, v0
	s_and_saveexec_b64 s[6:7], vcc
	s_cbranch_execz .LBB120_5
; %bb.4:
	s_load_dwordx2 s[22:23], s[0:1], 0x18
	s_waitcnt lgkmcnt(0)
	s_mul_i32 s26, s24, s12
	s_ashr_i32 s27, s26, 31
	s_lshl_b64 s[26:27], s[26:27], 1
	v_lshlrev_b32_e32 v5, 2, v0
	s_add_u32 s12, s22, s26
	s_addc_u32 s15, s23, s27
	s_ashr_i32 s21, s20, 31
	s_lshl_b64 s[22:23], s[20:21], 1
	s_add_u32 s22, s12, s22
	s_addc_u32 s23, s15, s23
	global_load_dwordx2 v[2:3], v1, s[22:23]
	v_and_b32_e32 v5, 0xff8, v5
	v_mad_u32_u24 v5, v4, s3, v5
	s_waitcnt vmcnt(0)
	ds_write_b64 v5, v[2:3]
.LBB120_5:
	s_or_b64 exec, exec, s[6:7]
	s_add_i32 s3, s25, 31
	s_ashr_i32 s6, s3, 31
	s_lshr_b32 s6, s6, 27
	s_add_i32 s3, s3, s6
	s_waitcnt lgkmcnt(0)
	s_ashr_i32 s12, s3, 5
	s_lshl_b32 s3, s4, 4
	s_mul_i32 s7, s16, s8
	s_add_i32 s6, s3, 16
	s_sub_i32 s7, s9, s7
	s_min_i32 s33, s6, s12
	s_xor_b32 s6, s17, s18
	s_add_i32 s9, s16, 1
	s_sub_i32 s15, s7, s8
	s_cmp_ge_u32 s7, s8
	s_cselect_b32 s9, s9, s16
	s_cselect_b32 s7, s15, s7
	s_add_i32 s15, s9, 1
	s_cmp_ge_u32 s7, s8
	s_load_dwordx2 s[26:27], s[0:1], 0x38
	s_load_dword s8, s[0:1], 0x48
	v_lshrrev_b32_e32 v24, 6, v0
	s_cselect_b32 s7, s15, s9
	s_xor_b32 s7, s7, s6
	v_or_b32_e32 v6, s3, v24
	s_waitcnt lgkmcnt(0)
	s_mul_i32 s28, s24, s8
	s_sub_i32 s15, s7, s6
	s_ashr_i32 s29, s28, 31
	v_cmp_gt_i32_e64 s[8:9], s33, v6
	v_cmp_le_i32_e32 vcc, s33, v6
	v_mbcnt_lo_u32_b32 v8, -1, 0
	s_barrier
	s_waitcnt lgkmcnt(0)
                                        ; implicit-def: $sgpr36
                                        ; implicit-def: $vgpr29
                                        ; implicit-def: $vgpr28
	s_and_saveexec_b64 s[6:7], vcc
	s_xor_b64 s[6:7], exec, s[6:7]
; %bb.6:
	v_mbcnt_hi_u32_b32 v29, -1, v8
	v_and_b32_e32 v2, 64, v29
	v_add_u32_e32 v28, 64, v2
	s_mov_b32 s36, 0xff7fffff
                                        ; implicit-def: $vgpr4
                                        ; implicit-def: $vgpr8
; %bb.7:
	s_or_saveexec_b64 s[34:35], s[6:7]
	s_load_dwordx4 s[16:19], s[0:1], 0x0
	s_load_dwordx2 s[22:23], s[0:1], 0x10
	s_load_dwordx2 s[30:31], s[0:1], 0x28
	s_load_dword s21, s[0:1], 0x98
	v_mov_b32_e32 v26, s36
	s_mul_i32 s14, s15, s14
	v_ashrrev_i32_e32 v7, 31, v6
	v_lshlrev_b32_e32 v25, 5, v24
	s_xor_b64 exec, exec, s[34:35]
	s_cbranch_execz .LBB120_13
; %bb.8:
	s_load_dwordx2 s[0:1], s[0:1], 0x20
	s_ashr_i32 s15, s14, 31
	s_lshl_b64 s[6:7], s[14:15], 1
	v_bfe_u32 v5, v0, 1, 5
	v_lshlrev_b32_e32 v2, 4, v5
	s_waitcnt lgkmcnt(0)
	s_add_u32 s0, s0, s6
	s_addc_u32 s1, s1, s7
	v_mov_b32_e32 v3, 0
	v_lshl_add_u64 v[10:11], s[0:1], 0, v[2:3]
	s_sub_i32 s15, 1, s25
	s_lshl_b64 s[0:1], s[28:29], 2
	v_mul_u32_u24_e32 v27, 0x60, v4
	v_cmp_eq_u32_e32 vcc, 0, v4
	v_lshlrev_b32_e32 v4, 2, v5
	s_add_u32 s0, s26, s0
	v_mbcnt_hi_u32_b32 v29, -1, v8
	v_and_b32_e32 v2, 8, v1
	v_lshl_or_b32 v4, v24, 7, v4
	s_addc_u32 s1, s27, s1
	v_and_b32_e32 v8, 64, v29
	s_mov_b32 s41, s13
	v_lshl_add_u64 v[2:3], v[10:11], 0, v[2:3]
	v_cmp_neq_f32_e64 s[6:7], s10, 0
	v_add3_u32 v30, s40, v25, v5
	v_add_u32_e32 v31, 0xd0, v4
	v_lshl_add_u64 v[4:5], v[6:7], 2, s[0:1]
	s_mov_b64 s[36:37], 0
	v_mov_b32_e32 v26, 0xff7fffff
	s_movk_i32 s42, 0x1000
	v_xor_b32_e32 v32, 1, v29
	v_add_u32_e32 v28, 64, v8
	v_mov_b32_e32 v33, v6
	s_branch .LBB120_10
.LBB120_9:                              ;   in Loop: Header=BB120_10 Depth=1
	s_or_b64 exec, exec, s[38:39]
	v_add_u32_e32 v33, 2, v33
	v_cmp_le_i32_e64 s[0:1], s33, v33
	v_add_u32_e32 v30, 64, v30
	v_add_u32_e32 v31, 0x100, v31
	s_or_b64 s[36:37], s[0:1], s[36:37]
	v_lshl_add_u64 v[4:5], v[4:5], 0, 8
	s_andn2_b64 exec, exec, s[36:37]
	s_cbranch_execz .LBB120_12
.LBB120_10:                             ; =>This Inner Loop Header: Depth=1
	global_load_dword v8, v[4:5], off
	s_waitcnt vmcnt(0) lgkmcnt(0)
	v_mad_i64_i32 v[8:9], s[0:1], v8, s41, 0
	v_lshl_add_u64 v[8:9], v[8:9], 1, v[2:3]
	global_load_dwordx2 v[36:37], v[8:9], off
	global_load_dwordx2 v[40:41], v[8:9], off offset:512
	global_load_dwordx2 v[42:43], v[8:9], off offset:1024
	;; [unrolled: 1-line block ×7, first 2 shown]
	v_add_co_u32_e64 v34, s[0:1], s42, v8
	s_waitcnt vmcnt(7)
	v_lshrrev_b32_e32 v51, 16, v36
	v_addc_co_u32_e64 v35, s[0:1], 0, v9, s[0:1]
	global_load_dwordx2 v[14:15], v[34:35], off
	global_load_dwordx2 v[12:13], v[34:35], off offset:512
	ds_read_b64 v[8:9], v27
	v_and_b32_e32 v52, 0xffff, v36
	v_lshrrev_b32_e32 v53, 16, v37
	v_and_b32_e32 v54, 0xffff, v37
	s_waitcnt vmcnt(2)
	v_lshrrev_b32_e32 v60, 16, v16
	s_waitcnt lgkmcnt(0)
	v_lshrrev_b32_e32 v38, 16, v8
	v_and_b32_e32 v39, 0xffff, v8
	v_lshrrev_b32_e32 v48, 16, v9
	v_and_b32_e32 v50, 0xffff, v9
	global_load_dwordx2 v[10:11], v[34:35], off offset:1024
	global_load_dwordx2 v[8:9], v[34:35], off offset:1536
	;;#ASMSTART
	v_cvt_f32_f16 v34, v39;
	;;#ASMEND
	;;#ASMSTART
	v_cvt_f32_f16 v35, v38;
	;;#ASMEND
	v_and_b32_e32 v61, 0xffff, v16
	v_lshrrev_b32_e32 v62, 16, v17
	v_and_b32_e32 v63, 0xffff, v17
	;;#ASMSTART
	v_cvt_f32_f16 v52, v52;
	;;#ASMEND
	;;#ASMSTART
	v_cvt_f32_f16 v51, v51;
	;;#ASMEND
	;; [unrolled: 3-line block ×6, first 2 shown]
	ds_read_b64 v[16:17], v27 offset:8
	v_lshrrev_b32_e32 v36, 16, v40
	v_and_b32_e32 v37, 0xffff, v40
	v_lshrrev_b32_e32 v39, 16, v41
	v_and_b32_e32 v41, 0xffff, v41
	;; [unrolled: 2-line block ×12, first 2 shown]
	v_cmp_lt_i32_e64 s[0:1], v32, v28
	s_waitcnt vmcnt(3)
	v_lshrrev_b32_e32 v64, 16, v14
	v_and_b32_e32 v65, 0xffff, v14
	v_lshrrev_b32_e32 v66, 16, v15
	v_and_b32_e32 v67, 0xffff, v15
	s_waitcnt lgkmcnt(0)
	v_and_b32_e32 v14, 0xffff, v16
	v_lshrrev_b32_e32 v15, 16, v16
	v_lshrrev_b32_e32 v16, 16, v17
	v_and_b32_e32 v17, 0xffff, v17
	;;#ASMSTART
	v_cvt_f32_f16 v69, v14;
	;;#ASMEND
	;;#ASMSTART
	v_cvt_f32_f16 v70, v15;
	;;#ASMEND
	;; [unrolled: 3-line block ×8, first 2 shown]
	ds_read_b64 v[14:15], v27 offset:16
	v_mul_f32_e32 v37, v69, v37
	v_mul_f32_e32 v36, v70, v36
	v_fmac_f32_e32 v37, v34, v52
	v_fmac_f32_e32 v36, v35, v51
	s_waitcnt lgkmcnt(0)
	v_lshrrev_b32_e32 v34, 16, v14
	v_and_b32_e32 v14, 0xffff, v14
	v_lshrrev_b32_e32 v35, 16, v15
	v_and_b32_e32 v15, 0xffff, v15
	v_mul_f32_e32 v17, v17, v41
	v_mul_f32_e32 v16, v16, v39
	;;#ASMSTART
	v_cvt_f32_f16 v39, v14;
	;;#ASMEND
	;;#ASMSTART
	v_cvt_f32_f16 v34, v34;
	;;#ASMEND
	;;#ASMSTART
	v_cvt_f32_f16 v40, v40;
	;;#ASMEND
	;;#ASMSTART
	v_cvt_f32_f16 v38, v38;
	;;#ASMEND
	;;#ASMSTART
	v_cvt_f32_f16 v41, v15;
	;;#ASMEND
	;;#ASMSTART
	v_cvt_f32_f16 v35, v35;
	;;#ASMEND
	;;#ASMSTART
	v_cvt_f32_f16 v44, v44;
	;;#ASMEND
	;;#ASMSTART
	v_cvt_f32_f16 v42, v42;
	;;#ASMEND
	ds_read_b64 v[14:15], v27 offset:24
	v_fmac_f32_e32 v16, v48, v53
	v_fmac_f32_e32 v17, v50, v54
	;; [unrolled: 1-line block ×4, first 2 shown]
	s_waitcnt lgkmcnt(0)
	v_lshrrev_b32_e32 v34, 16, v14
	v_and_b32_e32 v14, 0xffff, v14
	v_lshrrev_b32_e32 v35, 16, v15
	v_and_b32_e32 v15, 0xffff, v15
	v_fmac_f32_e32 v37, v39, v40
	v_fmac_f32_e32 v17, v41, v44
	;;#ASMSTART
	v_cvt_f32_f16 v38, v14;
	;;#ASMEND
	;;#ASMSTART
	v_cvt_f32_f16 v34, v34;
	;;#ASMEND
	;;#ASMSTART
	v_cvt_f32_f16 v39, v45;
	;;#ASMEND
	;;#ASMSTART
	v_cvt_f32_f16 v40, v43;
	;;#ASMEND
	;;#ASMSTART
	v_cvt_f32_f16 v41, v15;
	;;#ASMEND
	;;#ASMSTART
	v_cvt_f32_f16 v35, v35;
	;;#ASMEND
	;;#ASMSTART
	v_cvt_f32_f16 v42, v49;
	;;#ASMEND
	;;#ASMSTART
	v_cvt_f32_f16 v43, v46;
	;;#ASMEND
	ds_read_b64 v[14:15], v27 offset:32
	v_fmac_f32_e32 v36, v34, v40
	v_fmac_f32_e32 v16, v35, v43
	v_fmac_f32_e32 v37, v38, v39
	v_fmac_f32_e32 v17, v41, v42
	s_waitcnt lgkmcnt(0)
	v_lshrrev_b32_e32 v34, 16, v14
	v_and_b32_e32 v14, 0xffff, v14
	v_lshrrev_b32_e32 v35, 16, v15
	v_and_b32_e32 v15, 0xffff, v15
	;;#ASMSTART
	v_cvt_f32_f16 v38, v14;
	;;#ASMEND
	;;#ASMSTART
	v_cvt_f32_f16 v34, v34;
	;;#ASMEND
	;;#ASMSTART
	v_cvt_f32_f16 v22, v22;
	;;#ASMEND
	;;#ASMSTART
	v_cvt_f32_f16 v39, v47;
	;;#ASMEND
	;;#ASMSTART
	v_cvt_f32_f16 v40, v15;
	;;#ASMEND
	;;#ASMSTART
	v_cvt_f32_f16 v35, v35;
	;;#ASMEND
	;;#ASMSTART
	v_cvt_f32_f16 v23, v23;
	;;#ASMEND
	;;#ASMSTART
	v_cvt_f32_f16 v41, v55;
	;;#ASMEND
	ds_read_b64 v[14:15], v27 offset:40
	v_fmac_f32_e32 v37, v38, v22
	v_fmac_f32_e32 v17, v40, v23
	v_fmac_f32_e32 v36, v34, v39
	v_fmac_f32_e32 v16, v35, v41
	s_waitcnt lgkmcnt(0)
	v_lshrrev_b32_e32 v22, 16, v14
	v_and_b32_e32 v14, 0xffff, v14
	v_lshrrev_b32_e32 v23, 16, v15
	v_and_b32_e32 v15, 0xffff, v15
	;; [unrolled: 34-line block ×5, first 2 shown]
	;;#ASMSTART
	v_cvt_f32_f16 v20, v14;
	;;#ASMEND
	;;#ASMSTART
	v_cvt_f32_f16 v18, v18;
	;;#ASMEND
	;; [unrolled: 3-line block ×8, first 2 shown]
	ds_read_b64 v[14:15], v27 offset:72
	s_waitcnt vmcnt(2)
	v_lshrrev_b32_e32 v68, 16, v12
	v_and_b32_e32 v12, 0xffff, v12
	v_fmac_f32_e32 v36, v18, v22
	v_fmac_f32_e32 v16, v19, v35
	s_waitcnt lgkmcnt(0)
	v_lshrrev_b32_e32 v18, 16, v14
	v_and_b32_e32 v14, 0xffff, v14
	;;#ASMSTART
	v_cvt_f32_f16 v14, v14;
	;;#ASMEND
	;;#ASMSTART
	v_cvt_f32_f16 v18, v18;
	;;#ASMEND
	;; [unrolled: 3-line block ×3, first 2 shown]
	v_lshrrev_b32_e32 v12, 16, v15
	v_and_b32_e32 v15, 0xffff, v15
	v_fmac_f32_e32 v37, v20, v21
	;;#ASMSTART
	v_cvt_f32_f16 v20, v68;
	;;#ASMEND
	;;#ASMSTART
	v_cvt_f32_f16 v15, v15;
	;;#ASMEND
	;; [unrolled: 3-line block ×3, first 2 shown]
	v_lshrrev_b32_e32 v12, 16, v13
	v_and_b32_e32 v13, 0xffff, v13
	v_fmac_f32_e32 v17, v23, v34
	;;#ASMSTART
	v_cvt_f32_f16 v22, v13;
	;;#ASMEND
	;;#ASMSTART
	v_cvt_f32_f16 v23, v12;
	;;#ASMEND
	ds_read_b64 v[12:13], v27 offset:80
	v_fmac_f32_e32 v37, v14, v19
	v_fmac_f32_e32 v17, v15, v22
	s_waitcnt vmcnt(1)
	v_lshrrev_b32_e32 v15, 16, v10
	v_and_b32_e32 v10, 0xffff, v10
	s_waitcnt lgkmcnt(0)
	v_lshrrev_b32_e32 v14, 16, v12
	v_and_b32_e32 v12, 0xffff, v12
	v_fmac_f32_e32 v36, v18, v20
	;;#ASMSTART
	v_cvt_f32_f16 v12, v12;
	;;#ASMEND
	;;#ASMSTART
	v_cvt_f32_f16 v14, v14;
	;;#ASMEND
	;; [unrolled: 3-line block ×3, first 2 shown]
	v_lshrrev_b32_e32 v10, 16, v13
	v_and_b32_e32 v13, 0xffff, v13
	;;#ASMSTART
	v_cvt_f32_f16 v15, v15;
	;;#ASMEND
	;;#ASMSTART
	v_cvt_f32_f16 v13, v13;
	;;#ASMEND
	;; [unrolled: 3-line block ×3, first 2 shown]
	v_lshrrev_b32_e32 v10, 16, v11
	v_and_b32_e32 v11, 0xffff, v11
	v_fmac_f32_e32 v16, v21, v23
	;;#ASMSTART
	v_cvt_f32_f16 v20, v11;
	;;#ASMEND
	;;#ASMSTART
	v_cvt_f32_f16 v21, v10;
	;;#ASMEND
	ds_read_b64 v[10:11], v27 offset:88
	v_fmac_f32_e32 v37, v12, v18
	v_fmac_f32_e32 v17, v13, v20
	s_waitcnt vmcnt(0)
	v_lshrrev_b32_e32 v13, 16, v8
	v_and_b32_e32 v8, 0xffff, v8
	s_waitcnt lgkmcnt(0)
	v_lshrrev_b32_e32 v12, 16, v10
	v_and_b32_e32 v10, 0xffff, v10
	;;#ASMSTART
	v_cvt_f32_f16 v10, v10;
	;;#ASMEND
	;;#ASMSTART
	v_cvt_f32_f16 v12, v12;
	;;#ASMEND
	;; [unrolled: 3-line block ×3, first 2 shown]
	v_fmac_f32_e32 v36, v14, v15
	v_fmac_f32_e32 v37, v10, v8
	v_lshrrev_b32_e32 v8, 16, v11
	v_and_b32_e32 v10, 0xffff, v11
	v_fmac_f32_e32 v16, v19, v21
	;;#ASMSTART
	v_cvt_f32_f16 v13, v13;
	;;#ASMEND
	;;#ASMSTART
	v_cvt_f32_f16 v10, v10;
	;;#ASMEND
	;; [unrolled: 3-line block ×3, first 2 shown]
	v_lshrrev_b32_e32 v11, 16, v9
	v_fmac_f32_e32 v36, v12, v13
	v_and_b32_e32 v9, 0xffff, v9
	;;#ASMSTART
	v_cvt_f32_f16 v9, v9;
	;;#ASMEND
	;;#ASMSTART
	v_cvt_f32_f16 v11, v11;
	;;#ASMEND
	s_nop 0
	v_fmac_f32_e32 v17, v10, v9
	v_fmac_f32_e32 v16, v8, v11
	v_add_f32_e32 v8, v37, v36
	v_add_f32_e32 v8, v8, v17
	v_cndmask_b32_e64 v9, v29, v32, s[0:1]
	v_add_f32_e32 v8, v16, v8
	v_lshlrev_b32_e32 v9, 2, v9
	ds_bpermute_b32 v9, v9, v8
	s_and_saveexec_b64 s[38:39], vcc
	s_cbranch_execz .LBB120_9
; %bb.11:                               ;   in Loop: Header=BB120_10 Depth=1
	v_add_u32_e32 v10, s15, v30
	v_cvt_f32_i32_e32 v10, v10
	s_waitcnt lgkmcnt(0)
	v_add_f32_e32 v8, v8, v9
	v_cmp_gt_i32_e64 s[0:1], s25, v30
	v_max_f32_e32 v9, v26, v26
	v_mul_f32_e32 v10, s10, v10
	v_cndmask_b32_e64 v10, 0, v10, s[6:7]
	v_fmac_f32_e32 v10, s11, v8
	v_cndmask_b32_e64 v8, 0, v10, s[0:1]
	ds_write_b32 v31, v8
	v_max_f32_e32 v8, v9, v10
	v_cndmask_b32_e64 v26, v26, v8, s[0:1]
	s_branch .LBB120_9
.LBB120_12:
	s_or_b64 exec, exec, s[36:37]
.LBB120_13:
	s_or_b64 exec, exec, s[34:35]
	v_xor_b32_e32 v2, 32, v29
	v_cmp_lt_i32_e32 vcc, v2, v28
	v_xor_b32_e32 v5, 16, v29
	v_max_f32_e32 v4, v26, v26
	v_cndmask_b32_e32 v2, v29, v2, vcc
	v_lshlrev_b32_e32 v2, 2, v2
	ds_bpermute_b32 v3, v2, v26
	v_cmp_lt_i32_e32 vcc, v5, v28
	v_xor_b32_e32 v8, 8, v29
	s_waitcnt lgkmcnt(0)
	v_xor_b32_e32 v9, 4, v29
	v_xor_b32_e32 v10, 2, v29
	v_max_f32_e32 v3, v3, v3
	v_max_f32_e32 v4, v4, v3
	v_cndmask_b32_e32 v3, v29, v5, vcc
	v_lshlrev_b32_e32 v3, 2, v3
	ds_bpermute_b32 v5, v3, v4
	v_cmp_lt_i32_e32 vcc, v8, v28
	v_and_b32_e32 v26, 63, v0
	s_waitcnt lgkmcnt(0)
	v_max_f32_e32 v5, v5, v5
	v_max_f32_e32 v4, v4, v5
	v_cndmask_b32_e32 v5, v29, v8, vcc
	v_lshlrev_b32_e32 v5, 2, v5
	ds_bpermute_b32 v8, v5, v4
	v_cmp_lt_i32_e32 vcc, v9, v28
	s_waitcnt lgkmcnt(0)
	v_max_f32_e32 v8, v8, v8
	v_max_f32_e32 v4, v4, v8
	v_cndmask_b32_e32 v8, v29, v9, vcc
	v_lshlrev_b32_e32 v8, 2, v8
	ds_bpermute_b32 v9, v8, v4
	v_cmp_lt_i32_e32 vcc, v10, v28
	s_waitcnt lgkmcnt(0)
	v_max_f32_e32 v9, v9, v9
	v_max_f32_e32 v4, v4, v9
	v_cndmask_b32_e32 v9, v29, v10, vcc
	v_lshlrev_b32_e32 v27, 2, v9
	ds_bpermute_b32 v10, v27, v4
	v_cmp_eq_u32_e32 vcc, 0, v26
	v_lshlrev_b32_e32 v9, 2, v24
	s_and_saveexec_b64 s[0:1], vcc
	s_cbranch_execz .LBB120_15
; %bb.14:
	s_waitcnt lgkmcnt(0)
	v_max_f32_e32 v10, v10, v10
	v_max_f32_e32 v4, v4, v4
	;; [unrolled: 1-line block ×3, first 2 shown]
	ds_write_b32 v9, v4 offset:192
.LBB120_15:
	s_or_b64 exec, exec, s[0:1]
	v_cmp_gt_u32_e64 s[0:1], 2, v26
	v_mov_b32_e32 v4, 0xff7fffff
	s_waitcnt lgkmcnt(0)
	v_lshlrev_b32_e32 v10, 2, v26
	s_barrier
	s_and_saveexec_b64 s[6:7], s[0:1]
	s_cbranch_execz .LBB120_17
; %bb.16:
	ds_read_b32 v4, v10 offset:192
.LBB120_17:
	s_or_b64 exec, exec, s[6:7]
	v_xor_b32_e32 v11, 1, v29
	v_cmp_lt_i32_e64 s[6:7], v11, v28
	s_sub_i32 s3, s33, s3
	s_lshl_b32 s3, s3, 5
	v_cndmask_b32_e64 v11, v29, v11, s[6:7]
	v_lshlrev_b32_e32 v28, 2, v11
	s_waitcnt lgkmcnt(0)
	ds_bpermute_b32 v11, v28, v4
	v_max_f32_e32 v4, v4, v4
	s_add_i32 s3, s3, s40
	s_min_i32 s15, s3, s25
	s_sub_i32 s3, s15, s40
	s_waitcnt lgkmcnt(0)
	v_max_f32_e32 v11, v11, v11
	v_max_f32_e32 v4, v4, v11
	v_lshlrev_b32_e32 v11, 2, v29
	v_and_b32_e32 v11, 0xffffff00, v11
	ds_bpermute_b32 v4, v11, v4
	v_cmp_gt_i32_e64 s[6:7], s3, v0
	v_mov_b32_e32 v12, 0
	s_and_saveexec_b64 s[34:35], s[6:7]
	s_cbranch_execz .LBB120_21
; %bb.18:
	v_mov_b32_e32 v12, 0xd0
	v_lshl_add_u32 v13, v0, 2, v12
	s_mov_b64 s[36:37], 0
	v_mov_b32_e32 v12, 0
	v_mov_b32_e32 v14, v0
.LBB120_19:                             ; =>This Inner Loop Header: Depth=1
	ds_read_b32 v15, v13
	v_add_u32_e32 v14, 0x80, v14
	v_cmp_le_i32_e64 s[10:11], s3, v14
	s_or_b64 s[36:37], s[10:11], s[36:37]
	s_waitcnt lgkmcnt(0)
	v_sub_f32_e32 v15, v15, v4
	v_mul_f32_e32 v15, 0x3fb8aa3b, v15
	v_exp_f32_e32 v15, v15
	ds_write_b32 v13, v15
	v_add_f32_e32 v12, v12, v15
	v_add_u32_e32 v13, 0x200, v13
	s_andn2_b64 exec, exec, s[36:37]
	s_cbranch_execnz .LBB120_19
; %bb.20:
	s_or_b64 exec, exec, s[36:37]
.LBB120_21:
	s_or_b64 exec, exec, s[34:35]
	ds_bpermute_b32 v2, v2, v12
	s_waitcnt lgkmcnt(0)
	v_add_f32_e32 v2, v12, v2
	ds_bpermute_b32 v3, v3, v2
	s_waitcnt lgkmcnt(0)
	v_add_f32_e32 v2, v2, v3
	ds_bpermute_b32 v3, v5, v2
	s_waitcnt lgkmcnt(0)
	v_add_f32_e32 v2, v2, v3
	ds_bpermute_b32 v3, v8, v2
	s_waitcnt lgkmcnt(0)
	v_add_f32_e32 v2, v2, v3
	ds_bpermute_b32 v3, v27, v2
	s_waitcnt lgkmcnt(0)
	v_add_f32_e32 v2, v2, v3
	ds_bpermute_b32 v3, v28, v2
	s_waitcnt lgkmcnt(0)
	v_add_f32_e32 v2, v2, v3
	s_and_saveexec_b64 s[10:11], vcc
	s_cbranch_execz .LBB120_23
; %bb.22:
	ds_write_b32 v9, v2 offset:200
.LBB120_23:
	s_or_b64 exec, exec, s[10:11]
	s_waitcnt lgkmcnt(0)
	s_barrier
	s_and_saveexec_b64 s[10:11], s[0:1]
	s_cbranch_execz .LBB120_25
; %bb.24:
	ds_read_b32 v2, v10 offset:200
.LBB120_25:
	s_or_b64 exec, exec, s[10:11]
	s_waitcnt lgkmcnt(0)
	ds_bpermute_b32 v3, v28, v2
	s_waitcnt lgkmcnt(0)
	v_add_f32_e32 v2, v2, v3
	ds_bpermute_b32 v5, v11, v2
	s_and_saveexec_b64 s[0:1], s[6:7]
	s_cbranch_execz .LBB120_38
; %bb.26:
	s_waitcnt lgkmcnt(0)
	v_add_f32_e32 v2, 0x358637bd, v5
	v_div_scale_f32 v3, s[6:7], v2, v2, 1.0
	v_rcp_f32_e32 v8, v3
	v_div_scale_f32 v9, vcc, 1.0, v2, 1.0
	s_movk_i32 s6, 0x7f
	v_fma_f32 v10, -v3, v8, 1.0
	v_fmac_f32_e32 v8, v10, v8
	v_mul_f32_e32 v10, v9, v8
	v_fma_f32 v11, -v3, v10, v9
	v_fmac_f32_e32 v10, v11, v8
	v_fma_f32 v3, -v3, v10, v9
	v_div_fmas_f32 v3, v3, v8, v10
	v_div_fixup_f32 v2, v3, v2, 1.0
	v_xad_u32 v3, v0, -1, s15
	v_subrev_u32_e32 v8, s40, v3
	v_cmp_lt_u32_e32 vcc, s6, v8
	s_mov_b64 s[10:11], -1
	v_mov_b32_e32 v3, v0
	s_and_saveexec_b64 s[6:7], vcc
	s_cbranch_execz .LBB120_35
; %bb.27:
	v_lshrrev_b32_e32 v8, 7, v8
	v_add_u32_e32 v10, -1, v8
	v_lshrrev_b32_e32 v9, 1, v10
	v_mov_b32_e32 v3, v2
	v_add_u32_e32 v9, 1, v9
	v_cmp_lt_u32_e32 vcc, 13, v10
	v_mov_b32_e32 v12, 0
	s_and_saveexec_b64 s[10:11], vcc
	s_cbranch_execz .LBB120_31
; %bb.28:
	v_mov_b32_e32 v11, 0xd0
	v_and_b32_e32 v10, -8, v9
	v_lshl_add_u32 v11, v0, 2, v11
	s_mov_b32 s15, 0
	s_mov_b64 s[34:35], 0
.LBB120_29:                             ; =>This Inner Loop Header: Depth=1
	ds_read2st64_b32 v[12:13], v11 offset1:2
	ds_read2st64_b32 v[14:15], v11 offset0:4 offset1:6
	ds_read2st64_b32 v[16:17], v11 offset0:8 offset1:10
	ds_read2st64_b32 v[18:19], v11 offset0:12 offset1:14
	v_add_u32_e32 v10, -8, v10
	s_waitcnt lgkmcnt(3)
	v_pk_mul_f32 v[12:13], v[2:3], v[12:13]
	s_waitcnt lgkmcnt(2)
	v_pk_mul_f32 v[14:15], v[2:3], v[14:15]
	ds_write2st64_b32 v11, v12, v13 offset1:2
	ds_write2st64_b32 v11, v14, v15 offset0:4 offset1:6
	ds_read2st64_b32 v[14:15], v11 offset0:16 offset1:18
	s_waitcnt lgkmcnt(4)
	v_pk_mul_f32 v[12:13], v[2:3], v[16:17]
	ds_write2st64_b32 v11, v12, v13 offset0:8 offset1:10
	s_waitcnt lgkmcnt(4)
	v_pk_mul_f32 v[12:13], v[2:3], v[18:19]
	ds_write2st64_b32 v11, v12, v13 offset0:12 offset1:14
	ds_read2st64_b32 v[12:13], v11 offset0:20 offset1:22
	s_waitcnt lgkmcnt(3)
	v_pk_mul_f32 v[14:15], v[2:3], v[14:15]
	ds_read2st64_b32 v[16:17], v11 offset0:24 offset1:26
	ds_write2st64_b32 v11, v14, v15 offset0:16 offset1:18
	ds_read2st64_b32 v[14:15], v11 offset0:28 offset1:30
	s_waitcnt lgkmcnt(3)
	v_pk_mul_f32 v[12:13], v[2:3], v[12:13]
	ds_write2st64_b32 v11, v12, v13 offset0:20 offset1:22
	s_waitcnt lgkmcnt(3)
	v_pk_mul_f32 v[12:13], v[2:3], v[16:17]
	ds_write2st64_b32 v11, v12, v13 offset0:24 offset1:26
	s_waitcnt lgkmcnt(2)
	v_pk_mul_f32 v[12:13], v[2:3], v[14:15]
	s_add_i32 s15, s15, 16
	v_cmp_eq_u32_e32 vcc, 0, v10
	ds_write2st64_b32 v11, v12, v13 offset0:28 offset1:30
	v_add_u32_e32 v11, 0x2000, v11
	s_or_b64 s[34:35], vcc, s[34:35]
	v_mov_b32_e32 v12, s15
	s_andn2_b64 exec, exec, s[34:35]
	s_cbranch_execnz .LBB120_29
; %bb.30:
	s_or_b64 exec, exec, s[34:35]
.LBB120_31:
	s_or_b64 exec, exec, s[10:11]
	v_and_b32_e32 v9, 7, v9
	v_cmp_ne_u32_e32 vcc, 0, v9
	s_and_saveexec_b64 s[10:11], vcc
	s_cbranch_execz .LBB120_34
; %bb.32:
	v_lshlrev_b32_e32 v10, 9, v12
	v_lshlrev_b32_e32 v11, 2, v0
	s_movk_i32 s15, 0xd0
	v_add3_u32 v10, v10, v11, s15
	s_mov_b64 s[34:35], 0
.LBB120_33:                             ; =>This Inner Loop Header: Depth=1
	ds_read2st64_b32 v[12:13], v10 offset1:2
	v_add_u32_e32 v9, -1, v9
	v_cmp_eq_u32_e32 vcc, 0, v9
	s_or_b64 s[34:35], vcc, s[34:35]
	s_waitcnt lgkmcnt(0)
	v_pk_mul_f32 v[12:13], v[2:3], v[12:13]
	ds_write2st64_b32 v10, v12, v13 offset1:2
	v_add_u32_e32 v10, 0x400, v10
	s_andn2_b64 exec, exec, s[34:35]
	s_cbranch_execnz .LBB120_33
.LBB120_34:
	s_or_b64 exec, exec, s[10:11]
	v_add_u32_e32 v8, 1, v8
	v_and_b32_e32 v9, 0x3fffffe, v8
	v_cmp_ne_u32_e32 vcc, v8, v9
	v_lshl_add_u32 v3, v9, 7, v0
	s_orn2_b64 s[10:11], vcc, exec
.LBB120_35:
	s_or_b64 exec, exec, s[6:7]
	s_and_b64 exec, exec, s[10:11]
	s_cbranch_execz .LBB120_38
; %bb.36:
	v_mov_b32_e32 v8, 0xd0
	v_lshl_add_u32 v8, v3, 2, v8
	s_mov_b64 s[6:7], 0
.LBB120_37:                             ; =>This Inner Loop Header: Depth=1
	ds_read_b32 v9, v8
	v_add_u32_e32 v3, 0x80, v3
	v_cmp_le_i32_e32 vcc, s3, v3
	s_or_b64 s[6:7], vcc, s[6:7]
	s_waitcnt lgkmcnt(0)
	v_mul_f32_e32 v9, v2, v9
	ds_write_b32 v8, v9
	v_add_u32_e32 v8, 0x200, v8
	s_andn2_b64 exec, exec, s[6:7]
	s_cbranch_execnz .LBB120_37
.LBB120_38:
	s_or_b64 exec, exec, s[0:1]
	s_mul_i32 s0, s21, s24
	v_cmp_eq_u32_e32 vcc, 0, v0
	s_mul_i32 s6, s0, s5
	s_waitcnt lgkmcnt(0)
	s_barrier
	s_and_saveexec_b64 s[0:1], vcc
	s_cbranch_execz .LBB120_40
; %bb.39:
	s_ashr_i32 s7, s6, 31
	s_lshl_b64 s[10:11], s[6:7], 2
	s_add_u32 s5, s18, s10
	s_mul_i32 s2, s21, s2
	s_addc_u32 s7, s19, s11
	s_ashr_i32 s3, s2, 31
	s_lshl_b64 s[2:3], s[2:3], 2
	s_add_u32 s15, s5, s2
	s_addc_u32 s7, s7, s3
	s_ashr_i32 s5, s4, 31
	s_lshl_b64 s[18:19], s[4:5], 2
	s_add_u32 s34, s15, s18
	s_addc_u32 s35, s7, s19
	s_add_u32 s5, s16, s10
	s_addc_u32 s7, s17, s11
	;; [unrolled: 2-line block ×3, first 2 shown]
	s_add_u32 s2, s2, s18
	v_mov_b32_e32 v2, 0
	s_addc_u32 s3, s3, s19
	global_store_dword v2, v4, s[34:35]
	global_store_dword v2, v5, s[2:3]
.LBB120_40:
	s_or_b64 exec, exec, s[0:1]
	v_mov_b32_e32 v9, 0
	v_and_b32_e32 v29, 3, v0
	v_mov_b32_e32 v8, 0
	v_mov_b32_e32 v11, 0
	v_mov_b32_e32 v10, 0
	v_mov_b32_e32 v13, 0
	v_mov_b32_e32 v12, 0
	s_and_saveexec_b64 s[2:3], s[8:9]
	s_cbranch_execz .LBB120_56
; %bb.41:
	s_ashr_i32 s15, s14, 31
	s_lshl_b64 s[0:1], s[14:15], 1
	s_add_u32 s8, s30, s0
	v_and_b32_e32 v3, 24, v1
	s_addc_u32 s9, s31, s1
	s_add_i32 s7, s12, -1
	s_lshl_b64 s[0:1], s[28:29], 2
	v_and_b32_e32 v2, 0x1f8, v1
	v_add3_u32 v1, s40, v25, v3
	v_lshlrev_b32_e32 v3, 5, v29
	s_add_u32 s0, s26, s0
	v_mov_b32_e32 v15, 0
	v_or_b32_e32 v4, 0x800, v2
	v_or_b32_e32 v8, 0xa00, v2
	v_lshl_or_b32 v3, v24, 7, v3
	s_addc_u32 s1, s27, s1
	s_mov_b32 s5, s13
	s_mov_b32 s14, s25
	;; [unrolled: 1-line block ×8, first 2 shown]
	v_add_u32_e32 v30, 0xd0, v3
	v_lshl_add_u64 v[16:17], v[6:7], 2, s[0:1]
	s_mov_b64 s[10:11], 0
	v_lshlrev_b32_e32 v18, 1, v2
	v_mov_b32_e32 v19, v15
	s_mov_b32 s26, 0x5040100
	v_lshlrev_b32_e32 v14, 1, v4
	v_lshlrev_b32_e32 v20, 1, v8
	v_mov_b32_e32 v12, v15
	v_mov_b32_e32 v13, v15
	;; [unrolled: 1-line block ×6, first 2 shown]
	s_branch .LBB120_43
.LBB120_42:                             ;   in Loop: Header=BB120_43 Depth=1
	s_or_b64 exec, exec, s[0:1]
	s_waitcnt vmcnt(0)
	;;#ASMSTART
	v_pk_mul_f16 v2, v40, v2;

	;;#ASMEND
	;;#ASMSTART
	v_pk_mul_f16 v3, v39, v3;

	;;#ASMEND
	;; [unrolled: 4-line block ×4, first 2 shown]
	v_add_f32_e32 v7, v41, v42
	;;#ASMSTART
	v_pk_add_f16 v2, v2, v3;

	;;#ASMEND
	v_add_f32_e32 v12, v12, v7
	;;#ASMSTART
	v_pk_add_f16 v2, v2, v4;

	;;#ASMEND
	;; [unrolled: 5-line block ×3, first 2 shown]
	v_add_f32_e32 v13, v13, v7
	v_add_f32_e32 v7, v45, v46
	v_lshrrev_b32_e32 v3, 16, v2
	v_and_b32_e32 v2, 0xffff, v2
	v_add_f32_e32 v10, v10, v7
	v_add_f32_e32 v7, v24, v25
	;;#ASMSTART
	v_cvt_f32_f16 v2, v2;
	;;#ASMEND
	v_add_u32_e32 v6, 2, v6
	v_add_f32_e32 v11, v11, v7
	v_add_f32_e32 v7, v47, v48
	;;#ASMSTART
	v_cvt_f32_f16 v3, v3;
	;;#ASMEND
	v_cmp_le_i32_e32 vcc, s33, v6
	v_add_f32_e32 v2, v2, v3
	v_add_f32_e32 v8, v8, v7
	;; [unrolled: 1-line block ×3, first 2 shown]
	v_add_u32_e32 v1, 64, v1
	v_add_u32_e32 v30, 0x100, v30
	s_or_b64 s[10:11], vcc, s[10:11]
	v_lshl_add_u64 v[16:17], v[16:17], 0, 8
	s_andn2_b64 exec, exec, s[10:11]
	s_cbranch_execz .LBB120_55
.LBB120_43:                             ; =>This Inner Loop Header: Depth=1
	global_load_dword v7, v[16:17], off
	ds_read2_b64 v[2:5], v30 offset1:1
	ds_read2_b64 v[22:25], v30 offset0:2 offset1:3
	v_cmp_eq_u32_e32 vcc, s7, v6
	v_or_b32_e32 v32, 3, v1
	s_waitcnt lgkmcnt(1)
	;;#ASMSTART
	v_cvt_f16_f32 v21, v2;

	;;#ASMEND
	;;#ASMSTART
	v_cvt_f16_f32 v35, v3;

	;;#ASMEND
	;; [unrolled: 4-line block ×4, first 2 shown]
	s_waitcnt lgkmcnt(0)
	;;#ASMSTART
	v_cvt_f16_f32 v41, v22;

	;;#ASMEND
	;;#ASMSTART
	v_cvt_f16_f32 v42, v23;

	;;#ASMEND
	;; [unrolled: 4-line block ×4, first 2 shown]
	v_or_b32_e32 v31, 2, v1
	v_or_b32_e32 v34, 5, v1
	;; [unrolled: 1-line block ×5, first 2 shown]
	s_waitcnt vmcnt(0)
	v_mad_i64_i32 v[2:3], s[0:1], v7, s5, 0
	v_lshl_add_u64 v[22:23], v[2:3], 1, s[8:9]
	v_lshl_add_u64 v[24:25], v[22:23], 0, v[18:19]
	global_load_dwordx4 v[2:5], v[24:25], off
	v_add_u32_e32 v7, 1, v1
	s_and_saveexec_b64 s[12:13], vcc
	s_cbranch_execz .LBB120_45
; %bb.44:                               ;   in Loop: Header=BB120_43 Depth=1
	s_waitcnt vmcnt(0)
	v_lshrrev_b32_e32 v40, 16, v5
	v_cmp_gt_i32_e64 s[0:1], s24, v38
	s_nop 1
	v_cndmask_b32_e64 v40, 0, v40, s[0:1]
	v_cmp_gt_i32_e64 s[0:1], s19, v36
	s_nop 1
	v_cndmask_b32_e64 v5, 0, v5, s[0:1]
	v_perm_b32 v5, v40, v5, s26
	v_lshrrev_b32_e32 v40, 16, v4
	v_cmp_gt_i32_e64 s[0:1], s18, v34
	s_nop 1
	v_cndmask_b32_e64 v40, 0, v40, s[0:1]
	v_cmp_gt_i32_e64 s[0:1], s17, v33
	s_nop 1
	v_cndmask_b32_e64 v4, 0, v4, s[0:1]
	v_perm_b32 v4, v40, v4, s26
	;; [unrolled: 8-line block ×4, first 2 shown]
.LBB120_45:                             ;   in Loop: Header=BB120_43 Depth=1
	s_or_b64 exec, exec, s[12:13]
	v_and_b32_e32 v21, 0xffff, v21
	v_lshl_or_b32 v40, v35, 16, v21
	v_and_b32_e32 v21, 0xffff, v37
	v_lshl_or_b32 v39, v39, 16, v21
	;; [unrolled: 2-line block ×3, first 2 shown]
	v_and_b32_e32 v21, 0xffff, v43
	s_waitcnt vmcnt(0)
	;;#ASMSTART
	v_pk_mul_f16 v2, v40, v2;

	;;#ASMEND
	v_lshl_or_b32 v35, v44, 16, v21
	;;#ASMSTART
	v_pk_mul_f16 v3, v39, v3;

	;;#ASMEND
	;;#ASMSTART
	v_pk_mul_f16 v4, v37, v4;

	;;#ASMEND
	;; [unrolled: 4-line block ×3, first 2 shown]
	s_nop 0
	;;#ASMSTART
	v_pk_add_f16 v2, v2, v3;

	;;#ASMEND
	s_nop 0
	;;#ASMSTART
	v_pk_add_f16 v2, v2, v4;

	;;#ASMEND
	;; [unrolled: 5-line block ×3, first 2 shown]
	s_nop 0
	v_lshrrev_b32_e32 v3, 16, v2
	v_and_b32_e32 v2, 0xffff, v2
	;;#ASMSTART
	v_cvt_f32_f16 v41, v2;
	;;#ASMEND
	;;#ASMSTART
	v_cvt_f32_f16 v42, v3;
	;;#ASMEND
	global_load_dwordx4 v[2:5], v[24:25], off offset:1024
	s_and_saveexec_b64 s[12:13], vcc
	s_cbranch_execz .LBB120_47
; %bb.46:                               ;   in Loop: Header=BB120_43 Depth=1
	s_waitcnt vmcnt(0)
	v_lshrrev_b32_e32 v21, 16, v5
	v_cmp_gt_i32_e64 s[0:1], s24, v38
	s_nop 1
	v_cndmask_b32_e64 v21, 0, v21, s[0:1]
	v_cmp_gt_i32_e64 s[0:1], s19, v36
	s_nop 1
	v_cndmask_b32_e64 v5, 0, v5, s[0:1]
	v_perm_b32 v5, v21, v5, s26
	v_lshrrev_b32_e32 v21, 16, v4
	v_cmp_gt_i32_e64 s[0:1], s18, v34
	s_nop 1
	v_cndmask_b32_e64 v21, 0, v21, s[0:1]
	v_cmp_gt_i32_e64 s[0:1], s17, v33
	s_nop 1
	v_cndmask_b32_e64 v4, 0, v4, s[0:1]
	v_perm_b32 v4, v21, v4, s26
	;; [unrolled: 8-line block ×4, first 2 shown]
.LBB120_47:                             ;   in Loop: Header=BB120_43 Depth=1
	s_or_b64 exec, exec, s[12:13]
	s_waitcnt vmcnt(0)
	;;#ASMSTART
	v_pk_mul_f16 v2, v40, v2;

	;;#ASMEND
	;;#ASMSTART
	v_pk_mul_f16 v3, v39, v3;

	;;#ASMEND
	;; [unrolled: 4-line block ×4, first 2 shown]
	s_nop 0
	;;#ASMSTART
	v_pk_add_f16 v2, v2, v3;

	;;#ASMEND
	s_nop 0
	;;#ASMSTART
	v_pk_add_f16 v2, v2, v4;

	;;#ASMEND
	;; [unrolled: 5-line block ×3, first 2 shown]
	s_nop 0
	v_lshrrev_b32_e32 v3, 16, v2
	v_and_b32_e32 v2, 0xffff, v2
	;;#ASMSTART
	v_cvt_f32_f16 v43, v2;
	;;#ASMEND
	;;#ASMSTART
	v_cvt_f32_f16 v44, v3;
	;;#ASMEND
	global_load_dwordx4 v[2:5], v[24:25], off offset:2048
	s_and_saveexec_b64 s[12:13], vcc
	s_cbranch_execz .LBB120_49
; %bb.48:                               ;   in Loop: Header=BB120_43 Depth=1
	s_waitcnt vmcnt(0)
	v_lshrrev_b32_e32 v21, 16, v5
	v_cmp_gt_i32_e64 s[0:1], s24, v38
	s_nop 1
	v_cndmask_b32_e64 v21, 0, v21, s[0:1]
	v_cmp_gt_i32_e64 s[0:1], s19, v36
	s_nop 1
	v_cndmask_b32_e64 v5, 0, v5, s[0:1]
	v_perm_b32 v5, v21, v5, s26
	v_lshrrev_b32_e32 v21, 16, v4
	v_cmp_gt_i32_e64 s[0:1], s18, v34
	s_nop 1
	v_cndmask_b32_e64 v21, 0, v21, s[0:1]
	v_cmp_gt_i32_e64 s[0:1], s17, v33
	s_nop 1
	v_cndmask_b32_e64 v4, 0, v4, s[0:1]
	v_perm_b32 v4, v21, v4, s26
	;; [unrolled: 8-line block ×4, first 2 shown]
.LBB120_49:                             ;   in Loop: Header=BB120_43 Depth=1
	s_or_b64 exec, exec, s[12:13]
	s_waitcnt vmcnt(0)
	;;#ASMSTART
	v_pk_mul_f16 v2, v40, v2;

	;;#ASMEND
	;;#ASMSTART
	v_pk_mul_f16 v3, v39, v3;

	;;#ASMEND
	;; [unrolled: 4-line block ×4, first 2 shown]
	s_nop 0
	;;#ASMSTART
	v_pk_add_f16 v2, v2, v3;

	;;#ASMEND
	s_nop 0
	;;#ASMSTART
	v_pk_add_f16 v2, v2, v4;

	;;#ASMEND
	;; [unrolled: 5-line block ×3, first 2 shown]
	s_nop 0
	v_lshrrev_b32_e32 v3, 16, v2
	v_and_b32_e32 v2, 0xffff, v2
	;;#ASMSTART
	v_cvt_f32_f16 v45, v2;
	;;#ASMEND
	;;#ASMSTART
	v_cvt_f32_f16 v46, v3;
	;;#ASMEND
	global_load_dwordx4 v[2:5], v[24:25], off offset:3072
	s_and_saveexec_b64 s[12:13], vcc
	s_cbranch_execz .LBB120_51
; %bb.50:                               ;   in Loop: Header=BB120_43 Depth=1
	s_waitcnt vmcnt(0)
	v_lshrrev_b32_e32 v21, 16, v5
	v_cmp_gt_i32_e64 s[0:1], s24, v38
	s_nop 1
	v_cndmask_b32_e64 v21, 0, v21, s[0:1]
	v_cmp_gt_i32_e64 s[0:1], s19, v36
	s_nop 1
	v_cndmask_b32_e64 v5, 0, v5, s[0:1]
	v_perm_b32 v5, v21, v5, s26
	v_lshrrev_b32_e32 v21, 16, v4
	v_cmp_gt_i32_e64 s[0:1], s18, v34
	s_nop 1
	v_cndmask_b32_e64 v21, 0, v21, s[0:1]
	v_cmp_gt_i32_e64 s[0:1], s17, v33
	s_nop 1
	v_cndmask_b32_e64 v4, 0, v4, s[0:1]
	v_perm_b32 v4, v21, v4, s26
	;; [unrolled: 8-line block ×4, first 2 shown]
.LBB120_51:                             ;   in Loop: Header=BB120_43 Depth=1
	s_or_b64 exec, exec, s[12:13]
	s_waitcnt vmcnt(0)
	;;#ASMSTART
	v_pk_mul_f16 v2, v40, v2;

	;;#ASMEND
	;;#ASMSTART
	v_pk_mul_f16 v3, v39, v3;

	;;#ASMEND
	;; [unrolled: 4-line block ×4, first 2 shown]
	s_nop 0
	;;#ASMSTART
	v_pk_add_f16 v2, v2, v3;

	;;#ASMEND
	s_nop 0
	;;#ASMSTART
	v_pk_add_f16 v2, v2, v4;

	;;#ASMEND
	;; [unrolled: 5-line block ×3, first 2 shown]
	s_nop 0
	v_lshrrev_b32_e32 v3, 16, v2
	v_and_b32_e32 v2, 0xffff, v2
	;;#ASMSTART
	v_cvt_f32_f16 v24, v2;
	;;#ASMEND
	;;#ASMSTART
	v_cvt_f32_f16 v25, v3;
	;;#ASMEND
	v_lshl_add_u64 v[2:3], v[22:23], 0, v[14:15]
	global_load_dwordx4 v[2:5], v[2:3], off
	s_and_saveexec_b64 s[12:13], vcc
	s_cbranch_execz .LBB120_53
; %bb.52:                               ;   in Loop: Header=BB120_43 Depth=1
	s_waitcnt vmcnt(0)
	v_lshrrev_b32_e32 v21, 16, v5
	v_cmp_gt_i32_e64 s[0:1], s24, v38
	s_nop 1
	v_cndmask_b32_e64 v21, 0, v21, s[0:1]
	v_cmp_gt_i32_e64 s[0:1], s19, v36
	s_nop 1
	v_cndmask_b32_e64 v5, 0, v5, s[0:1]
	v_perm_b32 v5, v21, v5, s26
	v_lshrrev_b32_e32 v21, 16, v4
	v_cmp_gt_i32_e64 s[0:1], s18, v34
	s_nop 1
	v_cndmask_b32_e64 v21, 0, v21, s[0:1]
	v_cmp_gt_i32_e64 s[0:1], s17, v33
	s_nop 1
	v_cndmask_b32_e64 v4, 0, v4, s[0:1]
	v_perm_b32 v4, v21, v4, s26
	;; [unrolled: 8-line block ×4, first 2 shown]
.LBB120_53:                             ;   in Loop: Header=BB120_43 Depth=1
	s_or_b64 exec, exec, s[12:13]
	s_waitcnt vmcnt(0)
	;;#ASMSTART
	v_pk_mul_f16 v2, v40, v2;

	;;#ASMEND
	;;#ASMSTART
	v_pk_mul_f16 v3, v39, v3;

	;;#ASMEND
	;; [unrolled: 4-line block ×4, first 2 shown]
	v_mov_b32_e32 v21, v15
	;;#ASMSTART
	v_pk_add_f16 v2, v2, v3;

	;;#ASMEND
	s_nop 0
	;;#ASMSTART
	v_pk_add_f16 v2, v2, v4;

	;;#ASMEND
	s_nop 0
	;; [unrolled: 5-line block ×3, first 2 shown]
	v_lshrrev_b32_e32 v3, 16, v2
	v_and_b32_e32 v2, 0xffff, v2
	;;#ASMSTART
	v_cvt_f32_f16 v47, v2;
	;;#ASMEND
	;;#ASMSTART
	v_cvt_f32_f16 v48, v3;
	;;#ASMEND
	v_lshl_add_u64 v[2:3], v[22:23], 0, v[20:21]
	global_load_dwordx4 v[2:5], v[2:3], off
	s_and_saveexec_b64 s[0:1], vcc
	s_cbranch_execz .LBB120_42
; %bb.54:                               ;   in Loop: Header=BB120_43 Depth=1
	s_waitcnt vmcnt(0)
	v_lshrrev_b32_e32 v21, 16, v5
	v_cmp_gt_i32_e32 vcc, s24, v38
	s_nop 1
	v_cndmask_b32_e32 v21, 0, v21, vcc
	v_cmp_gt_i32_e32 vcc, s19, v36
	s_nop 1
	v_cndmask_b32_e32 v5, 0, v5, vcc
	v_perm_b32 v5, v21, v5, s26
	v_lshrrev_b32_e32 v21, 16, v4
	v_cmp_gt_i32_e32 vcc, s18, v34
	s_nop 1
	v_cndmask_b32_e32 v21, 0, v21, vcc
	v_cmp_gt_i32_e32 vcc, s17, v33
	s_nop 1
	v_cndmask_b32_e32 v4, 0, v4, vcc
	v_perm_b32 v4, v21, v4, s26
	;; [unrolled: 8-line block ×4, first 2 shown]
	s_branch .LBB120_42
.LBB120_55:
	s_or_b64 exec, exec, s[10:11]
.LBB120_56:
	s_or_b64 exec, exec, s[2:3]
	ds_bpermute_b32 v2, v27, v12
	ds_bpermute_b32 v3, v27, v13
	;; [unrolled: 1-line block ×6, first 2 shown]
	s_waitcnt lgkmcnt(4)
	v_pk_add_f32 v[2:3], v[12:13], v[2:3]
	ds_bpermute_b32 v12, v28, v2
	s_waitcnt lgkmcnt(3)
	v_pk_add_f32 v[4:5], v[10:11], v[4:5]
	ds_bpermute_b32 v13, v28, v3
	;; [unrolled: 3-line block ×3, first 2 shown]
	ds_bpermute_b32 v11, v28, v5
	ds_bpermute_b32 v14, v28, v8
	;; [unrolled: 1-line block ×3, first 2 shown]
	v_and_b32_e32 v1, 0x3c3, v0
	s_waitcnt lgkmcnt(4)
	v_pk_add_f32 v[6:7], v[2:3], v[12:13]
	s_waitcnt lgkmcnt(2)
	v_pk_add_f32 v[4:5], v[4:5], v[10:11]
	v_cmp_eq_u32_e32 vcc, 64, v1
	s_waitcnt lgkmcnt(0)
	v_pk_add_f32 v[2:3], v[8:9], v[14:15]
	s_barrier
	s_and_saveexec_b64 s[0:1], vcc
	s_cbranch_execz .LBB120_58
; %bb.57:
	v_add_u32_e32 v8, 0xd0, v26
	ds_write2_b32 v8, v6, v7 offset1:16
	ds_write2_b32 v8, v4, v5 offset0:32 offset1:48
	ds_write2_b32 v8, v2, v3 offset0:64 offset1:80
.LBB120_58:
	s_or_b64 exec, exec, s[0:1]
	v_cmp_gt_u32_e32 vcc, 64, v0
	s_waitcnt lgkmcnt(0)
	s_barrier
	s_and_saveexec_b64 s[0:1], vcc
	s_cbranch_execz .LBB120_67
; %bb.59:
	v_cmp_eq_u32_e32 vcc, 0, v29
	v_lshrrev_b32_e32 v8, 2, v0
	s_and_saveexec_b64 s[2:3], vcc
	s_cbranch_execnz .LBB120_70
; %bb.60:
	s_or_b64 exec, exec, s[2:3]
	s_and_saveexec_b64 s[2:3], vcc
	s_cbranch_execnz .LBB120_71
.LBB120_61:
	s_or_b64 exec, exec, s[2:3]
	s_and_saveexec_b64 s[2:3], vcc
	s_cbranch_execnz .LBB120_72
.LBB120_62:
	s_or_b64 exec, exec, s[2:3]
	s_and_saveexec_b64 s[2:3], vcc
	s_cbranch_execnz .LBB120_73
.LBB120_63:
	s_or_b64 exec, exec, s[2:3]
	s_and_saveexec_b64 s[2:3], vcc
	s_cbranch_execnz .LBB120_74
.LBB120_64:
	s_or_b64 exec, exec, s[2:3]
	s_and_saveexec_b64 s[2:3], vcc
	s_cbranch_execz .LBB120_66
.LBB120_65:
	v_mov_b32_e32 v9, 0xd0
	v_lshl_add_u32 v8, v8, 2, v9
	ds_read_b32 v8, v8 offset:320
	s_waitcnt lgkmcnt(0)
	v_add_f32_e32 v3, v3, v8
.LBB120_66:
	s_or_b64 exec, exec, s[2:3]
.LBB120_67:
	s_or_b64 exec, exec, s[0:1]
	v_cmp_eq_u32_e32 vcc, 0, v1
	s_barrier
	s_and_saveexec_b64 s[0:1], vcc
	s_cbranch_execz .LBB120_69
; %bb.68:
	s_mul_i32 s0, s6, 0x60
	s_ashr_i32 s1, s0, 31
	s_lshl_b64 s[0:1], s[0:1], 1
	s_add_u32 s2, s22, s0
	s_mul_i32 s0, s21, s20
	s_addc_u32 s3, s23, s1
	s_ashr_i32 s1, s0, 31
	s_lshl_b64 s[0:1], s[0:1], 1
	s_add_u32 s2, s2, s0
	s_mul_i32 s0, s4, 0x60
	s_addc_u32 s3, s3, s1
	s_ashr_i32 s1, s0, 31
	s_lshl_b64 s[0:1], s[0:1], 1
	s_add_u32 s0, s2, s0
	s_addc_u32 s1, s3, s1
	v_lshrrev_b32_e32 v0, 1, v0
	;;#ASMSTART
	v_cvt_f16_f32 v1, v6;

	;;#ASMEND
	global_store_short v0, v1, s[0:1]
	;;#ASMSTART
	v_cvt_f16_f32 v1, v7;

	;;#ASMEND
	global_store_short v0, v1, s[0:1] offset:32
	;;#ASMSTART
	v_cvt_f16_f32 v1, v4;

	;;#ASMEND
	global_store_short v0, v1, s[0:1] offset:64
	;; [unrolled: 5-line block ×5, first 2 shown]
.LBB120_69:
	s_endpgm
.LBB120_70:
	v_mov_b32_e32 v9, 0xd0
	v_lshl_add_u32 v9, v8, 2, v9
	ds_read_b32 v9, v9
	s_waitcnt lgkmcnt(0)
	v_add_f32_e32 v6, v6, v9
	s_or_b64 exec, exec, s[2:3]
	s_and_saveexec_b64 s[2:3], vcc
	s_cbranch_execz .LBB120_61
.LBB120_71:
	v_mov_b32_e32 v9, 0xd0
	v_lshl_add_u32 v9, v8, 2, v9
	ds_read_b32 v9, v9 offset:64
	s_waitcnt lgkmcnt(0)
	v_add_f32_e32 v7, v7, v9
	s_or_b64 exec, exec, s[2:3]
	s_and_saveexec_b64 s[2:3], vcc
	s_cbranch_execz .LBB120_62
.LBB120_72:
	v_mov_b32_e32 v9, 0xd0
	v_lshl_add_u32 v9, v8, 2, v9
	ds_read_b32 v9, v9 offset:128
	s_waitcnt lgkmcnt(0)
	v_add_f32_e32 v4, v4, v9
	s_or_b64 exec, exec, s[2:3]
	s_and_saveexec_b64 s[2:3], vcc
	s_cbranch_execz .LBB120_63
.LBB120_73:
	v_mov_b32_e32 v9, 0xd0
	v_lshl_add_u32 v9, v8, 2, v9
	ds_read_b32 v9, v9 offset:192
	s_waitcnt lgkmcnt(0)
	v_add_f32_e32 v5, v5, v9
	s_or_b64 exec, exec, s[2:3]
	s_and_saveexec_b64 s[2:3], vcc
	s_cbranch_execz .LBB120_64
.LBB120_74:
	v_mov_b32_e32 v9, 0xd0
	v_lshl_add_u32 v9, v8, 2, v9
	ds_read_b32 v9, v9 offset:256
	s_waitcnt lgkmcnt(0)
	v_add_f32_e32 v2, v2, v9
	s_or_b64 exec, exec, s[2:3]
	s_and_saveexec_b64 s[2:3], vcc
	s_cbranch_execnz .LBB120_65
	s_branch .LBB120_66
	.section	.rodata,"a",@progbits
	.p2align	6, 0x0
	.amdhsa_kernel _ZN4vllm25paged_attention_v2_kernelIttLi96ELi32ELi128ELNS_18Fp8KVCacheDataTypeE0ELb0ELi512EEEvPfS2_PT_PKS3_PKT0_S9_ifPKiSB_iPKfiiiSD_SD_iiiii
		.amdhsa_group_segment_fixed_size 208
		.amdhsa_private_segment_fixed_size 0
		.amdhsa_kernarg_size 400
		.amdhsa_user_sgpr_count 2
		.amdhsa_user_sgpr_dispatch_ptr 0
		.amdhsa_user_sgpr_queue_ptr 0
		.amdhsa_user_sgpr_kernarg_segment_ptr 1
		.amdhsa_user_sgpr_dispatch_id 0
		.amdhsa_user_sgpr_kernarg_preload_length 0
		.amdhsa_user_sgpr_kernarg_preload_offset 0
		.amdhsa_user_sgpr_private_segment_size 0
		.amdhsa_uses_dynamic_stack 0
		.amdhsa_enable_private_segment 0
		.amdhsa_system_sgpr_workgroup_id_x 1
		.amdhsa_system_sgpr_workgroup_id_y 1
		.amdhsa_system_sgpr_workgroup_id_z 1
		.amdhsa_system_sgpr_workgroup_info 0
		.amdhsa_system_vgpr_workitem_id 0
		.amdhsa_next_free_vgpr 71
		.amdhsa_next_free_sgpr 43
		.amdhsa_accum_offset 72
		.amdhsa_reserve_vcc 1
		.amdhsa_float_round_mode_32 0
		.amdhsa_float_round_mode_16_64 0
		.amdhsa_float_denorm_mode_32 3
		.amdhsa_float_denorm_mode_16_64 3
		.amdhsa_dx10_clamp 1
		.amdhsa_ieee_mode 1
		.amdhsa_fp16_overflow 0
		.amdhsa_tg_split 0
		.amdhsa_exception_fp_ieee_invalid_op 0
		.amdhsa_exception_fp_denorm_src 0
		.amdhsa_exception_fp_ieee_div_zero 0
		.amdhsa_exception_fp_ieee_overflow 0
		.amdhsa_exception_fp_ieee_underflow 0
		.amdhsa_exception_fp_ieee_inexact 0
		.amdhsa_exception_int_div_zero 0
	.end_amdhsa_kernel
	.section	.text._ZN4vllm25paged_attention_v2_kernelIttLi96ELi32ELi128ELNS_18Fp8KVCacheDataTypeE0ELb0ELi512EEEvPfS2_PT_PKS3_PKT0_S9_ifPKiSB_iPKfiiiSD_SD_iiiii,"axG",@progbits,_ZN4vllm25paged_attention_v2_kernelIttLi96ELi32ELi128ELNS_18Fp8KVCacheDataTypeE0ELb0ELi512EEEvPfS2_PT_PKS3_PKT0_S9_ifPKiSB_iPKfiiiSD_SD_iiiii,comdat
.Lfunc_end120:
	.size	_ZN4vllm25paged_attention_v2_kernelIttLi96ELi32ELi128ELNS_18Fp8KVCacheDataTypeE0ELb0ELi512EEEvPfS2_PT_PKS3_PKT0_S9_ifPKiSB_iPKfiiiSD_SD_iiiii, .Lfunc_end120-_ZN4vllm25paged_attention_v2_kernelIttLi96ELi32ELi128ELNS_18Fp8KVCacheDataTypeE0ELb0ELi512EEEvPfS2_PT_PKS3_PKT0_S9_ifPKiSB_iPKfiiiSD_SD_iiiii
                                        ; -- End function
	.section	.AMDGPU.csdata,"",@progbits
; Kernel info:
; codeLenInByte = 7636
; NumSgprs: 49
; NumVgprs: 71
; NumAgprs: 0
; TotalNumVgprs: 71
; ScratchSize: 0
; MemoryBound: 0
; FloatMode: 240
; IeeeMode: 1
; LDSByteSize: 208 bytes/workgroup (compile time only)
; SGPRBlocks: 6
; VGPRBlocks: 8
; NumSGPRsForWavesPerEU: 49
; NumVGPRsForWavesPerEU: 71
; AccumOffset: 72
; Occupancy: 7
; WaveLimiterHint : 1
; COMPUTE_PGM_RSRC2:SCRATCH_EN: 0
; COMPUTE_PGM_RSRC2:USER_SGPR: 2
; COMPUTE_PGM_RSRC2:TRAP_HANDLER: 0
; COMPUTE_PGM_RSRC2:TGID_X_EN: 1
; COMPUTE_PGM_RSRC2:TGID_Y_EN: 1
; COMPUTE_PGM_RSRC2:TGID_Z_EN: 1
; COMPUTE_PGM_RSRC2:TIDIG_COMP_CNT: 0
; COMPUTE_PGM_RSRC3_GFX90A:ACCUM_OFFSET: 17
; COMPUTE_PGM_RSRC3_GFX90A:TG_SPLIT: 0
	.section	.text._ZN4vllm25paged_attention_v2_kernelIttLi112ELi32ELi128ELNS_18Fp8KVCacheDataTypeE0ELb0ELi512EEEvPfS2_PT_PKS3_PKT0_S9_ifPKiSB_iPKfiiiSD_SD_iiiii,"axG",@progbits,_ZN4vllm25paged_attention_v2_kernelIttLi112ELi32ELi128ELNS_18Fp8KVCacheDataTypeE0ELb0ELi512EEEvPfS2_PT_PKS3_PKT0_S9_ifPKiSB_iPKfiiiSD_SD_iiiii,comdat
	.protected	_ZN4vllm25paged_attention_v2_kernelIttLi112ELi32ELi128ELNS_18Fp8KVCacheDataTypeE0ELb0ELi512EEEvPfS2_PT_PKS3_PKT0_S9_ifPKiSB_iPKfiiiSD_SD_iiiii ; -- Begin function _ZN4vllm25paged_attention_v2_kernelIttLi112ELi32ELi128ELNS_18Fp8KVCacheDataTypeE0ELb0ELi512EEEvPfS2_PT_PKS3_PKT0_S9_ifPKiSB_iPKfiiiSD_SD_iiiii
	.globl	_ZN4vllm25paged_attention_v2_kernelIttLi112ELi32ELi128ELNS_18Fp8KVCacheDataTypeE0ELb0ELi512EEEvPfS2_PT_PKS3_PKT0_S9_ifPKiSB_iPKfiiiSD_SD_iiiii
	.p2align	8
	.type	_ZN4vllm25paged_attention_v2_kernelIttLi112ELi32ELi128ELNS_18Fp8KVCacheDataTypeE0ELb0ELi512EEEvPfS2_PT_PKS3_PKT0_S9_ifPKiSB_iPKfiiiSD_SD_iiiii,@function
_ZN4vllm25paged_attention_v2_kernelIttLi112ELi32ELi128ELNS_18Fp8KVCacheDataTypeE0ELb0ELi512EEEvPfS2_PT_PKS3_PKT0_S9_ifPKiSB_iPKfiiiSD_SD_iiiii: ; @_ZN4vllm25paged_attention_v2_kernelIttLi112ELi32ELi128ELNS_18Fp8KVCacheDataTypeE0ELb0ELi512EEEvPfS2_PT_PKS3_PKT0_S9_ifPKiSB_iPKfiiiSD_SD_iiiii
; %bb.0:
	s_load_dwordx2 s[6:7], s[0:1], 0x40
	s_mov_b32 s24, s3
	s_ashr_i32 s25, s3, 31
	s_lshl_b64 s[8:9], s[24:25], 2
	s_waitcnt lgkmcnt(0)
	s_add_u32 s6, s6, s8
	s_addc_u32 s7, s7, s9
	s_load_dword s25, s[6:7], 0x0
	s_lshl_b32 s40, s4, 9
	s_waitcnt lgkmcnt(0)
	s_cmp_ge_i32 s40, s25
	s_cbranch_scc1 .LBB121_72
; %bb.1:
	s_load_dword s5, s[0:1], 0x90
	s_load_dwordx2 s[10:11], s[0:1], 0x30
	s_waitcnt lgkmcnt(0)
	s_abs_i32 s7, s5
	s_abs_i32 s3, s10
	v_cvt_f32_u32_e32 v1, s3
	s_sub_i32 s8, 0, s3
	s_xor_b32 s6, s5, s10
	s_ashr_i32 s6, s6, 31
	v_rcp_iflag_f32_e32 v1, v1
	s_nop 0
	v_mul_f32_e32 v1, 0x4f7ffffe, v1
	v_cvt_u32_f32_e32 v1, v1
	s_nop 0
	v_readfirstlane_b32 s9, v1
	s_mul_i32 s8, s8, s9
	s_mul_hi_u32 s8, s9, s8
	s_add_i32 s9, s9, s8
	s_mul_hi_u32 s8, s7, s9
	s_mul_i32 s9, s8, s3
	s_sub_i32 s7, s7, s9
	s_add_i32 s10, s8, 1
	s_sub_i32 s9, s7, s3
	s_cmp_ge_u32 s7, s3
	s_cselect_b32 s8, s10, s8
	s_cselect_b32 s7, s9, s7
	s_add_i32 s9, s8, 1
	s_cmp_ge_u32 s7, s3
	s_cselect_b32 s3, s9, s8
	s_xor_b32 s3, s3, s6
	s_sub_i32 s12, s3, s6
	s_abs_i32 s8, s12
	v_cvt_f32_u32_e32 v1, s8
	s_load_dwordx2 s[6:7], s[0:1], 0x50
	s_sub_i32 s3, 0, s8
	s_abs_i32 s9, s2
	v_rcp_iflag_f32_e32 v1, v1
	s_mov_b32 s10, 0
	v_mul_f32_e32 v1, 0x4f7ffffe, v1
	v_cvt_u32_f32_e32 v1, v1
	s_nop 0
	v_readfirstlane_b32 s13, v1
	s_mul_i32 s3, s3, s13
	s_mul_hi_u32 s3, s13, s3
	s_add_i32 s13, s13, s3
	s_waitcnt lgkmcnt(0)
	s_cmp_eq_u64 s[6:7], 0
	s_mul_hi_u32 s16, s9, s13
	s_cbranch_scc1 .LBB121_3
; %bb.2:
	s_ashr_i32 s3, s2, 31
	s_lshl_b64 s[14:15], s[2:3], 2
	s_add_u32 s6, s6, s14
	s_addc_u32 s7, s7, s15
	s_load_dword s10, s[6:7], 0x0
.LBB121_3:
	s_ashr_i32 s18, s12, 31
	s_load_dwordx4 s[12:15], s[0:1], 0x58
	s_ashr_i32 s17, s2, 31
	v_and_b32_e32 v4, 1, v0
	s_movk_i32 s3, 0x70
	s_mul_i32 s20, s2, 0x70
	v_cmp_gt_u32_e32 vcc, 28, v0
	v_lshlrev_b32_e32 v1, 3, v0
	s_and_saveexec_b64 s[6:7], vcc
	s_cbranch_execz .LBB121_5
; %bb.4:
	s_load_dwordx2 s[22:23], s[0:1], 0x18
	s_waitcnt lgkmcnt(0)
	s_mul_i32 s26, s24, s12
	s_ashr_i32 s27, s26, 31
	s_lshl_b64 s[26:27], s[26:27], 1
	v_lshlrev_b32_e32 v5, 2, v0
	s_add_u32 s12, s22, s26
	s_addc_u32 s15, s23, s27
	s_ashr_i32 s21, s20, 31
	s_lshl_b64 s[22:23], s[20:21], 1
	s_add_u32 s22, s12, s22
	s_addc_u32 s23, s15, s23
	global_load_dwordx2 v[2:3], v1, s[22:23]
	v_and_b32_e32 v5, 0xff8, v5
	v_mad_u32_u24 v5, v4, s3, v5
	s_waitcnt vmcnt(0)
	ds_write_b64 v5, v[2:3]
.LBB121_5:
	s_or_b64 exec, exec, s[6:7]
	s_add_i32 s3, s25, 31
	s_ashr_i32 s6, s3, 31
	s_lshr_b32 s6, s6, 27
	s_add_i32 s3, s3, s6
	s_waitcnt lgkmcnt(0)
	s_ashr_i32 s12, s3, 5
	s_lshl_b32 s3, s4, 4
	s_mul_i32 s7, s16, s8
	s_add_i32 s6, s3, 16
	s_sub_i32 s7, s9, s7
	s_min_i32 s33, s6, s12
	s_xor_b32 s6, s17, s18
	s_add_i32 s9, s16, 1
	s_sub_i32 s15, s7, s8
	s_cmp_ge_u32 s7, s8
	s_cselect_b32 s9, s9, s16
	s_cselect_b32 s7, s15, s7
	s_add_i32 s15, s9, 1
	s_cmp_ge_u32 s7, s8
	s_load_dwordx2 s[26:27], s[0:1], 0x38
	s_load_dword s8, s[0:1], 0x48
	v_lshrrev_b32_e32 v28, 6, v0
	s_cselect_b32 s7, s15, s9
	s_xor_b32 s7, s7, s6
	v_or_b32_e32 v6, s3, v28
	s_waitcnt lgkmcnt(0)
	s_mul_i32 s28, s24, s8
	s_sub_i32 s15, s7, s6
	s_ashr_i32 s29, s28, 31
	v_cmp_gt_i32_e64 s[8:9], s33, v6
	v_cmp_le_i32_e32 vcc, s33, v6
	v_mbcnt_lo_u32_b32 v8, -1, 0
	s_barrier
	s_waitcnt lgkmcnt(0)
                                        ; implicit-def: $sgpr36
                                        ; implicit-def: $vgpr33
                                        ; implicit-def: $vgpr32
	s_and_saveexec_b64 s[6:7], vcc
	s_xor_b64 s[6:7], exec, s[6:7]
; %bb.6:
	v_mbcnt_hi_u32_b32 v33, -1, v8
	v_and_b32_e32 v2, 64, v33
	v_add_u32_e32 v32, 64, v2
	s_mov_b32 s36, 0xff7fffff
                                        ; implicit-def: $vgpr4
                                        ; implicit-def: $vgpr8
; %bb.7:
	s_or_saveexec_b64 s[34:35], s[6:7]
	s_load_dwordx4 s[16:19], s[0:1], 0x0
	s_load_dwordx2 s[22:23], s[0:1], 0x10
	s_load_dwordx2 s[30:31], s[0:1], 0x28
	s_load_dword s21, s[0:1], 0x98
	v_mov_b32_e32 v30, s36
	s_mul_i32 s14, s15, s14
	v_ashrrev_i32_e32 v7, 31, v6
	v_lshlrev_b32_e32 v29, 5, v28
	s_xor_b64 exec, exec, s[34:35]
	s_cbranch_execz .LBB121_13
; %bb.8:
	s_load_dwordx2 s[0:1], s[0:1], 0x20
	s_ashr_i32 s15, s14, 31
	s_lshl_b64 s[6:7], s[14:15], 1
	v_bfe_u32 v5, v0, 1, 5
	v_lshlrev_b32_e32 v2, 4, v5
	s_waitcnt lgkmcnt(0)
	s_add_u32 s0, s0, s6
	s_addc_u32 s1, s1, s7
	v_mov_b32_e32 v3, 0
	v_lshl_add_u64 v[10:11], s[0:1], 0, v[2:3]
	s_sub_i32 s15, 1, s25
	s_lshl_b64 s[0:1], s[28:29], 2
	v_mul_u32_u24_e32 v31, 0x70, v4
	v_cmp_eq_u32_e32 vcc, 0, v4
	v_lshlrev_b32_e32 v4, 2, v5
	s_add_u32 s0, s26, s0
	v_mbcnt_hi_u32_b32 v33, -1, v8
	v_and_b32_e32 v2, 8, v1
	v_lshl_or_b32 v4, v28, 7, v4
	s_addc_u32 s1, s27, s1
	v_and_b32_e32 v8, 64, v33
	s_mov_b32 s41, s13
	v_lshl_add_u64 v[2:3], v[10:11], 0, v[2:3]
	v_cmp_neq_f32_e64 s[6:7], s10, 0
	v_add3_u32 v34, s40, v29, v5
	v_add_u32_e32 v35, 0xf0, v4
	v_lshl_add_u64 v[4:5], v[6:7], 2, s[0:1]
	s_mov_b64 s[36:37], 0
	v_mov_b32_e32 v30, 0xff7fffff
	s_movk_i32 s42, 0x1000
	v_xor_b32_e32 v36, 1, v33
	v_add_u32_e32 v32, 64, v8
	v_mov_b32_e32 v37, v6
	s_branch .LBB121_10
.LBB121_9:                              ;   in Loop: Header=BB121_10 Depth=1
	s_or_b64 exec, exec, s[38:39]
	v_add_u32_e32 v37, 2, v37
	v_cmp_le_i32_e64 s[0:1], s33, v37
	v_add_u32_e32 v34, 64, v34
	v_add_u32_e32 v35, 0x100, v35
	s_or_b64 s[36:37], s[0:1], s[36:37]
	v_lshl_add_u64 v[4:5], v[4:5], 0, 8
	s_andn2_b64 exec, exec, s[36:37]
	s_cbranch_execz .LBB121_12
.LBB121_10:                             ; =>This Inner Loop Header: Depth=1
	global_load_dword v8, v[4:5], off
	s_waitcnt vmcnt(0) lgkmcnt(0)
	v_mad_i64_i32 v[8:9], s[0:1], v8, s41, 0
	v_lshl_add_u64 v[8:9], v[8:9], 1, v[2:3]
	global_load_dwordx2 v[40:41], v[8:9], off
	global_load_dwordx2 v[42:43], v[8:9], off offset:512
	global_load_dwordx2 v[44:45], v[8:9], off offset:1024
	;; [unrolled: 1-line block ×7, first 2 shown]
	v_add_co_u32_e64 v38, s[0:1], s42, v8
	s_waitcnt vmcnt(6)
	v_lshrrev_b32_e32 v52, 16, v42
	v_addc_co_u32_e64 v39, s[0:1], 0, v9, s[0:1]
	global_load_dwordx2 v[18:19], v[38:39], off
	global_load_dwordx2 v[16:17], v[38:39], off offset:512
	ds_read_b64 v[8:9], v31
	v_and_b32_e32 v42, 0xffff, v42
	s_waitcnt vmcnt(2)
	v_lshrrev_b32_e32 v66, 16, v20
	v_and_b32_e32 v67, 0xffff, v20
	v_lshrrev_b32_e32 v68, 16, v21
	s_waitcnt lgkmcnt(0)
	v_lshrrev_b32_e32 v48, 16, v8
	v_and_b32_e32 v49, 0xffff, v8
	v_lshrrev_b32_e32 v50, 16, v9
	v_and_b32_e32 v51, 0xffff, v9
	global_load_dwordx2 v[14:15], v[38:39], off offset:1024
	global_load_dwordx2 v[12:13], v[38:39], off offset:1536
	;; [unrolled: 1-line block ×4, first 2 shown]
	;;#ASMSTART
	v_cvt_f32_f16 v38, v49;
	;;#ASMEND
	;;#ASMSTART
	v_cvt_f32_f16 v39, v48;
	;;#ASMEND
	v_lshrrev_b32_e32 v48, 16, v40
	v_and_b32_e32 v40, 0xffff, v40
	v_lshrrev_b32_e32 v49, 16, v41
	v_and_b32_e32 v41, 0xffff, v41
	v_and_b32_e32 v69, 0xffff, v21
	;;#ASMSTART
	v_cvt_f32_f16 v40, v40;
	;;#ASMEND
	;;#ASMSTART
	v_cvt_f32_f16 v48, v48;
	;;#ASMEND
	;; [unrolled: 3-line block ×6, first 2 shown]
	ds_read_b64 v[20:21], v31 offset:8
	v_lshrrev_b32_e32 v53, 16, v43
	v_and_b32_e32 v43, 0xffff, v43
	v_lshrrev_b32_e32 v62, 16, v22
	v_and_b32_e32 v63, 0xffff, v22
	;; [unrolled: 2-line block ×11, first 2 shown]
	v_cmp_lt_i32_e64 s[0:1], v36, v32
	s_waitcnt vmcnt(5)
	v_lshrrev_b32_e32 v70, 16, v18
	v_and_b32_e32 v71, 0xffff, v18
	v_lshrrev_b32_e32 v72, 16, v19
	v_and_b32_e32 v73, 0xffff, v19
	s_waitcnt vmcnt(4)
	v_lshrrev_b32_e32 v74, 16, v16
	v_and_b32_e32 v75, 0xffff, v16
	s_waitcnt lgkmcnt(0)
	v_lshrrev_b32_e32 v16, 16, v20
	v_and_b32_e32 v18, 0xffff, v20
	v_lshrrev_b32_e32 v19, 16, v21
	v_and_b32_e32 v20, 0xffff, v21
	;;#ASMSTART
	v_cvt_f32_f16 v18, v18;
	;;#ASMEND
	;;#ASMSTART
	v_cvt_f32_f16 v21, v16;
	;;#ASMEND
	;;#ASMSTART
	v_cvt_f32_f16 v16, v42;
	;;#ASMEND
	;;#ASMSTART
	v_cvt_f32_f16 v42, v52;
	;;#ASMEND
	;;#ASMSTART
	v_cvt_f32_f16 v20, v20;
	;;#ASMEND
	;;#ASMSTART
	v_cvt_f32_f16 v52, v19;
	;;#ASMEND
	;;#ASMSTART
	v_cvt_f32_f16 v19, v43;
	;;#ASMEND
	;;#ASMSTART
	v_cvt_f32_f16 v43, v53;
	;;#ASMEND
	ds_read_b64 v[22:23], v31 offset:16
	v_mul_f32_e32 v16, v18, v16
	v_mul_f32_e32 v18, v21, v42
	;; [unrolled: 1-line block ×3, first 2 shown]
	v_fmac_f32_e32 v16, v38, v40
	s_waitcnt lgkmcnt(0)
	v_lshrrev_b32_e32 v21, 16, v22
	v_and_b32_e32 v22, 0xffff, v22
	v_lshrrev_b32_e32 v38, 16, v23
	v_and_b32_e32 v23, 0xffff, v23
	v_mul_f32_e32 v20, v52, v43
	v_fmac_f32_e32 v18, v39, v48
	v_fmac_f32_e32 v19, v51, v41
	;;#ASMSTART
	v_cvt_f32_f16 v39, v22;
	;;#ASMEND
	;;#ASMSTART
	v_cvt_f32_f16 v21, v21;
	;;#ASMEND
	;; [unrolled: 3-line block ×8, first 2 shown]
	ds_read_b64 v[22:23], v31 offset:24
	v_fmac_f32_e32 v20, v50, v49
	v_fmac_f32_e32 v18, v21, v41
	;; [unrolled: 1-line block ×4, first 2 shown]
	s_waitcnt lgkmcnt(0)
	v_lshrrev_b32_e32 v21, 16, v22
	v_and_b32_e32 v22, 0xffff, v22
	v_lshrrev_b32_e32 v38, 16, v23
	v_and_b32_e32 v23, 0xffff, v23
	v_fmac_f32_e32 v19, v42, v43
	;;#ASMSTART
	v_cvt_f32_f16 v39, v22;
	;;#ASMEND
	;;#ASMSTART
	v_cvt_f32_f16 v21, v21;
	;;#ASMEND
	;;#ASMSTART
	v_cvt_f32_f16 v40, v46;
	;;#ASMEND
	;;#ASMSTART
	v_cvt_f32_f16 v41, v56;
	;;#ASMEND
	;;#ASMSTART
	v_cvt_f32_f16 v42, v23;
	;;#ASMEND
	;;#ASMSTART
	v_cvt_f32_f16 v38, v38;
	;;#ASMEND
	;;#ASMSTART
	v_cvt_f32_f16 v43, v47;
	;;#ASMEND
	;;#ASMSTART
	v_cvt_f32_f16 v44, v57;
	;;#ASMEND
	ds_read_b64 v[22:23], v31 offset:32
	v_fmac_f32_e32 v18, v21, v41
	v_fmac_f32_e32 v20, v38, v44
	v_fmac_f32_e32 v16, v39, v40
	v_fmac_f32_e32 v19, v42, v43
	s_waitcnt lgkmcnt(0)
	v_lshrrev_b32_e32 v21, 16, v22
	v_and_b32_e32 v22, 0xffff, v22
	v_lshrrev_b32_e32 v38, 16, v23
	v_and_b32_e32 v23, 0xffff, v23
	;;#ASMSTART
	v_cvt_f32_f16 v39, v22;
	;;#ASMEND
	;;#ASMSTART
	v_cvt_f32_f16 v21, v21;
	;;#ASMEND
	;;#ASMSTART
	v_cvt_f32_f16 v26, v26;
	;;#ASMEND
	;;#ASMSTART
	v_cvt_f32_f16 v40, v58;
	;;#ASMEND
	;;#ASMSTART
	v_cvt_f32_f16 v41, v23;
	;;#ASMEND
	;;#ASMSTART
	v_cvt_f32_f16 v38, v38;
	;;#ASMEND
	;;#ASMSTART
	v_cvt_f32_f16 v27, v27;
	;;#ASMEND
	;;#ASMSTART
	v_cvt_f32_f16 v42, v59;
	;;#ASMEND
	ds_read_b64 v[22:23], v31 offset:40
	v_fmac_f32_e32 v16, v39, v26
	v_fmac_f32_e32 v18, v21, v40
	v_fmac_f32_e32 v19, v41, v27
	v_fmac_f32_e32 v20, v38, v42
	s_waitcnt lgkmcnt(0)
	v_lshrrev_b32_e32 v21, 16, v22
	v_and_b32_e32 v22, 0xffff, v22
	v_lshrrev_b32_e32 v26, 16, v23
	v_and_b32_e32 v23, 0xffff, v23
	;; [unrolled: 34-line block ×5, first 2 shown]
	;;#ASMSTART
	v_cvt_f32_f16 v25, v22;
	;;#ASMEND
	;;#ASMSTART
	v_cvt_f32_f16 v21, v21;
	;;#ASMEND
	;; [unrolled: 3-line block ×8, first 2 shown]
	ds_read_b64 v[22:23], v31 offset:72
	v_fmac_f32_e32 v18, v21, v27
	v_fmac_f32_e32 v20, v24, v40
	;; [unrolled: 1-line block ×4, first 2 shown]
	s_waitcnt lgkmcnt(0)
	v_lshrrev_b32_e32 v21, 16, v22
	v_and_b32_e32 v22, 0xffff, v22
	;;#ASMSTART
	v_cvt_f32_f16 v24, v22;
	;;#ASMEND
	v_lshrrev_b32_e32 v22, 16, v23
	;;#ASMSTART
	v_cvt_f32_f16 v21, v21;
	;;#ASMEND
	;;#ASMSTART
	v_cvt_f32_f16 v25, v75;
	;;#ASMEND
	;; [unrolled: 3-line block ×3, first 2 shown]
	v_and_b32_e32 v23, 0xffff, v23
	;;#ASMSTART
	v_cvt_f32_f16 v27, v23;
	;;#ASMEND
	;;#ASMSTART
	v_cvt_f32_f16 v38, v22;
	;;#ASMEND
	v_lshrrev_b32_e32 v22, 16, v17
	v_and_b32_e32 v17, 0xffff, v17
	;;#ASMSTART
	v_cvt_f32_f16 v17, v17;
	;;#ASMEND
	;;#ASMSTART
	v_cvt_f32_f16 v39, v22;
	;;#ASMEND
	ds_read_b64 v[22:23], v31 offset:80
	v_fmac_f32_e32 v18, v21, v26
	v_fmac_f32_e32 v19, v27, v17
	;; [unrolled: 1-line block ×4, first 2 shown]
	s_waitcnt lgkmcnt(0)
	v_lshrrev_b32_e32 v17, 16, v22
	v_and_b32_e32 v21, 0xffff, v22
	s_waitcnt vmcnt(3)
	v_lshrrev_b32_e32 v22, 16, v14
	v_and_b32_e32 v14, 0xffff, v14
	;;#ASMSTART
	v_cvt_f32_f16 v21, v21;
	;;#ASMEND
	;;#ASMSTART
	v_cvt_f32_f16 v17, v17;
	;;#ASMEND
	;; [unrolled: 3-line block ×3, first 2 shown]
	v_lshrrev_b32_e32 v14, 16, v23
	v_and_b32_e32 v23, 0xffff, v23
	;;#ASMSTART
	v_cvt_f32_f16 v22, v22;
	;;#ASMEND
	;;#ASMSTART
	v_cvt_f32_f16 v23, v23;
	;;#ASMEND
	;; [unrolled: 3-line block ×3, first 2 shown]
	v_lshrrev_b32_e32 v14, 16, v15
	v_and_b32_e32 v15, 0xffff, v15
	;;#ASMSTART
	v_cvt_f32_f16 v26, v15;
	;;#ASMEND
	;;#ASMSTART
	v_cvt_f32_f16 v27, v14;
	;;#ASMEND
	ds_read_b64 v[14:15], v31 offset:88
	v_fmac_f32_e32 v16, v21, v24
	v_fmac_f32_e32 v18, v17, v22
	s_waitcnt vmcnt(2)
	v_lshrrev_b32_e32 v21, 16, v12
	v_and_b32_e32 v12, 0xffff, v12
	s_waitcnt lgkmcnt(0)
	v_lshrrev_b32_e32 v17, 16, v14
	v_and_b32_e32 v14, 0xffff, v14
	;;#ASMSTART
	v_cvt_f32_f16 v14, v14;
	;;#ASMEND
	;;#ASMSTART
	v_cvt_f32_f16 v17, v17;
	;;#ASMEND
	;; [unrolled: 3-line block ×3, first 2 shown]
	v_lshrrev_b32_e32 v12, 16, v15
	v_and_b32_e32 v15, 0xffff, v15
	v_fmac_f32_e32 v19, v23, v26
	;;#ASMSTART
	v_cvt_f32_f16 v21, v21;
	;;#ASMEND
	;;#ASMSTART
	v_cvt_f32_f16 v15, v15;
	;;#ASMEND
	;; [unrolled: 3-line block ×3, first 2 shown]
	v_lshrrev_b32_e32 v12, 16, v13
	v_and_b32_e32 v13, 0xffff, v13
	v_fmac_f32_e32 v20, v25, v27
	;;#ASMSTART
	v_cvt_f32_f16 v24, v13;
	;;#ASMEND
	;;#ASMSTART
	v_cvt_f32_f16 v25, v12;
	;;#ASMEND
	ds_read_b64 v[12:13], v31 offset:96
	v_fmac_f32_e32 v16, v14, v22
	v_fmac_f32_e32 v19, v15, v24
	s_waitcnt vmcnt(1)
	v_lshrrev_b32_e32 v15, 16, v10
	v_and_b32_e32 v10, 0xffff, v10
	s_waitcnt lgkmcnt(0)
	v_lshrrev_b32_e32 v14, 16, v12
	v_and_b32_e32 v12, 0xffff, v12
	v_fmac_f32_e32 v18, v17, v21
	;;#ASMSTART
	v_cvt_f32_f16 v12, v12;
	;;#ASMEND
	;;#ASMSTART
	v_cvt_f32_f16 v14, v14;
	;;#ASMEND
	;; [unrolled: 3-line block ×3, first 2 shown]
	v_lshrrev_b32_e32 v10, 16, v13
	v_and_b32_e32 v13, 0xffff, v13
	;;#ASMSTART
	v_cvt_f32_f16 v15, v15;
	;;#ASMEND
	;;#ASMSTART
	v_cvt_f32_f16 v13, v13;
	;;#ASMEND
	;; [unrolled: 3-line block ×3, first 2 shown]
	v_lshrrev_b32_e32 v10, 16, v11
	v_and_b32_e32 v11, 0xffff, v11
	v_fmac_f32_e32 v20, v23, v25
	;;#ASMSTART
	v_cvt_f32_f16 v22, v11;
	;;#ASMEND
	;;#ASMSTART
	v_cvt_f32_f16 v23, v10;
	;;#ASMEND
	ds_read_b64 v[10:11], v31 offset:104
	v_fmac_f32_e32 v16, v12, v17
	v_fmac_f32_e32 v19, v13, v22
	s_waitcnt vmcnt(0)
	v_lshrrev_b32_e32 v13, 16, v8
	v_and_b32_e32 v8, 0xffff, v8
	s_waitcnt lgkmcnt(0)
	v_lshrrev_b32_e32 v12, 16, v10
	v_and_b32_e32 v10, 0xffff, v10
	;;#ASMSTART
	v_cvt_f32_f16 v10, v10;
	;;#ASMEND
	;;#ASMSTART
	v_cvt_f32_f16 v12, v12;
	;;#ASMEND
	;; [unrolled: 3-line block ×3, first 2 shown]
	v_fmac_f32_e32 v18, v14, v15
	v_fmac_f32_e32 v16, v10, v8
	v_lshrrev_b32_e32 v8, 16, v11
	v_and_b32_e32 v10, 0xffff, v11
	v_fmac_f32_e32 v20, v21, v23
	;;#ASMSTART
	v_cvt_f32_f16 v13, v13;
	;;#ASMEND
	;;#ASMSTART
	v_cvt_f32_f16 v10, v10;
	;;#ASMEND
	;; [unrolled: 3-line block ×3, first 2 shown]
	v_lshrrev_b32_e32 v11, 16, v9
	v_fmac_f32_e32 v18, v12, v13
	v_and_b32_e32 v9, 0xffff, v9
	;;#ASMSTART
	v_cvt_f32_f16 v9, v9;
	;;#ASMEND
	;;#ASMSTART
	v_cvt_f32_f16 v11, v11;
	;;#ASMEND
	s_nop 0
	v_fmac_f32_e32 v19, v10, v9
	v_fmac_f32_e32 v20, v8, v11
	v_add_f32_e32 v8, v16, v18
	v_add_f32_e32 v8, v8, v19
	v_cndmask_b32_e64 v9, v33, v36, s[0:1]
	v_add_f32_e32 v8, v20, v8
	v_lshlrev_b32_e32 v9, 2, v9
	ds_bpermute_b32 v9, v9, v8
	s_and_saveexec_b64 s[38:39], vcc
	s_cbranch_execz .LBB121_9
; %bb.11:                               ;   in Loop: Header=BB121_10 Depth=1
	v_add_u32_e32 v10, s15, v34
	v_cvt_f32_i32_e32 v10, v10
	s_waitcnt lgkmcnt(0)
	v_add_f32_e32 v8, v8, v9
	v_cmp_gt_i32_e64 s[0:1], s25, v34
	v_max_f32_e32 v9, v30, v30
	v_mul_f32_e32 v10, s10, v10
	v_cndmask_b32_e64 v10, 0, v10, s[6:7]
	v_fmac_f32_e32 v10, s11, v8
	v_cndmask_b32_e64 v8, 0, v10, s[0:1]
	ds_write_b32 v35, v8
	v_max_f32_e32 v8, v9, v10
	v_cndmask_b32_e64 v30, v30, v8, s[0:1]
	s_branch .LBB121_9
.LBB121_12:
	s_or_b64 exec, exec, s[36:37]
.LBB121_13:
	s_or_b64 exec, exec, s[34:35]
	v_xor_b32_e32 v2, 32, v33
	v_cmp_lt_i32_e32 vcc, v2, v32
	v_xor_b32_e32 v5, 16, v33
	v_max_f32_e32 v4, v30, v30
	v_cndmask_b32_e32 v2, v33, v2, vcc
	v_lshlrev_b32_e32 v2, 2, v2
	ds_bpermute_b32 v3, v2, v30
	v_cmp_lt_i32_e32 vcc, v5, v32
	v_xor_b32_e32 v8, 8, v33
	s_waitcnt lgkmcnt(0)
	v_xor_b32_e32 v9, 4, v33
	v_xor_b32_e32 v10, 2, v33
	v_max_f32_e32 v3, v3, v3
	v_max_f32_e32 v4, v4, v3
	v_cndmask_b32_e32 v3, v33, v5, vcc
	v_lshlrev_b32_e32 v3, 2, v3
	ds_bpermute_b32 v5, v3, v4
	v_cmp_lt_i32_e32 vcc, v8, v32
	v_and_b32_e32 v30, 63, v0
	s_waitcnt lgkmcnt(0)
	v_max_f32_e32 v5, v5, v5
	v_max_f32_e32 v4, v4, v5
	v_cndmask_b32_e32 v5, v33, v8, vcc
	v_lshlrev_b32_e32 v5, 2, v5
	ds_bpermute_b32 v8, v5, v4
	v_cmp_lt_i32_e32 vcc, v9, v32
	s_waitcnt lgkmcnt(0)
	v_max_f32_e32 v8, v8, v8
	v_max_f32_e32 v4, v4, v8
	v_cndmask_b32_e32 v8, v33, v9, vcc
	v_lshlrev_b32_e32 v8, 2, v8
	ds_bpermute_b32 v9, v8, v4
	v_cmp_lt_i32_e32 vcc, v10, v32
	s_waitcnt lgkmcnt(0)
	v_max_f32_e32 v9, v9, v9
	v_max_f32_e32 v4, v4, v9
	v_cndmask_b32_e32 v9, v33, v10, vcc
	v_lshlrev_b32_e32 v31, 2, v9
	ds_bpermute_b32 v10, v31, v4
	v_cmp_eq_u32_e32 vcc, 0, v30
	v_lshlrev_b32_e32 v9, 2, v28
	s_and_saveexec_b64 s[0:1], vcc
	s_cbranch_execz .LBB121_15
; %bb.14:
	s_waitcnt lgkmcnt(0)
	v_max_f32_e32 v10, v10, v10
	v_max_f32_e32 v4, v4, v4
	;; [unrolled: 1-line block ×3, first 2 shown]
	ds_write_b32 v9, v4 offset:224
.LBB121_15:
	s_or_b64 exec, exec, s[0:1]
	v_cmp_gt_u32_e64 s[0:1], 2, v30
	v_mov_b32_e32 v4, 0xff7fffff
	s_waitcnt lgkmcnt(0)
	v_lshlrev_b32_e32 v10, 2, v30
	s_barrier
	s_and_saveexec_b64 s[6:7], s[0:1]
	s_cbranch_execz .LBB121_17
; %bb.16:
	ds_read_b32 v4, v10 offset:224
.LBB121_17:
	s_or_b64 exec, exec, s[6:7]
	v_xor_b32_e32 v11, 1, v33
	v_cmp_lt_i32_e64 s[6:7], v11, v32
	s_sub_i32 s3, s33, s3
	s_lshl_b32 s3, s3, 5
	v_cndmask_b32_e64 v11, v33, v11, s[6:7]
	v_lshlrev_b32_e32 v32, 2, v11
	s_waitcnt lgkmcnt(0)
	ds_bpermute_b32 v11, v32, v4
	v_max_f32_e32 v4, v4, v4
	s_add_i32 s3, s3, s40
	s_min_i32 s15, s3, s25
	s_sub_i32 s3, s15, s40
	s_waitcnt lgkmcnt(0)
	v_max_f32_e32 v11, v11, v11
	v_max_f32_e32 v4, v4, v11
	v_lshlrev_b32_e32 v11, 2, v33
	v_and_b32_e32 v11, 0xffffff00, v11
	ds_bpermute_b32 v4, v11, v4
	v_cmp_gt_i32_e64 s[6:7], s3, v0
	v_mov_b32_e32 v12, 0
	s_and_saveexec_b64 s[34:35], s[6:7]
	s_cbranch_execz .LBB121_21
; %bb.18:
	v_mov_b32_e32 v12, 0xf0
	v_lshl_add_u32 v13, v0, 2, v12
	s_mov_b64 s[36:37], 0
	v_mov_b32_e32 v12, 0
	v_mov_b32_e32 v14, v0
.LBB121_19:                             ; =>This Inner Loop Header: Depth=1
	ds_read_b32 v15, v13
	v_add_u32_e32 v14, 0x80, v14
	v_cmp_le_i32_e64 s[10:11], s3, v14
	s_or_b64 s[36:37], s[10:11], s[36:37]
	s_waitcnt lgkmcnt(0)
	v_sub_f32_e32 v15, v15, v4
	v_mul_f32_e32 v15, 0x3fb8aa3b, v15
	v_exp_f32_e32 v15, v15
	ds_write_b32 v13, v15
	v_add_f32_e32 v12, v12, v15
	v_add_u32_e32 v13, 0x200, v13
	s_andn2_b64 exec, exec, s[36:37]
	s_cbranch_execnz .LBB121_19
; %bb.20:
	s_or_b64 exec, exec, s[36:37]
.LBB121_21:
	s_or_b64 exec, exec, s[34:35]
	ds_bpermute_b32 v2, v2, v12
	s_waitcnt lgkmcnt(0)
	v_add_f32_e32 v2, v12, v2
	ds_bpermute_b32 v3, v3, v2
	s_waitcnt lgkmcnt(0)
	v_add_f32_e32 v2, v2, v3
	;; [unrolled: 3-line block ×6, first 2 shown]
	s_and_saveexec_b64 s[10:11], vcc
	s_cbranch_execz .LBB121_23
; %bb.22:
	ds_write_b32 v9, v2 offset:232
.LBB121_23:
	s_or_b64 exec, exec, s[10:11]
	s_waitcnt lgkmcnt(0)
	s_barrier
	s_and_saveexec_b64 s[10:11], s[0:1]
	s_cbranch_execz .LBB121_25
; %bb.24:
	ds_read_b32 v2, v10 offset:232
.LBB121_25:
	s_or_b64 exec, exec, s[10:11]
	s_waitcnt lgkmcnt(0)
	ds_bpermute_b32 v3, v32, v2
	s_waitcnt lgkmcnt(0)
	v_add_f32_e32 v2, v2, v3
	ds_bpermute_b32 v5, v11, v2
	s_and_saveexec_b64 s[0:1], s[6:7]
	s_cbranch_execz .LBB121_38
; %bb.26:
	s_waitcnt lgkmcnt(0)
	v_add_f32_e32 v2, 0x358637bd, v5
	v_div_scale_f32 v3, s[6:7], v2, v2, 1.0
	v_rcp_f32_e32 v8, v3
	v_div_scale_f32 v9, vcc, 1.0, v2, 1.0
	s_movk_i32 s6, 0x7f
	v_fma_f32 v10, -v3, v8, 1.0
	v_fmac_f32_e32 v8, v10, v8
	v_mul_f32_e32 v10, v9, v8
	v_fma_f32 v11, -v3, v10, v9
	v_fmac_f32_e32 v10, v11, v8
	v_fma_f32 v3, -v3, v10, v9
	v_div_fmas_f32 v3, v3, v8, v10
	v_div_fixup_f32 v2, v3, v2, 1.0
	v_xad_u32 v3, v0, -1, s15
	v_subrev_u32_e32 v8, s40, v3
	v_cmp_lt_u32_e32 vcc, s6, v8
	s_mov_b64 s[10:11], -1
	v_mov_b32_e32 v3, v0
	s_and_saveexec_b64 s[6:7], vcc
	s_cbranch_execz .LBB121_35
; %bb.27:
	v_lshrrev_b32_e32 v8, 7, v8
	v_add_u32_e32 v10, -1, v8
	v_lshrrev_b32_e32 v9, 1, v10
	v_mov_b32_e32 v3, v2
	v_add_u32_e32 v9, 1, v9
	v_cmp_lt_u32_e32 vcc, 13, v10
	v_mov_b32_e32 v12, 0
	s_and_saveexec_b64 s[10:11], vcc
	s_cbranch_execz .LBB121_31
; %bb.28:
	v_mov_b32_e32 v11, 0xf0
	v_and_b32_e32 v10, -8, v9
	v_lshl_add_u32 v11, v0, 2, v11
	s_mov_b32 s15, 0
	s_mov_b64 s[34:35], 0
.LBB121_29:                             ; =>This Inner Loop Header: Depth=1
	ds_read2st64_b32 v[12:13], v11 offset1:2
	ds_read2st64_b32 v[14:15], v11 offset0:4 offset1:6
	ds_read2st64_b32 v[16:17], v11 offset0:8 offset1:10
	;; [unrolled: 1-line block ×3, first 2 shown]
	v_add_u32_e32 v10, -8, v10
	s_waitcnt lgkmcnt(3)
	v_pk_mul_f32 v[12:13], v[2:3], v[12:13]
	s_waitcnt lgkmcnt(2)
	v_pk_mul_f32 v[14:15], v[2:3], v[14:15]
	ds_write2st64_b32 v11, v12, v13 offset1:2
	ds_write2st64_b32 v11, v14, v15 offset0:4 offset1:6
	ds_read2st64_b32 v[14:15], v11 offset0:16 offset1:18
	s_waitcnt lgkmcnt(4)
	v_pk_mul_f32 v[12:13], v[2:3], v[16:17]
	ds_write2st64_b32 v11, v12, v13 offset0:8 offset1:10
	s_waitcnt lgkmcnt(4)
	v_pk_mul_f32 v[12:13], v[2:3], v[18:19]
	ds_write2st64_b32 v11, v12, v13 offset0:12 offset1:14
	ds_read2st64_b32 v[12:13], v11 offset0:20 offset1:22
	s_waitcnt lgkmcnt(3)
	v_pk_mul_f32 v[14:15], v[2:3], v[14:15]
	ds_read2st64_b32 v[16:17], v11 offset0:24 offset1:26
	ds_write2st64_b32 v11, v14, v15 offset0:16 offset1:18
	ds_read2st64_b32 v[14:15], v11 offset0:28 offset1:30
	s_waitcnt lgkmcnt(3)
	v_pk_mul_f32 v[12:13], v[2:3], v[12:13]
	ds_write2st64_b32 v11, v12, v13 offset0:20 offset1:22
	s_waitcnt lgkmcnt(3)
	v_pk_mul_f32 v[12:13], v[2:3], v[16:17]
	ds_write2st64_b32 v11, v12, v13 offset0:24 offset1:26
	s_waitcnt lgkmcnt(2)
	v_pk_mul_f32 v[12:13], v[2:3], v[14:15]
	s_add_i32 s15, s15, 16
	v_cmp_eq_u32_e32 vcc, 0, v10
	ds_write2st64_b32 v11, v12, v13 offset0:28 offset1:30
	v_add_u32_e32 v11, 0x2000, v11
	s_or_b64 s[34:35], vcc, s[34:35]
	v_mov_b32_e32 v12, s15
	s_andn2_b64 exec, exec, s[34:35]
	s_cbranch_execnz .LBB121_29
; %bb.30:
	s_or_b64 exec, exec, s[34:35]
.LBB121_31:
	s_or_b64 exec, exec, s[10:11]
	v_and_b32_e32 v9, 7, v9
	v_cmp_ne_u32_e32 vcc, 0, v9
	s_and_saveexec_b64 s[10:11], vcc
	s_cbranch_execz .LBB121_34
; %bb.32:
	v_lshlrev_b32_e32 v10, 9, v12
	v_lshlrev_b32_e32 v11, 2, v0
	s_movk_i32 s15, 0xf0
	v_add3_u32 v10, v10, v11, s15
	s_mov_b64 s[34:35], 0
.LBB121_33:                             ; =>This Inner Loop Header: Depth=1
	ds_read2st64_b32 v[12:13], v10 offset1:2
	v_add_u32_e32 v9, -1, v9
	v_cmp_eq_u32_e32 vcc, 0, v9
	s_or_b64 s[34:35], vcc, s[34:35]
	s_waitcnt lgkmcnt(0)
	v_pk_mul_f32 v[12:13], v[2:3], v[12:13]
	ds_write2st64_b32 v10, v12, v13 offset1:2
	v_add_u32_e32 v10, 0x400, v10
	s_andn2_b64 exec, exec, s[34:35]
	s_cbranch_execnz .LBB121_33
.LBB121_34:
	s_or_b64 exec, exec, s[10:11]
	v_add_u32_e32 v8, 1, v8
	v_and_b32_e32 v9, 0x3fffffe, v8
	v_cmp_ne_u32_e32 vcc, v8, v9
	v_lshl_add_u32 v3, v9, 7, v0
	s_orn2_b64 s[10:11], vcc, exec
.LBB121_35:
	s_or_b64 exec, exec, s[6:7]
	s_and_b64 exec, exec, s[10:11]
	s_cbranch_execz .LBB121_38
; %bb.36:
	v_mov_b32_e32 v8, 0xf0
	v_lshl_add_u32 v8, v3, 2, v8
	s_mov_b64 s[6:7], 0
.LBB121_37:                             ; =>This Inner Loop Header: Depth=1
	ds_read_b32 v9, v8
	v_add_u32_e32 v3, 0x80, v3
	v_cmp_le_i32_e32 vcc, s3, v3
	s_or_b64 s[6:7], vcc, s[6:7]
	s_waitcnt lgkmcnt(0)
	v_mul_f32_e32 v9, v2, v9
	ds_write_b32 v8, v9
	v_add_u32_e32 v8, 0x200, v8
	s_andn2_b64 exec, exec, s[6:7]
	s_cbranch_execnz .LBB121_37
.LBB121_38:
	s_or_b64 exec, exec, s[0:1]
	s_mul_i32 s0, s21, s24
	v_cmp_eq_u32_e32 vcc, 0, v0
	s_mul_i32 s6, s0, s5
	s_waitcnt lgkmcnt(0)
	s_barrier
	s_and_saveexec_b64 s[0:1], vcc
	s_cbranch_execz .LBB121_40
; %bb.39:
	s_ashr_i32 s7, s6, 31
	s_lshl_b64 s[10:11], s[6:7], 2
	s_add_u32 s5, s18, s10
	s_mul_i32 s2, s21, s2
	s_addc_u32 s7, s19, s11
	s_ashr_i32 s3, s2, 31
	s_lshl_b64 s[2:3], s[2:3], 2
	s_add_u32 s15, s5, s2
	s_addc_u32 s7, s7, s3
	s_ashr_i32 s5, s4, 31
	s_lshl_b64 s[18:19], s[4:5], 2
	s_add_u32 s34, s15, s18
	s_addc_u32 s35, s7, s19
	s_add_u32 s5, s16, s10
	s_addc_u32 s7, s17, s11
	;; [unrolled: 2-line block ×3, first 2 shown]
	s_add_u32 s2, s2, s18
	v_mov_b32_e32 v2, 0
	s_addc_u32 s3, s3, s19
	global_store_dword v2, v4, s[34:35]
	global_store_dword v2, v5, s[2:3]
.LBB121_40:
	s_or_b64 exec, exec, s[0:1]
	v_mov_b32_e32 v34, 0
	v_and_b32_e32 v33, 3, v0
	v_mov_b32_e32 v9, 0
	v_mov_b32_e32 v8, 0
	;; [unrolled: 1-line block ×6, first 2 shown]
	s_and_saveexec_b64 s[2:3], s[8:9]
	s_cbranch_execz .LBB121_58
; %bb.41:
	s_ashr_i32 s15, s14, 31
	s_lshl_b64 s[0:1], s[14:15], 1
	s_add_u32 s8, s30, s0
	v_and_b32_e32 v3, 24, v1
	s_addc_u32 s9, s31, s1
	s_add_i32 s7, s12, -1
	s_lshl_b64 s[0:1], s[28:29], 2
	v_and_b32_e32 v2, 0x1f8, v1
	v_add3_u32 v1, s40, v29, v3
	v_lshlrev_b32_e32 v3, 5, v33
	s_add_u32 s0, s26, s0
	v_mov_b32_e32 v15, 0
	v_or_b32_e32 v4, 0x800, v2
	v_or_b32_e32 v8, 0xa00, v2
	;; [unrolled: 1-line block ×3, first 2 shown]
	v_lshl_or_b32 v3, v28, 7, v3
	s_addc_u32 s1, s27, s1
	s_mov_b32 s5, s13
	s_mov_b32 s14, s25
	s_mov_b32 s15, s25
	s_mov_b32 s16, s25
	s_mov_b32 s17, s25
	s_mov_b32 s18, s25
	s_mov_b32 s19, s25
	s_mov_b32 s24, s25
	v_add_u32_e32 v28, 0xf0, v3
	v_lshl_add_u64 v[16:17], v[6:7], 2, s[0:1]
	s_mov_b64 s[10:11], 0
	v_lshlrev_b32_e32 v18, 1, v2
	v_mov_b32_e32 v19, v15
	s_mov_b32 s26, 0x5040100
	v_lshlrev_b32_e32 v14, 1, v4
	v_lshlrev_b32_e32 v20, 1, v8
	;; [unrolled: 1-line block ×3, first 2 shown]
	v_mov_b32_e32 v12, v15
	v_mov_b32_e32 v13, v15
	;; [unrolled: 1-line block ×7, first 2 shown]
	s_branch .LBB121_43
.LBB121_42:                             ;   in Loop: Header=BB121_43 Depth=1
	s_or_b64 exec, exec, s[0:1]
	s_waitcnt vmcnt(0)
	;;#ASMSTART
	v_pk_mul_f16 v2, v41, v2;

	;;#ASMEND
	v_add_f32_e32 v7, v44, v45
	;;#ASMSTART
	v_pk_mul_f16 v3, v40, v3;

	;;#ASMEND
	;;#ASMSTART
	v_pk_mul_f16 v4, v39, v4;

	;;#ASMEND
	;; [unrolled: 4-line block ×3, first 2 shown]
	v_add_f32_e32 v12, v12, v7
	;;#ASMSTART
	v_pk_add_f16 v2, v2, v3;

	;;#ASMEND
	v_add_f32_e32 v7, v46, v47
	;;#ASMSTART
	v_pk_add_f16 v2, v2, v4;

	;;#ASMEND
	v_add_f32_e32 v13, v13, v7
	v_add_f32_e32 v7, v48, v49
	;;#ASMSTART
	v_pk_add_f16 v2, v2, v5;

	;;#ASMEND
	v_add_f32_e32 v10, v10, v7
	v_add_f32_e32 v7, v26, v27
	v_lshrrev_b32_e32 v3, 16, v2
	v_and_b32_e32 v2, 0xffff, v2
	v_add_f32_e32 v11, v11, v7
	v_add_f32_e32 v7, v50, v51
	;;#ASMSTART
	v_cvt_f32_f16 v2, v2;
	;;#ASMEND
	v_add_u32_e32 v6, 2, v6
	v_add_f32_e32 v8, v8, v7
	v_add_f32_e32 v7, v21, v52
	;;#ASMSTART
	v_cvt_f32_f16 v3, v3;
	;;#ASMEND
	v_cmp_le_i32_e32 vcc, s33, v6
	v_add_f32_e32 v2, v2, v3
	v_add_f32_e32 v9, v9, v7
	;; [unrolled: 1-line block ×3, first 2 shown]
	v_add_u32_e32 v1, 64, v1
	v_add_u32_e32 v28, 0x100, v28
	s_or_b64 s[10:11], vcc, s[10:11]
	v_lshl_add_u64 v[16:17], v[16:17], 0, 8
	s_andn2_b64 exec, exec, s[10:11]
	s_cbranch_execz .LBB121_57
.LBB121_43:                             ; =>This Inner Loop Header: Depth=1
	global_load_dword v7, v[16:17], off
	ds_read2_b64 v[2:5], v28 offset1:1
	ds_read2_b64 v[24:27], v28 offset0:2 offset1:3
	v_cmp_eq_u32_e32 vcc, s7, v6
	v_or_b32_e32 v35, 3, v1
	s_waitcnt lgkmcnt(1)
	;;#ASMSTART
	v_cvt_f16_f32 v21, v2;

	;;#ASMEND
	;;#ASMSTART
	v_cvt_f16_f32 v23, v3;

	;;#ASMEND
	;; [unrolled: 4-line block ×4, first 2 shown]
	s_waitcnt lgkmcnt(0)
	;;#ASMSTART
	v_cvt_f16_f32 v44, v24;

	;;#ASMEND
	;;#ASMSTART
	v_cvt_f16_f32 v45, v25;

	;;#ASMEND
	;; [unrolled: 4-line block ×4, first 2 shown]
	v_or_b32_e32 v29, 2, v1
	v_or_b32_e32 v37, 5, v1
	;; [unrolled: 1-line block ×5, first 2 shown]
	s_waitcnt vmcnt(0)
	v_mad_i64_i32 v[2:3], s[0:1], v7, s5, 0
	v_lshl_add_u64 v[24:25], v[2:3], 1, s[8:9]
	v_lshl_add_u64 v[26:27], v[24:25], 0, v[18:19]
	global_load_dwordx4 v[2:5], v[26:27], off
	v_add_u32_e32 v7, 1, v1
	s_and_saveexec_b64 s[12:13], vcc
	s_cbranch_execz .LBB121_45
; %bb.44:                               ;   in Loop: Header=BB121_43 Depth=1
	s_waitcnt vmcnt(0)
	v_lshrrev_b32_e32 v40, 16, v5
	v_cmp_gt_i32_e64 s[0:1], s24, v43
	s_nop 1
	v_cndmask_b32_e64 v40, 0, v40, s[0:1]
	v_cmp_gt_i32_e64 s[0:1], s19, v42
	s_nop 1
	v_cndmask_b32_e64 v5, 0, v5, s[0:1]
	v_perm_b32 v5, v40, v5, s26
	v_lshrrev_b32_e32 v40, 16, v4
	v_cmp_gt_i32_e64 s[0:1], s18, v37
	s_nop 1
	v_cndmask_b32_e64 v40, 0, v40, s[0:1]
	v_cmp_gt_i32_e64 s[0:1], s17, v36
	s_nop 1
	v_cndmask_b32_e64 v4, 0, v4, s[0:1]
	v_perm_b32 v4, v40, v4, s26
	;; [unrolled: 8-line block ×4, first 2 shown]
.LBB121_45:                             ;   in Loop: Header=BB121_43 Depth=1
	s_or_b64 exec, exec, s[12:13]
	v_and_b32_e32 v21, 0xffff, v21
	v_lshl_or_b32 v41, v23, 16, v21
	v_and_b32_e32 v21, 0xffff, v38
	v_lshl_or_b32 v40, v39, 16, v21
	;; [unrolled: 2-line block ×3, first 2 shown]
	v_and_b32_e32 v21, 0xffff, v46
	s_waitcnt vmcnt(0)
	;;#ASMSTART
	v_pk_mul_f16 v2, v41, v2;

	;;#ASMEND
	v_lshl_or_b32 v38, v47, 16, v21
	;;#ASMSTART
	v_pk_mul_f16 v3, v40, v3;

	;;#ASMEND
	;;#ASMSTART
	v_pk_mul_f16 v4, v39, v4;

	;;#ASMEND
	;; [unrolled: 4-line block ×3, first 2 shown]
	s_nop 0
	;;#ASMSTART
	v_pk_add_f16 v2, v2, v3;

	;;#ASMEND
	s_nop 0
	;;#ASMSTART
	v_pk_add_f16 v2, v2, v4;

	;;#ASMEND
	;; [unrolled: 5-line block ×3, first 2 shown]
	s_nop 0
	v_lshrrev_b32_e32 v3, 16, v2
	v_and_b32_e32 v2, 0xffff, v2
	;;#ASMSTART
	v_cvt_f32_f16 v44, v2;
	;;#ASMEND
	;;#ASMSTART
	v_cvt_f32_f16 v45, v3;
	;;#ASMEND
	global_load_dwordx4 v[2:5], v[26:27], off offset:1024
	s_and_saveexec_b64 s[12:13], vcc
	s_cbranch_execz .LBB121_47
; %bb.46:                               ;   in Loop: Header=BB121_43 Depth=1
	s_waitcnt vmcnt(0)
	v_lshrrev_b32_e32 v21, 16, v5
	v_cmp_gt_i32_e64 s[0:1], s24, v43
	s_nop 1
	v_cndmask_b32_e64 v21, 0, v21, s[0:1]
	v_cmp_gt_i32_e64 s[0:1], s19, v42
	s_nop 1
	v_cndmask_b32_e64 v5, 0, v5, s[0:1]
	v_perm_b32 v5, v21, v5, s26
	v_lshrrev_b32_e32 v21, 16, v4
	v_cmp_gt_i32_e64 s[0:1], s18, v37
	s_nop 1
	v_cndmask_b32_e64 v21, 0, v21, s[0:1]
	v_cmp_gt_i32_e64 s[0:1], s17, v36
	s_nop 1
	v_cndmask_b32_e64 v4, 0, v4, s[0:1]
	v_perm_b32 v4, v21, v4, s26
	;; [unrolled: 8-line block ×4, first 2 shown]
.LBB121_47:                             ;   in Loop: Header=BB121_43 Depth=1
	s_or_b64 exec, exec, s[12:13]
	s_waitcnt vmcnt(0)
	;;#ASMSTART
	v_pk_mul_f16 v2, v41, v2;

	;;#ASMEND
	;;#ASMSTART
	v_pk_mul_f16 v3, v40, v3;

	;;#ASMEND
	;; [unrolled: 4-line block ×4, first 2 shown]
	s_nop 0
	;;#ASMSTART
	v_pk_add_f16 v2, v2, v3;

	;;#ASMEND
	s_nop 0
	;;#ASMSTART
	v_pk_add_f16 v2, v2, v4;

	;;#ASMEND
	;; [unrolled: 5-line block ×3, first 2 shown]
	s_nop 0
	v_lshrrev_b32_e32 v3, 16, v2
	v_and_b32_e32 v2, 0xffff, v2
	;;#ASMSTART
	v_cvt_f32_f16 v46, v2;
	;;#ASMEND
	;;#ASMSTART
	v_cvt_f32_f16 v47, v3;
	;;#ASMEND
	global_load_dwordx4 v[2:5], v[26:27], off offset:2048
	s_and_saveexec_b64 s[12:13], vcc
	s_cbranch_execz .LBB121_49
; %bb.48:                               ;   in Loop: Header=BB121_43 Depth=1
	s_waitcnt vmcnt(0)
	v_lshrrev_b32_e32 v21, 16, v5
	v_cmp_gt_i32_e64 s[0:1], s24, v43
	s_nop 1
	v_cndmask_b32_e64 v21, 0, v21, s[0:1]
	v_cmp_gt_i32_e64 s[0:1], s19, v42
	s_nop 1
	v_cndmask_b32_e64 v5, 0, v5, s[0:1]
	v_perm_b32 v5, v21, v5, s26
	v_lshrrev_b32_e32 v21, 16, v4
	v_cmp_gt_i32_e64 s[0:1], s18, v37
	s_nop 1
	v_cndmask_b32_e64 v21, 0, v21, s[0:1]
	v_cmp_gt_i32_e64 s[0:1], s17, v36
	s_nop 1
	v_cndmask_b32_e64 v4, 0, v4, s[0:1]
	v_perm_b32 v4, v21, v4, s26
	;; [unrolled: 8-line block ×4, first 2 shown]
.LBB121_49:                             ;   in Loop: Header=BB121_43 Depth=1
	s_or_b64 exec, exec, s[12:13]
	s_waitcnt vmcnt(0)
	;;#ASMSTART
	v_pk_mul_f16 v2, v41, v2;

	;;#ASMEND
	;;#ASMSTART
	v_pk_mul_f16 v3, v40, v3;

	;;#ASMEND
	;; [unrolled: 4-line block ×4, first 2 shown]
	s_nop 0
	;;#ASMSTART
	v_pk_add_f16 v2, v2, v3;

	;;#ASMEND
	s_nop 0
	;;#ASMSTART
	v_pk_add_f16 v2, v2, v4;

	;;#ASMEND
	;; [unrolled: 5-line block ×3, first 2 shown]
	s_nop 0
	v_lshrrev_b32_e32 v3, 16, v2
	v_and_b32_e32 v2, 0xffff, v2
	;;#ASMSTART
	v_cvt_f32_f16 v48, v2;
	;;#ASMEND
	;;#ASMSTART
	v_cvt_f32_f16 v49, v3;
	;;#ASMEND
	global_load_dwordx4 v[2:5], v[26:27], off offset:3072
	s_and_saveexec_b64 s[12:13], vcc
	s_cbranch_execz .LBB121_51
; %bb.50:                               ;   in Loop: Header=BB121_43 Depth=1
	s_waitcnt vmcnt(0)
	v_lshrrev_b32_e32 v21, 16, v5
	v_cmp_gt_i32_e64 s[0:1], s24, v43
	s_nop 1
	v_cndmask_b32_e64 v21, 0, v21, s[0:1]
	v_cmp_gt_i32_e64 s[0:1], s19, v42
	s_nop 1
	v_cndmask_b32_e64 v5, 0, v5, s[0:1]
	v_perm_b32 v5, v21, v5, s26
	v_lshrrev_b32_e32 v21, 16, v4
	v_cmp_gt_i32_e64 s[0:1], s18, v37
	s_nop 1
	v_cndmask_b32_e64 v21, 0, v21, s[0:1]
	v_cmp_gt_i32_e64 s[0:1], s17, v36
	s_nop 1
	v_cndmask_b32_e64 v4, 0, v4, s[0:1]
	v_perm_b32 v4, v21, v4, s26
	;; [unrolled: 8-line block ×4, first 2 shown]
.LBB121_51:                             ;   in Loop: Header=BB121_43 Depth=1
	s_or_b64 exec, exec, s[12:13]
	s_waitcnt vmcnt(0)
	;;#ASMSTART
	v_pk_mul_f16 v2, v41, v2;

	;;#ASMEND
	;;#ASMSTART
	v_pk_mul_f16 v3, v40, v3;

	;;#ASMEND
	;; [unrolled: 4-line block ×4, first 2 shown]
	s_nop 0
	;;#ASMSTART
	v_pk_add_f16 v2, v2, v3;

	;;#ASMEND
	s_nop 0
	;;#ASMSTART
	v_pk_add_f16 v2, v2, v4;

	;;#ASMEND
	;; [unrolled: 5-line block ×3, first 2 shown]
	s_nop 0
	v_lshrrev_b32_e32 v3, 16, v2
	v_and_b32_e32 v2, 0xffff, v2
	;;#ASMSTART
	v_cvt_f32_f16 v26, v2;
	;;#ASMEND
	;;#ASMSTART
	v_cvt_f32_f16 v27, v3;
	;;#ASMEND
	v_lshl_add_u64 v[2:3], v[24:25], 0, v[14:15]
	global_load_dwordx4 v[2:5], v[2:3], off
	s_and_saveexec_b64 s[12:13], vcc
	s_cbranch_execz .LBB121_53
; %bb.52:                               ;   in Loop: Header=BB121_43 Depth=1
	s_waitcnt vmcnt(0)
	v_lshrrev_b32_e32 v21, 16, v5
	v_cmp_gt_i32_e64 s[0:1], s24, v43
	s_nop 1
	v_cndmask_b32_e64 v21, 0, v21, s[0:1]
	v_cmp_gt_i32_e64 s[0:1], s19, v42
	s_nop 1
	v_cndmask_b32_e64 v5, 0, v5, s[0:1]
	v_perm_b32 v5, v21, v5, s26
	v_lshrrev_b32_e32 v21, 16, v4
	v_cmp_gt_i32_e64 s[0:1], s18, v37
	s_nop 1
	v_cndmask_b32_e64 v21, 0, v21, s[0:1]
	v_cmp_gt_i32_e64 s[0:1], s17, v36
	s_nop 1
	v_cndmask_b32_e64 v4, 0, v4, s[0:1]
	v_perm_b32 v4, v21, v4, s26
	;; [unrolled: 8-line block ×4, first 2 shown]
.LBB121_53:                             ;   in Loop: Header=BB121_43 Depth=1
	s_or_b64 exec, exec, s[12:13]
	s_waitcnt vmcnt(0)
	;;#ASMSTART
	v_pk_mul_f16 v2, v41, v2;

	;;#ASMEND
	;;#ASMSTART
	v_pk_mul_f16 v3, v40, v3;

	;;#ASMEND
	;; [unrolled: 4-line block ×4, first 2 shown]
	v_mov_b32_e32 v21, v15
	;;#ASMSTART
	v_pk_add_f16 v2, v2, v3;

	;;#ASMEND
	s_nop 0
	;;#ASMSTART
	v_pk_add_f16 v2, v2, v4;

	;;#ASMEND
	s_nop 0
	;;#ASMSTART
	v_pk_add_f16 v2, v2, v5;

	;;#ASMEND
	s_nop 0
	v_lshrrev_b32_e32 v3, 16, v2
	v_and_b32_e32 v2, 0xffff, v2
	;;#ASMSTART
	v_cvt_f32_f16 v50, v2;
	;;#ASMEND
	;;#ASMSTART
	v_cvt_f32_f16 v51, v3;
	;;#ASMEND
	v_lshl_add_u64 v[2:3], v[24:25], 0, v[20:21]
	global_load_dwordx4 v[2:5], v[2:3], off
	s_and_saveexec_b64 s[12:13], vcc
	s_cbranch_execz .LBB121_55
; %bb.54:                               ;   in Loop: Header=BB121_43 Depth=1
	s_waitcnt vmcnt(0)
	v_lshrrev_b32_e32 v21, 16, v5
	v_cmp_gt_i32_e64 s[0:1], s24, v43
	s_nop 1
	v_cndmask_b32_e64 v21, 0, v21, s[0:1]
	v_cmp_gt_i32_e64 s[0:1], s19, v42
	s_nop 1
	v_cndmask_b32_e64 v5, 0, v5, s[0:1]
	v_perm_b32 v5, v21, v5, s26
	v_lshrrev_b32_e32 v21, 16, v4
	v_cmp_gt_i32_e64 s[0:1], s18, v37
	s_nop 1
	v_cndmask_b32_e64 v21, 0, v21, s[0:1]
	v_cmp_gt_i32_e64 s[0:1], s17, v36
	s_nop 1
	v_cndmask_b32_e64 v4, 0, v4, s[0:1]
	v_perm_b32 v4, v21, v4, s26
	;; [unrolled: 8-line block ×4, first 2 shown]
.LBB121_55:                             ;   in Loop: Header=BB121_43 Depth=1
	s_or_b64 exec, exec, s[12:13]
	s_waitcnt vmcnt(0)
	;;#ASMSTART
	v_pk_mul_f16 v2, v41, v2;

	;;#ASMEND
	;;#ASMSTART
	v_pk_mul_f16 v3, v40, v3;

	;;#ASMEND
	;; [unrolled: 4-line block ×4, first 2 shown]
	v_mov_b32_e32 v23, v15
	;;#ASMSTART
	v_pk_add_f16 v2, v2, v3;

	;;#ASMEND
	s_nop 0
	;;#ASMSTART
	v_pk_add_f16 v2, v2, v4;

	;;#ASMEND
	s_nop 0
	;;#ASMSTART
	v_pk_add_f16 v2, v2, v5;

	;;#ASMEND
	s_nop 0
	v_lshrrev_b32_e32 v3, 16, v2
	v_and_b32_e32 v2, 0xffff, v2
	;;#ASMSTART
	v_cvt_f32_f16 v21, v2;
	;;#ASMEND
	;;#ASMSTART
	v_cvt_f32_f16 v52, v3;
	;;#ASMEND
	v_lshl_add_u64 v[2:3], v[24:25], 0, v[22:23]
	global_load_dwordx4 v[2:5], v[2:3], off
	s_and_saveexec_b64 s[0:1], vcc
	s_cbranch_execz .LBB121_42
; %bb.56:                               ;   in Loop: Header=BB121_43 Depth=1
	s_waitcnt vmcnt(0)
	v_lshrrev_b32_e32 v23, 16, v5
	v_cmp_gt_i32_e32 vcc, s24, v43
	s_nop 1
	v_cndmask_b32_e32 v23, 0, v23, vcc
	v_cmp_gt_i32_e32 vcc, s19, v42
	s_nop 1
	v_cndmask_b32_e32 v5, 0, v5, vcc
	v_perm_b32 v5, v23, v5, s26
	v_lshrrev_b32_e32 v23, 16, v4
	v_cmp_gt_i32_e32 vcc, s18, v37
	s_nop 1
	v_cndmask_b32_e32 v23, 0, v23, vcc
	v_cmp_gt_i32_e32 vcc, s17, v36
	s_nop 1
	v_cndmask_b32_e32 v4, 0, v4, vcc
	v_perm_b32 v4, v23, v4, s26
	v_lshrrev_b32_e32 v23, 16, v3
	v_cmp_gt_i32_e32 vcc, s16, v35
	s_nop 1
	v_cndmask_b32_e32 v23, 0, v23, vcc
	v_cmp_gt_i32_e32 vcc, s15, v29
	s_nop 1
	v_cndmask_b32_e32 v3, 0, v3, vcc
	v_perm_b32 v3, v23, v3, s26
	v_lshrrev_b32_e32 v23, 16, v2
	v_cmp_gt_i32_e32 vcc, s14, v7
	s_nop 1
	v_cndmask_b32_e32 v7, 0, v23, vcc
	v_cmp_gt_i32_e32 vcc, s25, v1
	s_nop 1
	v_cndmask_b32_e32 v2, 0, v2, vcc
	v_perm_b32 v2, v7, v2, s26
	s_branch .LBB121_42
.LBB121_57:
	s_or_b64 exec, exec, s[10:11]
.LBB121_58:
	s_or_b64 exec, exec, s[2:3]
	ds_bpermute_b32 v2, v31, v12
	ds_bpermute_b32 v3, v31, v13
	;; [unrolled: 1-line block ×5, first 2 shown]
	s_waitcnt lgkmcnt(0)
	v_pk_add_f32 v[2:3], v[12:13], v[2:3]
	ds_bpermute_b32 v12, v31, v8
	ds_bpermute_b32 v13, v31, v9
	v_add_f32_e32 v1, v34, v1
	ds_bpermute_b32 v6, v32, v2
	ds_bpermute_b32 v7, v32, v3
	v_pk_add_f32 v[4:5], v[10:11], v[4:5]
	s_waitcnt lgkmcnt(2)
	v_pk_add_f32 v[12:13], v[8:9], v[12:13]
	ds_bpermute_b32 v16, v32, v1
	ds_bpermute_b32 v10, v32, v4
	;; [unrolled: 1-line block ×5, first 2 shown]
	s_waitcnt lgkmcnt(5)
	v_pk_add_f32 v[8:9], v[2:3], v[6:7]
	s_waitcnt lgkmcnt(4)
	v_add_f32_e32 v6, v1, v16
	v_and_b32_e32 v1, 0x3c3, v0
	s_waitcnt lgkmcnt(2)
	v_pk_add_f32 v[4:5], v[4:5], v[10:11]
	s_waitcnt lgkmcnt(0)
	v_pk_add_f32 v[2:3], v[12:13], v[14:15]
	v_cmp_eq_u32_e32 vcc, 64, v1
	s_barrier
	s_and_saveexec_b64 s[0:1], vcc
	s_cbranch_execz .LBB121_60
; %bb.59:
	v_add_u32_e32 v7, 0xf0, v30
	ds_write2_b32 v7, v8, v9 offset1:16
	ds_write2_b32 v7, v4, v5 offset0:32 offset1:48
	ds_write2_b32 v7, v2, v3 offset0:64 offset1:80
	ds_write_b32 v7, v6 offset:384
.LBB121_60:
	s_or_b64 exec, exec, s[0:1]
	v_cmp_gt_u32_e32 vcc, 64, v0
	s_waitcnt lgkmcnt(0)
	s_barrier
	s_and_saveexec_b64 s[0:1], vcc
	s_cbranch_execz .LBB121_70
; %bb.61:
	v_cmp_eq_u32_e32 vcc, 0, v33
	v_lshrrev_b32_e32 v7, 2, v0
	s_and_saveexec_b64 s[2:3], vcc
	s_cbranch_execnz .LBB121_73
; %bb.62:
	s_or_b64 exec, exec, s[2:3]
	s_and_saveexec_b64 s[2:3], vcc
	s_cbranch_execnz .LBB121_74
.LBB121_63:
	s_or_b64 exec, exec, s[2:3]
	s_and_saveexec_b64 s[2:3], vcc
	s_cbranch_execnz .LBB121_75
.LBB121_64:
	s_or_b64 exec, exec, s[2:3]
	s_and_saveexec_b64 s[2:3], vcc
	s_cbranch_execnz .LBB121_76
.LBB121_65:
	s_or_b64 exec, exec, s[2:3]
	s_and_saveexec_b64 s[2:3], vcc
	s_cbranch_execnz .LBB121_77
.LBB121_66:
	s_or_b64 exec, exec, s[2:3]
	s_and_saveexec_b64 s[2:3], vcc
	s_cbranch_execnz .LBB121_78
.LBB121_67:
	s_or_b64 exec, exec, s[2:3]
	s_and_saveexec_b64 s[2:3], vcc
	s_cbranch_execz .LBB121_69
.LBB121_68:
	v_mov_b32_e32 v10, 0xf0
	v_lshl_add_u32 v7, v7, 2, v10
	ds_read_b32 v7, v7 offset:384
	s_waitcnt lgkmcnt(0)
	v_add_f32_e32 v6, v6, v7
.LBB121_69:
	s_or_b64 exec, exec, s[2:3]
.LBB121_70:
	s_or_b64 exec, exec, s[0:1]
	v_cmp_eq_u32_e32 vcc, 0, v1
	s_barrier
	s_and_saveexec_b64 s[0:1], vcc
	s_cbranch_execz .LBB121_72
; %bb.71:
	s_mul_i32 s0, s6, 0x70
	s_ashr_i32 s1, s0, 31
	s_lshl_b64 s[0:1], s[0:1], 1
	s_add_u32 s2, s22, s0
	s_mul_i32 s0, s21, s20
	s_addc_u32 s3, s23, s1
	s_ashr_i32 s1, s0, 31
	s_lshl_b64 s[0:1], s[0:1], 1
	s_add_u32 s2, s2, s0
	s_mul_i32 s0, s4, 0x70
	s_addc_u32 s3, s3, s1
	s_ashr_i32 s1, s0, 31
	s_lshl_b64 s[0:1], s[0:1], 1
	s_add_u32 s0, s2, s0
	s_addc_u32 s1, s3, s1
	v_lshrrev_b32_e32 v0, 1, v0
	;;#ASMSTART
	v_cvt_f16_f32 v1, v8;

	;;#ASMEND
	global_store_short v0, v1, s[0:1]
	;;#ASMSTART
	v_cvt_f16_f32 v1, v9;

	;;#ASMEND
	global_store_short v0, v1, s[0:1] offset:32
	;;#ASMSTART
	v_cvt_f16_f32 v1, v4;

	;;#ASMEND
	global_store_short v0, v1, s[0:1] offset:64
	;; [unrolled: 5-line block ×6, first 2 shown]
.LBB121_72:
	s_endpgm
.LBB121_73:
	v_mov_b32_e32 v10, 0xf0
	v_lshl_add_u32 v10, v7, 2, v10
	ds_read_b32 v10, v10
	s_waitcnt lgkmcnt(0)
	v_add_f32_e32 v8, v8, v10
	s_or_b64 exec, exec, s[2:3]
	s_and_saveexec_b64 s[2:3], vcc
	s_cbranch_execz .LBB121_63
.LBB121_74:
	v_mov_b32_e32 v10, 0xf0
	v_lshl_add_u32 v10, v7, 2, v10
	ds_read_b32 v10, v10 offset:64
	s_waitcnt lgkmcnt(0)
	v_add_f32_e32 v9, v9, v10
	s_or_b64 exec, exec, s[2:3]
	s_and_saveexec_b64 s[2:3], vcc
	s_cbranch_execz .LBB121_64
.LBB121_75:
	v_mov_b32_e32 v10, 0xf0
	v_lshl_add_u32 v10, v7, 2, v10
	ds_read_b32 v10, v10 offset:128
	s_waitcnt lgkmcnt(0)
	v_add_f32_e32 v4, v4, v10
	s_or_b64 exec, exec, s[2:3]
	s_and_saveexec_b64 s[2:3], vcc
	s_cbranch_execz .LBB121_65
.LBB121_76:
	v_mov_b32_e32 v10, 0xf0
	v_lshl_add_u32 v10, v7, 2, v10
	ds_read_b32 v10, v10 offset:192
	s_waitcnt lgkmcnt(0)
	v_add_f32_e32 v5, v5, v10
	s_or_b64 exec, exec, s[2:3]
	s_and_saveexec_b64 s[2:3], vcc
	s_cbranch_execz .LBB121_66
.LBB121_77:
	v_mov_b32_e32 v10, 0xf0
	v_lshl_add_u32 v10, v7, 2, v10
	ds_read_b32 v10, v10 offset:256
	s_waitcnt lgkmcnt(0)
	v_add_f32_e32 v2, v2, v10
	s_or_b64 exec, exec, s[2:3]
	s_and_saveexec_b64 s[2:3], vcc
	s_cbranch_execz .LBB121_67
.LBB121_78:
	v_mov_b32_e32 v10, 0xf0
	v_lshl_add_u32 v10, v7, 2, v10
	ds_read_b32 v10, v10 offset:320
	s_waitcnt lgkmcnt(0)
	v_add_f32_e32 v3, v3, v10
	s_or_b64 exec, exec, s[2:3]
	s_and_saveexec_b64 s[2:3], vcc
	s_cbranch_execnz .LBB121_68
	s_branch .LBB121_69
	.section	.rodata,"a",@progbits
	.p2align	6, 0x0
	.amdhsa_kernel _ZN4vllm25paged_attention_v2_kernelIttLi112ELi32ELi128ELNS_18Fp8KVCacheDataTypeE0ELb0ELi512EEEvPfS2_PT_PKS3_PKT0_S9_ifPKiSB_iPKfiiiSD_SD_iiiii
		.amdhsa_group_segment_fixed_size 240
		.amdhsa_private_segment_fixed_size 0
		.amdhsa_kernarg_size 400
		.amdhsa_user_sgpr_count 2
		.amdhsa_user_sgpr_dispatch_ptr 0
		.amdhsa_user_sgpr_queue_ptr 0
		.amdhsa_user_sgpr_kernarg_segment_ptr 1
		.amdhsa_user_sgpr_dispatch_id 0
		.amdhsa_user_sgpr_kernarg_preload_length 0
		.amdhsa_user_sgpr_kernarg_preload_offset 0
		.amdhsa_user_sgpr_private_segment_size 0
		.amdhsa_uses_dynamic_stack 0
		.amdhsa_enable_private_segment 0
		.amdhsa_system_sgpr_workgroup_id_x 1
		.amdhsa_system_sgpr_workgroup_id_y 1
		.amdhsa_system_sgpr_workgroup_id_z 1
		.amdhsa_system_sgpr_workgroup_info 0
		.amdhsa_system_vgpr_workitem_id 0
		.amdhsa_next_free_vgpr 76
		.amdhsa_next_free_sgpr 43
		.amdhsa_accum_offset 76
		.amdhsa_reserve_vcc 1
		.amdhsa_float_round_mode_32 0
		.amdhsa_float_round_mode_16_64 0
		.amdhsa_float_denorm_mode_32 3
		.amdhsa_float_denorm_mode_16_64 3
		.amdhsa_dx10_clamp 1
		.amdhsa_ieee_mode 1
		.amdhsa_fp16_overflow 0
		.amdhsa_tg_split 0
		.amdhsa_exception_fp_ieee_invalid_op 0
		.amdhsa_exception_fp_denorm_src 0
		.amdhsa_exception_fp_ieee_div_zero 0
		.amdhsa_exception_fp_ieee_overflow 0
		.amdhsa_exception_fp_ieee_underflow 0
		.amdhsa_exception_fp_ieee_inexact 0
		.amdhsa_exception_int_div_zero 0
	.end_amdhsa_kernel
	.section	.text._ZN4vllm25paged_attention_v2_kernelIttLi112ELi32ELi128ELNS_18Fp8KVCacheDataTypeE0ELb0ELi512EEEvPfS2_PT_PKS3_PKT0_S9_ifPKiSB_iPKfiiiSD_SD_iiiii,"axG",@progbits,_ZN4vllm25paged_attention_v2_kernelIttLi112ELi32ELi128ELNS_18Fp8KVCacheDataTypeE0ELb0ELi512EEEvPfS2_PT_PKS3_PKT0_S9_ifPKiSB_iPKfiiiSD_SD_iiiii,comdat
.Lfunc_end121:
	.size	_ZN4vllm25paged_attention_v2_kernelIttLi112ELi32ELi128ELNS_18Fp8KVCacheDataTypeE0ELb0ELi512EEEvPfS2_PT_PKS3_PKT0_S9_ifPKiSB_iPKfiiiSD_SD_iiiii, .Lfunc_end121-_ZN4vllm25paged_attention_v2_kernelIttLi112ELi32ELi128ELNS_18Fp8KVCacheDataTypeE0ELb0ELi512EEEvPfS2_PT_PKS3_PKT0_S9_ifPKiSB_iPKfiiiSD_SD_iiiii
                                        ; -- End function
	.section	.AMDGPU.csdata,"",@progbits
; Kernel info:
; codeLenInByte = 8416
; NumSgprs: 49
; NumVgprs: 76
; NumAgprs: 0
; TotalNumVgprs: 76
; ScratchSize: 0
; MemoryBound: 0
; FloatMode: 240
; IeeeMode: 1
; LDSByteSize: 240 bytes/workgroup (compile time only)
; SGPRBlocks: 6
; VGPRBlocks: 9
; NumSGPRsForWavesPerEU: 49
; NumVGPRsForWavesPerEU: 76
; AccumOffset: 76
; Occupancy: 6
; WaveLimiterHint : 1
; COMPUTE_PGM_RSRC2:SCRATCH_EN: 0
; COMPUTE_PGM_RSRC2:USER_SGPR: 2
; COMPUTE_PGM_RSRC2:TRAP_HANDLER: 0
; COMPUTE_PGM_RSRC2:TGID_X_EN: 1
; COMPUTE_PGM_RSRC2:TGID_Y_EN: 1
; COMPUTE_PGM_RSRC2:TGID_Z_EN: 1
; COMPUTE_PGM_RSRC2:TIDIG_COMP_CNT: 0
; COMPUTE_PGM_RSRC3_GFX90A:ACCUM_OFFSET: 18
; COMPUTE_PGM_RSRC3_GFX90A:TG_SPLIT: 0
	.section	.text._ZN4vllm25paged_attention_v2_kernelIttLi120ELi32ELi128ELNS_18Fp8KVCacheDataTypeE0ELb0ELi512EEEvPfS2_PT_PKS3_PKT0_S9_ifPKiSB_iPKfiiiSD_SD_iiiii,"axG",@progbits,_ZN4vllm25paged_attention_v2_kernelIttLi120ELi32ELi128ELNS_18Fp8KVCacheDataTypeE0ELb0ELi512EEEvPfS2_PT_PKS3_PKT0_S9_ifPKiSB_iPKfiiiSD_SD_iiiii,comdat
	.protected	_ZN4vllm25paged_attention_v2_kernelIttLi120ELi32ELi128ELNS_18Fp8KVCacheDataTypeE0ELb0ELi512EEEvPfS2_PT_PKS3_PKT0_S9_ifPKiSB_iPKfiiiSD_SD_iiiii ; -- Begin function _ZN4vllm25paged_attention_v2_kernelIttLi120ELi32ELi128ELNS_18Fp8KVCacheDataTypeE0ELb0ELi512EEEvPfS2_PT_PKS3_PKT0_S9_ifPKiSB_iPKfiiiSD_SD_iiiii
	.globl	_ZN4vllm25paged_attention_v2_kernelIttLi120ELi32ELi128ELNS_18Fp8KVCacheDataTypeE0ELb0ELi512EEEvPfS2_PT_PKS3_PKT0_S9_ifPKiSB_iPKfiiiSD_SD_iiiii
	.p2align	8
	.type	_ZN4vllm25paged_attention_v2_kernelIttLi120ELi32ELi128ELNS_18Fp8KVCacheDataTypeE0ELb0ELi512EEEvPfS2_PT_PKS3_PKT0_S9_ifPKiSB_iPKfiiiSD_SD_iiiii,@function
_ZN4vllm25paged_attention_v2_kernelIttLi120ELi32ELi128ELNS_18Fp8KVCacheDataTypeE0ELb0ELi512EEEvPfS2_PT_PKS3_PKT0_S9_ifPKiSB_iPKfiiiSD_SD_iiiii: ; @_ZN4vllm25paged_attention_v2_kernelIttLi120ELi32ELi128ELNS_18Fp8KVCacheDataTypeE0ELb0ELi512EEEvPfS2_PT_PKS3_PKT0_S9_ifPKiSB_iPKfiiiSD_SD_iiiii
; %bb.0:
	s_load_dwordx2 s[6:7], s[0:1], 0x40
	s_mov_b32 s24, s3
	s_ashr_i32 s25, s3, 31
	s_lshl_b64 s[8:9], s[24:25], 2
	s_waitcnt lgkmcnt(0)
	s_add_u32 s6, s6, s8
	s_addc_u32 s7, s7, s9
	s_load_dword s25, s[6:7], 0x0
	s_lshl_b32 s40, s4, 9
	s_waitcnt lgkmcnt(0)
	s_cmp_ge_i32 s40, s25
	s_cbranch_scc1 .LBB122_84
; %bb.1:
	s_load_dword s5, s[0:1], 0x90
	s_load_dwordx2 s[10:11], s[0:1], 0x30
	s_mov_b32 s41, 0
	s_waitcnt lgkmcnt(0)
	s_abs_i32 s7, s5
	s_abs_i32 s3, s10
	v_cvt_f32_u32_e32 v1, s3
	s_sub_i32 s8, 0, s3
	s_xor_b32 s6, s5, s10
	s_ashr_i32 s6, s6, 31
	v_rcp_iflag_f32_e32 v1, v1
	s_nop 0
	v_mul_f32_e32 v1, 0x4f7ffffe, v1
	v_cvt_u32_f32_e32 v1, v1
	s_nop 0
	v_readfirstlane_b32 s9, v1
	s_mul_i32 s8, s8, s9
	s_mul_hi_u32 s8, s9, s8
	s_add_i32 s9, s9, s8
	s_mul_hi_u32 s8, s7, s9
	s_mul_i32 s9, s8, s3
	s_sub_i32 s7, s7, s9
	s_add_i32 s10, s8, 1
	s_sub_i32 s9, s7, s3
	s_cmp_ge_u32 s7, s3
	s_cselect_b32 s8, s10, s8
	s_cselect_b32 s7, s9, s7
	s_add_i32 s9, s8, 1
	s_cmp_ge_u32 s7, s3
	s_cselect_b32 s3, s9, s8
	s_xor_b32 s3, s3, s6
	s_sub_i32 s10, s3, s6
	s_abs_i32 s8, s10
	v_cvt_f32_u32_e32 v1, s8
	s_load_dwordx2 s[6:7], s[0:1], 0x50
	s_sub_i32 s3, 0, s8
	s_abs_i32 s9, s2
	v_rcp_iflag_f32_e32 v1, v1
	s_nop 0
	v_mul_f32_e32 v1, 0x4f7ffffe, v1
	v_cvt_u32_f32_e32 v1, v1
	s_nop 0
	v_readfirstlane_b32 s12, v1
	s_mul_i32 s3, s3, s12
	s_mul_hi_u32 s3, s12, s3
	s_add_i32 s12, s12, s3
	s_waitcnt lgkmcnt(0)
	s_cmp_eq_u64 s[6:7], 0
	s_mul_hi_u32 s16, s9, s12
	s_cbranch_scc1 .LBB122_3
; %bb.2:
	s_ashr_i32 s3, s2, 31
	s_lshl_b64 s[12:13], s[2:3], 2
	s_add_u32 s6, s6, s12
	s_addc_u32 s7, s7, s13
	s_load_dword s41, s[6:7], 0x0
.LBB122_3:
	s_load_dwordx4 s[12:15], s[0:1], 0x58
	s_ashr_i32 s17, s2, 31
	s_ashr_i32 s18, s10, 31
	v_and_b32_e32 v4, 1, v0
	s_movk_i32 s3, 0x78
	s_mul_i32 s20, s2, 0x78
	v_cmp_gt_u32_e32 vcc, 30, v0
	v_lshlrev_b32_e32 v1, 3, v0
	s_and_saveexec_b64 s[6:7], vcc
	s_cbranch_execz .LBB122_5
; %bb.4:
	s_load_dwordx2 s[22:23], s[0:1], 0x18
	s_waitcnt lgkmcnt(0)
	s_mul_i32 s26, s24, s12
	s_ashr_i32 s27, s26, 31
	s_lshl_b64 s[26:27], s[26:27], 1
	v_lshlrev_b32_e32 v5, 2, v0
	s_add_u32 s10, s22, s26
	s_addc_u32 s12, s23, s27
	s_ashr_i32 s21, s20, 31
	s_lshl_b64 s[22:23], s[20:21], 1
	s_add_u32 s22, s10, s22
	s_addc_u32 s23, s12, s23
	global_load_dwordx2 v[2:3], v1, s[22:23]
	v_and_b32_e32 v5, 0xff8, v5
	v_mad_u32_u24 v5, v4, s3, v5
	s_waitcnt vmcnt(0)
	ds_write_b64 v5, v[2:3]
.LBB122_5:
	s_or_b64 exec, exec, s[6:7]
	s_add_i32 s3, s25, 31
	s_ashr_i32 s6, s3, 31
	s_lshr_b32 s6, s6, 27
	s_add_i32 s3, s3, s6
	s_lshl_b32 s10, s4, 4
	s_mul_i32 s7, s16, s8
	s_ashr_i32 s3, s3, 5
	s_add_i32 s6, s10, 16
	s_sub_i32 s7, s9, s7
	s_min_i32 s33, s6, s3
	s_xor_b32 s6, s17, s18
	s_add_i32 s9, s16, 1
	s_waitcnt lgkmcnt(0)
	s_sub_i32 s12, s7, s8
	s_cmp_ge_u32 s7, s8
	s_cselect_b32 s9, s9, s16
	s_cselect_b32 s7, s12, s7
	s_add_i32 s12, s9, 1
	s_cmp_ge_u32 s7, s8
	s_load_dwordx2 s[26:27], s[0:1], 0x38
	s_load_dword s8, s[0:1], 0x48
	v_lshrrev_b32_e32 v32, 6, v0
	s_cselect_b32 s7, s12, s9
	s_xor_b32 s7, s7, s6
	v_or_b32_e32 v6, s10, v32
	s_waitcnt lgkmcnt(0)
	s_mul_i32 s28, s24, s8
	s_sub_i32 s12, s7, s6
	s_ashr_i32 s29, s28, 31
	v_cmp_gt_i32_e64 s[8:9], s33, v6
	v_cmp_le_i32_e32 vcc, s33, v6
	v_mbcnt_lo_u32_b32 v8, -1, 0
	s_barrier
	s_waitcnt lgkmcnt(0)
                                        ; implicit-def: $sgpr15
                                        ; implicit-def: $vgpr36
                                        ; implicit-def: $vgpr35
	s_and_saveexec_b64 s[6:7], vcc
	s_xor_b64 s[6:7], exec, s[6:7]
; %bb.6:
	v_mbcnt_hi_u32_b32 v36, -1, v8
	v_and_b32_e32 v2, 64, v36
	v_add_u32_e32 v35, 64, v2
	s_mov_b32 s15, 0xff7fffff
                                        ; implicit-def: $vgpr4
                                        ; implicit-def: $vgpr8
; %bb.7:
	s_or_saveexec_b64 s[34:35], s[6:7]
	s_load_dwordx4 s[16:19], s[0:1], 0x0
	s_load_dwordx2 s[22:23], s[0:1], 0x10
	s_load_dwordx2 s[30:31], s[0:1], 0x28
	s_load_dword s21, s[0:1], 0x98
	v_mov_b32_e32 v34, s15
	s_mul_i32 s14, s12, s14
	v_ashrrev_i32_e32 v7, 31, v6
	v_lshlrev_b32_e32 v33, 5, v32
	s_xor_b64 exec, exec, s[34:35]
	s_cbranch_execz .LBB122_13
; %bb.8:
	s_load_dwordx2 s[0:1], s[0:1], 0x20
	s_ashr_i32 s15, s14, 31
	s_lshl_b64 s[6:7], s[14:15], 1
	v_bfe_u32 v5, v0, 1, 5
	v_lshlrev_b32_e32 v2, 4, v5
	s_waitcnt lgkmcnt(0)
	s_add_u32 s0, s0, s6
	s_addc_u32 s1, s1, s7
	v_mov_b32_e32 v3, 0
	v_lshl_add_u64 v[10:11], s[0:1], 0, v[2:3]
	s_sub_i32 s15, 1, s25
	s_lshl_b64 s[0:1], s[28:29], 2
	v_mul_u32_u24_e32 v37, 0x78, v4
	v_cmp_eq_u32_e32 vcc, 0, v4
	v_lshlrev_b32_e32 v4, 2, v5
	s_add_u32 s0, s26, s0
	v_mbcnt_hi_u32_b32 v36, -1, v8
	v_and_b32_e32 v2, 8, v1
	v_lshl_or_b32 v4, v32, 7, v4
	s_addc_u32 s1, s27, s1
	v_and_b32_e32 v8, 64, v36
	s_mov_b32 s12, s13
	v_lshl_add_u64 v[2:3], v[10:11], 0, v[2:3]
	v_cmp_neq_f32_e64 s[6:7], s41, 0
	v_add3_u32 v38, s40, v33, v5
	v_add_u32_e32 v39, 0x100, v4
	v_lshl_add_u64 v[4:5], v[6:7], 2, s[0:1]
	s_mov_b64 s[36:37], 0
	v_mov_b32_e32 v34, 0xff7fffff
	s_movk_i32 s42, 0x1000
	v_xor_b32_e32 v40, 1, v36
	v_add_u32_e32 v35, 64, v8
	v_mov_b32_e32 v41, v6
	s_branch .LBB122_10
.LBB122_9:                              ;   in Loop: Header=BB122_10 Depth=1
	s_or_b64 exec, exec, s[38:39]
	v_add_u32_e32 v41, 2, v41
	v_cmp_le_i32_e64 s[0:1], s33, v41
	v_add_u32_e32 v38, 64, v38
	v_add_u32_e32 v39, 0x100, v39
	s_or_b64 s[36:37], s[0:1], s[36:37]
	v_lshl_add_u64 v[4:5], v[4:5], 0, 8
	s_andn2_b64 exec, exec, s[36:37]
	s_cbranch_execz .LBB122_12
.LBB122_10:                             ; =>This Inner Loop Header: Depth=1
	global_load_dword v8, v[4:5], off
	s_waitcnt vmcnt(0) lgkmcnt(0)
	v_mad_i64_i32 v[8:9], s[0:1], v8, s12, 0
	v_lshl_add_u64 v[8:9], v[8:9], 1, v[2:3]
	global_load_dwordx2 v[44:45], v[8:9], off
	global_load_dwordx2 v[48:49], v[8:9], off offset:512
	global_load_dwordx2 v[50:51], v[8:9], off offset:1024
	;; [unrolled: 1-line block ×7, first 2 shown]
	v_add_co_u32_e64 v42, s[0:1], s42, v8
	s_waitcnt vmcnt(7)
	v_lshrrev_b32_e32 v54, 16, v44
	v_addc_co_u32_e64 v43, s[0:1], 0, v9, s[0:1]
	global_load_dwordx2 v[20:21], v[42:43], off
	global_load_dwordx2 v[18:19], v[42:43], off offset:512
	ds_read_b64 v[8:9], v37
	v_and_b32_e32 v56, 0xffff, v44
	v_lshrrev_b32_e32 v55, 16, v45
	v_and_b32_e32 v57, 0xffff, v45
	s_waitcnt vmcnt(2)
	v_lshrrev_b32_e32 v68, 16, v22
	s_waitcnt lgkmcnt(0)
	v_lshrrev_b32_e32 v46, 16, v8
	v_and_b32_e32 v47, 0xffff, v8
	v_lshrrev_b32_e32 v52, 16, v9
	v_and_b32_e32 v53, 0xffff, v9
	global_load_dwordx2 v[16:17], v[42:43], off offset:1024
	global_load_dwordx2 v[14:15], v[42:43], off offset:1536
	;; [unrolled: 1-line block ×5, first 2 shown]
	;;#ASMSTART
	v_cvt_f32_f16 v42, v47;
	;;#ASMEND
	;;#ASMSTART
	v_cvt_f32_f16 v43, v46;
	;;#ASMEND
	v_and_b32_e32 v69, 0xffff, v22
	v_lshrrev_b32_e32 v70, 16, v23
	v_and_b32_e32 v71, 0xffff, v23
	;;#ASMSTART
	v_cvt_f32_f16 v56, v56;
	;;#ASMEND
	;;#ASMSTART
	v_cvt_f32_f16 v54, v54;
	;;#ASMEND
	;; [unrolled: 3-line block ×6, first 2 shown]
	ds_read_b64 v[22:23], v37 offset:8
	v_lshrrev_b32_e32 v44, 16, v48
	v_and_b32_e32 v45, 0xffff, v48
	v_lshrrev_b32_e32 v47, 16, v49
	v_and_b32_e32 v49, 0xffff, v49
	;; [unrolled: 2-line block ×12, first 2 shown]
	v_cmp_lt_i32_e64 s[0:1], v40, v35
	s_waitcnt vmcnt(6)
	v_lshrrev_b32_e32 v72, 16, v20
	v_and_b32_e32 v73, 0xffff, v20
	v_lshrrev_b32_e32 v74, 16, v21
	v_and_b32_e32 v75, 0xffff, v21
	s_waitcnt lgkmcnt(0)
	v_and_b32_e32 v20, 0xffff, v22
	v_lshrrev_b32_e32 v21, 16, v22
	v_lshrrev_b32_e32 v22, 16, v23
	v_and_b32_e32 v23, 0xffff, v23
	;;#ASMSTART
	v_cvt_f32_f16 v20, v20;
	;;#ASMEND
	;;#ASMSTART
	v_cvt_f32_f16 v21, v21;
	;;#ASMEND
	;; [unrolled: 3-line block ×8, first 2 shown]
	ds_read_b64 v[24:25], v37 offset:16
	v_mul_f32_e32 v20, v20, v45
	v_mul_f32_e32 v21, v21, v44
	v_fmac_f32_e32 v20, v42, v56
	v_fmac_f32_e32 v21, v43, v54
	s_waitcnt lgkmcnt(0)
	v_lshrrev_b32_e32 v42, 16, v24
	v_and_b32_e32 v24, 0xffff, v24
	v_lshrrev_b32_e32 v43, 16, v25
	v_and_b32_e32 v25, 0xffff, v25
	v_mul_f32_e32 v22, v23, v22
	v_mul_f32_e32 v23, v77, v47
	;;#ASMSTART
	v_cvt_f32_f16 v44, v24;
	;;#ASMEND
	;;#ASMSTART
	v_cvt_f32_f16 v42, v42;
	;;#ASMEND
	;; [unrolled: 3-line block ×8, first 2 shown]
	ds_read_b64 v[24:25], v37 offset:24
	v_fmac_f32_e32 v23, v52, v55
	v_fmac_f32_e32 v22, v53, v57
	;; [unrolled: 1-line block ×4, first 2 shown]
	s_waitcnt lgkmcnt(0)
	v_lshrrev_b32_e32 v42, 16, v24
	v_and_b32_e32 v24, 0xffff, v24
	v_lshrrev_b32_e32 v43, 16, v25
	v_and_b32_e32 v25, 0xffff, v25
	v_fmac_f32_e32 v20, v44, v45
	v_fmac_f32_e32 v22, v47, v48
	;;#ASMSTART
	v_cvt_f32_f16 v44, v24;
	;;#ASMEND
	;;#ASMSTART
	v_cvt_f32_f16 v42, v42;
	;;#ASMEND
	;;#ASMSTART
	v_cvt_f32_f16 v30, v30;
	;;#ASMEND
	;;#ASMSTART
	v_cvt_f32_f16 v45, v58;
	;;#ASMEND
	;;#ASMSTART
	v_cvt_f32_f16 v46, v25;
	;;#ASMEND
	;;#ASMSTART
	v_cvt_f32_f16 v43, v43;
	;;#ASMEND
	;;#ASMSTART
	v_cvt_f32_f16 v31, v31;
	;;#ASMEND
	;;#ASMSTART
	v_cvt_f32_f16 v47, v59;
	;;#ASMEND
	ds_read_b64 v[24:25], v37 offset:32
	v_fmac_f32_e32 v20, v44, v30
	v_fmac_f32_e32 v22, v46, v31
	v_fmac_f32_e32 v21, v42, v45
	v_fmac_f32_e32 v23, v43, v47
	s_waitcnt lgkmcnt(0)
	v_lshrrev_b32_e32 v30, 16, v24
	v_and_b32_e32 v24, 0xffff, v24
	v_lshrrev_b32_e32 v31, 16, v25
	v_and_b32_e32 v25, 0xffff, v25
	;;#ASMSTART
	v_cvt_f32_f16 v42, v24;
	;;#ASMEND
	;;#ASMSTART
	v_cvt_f32_f16 v30, v30;
	;;#ASMEND
	;;#ASMSTART
	v_cvt_f32_f16 v28, v28;
	;;#ASMEND
	;;#ASMSTART
	v_cvt_f32_f16 v43, v60;
	;;#ASMEND
	;;#ASMSTART
	v_cvt_f32_f16 v44, v25;
	;;#ASMEND
	;;#ASMSTART
	v_cvt_f32_f16 v31, v31;
	;;#ASMEND
	;;#ASMSTART
	v_cvt_f32_f16 v29, v29;
	;;#ASMEND
	;;#ASMSTART
	v_cvt_f32_f16 v45, v61;
	;;#ASMEND
	ds_read_b64 v[24:25], v37 offset:40
	v_fmac_f32_e32 v20, v42, v28
	v_fmac_f32_e32 v22, v44, v29
	v_fmac_f32_e32 v21, v30, v43
	v_fmac_f32_e32 v23, v31, v45
	s_waitcnt lgkmcnt(0)
	v_lshrrev_b32_e32 v28, 16, v24
	v_and_b32_e32 v24, 0xffff, v24
	v_lshrrev_b32_e32 v29, 16, v25
	v_and_b32_e32 v25, 0xffff, v25
	;; [unrolled: 34-line block ×5, first 2 shown]
	;;#ASMSTART
	v_cvt_f32_f16 v28, v24;
	;;#ASMEND
	;;#ASMSTART
	v_cvt_f32_f16 v26, v26;
	;;#ASMEND
	;; [unrolled: 3-line block ×8, first 2 shown]
	ds_read_b64 v[24:25], v37 offset:72
	s_waitcnt vmcnt(5)
	v_lshrrev_b32_e32 v76, 16, v18
	v_fmac_f32_e32 v21, v26, v30
	v_and_b32_e32 v18, 0xffff, v18
	v_fmac_f32_e32 v23, v27, v43
	s_waitcnt lgkmcnt(0)
	v_lshrrev_b32_e32 v26, 16, v24
	v_and_b32_e32 v24, 0xffff, v24
	;;#ASMSTART
	v_cvt_f32_f16 v24, v24;
	;;#ASMEND
	;;#ASMSTART
	v_cvt_f32_f16 v26, v26;
	;;#ASMEND
	;; [unrolled: 3-line block ×3, first 2 shown]
	v_lshrrev_b32_e32 v18, 16, v25
	v_and_b32_e32 v25, 0xffff, v25
	v_fmac_f32_e32 v20, v28, v29
	;;#ASMSTART
	v_cvt_f32_f16 v28, v76;
	;;#ASMEND
	;;#ASMSTART
	v_cvt_f32_f16 v25, v25;
	;;#ASMEND
	;;#ASMSTART
	v_cvt_f32_f16 v29, v18;
	;;#ASMEND
	v_lshrrev_b32_e32 v18, 16, v19
	v_and_b32_e32 v19, 0xffff, v19
	v_fmac_f32_e32 v22, v31, v42
	;;#ASMSTART
	v_cvt_f32_f16 v30, v19;
	;;#ASMEND
	;;#ASMSTART
	v_cvt_f32_f16 v31, v18;
	;;#ASMEND
	ds_read_b64 v[18:19], v37 offset:80
	v_fmac_f32_e32 v20, v24, v27
	v_fmac_f32_e32 v22, v25, v30
	s_waitcnt vmcnt(4)
	v_lshrrev_b32_e32 v25, 16, v16
	v_and_b32_e32 v16, 0xffff, v16
	s_waitcnt lgkmcnt(0)
	v_lshrrev_b32_e32 v24, 16, v18
	v_and_b32_e32 v18, 0xffff, v18
	v_fmac_f32_e32 v21, v26, v28
	;;#ASMSTART
	v_cvt_f32_f16 v18, v18;
	;;#ASMEND
	;;#ASMSTART
	v_cvt_f32_f16 v24, v24;
	;;#ASMEND
	;;#ASMSTART
	v_cvt_f32_f16 v26, v16;
	;;#ASMEND
	v_lshrrev_b32_e32 v16, 16, v19
	v_and_b32_e32 v19, 0xffff, v19
	;;#ASMSTART
	v_cvt_f32_f16 v25, v25;
	;;#ASMEND
	;;#ASMSTART
	v_cvt_f32_f16 v19, v19;
	;;#ASMEND
	;;#ASMSTART
	v_cvt_f32_f16 v27, v16;
	;;#ASMEND
	v_lshrrev_b32_e32 v16, 16, v17
	v_and_b32_e32 v17, 0xffff, v17
	v_fmac_f32_e32 v23, v29, v31
	;;#ASMSTART
	v_cvt_f32_f16 v28, v17;
	;;#ASMEND
	;;#ASMSTART
	v_cvt_f32_f16 v29, v16;
	;;#ASMEND
	ds_read_b64 v[16:17], v37 offset:88
	v_fmac_f32_e32 v20, v18, v26
	v_fmac_f32_e32 v22, v19, v28
	s_waitcnt vmcnt(3)
	v_lshrrev_b32_e32 v19, 16, v14
	v_and_b32_e32 v14, 0xffff, v14
	s_waitcnt lgkmcnt(0)
	v_lshrrev_b32_e32 v18, 16, v16
	v_and_b32_e32 v16, 0xffff, v16
	v_fmac_f32_e32 v21, v24, v25
	;;#ASMSTART
	v_cvt_f32_f16 v16, v16;
	;;#ASMEND
	;;#ASMSTART
	v_cvt_f32_f16 v18, v18;
	;;#ASMEND
	;;#ASMSTART
	v_cvt_f32_f16 v24, v14;
	;;#ASMEND
	v_lshrrev_b32_e32 v14, 16, v17
	v_and_b32_e32 v17, 0xffff, v17
	;; [unrolled: 39-line block ×4, first 2 shown]
	;;#ASMSTART
	v_cvt_f32_f16 v15, v15;
	;;#ASMEND
	;;#ASMSTART
	v_cvt_f32_f16 v13, v13;
	;;#ASMEND
	;; [unrolled: 3-line block ×3, first 2 shown]
	v_lshrrev_b32_e32 v10, 16, v11
	v_and_b32_e32 v11, 0xffff, v11
	v_fmac_f32_e32 v23, v19, v25
	;;#ASMSTART
	v_cvt_f32_f16 v18, v11;
	;;#ASMEND
	;;#ASMSTART
	v_cvt_f32_f16 v19, v10;
	;;#ASMEND
	ds_read_b64 v[10:11], v37 offset:112
	v_fmac_f32_e32 v20, v12, v16
	v_fmac_f32_e32 v22, v13, v18
	s_waitcnt vmcnt(0)
	v_lshrrev_b32_e32 v13, 16, v8
	v_and_b32_e32 v8, 0xffff, v8
	s_waitcnt lgkmcnt(0)
	v_lshrrev_b32_e32 v12, 16, v10
	v_and_b32_e32 v10, 0xffff, v10
	;;#ASMSTART
	v_cvt_f32_f16 v10, v10;
	;;#ASMEND
	;;#ASMSTART
	v_cvt_f32_f16 v12, v12;
	;;#ASMEND
	;; [unrolled: 3-line block ×3, first 2 shown]
	v_fmac_f32_e32 v21, v14, v15
	v_fmac_f32_e32 v20, v10, v8
	v_lshrrev_b32_e32 v8, 16, v11
	v_and_b32_e32 v10, 0xffff, v11
	v_fmac_f32_e32 v23, v17, v19
	;;#ASMSTART
	v_cvt_f32_f16 v13, v13;
	;;#ASMEND
	;;#ASMSTART
	v_cvt_f32_f16 v10, v10;
	;;#ASMEND
	;; [unrolled: 3-line block ×3, first 2 shown]
	v_lshrrev_b32_e32 v11, 16, v9
	v_fmac_f32_e32 v21, v12, v13
	v_and_b32_e32 v9, 0xffff, v9
	;;#ASMSTART
	v_cvt_f32_f16 v9, v9;
	;;#ASMEND
	;;#ASMSTART
	v_cvt_f32_f16 v11, v11;
	;;#ASMEND
	s_nop 0
	v_fmac_f32_e32 v22, v10, v9
	v_fmac_f32_e32 v23, v8, v11
	v_add_f32_e32 v8, v20, v21
	v_add_f32_e32 v8, v8, v22
	v_cndmask_b32_e64 v9, v36, v40, s[0:1]
	v_add_f32_e32 v8, v23, v8
	v_lshlrev_b32_e32 v9, 2, v9
	ds_bpermute_b32 v9, v9, v8
	s_and_saveexec_b64 s[38:39], vcc
	s_cbranch_execz .LBB122_9
; %bb.11:                               ;   in Loop: Header=BB122_10 Depth=1
	v_add_u32_e32 v10, s15, v38
	v_cvt_f32_i32_e32 v10, v10
	s_waitcnt lgkmcnt(0)
	v_add_f32_e32 v8, v8, v9
	v_cmp_gt_i32_e64 s[0:1], s25, v38
	v_max_f32_e32 v9, v34, v34
	v_mul_f32_e32 v10, s41, v10
	v_cndmask_b32_e64 v10, 0, v10, s[6:7]
	v_fmac_f32_e32 v10, s11, v8
	v_cndmask_b32_e64 v8, 0, v10, s[0:1]
	ds_write_b32 v39, v8
	v_max_f32_e32 v8, v9, v10
	v_cndmask_b32_e64 v34, v34, v8, s[0:1]
	s_branch .LBB122_9
.LBB122_12:
	s_or_b64 exec, exec, s[36:37]
.LBB122_13:
	s_or_b64 exec, exec, s[34:35]
	v_xor_b32_e32 v2, 32, v36
	v_cmp_lt_i32_e32 vcc, v2, v35
	v_xor_b32_e32 v5, 16, v36
	v_max_f32_e32 v4, v34, v34
	v_cndmask_b32_e32 v2, v36, v2, vcc
	v_lshlrev_b32_e32 v2, 2, v2
	ds_bpermute_b32 v3, v2, v34
	v_cmp_lt_i32_e32 vcc, v5, v35
	v_xor_b32_e32 v8, 8, v36
	s_waitcnt lgkmcnt(0)
	v_xor_b32_e32 v9, 4, v36
	v_xor_b32_e32 v10, 2, v36
	v_max_f32_e32 v3, v3, v3
	v_max_f32_e32 v4, v4, v3
	v_cndmask_b32_e32 v3, v36, v5, vcc
	v_lshlrev_b32_e32 v3, 2, v3
	ds_bpermute_b32 v5, v3, v4
	v_cmp_lt_i32_e32 vcc, v8, v35
	s_waitcnt lgkmcnt(0)
	v_max_f32_e32 v5, v5, v5
	v_max_f32_e32 v4, v4, v5
	v_cndmask_b32_e32 v5, v36, v8, vcc
	v_lshlrev_b32_e32 v8, 2, v5
	ds_bpermute_b32 v5, v8, v4
	v_cmp_lt_i32_e32 vcc, v9, v35
	s_waitcnt lgkmcnt(0)
	;; [unrolled: 7-line block ×3, first 2 shown]
	v_max_f32_e32 v5, v5, v5
	v_max_f32_e32 v5, v4, v5
	v_cndmask_b32_e32 v4, v36, v10, vcc
	v_lshlrev_b32_e32 v34, 2, v4
	ds_bpermute_b32 v11, v34, v5
	v_and_b32_e32 v4, 63, v0
	v_cmp_eq_u32_e32 vcc, 0, v4
	v_lshlrev_b32_e32 v10, 2, v32
	s_and_saveexec_b64 s[0:1], vcc
	s_cbranch_execz .LBB122_15
; %bb.14:
	s_waitcnt lgkmcnt(0)
	v_max_f32_e32 v11, v11, v11
	v_max_f32_e32 v5, v5, v5
	;; [unrolled: 1-line block ×3, first 2 shown]
	ds_write_b32 v10, v5 offset:240
.LBB122_15:
	s_or_b64 exec, exec, s[0:1]
	v_cmp_gt_u32_e64 s[0:1], 2, v4
	v_mov_b32_e32 v5, 0xff7fffff
	s_waitcnt lgkmcnt(0)
	v_lshlrev_b32_e32 v11, 2, v4
	s_barrier
	s_and_saveexec_b64 s[6:7], s[0:1]
	s_cbranch_execz .LBB122_17
; %bb.16:
	ds_read_b32 v5, v11 offset:240
.LBB122_17:
	s_or_b64 exec, exec, s[6:7]
	v_xor_b32_e32 v12, 1, v36
	v_cmp_lt_i32_e64 s[6:7], v12, v35
	v_mov_b32_e32 v13, 0
	s_nop 0
	v_cndmask_b32_e64 v12, v36, v12, s[6:7]
	v_lshlrev_b32_e32 v35, 2, v12
	s_waitcnt lgkmcnt(0)
	ds_bpermute_b32 v12, v35, v5
	v_max_f32_e32 v5, v5, v5
	s_sub_i32 s6, s33, s10
	s_lshl_b32 s6, s6, 5
	s_add_i32 s6, s6, s40
	s_waitcnt lgkmcnt(0)
	v_max_f32_e32 v12, v12, v12
	v_max_f32_e32 v5, v5, v12
	v_lshlrev_b32_e32 v12, 2, v36
	v_and_b32_e32 v12, 0xffffff00, v12
	ds_bpermute_b32 v5, v12, v5
	s_min_i32 s15, s6, s25
	s_sub_i32 s12, s15, s40
	v_cmp_gt_i32_e64 s[6:7], s12, v0
	s_and_saveexec_b64 s[34:35], s[6:7]
	s_cbranch_execz .LBB122_21
; %bb.18:
	v_mov_b32_e32 v13, 0x100
	v_lshl_add_u32 v14, v0, 2, v13
	s_mov_b64 s[36:37], 0
	v_mov_b32_e32 v13, 0
	v_mov_b32_e32 v15, v0
.LBB122_19:                             ; =>This Inner Loop Header: Depth=1
	ds_read_b32 v16, v14
	v_add_u32_e32 v15, 0x80, v15
	v_cmp_le_i32_e64 s[10:11], s12, v15
	s_or_b64 s[36:37], s[10:11], s[36:37]
	s_waitcnt lgkmcnt(0)
	v_sub_f32_e32 v16, v16, v5
	v_mul_f32_e32 v16, 0x3fb8aa3b, v16
	v_exp_f32_e32 v16, v16
	ds_write_b32 v14, v16
	v_add_f32_e32 v13, v13, v16
	v_add_u32_e32 v14, 0x200, v14
	s_andn2_b64 exec, exec, s[36:37]
	s_cbranch_execnz .LBB122_19
; %bb.20:
	s_or_b64 exec, exec, s[36:37]
.LBB122_21:
	s_or_b64 exec, exec, s[34:35]
	ds_bpermute_b32 v2, v2, v13
	s_waitcnt lgkmcnt(0)
	v_add_f32_e32 v2, v13, v2
	ds_bpermute_b32 v3, v3, v2
	s_waitcnt lgkmcnt(0)
	v_add_f32_e32 v2, v2, v3
	;; [unrolled: 3-line block ×6, first 2 shown]
	s_and_saveexec_b64 s[10:11], vcc
	s_cbranch_execz .LBB122_23
; %bb.22:
	ds_write_b32 v10, v2 offset:248
.LBB122_23:
	s_or_b64 exec, exec, s[10:11]
	s_waitcnt lgkmcnt(0)
	s_barrier
	s_and_saveexec_b64 s[10:11], s[0:1]
	s_cbranch_execz .LBB122_25
; %bb.24:
	ds_read_b32 v2, v11 offset:248
.LBB122_25:
	s_or_b64 exec, exec, s[10:11]
	s_waitcnt lgkmcnt(0)
	ds_bpermute_b32 v3, v35, v2
	s_waitcnt lgkmcnt(0)
	v_add_f32_e32 v2, v2, v3
	ds_bpermute_b32 v8, v12, v2
	s_and_saveexec_b64 s[0:1], s[6:7]
	s_cbranch_execz .LBB122_38
; %bb.26:
	s_waitcnt lgkmcnt(0)
	v_add_f32_e32 v2, 0x358637bd, v8
	v_div_scale_f32 v3, s[6:7], v2, v2, 1.0
	v_rcp_f32_e32 v9, v3
	v_div_scale_f32 v10, vcc, 1.0, v2, 1.0
	s_movk_i32 s6, 0x7f
	v_fma_f32 v11, -v3, v9, 1.0
	v_fmac_f32_e32 v9, v11, v9
	v_mul_f32_e32 v11, v10, v9
	v_fma_f32 v12, -v3, v11, v10
	v_fmac_f32_e32 v11, v12, v9
	v_fma_f32 v3, -v3, v11, v10
	v_div_fmas_f32 v3, v3, v9, v11
	v_div_fixup_f32 v2, v3, v2, 1.0
	v_xad_u32 v3, v0, -1, s15
	v_subrev_u32_e32 v9, s40, v3
	v_cmp_lt_u32_e32 vcc, s6, v9
	s_mov_b64 s[10:11], -1
	v_mov_b32_e32 v3, v0
	s_and_saveexec_b64 s[6:7], vcc
	s_cbranch_execz .LBB122_35
; %bb.27:
	v_lshrrev_b32_e32 v9, 7, v9
	v_add_u32_e32 v11, -1, v9
	v_lshrrev_b32_e32 v10, 1, v11
	v_mov_b32_e32 v3, v2
	v_add_u32_e32 v10, 1, v10
	v_cmp_lt_u32_e32 vcc, 13, v11
	v_mov_b32_e32 v13, 0
	s_and_saveexec_b64 s[10:11], vcc
	s_cbranch_execz .LBB122_31
; %bb.28:
	v_mov_b32_e32 v12, 0x100
	v_and_b32_e32 v11, -8, v10
	v_lshl_add_u32 v12, v0, 2, v12
	s_mov_b32 s15, 0
	s_mov_b64 s[34:35], 0
.LBB122_29:                             ; =>This Inner Loop Header: Depth=1
	ds_read2st64_b32 v[14:15], v12 offset1:2
	ds_read2st64_b32 v[16:17], v12 offset0:4 offset1:6
	ds_read2st64_b32 v[18:19], v12 offset0:8 offset1:10
	;; [unrolled: 1-line block ×3, first 2 shown]
	v_add_u32_e32 v11, -8, v11
	s_waitcnt lgkmcnt(3)
	v_pk_mul_f32 v[14:15], v[2:3], v[14:15]
	s_waitcnt lgkmcnt(2)
	v_pk_mul_f32 v[16:17], v[2:3], v[16:17]
	ds_write2st64_b32 v12, v14, v15 offset1:2
	ds_write2st64_b32 v12, v16, v17 offset0:4 offset1:6
	ds_read2st64_b32 v[16:17], v12 offset0:16 offset1:18
	s_waitcnt lgkmcnt(4)
	v_pk_mul_f32 v[14:15], v[2:3], v[18:19]
	ds_write2st64_b32 v12, v14, v15 offset0:8 offset1:10
	s_waitcnt lgkmcnt(4)
	v_pk_mul_f32 v[14:15], v[2:3], v[20:21]
	ds_write2st64_b32 v12, v14, v15 offset0:12 offset1:14
	ds_read2st64_b32 v[14:15], v12 offset0:20 offset1:22
	s_waitcnt lgkmcnt(3)
	v_pk_mul_f32 v[16:17], v[2:3], v[16:17]
	ds_read2st64_b32 v[18:19], v12 offset0:24 offset1:26
	ds_write2st64_b32 v12, v16, v17 offset0:16 offset1:18
	ds_read2st64_b32 v[16:17], v12 offset0:28 offset1:30
	s_waitcnt lgkmcnt(3)
	v_pk_mul_f32 v[14:15], v[2:3], v[14:15]
	ds_write2st64_b32 v12, v14, v15 offset0:20 offset1:22
	s_waitcnt lgkmcnt(3)
	v_pk_mul_f32 v[14:15], v[2:3], v[18:19]
	ds_write2st64_b32 v12, v14, v15 offset0:24 offset1:26
	s_waitcnt lgkmcnt(2)
	v_pk_mul_f32 v[14:15], v[2:3], v[16:17]
	s_add_i32 s15, s15, 16
	v_cmp_eq_u32_e32 vcc, 0, v11
	ds_write2st64_b32 v12, v14, v15 offset0:28 offset1:30
	v_add_u32_e32 v12, 0x2000, v12
	s_or_b64 s[34:35], vcc, s[34:35]
	v_mov_b32_e32 v13, s15
	s_andn2_b64 exec, exec, s[34:35]
	s_cbranch_execnz .LBB122_29
; %bb.30:
	s_or_b64 exec, exec, s[34:35]
.LBB122_31:
	s_or_b64 exec, exec, s[10:11]
	v_and_b32_e32 v10, 7, v10
	v_cmp_ne_u32_e32 vcc, 0, v10
	s_and_saveexec_b64 s[10:11], vcc
	s_cbranch_execz .LBB122_34
; %bb.32:
	v_lshlrev_b32_e32 v11, 9, v13
	v_lshlrev_b32_e32 v12, 2, v0
	s_movk_i32 s15, 0x100
	v_add3_u32 v11, v11, v12, s15
	s_mov_b64 s[34:35], 0
.LBB122_33:                             ; =>This Inner Loop Header: Depth=1
	ds_read2st64_b32 v[12:13], v11 offset1:2
	v_add_u32_e32 v10, -1, v10
	v_cmp_eq_u32_e32 vcc, 0, v10
	s_or_b64 s[34:35], vcc, s[34:35]
	s_waitcnt lgkmcnt(0)
	v_pk_mul_f32 v[12:13], v[2:3], v[12:13]
	ds_write2st64_b32 v11, v12, v13 offset1:2
	v_add_u32_e32 v11, 0x400, v11
	s_andn2_b64 exec, exec, s[34:35]
	s_cbranch_execnz .LBB122_33
.LBB122_34:
	s_or_b64 exec, exec, s[10:11]
	v_add_u32_e32 v9, 1, v9
	v_and_b32_e32 v10, 0x3fffffe, v9
	v_cmp_ne_u32_e32 vcc, v9, v10
	v_lshl_add_u32 v3, v10, 7, v0
	s_orn2_b64 s[10:11], vcc, exec
.LBB122_35:
	s_or_b64 exec, exec, s[6:7]
	s_and_b64 exec, exec, s[10:11]
	s_cbranch_execz .LBB122_38
; %bb.36:
	v_mov_b32_e32 v9, 0x100
	v_lshl_add_u32 v9, v3, 2, v9
	s_mov_b64 s[6:7], 0
.LBB122_37:                             ; =>This Inner Loop Header: Depth=1
	ds_read_b32 v10, v9
	v_add_u32_e32 v3, 0x80, v3
	v_cmp_le_i32_e32 vcc, s12, v3
	s_or_b64 s[6:7], vcc, s[6:7]
	s_waitcnt lgkmcnt(0)
	v_mul_f32_e32 v10, v2, v10
	ds_write_b32 v9, v10
	v_add_u32_e32 v9, 0x200, v9
	s_andn2_b64 exec, exec, s[6:7]
	s_cbranch_execnz .LBB122_37
.LBB122_38:
	s_or_b64 exec, exec, s[0:1]
	s_mul_i32 s0, s21, s24
	v_cmp_eq_u32_e32 vcc, 0, v0
	s_mul_i32 s6, s0, s5
	s_waitcnt lgkmcnt(0)
	s_barrier
	s_and_saveexec_b64 s[0:1], vcc
	s_cbranch_execz .LBB122_40
; %bb.39:
	s_ashr_i32 s7, s6, 31
	s_lshl_b64 s[10:11], s[6:7], 2
	s_add_u32 s5, s18, s10
	s_mul_i32 s18, s21, s2
	s_addc_u32 s7, s19, s11
	s_ashr_i32 s19, s18, 31
	s_lshl_b64 s[18:19], s[18:19], 2
	s_add_u32 s2, s5, s18
	s_addc_u32 s7, s7, s19
	s_ashr_i32 s5, s4, 31
	s_lshl_b64 s[34:35], s[4:5], 2
	s_add_u32 s36, s2, s34
	s_addc_u32 s37, s7, s35
	s_add_u32 s2, s16, s10
	s_addc_u32 s5, s17, s11
	;; [unrolled: 2-line block ×3, first 2 shown]
	s_add_u32 s10, s2, s34
	v_mov_b32_e32 v2, 0
	s_addc_u32 s11, s5, s35
	global_store_dword v2, v5, s[36:37]
	global_store_dword v2, v8, s[10:11]
.LBB122_40:
	s_or_b64 exec, exec, s[0:1]
	v_mov_b32_e32 v9, 0
	v_lshrrev_b32_e32 v37, 2, v4
	v_and_b32_e32 v36, 3, v0
	v_mov_b32_e32 v8, v9
	v_mov_b32_e32 v11, v9
	;; [unrolled: 1-line block ×7, first 2 shown]
	s_and_saveexec_b64 s[10:11], s[8:9]
	s_cbranch_execz .LBB122_62
; %bb.41:
	s_ashr_i32 s15, s14, 31
	s_lshl_b64 s[0:1], s[14:15], 1
	s_add_u32 s8, s30, s0
	v_or_b32_e32 v3, 0x70, v37
	s_movk_i32 s0, 0x78
	v_and_b32_e32 v1, 24, v1
	s_addc_u32 s9, s31, s1
	s_add_i32 s7, s3, -1
	v_cmp_gt_u32_e32 vcc, s0, v3
	s_lshl_b64 s[0:1], s[28:29], 2
	v_lshl_or_b32 v2, v37, 5, v1
	v_lshl_or_b32 v12, v3, 5, v1
	v_lshlrev_b32_e32 v3, 5, v36
	s_add_u32 s0, s26, s0
	v_mov_b32_e32 v15, 0
	v_or_b32_e32 v4, 0x800, v2
	v_or_b32_e32 v8, 0xa00, v2
	;; [unrolled: 1-line block ×3, first 2 shown]
	v_lshl_or_b32 v3, v32, 7, v3
	s_addc_u32 s1, s27, s1
	s_mov_b32 s5, s13
	s_mov_b32 s16, s25
	;; [unrolled: 1-line block ×8, first 2 shown]
	v_add3_u32 v1, s40, v33, v1
	v_add_u32_e32 v32, 0x100, v3
	v_lshl_add_u64 v[18:19], v[6:7], 2, s[0:1]
	s_mov_b64 s[12:13], 0
	v_lshlrev_b32_e32 v20, 1, v2
	v_mov_b32_e32 v21, v15
	s_mov_b32 s26, 0x5040100
	v_lshlrev_b32_e32 v14, 1, v4
	v_lshlrev_b32_e32 v22, 1, v8
	;; [unrolled: 1-line block ×4, first 2 shown]
	v_mov_b32_e32 v16, v15
	v_mov_b32_e32 v17, v15
	;; [unrolled: 1-line block ×8, first 2 shown]
	s_branch .LBB122_44
.LBB122_42:                             ;   in Loop: Header=BB122_44 Depth=1
	s_or_b64 exec, exec, s[14:15]
	s_waitcnt vmcnt(0)
	;;#ASMSTART
	v_pk_mul_f16 v2, v39, v2;

	;;#ASMEND
	;;#ASMSTART
	v_pk_mul_f16 v3, v38, v3;

	;;#ASMEND
	;; [unrolled: 4-line block ×4, first 2 shown]
	s_nop 0
	;;#ASMSTART
	v_pk_add_f16 v2, v2, v3;

	;;#ASMEND
	s_nop 0
	;;#ASMSTART
	v_pk_add_f16 v2, v2, v4;

	;;#ASMEND
	;; [unrolled: 5-line block ×3, first 2 shown]
	s_nop 0
	v_lshrrev_b32_e32 v3, 16, v2
	v_and_b32_e32 v2, 0xffff, v2
	;;#ASMSTART
	v_cvt_f32_f16 v2, v2;
	;;#ASMEND
	;;#ASMSTART
	v_cvt_f32_f16 v3, v3;
	;;#ASMEND
	s_nop 0
	v_add_f32_e32 v2, v2, v3
	v_add_f32_e32 v9, v9, v2
.LBB122_43:                             ;   in Loop: Header=BB122_44 Depth=1
	s_or_b64 exec, exec, s[2:3]
	v_add_u32_e32 v6, 2, v6
	v_cmp_le_i32_e64 s[0:1], s33, v6
	v_add_u32_e32 v1, 64, v1
	v_add_u32_e32 v32, 0x100, v32
	s_or_b64 s[12:13], s[0:1], s[12:13]
	v_lshl_add_u64 v[18:19], v[18:19], 0, 8
	s_andn2_b64 exec, exec, s[12:13]
	s_cbranch_execz .LBB122_61
.LBB122_44:                             ; =>This Inner Loop Header: Depth=1
	global_load_dword v38, v[18:19], off
	ds_read2_b64 v[2:5], v32 offset1:1
	ds_read2_b64 v[28:31], v32 offset0:2 offset1:3
	s_waitcnt lgkmcnt(1)
	;;#ASMSTART
	v_cvt_f16_f32 v7, v2;

	;;#ASMEND
	;;#ASMSTART
	v_cvt_f16_f32 v23, v3;

	;;#ASMEND
	;; [unrolled: 4-line block ×4, first 2 shown]
	s_waitcnt lgkmcnt(0)
	;;#ASMSTART
	v_cvt_f16_f32 v33, v28;

	;;#ASMEND
	;;#ASMSTART
	v_cvt_f16_f32 v40, v29;

	;;#ASMEND
	;; [unrolled: 4-line block ×4, first 2 shown]
	s_waitcnt vmcnt(0)
	v_mad_i64_i32 v[2:3], s[0:1], v38, s5, 0
	v_lshl_add_u64 v[28:29], v[2:3], 1, s[8:9]
	v_lshl_add_u64 v[30:31], v[28:29], 0, v[20:21]
	global_load_dwordx4 v[2:5], v[30:31], off
	v_cmp_eq_u32_e64 s[0:1], s7, v6
	s_and_saveexec_b64 s[14:15], s[0:1]
	s_cbranch_execz .LBB122_46
; %bb.45:                               ;   in Loop: Header=BB122_44 Depth=1
	v_or_b32_e32 v46, 7, v1
	v_or_b32_e32 v47, 6, v1
	s_waitcnt vmcnt(0)
	v_lshrrev_b32_e32 v48, 16, v5
	v_cmp_gt_i32_e64 s[2:3], s31, v46
	v_or_b32_e32 v44, 5, v1
	v_or_b32_e32 v45, 4, v1
	v_cndmask_b32_e64 v46, 0, v48, s[2:3]
	v_cmp_gt_i32_e64 s[2:3], s30, v47
	v_or_b32_e32 v39, 3, v1
	v_or_b32_e32 v43, 2, v1
	v_cndmask_b32_e64 v5, 0, v5, s[2:3]
	v_perm_b32 v5, v46, v5, s26
	v_lshrrev_b32_e32 v46, 16, v4
	v_cmp_gt_i32_e64 s[2:3], s24, v44
	v_add_u32_e32 v38, 1, v1
	s_nop 0
	v_cndmask_b32_e64 v44, 0, v46, s[2:3]
	v_cmp_gt_i32_e64 s[2:3], s19, v45
	s_nop 1
	v_cndmask_b32_e64 v4, 0, v4, s[2:3]
	v_perm_b32 v4, v44, v4, s26
	v_lshrrev_b32_e32 v44, 16, v3
	v_cmp_gt_i32_e64 s[2:3], s18, v39
	s_nop 1
	v_cndmask_b32_e64 v39, 0, v44, s[2:3]
	v_cmp_gt_i32_e64 s[2:3], s17, v43
	s_nop 1
	v_cndmask_b32_e64 v3, 0, v3, s[2:3]
	v_perm_b32 v3, v39, v3, s26
	v_lshrrev_b32_e32 v39, 16, v2
	v_cmp_gt_i32_e64 s[2:3], s16, v38
	s_nop 1
	v_cndmask_b32_e64 v38, 0, v39, s[2:3]
	v_cmp_gt_i32_e64 s[2:3], s25, v1
	s_nop 1
	v_cndmask_b32_e64 v2, 0, v2, s[2:3]
	v_perm_b32 v2, v38, v2, s26
.LBB122_46:                             ;   in Loop: Header=BB122_44 Depth=1
	s_or_b64 exec, exec, s[14:15]
	v_and_b32_e32 v7, 0xffff, v7
	v_lshl_or_b32 v39, v23, 16, v7
	v_and_b32_e32 v7, 0xffff, v25
	v_lshl_or_b32 v38, v27, 16, v7
	;; [unrolled: 2-line block ×3, first 2 shown]
	v_and_b32_e32 v7, 0xffff, v41
	s_waitcnt vmcnt(0)
	;;#ASMSTART
	v_pk_mul_f16 v2, v39, v2;

	;;#ASMEND
	v_lshl_or_b32 v7, v42, 16, v7
	;;#ASMSTART
	v_pk_mul_f16 v3, v38, v3;

	;;#ASMEND
	;;#ASMSTART
	v_pk_mul_f16 v4, v33, v4;

	;;#ASMEND
	;; [unrolled: 4-line block ×3, first 2 shown]
	s_nop 0
	;;#ASMSTART
	v_pk_add_f16 v2, v2, v3;

	;;#ASMEND
	s_nop 0
	;;#ASMSTART
	v_pk_add_f16 v2, v2, v4;

	;;#ASMEND
	;; [unrolled: 5-line block ×3, first 2 shown]
	s_nop 0
	v_lshrrev_b32_e32 v3, 16, v2
	v_and_b32_e32 v2, 0xffff, v2
	;;#ASMSTART
	v_cvt_f32_f16 v27, v2;
	;;#ASMEND
	;;#ASMSTART
	v_cvt_f32_f16 v40, v3;
	;;#ASMEND
	global_load_dwordx4 v[2:5], v[30:31], off offset:1024
	s_and_saveexec_b64 s[14:15], s[0:1]
	s_cbranch_execz .LBB122_48
; %bb.47:                               ;   in Loop: Header=BB122_44 Depth=1
	v_or_b32_e32 v44, 7, v1
	v_or_b32_e32 v45, 6, v1
	s_waitcnt vmcnt(0)
	v_lshrrev_b32_e32 v46, 16, v5
	v_cmp_gt_i32_e64 s[2:3], s31, v44
	v_or_b32_e32 v42, 5, v1
	v_or_b32_e32 v43, 4, v1
	v_cndmask_b32_e64 v44, 0, v46, s[2:3]
	v_cmp_gt_i32_e64 s[2:3], s30, v45
	v_or_b32_e32 v25, 3, v1
	v_or_b32_e32 v41, 2, v1
	v_cndmask_b32_e64 v5, 0, v5, s[2:3]
	v_perm_b32 v5, v44, v5, s26
	v_lshrrev_b32_e32 v44, 16, v4
	v_cmp_gt_i32_e64 s[2:3], s24, v42
	v_add_u32_e32 v23, 1, v1
	s_nop 0
	v_cndmask_b32_e64 v42, 0, v44, s[2:3]
	v_cmp_gt_i32_e64 s[2:3], s19, v43
	s_nop 1
	v_cndmask_b32_e64 v4, 0, v4, s[2:3]
	v_perm_b32 v4, v42, v4, s26
	v_lshrrev_b32_e32 v42, 16, v3
	v_cmp_gt_i32_e64 s[2:3], s18, v25
	s_nop 1
	v_cndmask_b32_e64 v25, 0, v42, s[2:3]
	v_cmp_gt_i32_e64 s[2:3], s17, v41
	s_nop 1
	v_cndmask_b32_e64 v3, 0, v3, s[2:3]
	v_perm_b32 v3, v25, v3, s26
	v_lshrrev_b32_e32 v25, 16, v2
	v_cmp_gt_i32_e64 s[2:3], s16, v23
	s_nop 1
	v_cndmask_b32_e64 v23, 0, v25, s[2:3]
	v_cmp_gt_i32_e64 s[2:3], s25, v1
	s_nop 1
	v_cndmask_b32_e64 v2, 0, v2, s[2:3]
	v_perm_b32 v2, v23, v2, s26
.LBB122_48:                             ;   in Loop: Header=BB122_44 Depth=1
	s_or_b64 exec, exec, s[14:15]
	s_waitcnt vmcnt(0)
	;;#ASMSTART
	v_pk_mul_f16 v2, v39, v2;

	;;#ASMEND
	;;#ASMSTART
	v_pk_mul_f16 v3, v38, v3;

	;;#ASMEND
	;; [unrolled: 4-line block ×4, first 2 shown]
	s_nop 0
	;;#ASMSTART
	v_pk_add_f16 v2, v2, v3;

	;;#ASMEND
	s_nop 0
	;;#ASMSTART
	v_pk_add_f16 v2, v2, v4;

	;;#ASMEND
	;; [unrolled: 5-line block ×3, first 2 shown]
	s_nop 0
	v_lshrrev_b32_e32 v3, 16, v2
	v_and_b32_e32 v2, 0xffff, v2
	;;#ASMSTART
	v_cvt_f32_f16 v41, v2;
	;;#ASMEND
	;;#ASMSTART
	v_cvt_f32_f16 v42, v3;
	;;#ASMEND
	global_load_dwordx4 v[2:5], v[30:31], off offset:2048
	s_and_saveexec_b64 s[14:15], s[0:1]
	s_cbranch_execz .LBB122_50
; %bb.49:                               ;   in Loop: Header=BB122_44 Depth=1
	v_or_b32_e32 v46, 7, v1
	v_or_b32_e32 v47, 6, v1
	s_waitcnt vmcnt(0)
	v_lshrrev_b32_e32 v48, 16, v5
	v_cmp_gt_i32_e64 s[2:3], s31, v46
	v_or_b32_e32 v44, 5, v1
	v_or_b32_e32 v45, 4, v1
	v_cndmask_b32_e64 v46, 0, v48, s[2:3]
	v_cmp_gt_i32_e64 s[2:3], s30, v47
	v_or_b32_e32 v25, 3, v1
	v_or_b32_e32 v43, 2, v1
	v_cndmask_b32_e64 v5, 0, v5, s[2:3]
	v_perm_b32 v5, v46, v5, s26
	v_lshrrev_b32_e32 v46, 16, v4
	v_cmp_gt_i32_e64 s[2:3], s24, v44
	v_add_u32_e32 v23, 1, v1
	s_nop 0
	v_cndmask_b32_e64 v44, 0, v46, s[2:3]
	v_cmp_gt_i32_e64 s[2:3], s19, v45
	s_nop 1
	v_cndmask_b32_e64 v4, 0, v4, s[2:3]
	v_perm_b32 v4, v44, v4, s26
	v_lshrrev_b32_e32 v44, 16, v3
	v_cmp_gt_i32_e64 s[2:3], s18, v25
	s_nop 1
	v_cndmask_b32_e64 v25, 0, v44, s[2:3]
	v_cmp_gt_i32_e64 s[2:3], s17, v43
	s_nop 1
	v_cndmask_b32_e64 v3, 0, v3, s[2:3]
	v_perm_b32 v3, v25, v3, s26
	v_lshrrev_b32_e32 v25, 16, v2
	v_cmp_gt_i32_e64 s[2:3], s16, v23
	s_nop 1
	v_cndmask_b32_e64 v23, 0, v25, s[2:3]
	v_cmp_gt_i32_e64 s[2:3], s25, v1
	s_nop 1
	v_cndmask_b32_e64 v2, 0, v2, s[2:3]
	v_perm_b32 v2, v23, v2, s26
.LBB122_50:                             ;   in Loop: Header=BB122_44 Depth=1
	s_or_b64 exec, exec, s[14:15]
	s_waitcnt vmcnt(0)
	;;#ASMSTART
	v_pk_mul_f16 v2, v39, v2;

	;;#ASMEND
	;;#ASMSTART
	v_pk_mul_f16 v3, v38, v3;

	;;#ASMEND
	;; [unrolled: 4-line block ×4, first 2 shown]
	s_nop 0
	;;#ASMSTART
	v_pk_add_f16 v2, v2, v3;

	;;#ASMEND
	s_nop 0
	;;#ASMSTART
	v_pk_add_f16 v2, v2, v4;

	;;#ASMEND
	;; [unrolled: 5-line block ×3, first 2 shown]
	s_nop 0
	v_lshrrev_b32_e32 v3, 16, v2
	v_and_b32_e32 v2, 0xffff, v2
	;;#ASMSTART
	v_cvt_f32_f16 v43, v2;
	;;#ASMEND
	;;#ASMSTART
	v_cvt_f32_f16 v44, v3;
	;;#ASMEND
	global_load_dwordx4 v[2:5], v[30:31], off offset:3072
	s_and_saveexec_b64 s[14:15], s[0:1]
	s_cbranch_execz .LBB122_52
; %bb.51:                               ;   in Loop: Header=BB122_44 Depth=1
	v_or_b32_e32 v46, 7, v1
	v_or_b32_e32 v47, 6, v1
	s_waitcnt vmcnt(0)
	v_lshrrev_b32_e32 v48, 16, v5
	v_cmp_gt_i32_e64 s[2:3], s31, v46
	v_or_b32_e32 v31, 5, v1
	v_or_b32_e32 v45, 4, v1
	v_cndmask_b32_e64 v46, 0, v48, s[2:3]
	v_cmp_gt_i32_e64 s[2:3], s30, v47
	v_or_b32_e32 v25, 3, v1
	v_or_b32_e32 v30, 2, v1
	v_cndmask_b32_e64 v5, 0, v5, s[2:3]
	v_perm_b32 v5, v46, v5, s26
	v_lshrrev_b32_e32 v46, 16, v4
	v_cmp_gt_i32_e64 s[2:3], s24, v31
	v_add_u32_e32 v23, 1, v1
	s_nop 0
	v_cndmask_b32_e64 v31, 0, v46, s[2:3]
	v_cmp_gt_i32_e64 s[2:3], s19, v45
	s_nop 1
	v_cndmask_b32_e64 v4, 0, v4, s[2:3]
	v_perm_b32 v4, v31, v4, s26
	v_lshrrev_b32_e32 v31, 16, v3
	v_cmp_gt_i32_e64 s[2:3], s18, v25
	s_nop 1
	v_cndmask_b32_e64 v25, 0, v31, s[2:3]
	v_cmp_gt_i32_e64 s[2:3], s17, v30
	s_nop 1
	v_cndmask_b32_e64 v3, 0, v3, s[2:3]
	v_perm_b32 v3, v25, v3, s26
	v_lshrrev_b32_e32 v25, 16, v2
	v_cmp_gt_i32_e64 s[2:3], s16, v23
	s_nop 1
	v_cndmask_b32_e64 v23, 0, v25, s[2:3]
	v_cmp_gt_i32_e64 s[2:3], s25, v1
	s_nop 1
	v_cndmask_b32_e64 v2, 0, v2, s[2:3]
	v_perm_b32 v2, v23, v2, s26
.LBB122_52:                             ;   in Loop: Header=BB122_44 Depth=1
	s_or_b64 exec, exec, s[14:15]
	s_waitcnt vmcnt(0)
	;;#ASMSTART
	v_pk_mul_f16 v2, v39, v2;

	;;#ASMEND
	;;#ASMSTART
	v_pk_mul_f16 v3, v38, v3;

	;;#ASMEND
	;; [unrolled: 4-line block ×4, first 2 shown]
	s_nop 0
	;;#ASMSTART
	v_pk_add_f16 v2, v2, v3;

	;;#ASMEND
	s_nop 0
	;;#ASMSTART
	v_pk_add_f16 v2, v2, v4;

	;;#ASMEND
	;; [unrolled: 5-line block ×3, first 2 shown]
	s_nop 0
	v_lshrrev_b32_e32 v3, 16, v2
	v_and_b32_e32 v2, 0xffff, v2
	;;#ASMSTART
	v_cvt_f32_f16 v30, v2;
	;;#ASMEND
	;;#ASMSTART
	v_cvt_f32_f16 v31, v3;
	;;#ASMEND
	v_lshl_add_u64 v[2:3], v[28:29], 0, v[14:15]
	global_load_dwordx4 v[2:5], v[2:3], off
	s_and_saveexec_b64 s[14:15], s[0:1]
	s_cbranch_execz .LBB122_54
; %bb.53:                               ;   in Loop: Header=BB122_44 Depth=1
	v_or_b32_e32 v48, 7, v1
	v_or_b32_e32 v49, 6, v1
	s_waitcnt vmcnt(0)
	v_lshrrev_b32_e32 v50, 16, v5
	v_cmp_gt_i32_e64 s[2:3], s31, v48
	v_or_b32_e32 v46, 5, v1
	v_or_b32_e32 v47, 4, v1
	v_cndmask_b32_e64 v48, 0, v50, s[2:3]
	v_cmp_gt_i32_e64 s[2:3], s30, v49
	v_or_b32_e32 v25, 3, v1
	v_or_b32_e32 v45, 2, v1
	v_cndmask_b32_e64 v5, 0, v5, s[2:3]
	v_perm_b32 v5, v48, v5, s26
	v_lshrrev_b32_e32 v48, 16, v4
	v_cmp_gt_i32_e64 s[2:3], s24, v46
	v_add_u32_e32 v23, 1, v1
	s_nop 0
	v_cndmask_b32_e64 v46, 0, v48, s[2:3]
	v_cmp_gt_i32_e64 s[2:3], s19, v47
	s_nop 1
	v_cndmask_b32_e64 v4, 0, v4, s[2:3]
	v_perm_b32 v4, v46, v4, s26
	v_lshrrev_b32_e32 v46, 16, v3
	v_cmp_gt_i32_e64 s[2:3], s18, v25
	s_nop 1
	v_cndmask_b32_e64 v25, 0, v46, s[2:3]
	v_cmp_gt_i32_e64 s[2:3], s17, v45
	s_nop 1
	v_cndmask_b32_e64 v3, 0, v3, s[2:3]
	v_perm_b32 v3, v25, v3, s26
	v_lshrrev_b32_e32 v25, 16, v2
	v_cmp_gt_i32_e64 s[2:3], s16, v23
	s_nop 1
	v_cndmask_b32_e64 v23, 0, v25, s[2:3]
	v_cmp_gt_i32_e64 s[2:3], s25, v1
	s_nop 1
	v_cndmask_b32_e64 v2, 0, v2, s[2:3]
	v_perm_b32 v2, v23, v2, s26
.LBB122_54:                             ;   in Loop: Header=BB122_44 Depth=1
	s_or_b64 exec, exec, s[14:15]
	s_waitcnt vmcnt(0)
	;;#ASMSTART
	v_pk_mul_f16 v2, v39, v2;

	;;#ASMEND
	;;#ASMSTART
	v_pk_mul_f16 v3, v38, v3;

	;;#ASMEND
	;; [unrolled: 4-line block ×4, first 2 shown]
	v_mov_b32_e32 v23, v15
	;;#ASMSTART
	v_pk_add_f16 v2, v2, v3;

	;;#ASMEND
	s_nop 0
	;;#ASMSTART
	v_pk_add_f16 v2, v2, v4;

	;;#ASMEND
	s_nop 0
	;; [unrolled: 5-line block ×3, first 2 shown]
	v_lshrrev_b32_e32 v3, 16, v2
	v_and_b32_e32 v2, 0xffff, v2
	;;#ASMSTART
	v_cvt_f32_f16 v45, v2;
	;;#ASMEND
	;;#ASMSTART
	v_cvt_f32_f16 v46, v3;
	;;#ASMEND
	v_lshl_add_u64 v[2:3], v[28:29], 0, v[22:23]
	global_load_dwordx4 v[2:5], v[2:3], off
	s_and_saveexec_b64 s[14:15], s[0:1]
	s_cbranch_execz .LBB122_56
; %bb.55:                               ;   in Loop: Header=BB122_44 Depth=1
	v_or_b32_e32 v50, 7, v1
	v_or_b32_e32 v51, 6, v1
	s_waitcnt vmcnt(0)
	v_lshrrev_b32_e32 v52, 16, v5
	v_cmp_gt_i32_e64 s[2:3], s31, v50
	v_or_b32_e32 v48, 5, v1
	v_or_b32_e32 v49, 4, v1
	v_cndmask_b32_e64 v50, 0, v52, s[2:3]
	v_cmp_gt_i32_e64 s[2:3], s30, v51
	v_or_b32_e32 v25, 3, v1
	v_or_b32_e32 v47, 2, v1
	v_cndmask_b32_e64 v5, 0, v5, s[2:3]
	v_perm_b32 v5, v50, v5, s26
	v_lshrrev_b32_e32 v50, 16, v4
	v_cmp_gt_i32_e64 s[2:3], s24, v48
	v_add_u32_e32 v23, 1, v1
	s_nop 0
	v_cndmask_b32_e64 v48, 0, v50, s[2:3]
	v_cmp_gt_i32_e64 s[2:3], s19, v49
	s_nop 1
	v_cndmask_b32_e64 v4, 0, v4, s[2:3]
	v_perm_b32 v4, v48, v4, s26
	v_lshrrev_b32_e32 v48, 16, v3
	v_cmp_gt_i32_e64 s[2:3], s18, v25
	s_nop 1
	v_cndmask_b32_e64 v25, 0, v48, s[2:3]
	v_cmp_gt_i32_e64 s[2:3], s17, v47
	s_nop 1
	v_cndmask_b32_e64 v3, 0, v3, s[2:3]
	v_perm_b32 v3, v25, v3, s26
	v_lshrrev_b32_e32 v25, 16, v2
	v_cmp_gt_i32_e64 s[2:3], s16, v23
	s_nop 1
	v_cndmask_b32_e64 v23, 0, v25, s[2:3]
	v_cmp_gt_i32_e64 s[2:3], s25, v1
	s_nop 1
	v_cndmask_b32_e64 v2, 0, v2, s[2:3]
	v_perm_b32 v2, v23, v2, s26
.LBB122_56:                             ;   in Loop: Header=BB122_44 Depth=1
	s_or_b64 exec, exec, s[14:15]
	s_waitcnt vmcnt(0)
	;;#ASMSTART
	v_pk_mul_f16 v2, v39, v2;

	;;#ASMEND
	;;#ASMSTART
	v_pk_mul_f16 v3, v38, v3;

	;;#ASMEND
	;;#ASMSTART
	v_pk_mul_f16 v4, v33, v4;

	;;#ASMEND
	;;#ASMSTART
	v_pk_mul_f16 v5, v7, v5;

	;;#ASMEND
	v_mov_b32_e32 v25, v15
	;;#ASMSTART
	v_pk_add_f16 v2, v2, v3;

	;;#ASMEND
	s_nop 0
	;;#ASMSTART
	v_pk_add_f16 v2, v2, v4;

	;;#ASMEND
	s_nop 0
	;;#ASMSTART
	v_pk_add_f16 v2, v2, v5;

	;;#ASMEND
	s_nop 0
	v_lshrrev_b32_e32 v3, 16, v2
	v_and_b32_e32 v2, 0xffff, v2
	;;#ASMSTART
	v_cvt_f32_f16 v23, v2;
	;;#ASMEND
	;;#ASMSTART
	v_cvt_f32_f16 v47, v3;
	;;#ASMEND
	v_lshl_add_u64 v[2:3], v[28:29], 0, v[24:25]
	global_load_dwordx4 v[2:5], v[2:3], off
	s_and_saveexec_b64 s[14:15], s[0:1]
	s_cbranch_execz .LBB122_58
; %bb.57:                               ;   in Loop: Header=BB122_44 Depth=1
	v_or_b32_e32 v52, 7, v1
	v_or_b32_e32 v53, 6, v1
	s_waitcnt vmcnt(0)
	v_lshrrev_b32_e32 v54, 16, v5
	v_cmp_gt_i32_e64 s[2:3], s31, v52
	v_or_b32_e32 v50, 5, v1
	v_or_b32_e32 v51, 4, v1
	v_cndmask_b32_e64 v52, 0, v54, s[2:3]
	v_cmp_gt_i32_e64 s[2:3], s30, v53
	v_or_b32_e32 v48, 3, v1
	v_or_b32_e32 v49, 2, v1
	v_cndmask_b32_e64 v5, 0, v5, s[2:3]
	v_perm_b32 v5, v52, v5, s26
	v_lshrrev_b32_e32 v52, 16, v4
	v_cmp_gt_i32_e64 s[2:3], s24, v50
	v_add_u32_e32 v25, 1, v1
	s_nop 0
	v_cndmask_b32_e64 v50, 0, v52, s[2:3]
	v_cmp_gt_i32_e64 s[2:3], s19, v51
	s_nop 1
	v_cndmask_b32_e64 v4, 0, v4, s[2:3]
	v_perm_b32 v4, v50, v4, s26
	v_lshrrev_b32_e32 v50, 16, v3
	v_cmp_gt_i32_e64 s[2:3], s18, v48
	s_nop 1
	v_cndmask_b32_e64 v48, 0, v50, s[2:3]
	v_cmp_gt_i32_e64 s[2:3], s17, v49
	s_nop 1
	v_cndmask_b32_e64 v3, 0, v3, s[2:3]
	v_perm_b32 v3, v48, v3, s26
	v_lshrrev_b32_e32 v48, 16, v2
	v_cmp_gt_i32_e64 s[2:3], s16, v25
	s_nop 1
	v_cndmask_b32_e64 v25, 0, v48, s[2:3]
	v_cmp_gt_i32_e64 s[2:3], s25, v1
	s_nop 1
	v_cndmask_b32_e64 v2, 0, v2, s[2:3]
	v_perm_b32 v2, v25, v2, s26
.LBB122_58:                             ;   in Loop: Header=BB122_44 Depth=1
	s_or_b64 exec, exec, s[14:15]
	s_waitcnt vmcnt(0)
	;;#ASMSTART
	v_pk_mul_f16 v2, v39, v2;

	;;#ASMEND
	;;#ASMSTART
	v_pk_mul_f16 v3, v38, v3;

	;;#ASMEND
	;; [unrolled: 4-line block ×4, first 2 shown]
	v_add_f32_e32 v25, v27, v40
	;;#ASMSTART
	v_pk_add_f16 v2, v2, v3;

	;;#ASMEND
	v_add_f32_e32 v16, v16, v25
	;;#ASMSTART
	v_pk_add_f16 v2, v2, v4;

	;;#ASMEND
	;; [unrolled: 5-line block ×3, first 2 shown]
	v_add_f32_e32 v17, v17, v25
	v_add_f32_e32 v25, v43, v44
	v_lshrrev_b32_e32 v3, 16, v2
	v_and_b32_e32 v2, 0xffff, v2
	v_add_f32_e32 v12, v12, v25
	v_add_f32_e32 v25, v30, v31
	;;#ASMSTART
	v_cvt_f32_f16 v2, v2;
	;;#ASMEND
	v_add_f32_e32 v13, v13, v25
	v_add_f32_e32 v25, v45, v46
	;; [unrolled: 1-line block ×3, first 2 shown]
	;;#ASMSTART
	v_cvt_f32_f16 v3, v3;
	;;#ASMEND
	v_add_f32_e32 v10, v10, v25
	v_add_f32_e32 v2, v2, v3
	;; [unrolled: 1-line block ×4, first 2 shown]
	s_and_saveexec_b64 s[2:3], vcc
	s_cbranch_execz .LBB122_43
; %bb.59:                               ;   in Loop: Header=BB122_44 Depth=1
	v_mov_b32_e32 v27, v15
	v_lshl_add_u64 v[2:3], v[28:29], 0, v[26:27]
	global_load_dwordx4 v[2:5], v[2:3], off
	s_and_saveexec_b64 s[14:15], s[0:1]
	s_cbranch_execz .LBB122_42
; %bb.60:                               ;   in Loop: Header=BB122_44 Depth=1
	v_or_b32_e32 v30, 7, v1
	v_or_b32_e32 v31, 6, v1
	s_waitcnt vmcnt(0)
	v_lshrrev_b32_e32 v40, 16, v5
	v_cmp_gt_i32_e64 s[0:1], s31, v30
	v_or_b32_e32 v28, 5, v1
	v_or_b32_e32 v29, 4, v1
	v_cndmask_b32_e64 v30, 0, v40, s[0:1]
	v_cmp_gt_i32_e64 s[0:1], s30, v31
	v_or_b32_e32 v25, 3, v1
	v_or_b32_e32 v27, 2, v1
	v_cndmask_b32_e64 v5, 0, v5, s[0:1]
	v_perm_b32 v5, v30, v5, s26
	v_lshrrev_b32_e32 v30, 16, v4
	v_cmp_gt_i32_e64 s[0:1], s24, v28
	v_add_u32_e32 v23, 1, v1
	s_nop 0
	v_cndmask_b32_e64 v28, 0, v30, s[0:1]
	v_cmp_gt_i32_e64 s[0:1], s19, v29
	s_nop 1
	v_cndmask_b32_e64 v4, 0, v4, s[0:1]
	v_perm_b32 v4, v28, v4, s26
	v_lshrrev_b32_e32 v28, 16, v3
	v_cmp_gt_i32_e64 s[0:1], s18, v25
	s_nop 1
	v_cndmask_b32_e64 v25, 0, v28, s[0:1]
	v_cmp_gt_i32_e64 s[0:1], s17, v27
	s_nop 1
	v_cndmask_b32_e64 v3, 0, v3, s[0:1]
	v_perm_b32 v3, v25, v3, s26
	v_lshrrev_b32_e32 v25, 16, v2
	v_cmp_gt_i32_e64 s[0:1], s16, v23
	s_nop 1
	v_cndmask_b32_e64 v23, 0, v25, s[0:1]
	v_cmp_gt_i32_e64 s[0:1], s25, v1
	s_nop 1
	v_cndmask_b32_e64 v2, 0, v2, s[0:1]
	v_perm_b32 v2, v23, v2, s26
	s_branch .LBB122_42
.LBB122_61:
	s_or_b64 exec, exec, s[12:13]
.LBB122_62:
	s_or_b64 exec, exec, s[10:11]
	ds_bpermute_b32 v2, v34, v16
	ds_bpermute_b32 v3, v34, v17
	;; [unrolled: 1-line block ×4, first 2 shown]
	v_and_b32_e32 v1, 0x3c0, v0
	v_cmp_eq_u32_e32 vcc, 64, v1
	s_waitcnt lgkmcnt(2)
	v_pk_add_f32 v[2:3], v[16:17], v[2:3]
	ds_bpermute_b32 v16, v34, v8
	s_waitcnt lgkmcnt(1)
	v_pk_add_f32 v[4:5], v[12:13], v[4:5]
	ds_bpermute_b32 v12, v34, v10
	ds_bpermute_b32 v13, v34, v11
	;; [unrolled: 1-line block ×6, first 2 shown]
	s_waitcnt lgkmcnt(4)
	v_pk_add_f32 v[10:11], v[10:11], v[12:13]
	s_waitcnt lgkmcnt(3)
	v_pk_add_f32 v[16:17], v[8:9], v[16:17]
	ds_bpermute_b32 v15, v35, v5
	ds_bpermute_b32 v12, v35, v10
	;; [unrolled: 1-line block ×5, first 2 shown]
	s_waitcnt lgkmcnt(6)
	v_pk_add_f32 v[8:9], v[2:3], v[6:7]
	s_waitcnt lgkmcnt(4)
	v_pk_add_f32 v[6:7], v[4:5], v[14:15]
	;; [unrolled: 2-line block ×4, first 2 shown]
	s_barrier
	s_and_saveexec_b64 s[2:3], vcc
	s_cbranch_execz .LBB122_67
; %bb.63:
	v_cmp_eq_u32_e32 vcc, 0, v36
	s_and_saveexec_b64 s[0:1], vcc
	s_cbranch_execz .LBB122_65
; %bb.64:
	v_mov_b32_e32 v1, 0x100
	v_lshl_add_u32 v1, v37, 2, v1
	ds_write2_b32 v1, v8, v9 offset1:16
	ds_write2_b32 v1, v6, v7 offset0:32 offset1:48
	ds_write2_b32 v1, v4, v5 offset0:64 offset1:80
	ds_write_b32 v1, v2 offset:384
.LBB122_65:
	s_or_b64 exec, exec, s[0:1]
	v_or_b32_e32 v1, 0x70, v37
	s_movk_i32 s0, 0x78
	v_cmp_gt_u32_e64 s[0:1], s0, v1
	s_and_b64 s[0:1], vcc, s[0:1]
	s_and_b64 exec, exec, s[0:1]
	s_cbranch_execz .LBB122_67
; %bb.66:
	v_mov_b32_e32 v1, 0x100
	v_lshl_add_u32 v1, v37, 2, v1
	ds_write_b32 v1, v3 offset:448
.LBB122_67:
	s_or_b64 exec, exec, s[2:3]
	v_cmp_gt_u32_e32 vcc, 64, v0
	v_lshrrev_b32_e32 v0, 2, v0
	s_waitcnt lgkmcnt(0)
	s_barrier
	s_and_saveexec_b64 s[8:9], vcc
	s_cbranch_execz .LBB122_79
; %bb.68:
	v_cmp_eq_u32_e64 s[0:1], 0, v36
	s_and_saveexec_b64 s[2:3], s[0:1]
	s_cbranch_execnz .LBB122_85
; %bb.69:
	s_or_b64 exec, exec, s[2:3]
	s_and_saveexec_b64 s[2:3], s[0:1]
	s_cbranch_execnz .LBB122_86
.LBB122_70:
	s_or_b64 exec, exec, s[2:3]
	s_and_saveexec_b64 s[2:3], s[0:1]
	s_cbranch_execnz .LBB122_87
.LBB122_71:
	s_or_b64 exec, exec, s[2:3]
	s_and_saveexec_b64 s[2:3], s[0:1]
	s_cbranch_execnz .LBB122_88
.LBB122_72:
	s_or_b64 exec, exec, s[2:3]
	s_and_saveexec_b64 s[2:3], s[0:1]
	s_cbranch_execnz .LBB122_89
.LBB122_73:
	s_or_b64 exec, exec, s[2:3]
	s_and_saveexec_b64 s[2:3], s[0:1]
	s_cbranch_execnz .LBB122_90
.LBB122_74:
	s_or_b64 exec, exec, s[2:3]
	s_and_saveexec_b64 s[2:3], s[0:1]
	s_cbranch_execz .LBB122_76
.LBB122_75:
	v_mov_b32_e32 v1, 0x100
	v_lshl_add_u32 v1, v0, 2, v1
	ds_read_b32 v1, v1 offset:384
	s_waitcnt lgkmcnt(0)
	v_add_f32_e32 v2, v2, v1
.LBB122_76:
	s_or_b64 exec, exec, s[2:3]
	v_or_b32_e32 v1, 0x70, v0
	s_movk_i32 s2, 0x78
	v_cmp_gt_u32_e64 s[2:3], s2, v1
	s_and_b64 s[2:3], s[0:1], s[2:3]
	s_and_saveexec_b64 s[0:1], s[2:3]
	s_cbranch_execz .LBB122_78
; %bb.77:
	v_mov_b32_e32 v1, 0x100
	v_lshl_add_u32 v1, v0, 2, v1
	ds_read_b32 v1, v1 offset:448
	s_waitcnt lgkmcnt(0)
	v_add_f32_e32 v3, v3, v1
.LBB122_78:
	s_or_b64 exec, exec, s[0:1]
.LBB122_79:
	s_or_b64 exec, exec, s[8:9]
	s_barrier
	s_and_saveexec_b64 s[0:1], vcc
	s_cbranch_execz .LBB122_84
; %bb.80:
	s_mul_i32 s0, s6, 0x78
	s_ashr_i32 s1, s0, 31
	s_lshl_b64 s[0:1], s[0:1], 1
	s_add_u32 s2, s22, s0
	s_mul_i32 s0, s21, s20
	s_addc_u32 s3, s23, s1
	s_ashr_i32 s1, s0, 31
	s_lshl_b64 s[0:1], s[0:1], 1
	s_add_u32 s2, s2, s0
	s_mul_i32 s0, s4, 0x78
	s_addc_u32 s3, s3, s1
	s_ashr_i32 s1, s0, 31
	s_lshl_b64 s[0:1], s[0:1], 1
	s_add_u32 s2, s2, s0
	s_movk_i32 s5, 0x78
	s_addc_u32 s3, s3, s1
	v_cmp_eq_u32_e32 vcc, 0, v36
	v_lshlrev_b32_e32 v1, 1, v0
	s_and_saveexec_b64 s[0:1], vcc
	s_cbranch_execz .LBB122_82
; %bb.81:
	;;#ASMSTART
	v_cvt_f16_f32 v8, v8;

	;;#ASMEND
	global_store_short v1, v8, s[2:3]
	;;#ASMSTART
	v_cvt_f16_f32 v8, v9;

	;;#ASMEND
	global_store_short v1, v8, s[2:3] offset:32
	;;#ASMSTART
	v_cvt_f16_f32 v6, v6;

	;;#ASMEND
	global_store_short v1, v6, s[2:3] offset:64
	;; [unrolled: 5-line block ×6, first 2 shown]
.LBB122_82:
	s_or_b64 exec, exec, s[0:1]
	v_or_b32_e32 v0, 0x70, v0
	v_cmp_gt_u32_e64 s[0:1], s5, v0
	s_and_b64 s[0:1], vcc, s[0:1]
	s_and_b64 exec, exec, s[0:1]
	s_cbranch_execz .LBB122_84
; %bb.83:
	;;#ASMSTART
	v_cvt_f16_f32 v0, v3;

	;;#ASMEND
	global_store_short v1, v0, s[2:3] offset:224
.LBB122_84:
	s_endpgm
.LBB122_85:
	v_mov_b32_e32 v1, 0x100
	v_lshl_add_u32 v1, v0, 2, v1
	ds_read_b32 v1, v1
	s_waitcnt lgkmcnt(0)
	v_add_f32_e32 v8, v8, v1
	s_or_b64 exec, exec, s[2:3]
	s_and_saveexec_b64 s[2:3], s[0:1]
	s_cbranch_execz .LBB122_70
.LBB122_86:
	v_mov_b32_e32 v1, 0x100
	v_lshl_add_u32 v1, v0, 2, v1
	ds_read_b32 v1, v1 offset:64
	s_waitcnt lgkmcnt(0)
	v_add_f32_e32 v9, v9, v1
	s_or_b64 exec, exec, s[2:3]
	s_and_saveexec_b64 s[2:3], s[0:1]
	s_cbranch_execz .LBB122_71
.LBB122_87:
	v_mov_b32_e32 v1, 0x100
	v_lshl_add_u32 v1, v0, 2, v1
	ds_read_b32 v1, v1 offset:128
	s_waitcnt lgkmcnt(0)
	v_add_f32_e32 v6, v6, v1
	s_or_b64 exec, exec, s[2:3]
	s_and_saveexec_b64 s[2:3], s[0:1]
	s_cbranch_execz .LBB122_72
.LBB122_88:
	v_mov_b32_e32 v1, 0x100
	v_lshl_add_u32 v1, v0, 2, v1
	ds_read_b32 v1, v1 offset:192
	s_waitcnt lgkmcnt(0)
	v_add_f32_e32 v7, v7, v1
	s_or_b64 exec, exec, s[2:3]
	s_and_saveexec_b64 s[2:3], s[0:1]
	s_cbranch_execz .LBB122_73
.LBB122_89:
	v_mov_b32_e32 v1, 0x100
	v_lshl_add_u32 v1, v0, 2, v1
	ds_read_b32 v1, v1 offset:256
	s_waitcnt lgkmcnt(0)
	v_add_f32_e32 v4, v4, v1
	s_or_b64 exec, exec, s[2:3]
	s_and_saveexec_b64 s[2:3], s[0:1]
	s_cbranch_execz .LBB122_74
.LBB122_90:
	v_mov_b32_e32 v1, 0x100
	v_lshl_add_u32 v1, v0, 2, v1
	ds_read_b32 v1, v1 offset:320
	s_waitcnt lgkmcnt(0)
	v_add_f32_e32 v5, v5, v1
	s_or_b64 exec, exec, s[2:3]
	s_and_saveexec_b64 s[2:3], s[0:1]
	s_cbranch_execnz .LBB122_75
	s_branch .LBB122_76
	.section	.rodata,"a",@progbits
	.p2align	6, 0x0
	.amdhsa_kernel _ZN4vllm25paged_attention_v2_kernelIttLi120ELi32ELi128ELNS_18Fp8KVCacheDataTypeE0ELb0ELi512EEEvPfS2_PT_PKS3_PKT0_S9_ifPKiSB_iPKfiiiSD_SD_iiiii
		.amdhsa_group_segment_fixed_size 256
		.amdhsa_private_segment_fixed_size 0
		.amdhsa_kernarg_size 400
		.amdhsa_user_sgpr_count 2
		.amdhsa_user_sgpr_dispatch_ptr 0
		.amdhsa_user_sgpr_queue_ptr 0
		.amdhsa_user_sgpr_kernarg_segment_ptr 1
		.amdhsa_user_sgpr_dispatch_id 0
		.amdhsa_user_sgpr_kernarg_preload_length 0
		.amdhsa_user_sgpr_kernarg_preload_offset 0
		.amdhsa_user_sgpr_private_segment_size 0
		.amdhsa_uses_dynamic_stack 0
		.amdhsa_enable_private_segment 0
		.amdhsa_system_sgpr_workgroup_id_x 1
		.amdhsa_system_sgpr_workgroup_id_y 1
		.amdhsa_system_sgpr_workgroup_id_z 1
		.amdhsa_system_sgpr_workgroup_info 0
		.amdhsa_system_vgpr_workitem_id 0
		.amdhsa_next_free_vgpr 78
		.amdhsa_next_free_sgpr 43
		.amdhsa_accum_offset 80
		.amdhsa_reserve_vcc 1
		.amdhsa_float_round_mode_32 0
		.amdhsa_float_round_mode_16_64 0
		.amdhsa_float_denorm_mode_32 3
		.amdhsa_float_denorm_mode_16_64 3
		.amdhsa_dx10_clamp 1
		.amdhsa_ieee_mode 1
		.amdhsa_fp16_overflow 0
		.amdhsa_tg_split 0
		.amdhsa_exception_fp_ieee_invalid_op 0
		.amdhsa_exception_fp_denorm_src 0
		.amdhsa_exception_fp_ieee_div_zero 0
		.amdhsa_exception_fp_ieee_overflow 0
		.amdhsa_exception_fp_ieee_underflow 0
		.amdhsa_exception_fp_ieee_inexact 0
		.amdhsa_exception_int_div_zero 0
	.end_amdhsa_kernel
	.section	.text._ZN4vllm25paged_attention_v2_kernelIttLi120ELi32ELi128ELNS_18Fp8KVCacheDataTypeE0ELb0ELi512EEEvPfS2_PT_PKS3_PKT0_S9_ifPKiSB_iPKfiiiSD_SD_iiiii,"axG",@progbits,_ZN4vllm25paged_attention_v2_kernelIttLi120ELi32ELi128ELNS_18Fp8KVCacheDataTypeE0ELb0ELi512EEEvPfS2_PT_PKS3_PKT0_S9_ifPKiSB_iPKfiiiSD_SD_iiiii,comdat
.Lfunc_end122:
	.size	_ZN4vllm25paged_attention_v2_kernelIttLi120ELi32ELi128ELNS_18Fp8KVCacheDataTypeE0ELb0ELi512EEEvPfS2_PT_PKS3_PKT0_S9_ifPKiSB_iPKfiiiSD_SD_iiiii, .Lfunc_end122-_ZN4vllm25paged_attention_v2_kernelIttLi120ELi32ELi128ELNS_18Fp8KVCacheDataTypeE0ELb0ELi512EEEvPfS2_PT_PKS3_PKT0_S9_ifPKiSB_iPKfiiiSD_SD_iiiii
                                        ; -- End function
	.section	.AMDGPU.csdata,"",@progbits
; Kernel info:
; codeLenInByte = 9436
; NumSgprs: 49
; NumVgprs: 78
; NumAgprs: 0
; TotalNumVgprs: 78
; ScratchSize: 0
; MemoryBound: 0
; FloatMode: 240
; IeeeMode: 1
; LDSByteSize: 256 bytes/workgroup (compile time only)
; SGPRBlocks: 6
; VGPRBlocks: 9
; NumSGPRsForWavesPerEU: 49
; NumVGPRsForWavesPerEU: 78
; AccumOffset: 80
; Occupancy: 6
; WaveLimiterHint : 1
; COMPUTE_PGM_RSRC2:SCRATCH_EN: 0
; COMPUTE_PGM_RSRC2:USER_SGPR: 2
; COMPUTE_PGM_RSRC2:TRAP_HANDLER: 0
; COMPUTE_PGM_RSRC2:TGID_X_EN: 1
; COMPUTE_PGM_RSRC2:TGID_Y_EN: 1
; COMPUTE_PGM_RSRC2:TGID_Z_EN: 1
; COMPUTE_PGM_RSRC2:TIDIG_COMP_CNT: 0
; COMPUTE_PGM_RSRC3_GFX90A:ACCUM_OFFSET: 19
; COMPUTE_PGM_RSRC3_GFX90A:TG_SPLIT: 0
	.section	.text._ZN4vllm25paged_attention_v2_kernelIttLi128ELi32ELi128ELNS_18Fp8KVCacheDataTypeE0ELb0ELi512EEEvPfS2_PT_PKS3_PKT0_S9_ifPKiSB_iPKfiiiSD_SD_iiiii,"axG",@progbits,_ZN4vllm25paged_attention_v2_kernelIttLi128ELi32ELi128ELNS_18Fp8KVCacheDataTypeE0ELb0ELi512EEEvPfS2_PT_PKS3_PKT0_S9_ifPKiSB_iPKfiiiSD_SD_iiiii,comdat
	.protected	_ZN4vllm25paged_attention_v2_kernelIttLi128ELi32ELi128ELNS_18Fp8KVCacheDataTypeE0ELb0ELi512EEEvPfS2_PT_PKS3_PKT0_S9_ifPKiSB_iPKfiiiSD_SD_iiiii ; -- Begin function _ZN4vllm25paged_attention_v2_kernelIttLi128ELi32ELi128ELNS_18Fp8KVCacheDataTypeE0ELb0ELi512EEEvPfS2_PT_PKS3_PKT0_S9_ifPKiSB_iPKfiiiSD_SD_iiiii
	.globl	_ZN4vllm25paged_attention_v2_kernelIttLi128ELi32ELi128ELNS_18Fp8KVCacheDataTypeE0ELb0ELi512EEEvPfS2_PT_PKS3_PKT0_S9_ifPKiSB_iPKfiiiSD_SD_iiiii
	.p2align	8
	.type	_ZN4vllm25paged_attention_v2_kernelIttLi128ELi32ELi128ELNS_18Fp8KVCacheDataTypeE0ELb0ELi512EEEvPfS2_PT_PKS3_PKT0_S9_ifPKiSB_iPKfiiiSD_SD_iiiii,@function
_ZN4vllm25paged_attention_v2_kernelIttLi128ELi32ELi128ELNS_18Fp8KVCacheDataTypeE0ELb0ELi512EEEvPfS2_PT_PKS3_PKT0_S9_ifPKiSB_iPKfiiiSD_SD_iiiii: ; @_ZN4vllm25paged_attention_v2_kernelIttLi128ELi32ELi128ELNS_18Fp8KVCacheDataTypeE0ELb0ELi512EEEvPfS2_PT_PKS3_PKT0_S9_ifPKiSB_iPKfiiiSD_SD_iiiii
; %bb.0:
	s_load_dwordx2 s[6:7], s[0:1], 0x40
	s_mov_b32 s24, s3
	s_ashr_i32 s25, s3, 31
	s_lshl_b64 s[8:9], s[24:25], 2
	s_waitcnt lgkmcnt(0)
	s_add_u32 s6, s6, s8
	s_addc_u32 s7, s7, s9
	s_load_dword s25, s[6:7], 0x0
	s_lshl_b32 s40, s4, 9
	s_waitcnt lgkmcnt(0)
	s_cmp_ge_i32 s40, s25
	s_cbranch_scc1 .LBB123_75
; %bb.1:
	s_load_dword s5, s[0:1], 0x90
	s_load_dwordx2 s[10:11], s[0:1], 0x30
	s_waitcnt lgkmcnt(0)
	s_abs_i32 s7, s5
	s_abs_i32 s3, s10
	v_cvt_f32_u32_e32 v1, s3
	s_sub_i32 s8, 0, s3
	s_xor_b32 s6, s5, s10
	s_ashr_i32 s6, s6, 31
	v_rcp_iflag_f32_e32 v1, v1
	s_nop 0
	v_mul_f32_e32 v1, 0x4f7ffffe, v1
	v_cvt_u32_f32_e32 v1, v1
	s_nop 0
	v_readfirstlane_b32 s9, v1
	s_mul_i32 s8, s8, s9
	s_mul_hi_u32 s8, s9, s8
	s_add_i32 s9, s9, s8
	s_mul_hi_u32 s8, s7, s9
	s_mul_i32 s9, s8, s3
	s_sub_i32 s7, s7, s9
	s_add_i32 s10, s8, 1
	s_sub_i32 s9, s7, s3
	s_cmp_ge_u32 s7, s3
	s_cselect_b32 s8, s10, s8
	s_cselect_b32 s7, s9, s7
	s_add_i32 s9, s8, 1
	s_cmp_ge_u32 s7, s3
	s_cselect_b32 s3, s9, s8
	s_xor_b32 s3, s3, s6
	s_sub_i32 s12, s3, s6
	s_abs_i32 s8, s12
	v_cvt_f32_u32_e32 v1, s8
	s_load_dwordx2 s[6:7], s[0:1], 0x50
	s_sub_i32 s3, 0, s8
	s_abs_i32 s9, s2
	v_rcp_iflag_f32_e32 v1, v1
	s_mov_b32 s10, 0
	v_mul_f32_e32 v1, 0x4f7ffffe, v1
	v_cvt_u32_f32_e32 v1, v1
	s_nop 0
	v_readfirstlane_b32 s13, v1
	s_mul_i32 s3, s3, s13
	s_mul_hi_u32 s3, s13, s3
	s_add_i32 s13, s13, s3
	s_waitcnt lgkmcnt(0)
	s_cmp_eq_u64 s[6:7], 0
	s_mul_hi_u32 s16, s9, s13
	s_cbranch_scc1 .LBB123_3
; %bb.2:
	s_ashr_i32 s3, s2, 31
	s_lshl_b64 s[14:15], s[2:3], 2
	s_add_u32 s6, s6, s14
	s_addc_u32 s7, s7, s15
	s_load_dword s10, s[6:7], 0x0
.LBB123_3:
	s_ashr_i32 s18, s12, 31
	s_load_dwordx4 s[12:15], s[0:1], 0x58
	s_ashr_i32 s17, s2, 31
	v_and_b32_e32 v4, 1, v0
	s_lshl_b32 s20, s2, 7
	v_cmp_gt_u32_e32 vcc, 32, v0
	v_lshlrev_b32_e32 v1, 3, v0
	s_and_saveexec_b64 s[6:7], vcc
	s_cbranch_execz .LBB123_5
; %bb.4:
	s_load_dwordx2 s[22:23], s[0:1], 0x18
	s_waitcnt lgkmcnt(0)
	s_mul_i32 s26, s24, s12
	s_ashr_i32 s27, s26, 31
	s_lshl_b64 s[26:27], s[26:27], 1
	v_lshlrev_b32_e32 v5, 2, v0
	s_add_u32 s3, s22, s26
	s_addc_u32 s12, s23, s27
	s_ashr_i32 s21, s20, 31
	s_lshl_b64 s[22:23], s[20:21], 1
	s_add_u32 s22, s3, s22
	s_addc_u32 s23, s12, s23
	global_load_dwordx2 v[2:3], v1, s[22:23]
	v_and_b32_e32 v5, 0xff8, v5
	v_lshl_add_u32 v5, v4, 7, v5
	s_waitcnt vmcnt(0)
	ds_write_b64 v5, v[2:3]
.LBB123_5:
	s_or_b64 exec, exec, s[6:7]
	s_add_i32 s3, s25, 31
	s_ashr_i32 s6, s3, 31
	s_lshr_b32 s6, s6, 27
	s_add_i32 s3, s3, s6
	s_waitcnt lgkmcnt(0)
	s_ashr_i32 s12, s3, 5
	s_lshl_b32 s3, s4, 4
	s_mul_i32 s7, s16, s8
	s_add_i32 s6, s3, 16
	s_sub_i32 s7, s9, s7
	s_min_i32 s33, s6, s12
	s_xor_b32 s6, s17, s18
	s_add_i32 s9, s16, 1
	s_sub_i32 s15, s7, s8
	s_cmp_ge_u32 s7, s8
	s_cselect_b32 s9, s9, s16
	s_cselect_b32 s7, s15, s7
	s_add_i32 s15, s9, 1
	s_cmp_ge_u32 s7, s8
	s_load_dwordx2 s[26:27], s[0:1], 0x38
	s_load_dword s8, s[0:1], 0x48
	v_lshrrev_b32_e32 v32, 6, v0
	s_cselect_b32 s7, s15, s9
	s_xor_b32 s7, s7, s6
	v_or_b32_e32 v6, s3, v32
	s_waitcnt lgkmcnt(0)
	s_mul_i32 s28, s24, s8
	s_sub_i32 s15, s7, s6
	s_ashr_i32 s29, s28, 31
	v_cmp_gt_i32_e64 s[8:9], s33, v6
	v_cmp_le_i32_e32 vcc, s33, v6
	v_mbcnt_lo_u32_b32 v8, -1, 0
	s_barrier
	s_waitcnt lgkmcnt(0)
                                        ; implicit-def: $sgpr36
                                        ; implicit-def: $vgpr37
                                        ; implicit-def: $vgpr36
	s_and_saveexec_b64 s[6:7], vcc
	s_xor_b64 s[6:7], exec, s[6:7]
; %bb.6:
	v_mbcnt_hi_u32_b32 v37, -1, v8
	v_and_b32_e32 v2, 64, v37
	v_add_u32_e32 v36, 64, v2
	s_mov_b32 s36, 0xff7fffff
                                        ; implicit-def: $vgpr4
                                        ; implicit-def: $vgpr8
; %bb.7:
	s_or_saveexec_b64 s[34:35], s[6:7]
	s_load_dwordx4 s[16:19], s[0:1], 0x0
	s_load_dwordx2 s[22:23], s[0:1], 0x10
	s_load_dwordx2 s[30:31], s[0:1], 0x28
	s_load_dword s21, s[0:1], 0x98
	v_mov_b32_e32 v34, s36
	s_mul_i32 s14, s15, s14
	v_ashrrev_i32_e32 v7, 31, v6
	v_lshlrev_b32_e32 v33, 5, v32
	s_xor_b64 exec, exec, s[34:35]
	s_cbranch_execz .LBB123_13
; %bb.8:
	s_load_dwordx2 s[0:1], s[0:1], 0x20
	s_ashr_i32 s15, s14, 31
	s_lshl_b64 s[6:7], s[14:15], 1
	v_bfe_u32 v5, v0, 1, 5
	v_lshlrev_b32_e32 v2, 4, v5
	s_waitcnt lgkmcnt(0)
	s_add_u32 s0, s0, s6
	s_addc_u32 s1, s1, s7
	v_mov_b32_e32 v3, 0
	v_lshl_add_u64 v[10:11], s[0:1], 0, v[2:3]
	s_sub_i32 s15, 1, s25
	s_lshl_b64 s[0:1], s[28:29], 2
	v_lshlrev_b32_e32 v35, 7, v4
	v_cmp_eq_u32_e32 vcc, 0, v4
	v_lshlrev_b32_e32 v4, 2, v5
	s_add_u32 s0, s26, s0
	v_mbcnt_hi_u32_b32 v37, -1, v8
	v_and_b32_e32 v2, 8, v1
	v_lshl_or_b32 v4, v32, 7, v4
	s_addc_u32 s1, s27, s1
	v_and_b32_e32 v8, 64, v37
	s_mov_b32 s41, s13
	v_lshl_add_u64 v[2:3], v[10:11], 0, v[2:3]
	v_cmp_neq_f32_e64 s[6:7], s10, 0
	v_add3_u32 v38, s40, v33, v5
	v_add_u32_e32 v39, 0x110, v4
	v_lshl_add_u64 v[4:5], v[6:7], 2, s[0:1]
	s_mov_b64 s[36:37], 0
	v_mov_b32_e32 v34, 0xff7fffff
	s_movk_i32 s42, 0x1000
	v_xor_b32_e32 v40, 1, v37
	v_add_u32_e32 v36, 64, v8
	v_mov_b32_e32 v41, v6
	s_branch .LBB123_10
.LBB123_9:                              ;   in Loop: Header=BB123_10 Depth=1
	s_or_b64 exec, exec, s[38:39]
	v_add_u32_e32 v41, 2, v41
	v_cmp_le_i32_e64 s[0:1], s33, v41
	v_add_u32_e32 v38, 64, v38
	v_add_u32_e32 v39, 0x100, v39
	s_or_b64 s[36:37], s[0:1], s[36:37]
	v_lshl_add_u64 v[4:5], v[4:5], 0, 8
	s_andn2_b64 exec, exec, s[36:37]
	s_cbranch_execz .LBB123_12
.LBB123_10:                             ; =>This Inner Loop Header: Depth=1
	global_load_dword v8, v[4:5], off
	s_waitcnt vmcnt(0) lgkmcnt(0)
	v_mad_i64_i32 v[8:9], s[0:1], v8, s41, 0
	v_lshl_add_u64 v[8:9], v[8:9], 1, v[2:3]
	global_load_dwordx2 v[44:45], v[8:9], off
	global_load_dwordx2 v[46:47], v[8:9], off offset:512
	global_load_dwordx2 v[48:49], v[8:9], off offset:1024
	;; [unrolled: 1-line block ×7, first 2 shown]
	v_add_co_u32_e64 v42, s[0:1], s42, v8
	s_waitcnt vmcnt(6)
	v_lshrrev_b32_e32 v56, 16, v46
	v_addc_co_u32_e64 v43, s[0:1], 0, v9, s[0:1]
	global_load_dwordx2 v[22:23], v[42:43], off
	ds_read_b64 v[8:9], v35
	v_and_b32_e32 v46, 0xffff, v46
	s_waitcnt vmcnt(1)
	v_lshrrev_b32_e32 v70, 16, v24
	v_and_b32_e32 v71, 0xffff, v24
	v_lshrrev_b32_e32 v72, 16, v25
	s_waitcnt lgkmcnt(0)
	v_lshrrev_b32_e32 v52, 16, v8
	v_and_b32_e32 v53, 0xffff, v8
	v_lshrrev_b32_e32 v54, 16, v9
	v_and_b32_e32 v55, 0xffff, v9
	global_load_dwordx2 v[20:21], v[42:43], off offset:512
	global_load_dwordx2 v[18:19], v[42:43], off offset:1024
	;; [unrolled: 1-line block ×7, first 2 shown]
	;;#ASMSTART
	v_cvt_f32_f16 v42, v53;
	;;#ASMEND
	;;#ASMSTART
	v_cvt_f32_f16 v43, v52;
	;;#ASMEND
	v_lshrrev_b32_e32 v52, 16, v44
	v_and_b32_e32 v44, 0xffff, v44
	v_lshrrev_b32_e32 v53, 16, v45
	v_and_b32_e32 v45, 0xffff, v45
	v_and_b32_e32 v73, 0xffff, v25
	;;#ASMSTART
	v_cvt_f32_f16 v44, v44;
	;;#ASMEND
	;;#ASMSTART
	v_cvt_f32_f16 v52, v52;
	;;#ASMEND
	;; [unrolled: 3-line block ×6, first 2 shown]
	ds_read_b64 v[24:25], v35 offset:8
	v_lshrrev_b32_e32 v57, 16, v47
	v_and_b32_e32 v47, 0xffff, v47
	v_lshrrev_b32_e32 v66, 16, v26
	v_and_b32_e32 v67, 0xffff, v26
	;; [unrolled: 2-line block ×11, first 2 shown]
	v_cmp_lt_i32_e64 s[0:1], v40, v36
	s_waitcnt vmcnt(7)
	v_lshrrev_b32_e32 v74, 16, v22
	v_and_b32_e32 v75, 0xffff, v22
	v_lshrrev_b32_e32 v76, 16, v23
	v_and_b32_e32 v77, 0xffff, v23
	s_waitcnt lgkmcnt(0)
	v_and_b32_e32 v22, 0xffff, v24
	v_lshrrev_b32_e32 v23, 16, v24
	v_lshrrev_b32_e32 v24, 16, v25
	v_and_b32_e32 v25, 0xffff, v25
	;;#ASMSTART
	v_cvt_f32_f16 v22, v22;
	;;#ASMEND
	;;#ASMSTART
	v_cvt_f32_f16 v23, v23;
	;;#ASMEND
	;; [unrolled: 3-line block ×8, first 2 shown]
	ds_read_b64 v[26:27], v35 offset:16
	v_mul_f32_e32 v22, v22, v46
	v_mul_f32_e32 v23, v23, v56
	;; [unrolled: 1-line block ×3, first 2 shown]
	v_fmac_f32_e32 v22, v42, v44
	v_fmac_f32_e32 v23, v43, v52
	s_waitcnt lgkmcnt(0)
	v_lshrrev_b32_e32 v42, 16, v26
	v_and_b32_e32 v26, 0xffff, v26
	v_lshrrev_b32_e32 v43, 16, v27
	v_and_b32_e32 v27, 0xffff, v27
	v_mul_f32_e32 v25, v78, v47
	v_fmac_f32_e32 v24, v55, v45
	;;#ASMSTART
	v_cvt_f32_f16 v44, v26;
	;;#ASMEND
	;;#ASMSTART
	v_cvt_f32_f16 v42, v42;
	;;#ASMEND
	;;#ASMSTART
	v_cvt_f32_f16 v45, v48;
	;;#ASMEND
	;;#ASMSTART
	v_cvt_f32_f16 v46, v58;
	;;#ASMEND
	;;#ASMSTART
	v_cvt_f32_f16 v47, v27;
	;;#ASMEND
	;;#ASMSTART
	v_cvt_f32_f16 v43, v43;
	;;#ASMEND
	;;#ASMSTART
	v_cvt_f32_f16 v48, v49;
	;;#ASMEND
	;;#ASMSTART
	v_cvt_f32_f16 v49, v59;
	;;#ASMEND
	ds_read_b64 v[26:27], v35 offset:24
	v_fmac_f32_e32 v25, v54, v53
	v_fmac_f32_e32 v23, v42, v46
	;; [unrolled: 1-line block ×4, first 2 shown]
	s_waitcnt lgkmcnt(0)
	v_lshrrev_b32_e32 v42, 16, v26
	v_and_b32_e32 v26, 0xffff, v26
	v_lshrrev_b32_e32 v43, 16, v27
	v_and_b32_e32 v27, 0xffff, v27
	v_fmac_f32_e32 v24, v47, v48
	;;#ASMSTART
	v_cvt_f32_f16 v44, v26;
	;;#ASMEND
	;;#ASMSTART
	v_cvt_f32_f16 v42, v42;
	;;#ASMEND
	;;#ASMSTART
	v_cvt_f32_f16 v45, v50;
	;;#ASMEND
	;;#ASMSTART
	v_cvt_f32_f16 v46, v60;
	;;#ASMEND
	;;#ASMSTART
	v_cvt_f32_f16 v47, v27;
	;;#ASMEND
	;;#ASMSTART
	v_cvt_f32_f16 v43, v43;
	;;#ASMEND
	;;#ASMSTART
	v_cvt_f32_f16 v48, v51;
	;;#ASMEND
	;;#ASMSTART
	v_cvt_f32_f16 v49, v61;
	;;#ASMEND
	ds_read_b64 v[26:27], v35 offset:32
	v_fmac_f32_e32 v23, v42, v46
	v_fmac_f32_e32 v25, v43, v49
	v_fmac_f32_e32 v22, v44, v45
	v_fmac_f32_e32 v24, v47, v48
	s_waitcnt lgkmcnt(0)
	v_lshrrev_b32_e32 v42, 16, v26
	v_and_b32_e32 v26, 0xffff, v26
	v_lshrrev_b32_e32 v43, 16, v27
	v_and_b32_e32 v27, 0xffff, v27
	;;#ASMSTART
	v_cvt_f32_f16 v44, v26;
	;;#ASMEND
	;;#ASMSTART
	v_cvt_f32_f16 v42, v42;
	;;#ASMEND
	;;#ASMSTART
	v_cvt_f32_f16 v30, v30;
	;;#ASMEND
	;;#ASMSTART
	v_cvt_f32_f16 v45, v62;
	;;#ASMEND
	;;#ASMSTART
	v_cvt_f32_f16 v46, v27;
	;;#ASMEND
	;;#ASMSTART
	v_cvt_f32_f16 v43, v43;
	;;#ASMEND
	;;#ASMSTART
	v_cvt_f32_f16 v31, v31;
	;;#ASMEND
	;;#ASMSTART
	v_cvt_f32_f16 v47, v63;
	;;#ASMEND
	ds_read_b64 v[26:27], v35 offset:40
	v_fmac_f32_e32 v22, v44, v30
	v_fmac_f32_e32 v24, v46, v31
	v_fmac_f32_e32 v23, v42, v45
	v_fmac_f32_e32 v25, v43, v47
	s_waitcnt lgkmcnt(0)
	v_lshrrev_b32_e32 v30, 16, v26
	v_and_b32_e32 v26, 0xffff, v26
	v_lshrrev_b32_e32 v31, 16, v27
	v_and_b32_e32 v27, 0xffff, v27
	;;#ASMSTART
	v_cvt_f32_f16 v42, v26;
	;;#ASMEND
	;;#ASMSTART
	v_cvt_f32_f16 v30, v30;
	;;#ASMEND
	;;#ASMSTART
	v_cvt_f32_f16 v28, v28;
	;;#ASMEND
	;;#ASMSTART
	v_cvt_f32_f16 v43, v64;
	;;#ASMEND
	;;#ASMSTART
	v_cvt_f32_f16 v44, v27;
	;;#ASMEND
	;;#ASMSTART
	v_cvt_f32_f16 v31, v31;
	;;#ASMEND
	;;#ASMSTART
	v_cvt_f32_f16 v29, v29;
	;;#ASMEND
	;;#ASMSTART
	v_cvt_f32_f16 v45, v65;
	;;#ASMEND
	ds_read_b64 v[26:27], v35 offset:48
	v_fmac_f32_e32 v22, v42, v28
	v_fmac_f32_e32 v24, v44, v29
	v_fmac_f32_e32 v23, v30, v43
	v_fmac_f32_e32 v25, v31, v45
	s_waitcnt lgkmcnt(0)
	v_lshrrev_b32_e32 v28, 16, v26
	v_and_b32_e32 v26, 0xffff, v26
	v_lshrrev_b32_e32 v29, 16, v27
	v_and_b32_e32 v27, 0xffff, v27
	;;#ASMSTART
	v_cvt_f32_f16 v30, v26;
	;;#ASMEND
	;;#ASMSTART
	v_cvt_f32_f16 v28, v28;
	;;#ASMEND
	;;#ASMSTART
	v_cvt_f32_f16 v31, v67;
	;;#ASMEND
	;;#ASMSTART
	v_cvt_f32_f16 v42, v66;
	;;#ASMEND
	;;#ASMSTART
	v_cvt_f32_f16 v43, v27;
	;;#ASMEND
	;;#ASMSTART
	v_cvt_f32_f16 v29, v29;
	;;#ASMEND
	;;#ASMSTART
	v_cvt_f32_f16 v44, v69;
	;;#ASMEND
	;;#ASMSTART
	v_cvt_f32_f16 v45, v68;
	;;#ASMEND
	ds_read_b64 v[26:27], v35 offset:56
	v_fmac_f32_e32 v23, v28, v42
	v_fmac_f32_e32 v25, v29, v45
	v_fmac_f32_e32 v22, v30, v31
	v_fmac_f32_e32 v24, v43, v44
	s_waitcnt lgkmcnt(0)
	v_lshrrev_b32_e32 v28, 16, v26
	v_and_b32_e32 v26, 0xffff, v26
	v_lshrrev_b32_e32 v29, 16, v27
	v_and_b32_e32 v27, 0xffff, v27
	;;#ASMSTART
	v_cvt_f32_f16 v30, v26;
	;;#ASMEND
	;;#ASMSTART
	v_cvt_f32_f16 v28, v28;
	;;#ASMEND
	;;#ASMSTART
	v_cvt_f32_f16 v31, v71;
	;;#ASMEND
	;;#ASMSTART
	v_cvt_f32_f16 v42, v70;
	;;#ASMEND
	;;#ASMSTART
	v_cvt_f32_f16 v43, v27;
	;;#ASMEND
	;;#ASMSTART
	v_cvt_f32_f16 v29, v29;
	;;#ASMEND
	;;#ASMSTART
	v_cvt_f32_f16 v44, v73;
	;;#ASMEND
	;;#ASMSTART
	v_cvt_f32_f16 v45, v72;
	;;#ASMEND
	ds_read_b64 v[26:27], v35 offset:64
	v_fmac_f32_e32 v23, v28, v42
	v_fmac_f32_e32 v25, v29, v45
	v_fmac_f32_e32 v22, v30, v31
	v_fmac_f32_e32 v24, v43, v44
	s_waitcnt lgkmcnt(0)
	v_lshrrev_b32_e32 v28, 16, v26
	v_and_b32_e32 v26, 0xffff, v26
	v_lshrrev_b32_e32 v29, 16, v27
	v_and_b32_e32 v27, 0xffff, v27
	;;#ASMSTART
	v_cvt_f32_f16 v30, v26;
	;;#ASMEND
	;;#ASMSTART
	v_cvt_f32_f16 v28, v28;
	;;#ASMEND
	;; [unrolled: 3-line block ×8, first 2 shown]
	ds_read_b64 v[26:27], v35 offset:72
	v_fmac_f32_e32 v23, v28, v42
	v_fmac_f32_e32 v25, v29, v45
	s_waitcnt vmcnt(6)
	v_lshrrev_b32_e32 v29, 16, v20
	v_and_b32_e32 v20, 0xffff, v20
	s_waitcnt lgkmcnt(0)
	v_lshrrev_b32_e32 v28, 16, v26
	v_and_b32_e32 v26, 0xffff, v26
	v_fmac_f32_e32 v22, v30, v31
	;;#ASMSTART
	v_cvt_f32_f16 v26, v26;
	;;#ASMEND
	;;#ASMSTART
	v_cvt_f32_f16 v28, v28;
	;;#ASMEND
	;;#ASMSTART
	v_cvt_f32_f16 v30, v20;
	;;#ASMEND
	v_lshrrev_b32_e32 v20, 16, v27
	v_and_b32_e32 v27, 0xffff, v27
	;;#ASMSTART
	v_cvt_f32_f16 v29, v29;
	;;#ASMEND
	;;#ASMSTART
	v_cvt_f32_f16 v27, v27;
	;;#ASMEND
	;;#ASMSTART
	v_cvt_f32_f16 v31, v20;
	;;#ASMEND
	v_lshrrev_b32_e32 v20, 16, v21
	v_and_b32_e32 v21, 0xffff, v21
	v_fmac_f32_e32 v24, v43, v44
	;;#ASMSTART
	v_cvt_f32_f16 v42, v21;
	;;#ASMEND
	;;#ASMSTART
	v_cvt_f32_f16 v43, v20;
	;;#ASMEND
	ds_read_b64 v[20:21], v35 offset:80
	v_fmac_f32_e32 v22, v26, v30
	v_fmac_f32_e32 v24, v27, v42
	s_waitcnt vmcnt(5)
	v_lshrrev_b32_e32 v27, 16, v18
	v_and_b32_e32 v18, 0xffff, v18
	s_waitcnt lgkmcnt(0)
	v_lshrrev_b32_e32 v26, 16, v20
	v_and_b32_e32 v20, 0xffff, v20
	v_fmac_f32_e32 v23, v28, v29
	;;#ASMSTART
	v_cvt_f32_f16 v20, v20;
	;;#ASMEND
	;;#ASMSTART
	v_cvt_f32_f16 v26, v26;
	;;#ASMEND
	;;#ASMSTART
	v_cvt_f32_f16 v28, v18;
	;;#ASMEND
	v_lshrrev_b32_e32 v18, 16, v21
	v_and_b32_e32 v21, 0xffff, v21
	;;#ASMSTART
	v_cvt_f32_f16 v27, v27;
	;;#ASMEND
	;;#ASMSTART
	v_cvt_f32_f16 v21, v21;
	;;#ASMEND
	;;#ASMSTART
	v_cvt_f32_f16 v29, v18;
	;;#ASMEND
	v_lshrrev_b32_e32 v18, 16, v19
	v_and_b32_e32 v19, 0xffff, v19
	v_fmac_f32_e32 v25, v31, v43
	;;#ASMSTART
	v_cvt_f32_f16 v30, v19;
	;;#ASMEND
	;;#ASMSTART
	v_cvt_f32_f16 v31, v18;
	;;#ASMEND
	;; [unrolled: 39-line block ×6, first 2 shown]
	ds_read_b64 v[10:11], v35 offset:120
	v_fmac_f32_e32 v22, v12, v16
	v_fmac_f32_e32 v24, v13, v18
	s_waitcnt vmcnt(0)
	v_lshrrev_b32_e32 v13, 16, v8
	v_and_b32_e32 v8, 0xffff, v8
	s_waitcnt lgkmcnt(0)
	v_lshrrev_b32_e32 v12, 16, v10
	v_and_b32_e32 v10, 0xffff, v10
	;;#ASMSTART
	v_cvt_f32_f16 v10, v10;
	;;#ASMEND
	;;#ASMSTART
	v_cvt_f32_f16 v12, v12;
	;;#ASMEND
	;; [unrolled: 3-line block ×3, first 2 shown]
	v_fmac_f32_e32 v23, v14, v15
	v_fmac_f32_e32 v22, v10, v8
	v_lshrrev_b32_e32 v8, 16, v11
	v_and_b32_e32 v10, 0xffff, v11
	v_fmac_f32_e32 v25, v17, v19
	;;#ASMSTART
	v_cvt_f32_f16 v13, v13;
	;;#ASMEND
	;;#ASMSTART
	v_cvt_f32_f16 v10, v10;
	;;#ASMEND
	;; [unrolled: 3-line block ×3, first 2 shown]
	v_lshrrev_b32_e32 v11, 16, v9
	v_fmac_f32_e32 v23, v12, v13
	v_and_b32_e32 v9, 0xffff, v9
	;;#ASMSTART
	v_cvt_f32_f16 v9, v9;
	;;#ASMEND
	;;#ASMSTART
	v_cvt_f32_f16 v11, v11;
	;;#ASMEND
	s_nop 0
	v_fmac_f32_e32 v24, v10, v9
	v_fmac_f32_e32 v25, v8, v11
	v_add_f32_e32 v8, v22, v23
	v_add_f32_e32 v8, v8, v24
	v_cndmask_b32_e64 v9, v37, v40, s[0:1]
	v_add_f32_e32 v8, v25, v8
	v_lshlrev_b32_e32 v9, 2, v9
	ds_bpermute_b32 v9, v9, v8
	s_and_saveexec_b64 s[38:39], vcc
	s_cbranch_execz .LBB123_9
; %bb.11:                               ;   in Loop: Header=BB123_10 Depth=1
	v_add_u32_e32 v10, s15, v38
	v_cvt_f32_i32_e32 v10, v10
	s_waitcnt lgkmcnt(0)
	v_add_f32_e32 v8, v8, v9
	v_cmp_gt_i32_e64 s[0:1], s25, v38
	v_max_f32_e32 v9, v34, v34
	v_mul_f32_e32 v10, s10, v10
	v_cndmask_b32_e64 v10, 0, v10, s[6:7]
	v_fmac_f32_e32 v10, s11, v8
	v_cndmask_b32_e64 v8, 0, v10, s[0:1]
	ds_write_b32 v39, v8
	v_max_f32_e32 v8, v9, v10
	v_cndmask_b32_e64 v34, v34, v8, s[0:1]
	s_branch .LBB123_9
.LBB123_12:
	s_or_b64 exec, exec, s[36:37]
.LBB123_13:
	s_or_b64 exec, exec, s[34:35]
	v_xor_b32_e32 v2, 32, v37
	v_cmp_lt_i32_e32 vcc, v2, v36
	v_xor_b32_e32 v5, 16, v37
	v_max_f32_e32 v4, v34, v34
	v_cndmask_b32_e32 v2, v37, v2, vcc
	v_lshlrev_b32_e32 v2, 2, v2
	ds_bpermute_b32 v3, v2, v34
	v_cmp_lt_i32_e32 vcc, v5, v36
	v_xor_b32_e32 v8, 8, v37
	s_waitcnt lgkmcnt(0)
	v_xor_b32_e32 v9, 4, v37
	v_xor_b32_e32 v10, 2, v37
	v_max_f32_e32 v3, v3, v3
	v_max_f32_e32 v4, v4, v3
	v_cndmask_b32_e32 v3, v37, v5, vcc
	v_lshlrev_b32_e32 v3, 2, v3
	ds_bpermute_b32 v5, v3, v4
	v_cmp_lt_i32_e32 vcc, v8, v36
	v_and_b32_e32 v34, 63, v0
	s_waitcnt lgkmcnt(0)
	v_max_f32_e32 v5, v5, v5
	v_max_f32_e32 v4, v4, v5
	v_cndmask_b32_e32 v5, v37, v8, vcc
	v_lshlrev_b32_e32 v5, 2, v5
	ds_bpermute_b32 v8, v5, v4
	v_cmp_lt_i32_e32 vcc, v9, v36
	s_waitcnt lgkmcnt(0)
	v_max_f32_e32 v8, v8, v8
	v_max_f32_e32 v4, v4, v8
	v_cndmask_b32_e32 v8, v37, v9, vcc
	v_lshlrev_b32_e32 v8, 2, v8
	ds_bpermute_b32 v9, v8, v4
	v_cmp_lt_i32_e32 vcc, v10, v36
	s_waitcnt lgkmcnt(0)
	v_max_f32_e32 v9, v9, v9
	v_max_f32_e32 v4, v4, v9
	v_cndmask_b32_e32 v9, v37, v10, vcc
	v_lshlrev_b32_e32 v35, 2, v9
	ds_bpermute_b32 v10, v35, v4
	v_cmp_eq_u32_e32 vcc, 0, v34
	v_lshlrev_b32_e32 v9, 2, v32
	s_and_saveexec_b64 s[0:1], vcc
	s_cbranch_execz .LBB123_15
; %bb.14:
	s_waitcnt lgkmcnt(0)
	v_max_f32_e32 v10, v10, v10
	v_max_f32_e32 v4, v4, v4
	;; [unrolled: 1-line block ×3, first 2 shown]
	ds_write_b32 v9, v4 offset:256
.LBB123_15:
	s_or_b64 exec, exec, s[0:1]
	v_cmp_gt_u32_e64 s[0:1], 2, v34
	v_mov_b32_e32 v4, 0xff7fffff
	s_waitcnt lgkmcnt(0)
	v_lshlrev_b32_e32 v10, 2, v34
	s_barrier
	s_and_saveexec_b64 s[6:7], s[0:1]
	s_cbranch_execz .LBB123_17
; %bb.16:
	ds_read_b32 v4, v10 offset:256
.LBB123_17:
	s_or_b64 exec, exec, s[6:7]
	v_xor_b32_e32 v11, 1, v37
	v_cmp_lt_i32_e64 s[6:7], v11, v36
	s_sub_i32 s3, s33, s3
	s_lshl_b32 s3, s3, 5
	v_cndmask_b32_e64 v11, v37, v11, s[6:7]
	v_lshlrev_b32_e32 v36, 2, v11
	s_waitcnt lgkmcnt(0)
	ds_bpermute_b32 v11, v36, v4
	v_max_f32_e32 v4, v4, v4
	s_add_i32 s3, s3, s40
	s_min_i32 s15, s3, s25
	s_sub_i32 s3, s15, s40
	s_waitcnt lgkmcnt(0)
	v_max_f32_e32 v11, v11, v11
	v_max_f32_e32 v4, v4, v11
	v_lshlrev_b32_e32 v11, 2, v37
	v_and_b32_e32 v11, 0xffffff00, v11
	ds_bpermute_b32 v4, v11, v4
	v_cmp_gt_i32_e64 s[6:7], s3, v0
	v_mov_b32_e32 v12, 0
	s_and_saveexec_b64 s[34:35], s[6:7]
	s_cbranch_execz .LBB123_21
; %bb.18:
	v_mov_b32_e32 v12, 0x110
	v_lshl_add_u32 v13, v0, 2, v12
	s_mov_b64 s[36:37], 0
	v_mov_b32_e32 v12, 0
	v_mov_b32_e32 v14, v0
.LBB123_19:                             ; =>This Inner Loop Header: Depth=1
	ds_read_b32 v15, v13
	v_add_u32_e32 v14, 0x80, v14
	v_cmp_le_i32_e64 s[10:11], s3, v14
	s_or_b64 s[36:37], s[10:11], s[36:37]
	s_waitcnt lgkmcnt(0)
	v_sub_f32_e32 v15, v15, v4
	v_mul_f32_e32 v15, 0x3fb8aa3b, v15
	v_exp_f32_e32 v15, v15
	ds_write_b32 v13, v15
	v_add_f32_e32 v12, v12, v15
	v_add_u32_e32 v13, 0x200, v13
	s_andn2_b64 exec, exec, s[36:37]
	s_cbranch_execnz .LBB123_19
; %bb.20:
	s_or_b64 exec, exec, s[36:37]
.LBB123_21:
	s_or_b64 exec, exec, s[34:35]
	ds_bpermute_b32 v2, v2, v12
	s_waitcnt lgkmcnt(0)
	v_add_f32_e32 v2, v12, v2
	ds_bpermute_b32 v3, v3, v2
	s_waitcnt lgkmcnt(0)
	v_add_f32_e32 v2, v2, v3
	;; [unrolled: 3-line block ×6, first 2 shown]
	s_and_saveexec_b64 s[10:11], vcc
	s_cbranch_execz .LBB123_23
; %bb.22:
	ds_write_b32 v9, v2 offset:264
.LBB123_23:
	s_or_b64 exec, exec, s[10:11]
	s_waitcnt lgkmcnt(0)
	s_barrier
	s_and_saveexec_b64 s[10:11], s[0:1]
	s_cbranch_execz .LBB123_25
; %bb.24:
	ds_read_b32 v2, v10 offset:264
.LBB123_25:
	s_or_b64 exec, exec, s[10:11]
	s_waitcnt lgkmcnt(0)
	ds_bpermute_b32 v3, v36, v2
	s_waitcnt lgkmcnt(0)
	v_add_f32_e32 v2, v2, v3
	ds_bpermute_b32 v5, v11, v2
	s_and_saveexec_b64 s[0:1], s[6:7]
	s_cbranch_execz .LBB123_38
; %bb.26:
	s_waitcnt lgkmcnt(0)
	v_add_f32_e32 v2, 0x358637bd, v5
	v_div_scale_f32 v3, s[6:7], v2, v2, 1.0
	v_rcp_f32_e32 v8, v3
	v_div_scale_f32 v9, vcc, 1.0, v2, 1.0
	s_movk_i32 s6, 0x7f
	v_fma_f32 v10, -v3, v8, 1.0
	v_fmac_f32_e32 v8, v10, v8
	v_mul_f32_e32 v10, v9, v8
	v_fma_f32 v11, -v3, v10, v9
	v_fmac_f32_e32 v10, v11, v8
	v_fma_f32 v3, -v3, v10, v9
	v_div_fmas_f32 v3, v3, v8, v10
	v_div_fixup_f32 v2, v3, v2, 1.0
	v_xad_u32 v3, v0, -1, s15
	v_subrev_u32_e32 v8, s40, v3
	v_cmp_lt_u32_e32 vcc, s6, v8
	s_mov_b64 s[10:11], -1
	v_mov_b32_e32 v3, v0
	s_and_saveexec_b64 s[6:7], vcc
	s_cbranch_execz .LBB123_35
; %bb.27:
	v_lshrrev_b32_e32 v8, 7, v8
	v_add_u32_e32 v10, -1, v8
	v_lshrrev_b32_e32 v9, 1, v10
	v_mov_b32_e32 v3, v2
	v_add_u32_e32 v9, 1, v9
	v_cmp_lt_u32_e32 vcc, 13, v10
	v_mov_b32_e32 v12, 0
	s_and_saveexec_b64 s[10:11], vcc
	s_cbranch_execz .LBB123_31
; %bb.28:
	v_mov_b32_e32 v11, 0x110
	v_and_b32_e32 v10, -8, v9
	v_lshl_add_u32 v11, v0, 2, v11
	s_mov_b32 s15, 0
	s_mov_b64 s[34:35], 0
.LBB123_29:                             ; =>This Inner Loop Header: Depth=1
	ds_read2st64_b32 v[12:13], v11 offset1:2
	ds_read2st64_b32 v[14:15], v11 offset0:4 offset1:6
	ds_read2st64_b32 v[16:17], v11 offset0:8 offset1:10
	;; [unrolled: 1-line block ×3, first 2 shown]
	v_add_u32_e32 v10, -8, v10
	s_waitcnt lgkmcnt(3)
	v_pk_mul_f32 v[12:13], v[2:3], v[12:13]
	s_waitcnt lgkmcnt(2)
	v_pk_mul_f32 v[14:15], v[2:3], v[14:15]
	ds_write2st64_b32 v11, v12, v13 offset1:2
	ds_write2st64_b32 v11, v14, v15 offset0:4 offset1:6
	ds_read2st64_b32 v[14:15], v11 offset0:16 offset1:18
	s_waitcnt lgkmcnt(4)
	v_pk_mul_f32 v[12:13], v[2:3], v[16:17]
	ds_write2st64_b32 v11, v12, v13 offset0:8 offset1:10
	s_waitcnt lgkmcnt(4)
	v_pk_mul_f32 v[12:13], v[2:3], v[18:19]
	ds_write2st64_b32 v11, v12, v13 offset0:12 offset1:14
	ds_read2st64_b32 v[12:13], v11 offset0:20 offset1:22
	s_waitcnt lgkmcnt(3)
	v_pk_mul_f32 v[14:15], v[2:3], v[14:15]
	ds_read2st64_b32 v[16:17], v11 offset0:24 offset1:26
	ds_write2st64_b32 v11, v14, v15 offset0:16 offset1:18
	ds_read2st64_b32 v[14:15], v11 offset0:28 offset1:30
	s_waitcnt lgkmcnt(3)
	v_pk_mul_f32 v[12:13], v[2:3], v[12:13]
	ds_write2st64_b32 v11, v12, v13 offset0:20 offset1:22
	s_waitcnt lgkmcnt(3)
	v_pk_mul_f32 v[12:13], v[2:3], v[16:17]
	ds_write2st64_b32 v11, v12, v13 offset0:24 offset1:26
	s_waitcnt lgkmcnt(2)
	v_pk_mul_f32 v[12:13], v[2:3], v[14:15]
	s_add_i32 s15, s15, 16
	v_cmp_eq_u32_e32 vcc, 0, v10
	ds_write2st64_b32 v11, v12, v13 offset0:28 offset1:30
	v_add_u32_e32 v11, 0x2000, v11
	s_or_b64 s[34:35], vcc, s[34:35]
	v_mov_b32_e32 v12, s15
	s_andn2_b64 exec, exec, s[34:35]
	s_cbranch_execnz .LBB123_29
; %bb.30:
	s_or_b64 exec, exec, s[34:35]
.LBB123_31:
	s_or_b64 exec, exec, s[10:11]
	v_and_b32_e32 v9, 7, v9
	v_cmp_ne_u32_e32 vcc, 0, v9
	s_and_saveexec_b64 s[10:11], vcc
	s_cbranch_execz .LBB123_34
; %bb.32:
	v_lshlrev_b32_e32 v10, 9, v12
	v_lshlrev_b32_e32 v11, 2, v0
	s_movk_i32 s15, 0x110
	v_add3_u32 v10, v10, v11, s15
	s_mov_b64 s[34:35], 0
.LBB123_33:                             ; =>This Inner Loop Header: Depth=1
	ds_read2st64_b32 v[12:13], v10 offset1:2
	v_add_u32_e32 v9, -1, v9
	v_cmp_eq_u32_e32 vcc, 0, v9
	s_or_b64 s[34:35], vcc, s[34:35]
	s_waitcnt lgkmcnt(0)
	v_pk_mul_f32 v[12:13], v[2:3], v[12:13]
	ds_write2st64_b32 v10, v12, v13 offset1:2
	v_add_u32_e32 v10, 0x400, v10
	s_andn2_b64 exec, exec, s[34:35]
	s_cbranch_execnz .LBB123_33
.LBB123_34:
	s_or_b64 exec, exec, s[10:11]
	v_add_u32_e32 v8, 1, v8
	v_and_b32_e32 v9, 0x3fffffe, v8
	v_cmp_ne_u32_e32 vcc, v8, v9
	v_lshl_add_u32 v3, v9, 7, v0
	s_orn2_b64 s[10:11], vcc, exec
.LBB123_35:
	s_or_b64 exec, exec, s[6:7]
	s_and_b64 exec, exec, s[10:11]
	s_cbranch_execz .LBB123_38
; %bb.36:
	v_mov_b32_e32 v8, 0x110
	v_lshl_add_u32 v8, v3, 2, v8
	s_mov_b64 s[6:7], 0
.LBB123_37:                             ; =>This Inner Loop Header: Depth=1
	ds_read_b32 v9, v8
	v_add_u32_e32 v3, 0x80, v3
	v_cmp_le_i32_e32 vcc, s3, v3
	s_or_b64 s[6:7], vcc, s[6:7]
	s_waitcnt lgkmcnt(0)
	v_mul_f32_e32 v9, v2, v9
	ds_write_b32 v8, v9
	v_add_u32_e32 v8, 0x200, v8
	s_andn2_b64 exec, exec, s[6:7]
	s_cbranch_execnz .LBB123_37
.LBB123_38:
	s_or_b64 exec, exec, s[0:1]
	s_mul_i32 s0, s21, s24
	v_cmp_eq_u32_e32 vcc, 0, v0
	s_mul_i32 s6, s0, s5
	s_waitcnt lgkmcnt(0)
	s_barrier
	s_and_saveexec_b64 s[0:1], vcc
	s_cbranch_execz .LBB123_40
; %bb.39:
	s_ashr_i32 s7, s6, 31
	s_lshl_b64 s[10:11], s[6:7], 2
	s_add_u32 s5, s18, s10
	s_mul_i32 s2, s21, s2
	s_addc_u32 s7, s19, s11
	s_ashr_i32 s3, s2, 31
	s_lshl_b64 s[2:3], s[2:3], 2
	s_add_u32 s15, s5, s2
	s_addc_u32 s7, s7, s3
	s_ashr_i32 s5, s4, 31
	s_lshl_b64 s[18:19], s[4:5], 2
	s_add_u32 s34, s15, s18
	s_addc_u32 s35, s7, s19
	s_add_u32 s5, s16, s10
	s_addc_u32 s7, s17, s11
	;; [unrolled: 2-line block ×3, first 2 shown]
	s_add_u32 s2, s2, s18
	v_mov_b32_e32 v2, 0
	s_addc_u32 s3, s3, s19
	global_store_dword v2, v4, s[34:35]
	global_store_dword v2, v5, s[2:3]
.LBB123_40:
	s_or_b64 exec, exec, s[0:1]
	v_mov_b32_e32 v9, 0
	v_and_b32_e32 v37, 3, v0
	v_mov_b32_e32 v8, 0
	v_mov_b32_e32 v11, 0
	;; [unrolled: 1-line block ×7, first 2 shown]
	s_and_saveexec_b64 s[2:3], s[8:9]
	s_cbranch_execz .LBB123_60
; %bb.41:
	s_ashr_i32 s15, s14, 31
	s_lshl_b64 s[0:1], s[14:15], 1
	s_add_u32 s8, s30, s0
	v_and_b32_e32 v3, 24, v1
	s_addc_u32 s9, s31, s1
	s_add_i32 s7, s12, -1
	s_lshl_b64 s[0:1], s[28:29], 2
	v_and_b32_e32 v2, 0x1f8, v1
	v_add3_u32 v1, s40, v33, v3
	v_lshlrev_b32_e32 v3, 5, v37
	s_add_u32 s0, s26, s0
	v_mov_b32_e32 v15, 0
	v_or_b32_e32 v4, 0x800, v2
	v_or_b32_e32 v8, 0xa00, v2
	;; [unrolled: 1-line block ×4, first 2 shown]
	v_lshl_or_b32 v3, v32, 7, v3
	s_addc_u32 s1, s27, s1
	s_mov_b32 s5, s13
	s_mov_b32 s14, s25
	s_mov_b32 s15, s25
	s_mov_b32 s16, s25
	s_mov_b32 s17, s25
	s_mov_b32 s18, s25
	s_mov_b32 s19, s25
	s_mov_b32 s24, s25
	v_add_u32_e32 v32, 0x110, v3
	v_lshl_add_u64 v[18:19], v[6:7], 2, s[0:1]
	s_mov_b64 s[10:11], 0
	v_lshlrev_b32_e32 v20, 1, v2
	v_mov_b32_e32 v21, v15
	s_mov_b32 s26, 0x5040100
	v_lshlrev_b32_e32 v14, 1, v4
	v_lshlrev_b32_e32 v22, 1, v8
	;; [unrolled: 1-line block ×4, first 2 shown]
	v_mov_b32_e32 v16, v15
	v_mov_b32_e32 v17, v15
	;; [unrolled: 1-line block ×8, first 2 shown]
	s_branch .LBB123_43
.LBB123_42:                             ;   in Loop: Header=BB123_43 Depth=1
	s_or_b64 exec, exec, s[0:1]
	v_add_f32_e32 v7, v47, v48
	s_waitcnt vmcnt(0)
	;;#ASMSTART
	v_pk_mul_f16 v2, v44, v2;

	;;#ASMEND
	v_add_f32_e32 v16, v16, v7
	v_add_f32_e32 v7, v49, v50
	;;#ASMSTART
	v_pk_mul_f16 v3, v43, v3;

	;;#ASMEND
	;;#ASMSTART
	v_pk_mul_f16 v4, v42, v4;

	;;#ASMEND
	;; [unrolled: 4-line block ×3, first 2 shown]
	v_add_f32_e32 v17, v17, v7
	;;#ASMSTART
	v_pk_add_f16 v2, v2, v3;

	;;#ASMEND
	v_add_f32_e32 v7, v51, v52
	;;#ASMSTART
	v_pk_add_f16 v2, v2, v4;

	;;#ASMEND
	v_add_f32_e32 v12, v12, v7
	v_add_f32_e32 v7, v30, v31
	;;#ASMSTART
	v_pk_add_f16 v2, v2, v5;

	;;#ASMEND
	v_add_f32_e32 v13, v13, v7
	v_add_f32_e32 v7, v53, v54
	v_lshrrev_b32_e32 v3, 16, v2
	v_and_b32_e32 v2, 0xffff, v2
	v_add_f32_e32 v10, v10, v7
	v_add_f32_e32 v7, v23, v55
	;;#ASMSTART
	v_cvt_f32_f16 v2, v2;
	;;#ASMEND
	v_add_u32_e32 v6, 2, v6
	v_add_f32_e32 v11, v11, v7
	v_add_f32_e32 v7, v25, v56
	;;#ASMSTART
	v_cvt_f32_f16 v3, v3;
	;;#ASMEND
	v_cmp_le_i32_e32 vcc, s33, v6
	v_add_f32_e32 v2, v2, v3
	v_add_f32_e32 v8, v8, v7
	;; [unrolled: 1-line block ×3, first 2 shown]
	v_add_u32_e32 v1, 64, v1
	v_add_u32_e32 v32, 0x100, v32
	s_or_b64 s[10:11], vcc, s[10:11]
	v_lshl_add_u64 v[18:19], v[18:19], 0, 8
	s_andn2_b64 exec, exec, s[10:11]
	s_cbranch_execz .LBB123_59
.LBB123_43:                             ; =>This Inner Loop Header: Depth=1
	global_load_dword v7, v[18:19], off
	ds_read2_b64 v[2:5], v32 offset1:1
	ds_read2_b64 v[28:31], v32 offset0:2 offset1:3
	v_cmp_eq_u32_e32 vcc, s7, v6
	v_or_b32_e32 v38, 3, v1
	s_waitcnt lgkmcnt(1)
	;;#ASMSTART
	v_cvt_f16_f32 v23, v2;

	;;#ASMEND
	;;#ASMSTART
	v_cvt_f16_f32 v25, v3;

	;;#ASMEND
	;; [unrolled: 4-line block ×4, first 2 shown]
	s_waitcnt lgkmcnt(0)
	;;#ASMSTART
	v_cvt_f16_f32 v42, v28;

	;;#ASMEND
	;;#ASMSTART
	v_cvt_f16_f32 v47, v29;

	;;#ASMEND
	;; [unrolled: 4-line block ×4, first 2 shown]
	v_or_b32_e32 v33, 2, v1
	v_or_b32_e32 v40, 5, v1
	;; [unrolled: 1-line block ×5, first 2 shown]
	s_waitcnt vmcnt(0)
	v_mad_i64_i32 v[2:3], s[0:1], v7, s5, 0
	v_lshl_add_u64 v[28:29], v[2:3], 1, s[8:9]
	v_lshl_add_u64 v[30:31], v[28:29], 0, v[20:21]
	global_load_dwordx4 v[2:5], v[30:31], off
	v_add_u32_e32 v7, 1, v1
	s_and_saveexec_b64 s[12:13], vcc
	s_cbranch_execz .LBB123_45
; %bb.44:                               ;   in Loop: Header=BB123_43 Depth=1
	s_waitcnt vmcnt(0)
	v_lshrrev_b32_e32 v43, 16, v5
	v_cmp_gt_i32_e64 s[0:1], s24, v46
	s_nop 1
	v_cndmask_b32_e64 v43, 0, v43, s[0:1]
	v_cmp_gt_i32_e64 s[0:1], s19, v45
	s_nop 1
	v_cndmask_b32_e64 v5, 0, v5, s[0:1]
	v_perm_b32 v5, v43, v5, s26
	v_lshrrev_b32_e32 v43, 16, v4
	v_cmp_gt_i32_e64 s[0:1], s18, v40
	s_nop 1
	v_cndmask_b32_e64 v43, 0, v43, s[0:1]
	v_cmp_gt_i32_e64 s[0:1], s17, v39
	s_nop 1
	v_cndmask_b32_e64 v4, 0, v4, s[0:1]
	v_perm_b32 v4, v43, v4, s26
	;; [unrolled: 8-line block ×4, first 2 shown]
.LBB123_45:                             ;   in Loop: Header=BB123_43 Depth=1
	s_or_b64 exec, exec, s[12:13]
	v_and_b32_e32 v23, 0xffff, v23
	v_lshl_or_b32 v44, v25, 16, v23
	v_and_b32_e32 v23, 0xffff, v27
	v_lshl_or_b32 v43, v41, 16, v23
	;; [unrolled: 2-line block ×3, first 2 shown]
	v_and_b32_e32 v23, 0xffff, v48
	s_waitcnt vmcnt(0)
	;;#ASMSTART
	v_pk_mul_f16 v2, v44, v2;

	;;#ASMEND
	v_lshl_or_b32 v41, v49, 16, v23
	;;#ASMSTART
	v_pk_mul_f16 v3, v43, v3;

	;;#ASMEND
	;;#ASMSTART
	v_pk_mul_f16 v4, v42, v4;

	;;#ASMEND
	;; [unrolled: 4-line block ×3, first 2 shown]
	s_nop 0
	;;#ASMSTART
	v_pk_add_f16 v2, v2, v3;

	;;#ASMEND
	s_nop 0
	;;#ASMSTART
	v_pk_add_f16 v2, v2, v4;

	;;#ASMEND
	;; [unrolled: 5-line block ×3, first 2 shown]
	s_nop 0
	v_lshrrev_b32_e32 v3, 16, v2
	v_and_b32_e32 v2, 0xffff, v2
	;;#ASMSTART
	v_cvt_f32_f16 v47, v2;
	;;#ASMEND
	;;#ASMSTART
	v_cvt_f32_f16 v48, v3;
	;;#ASMEND
	global_load_dwordx4 v[2:5], v[30:31], off offset:1024
	s_and_saveexec_b64 s[12:13], vcc
	s_cbranch_execz .LBB123_47
; %bb.46:                               ;   in Loop: Header=BB123_43 Depth=1
	s_waitcnt vmcnt(0)
	v_lshrrev_b32_e32 v23, 16, v5
	v_cmp_gt_i32_e64 s[0:1], s24, v46
	s_nop 1
	v_cndmask_b32_e64 v23, 0, v23, s[0:1]
	v_cmp_gt_i32_e64 s[0:1], s19, v45
	s_nop 1
	v_cndmask_b32_e64 v5, 0, v5, s[0:1]
	v_perm_b32 v5, v23, v5, s26
	v_lshrrev_b32_e32 v23, 16, v4
	v_cmp_gt_i32_e64 s[0:1], s18, v40
	s_nop 1
	v_cndmask_b32_e64 v23, 0, v23, s[0:1]
	v_cmp_gt_i32_e64 s[0:1], s17, v39
	s_nop 1
	v_cndmask_b32_e64 v4, 0, v4, s[0:1]
	v_perm_b32 v4, v23, v4, s26
	;; [unrolled: 8-line block ×4, first 2 shown]
.LBB123_47:                             ;   in Loop: Header=BB123_43 Depth=1
	s_or_b64 exec, exec, s[12:13]
	s_waitcnt vmcnt(0)
	;;#ASMSTART
	v_pk_mul_f16 v2, v44, v2;

	;;#ASMEND
	;;#ASMSTART
	v_pk_mul_f16 v3, v43, v3;

	;;#ASMEND
	;; [unrolled: 4-line block ×4, first 2 shown]
	s_nop 0
	;;#ASMSTART
	v_pk_add_f16 v2, v2, v3;

	;;#ASMEND
	s_nop 0
	;;#ASMSTART
	v_pk_add_f16 v2, v2, v4;

	;;#ASMEND
	;; [unrolled: 5-line block ×3, first 2 shown]
	s_nop 0
	v_lshrrev_b32_e32 v3, 16, v2
	v_and_b32_e32 v2, 0xffff, v2
	;;#ASMSTART
	v_cvt_f32_f16 v49, v2;
	;;#ASMEND
	;;#ASMSTART
	v_cvt_f32_f16 v50, v3;
	;;#ASMEND
	global_load_dwordx4 v[2:5], v[30:31], off offset:2048
	s_and_saveexec_b64 s[12:13], vcc
	s_cbranch_execz .LBB123_49
; %bb.48:                               ;   in Loop: Header=BB123_43 Depth=1
	s_waitcnt vmcnt(0)
	v_lshrrev_b32_e32 v23, 16, v5
	v_cmp_gt_i32_e64 s[0:1], s24, v46
	s_nop 1
	v_cndmask_b32_e64 v23, 0, v23, s[0:1]
	v_cmp_gt_i32_e64 s[0:1], s19, v45
	s_nop 1
	v_cndmask_b32_e64 v5, 0, v5, s[0:1]
	v_perm_b32 v5, v23, v5, s26
	v_lshrrev_b32_e32 v23, 16, v4
	v_cmp_gt_i32_e64 s[0:1], s18, v40
	s_nop 1
	v_cndmask_b32_e64 v23, 0, v23, s[0:1]
	v_cmp_gt_i32_e64 s[0:1], s17, v39
	s_nop 1
	v_cndmask_b32_e64 v4, 0, v4, s[0:1]
	v_perm_b32 v4, v23, v4, s26
	;; [unrolled: 8-line block ×4, first 2 shown]
.LBB123_49:                             ;   in Loop: Header=BB123_43 Depth=1
	s_or_b64 exec, exec, s[12:13]
	s_waitcnt vmcnt(0)
	;;#ASMSTART
	v_pk_mul_f16 v2, v44, v2;

	;;#ASMEND
	;;#ASMSTART
	v_pk_mul_f16 v3, v43, v3;

	;;#ASMEND
	;; [unrolled: 4-line block ×4, first 2 shown]
	s_nop 0
	;;#ASMSTART
	v_pk_add_f16 v2, v2, v3;

	;;#ASMEND
	s_nop 0
	;;#ASMSTART
	v_pk_add_f16 v2, v2, v4;

	;;#ASMEND
	;; [unrolled: 5-line block ×3, first 2 shown]
	s_nop 0
	v_lshrrev_b32_e32 v3, 16, v2
	v_and_b32_e32 v2, 0xffff, v2
	;;#ASMSTART
	v_cvt_f32_f16 v51, v2;
	;;#ASMEND
	;;#ASMSTART
	v_cvt_f32_f16 v52, v3;
	;;#ASMEND
	global_load_dwordx4 v[2:5], v[30:31], off offset:3072
	s_and_saveexec_b64 s[12:13], vcc
	s_cbranch_execz .LBB123_51
; %bb.50:                               ;   in Loop: Header=BB123_43 Depth=1
	s_waitcnt vmcnt(0)
	v_lshrrev_b32_e32 v23, 16, v5
	v_cmp_gt_i32_e64 s[0:1], s24, v46
	s_nop 1
	v_cndmask_b32_e64 v23, 0, v23, s[0:1]
	v_cmp_gt_i32_e64 s[0:1], s19, v45
	s_nop 1
	v_cndmask_b32_e64 v5, 0, v5, s[0:1]
	v_perm_b32 v5, v23, v5, s26
	v_lshrrev_b32_e32 v23, 16, v4
	v_cmp_gt_i32_e64 s[0:1], s18, v40
	s_nop 1
	v_cndmask_b32_e64 v23, 0, v23, s[0:1]
	v_cmp_gt_i32_e64 s[0:1], s17, v39
	s_nop 1
	v_cndmask_b32_e64 v4, 0, v4, s[0:1]
	v_perm_b32 v4, v23, v4, s26
	;; [unrolled: 8-line block ×4, first 2 shown]
.LBB123_51:                             ;   in Loop: Header=BB123_43 Depth=1
	s_or_b64 exec, exec, s[12:13]
	s_waitcnt vmcnt(0)
	;;#ASMSTART
	v_pk_mul_f16 v2, v44, v2;

	;;#ASMEND
	;;#ASMSTART
	v_pk_mul_f16 v3, v43, v3;

	;;#ASMEND
	;; [unrolled: 4-line block ×4, first 2 shown]
	s_nop 0
	;;#ASMSTART
	v_pk_add_f16 v2, v2, v3;

	;;#ASMEND
	s_nop 0
	;;#ASMSTART
	v_pk_add_f16 v2, v2, v4;

	;;#ASMEND
	;; [unrolled: 5-line block ×3, first 2 shown]
	s_nop 0
	v_lshrrev_b32_e32 v3, 16, v2
	v_and_b32_e32 v2, 0xffff, v2
	;;#ASMSTART
	v_cvt_f32_f16 v30, v2;
	;;#ASMEND
	;;#ASMSTART
	v_cvt_f32_f16 v31, v3;
	;;#ASMEND
	v_lshl_add_u64 v[2:3], v[28:29], 0, v[14:15]
	global_load_dwordx4 v[2:5], v[2:3], off
	s_and_saveexec_b64 s[12:13], vcc
	s_cbranch_execz .LBB123_53
; %bb.52:                               ;   in Loop: Header=BB123_43 Depth=1
	s_waitcnt vmcnt(0)
	v_lshrrev_b32_e32 v23, 16, v5
	v_cmp_gt_i32_e64 s[0:1], s24, v46
	s_nop 1
	v_cndmask_b32_e64 v23, 0, v23, s[0:1]
	v_cmp_gt_i32_e64 s[0:1], s19, v45
	s_nop 1
	v_cndmask_b32_e64 v5, 0, v5, s[0:1]
	v_perm_b32 v5, v23, v5, s26
	v_lshrrev_b32_e32 v23, 16, v4
	v_cmp_gt_i32_e64 s[0:1], s18, v40
	s_nop 1
	v_cndmask_b32_e64 v23, 0, v23, s[0:1]
	v_cmp_gt_i32_e64 s[0:1], s17, v39
	s_nop 1
	v_cndmask_b32_e64 v4, 0, v4, s[0:1]
	v_perm_b32 v4, v23, v4, s26
	v_lshrrev_b32_e32 v23, 16, v3
	v_cmp_gt_i32_e64 s[0:1], s16, v38
	s_nop 1
	v_cndmask_b32_e64 v23, 0, v23, s[0:1]
	v_cmp_gt_i32_e64 s[0:1], s15, v33
	s_nop 1
	v_cndmask_b32_e64 v3, 0, v3, s[0:1]
	v_perm_b32 v3, v23, v3, s26
	v_lshrrev_b32_e32 v23, 16, v2
	v_cmp_gt_i32_e64 s[0:1], s14, v7
	s_nop 1
	v_cndmask_b32_e64 v23, 0, v23, s[0:1]
	v_cmp_gt_i32_e64 s[0:1], s25, v1
	s_nop 1
	v_cndmask_b32_e64 v2, 0, v2, s[0:1]
	v_perm_b32 v2, v23, v2, s26
.LBB123_53:                             ;   in Loop: Header=BB123_43 Depth=1
	s_or_b64 exec, exec, s[12:13]
	s_waitcnt vmcnt(0)
	;;#ASMSTART
	v_pk_mul_f16 v2, v44, v2;

	;;#ASMEND
	;;#ASMSTART
	v_pk_mul_f16 v3, v43, v3;

	;;#ASMEND
	;; [unrolled: 4-line block ×4, first 2 shown]
	v_mov_b32_e32 v23, v15
	;;#ASMSTART
	v_pk_add_f16 v2, v2, v3;

	;;#ASMEND
	s_nop 0
	;;#ASMSTART
	v_pk_add_f16 v2, v2, v4;

	;;#ASMEND
	s_nop 0
	;; [unrolled: 5-line block ×3, first 2 shown]
	v_lshrrev_b32_e32 v3, 16, v2
	v_and_b32_e32 v2, 0xffff, v2
	;;#ASMSTART
	v_cvt_f32_f16 v53, v2;
	;;#ASMEND
	;;#ASMSTART
	v_cvt_f32_f16 v54, v3;
	;;#ASMEND
	v_lshl_add_u64 v[2:3], v[28:29], 0, v[22:23]
	global_load_dwordx4 v[2:5], v[2:3], off
	s_and_saveexec_b64 s[12:13], vcc
	s_cbranch_execz .LBB123_55
; %bb.54:                               ;   in Loop: Header=BB123_43 Depth=1
	s_waitcnt vmcnt(0)
	v_lshrrev_b32_e32 v23, 16, v5
	v_cmp_gt_i32_e64 s[0:1], s24, v46
	s_nop 1
	v_cndmask_b32_e64 v23, 0, v23, s[0:1]
	v_cmp_gt_i32_e64 s[0:1], s19, v45
	s_nop 1
	v_cndmask_b32_e64 v5, 0, v5, s[0:1]
	v_perm_b32 v5, v23, v5, s26
	v_lshrrev_b32_e32 v23, 16, v4
	v_cmp_gt_i32_e64 s[0:1], s18, v40
	s_nop 1
	v_cndmask_b32_e64 v23, 0, v23, s[0:1]
	v_cmp_gt_i32_e64 s[0:1], s17, v39
	s_nop 1
	v_cndmask_b32_e64 v4, 0, v4, s[0:1]
	v_perm_b32 v4, v23, v4, s26
	;; [unrolled: 8-line block ×4, first 2 shown]
.LBB123_55:                             ;   in Loop: Header=BB123_43 Depth=1
	s_or_b64 exec, exec, s[12:13]
	s_waitcnt vmcnt(0)
	;;#ASMSTART
	v_pk_mul_f16 v2, v44, v2;

	;;#ASMEND
	;;#ASMSTART
	v_pk_mul_f16 v3, v43, v3;

	;;#ASMEND
	;; [unrolled: 4-line block ×4, first 2 shown]
	v_mov_b32_e32 v25, v15
	;;#ASMSTART
	v_pk_add_f16 v2, v2, v3;

	;;#ASMEND
	s_nop 0
	;;#ASMSTART
	v_pk_add_f16 v2, v2, v4;

	;;#ASMEND
	s_nop 0
	;; [unrolled: 5-line block ×3, first 2 shown]
	v_lshrrev_b32_e32 v3, 16, v2
	v_and_b32_e32 v2, 0xffff, v2
	;;#ASMSTART
	v_cvt_f32_f16 v23, v2;
	;;#ASMEND
	;;#ASMSTART
	v_cvt_f32_f16 v55, v3;
	;;#ASMEND
	v_lshl_add_u64 v[2:3], v[28:29], 0, v[24:25]
	global_load_dwordx4 v[2:5], v[2:3], off
	s_and_saveexec_b64 s[12:13], vcc
	s_cbranch_execz .LBB123_57
; %bb.56:                               ;   in Loop: Header=BB123_43 Depth=1
	s_waitcnt vmcnt(0)
	v_lshrrev_b32_e32 v25, 16, v5
	v_cmp_gt_i32_e64 s[0:1], s24, v46
	s_nop 1
	v_cndmask_b32_e64 v25, 0, v25, s[0:1]
	v_cmp_gt_i32_e64 s[0:1], s19, v45
	s_nop 1
	v_cndmask_b32_e64 v5, 0, v5, s[0:1]
	v_perm_b32 v5, v25, v5, s26
	v_lshrrev_b32_e32 v25, 16, v4
	v_cmp_gt_i32_e64 s[0:1], s18, v40
	s_nop 1
	v_cndmask_b32_e64 v25, 0, v25, s[0:1]
	v_cmp_gt_i32_e64 s[0:1], s17, v39
	s_nop 1
	v_cndmask_b32_e64 v4, 0, v4, s[0:1]
	v_perm_b32 v4, v25, v4, s26
	;; [unrolled: 8-line block ×4, first 2 shown]
.LBB123_57:                             ;   in Loop: Header=BB123_43 Depth=1
	s_or_b64 exec, exec, s[12:13]
	s_waitcnt vmcnt(0)
	;;#ASMSTART
	v_pk_mul_f16 v2, v44, v2;

	;;#ASMEND
	;;#ASMSTART
	v_pk_mul_f16 v3, v43, v3;

	;;#ASMEND
	;; [unrolled: 4-line block ×4, first 2 shown]
	v_mov_b32_e32 v27, v15
	;;#ASMSTART
	v_pk_add_f16 v2, v2, v3;

	;;#ASMEND
	s_nop 0
	;;#ASMSTART
	v_pk_add_f16 v2, v2, v4;

	;;#ASMEND
	s_nop 0
	;; [unrolled: 5-line block ×3, first 2 shown]
	v_lshrrev_b32_e32 v3, 16, v2
	v_and_b32_e32 v2, 0xffff, v2
	;;#ASMSTART
	v_cvt_f32_f16 v25, v2;
	;;#ASMEND
	;;#ASMSTART
	v_cvt_f32_f16 v56, v3;
	;;#ASMEND
	v_lshl_add_u64 v[2:3], v[28:29], 0, v[26:27]
	global_load_dwordx4 v[2:5], v[2:3], off
	s_and_saveexec_b64 s[0:1], vcc
	s_cbranch_execz .LBB123_42
; %bb.58:                               ;   in Loop: Header=BB123_43 Depth=1
	s_waitcnt vmcnt(0)
	v_lshrrev_b32_e32 v27, 16, v5
	v_cmp_gt_i32_e32 vcc, s24, v46
	s_nop 1
	v_cndmask_b32_e32 v27, 0, v27, vcc
	v_cmp_gt_i32_e32 vcc, s19, v45
	s_nop 1
	v_cndmask_b32_e32 v5, 0, v5, vcc
	v_perm_b32 v5, v27, v5, s26
	v_lshrrev_b32_e32 v27, 16, v4
	v_cmp_gt_i32_e32 vcc, s18, v40
	s_nop 1
	v_cndmask_b32_e32 v27, 0, v27, vcc
	v_cmp_gt_i32_e32 vcc, s17, v39
	s_nop 1
	v_cndmask_b32_e32 v4, 0, v4, vcc
	v_perm_b32 v4, v27, v4, s26
	;; [unrolled: 8-line block ×4, first 2 shown]
	s_branch .LBB123_42
.LBB123_59:
	s_or_b64 exec, exec, s[10:11]
.LBB123_60:
	s_or_b64 exec, exec, s[2:3]
	ds_bpermute_b32 v2, v35, v16
	ds_bpermute_b32 v3, v35, v17
	;; [unrolled: 1-line block ×4, first 2 shown]
	v_and_b32_e32 v1, 0x3c3, v0
	v_cmp_eq_u32_e32 vcc, 64, v1
	s_waitcnt lgkmcnt(2)
	v_pk_add_f32 v[2:3], v[16:17], v[2:3]
	ds_bpermute_b32 v16, v35, v8
	s_waitcnt lgkmcnt(1)
	v_pk_add_f32 v[4:5], v[12:13], v[4:5]
	ds_bpermute_b32 v12, v35, v10
	ds_bpermute_b32 v13, v35, v11
	;; [unrolled: 1-line block ×6, first 2 shown]
	s_waitcnt lgkmcnt(4)
	v_pk_add_f32 v[10:11], v[10:11], v[12:13]
	s_waitcnt lgkmcnt(3)
	v_pk_add_f32 v[16:17], v[8:9], v[16:17]
	ds_bpermute_b32 v15, v36, v5
	ds_bpermute_b32 v12, v36, v10
	;; [unrolled: 1-line block ×5, first 2 shown]
	s_waitcnt lgkmcnt(6)
	v_pk_add_f32 v[8:9], v[2:3], v[6:7]
	s_waitcnt lgkmcnt(4)
	v_pk_add_f32 v[6:7], v[4:5], v[14:15]
	;; [unrolled: 2-line block ×4, first 2 shown]
	s_barrier
	s_and_saveexec_b64 s[0:1], vcc
	s_cbranch_execz .LBB123_62
; %bb.61:
	v_add_u32_e32 v10, 0x110, v34
	ds_write2_b32 v10, v8, v9 offset1:16
	ds_write2_b32 v10, v6, v7 offset0:32 offset1:48
	ds_write2_b32 v10, v4, v5 offset0:64 offset1:80
	;; [unrolled: 1-line block ×3, first 2 shown]
.LBB123_62:
	s_or_b64 exec, exec, s[0:1]
	v_cmp_gt_u32_e32 vcc, 64, v0
	s_waitcnt lgkmcnt(0)
	s_barrier
	s_and_saveexec_b64 s[0:1], vcc
	s_cbranch_execz .LBB123_73
; %bb.63:
	v_cmp_eq_u32_e32 vcc, 0, v37
	v_lshrrev_b32_e32 v10, 2, v0
	s_and_saveexec_b64 s[2:3], vcc
	s_cbranch_execnz .LBB123_76
; %bb.64:
	s_or_b64 exec, exec, s[2:3]
	s_and_saveexec_b64 s[2:3], vcc
	s_cbranch_execnz .LBB123_77
.LBB123_65:
	s_or_b64 exec, exec, s[2:3]
	s_and_saveexec_b64 s[2:3], vcc
	s_cbranch_execnz .LBB123_78
.LBB123_66:
	s_or_b64 exec, exec, s[2:3]
	s_and_saveexec_b64 s[2:3], vcc
	s_cbranch_execnz .LBB123_79
.LBB123_67:
	s_or_b64 exec, exec, s[2:3]
	s_and_saveexec_b64 s[2:3], vcc
	s_cbranch_execnz .LBB123_80
.LBB123_68:
	s_or_b64 exec, exec, s[2:3]
	s_and_saveexec_b64 s[2:3], vcc
	s_cbranch_execnz .LBB123_81
.LBB123_69:
	s_or_b64 exec, exec, s[2:3]
	s_and_saveexec_b64 s[2:3], vcc
	s_cbranch_execnz .LBB123_82
.LBB123_70:
	s_or_b64 exec, exec, s[2:3]
	s_and_saveexec_b64 s[2:3], vcc
	s_cbranch_execz .LBB123_72
.LBB123_71:
	v_mov_b32_e32 v11, 0x110
	v_lshl_add_u32 v10, v10, 2, v11
	ds_read_b32 v10, v10 offset:448
	s_waitcnt lgkmcnt(0)
	v_add_f32_e32 v3, v3, v10
.LBB123_72:
	s_or_b64 exec, exec, s[2:3]
.LBB123_73:
	s_or_b64 exec, exec, s[0:1]
	v_cmp_eq_u32_e32 vcc, 0, v1
	s_barrier
	s_and_saveexec_b64 s[0:1], vcc
	s_cbranch_execz .LBB123_75
; %bb.74:
	s_lshl_b32 s0, s6, 7
	s_ashr_i32 s1, s0, 31
	s_lshl_b64 s[0:1], s[0:1], 1
	s_add_u32 s2, s22, s0
	s_mul_i32 s0, s21, s20
	s_addc_u32 s3, s23, s1
	s_ashr_i32 s1, s0, 31
	s_lshl_b64 s[0:1], s[0:1], 1
	s_add_u32 s2, s2, s0
	s_addc_u32 s3, s3, s1
	s_lshl_b32 s0, s4, 7
	s_ashr_i32 s1, s0, 31
	s_lshl_b64 s[0:1], s[0:1], 1
	s_add_u32 s0, s2, s0
	s_addc_u32 s1, s3, s1
	v_lshrrev_b32_e32 v0, 1, v0
	;;#ASMSTART
	v_cvt_f16_f32 v1, v8;

	;;#ASMEND
	global_store_short v0, v1, s[0:1]
	;;#ASMSTART
	v_cvt_f16_f32 v1, v9;

	;;#ASMEND
	global_store_short v0, v1, s[0:1] offset:32
	;;#ASMSTART
	v_cvt_f16_f32 v1, v6;

	;;#ASMEND
	global_store_short v0, v1, s[0:1] offset:64
	;; [unrolled: 5-line block ×7, first 2 shown]
.LBB123_75:
	s_endpgm
.LBB123_76:
	v_mov_b32_e32 v11, 0x110
	v_lshl_add_u32 v11, v10, 2, v11
	ds_read_b32 v11, v11
	s_waitcnt lgkmcnt(0)
	v_add_f32_e32 v8, v8, v11
	s_or_b64 exec, exec, s[2:3]
	s_and_saveexec_b64 s[2:3], vcc
	s_cbranch_execz .LBB123_65
.LBB123_77:
	v_mov_b32_e32 v11, 0x110
	v_lshl_add_u32 v11, v10, 2, v11
	ds_read_b32 v11, v11 offset:64
	s_waitcnt lgkmcnt(0)
	v_add_f32_e32 v9, v9, v11
	s_or_b64 exec, exec, s[2:3]
	s_and_saveexec_b64 s[2:3], vcc
	s_cbranch_execz .LBB123_66
.LBB123_78:
	v_mov_b32_e32 v11, 0x110
	v_lshl_add_u32 v11, v10, 2, v11
	ds_read_b32 v11, v11 offset:128
	s_waitcnt lgkmcnt(0)
	v_add_f32_e32 v6, v6, v11
	s_or_b64 exec, exec, s[2:3]
	s_and_saveexec_b64 s[2:3], vcc
	s_cbranch_execz .LBB123_67
.LBB123_79:
	v_mov_b32_e32 v11, 0x110
	v_lshl_add_u32 v11, v10, 2, v11
	ds_read_b32 v11, v11 offset:192
	s_waitcnt lgkmcnt(0)
	v_add_f32_e32 v7, v7, v11
	s_or_b64 exec, exec, s[2:3]
	s_and_saveexec_b64 s[2:3], vcc
	s_cbranch_execz .LBB123_68
.LBB123_80:
	v_mov_b32_e32 v11, 0x110
	v_lshl_add_u32 v11, v10, 2, v11
	ds_read_b32 v11, v11 offset:256
	s_waitcnt lgkmcnt(0)
	v_add_f32_e32 v4, v4, v11
	s_or_b64 exec, exec, s[2:3]
	s_and_saveexec_b64 s[2:3], vcc
	s_cbranch_execz .LBB123_69
.LBB123_81:
	v_mov_b32_e32 v11, 0x110
	v_lshl_add_u32 v11, v10, 2, v11
	ds_read_b32 v11, v11 offset:320
	s_waitcnt lgkmcnt(0)
	v_add_f32_e32 v5, v5, v11
	s_or_b64 exec, exec, s[2:3]
	s_and_saveexec_b64 s[2:3], vcc
	s_cbranch_execz .LBB123_70
.LBB123_82:
	v_mov_b32_e32 v11, 0x110
	v_lshl_add_u32 v11, v10, 2, v11
	ds_read_b32 v11, v11 offset:384
	s_waitcnt lgkmcnt(0)
	v_add_f32_e32 v2, v2, v11
	s_or_b64 exec, exec, s[2:3]
	s_and_saveexec_b64 s[2:3], vcc
	s_cbranch_execnz .LBB123_71
	s_branch .LBB123_72
	.section	.rodata,"a",@progbits
	.p2align	6, 0x0
	.amdhsa_kernel _ZN4vllm25paged_attention_v2_kernelIttLi128ELi32ELi128ELNS_18Fp8KVCacheDataTypeE0ELb0ELi512EEEvPfS2_PT_PKS3_PKT0_S9_ifPKiSB_iPKfiiiSD_SD_iiiii
		.amdhsa_group_segment_fixed_size 272
		.amdhsa_private_segment_fixed_size 0
		.amdhsa_kernarg_size 400
		.amdhsa_user_sgpr_count 2
		.amdhsa_user_sgpr_dispatch_ptr 0
		.amdhsa_user_sgpr_queue_ptr 0
		.amdhsa_user_sgpr_kernarg_segment_ptr 1
		.amdhsa_user_sgpr_dispatch_id 0
		.amdhsa_user_sgpr_kernarg_preload_length 0
		.amdhsa_user_sgpr_kernarg_preload_offset 0
		.amdhsa_user_sgpr_private_segment_size 0
		.amdhsa_uses_dynamic_stack 0
		.amdhsa_enable_private_segment 0
		.amdhsa_system_sgpr_workgroup_id_x 1
		.amdhsa_system_sgpr_workgroup_id_y 1
		.amdhsa_system_sgpr_workgroup_id_z 1
		.amdhsa_system_sgpr_workgroup_info 0
		.amdhsa_system_vgpr_workitem_id 0
		.amdhsa_next_free_vgpr 79
		.amdhsa_next_free_sgpr 43
		.amdhsa_accum_offset 80
		.amdhsa_reserve_vcc 1
		.amdhsa_float_round_mode_32 0
		.amdhsa_float_round_mode_16_64 0
		.amdhsa_float_denorm_mode_32 3
		.amdhsa_float_denorm_mode_16_64 3
		.amdhsa_dx10_clamp 1
		.amdhsa_ieee_mode 1
		.amdhsa_fp16_overflow 0
		.amdhsa_tg_split 0
		.amdhsa_exception_fp_ieee_invalid_op 0
		.amdhsa_exception_fp_denorm_src 0
		.amdhsa_exception_fp_ieee_div_zero 0
		.amdhsa_exception_fp_ieee_overflow 0
		.amdhsa_exception_fp_ieee_underflow 0
		.amdhsa_exception_fp_ieee_inexact 0
		.amdhsa_exception_int_div_zero 0
	.end_amdhsa_kernel
	.section	.text._ZN4vllm25paged_attention_v2_kernelIttLi128ELi32ELi128ELNS_18Fp8KVCacheDataTypeE0ELb0ELi512EEEvPfS2_PT_PKS3_PKT0_S9_ifPKiSB_iPKfiiiSD_SD_iiiii,"axG",@progbits,_ZN4vllm25paged_attention_v2_kernelIttLi128ELi32ELi128ELNS_18Fp8KVCacheDataTypeE0ELb0ELi512EEEvPfS2_PT_PKS3_PKT0_S9_ifPKiSB_iPKfiiiSD_SD_iiiii,comdat
.Lfunc_end123:
	.size	_ZN4vllm25paged_attention_v2_kernelIttLi128ELi32ELi128ELNS_18Fp8KVCacheDataTypeE0ELb0ELi512EEEvPfS2_PT_PKS3_PKT0_S9_ifPKiSB_iPKfiiiSD_SD_iiiii, .Lfunc_end123-_ZN4vllm25paged_attention_v2_kernelIttLi128ELi32ELi128ELNS_18Fp8KVCacheDataTypeE0ELb0ELi512EEEvPfS2_PT_PKS3_PKT0_S9_ifPKiSB_iPKfiiiSD_SD_iiiii
                                        ; -- End function
	.section	.AMDGPU.csdata,"",@progbits
; Kernel info:
; codeLenInByte = 9176
; NumSgprs: 49
; NumVgprs: 79
; NumAgprs: 0
; TotalNumVgprs: 79
; ScratchSize: 0
; MemoryBound: 0
; FloatMode: 240
; IeeeMode: 1
; LDSByteSize: 272 bytes/workgroup (compile time only)
; SGPRBlocks: 6
; VGPRBlocks: 9
; NumSGPRsForWavesPerEU: 49
; NumVGPRsForWavesPerEU: 79
; AccumOffset: 80
; Occupancy: 6
; WaveLimiterHint : 1
; COMPUTE_PGM_RSRC2:SCRATCH_EN: 0
; COMPUTE_PGM_RSRC2:USER_SGPR: 2
; COMPUTE_PGM_RSRC2:TRAP_HANDLER: 0
; COMPUTE_PGM_RSRC2:TGID_X_EN: 1
; COMPUTE_PGM_RSRC2:TGID_Y_EN: 1
; COMPUTE_PGM_RSRC2:TGID_Z_EN: 1
; COMPUTE_PGM_RSRC2:TIDIG_COMP_CNT: 0
; COMPUTE_PGM_RSRC3_GFX90A:ACCUM_OFFSET: 19
; COMPUTE_PGM_RSRC3_GFX90A:TG_SPLIT: 0
	.section	.text._ZN4vllm25paged_attention_v2_kernelIttLi192ELi32ELi128ELNS_18Fp8KVCacheDataTypeE0ELb0ELi512EEEvPfS2_PT_PKS3_PKT0_S9_ifPKiSB_iPKfiiiSD_SD_iiiii,"axG",@progbits,_ZN4vllm25paged_attention_v2_kernelIttLi192ELi32ELi128ELNS_18Fp8KVCacheDataTypeE0ELb0ELi512EEEvPfS2_PT_PKS3_PKT0_S9_ifPKiSB_iPKfiiiSD_SD_iiiii,comdat
	.protected	_ZN4vllm25paged_attention_v2_kernelIttLi192ELi32ELi128ELNS_18Fp8KVCacheDataTypeE0ELb0ELi512EEEvPfS2_PT_PKS3_PKT0_S9_ifPKiSB_iPKfiiiSD_SD_iiiii ; -- Begin function _ZN4vllm25paged_attention_v2_kernelIttLi192ELi32ELi128ELNS_18Fp8KVCacheDataTypeE0ELb0ELi512EEEvPfS2_PT_PKS3_PKT0_S9_ifPKiSB_iPKfiiiSD_SD_iiiii
	.globl	_ZN4vllm25paged_attention_v2_kernelIttLi192ELi32ELi128ELNS_18Fp8KVCacheDataTypeE0ELb0ELi512EEEvPfS2_PT_PKS3_PKT0_S9_ifPKiSB_iPKfiiiSD_SD_iiiii
	.p2align	8
	.type	_ZN4vllm25paged_attention_v2_kernelIttLi192ELi32ELi128ELNS_18Fp8KVCacheDataTypeE0ELb0ELi512EEEvPfS2_PT_PKS3_PKT0_S9_ifPKiSB_iPKfiiiSD_SD_iiiii,@function
_ZN4vllm25paged_attention_v2_kernelIttLi192ELi32ELi128ELNS_18Fp8KVCacheDataTypeE0ELb0ELi512EEEvPfS2_PT_PKS3_PKT0_S9_ifPKiSB_iPKfiiiSD_SD_iiiii: ; @_ZN4vllm25paged_attention_v2_kernelIttLi192ELi32ELi128ELNS_18Fp8KVCacheDataTypeE0ELb0ELi512EEEvPfS2_PT_PKS3_PKT0_S9_ifPKiSB_iPKfiiiSD_SD_iiiii
; %bb.0:
	s_load_dwordx2 s[6:7], s[0:1], 0x40
	s_mov_b32 s24, s3
	s_ashr_i32 s25, s3, 31
	s_lshl_b64 s[8:9], s[24:25], 2
	s_waitcnt lgkmcnt(0)
	s_add_u32 s6, s6, s8
	s_addc_u32 s7, s7, s9
	s_load_dword s25, s[6:7], 0x0
	s_lshl_b32 s40, s4, 9
	s_waitcnt lgkmcnt(0)
	s_cmp_ge_i32 s40, s25
	s_cbranch_scc1 .LBB124_89
; %bb.1:
	s_load_dword s5, s[0:1], 0x90
	s_load_dwordx2 s[10:11], s[0:1], 0x30
	s_waitcnt lgkmcnt(0)
	s_abs_i32 s7, s5
	s_abs_i32 s3, s10
	v_cvt_f32_u32_e32 v1, s3
	s_sub_i32 s8, 0, s3
	s_xor_b32 s6, s5, s10
	s_ashr_i32 s6, s6, 31
	v_rcp_iflag_f32_e32 v1, v1
	s_nop 0
	v_mul_f32_e32 v1, 0x4f7ffffe, v1
	v_cvt_u32_f32_e32 v1, v1
	s_nop 0
	v_readfirstlane_b32 s9, v1
	s_mul_i32 s8, s8, s9
	s_mul_hi_u32 s8, s9, s8
	s_add_i32 s9, s9, s8
	s_mul_hi_u32 s8, s7, s9
	s_mul_i32 s9, s8, s3
	s_sub_i32 s7, s7, s9
	s_add_i32 s10, s8, 1
	s_sub_i32 s9, s7, s3
	s_cmp_ge_u32 s7, s3
	s_cselect_b32 s8, s10, s8
	s_cselect_b32 s7, s9, s7
	s_add_i32 s9, s8, 1
	s_cmp_ge_u32 s7, s3
	s_cselect_b32 s3, s9, s8
	s_xor_b32 s3, s3, s6
	s_sub_i32 s12, s3, s6
	s_abs_i32 s8, s12
	v_cvt_f32_u32_e32 v1, s8
	s_load_dwordx2 s[6:7], s[0:1], 0x50
	s_sub_i32 s3, 0, s8
	s_abs_i32 s9, s2
	v_rcp_iflag_f32_e32 v1, v1
	s_mov_b32 s10, 0
	v_mul_f32_e32 v1, 0x4f7ffffe, v1
	v_cvt_u32_f32_e32 v1, v1
	s_nop 0
	v_readfirstlane_b32 s13, v1
	s_mul_i32 s3, s3, s13
	s_mul_hi_u32 s3, s13, s3
	s_add_i32 s13, s13, s3
	s_waitcnt lgkmcnt(0)
	s_cmp_eq_u64 s[6:7], 0
	s_mul_hi_u32 s16, s9, s13
	s_cbranch_scc1 .LBB124_3
; %bb.2:
	s_ashr_i32 s3, s2, 31
	s_lshl_b64 s[14:15], s[2:3], 2
	s_add_u32 s6, s6, s14
	s_addc_u32 s7, s7, s15
	s_load_dword s10, s[6:7], 0x0
.LBB124_3:
	s_ashr_i32 s18, s12, 31
	s_load_dwordx4 s[12:15], s[0:1], 0x58
	s_ashr_i32 s17, s2, 31
	v_and_b32_e32 v4, 1, v0
	s_movk_i32 s3, 0xc0
	s_mul_i32 s20, s2, 0xc0
	v_cmp_gt_u32_e32 vcc, 48, v0
	v_lshlrev_b32_e32 v1, 3, v0
	s_and_saveexec_b64 s[6:7], vcc
	s_cbranch_execz .LBB124_5
; %bb.4:
	s_load_dwordx2 s[22:23], s[0:1], 0x18
	s_waitcnt lgkmcnt(0)
	s_mul_i32 s26, s24, s12
	s_ashr_i32 s27, s26, 31
	s_lshl_b64 s[26:27], s[26:27], 1
	v_lshlrev_b32_e32 v5, 2, v0
	s_add_u32 s12, s22, s26
	s_addc_u32 s15, s23, s27
	s_ashr_i32 s21, s20, 31
	s_lshl_b64 s[22:23], s[20:21], 1
	s_add_u32 s22, s12, s22
	s_addc_u32 s23, s15, s23
	global_load_dwordx2 v[2:3], v1, s[22:23]
	v_and_b32_e32 v5, 0xff8, v5
	v_mad_u32_u24 v5, v4, s3, v5
	s_waitcnt vmcnt(0)
	ds_write_b64 v5, v[2:3]
.LBB124_5:
	s_or_b64 exec, exec, s[6:7]
	s_add_i32 s3, s25, 31
	s_ashr_i32 s6, s3, 31
	s_lshr_b32 s6, s6, 27
	s_add_i32 s3, s3, s6
	s_waitcnt lgkmcnt(0)
	s_ashr_i32 s12, s3, 5
	s_lshl_b32 s3, s4, 4
	s_mul_i32 s7, s16, s8
	s_add_i32 s6, s3, 16
	s_sub_i32 s7, s9, s7
	s_min_i32 s33, s6, s12
	s_xor_b32 s6, s17, s18
	s_add_i32 s9, s16, 1
	s_sub_i32 s15, s7, s8
	s_cmp_ge_u32 s7, s8
	s_cselect_b32 s9, s9, s16
	s_cselect_b32 s7, s15, s7
	s_add_i32 s15, s9, 1
	s_cmp_ge_u32 s7, s8
	s_load_dwordx2 s[26:27], s[0:1], 0x38
	s_load_dword s8, s[0:1], 0x48
	v_lshrrev_b32_e32 v54, 6, v0
	s_cselect_b32 s7, s15, s9
	s_xor_b32 s7, s7, s6
	v_or_b32_e32 v6, s3, v54
	s_waitcnt lgkmcnt(0)
	s_mul_i32 s28, s24, s8
	s_sub_i32 s15, s7, s6
	s_ashr_i32 s29, s28, 31
	v_cmp_gt_i32_e64 s[8:9], s33, v6
	v_cmp_le_i32_e32 vcc, s33, v6
	v_mbcnt_lo_u32_b32 v8, -1, 0
	s_barrier
	s_waitcnt lgkmcnt(0)
                                        ; implicit-def: $sgpr36
                                        ; implicit-def: $vgpr56
                                        ; implicit-def: $vgpr57
	s_and_saveexec_b64 s[6:7], vcc
	s_xor_b64 s[6:7], exec, s[6:7]
; %bb.6:
	v_mbcnt_hi_u32_b32 v56, -1, v8
	v_and_b32_e32 v2, 64, v56
	v_add_u32_e32 v57, 64, v2
	s_mov_b32 s36, 0xff7fffff
                                        ; implicit-def: $vgpr4
                                        ; implicit-def: $vgpr8
; %bb.7:
	s_or_saveexec_b64 s[34:35], s[6:7]
	s_load_dwordx4 s[16:19], s[0:1], 0x0
	s_load_dwordx2 s[22:23], s[0:1], 0x10
	s_load_dwordx2 s[30:31], s[0:1], 0x28
	s_load_dword s21, s[0:1], 0x98
	v_mov_b32_e32 v58, s36
	s_mul_i32 s14, s15, s14
	v_ashrrev_i32_e32 v7, 31, v6
	v_lshlrev_b32_e32 v55, 5, v54
	s_xor_b64 exec, exec, s[34:35]
	s_cbranch_execz .LBB124_13
; %bb.8:
	s_load_dwordx2 s[0:1], s[0:1], 0x20
	s_ashr_i32 s15, s14, 31
	s_lshl_b64 s[6:7], s[14:15], 1
	v_bfe_u32 v5, v0, 1, 5
	v_lshlrev_b32_e32 v2, 4, v5
	s_waitcnt lgkmcnt(0)
	s_add_u32 s0, s0, s6
	s_addc_u32 s1, s1, s7
	v_mov_b32_e32 v3, 0
	v_lshl_add_u64 v[10:11], s[0:1], 0, v[2:3]
	s_sub_i32 s15, 1, s25
	s_lshl_b64 s[0:1], s[28:29], 2
	v_mul_u32_u24_e32 v59, 0xc0, v4
	v_cmp_eq_u32_e32 vcc, 0, v4
	v_lshlrev_b32_e32 v4, 2, v5
	s_add_u32 s0, s26, s0
	v_mbcnt_hi_u32_b32 v56, -1, v8
	v_and_b32_e32 v2, 8, v1
	v_lshl_or_b32 v4, v54, 7, v4
	s_addc_u32 s1, s27, s1
	v_and_b32_e32 v8, 64, v56
	s_mov_b32 s41, s13
	v_lshl_add_u64 v[2:3], v[10:11], 0, v[2:3]
	v_cmp_neq_f32_e64 s[6:7], s10, 0
	v_add3_u32 v60, s40, v55, v5
	v_add_u32_e32 v61, 0x190, v4
	v_lshl_add_u64 v[4:5], v[6:7], 2, s[0:1]
	s_mov_b64 s[36:37], 0
	v_mov_b32_e32 v58, 0xff7fffff
	s_movk_i32 s42, 0x1000
	s_movk_i32 s43, 0x2000
	v_xor_b32_e32 v62, 1, v56
	v_add_u32_e32 v57, 64, v8
	v_mov_b32_e32 v63, v6
	s_branch .LBB124_10
.LBB124_9:                              ;   in Loop: Header=BB124_10 Depth=1
	s_or_b64 exec, exec, s[38:39]
	v_add_u32_e32 v63, 2, v63
	v_cmp_le_i32_e64 s[0:1], s33, v63
	v_add_u32_e32 v60, 64, v60
	v_add_u32_e32 v61, 0x100, v61
	s_or_b64 s[36:37], s[0:1], s[36:37]
	v_lshl_add_u64 v[4:5], v[4:5], 0, 8
	s_andn2_b64 exec, exec, s[36:37]
	s_cbranch_execz .LBB124_12
.LBB124_10:                             ; =>This Inner Loop Header: Depth=1
	global_load_dword v8, v[4:5], off
	s_waitcnt vmcnt(0) lgkmcnt(0)
	v_mad_i64_i32 v[8:9], s[0:1], v8, s41, 0
	v_lshl_add_u64 v[8:9], v[8:9], 1, v[2:3]
	global_load_dwordx2 v[66:67], v[8:9], off
	global_load_dwordx2 v[50:51], v[8:9], off offset:512
	global_load_dwordx2 v[52:53], v[8:9], off offset:1024
	global_load_dwordx2 v[48:49], v[8:9], off offset:1536
	global_load_dwordx2 v[46:47], v[8:9], off offset:2048
	global_load_dwordx2 v[44:45], v[8:9], off offset:2560
	global_load_dwordx2 v[42:43], v[8:9], off offset:3072
	global_load_dwordx2 v[40:41], v[8:9], off offset:3584
	v_add_co_u32_e64 v64, s[0:1], s43, v8
	ds_read_b64 v[10:11], v59
	s_nop 0
	v_addc_co_u32_e64 v65, s[0:1], 0, v9, s[0:1]
	global_load_dwordx2 v[38:39], v[64:65], off offset:-4096
	v_add_co_u32_e64 v8, s[0:1], s42, v8
	s_waitcnt lgkmcnt(0)
	v_lshrrev_b32_e32 v68, 16, v10
	v_addc_co_u32_e64 v9, s[0:1], 0, v9, s[0:1]
	v_and_b32_e32 v69, 0xffff, v10
	v_lshrrev_b32_e32 v70, 16, v11
	v_and_b32_e32 v71, 0xffff, v11
	global_load_dwordx2 v[36:37], v[8:9], off offset:512
	global_load_dwordx2 v[34:35], v[8:9], off offset:1024
	;; [unrolled: 1-line block ×7, first 2 shown]
	global_load_dwordx2 v[22:23], v[64:65], off
	global_load_dwordx2 v[20:21], v[64:65], off offset:512
	global_load_dwordx2 v[18:19], v[64:65], off offset:1024
                                        ; kill: killed $vgpr8 killed $vgpr9
	global_load_dwordx2 v[16:17], v[64:65], off offset:1536
	global_load_dwordx2 v[14:15], v[64:65], off offset:2048
	global_load_dwordx2 v[12:13], v[64:65], off offset:2560
	global_load_dwordx2 v[10:11], v[64:65], off offset:3072
	global_load_dwordx2 v[8:9], v[64:65], off offset:3584
	;;#ASMSTART
	v_cvt_f32_f16 v72, v69;
	;;#ASMEND
	;;#ASMSTART
	v_cvt_f32_f16 v64, v68;
	;;#ASMEND
	v_cmp_lt_i32_e64 s[0:1], v62, v57
	s_waitcnt vmcnt(23)
	v_lshrrev_b32_e32 v73, 16, v66
	v_and_b32_e32 v74, 0xffff, v66
	v_lshrrev_b32_e32 v75, 16, v67
	v_and_b32_e32 v76, 0xffff, v67
	s_waitcnt vmcnt(19)
	v_lshrrev_b32_e32 v78, 16, v46
	v_and_b32_e32 v79, 0xffff, v46
	v_lshrrev_b32_e32 v80, 16, v47
	v_and_b32_e32 v81, 0xffff, v47
	;;#ASMSTART
	v_cvt_f32_f16 v74, v74;
	;;#ASMEND
	;;#ASMSTART
	v_cvt_f32_f16 v73, v73;
	;;#ASMEND
	;; [unrolled: 3-line block ×6, first 2 shown]
	ds_read_b64 v[46:47], v59 offset:8
	s_waitcnt vmcnt(18)
	v_lshrrev_b32_e32 v82, 16, v44
	v_and_b32_e32 v83, 0xffff, v44
	v_and_b32_e32 v77, 0xffff, v50
	v_lshrrev_b32_e32 v67, 16, v50
	s_waitcnt lgkmcnt(0)
	v_and_b32_e32 v44, 0xffff, v46
	v_lshrrev_b32_e32 v46, 16, v46
	;;#ASMSTART
	v_cvt_f32_f16 v44, v44;
	;;#ASMEND
	;;#ASMSTART
	v_cvt_f32_f16 v46, v46;
	;;#ASMEND
	;; [unrolled: 3-line block ×3, first 2 shown]
	s_waitcnt vmcnt(16)
	v_lshrrev_b32_e32 v87, 16, v41
	v_mul_f32_e32 v44, v44, v77
	v_lshrrev_b32_e32 v77, 16, v42
	v_fmac_f32_e32 v44, v72, v74
	v_and_b32_e32 v72, 0xffff, v42
	v_and_b32_e32 v88, 0xffff, v41
	v_lshrrev_b32_e32 v41, 16, v47
	v_and_b32_e32 v42, 0xffff, v47
	v_and_b32_e32 v68, 0xffff, v51
	v_lshrrev_b32_e32 v85, 16, v40
	v_and_b32_e32 v86, 0xffff, v40
	;;#ASMSTART
	v_cvt_f32_f16 v40, v67;
	;;#ASMEND
	;;#ASMSTART
	v_cvt_f32_f16 v42, v42;
	;;#ASMEND
	;; [unrolled: 3-line block ×4, first 2 shown]
	v_lshrrev_b32_e32 v50, 16, v51
	v_mul_f32_e32 v40, v46, v40
	v_mul_f32_e32 v41, v42, v41
	;;#ASMSTART
	v_cvt_f32_f16 v42, v50;
	;;#ASMEND
	ds_read_b64 v[46:47], v59 offset:16
	v_and_b32_e32 v51, 0xffff, v52
	v_lshrrev_b32_e32 v52, 16, v52
	v_lshrrev_b32_e32 v65, 16, v53
	v_and_b32_e32 v53, 0xffff, v53
	v_fmac_f32_e32 v40, v64, v73
	v_mul_f32_e32 v42, v67, v42
	s_waitcnt lgkmcnt(0)
	v_lshrrev_b32_e32 v50, 16, v46
	v_and_b32_e32 v46, 0xffff, v46
	v_lshrrev_b32_e32 v64, 16, v47
	v_and_b32_e32 v47, 0xffff, v47
	v_fmac_f32_e32 v42, v70, v75
	;;#ASMSTART
	v_cvt_f32_f16 v67, v46;
	;;#ASMEND
	;;#ASMSTART
	v_cvt_f32_f16 v50, v50;
	;;#ASMEND
	;; [unrolled: 3-line block ×8, first 2 shown]
	ds_read_b64 v[46:47], v59 offset:24
	v_lshrrev_b32_e32 v66, 16, v48
	v_and_b32_e32 v48, 0xffff, v48
	v_lshrrev_b32_e32 v69, 16, v49
	v_and_b32_e32 v49, 0xffff, v49
	v_fmac_f32_e32 v41, v71, v76
	v_fmac_f32_e32 v44, v67, v51
	;; [unrolled: 1-line block ×3, first 2 shown]
	s_waitcnt lgkmcnt(0)
	v_lshrrev_b32_e32 v50, 16, v46
	v_and_b32_e32 v46, 0xffff, v46
	v_lshrrev_b32_e32 v51, 16, v47
	v_and_b32_e32 v47, 0xffff, v47
	v_fmac_f32_e32 v41, v70, v53
	v_fmac_f32_e32 v42, v64, v65
	;;#ASMSTART
	v_cvt_f32_f16 v52, v46;
	;;#ASMEND
	;;#ASMSTART
	v_cvt_f32_f16 v50, v50;
	;;#ASMEND
	;; [unrolled: 3-line block ×8, first 2 shown]
	ds_read_b64 v[46:47], v59 offset:32
	v_fmac_f32_e32 v44, v52, v48
	v_fmac_f32_e32 v41, v64, v49
	v_fmac_f32_e32 v40, v50, v53
	v_fmac_f32_e32 v42, v51, v65
	s_waitcnt lgkmcnt(0)
	v_lshrrev_b32_e32 v48, 16, v46
	v_and_b32_e32 v46, 0xffff, v46
	v_lshrrev_b32_e32 v49, 16, v47
	v_and_b32_e32 v47, 0xffff, v47
	;;#ASMSTART
	v_cvt_f32_f16 v50, v46;
	;;#ASMEND
	;;#ASMSTART
	v_cvt_f32_f16 v48, v48;
	;;#ASMEND
	;;#ASMSTART
	v_cvt_f32_f16 v51, v79;
	;;#ASMEND
	;;#ASMSTART
	v_cvt_f32_f16 v52, v78;
	;;#ASMEND
	;;#ASMSTART
	v_cvt_f32_f16 v53, v47;
	;;#ASMEND
	;;#ASMSTART
	v_cvt_f32_f16 v49, v49;
	;;#ASMEND
	;;#ASMSTART
	v_cvt_f32_f16 v64, v81;
	;;#ASMEND
	;;#ASMSTART
	v_cvt_f32_f16 v65, v80;
	;;#ASMEND
	ds_read_b64 v[46:47], v59 offset:40
	v_lshrrev_b32_e32 v84, 16, v45
	v_and_b32_e32 v45, 0xffff, v45
	v_fmac_f32_e32 v40, v48, v52
	v_fmac_f32_e32 v42, v49, v65
	s_waitcnt lgkmcnt(0)
	v_lshrrev_b32_e32 v48, 16, v46
	v_and_b32_e32 v46, 0xffff, v46
	v_lshrrev_b32_e32 v49, 16, v47
	v_and_b32_e32 v47, 0xffff, v47
	v_fmac_f32_e32 v44, v50, v51
	v_fmac_f32_e32 v41, v53, v64
	;;#ASMSTART
	v_cvt_f32_f16 v50, v46;
	;;#ASMEND
	;;#ASMSTART
	v_cvt_f32_f16 v48, v48;
	;;#ASMEND
	;; [unrolled: 3-line block ×8, first 2 shown]
	ds_read_b64 v[46:47], v59 offset:48
	v_lshrrev_b32_e32 v74, 16, v43
	v_and_b32_e32 v43, 0xffff, v43
	v_fmac_f32_e32 v40, v48, v52
	v_fmac_f32_e32 v41, v53, v45
	s_waitcnt lgkmcnt(0)
	v_lshrrev_b32_e32 v45, 16, v46
	v_and_b32_e32 v46, 0xffff, v46
	v_lshrrev_b32_e32 v48, 16, v47
	v_and_b32_e32 v47, 0xffff, v47
	v_fmac_f32_e32 v44, v50, v51
	v_fmac_f32_e32 v42, v49, v64
	;;#ASMSTART
	v_cvt_f32_f16 v49, v46;
	;;#ASMEND
	;;#ASMSTART
	v_cvt_f32_f16 v45, v45;
	;;#ASMEND
	;; [unrolled: 3-line block ×8, first 2 shown]
	ds_read_b64 v[46:47], v59 offset:56
	v_fmac_f32_e32 v40, v45, v51
	v_fmac_f32_e32 v41, v52, v43
	;; [unrolled: 1-line block ×4, first 2 shown]
	s_waitcnt lgkmcnt(0)
	v_lshrrev_b32_e32 v43, 16, v46
	v_and_b32_e32 v45, 0xffff, v46
	v_lshrrev_b32_e32 v46, 16, v47
	v_and_b32_e32 v47, 0xffff, v47
	;;#ASMSTART
	v_cvt_f32_f16 v45, v45;
	;;#ASMEND
	;;#ASMSTART
	v_cvt_f32_f16 v43, v43;
	;;#ASMEND
	;; [unrolled: 3-line block ×8, first 2 shown]
	ds_read_b64 v[46:47], v59 offset:64
	s_waitcnt vmcnt(15)
	v_lshrrev_b32_e32 v68, 16, v38
	v_and_b32_e32 v38, 0xffff, v38
	v_fmac_f32_e32 v44, v45, v48
	v_fmac_f32_e32 v40, v43, v49
	s_waitcnt lgkmcnt(0)
	v_lshrrev_b32_e32 v43, 16, v46
	v_and_b32_e32 v45, 0xffff, v46
	;;#ASMSTART
	v_cvt_f32_f16 v45, v45;
	;;#ASMEND
	;;#ASMSTART
	v_cvt_f32_f16 v43, v43;
	;;#ASMEND
	;; [unrolled: 3-line block ×3, first 2 shown]
	v_lshrrev_b32_e32 v38, 16, v47
	v_and_b32_e32 v47, 0xffff, v47
	;;#ASMSTART
	v_cvt_f32_f16 v48, v68;
	;;#ASMEND
	;;#ASMSTART
	v_cvt_f32_f16 v47, v47;
	;;#ASMEND
	;; [unrolled: 3-line block ×3, first 2 shown]
	v_lshrrev_b32_e32 v38, 16, v39
	v_and_b32_e32 v39, 0xffff, v39
	v_fmac_f32_e32 v41, v50, v52
	v_fmac_f32_e32 v42, v51, v53
	;;#ASMSTART
	v_cvt_f32_f16 v50, v39;
	;;#ASMEND
	;;#ASMSTART
	v_cvt_f32_f16 v51, v38;
	;;#ASMEND
	ds_read_b64 v[38:39], v59 offset:72
	v_fmac_f32_e32 v44, v45, v46
	v_fmac_f32_e32 v40, v43, v48
	s_waitcnt vmcnt(14)
	v_lshrrev_b32_e32 v45, 16, v36
	v_and_b32_e32 v36, 0xffff, v36
	s_waitcnt lgkmcnt(0)
	v_lshrrev_b32_e32 v43, 16, v38
	v_and_b32_e32 v38, 0xffff, v38
	;;#ASMSTART
	v_cvt_f32_f16 v38, v38;
	;;#ASMEND
	;;#ASMSTART
	v_cvt_f32_f16 v43, v43;
	;;#ASMEND
	;; [unrolled: 3-line block ×3, first 2 shown]
	v_lshrrev_b32_e32 v36, 16, v39
	v_and_b32_e32 v39, 0xffff, v39
	v_fmac_f32_e32 v41, v47, v50
	;;#ASMSTART
	v_cvt_f32_f16 v45, v45;
	;;#ASMEND
	;;#ASMSTART
	v_cvt_f32_f16 v39, v39;
	;;#ASMEND
	;;#ASMSTART
	v_cvt_f32_f16 v47, v36;
	;;#ASMEND
	v_lshrrev_b32_e32 v36, 16, v37
	v_and_b32_e32 v37, 0xffff, v37
	v_fmac_f32_e32 v42, v49, v51
	;;#ASMSTART
	v_cvt_f32_f16 v48, v37;
	;;#ASMEND
	;;#ASMSTART
	v_cvt_f32_f16 v49, v36;
	;;#ASMEND
	ds_read_b64 v[36:37], v59 offset:80
	v_fmac_f32_e32 v44, v38, v46
	v_fmac_f32_e32 v41, v39, v48
	s_waitcnt vmcnt(13)
	v_lshrrev_b32_e32 v39, 16, v34
	v_and_b32_e32 v34, 0xffff, v34
	s_waitcnt lgkmcnt(0)
	v_lshrrev_b32_e32 v38, 16, v36
	v_and_b32_e32 v36, 0xffff, v36
	v_fmac_f32_e32 v40, v43, v45
	;;#ASMSTART
	v_cvt_f32_f16 v36, v36;
	;;#ASMEND
	;;#ASMSTART
	v_cvt_f32_f16 v38, v38;
	;;#ASMEND
	;;#ASMSTART
	v_cvt_f32_f16 v43, v34;
	;;#ASMEND
	v_lshrrev_b32_e32 v34, 16, v37
	v_and_b32_e32 v37, 0xffff, v37
	;;#ASMSTART
	v_cvt_f32_f16 v39, v39;
	;;#ASMEND
	;;#ASMSTART
	v_cvt_f32_f16 v37, v37;
	;;#ASMEND
	;;#ASMSTART
	v_cvt_f32_f16 v45, v34;
	;;#ASMEND
	v_lshrrev_b32_e32 v34, 16, v35
	v_and_b32_e32 v35, 0xffff, v35
	v_fmac_f32_e32 v42, v47, v49
	;;#ASMSTART
	v_cvt_f32_f16 v46, v35;
	;;#ASMEND
	;;#ASMSTART
	v_cvt_f32_f16 v47, v34;
	;;#ASMEND
	ds_read_b64 v[34:35], v59 offset:88
	v_fmac_f32_e32 v44, v36, v43
	v_fmac_f32_e32 v41, v37, v46
	s_waitcnt vmcnt(12)
	v_lshrrev_b32_e32 v37, 16, v32
	v_and_b32_e32 v32, 0xffff, v32
	s_waitcnt lgkmcnt(0)
	v_lshrrev_b32_e32 v36, 16, v34
	v_and_b32_e32 v34, 0xffff, v34
	v_fmac_f32_e32 v40, v38, v39
	;;#ASMSTART
	v_cvt_f32_f16 v34, v34;
	;;#ASMEND
	;;#ASMSTART
	v_cvt_f32_f16 v36, v36;
	;;#ASMEND
	;;#ASMSTART
	v_cvt_f32_f16 v38, v32;
	;;#ASMEND
	v_lshrrev_b32_e32 v32, 16, v35
	v_and_b32_e32 v35, 0xffff, v35
	;; [unrolled: 39-line block ×13, first 2 shown]
	;;#ASMSTART
	v_cvt_f32_f16 v15, v15;
	;;#ASMEND
	;;#ASMSTART
	v_cvt_f32_f16 v13, v13;
	;;#ASMEND
	;; [unrolled: 3-line block ×3, first 2 shown]
	v_lshrrev_b32_e32 v10, 16, v11
	v_and_b32_e32 v11, 0xffff, v11
	v_fmac_f32_e32 v42, v19, v21
	;;#ASMSTART
	v_cvt_f32_f16 v18, v11;
	;;#ASMEND
	;;#ASMSTART
	v_cvt_f32_f16 v19, v10;
	;;#ASMEND
	ds_read_b64 v[10:11], v59 offset:184
	v_fmac_f32_e32 v44, v12, v16
	v_fmac_f32_e32 v41, v13, v18
	s_waitcnt vmcnt(0)
	v_lshrrev_b32_e32 v13, 16, v8
	v_and_b32_e32 v8, 0xffff, v8
	s_waitcnt lgkmcnt(0)
	v_lshrrev_b32_e32 v12, 16, v10
	v_and_b32_e32 v10, 0xffff, v10
	;;#ASMSTART
	v_cvt_f32_f16 v10, v10;
	;;#ASMEND
	;;#ASMSTART
	v_cvt_f32_f16 v12, v12;
	;;#ASMEND
	;; [unrolled: 3-line block ×3, first 2 shown]
	v_fmac_f32_e32 v40, v14, v15
	v_fmac_f32_e32 v44, v10, v8
	v_lshrrev_b32_e32 v8, 16, v11
	v_and_b32_e32 v10, 0xffff, v11
	v_fmac_f32_e32 v42, v17, v19
	;;#ASMSTART
	v_cvt_f32_f16 v13, v13;
	;;#ASMEND
	;;#ASMSTART
	v_cvt_f32_f16 v10, v10;
	;;#ASMEND
	;; [unrolled: 3-line block ×3, first 2 shown]
	v_lshrrev_b32_e32 v11, 16, v9
	v_fmac_f32_e32 v40, v12, v13
	v_and_b32_e32 v9, 0xffff, v9
	;;#ASMSTART
	v_cvt_f32_f16 v9, v9;
	;;#ASMEND
	;;#ASMSTART
	v_cvt_f32_f16 v11, v11;
	;;#ASMEND
	s_nop 0
	v_fmac_f32_e32 v41, v10, v9
	v_fmac_f32_e32 v42, v8, v11
	v_add_f32_e32 v8, v44, v40
	v_add_f32_e32 v8, v8, v41
	v_cndmask_b32_e64 v9, v56, v62, s[0:1]
	v_add_f32_e32 v8, v42, v8
	v_lshlrev_b32_e32 v9, 2, v9
	ds_bpermute_b32 v9, v9, v8
	s_and_saveexec_b64 s[38:39], vcc
	s_cbranch_execz .LBB124_9
; %bb.11:                               ;   in Loop: Header=BB124_10 Depth=1
	v_add_u32_e32 v10, s15, v60
	v_cvt_f32_i32_e32 v10, v10
	s_waitcnt lgkmcnt(0)
	v_add_f32_e32 v8, v8, v9
	v_cmp_gt_i32_e64 s[0:1], s25, v60
	v_max_f32_e32 v9, v58, v58
	v_mul_f32_e32 v10, s10, v10
	v_cndmask_b32_e64 v10, 0, v10, s[6:7]
	v_fmac_f32_e32 v10, s11, v8
	v_cndmask_b32_e64 v8, 0, v10, s[0:1]
	ds_write_b32 v61, v8
	v_max_f32_e32 v8, v9, v10
	v_cndmask_b32_e64 v58, v58, v8, s[0:1]
	s_branch .LBB124_9
.LBB124_12:
	s_or_b64 exec, exec, s[36:37]
.LBB124_13:
	s_or_b64 exec, exec, s[34:35]
	v_xor_b32_e32 v2, 32, v56
	v_cmp_lt_i32_e32 vcc, v2, v57
	v_xor_b32_e32 v5, 16, v56
	v_max_f32_e32 v4, v58, v58
	v_cndmask_b32_e32 v2, v56, v2, vcc
	v_lshlrev_b32_e32 v2, 2, v2
	ds_bpermute_b32 v3, v2, v58
	v_cmp_lt_i32_e32 vcc, v5, v57
	v_xor_b32_e32 v8, 8, v56
	s_waitcnt lgkmcnt(0)
	v_xor_b32_e32 v9, 4, v56
	v_xor_b32_e32 v10, 2, v56
	v_max_f32_e32 v3, v3, v3
	v_max_f32_e32 v4, v4, v3
	v_cndmask_b32_e32 v3, v56, v5, vcc
	v_lshlrev_b32_e32 v3, 2, v3
	ds_bpermute_b32 v5, v3, v4
	v_cmp_lt_i32_e32 vcc, v8, v57
	v_and_b32_e32 v44, 63, v0
	s_waitcnt lgkmcnt(0)
	v_max_f32_e32 v5, v5, v5
	v_max_f32_e32 v4, v4, v5
	v_cndmask_b32_e32 v5, v56, v8, vcc
	v_lshlrev_b32_e32 v5, 2, v5
	ds_bpermute_b32 v8, v5, v4
	v_cmp_lt_i32_e32 vcc, v9, v57
	s_waitcnt lgkmcnt(0)
	v_max_f32_e32 v8, v8, v8
	v_max_f32_e32 v4, v4, v8
	v_cndmask_b32_e32 v8, v56, v9, vcc
	v_lshlrev_b32_e32 v8, 2, v8
	ds_bpermute_b32 v9, v8, v4
	v_cmp_lt_i32_e32 vcc, v10, v57
	s_waitcnt lgkmcnt(0)
	v_max_f32_e32 v9, v9, v9
	v_max_f32_e32 v4, v4, v9
	v_cndmask_b32_e32 v9, v56, v10, vcc
	v_lshlrev_b32_e32 v45, 2, v9
	ds_bpermute_b32 v10, v45, v4
	v_cmp_eq_u32_e32 vcc, 0, v44
	v_lshlrev_b32_e32 v9, 2, v54
	s_and_saveexec_b64 s[0:1], vcc
	s_cbranch_execz .LBB124_15
; %bb.14:
	s_waitcnt lgkmcnt(0)
	v_max_f32_e32 v10, v10, v10
	v_max_f32_e32 v4, v4, v4
	;; [unrolled: 1-line block ×3, first 2 shown]
	ds_write_b32 v9, v4 offset:384
.LBB124_15:
	s_or_b64 exec, exec, s[0:1]
	v_cmp_gt_u32_e64 s[0:1], 2, v44
	v_mov_b32_e32 v4, 0xff7fffff
	s_waitcnt lgkmcnt(0)
	v_lshlrev_b32_e32 v10, 2, v44
	s_barrier
	s_and_saveexec_b64 s[6:7], s[0:1]
	s_cbranch_execz .LBB124_17
; %bb.16:
	ds_read_b32 v4, v10 offset:384
.LBB124_17:
	s_or_b64 exec, exec, s[6:7]
	v_xor_b32_e32 v11, 1, v56
	v_cmp_lt_i32_e64 s[6:7], v11, v57
	s_sub_i32 s3, s33, s3
	s_lshl_b32 s3, s3, 5
	v_cndmask_b32_e64 v11, v56, v11, s[6:7]
	v_lshlrev_b32_e32 v46, 2, v11
	s_waitcnt lgkmcnt(0)
	ds_bpermute_b32 v11, v46, v4
	v_max_f32_e32 v4, v4, v4
	s_add_i32 s3, s3, s40
	s_min_i32 s15, s3, s25
	s_sub_i32 s3, s15, s40
	s_waitcnt lgkmcnt(0)
	v_max_f32_e32 v11, v11, v11
	v_max_f32_e32 v4, v4, v11
	v_lshlrev_b32_e32 v11, 2, v56
	v_and_b32_e32 v11, 0xffffff00, v11
	ds_bpermute_b32 v4, v11, v4
	v_cmp_gt_i32_e64 s[6:7], s3, v0
	v_mov_b32_e32 v12, 0
	s_and_saveexec_b64 s[34:35], s[6:7]
	s_cbranch_execz .LBB124_21
; %bb.18:
	v_mov_b32_e32 v12, 0x190
	v_lshl_add_u32 v13, v0, 2, v12
	s_mov_b64 s[36:37], 0
	v_mov_b32_e32 v12, 0
	v_mov_b32_e32 v14, v0
.LBB124_19:                             ; =>This Inner Loop Header: Depth=1
	ds_read_b32 v15, v13
	v_add_u32_e32 v14, 0x80, v14
	v_cmp_le_i32_e64 s[10:11], s3, v14
	s_or_b64 s[36:37], s[10:11], s[36:37]
	s_waitcnt lgkmcnt(0)
	v_sub_f32_e32 v15, v15, v4
	v_mul_f32_e32 v15, 0x3fb8aa3b, v15
	v_exp_f32_e32 v15, v15
	ds_write_b32 v13, v15
	v_add_f32_e32 v12, v12, v15
	v_add_u32_e32 v13, 0x200, v13
	s_andn2_b64 exec, exec, s[36:37]
	s_cbranch_execnz .LBB124_19
; %bb.20:
	s_or_b64 exec, exec, s[36:37]
.LBB124_21:
	s_or_b64 exec, exec, s[34:35]
	ds_bpermute_b32 v2, v2, v12
	s_waitcnt lgkmcnt(0)
	v_add_f32_e32 v2, v12, v2
	ds_bpermute_b32 v3, v3, v2
	s_waitcnt lgkmcnt(0)
	v_add_f32_e32 v2, v2, v3
	;; [unrolled: 3-line block ×6, first 2 shown]
	s_and_saveexec_b64 s[10:11], vcc
	s_cbranch_execz .LBB124_23
; %bb.22:
	ds_write_b32 v9, v2 offset:392
.LBB124_23:
	s_or_b64 exec, exec, s[10:11]
	s_waitcnt lgkmcnt(0)
	s_barrier
	s_and_saveexec_b64 s[10:11], s[0:1]
	s_cbranch_execz .LBB124_25
; %bb.24:
	ds_read_b32 v2, v10 offset:392
.LBB124_25:
	s_or_b64 exec, exec, s[10:11]
	s_waitcnt lgkmcnt(0)
	ds_bpermute_b32 v3, v46, v2
	s_waitcnt lgkmcnt(0)
	v_add_f32_e32 v2, v2, v3
	ds_bpermute_b32 v5, v11, v2
	s_and_saveexec_b64 s[0:1], s[6:7]
	s_cbranch_execz .LBB124_38
; %bb.26:
	s_waitcnt lgkmcnt(0)
	v_add_f32_e32 v2, 0x358637bd, v5
	v_div_scale_f32 v3, s[6:7], v2, v2, 1.0
	v_rcp_f32_e32 v8, v3
	v_div_scale_f32 v9, vcc, 1.0, v2, 1.0
	s_movk_i32 s6, 0x7f
	v_fma_f32 v10, -v3, v8, 1.0
	v_fmac_f32_e32 v8, v10, v8
	v_mul_f32_e32 v10, v9, v8
	v_fma_f32 v11, -v3, v10, v9
	v_fmac_f32_e32 v10, v11, v8
	v_fma_f32 v3, -v3, v10, v9
	v_div_fmas_f32 v3, v3, v8, v10
	v_div_fixup_f32 v2, v3, v2, 1.0
	v_xad_u32 v3, v0, -1, s15
	v_subrev_u32_e32 v8, s40, v3
	v_cmp_lt_u32_e32 vcc, s6, v8
	s_mov_b64 s[10:11], -1
	v_mov_b32_e32 v3, v0
	s_and_saveexec_b64 s[6:7], vcc
	s_cbranch_execz .LBB124_35
; %bb.27:
	v_lshrrev_b32_e32 v8, 7, v8
	v_add_u32_e32 v10, -1, v8
	v_lshrrev_b32_e32 v9, 1, v10
	v_mov_b32_e32 v3, v2
	v_add_u32_e32 v9, 1, v9
	v_cmp_lt_u32_e32 vcc, 13, v10
	v_mov_b32_e32 v12, 0
	s_and_saveexec_b64 s[10:11], vcc
	s_cbranch_execz .LBB124_31
; %bb.28:
	v_mov_b32_e32 v11, 0x190
	v_and_b32_e32 v10, -8, v9
	v_lshl_add_u32 v11, v0, 2, v11
	s_mov_b32 s15, 0
	s_mov_b64 s[34:35], 0
.LBB124_29:                             ; =>This Inner Loop Header: Depth=1
	ds_read2st64_b32 v[12:13], v11 offset1:2
	ds_read2st64_b32 v[14:15], v11 offset0:4 offset1:6
	ds_read2st64_b32 v[16:17], v11 offset0:8 offset1:10
	ds_read2st64_b32 v[18:19], v11 offset0:12 offset1:14
	v_add_u32_e32 v10, -8, v10
	s_waitcnt lgkmcnt(3)
	v_pk_mul_f32 v[12:13], v[2:3], v[12:13]
	s_waitcnt lgkmcnt(2)
	v_pk_mul_f32 v[14:15], v[2:3], v[14:15]
	ds_write2st64_b32 v11, v12, v13 offset1:2
	ds_write2st64_b32 v11, v14, v15 offset0:4 offset1:6
	ds_read2st64_b32 v[14:15], v11 offset0:16 offset1:18
	s_waitcnt lgkmcnt(4)
	v_pk_mul_f32 v[12:13], v[2:3], v[16:17]
	ds_write2st64_b32 v11, v12, v13 offset0:8 offset1:10
	s_waitcnt lgkmcnt(4)
	v_pk_mul_f32 v[12:13], v[2:3], v[18:19]
	ds_write2st64_b32 v11, v12, v13 offset0:12 offset1:14
	ds_read2st64_b32 v[12:13], v11 offset0:20 offset1:22
	s_waitcnt lgkmcnt(3)
	v_pk_mul_f32 v[14:15], v[2:3], v[14:15]
	ds_read2st64_b32 v[16:17], v11 offset0:24 offset1:26
	ds_write2st64_b32 v11, v14, v15 offset0:16 offset1:18
	ds_read2st64_b32 v[14:15], v11 offset0:28 offset1:30
	s_waitcnt lgkmcnt(3)
	v_pk_mul_f32 v[12:13], v[2:3], v[12:13]
	ds_write2st64_b32 v11, v12, v13 offset0:20 offset1:22
	s_waitcnt lgkmcnt(3)
	v_pk_mul_f32 v[12:13], v[2:3], v[16:17]
	ds_write2st64_b32 v11, v12, v13 offset0:24 offset1:26
	s_waitcnt lgkmcnt(2)
	v_pk_mul_f32 v[12:13], v[2:3], v[14:15]
	s_add_i32 s15, s15, 16
	v_cmp_eq_u32_e32 vcc, 0, v10
	ds_write2st64_b32 v11, v12, v13 offset0:28 offset1:30
	v_add_u32_e32 v11, 0x2000, v11
	s_or_b64 s[34:35], vcc, s[34:35]
	v_mov_b32_e32 v12, s15
	s_andn2_b64 exec, exec, s[34:35]
	s_cbranch_execnz .LBB124_29
; %bb.30:
	s_or_b64 exec, exec, s[34:35]
.LBB124_31:
	s_or_b64 exec, exec, s[10:11]
	v_and_b32_e32 v9, 7, v9
	v_cmp_ne_u32_e32 vcc, 0, v9
	s_and_saveexec_b64 s[10:11], vcc
	s_cbranch_execz .LBB124_34
; %bb.32:
	v_lshlrev_b32_e32 v10, 9, v12
	v_lshlrev_b32_e32 v11, 2, v0
	s_movk_i32 s15, 0x190
	v_add3_u32 v10, v10, v11, s15
	s_mov_b64 s[34:35], 0
.LBB124_33:                             ; =>This Inner Loop Header: Depth=1
	ds_read2st64_b32 v[12:13], v10 offset1:2
	v_add_u32_e32 v9, -1, v9
	v_cmp_eq_u32_e32 vcc, 0, v9
	s_or_b64 s[34:35], vcc, s[34:35]
	s_waitcnt lgkmcnt(0)
	v_pk_mul_f32 v[12:13], v[2:3], v[12:13]
	ds_write2st64_b32 v10, v12, v13 offset1:2
	v_add_u32_e32 v10, 0x400, v10
	s_andn2_b64 exec, exec, s[34:35]
	s_cbranch_execnz .LBB124_33
.LBB124_34:
	s_or_b64 exec, exec, s[10:11]
	v_add_u32_e32 v8, 1, v8
	v_and_b32_e32 v9, 0x3fffffe, v8
	v_cmp_ne_u32_e32 vcc, v8, v9
	v_lshl_add_u32 v3, v9, 7, v0
	s_orn2_b64 s[10:11], vcc, exec
.LBB124_35:
	s_or_b64 exec, exec, s[6:7]
	s_and_b64 exec, exec, s[10:11]
	s_cbranch_execz .LBB124_38
; %bb.36:
	v_mov_b32_e32 v8, 0x190
	v_lshl_add_u32 v8, v3, 2, v8
	s_mov_b64 s[6:7], 0
.LBB124_37:                             ; =>This Inner Loop Header: Depth=1
	ds_read_b32 v9, v8
	v_add_u32_e32 v3, 0x80, v3
	v_cmp_le_i32_e32 vcc, s3, v3
	s_or_b64 s[6:7], vcc, s[6:7]
	s_waitcnt lgkmcnt(0)
	v_mul_f32_e32 v9, v2, v9
	ds_write_b32 v8, v9
	v_add_u32_e32 v8, 0x200, v8
	s_andn2_b64 exec, exec, s[6:7]
	s_cbranch_execnz .LBB124_37
.LBB124_38:
	s_or_b64 exec, exec, s[0:1]
	s_mul_i32 s0, s21, s24
	v_cmp_eq_u32_e32 vcc, 0, v0
	s_mul_i32 s6, s0, s5
	s_waitcnt lgkmcnt(0)
	s_barrier
	s_and_saveexec_b64 s[0:1], vcc
	s_cbranch_execz .LBB124_40
; %bb.39:
	s_ashr_i32 s7, s6, 31
	s_lshl_b64 s[10:11], s[6:7], 2
	s_add_u32 s5, s18, s10
	s_mul_i32 s2, s21, s2
	s_addc_u32 s7, s19, s11
	s_ashr_i32 s3, s2, 31
	s_lshl_b64 s[2:3], s[2:3], 2
	s_add_u32 s15, s5, s2
	s_addc_u32 s7, s7, s3
	s_ashr_i32 s5, s4, 31
	s_lshl_b64 s[18:19], s[4:5], 2
	s_add_u32 s34, s15, s18
	s_addc_u32 s35, s7, s19
	s_add_u32 s5, s16, s10
	s_addc_u32 s7, s17, s11
	;; [unrolled: 2-line block ×3, first 2 shown]
	s_add_u32 s2, s2, s18
	v_mov_b32_e32 v2, 0
	s_addc_u32 s3, s3, s19
	global_store_dword v2, v4, s[34:35]
	global_store_dword v2, v5, s[2:3]
.LBB124_40:
	s_or_b64 exec, exec, s[0:1]
	v_mov_b32_e32 v9, 0
	v_and_b32_e32 v47, 3, v0
	v_mov_b32_e32 v8, 0
	v_mov_b32_e32 v11, 0
	;; [unrolled: 1-line block ×11, first 2 shown]
	s_and_saveexec_b64 s[2:3], s[8:9]
	s_cbranch_execz .LBB124_68
; %bb.41:
	s_ashr_i32 s15, s14, 31
	s_lshl_b64 s[0:1], s[14:15], 1
	s_add_u32 s8, s30, s0
	v_and_b32_e32 v3, 24, v1
	s_addc_u32 s9, s31, s1
	s_add_i32 s7, s12, -1
	s_lshl_b64 s[0:1], s[28:29], 2
	v_and_b32_e32 v2, 0x1f8, v1
	v_add3_u32 v1, s40, v55, v3
	v_lshlrev_b32_e32 v3, 5, v47
	s_add_u32 s0, s26, s0
	v_mov_b32_e32 v19, 0
	v_or_b32_e32 v4, 0x800, v2
	v_or_b32_e32 v8, 0xa00, v2
	;; [unrolled: 1-line block ×8, first 2 shown]
	v_lshl_or_b32 v3, v54, 7, v3
	s_addc_u32 s1, s27, s1
	s_mov_b32 s5, s13
	s_mov_b32 s14, s25
	;; [unrolled: 1-line block ×8, first 2 shown]
	v_add_u32_e32 v48, 0x190, v3
	v_lshl_add_u64 v[22:23], v[6:7], 2, s[0:1]
	s_mov_b64 s[10:11], 0
	v_lshlrev_b32_e32 v24, 1, v2
	s_mov_b32 s26, 0x5040100
	v_lshlrev_b32_e32 v18, 1, v4
	v_lshlrev_b32_e32 v26, 1, v8
	v_lshlrev_b32_e32 v28, 1, v10
	v_lshlrev_b32_e32 v30, 1, v12
	v_lshlrev_b32_e32 v32, 1, v14
	v_lshlrev_b32_e32 v34, 1, v16
	v_lshlrev_b32_e32 v36, 1, v20
	v_lshlrev_b32_e32 v38, 1, v38
	v_mov_b32_e32 v25, v19
	v_mov_b32_e32 v9, v19
	;; [unrolled: 1-line block ×13, first 2 shown]
	s_branch .LBB124_43
.LBB124_42:                             ;   in Loop: Header=BB124_43 Depth=1
	s_or_b64 exec, exec, s[0:1]
	v_add_f32_e32 v7, v37, v72
	v_add_f32_e32 v8, v8, v7
	;; [unrolled: 1-line block ×9, first 2 shown]
	s_waitcnt vmcnt(0)
	;;#ASMSTART
	v_pk_mul_f16 v2, v56, v2;

	;;#ASMEND
	v_add_f32_e32 v12, v12, v7
	v_add_f32_e32 v7, v27, v67
	;;#ASMSTART
	v_pk_mul_f16 v3, v55, v3;

	;;#ASMEND
	;;#ASMSTART
	v_pk_mul_f16 v4, v54, v4;

	;;#ASMEND
	;; [unrolled: 4-line block ×3, first 2 shown]
	v_add_f32_e32 v15, v15, v7
	;;#ASMSTART
	v_pk_add_f16 v2, v2, v3;

	;;#ASMEND
	v_add_f32_e32 v7, v65, v66
	;;#ASMSTART
	v_pk_add_f16 v2, v2, v4;

	;;#ASMEND
	v_add_f32_e32 v14, v14, v7
	v_add_f32_e32 v7, v42, v43
	;;#ASMSTART
	v_pk_add_f16 v2, v2, v5;

	;;#ASMEND
	v_add_f32_e32 v17, v17, v7
	v_add_f32_e32 v7, v63, v64
	v_lshrrev_b32_e32 v3, 16, v2
	v_and_b32_e32 v2, 0xffff, v2
	v_add_f32_e32 v16, v16, v7
	v_add_f32_e32 v7, v61, v62
	;;#ASMSTART
	v_cvt_f32_f16 v2, v2;
	;;#ASMEND
	v_add_u32_e32 v6, 2, v6
	v_add_f32_e32 v21, v21, v7
	v_add_f32_e32 v7, v59, v60
	;;#ASMSTART
	v_cvt_f32_f16 v3, v3;
	;;#ASMEND
	v_cmp_le_i32_e32 vcc, s33, v6
	v_add_f32_e32 v2, v2, v3
	v_add_f32_e32 v20, v20, v7
	v_add_f32_e32 v9, v9, v2
	v_add_u32_e32 v1, 64, v1
	v_add_u32_e32 v48, 0x100, v48
	s_or_b64 s[10:11], vcc, s[10:11]
	v_lshl_add_u64 v[22:23], v[22:23], 0, 8
	s_andn2_b64 exec, exec, s[10:11]
	s_cbranch_execz .LBB124_67
.LBB124_43:                             ; =>This Inner Loop Header: Depth=1
	global_load_dword v7, v[22:23], off
	ds_read2_b64 v[2:5], v48 offset1:1
	ds_read2_b64 v[40:43], v48 offset0:2 offset1:3
	v_cmp_eq_u32_e32 vcc, s7, v6
	v_or_b32_e32 v50, 3, v1
	s_waitcnt lgkmcnt(1)
	;;#ASMSTART
	v_cvt_f16_f32 v27, v2;

	;;#ASMEND
	;;#ASMSTART
	v_cvt_f16_f32 v29, v3;

	;;#ASMEND
	;; [unrolled: 4-line block ×4, first 2 shown]
	s_waitcnt lgkmcnt(0)
	;;#ASMSTART
	v_cvt_f16_f32 v35, v40;

	;;#ASMEND
	;;#ASMSTART
	v_cvt_f16_f32 v37, v41;

	;;#ASMEND
	;; [unrolled: 4-line block ×4, first 2 shown]
	v_or_b32_e32 v49, 2, v1
	v_or_b32_e32 v53, 5, v1
	;; [unrolled: 1-line block ×5, first 2 shown]
	s_waitcnt vmcnt(0)
	v_mad_i64_i32 v[2:3], s[0:1], v7, s5, 0
	v_lshl_add_u64 v[40:41], v[2:3], 1, s[8:9]
	v_lshl_add_u64 v[42:43], v[40:41], 0, v[24:25]
	global_load_dwordx4 v[2:5], v[42:43], off
	v_add_u32_e32 v7, 1, v1
	s_and_saveexec_b64 s[12:13], vcc
	s_cbranch_execz .LBB124_45
; %bb.44:                               ;   in Loop: Header=BB124_43 Depth=1
	s_waitcnt vmcnt(0)
	v_lshrrev_b32_e32 v54, 16, v5
	v_cmp_gt_i32_e64 s[0:1], s24, v58
	s_nop 1
	v_cndmask_b32_e64 v54, 0, v54, s[0:1]
	v_cmp_gt_i32_e64 s[0:1], s19, v57
	s_nop 1
	v_cndmask_b32_e64 v5, 0, v5, s[0:1]
	v_perm_b32 v5, v54, v5, s26
	v_lshrrev_b32_e32 v54, 16, v4
	v_cmp_gt_i32_e64 s[0:1], s18, v53
	s_nop 1
	v_cndmask_b32_e64 v54, 0, v54, s[0:1]
	v_cmp_gt_i32_e64 s[0:1], s17, v51
	s_nop 1
	v_cndmask_b32_e64 v4, 0, v4, s[0:1]
	v_perm_b32 v4, v54, v4, s26
	v_lshrrev_b32_e32 v54, 16, v3
	v_cmp_gt_i32_e64 s[0:1], s16, v50
	s_nop 1
	v_cndmask_b32_e64 v54, 0, v54, s[0:1]
	v_cmp_gt_i32_e64 s[0:1], s15, v49
	s_nop 1
	v_cndmask_b32_e64 v3, 0, v3, s[0:1]
	v_perm_b32 v3, v54, v3, s26
	v_lshrrev_b32_e32 v54, 16, v2
	v_cmp_gt_i32_e64 s[0:1], s14, v7
	s_nop 1
	v_cndmask_b32_e64 v54, 0, v54, s[0:1]
	v_cmp_gt_i32_e64 s[0:1], s25, v1
	s_nop 1
	v_cndmask_b32_e64 v2, 0, v2, s[0:1]
	v_perm_b32 v2, v54, v2, s26
.LBB124_45:                             ;   in Loop: Header=BB124_43 Depth=1
	s_or_b64 exec, exec, s[12:13]
	v_and_b32_e32 v27, 0xffff, v27
	v_lshl_or_b32 v56, v29, 16, v27
	v_and_b32_e32 v27, 0xffff, v31
	v_lshl_or_b32 v55, v33, 16, v27
	;; [unrolled: 2-line block ×3, first 2 shown]
	v_and_b32_e32 v27, 0xffff, v39
	s_waitcnt vmcnt(0)
	;;#ASMSTART
	v_pk_mul_f16 v2, v56, v2;

	;;#ASMEND
	v_lshl_or_b32 v52, v52, 16, v27
	;;#ASMSTART
	v_pk_mul_f16 v3, v55, v3;

	;;#ASMEND
	;;#ASMSTART
	v_pk_mul_f16 v4, v54, v4;

	;;#ASMEND
	;;#ASMSTART
	v_pk_mul_f16 v5, v52, v5;

	;;#ASMEND
	s_nop 0
	;;#ASMSTART
	v_pk_add_f16 v2, v2, v3;

	;;#ASMEND
	s_nop 0
	;;#ASMSTART
	v_pk_add_f16 v2, v2, v4;

	;;#ASMEND
	;; [unrolled: 5-line block ×3, first 2 shown]
	s_nop 0
	v_lshrrev_b32_e32 v3, 16, v2
	v_and_b32_e32 v2, 0xffff, v2
	;;#ASMSTART
	v_cvt_f32_f16 v59, v2;
	;;#ASMEND
	;;#ASMSTART
	v_cvt_f32_f16 v60, v3;
	;;#ASMEND
	global_load_dwordx4 v[2:5], v[42:43], off offset:1024
	s_and_saveexec_b64 s[12:13], vcc
	s_cbranch_execz .LBB124_47
; %bb.46:                               ;   in Loop: Header=BB124_43 Depth=1
	s_waitcnt vmcnt(0)
	v_lshrrev_b32_e32 v27, 16, v5
	v_cmp_gt_i32_e64 s[0:1], s24, v58
	s_nop 1
	v_cndmask_b32_e64 v27, 0, v27, s[0:1]
	v_cmp_gt_i32_e64 s[0:1], s19, v57
	s_nop 1
	v_cndmask_b32_e64 v5, 0, v5, s[0:1]
	v_perm_b32 v5, v27, v5, s26
	v_lshrrev_b32_e32 v27, 16, v4
	v_cmp_gt_i32_e64 s[0:1], s18, v53
	s_nop 1
	v_cndmask_b32_e64 v27, 0, v27, s[0:1]
	v_cmp_gt_i32_e64 s[0:1], s17, v51
	s_nop 1
	v_cndmask_b32_e64 v4, 0, v4, s[0:1]
	v_perm_b32 v4, v27, v4, s26
	;; [unrolled: 8-line block ×4, first 2 shown]
.LBB124_47:                             ;   in Loop: Header=BB124_43 Depth=1
	s_or_b64 exec, exec, s[12:13]
	s_waitcnt vmcnt(0)
	;;#ASMSTART
	v_pk_mul_f16 v2, v56, v2;

	;;#ASMEND
	;;#ASMSTART
	v_pk_mul_f16 v3, v55, v3;

	;;#ASMEND
	;; [unrolled: 4-line block ×4, first 2 shown]
	s_nop 0
	;;#ASMSTART
	v_pk_add_f16 v2, v2, v3;

	;;#ASMEND
	s_nop 0
	;;#ASMSTART
	v_pk_add_f16 v2, v2, v4;

	;;#ASMEND
	;; [unrolled: 5-line block ×3, first 2 shown]
	s_nop 0
	v_lshrrev_b32_e32 v3, 16, v2
	v_and_b32_e32 v2, 0xffff, v2
	;;#ASMSTART
	v_cvt_f32_f16 v61, v2;
	;;#ASMEND
	;;#ASMSTART
	v_cvt_f32_f16 v62, v3;
	;;#ASMEND
	global_load_dwordx4 v[2:5], v[42:43], off offset:2048
	s_and_saveexec_b64 s[12:13], vcc
	s_cbranch_execz .LBB124_49
; %bb.48:                               ;   in Loop: Header=BB124_43 Depth=1
	s_waitcnt vmcnt(0)
	v_lshrrev_b32_e32 v27, 16, v5
	v_cmp_gt_i32_e64 s[0:1], s24, v58
	s_nop 1
	v_cndmask_b32_e64 v27, 0, v27, s[0:1]
	v_cmp_gt_i32_e64 s[0:1], s19, v57
	s_nop 1
	v_cndmask_b32_e64 v5, 0, v5, s[0:1]
	v_perm_b32 v5, v27, v5, s26
	v_lshrrev_b32_e32 v27, 16, v4
	v_cmp_gt_i32_e64 s[0:1], s18, v53
	s_nop 1
	v_cndmask_b32_e64 v27, 0, v27, s[0:1]
	v_cmp_gt_i32_e64 s[0:1], s17, v51
	s_nop 1
	v_cndmask_b32_e64 v4, 0, v4, s[0:1]
	v_perm_b32 v4, v27, v4, s26
	;; [unrolled: 8-line block ×4, first 2 shown]
.LBB124_49:                             ;   in Loop: Header=BB124_43 Depth=1
	s_or_b64 exec, exec, s[12:13]
	s_waitcnt vmcnt(0)
	;;#ASMSTART
	v_pk_mul_f16 v2, v56, v2;

	;;#ASMEND
	;;#ASMSTART
	v_pk_mul_f16 v3, v55, v3;

	;;#ASMEND
	;;#ASMSTART
	v_pk_mul_f16 v4, v54, v4;

	;;#ASMEND
	;;#ASMSTART
	v_pk_mul_f16 v5, v52, v5;

	;;#ASMEND
	s_nop 0
	;;#ASMSTART
	v_pk_add_f16 v2, v2, v3;

	;;#ASMEND
	s_nop 0
	;;#ASMSTART
	v_pk_add_f16 v2, v2, v4;

	;;#ASMEND
	;; [unrolled: 5-line block ×3, first 2 shown]
	s_nop 0
	v_lshrrev_b32_e32 v3, 16, v2
	v_and_b32_e32 v2, 0xffff, v2
	;;#ASMSTART
	v_cvt_f32_f16 v63, v2;
	;;#ASMEND
	;;#ASMSTART
	v_cvt_f32_f16 v64, v3;
	;;#ASMEND
	global_load_dwordx4 v[2:5], v[42:43], off offset:3072
	s_and_saveexec_b64 s[12:13], vcc
	s_cbranch_execz .LBB124_51
; %bb.50:                               ;   in Loop: Header=BB124_43 Depth=1
	s_waitcnt vmcnt(0)
	v_lshrrev_b32_e32 v27, 16, v5
	v_cmp_gt_i32_e64 s[0:1], s24, v58
	s_nop 1
	v_cndmask_b32_e64 v27, 0, v27, s[0:1]
	v_cmp_gt_i32_e64 s[0:1], s19, v57
	s_nop 1
	v_cndmask_b32_e64 v5, 0, v5, s[0:1]
	v_perm_b32 v5, v27, v5, s26
	v_lshrrev_b32_e32 v27, 16, v4
	v_cmp_gt_i32_e64 s[0:1], s18, v53
	s_nop 1
	v_cndmask_b32_e64 v27, 0, v27, s[0:1]
	v_cmp_gt_i32_e64 s[0:1], s17, v51
	s_nop 1
	v_cndmask_b32_e64 v4, 0, v4, s[0:1]
	v_perm_b32 v4, v27, v4, s26
	;; [unrolled: 8-line block ×4, first 2 shown]
.LBB124_51:                             ;   in Loop: Header=BB124_43 Depth=1
	s_or_b64 exec, exec, s[12:13]
	s_waitcnt vmcnt(0)
	;;#ASMSTART
	v_pk_mul_f16 v2, v56, v2;

	;;#ASMEND
	;;#ASMSTART
	v_pk_mul_f16 v3, v55, v3;

	;;#ASMEND
	;; [unrolled: 4-line block ×4, first 2 shown]
	s_nop 0
	;;#ASMSTART
	v_pk_add_f16 v2, v2, v3;

	;;#ASMEND
	s_nop 0
	;;#ASMSTART
	v_pk_add_f16 v2, v2, v4;

	;;#ASMEND
	;; [unrolled: 5-line block ×3, first 2 shown]
	s_nop 0
	v_lshrrev_b32_e32 v3, 16, v2
	v_and_b32_e32 v2, 0xffff, v2
	;;#ASMSTART
	v_cvt_f32_f16 v42, v2;
	;;#ASMEND
	;;#ASMSTART
	v_cvt_f32_f16 v43, v3;
	;;#ASMEND
	v_lshl_add_u64 v[2:3], v[40:41], 0, v[18:19]
	global_load_dwordx4 v[2:5], v[2:3], off
	s_and_saveexec_b64 s[12:13], vcc
	s_cbranch_execz .LBB124_53
; %bb.52:                               ;   in Loop: Header=BB124_43 Depth=1
	s_waitcnt vmcnt(0)
	v_lshrrev_b32_e32 v27, 16, v5
	v_cmp_gt_i32_e64 s[0:1], s24, v58
	s_nop 1
	v_cndmask_b32_e64 v27, 0, v27, s[0:1]
	v_cmp_gt_i32_e64 s[0:1], s19, v57
	s_nop 1
	v_cndmask_b32_e64 v5, 0, v5, s[0:1]
	v_perm_b32 v5, v27, v5, s26
	v_lshrrev_b32_e32 v27, 16, v4
	v_cmp_gt_i32_e64 s[0:1], s18, v53
	s_nop 1
	v_cndmask_b32_e64 v27, 0, v27, s[0:1]
	v_cmp_gt_i32_e64 s[0:1], s17, v51
	s_nop 1
	v_cndmask_b32_e64 v4, 0, v4, s[0:1]
	v_perm_b32 v4, v27, v4, s26
	;; [unrolled: 8-line block ×4, first 2 shown]
.LBB124_53:                             ;   in Loop: Header=BB124_43 Depth=1
	s_or_b64 exec, exec, s[12:13]
	s_waitcnt vmcnt(0)
	;;#ASMSTART
	v_pk_mul_f16 v2, v56, v2;

	;;#ASMEND
	;;#ASMSTART
	v_pk_mul_f16 v3, v55, v3;

	;;#ASMEND
	;; [unrolled: 4-line block ×4, first 2 shown]
	v_mov_b32_e32 v27, v19
	;;#ASMSTART
	v_pk_add_f16 v2, v2, v3;

	;;#ASMEND
	s_nop 0
	;;#ASMSTART
	v_pk_add_f16 v2, v2, v4;

	;;#ASMEND
	s_nop 0
	;; [unrolled: 5-line block ×3, first 2 shown]
	v_lshrrev_b32_e32 v3, 16, v2
	v_and_b32_e32 v2, 0xffff, v2
	;;#ASMSTART
	v_cvt_f32_f16 v65, v2;
	;;#ASMEND
	;;#ASMSTART
	v_cvt_f32_f16 v66, v3;
	;;#ASMEND
	v_lshl_add_u64 v[2:3], v[40:41], 0, v[26:27]
	global_load_dwordx4 v[2:5], v[2:3], off
	s_and_saveexec_b64 s[12:13], vcc
	s_cbranch_execz .LBB124_55
; %bb.54:                               ;   in Loop: Header=BB124_43 Depth=1
	s_waitcnt vmcnt(0)
	v_lshrrev_b32_e32 v27, 16, v5
	v_cmp_gt_i32_e64 s[0:1], s24, v58
	s_nop 1
	v_cndmask_b32_e64 v27, 0, v27, s[0:1]
	v_cmp_gt_i32_e64 s[0:1], s19, v57
	s_nop 1
	v_cndmask_b32_e64 v5, 0, v5, s[0:1]
	v_perm_b32 v5, v27, v5, s26
	v_lshrrev_b32_e32 v27, 16, v4
	v_cmp_gt_i32_e64 s[0:1], s18, v53
	s_nop 1
	v_cndmask_b32_e64 v27, 0, v27, s[0:1]
	v_cmp_gt_i32_e64 s[0:1], s17, v51
	s_nop 1
	v_cndmask_b32_e64 v4, 0, v4, s[0:1]
	v_perm_b32 v4, v27, v4, s26
	;; [unrolled: 8-line block ×4, first 2 shown]
.LBB124_55:                             ;   in Loop: Header=BB124_43 Depth=1
	s_or_b64 exec, exec, s[12:13]
	s_waitcnt vmcnt(0)
	;;#ASMSTART
	v_pk_mul_f16 v2, v56, v2;

	;;#ASMEND
	;;#ASMSTART
	v_pk_mul_f16 v3, v55, v3;

	;;#ASMEND
	;; [unrolled: 4-line block ×4, first 2 shown]
	v_mov_b32_e32 v29, v19
	;;#ASMSTART
	v_pk_add_f16 v2, v2, v3;

	;;#ASMEND
	s_nop 0
	;;#ASMSTART
	v_pk_add_f16 v2, v2, v4;

	;;#ASMEND
	s_nop 0
	;; [unrolled: 5-line block ×3, first 2 shown]
	v_lshrrev_b32_e32 v3, 16, v2
	v_and_b32_e32 v2, 0xffff, v2
	;;#ASMSTART
	v_cvt_f32_f16 v27, v2;
	;;#ASMEND
	;;#ASMSTART
	v_cvt_f32_f16 v67, v3;
	;;#ASMEND
	v_lshl_add_u64 v[2:3], v[40:41], 0, v[28:29]
	global_load_dwordx4 v[2:5], v[2:3], off
	s_and_saveexec_b64 s[12:13], vcc
	s_cbranch_execz .LBB124_57
; %bb.56:                               ;   in Loop: Header=BB124_43 Depth=1
	s_waitcnt vmcnt(0)
	v_lshrrev_b32_e32 v29, 16, v5
	v_cmp_gt_i32_e64 s[0:1], s24, v58
	s_nop 1
	v_cndmask_b32_e64 v29, 0, v29, s[0:1]
	v_cmp_gt_i32_e64 s[0:1], s19, v57
	s_nop 1
	v_cndmask_b32_e64 v5, 0, v5, s[0:1]
	v_perm_b32 v5, v29, v5, s26
	v_lshrrev_b32_e32 v29, 16, v4
	v_cmp_gt_i32_e64 s[0:1], s18, v53
	s_nop 1
	v_cndmask_b32_e64 v29, 0, v29, s[0:1]
	v_cmp_gt_i32_e64 s[0:1], s17, v51
	s_nop 1
	v_cndmask_b32_e64 v4, 0, v4, s[0:1]
	v_perm_b32 v4, v29, v4, s26
	;; [unrolled: 8-line block ×4, first 2 shown]
.LBB124_57:                             ;   in Loop: Header=BB124_43 Depth=1
	s_or_b64 exec, exec, s[12:13]
	s_waitcnt vmcnt(0)
	;;#ASMSTART
	v_pk_mul_f16 v2, v56, v2;

	;;#ASMEND
	;;#ASMSTART
	v_pk_mul_f16 v3, v55, v3;

	;;#ASMEND
	;; [unrolled: 4-line block ×4, first 2 shown]
	v_mov_b32_e32 v31, v19
	;;#ASMSTART
	v_pk_add_f16 v2, v2, v3;

	;;#ASMEND
	s_nop 0
	;;#ASMSTART
	v_pk_add_f16 v2, v2, v4;

	;;#ASMEND
	s_nop 0
	;; [unrolled: 5-line block ×3, first 2 shown]
	v_lshrrev_b32_e32 v3, 16, v2
	v_and_b32_e32 v2, 0xffff, v2
	;;#ASMSTART
	v_cvt_f32_f16 v29, v2;
	;;#ASMEND
	;;#ASMSTART
	v_cvt_f32_f16 v68, v3;
	;;#ASMEND
	v_lshl_add_u64 v[2:3], v[40:41], 0, v[30:31]
	global_load_dwordx4 v[2:5], v[2:3], off
	s_and_saveexec_b64 s[12:13], vcc
	s_cbranch_execz .LBB124_59
; %bb.58:                               ;   in Loop: Header=BB124_43 Depth=1
	s_waitcnt vmcnt(0)
	v_lshrrev_b32_e32 v31, 16, v5
	v_cmp_gt_i32_e64 s[0:1], s24, v58
	s_nop 1
	v_cndmask_b32_e64 v31, 0, v31, s[0:1]
	v_cmp_gt_i32_e64 s[0:1], s19, v57
	s_nop 1
	v_cndmask_b32_e64 v5, 0, v5, s[0:1]
	v_perm_b32 v5, v31, v5, s26
	v_lshrrev_b32_e32 v31, 16, v4
	v_cmp_gt_i32_e64 s[0:1], s18, v53
	s_nop 1
	v_cndmask_b32_e64 v31, 0, v31, s[0:1]
	v_cmp_gt_i32_e64 s[0:1], s17, v51
	s_nop 1
	v_cndmask_b32_e64 v4, 0, v4, s[0:1]
	v_perm_b32 v4, v31, v4, s26
	v_lshrrev_b32_e32 v31, 16, v3
	v_cmp_gt_i32_e64 s[0:1], s16, v50
	s_nop 1
	v_cndmask_b32_e64 v31, 0, v31, s[0:1]
	v_cmp_gt_i32_e64 s[0:1], s15, v49
	s_nop 1
	v_cndmask_b32_e64 v3, 0, v3, s[0:1]
	v_perm_b32 v3, v31, v3, s26
	v_lshrrev_b32_e32 v31, 16, v2
	v_cmp_gt_i32_e64 s[0:1], s14, v7
	s_nop 1
	v_cndmask_b32_e64 v31, 0, v31, s[0:1]
	v_cmp_gt_i32_e64 s[0:1], s25, v1
	s_nop 1
	v_cndmask_b32_e64 v2, 0, v2, s[0:1]
	v_perm_b32 v2, v31, v2, s26
.LBB124_59:                             ;   in Loop: Header=BB124_43 Depth=1
	s_or_b64 exec, exec, s[12:13]
	s_waitcnt vmcnt(0)
	;;#ASMSTART
	v_pk_mul_f16 v2, v56, v2;

	;;#ASMEND
	;;#ASMSTART
	v_pk_mul_f16 v3, v55, v3;

	;;#ASMEND
	;; [unrolled: 4-line block ×4, first 2 shown]
	v_mov_b32_e32 v33, v19
	;;#ASMSTART
	v_pk_add_f16 v2, v2, v3;

	;;#ASMEND
	s_nop 0
	;;#ASMSTART
	v_pk_add_f16 v2, v2, v4;

	;;#ASMEND
	s_nop 0
	;; [unrolled: 5-line block ×3, first 2 shown]
	v_lshrrev_b32_e32 v3, 16, v2
	v_and_b32_e32 v2, 0xffff, v2
	;;#ASMSTART
	v_cvt_f32_f16 v31, v2;
	;;#ASMEND
	;;#ASMSTART
	v_cvt_f32_f16 v69, v3;
	;;#ASMEND
	v_lshl_add_u64 v[2:3], v[40:41], 0, v[32:33]
	global_load_dwordx4 v[2:5], v[2:3], off
	s_and_saveexec_b64 s[12:13], vcc
	s_cbranch_execz .LBB124_61
; %bb.60:                               ;   in Loop: Header=BB124_43 Depth=1
	s_waitcnt vmcnt(0)
	v_lshrrev_b32_e32 v33, 16, v5
	v_cmp_gt_i32_e64 s[0:1], s24, v58
	s_nop 1
	v_cndmask_b32_e64 v33, 0, v33, s[0:1]
	v_cmp_gt_i32_e64 s[0:1], s19, v57
	s_nop 1
	v_cndmask_b32_e64 v5, 0, v5, s[0:1]
	v_perm_b32 v5, v33, v5, s26
	v_lshrrev_b32_e32 v33, 16, v4
	v_cmp_gt_i32_e64 s[0:1], s18, v53
	s_nop 1
	v_cndmask_b32_e64 v33, 0, v33, s[0:1]
	v_cmp_gt_i32_e64 s[0:1], s17, v51
	s_nop 1
	v_cndmask_b32_e64 v4, 0, v4, s[0:1]
	v_perm_b32 v4, v33, v4, s26
	;; [unrolled: 8-line block ×4, first 2 shown]
.LBB124_61:                             ;   in Loop: Header=BB124_43 Depth=1
	s_or_b64 exec, exec, s[12:13]
	s_waitcnt vmcnt(0)
	;;#ASMSTART
	v_pk_mul_f16 v2, v56, v2;

	;;#ASMEND
	;;#ASMSTART
	v_pk_mul_f16 v3, v55, v3;

	;;#ASMEND
	;; [unrolled: 4-line block ×4, first 2 shown]
	v_mov_b32_e32 v35, v19
	;;#ASMSTART
	v_pk_add_f16 v2, v2, v3;

	;;#ASMEND
	s_nop 0
	;;#ASMSTART
	v_pk_add_f16 v2, v2, v4;

	;;#ASMEND
	s_nop 0
	;; [unrolled: 5-line block ×3, first 2 shown]
	v_lshrrev_b32_e32 v3, 16, v2
	v_and_b32_e32 v2, 0xffff, v2
	;;#ASMSTART
	v_cvt_f32_f16 v33, v2;
	;;#ASMEND
	;;#ASMSTART
	v_cvt_f32_f16 v70, v3;
	;;#ASMEND
	v_lshl_add_u64 v[2:3], v[40:41], 0, v[34:35]
	global_load_dwordx4 v[2:5], v[2:3], off
	s_and_saveexec_b64 s[12:13], vcc
	s_cbranch_execz .LBB124_63
; %bb.62:                               ;   in Loop: Header=BB124_43 Depth=1
	s_waitcnt vmcnt(0)
	v_lshrrev_b32_e32 v35, 16, v5
	v_cmp_gt_i32_e64 s[0:1], s24, v58
	s_nop 1
	v_cndmask_b32_e64 v35, 0, v35, s[0:1]
	v_cmp_gt_i32_e64 s[0:1], s19, v57
	s_nop 1
	v_cndmask_b32_e64 v5, 0, v5, s[0:1]
	v_perm_b32 v5, v35, v5, s26
	v_lshrrev_b32_e32 v35, 16, v4
	v_cmp_gt_i32_e64 s[0:1], s18, v53
	s_nop 1
	v_cndmask_b32_e64 v35, 0, v35, s[0:1]
	v_cmp_gt_i32_e64 s[0:1], s17, v51
	s_nop 1
	v_cndmask_b32_e64 v4, 0, v4, s[0:1]
	v_perm_b32 v4, v35, v4, s26
	;; [unrolled: 8-line block ×4, first 2 shown]
.LBB124_63:                             ;   in Loop: Header=BB124_43 Depth=1
	s_or_b64 exec, exec, s[12:13]
	s_waitcnt vmcnt(0)
	;;#ASMSTART
	v_pk_mul_f16 v2, v56, v2;

	;;#ASMEND
	;;#ASMSTART
	v_pk_mul_f16 v3, v55, v3;

	;;#ASMEND
	;; [unrolled: 4-line block ×4, first 2 shown]
	v_mov_b32_e32 v37, v19
	;;#ASMSTART
	v_pk_add_f16 v2, v2, v3;

	;;#ASMEND
	s_nop 0
	;;#ASMSTART
	v_pk_add_f16 v2, v2, v4;

	;;#ASMEND
	s_nop 0
	;; [unrolled: 5-line block ×3, first 2 shown]
	v_lshrrev_b32_e32 v3, 16, v2
	v_and_b32_e32 v2, 0xffff, v2
	;;#ASMSTART
	v_cvt_f32_f16 v35, v2;
	;;#ASMEND
	;;#ASMSTART
	v_cvt_f32_f16 v71, v3;
	;;#ASMEND
	v_lshl_add_u64 v[2:3], v[40:41], 0, v[36:37]
	global_load_dwordx4 v[2:5], v[2:3], off
	s_and_saveexec_b64 s[12:13], vcc
	s_cbranch_execz .LBB124_65
; %bb.64:                               ;   in Loop: Header=BB124_43 Depth=1
	s_waitcnt vmcnt(0)
	v_lshrrev_b32_e32 v37, 16, v5
	v_cmp_gt_i32_e64 s[0:1], s24, v58
	s_nop 1
	v_cndmask_b32_e64 v37, 0, v37, s[0:1]
	v_cmp_gt_i32_e64 s[0:1], s19, v57
	s_nop 1
	v_cndmask_b32_e64 v5, 0, v5, s[0:1]
	v_perm_b32 v5, v37, v5, s26
	v_lshrrev_b32_e32 v37, 16, v4
	v_cmp_gt_i32_e64 s[0:1], s18, v53
	s_nop 1
	v_cndmask_b32_e64 v37, 0, v37, s[0:1]
	v_cmp_gt_i32_e64 s[0:1], s17, v51
	s_nop 1
	v_cndmask_b32_e64 v4, 0, v4, s[0:1]
	v_perm_b32 v4, v37, v4, s26
	;; [unrolled: 8-line block ×4, first 2 shown]
.LBB124_65:                             ;   in Loop: Header=BB124_43 Depth=1
	s_or_b64 exec, exec, s[12:13]
	s_waitcnt vmcnt(0)
	;;#ASMSTART
	v_pk_mul_f16 v2, v56, v2;

	;;#ASMEND
	;;#ASMSTART
	v_pk_mul_f16 v3, v55, v3;

	;;#ASMEND
	;; [unrolled: 4-line block ×4, first 2 shown]
	v_mov_b32_e32 v39, v19
	;;#ASMSTART
	v_pk_add_f16 v2, v2, v3;

	;;#ASMEND
	s_nop 0
	;;#ASMSTART
	v_pk_add_f16 v2, v2, v4;

	;;#ASMEND
	s_nop 0
	;; [unrolled: 5-line block ×3, first 2 shown]
	v_lshrrev_b32_e32 v3, 16, v2
	v_and_b32_e32 v2, 0xffff, v2
	;;#ASMSTART
	v_cvt_f32_f16 v37, v2;
	;;#ASMEND
	;;#ASMSTART
	v_cvt_f32_f16 v72, v3;
	;;#ASMEND
	v_lshl_add_u64 v[2:3], v[40:41], 0, v[38:39]
	global_load_dwordx4 v[2:5], v[2:3], off
	s_and_saveexec_b64 s[0:1], vcc
	s_cbranch_execz .LBB124_42
; %bb.66:                               ;   in Loop: Header=BB124_43 Depth=1
	s_waitcnt vmcnt(0)
	v_lshrrev_b32_e32 v39, 16, v5
	v_cmp_gt_i32_e32 vcc, s24, v58
	s_nop 1
	v_cndmask_b32_e32 v39, 0, v39, vcc
	v_cmp_gt_i32_e32 vcc, s19, v57
	s_nop 1
	v_cndmask_b32_e32 v5, 0, v5, vcc
	v_perm_b32 v5, v39, v5, s26
	v_lshrrev_b32_e32 v39, 16, v4
	v_cmp_gt_i32_e32 vcc, s18, v53
	s_nop 1
	v_cndmask_b32_e32 v39, 0, v39, vcc
	v_cmp_gt_i32_e32 vcc, s17, v51
	s_nop 1
	v_cndmask_b32_e32 v4, 0, v4, vcc
	v_perm_b32 v4, v39, v4, s26
	;; [unrolled: 8-line block ×4, first 2 shown]
	s_branch .LBB124_42
.LBB124_67:
	s_or_b64 exec, exec, s[10:11]
.LBB124_68:
	s_or_b64 exec, exec, s[2:3]
	ds_bpermute_b32 v2, v45, v20
	ds_bpermute_b32 v3, v45, v21
	;; [unrolled: 1-line block ×6, first 2 shown]
	s_waitcnt lgkmcnt(4)
	v_pk_add_f32 v[2:3], v[20:21], v[2:3]
	ds_bpermute_b32 v6, v46, v2
	ds_bpermute_b32 v7, v46, v3
	;; [unrolled: 1-line block ×6, first 2 shown]
	s_waitcnt lgkmcnt(4)
	v_pk_add_f32 v[2:3], v[2:3], v[6:7]
	v_pk_add_f32 v[6:7], v[14:15], v[18:19]
	ds_bpermute_b32 v14, v45, v12
	ds_bpermute_b32 v15, v45, v13
	;; [unrolled: 1-line block ×4, first 2 shown]
	v_pk_add_f32 v[4:5], v[16:17], v[4:5]
	s_waitcnt lgkmcnt(6)
	v_pk_add_f32 v[20:21], v[10:11], v[20:21]
	s_waitcnt lgkmcnt(2)
	v_pk_add_f32 v[14:15], v[12:13], v[14:15]
	ds_bpermute_b32 v22, v46, v14
	ds_bpermute_b32 v23, v46, v15
	;; [unrolled: 1-line block ×6, first 2 shown]
	v_pk_add_f32 v[8:9], v[8:9], v[26:27]
	s_waitcnt lgkmcnt(6)
	v_pk_add_f32 v[10:11], v[6:7], v[18:19]
	s_waitcnt lgkmcnt(4)
	v_pk_add_f32 v[6:7], v[14:15], v[22:23]
	ds_bpermute_b32 v14, v46, v8
	ds_bpermute_b32 v15, v46, v9
	v_and_b32_e32 v1, 0x3c3, v0
	s_waitcnt lgkmcnt(4)
	v_pk_add_f32 v[12:13], v[4:5], v[16:17]
	s_waitcnt lgkmcnt(2)
	v_pk_add_f32 v[4:5], v[20:21], v[24:25]
	v_cmp_ne_u32_e32 vcc, 64, v1
	s_waitcnt lgkmcnt(0)
	s_barrier
	s_and_saveexec_b64 s[0:1], vcc
	s_xor_b64 s[0:1], exec, s[0:1]
; %bb.69:
                                        ; implicit-def: $vgpr44
; %bb.70:
	s_or_saveexec_b64 s[0:1], s[0:1]
	v_pk_add_f32 v[8:9], v[8:9], v[14:15]
	s_xor_b64 exec, exec, s[0:1]
	s_cbranch_execz .LBB124_72
; %bb.71:
	v_add_u32_e32 v14, 0x190, v44
	ds_write2_b32 v14, v2, v3 offset1:16
	ds_write2_b32 v14, v12, v13 offset0:32 offset1:48
	ds_write2_b32 v14, v10, v11 offset0:64 offset1:80
	;; [unrolled: 1-line block ×5, first 2 shown]
.LBB124_72:
	s_or_b64 exec, exec, s[0:1]
	v_cmp_gt_u32_e32 vcc, 64, v0
	s_waitcnt lgkmcnt(0)
	s_barrier
	s_and_saveexec_b64 s[0:1], vcc
	s_cbranch_execz .LBB124_87
; %bb.73:
	v_cmp_eq_u32_e32 vcc, 0, v47
	v_lshrrev_b32_e32 v14, 2, v0
	s_and_saveexec_b64 s[2:3], vcc
	s_cbranch_execnz .LBB124_90
; %bb.74:
	s_or_b64 exec, exec, s[2:3]
	s_and_saveexec_b64 s[2:3], vcc
	s_cbranch_execnz .LBB124_91
.LBB124_75:
	s_or_b64 exec, exec, s[2:3]
	s_and_saveexec_b64 s[2:3], vcc
	s_cbranch_execnz .LBB124_92
.LBB124_76:
	s_or_b64 exec, exec, s[2:3]
	s_and_saveexec_b64 s[2:3], vcc
	s_cbranch_execnz .LBB124_93
.LBB124_77:
	s_or_b64 exec, exec, s[2:3]
	s_and_saveexec_b64 s[2:3], vcc
	s_cbranch_execnz .LBB124_94
.LBB124_78:
	s_or_b64 exec, exec, s[2:3]
	s_and_saveexec_b64 s[2:3], vcc
	s_cbranch_execnz .LBB124_95
.LBB124_79:
	s_or_b64 exec, exec, s[2:3]
	s_and_saveexec_b64 s[2:3], vcc
	s_cbranch_execnz .LBB124_96
.LBB124_80:
	s_or_b64 exec, exec, s[2:3]
	s_and_saveexec_b64 s[2:3], vcc
	s_cbranch_execnz .LBB124_97
.LBB124_81:
	s_or_b64 exec, exec, s[2:3]
	s_and_saveexec_b64 s[2:3], vcc
	s_cbranch_execnz .LBB124_98
.LBB124_82:
	s_or_b64 exec, exec, s[2:3]
	s_and_saveexec_b64 s[2:3], vcc
	s_cbranch_execnz .LBB124_99
.LBB124_83:
	s_or_b64 exec, exec, s[2:3]
	s_and_saveexec_b64 s[2:3], vcc
	s_cbranch_execnz .LBB124_100
.LBB124_84:
	s_or_b64 exec, exec, s[2:3]
	s_and_saveexec_b64 s[2:3], vcc
	s_cbranch_execz .LBB124_86
.LBB124_85:
	v_mov_b32_e32 v15, 0x190
	v_lshl_add_u32 v14, v14, 2, v15
	ds_read_b32 v14, v14 offset:704
	s_waitcnt lgkmcnt(0)
	v_add_f32_e32 v9, v9, v14
.LBB124_86:
	s_or_b64 exec, exec, s[2:3]
.LBB124_87:
	s_or_b64 exec, exec, s[0:1]
	v_cmp_eq_u32_e32 vcc, 0, v1
	s_barrier
	s_and_saveexec_b64 s[0:1], vcc
	s_cbranch_execz .LBB124_89
; %bb.88:
	s_mul_i32 s0, s6, 0xc0
	s_ashr_i32 s1, s0, 31
	s_lshl_b64 s[0:1], s[0:1], 1
	s_add_u32 s2, s22, s0
	s_mul_i32 s0, s21, s20
	s_addc_u32 s3, s23, s1
	s_ashr_i32 s1, s0, 31
	s_lshl_b64 s[0:1], s[0:1], 1
	s_add_u32 s2, s2, s0
	s_mul_i32 s0, s4, 0xc0
	s_addc_u32 s3, s3, s1
	s_ashr_i32 s1, s0, 31
	s_lshl_b64 s[0:1], s[0:1], 1
	s_add_u32 s0, s2, s0
	s_addc_u32 s1, s3, s1
	v_lshrrev_b32_e32 v0, 1, v0
	;;#ASMSTART
	v_cvt_f16_f32 v1, v2;

	;;#ASMEND
	global_store_short v0, v1, s[0:1]
	;;#ASMSTART
	v_cvt_f16_f32 v1, v3;

	;;#ASMEND
	global_store_short v0, v1, s[0:1] offset:32
	;;#ASMSTART
	v_cvt_f16_f32 v1, v12;

	;;#ASMEND
	global_store_short v0, v1, s[0:1] offset:64
	;; [unrolled: 5-line block ×11, first 2 shown]
.LBB124_89:
	s_endpgm
.LBB124_90:
	v_mov_b32_e32 v15, 0x190
	v_lshl_add_u32 v15, v14, 2, v15
	ds_read_b32 v15, v15
	s_waitcnt lgkmcnt(0)
	v_add_f32_e32 v2, v2, v15
	s_or_b64 exec, exec, s[2:3]
	s_and_saveexec_b64 s[2:3], vcc
	s_cbranch_execz .LBB124_75
.LBB124_91:
	v_mov_b32_e32 v15, 0x190
	v_lshl_add_u32 v15, v14, 2, v15
	ds_read_b32 v15, v15 offset:64
	s_waitcnt lgkmcnt(0)
	v_add_f32_e32 v3, v3, v15
	s_or_b64 exec, exec, s[2:3]
	s_and_saveexec_b64 s[2:3], vcc
	s_cbranch_execz .LBB124_76
.LBB124_92:
	v_mov_b32_e32 v15, 0x190
	v_lshl_add_u32 v15, v14, 2, v15
	ds_read_b32 v15, v15 offset:128
	s_waitcnt lgkmcnt(0)
	v_add_f32_e32 v12, v12, v15
	s_or_b64 exec, exec, s[2:3]
	s_and_saveexec_b64 s[2:3], vcc
	s_cbranch_execz .LBB124_77
.LBB124_93:
	v_mov_b32_e32 v15, 0x190
	v_lshl_add_u32 v15, v14, 2, v15
	ds_read_b32 v15, v15 offset:192
	s_waitcnt lgkmcnt(0)
	v_add_f32_e32 v13, v13, v15
	s_or_b64 exec, exec, s[2:3]
	s_and_saveexec_b64 s[2:3], vcc
	s_cbranch_execz .LBB124_78
.LBB124_94:
	v_mov_b32_e32 v15, 0x190
	v_lshl_add_u32 v15, v14, 2, v15
	ds_read_b32 v15, v15 offset:256
	s_waitcnt lgkmcnt(0)
	v_add_f32_e32 v10, v10, v15
	s_or_b64 exec, exec, s[2:3]
	s_and_saveexec_b64 s[2:3], vcc
	s_cbranch_execz .LBB124_79
.LBB124_95:
	v_mov_b32_e32 v15, 0x190
	v_lshl_add_u32 v15, v14, 2, v15
	ds_read_b32 v15, v15 offset:320
	s_waitcnt lgkmcnt(0)
	v_add_f32_e32 v11, v11, v15
	s_or_b64 exec, exec, s[2:3]
	s_and_saveexec_b64 s[2:3], vcc
	s_cbranch_execz .LBB124_80
.LBB124_96:
	v_mov_b32_e32 v15, 0x190
	v_lshl_add_u32 v15, v14, 2, v15
	ds_read_b32 v15, v15 offset:384
	s_waitcnt lgkmcnt(0)
	v_add_f32_e32 v6, v6, v15
	s_or_b64 exec, exec, s[2:3]
	s_and_saveexec_b64 s[2:3], vcc
	s_cbranch_execz .LBB124_81
.LBB124_97:
	v_mov_b32_e32 v15, 0x190
	v_lshl_add_u32 v15, v14, 2, v15
	ds_read_b32 v15, v15 offset:448
	s_waitcnt lgkmcnt(0)
	v_add_f32_e32 v7, v7, v15
	s_or_b64 exec, exec, s[2:3]
	s_and_saveexec_b64 s[2:3], vcc
	s_cbranch_execz .LBB124_82
.LBB124_98:
	v_mov_b32_e32 v15, 0x190
	v_lshl_add_u32 v15, v14, 2, v15
	ds_read_b32 v15, v15 offset:512
	s_waitcnt lgkmcnt(0)
	v_add_f32_e32 v4, v4, v15
	s_or_b64 exec, exec, s[2:3]
	s_and_saveexec_b64 s[2:3], vcc
	s_cbranch_execz .LBB124_83
.LBB124_99:
	v_mov_b32_e32 v15, 0x190
	v_lshl_add_u32 v15, v14, 2, v15
	ds_read_b32 v15, v15 offset:576
	s_waitcnt lgkmcnt(0)
	v_add_f32_e32 v5, v5, v15
	s_or_b64 exec, exec, s[2:3]
	s_and_saveexec_b64 s[2:3], vcc
	s_cbranch_execz .LBB124_84
.LBB124_100:
	v_mov_b32_e32 v15, 0x190
	v_lshl_add_u32 v15, v14, 2, v15
	ds_read_b32 v15, v15 offset:640
	s_waitcnt lgkmcnt(0)
	v_add_f32_e32 v8, v8, v15
	s_or_b64 exec, exec, s[2:3]
	s_and_saveexec_b64 s[2:3], vcc
	s_cbranch_execnz .LBB124_85
	s_branch .LBB124_86
	.section	.rodata,"a",@progbits
	.p2align	6, 0x0
	.amdhsa_kernel _ZN4vllm25paged_attention_v2_kernelIttLi192ELi32ELi128ELNS_18Fp8KVCacheDataTypeE0ELb0ELi512EEEvPfS2_PT_PKS3_PKT0_S9_ifPKiSB_iPKfiiiSD_SD_iiiii
		.amdhsa_group_segment_fixed_size 400
		.amdhsa_private_segment_fixed_size 0
		.amdhsa_kernarg_size 400
		.amdhsa_user_sgpr_count 2
		.amdhsa_user_sgpr_dispatch_ptr 0
		.amdhsa_user_sgpr_queue_ptr 0
		.amdhsa_user_sgpr_kernarg_segment_ptr 1
		.amdhsa_user_sgpr_dispatch_id 0
		.amdhsa_user_sgpr_kernarg_preload_length 0
		.amdhsa_user_sgpr_kernarg_preload_offset 0
		.amdhsa_user_sgpr_private_segment_size 0
		.amdhsa_uses_dynamic_stack 0
		.amdhsa_enable_private_segment 0
		.amdhsa_system_sgpr_workgroup_id_x 1
		.amdhsa_system_sgpr_workgroup_id_y 1
		.amdhsa_system_sgpr_workgroup_id_z 1
		.amdhsa_system_sgpr_workgroup_info 0
		.amdhsa_system_vgpr_workitem_id 0
		.amdhsa_next_free_vgpr 89
		.amdhsa_next_free_sgpr 44
		.amdhsa_accum_offset 92
		.amdhsa_reserve_vcc 1
		.amdhsa_float_round_mode_32 0
		.amdhsa_float_round_mode_16_64 0
		.amdhsa_float_denorm_mode_32 3
		.amdhsa_float_denorm_mode_16_64 3
		.amdhsa_dx10_clamp 1
		.amdhsa_ieee_mode 1
		.amdhsa_fp16_overflow 0
		.amdhsa_tg_split 0
		.amdhsa_exception_fp_ieee_invalid_op 0
		.amdhsa_exception_fp_denorm_src 0
		.amdhsa_exception_fp_ieee_div_zero 0
		.amdhsa_exception_fp_ieee_overflow 0
		.amdhsa_exception_fp_ieee_underflow 0
		.amdhsa_exception_fp_ieee_inexact 0
		.amdhsa_exception_int_div_zero 0
	.end_amdhsa_kernel
	.section	.text._ZN4vllm25paged_attention_v2_kernelIttLi192ELi32ELi128ELNS_18Fp8KVCacheDataTypeE0ELb0ELi512EEEvPfS2_PT_PKS3_PKT0_S9_ifPKiSB_iPKfiiiSD_SD_iiiii,"axG",@progbits,_ZN4vllm25paged_attention_v2_kernelIttLi192ELi32ELi128ELNS_18Fp8KVCacheDataTypeE0ELb0ELi512EEEvPfS2_PT_PKS3_PKT0_S9_ifPKiSB_iPKfiiiSD_SD_iiiii,comdat
.Lfunc_end124:
	.size	_ZN4vllm25paged_attention_v2_kernelIttLi192ELi32ELi128ELNS_18Fp8KVCacheDataTypeE0ELb0ELi512EEEvPfS2_PT_PKS3_PKT0_S9_ifPKiSB_iPKfiiiSD_SD_iiiii, .Lfunc_end124-_ZN4vllm25paged_attention_v2_kernelIttLi192ELi32ELi128ELNS_18Fp8KVCacheDataTypeE0ELb0ELi512EEEvPfS2_PT_PKS3_PKT0_S9_ifPKiSB_iPKfiiiSD_SD_iiiii
                                        ; -- End function
	.section	.AMDGPU.csdata,"",@progbits
; Kernel info:
; codeLenInByte = 12348
; NumSgprs: 50
; NumVgprs: 89
; NumAgprs: 0
; TotalNumVgprs: 89
; ScratchSize: 0
; MemoryBound: 0
; FloatMode: 240
; IeeeMode: 1
; LDSByteSize: 400 bytes/workgroup (compile time only)
; SGPRBlocks: 6
; VGPRBlocks: 11
; NumSGPRsForWavesPerEU: 50
; NumVGPRsForWavesPerEU: 89
; AccumOffset: 92
; Occupancy: 5
; WaveLimiterHint : 1
; COMPUTE_PGM_RSRC2:SCRATCH_EN: 0
; COMPUTE_PGM_RSRC2:USER_SGPR: 2
; COMPUTE_PGM_RSRC2:TRAP_HANDLER: 0
; COMPUTE_PGM_RSRC2:TGID_X_EN: 1
; COMPUTE_PGM_RSRC2:TGID_Y_EN: 1
; COMPUTE_PGM_RSRC2:TGID_Z_EN: 1
; COMPUTE_PGM_RSRC2:TIDIG_COMP_CNT: 0
; COMPUTE_PGM_RSRC3_GFX90A:ACCUM_OFFSET: 22
; COMPUTE_PGM_RSRC3_GFX90A:TG_SPLIT: 0
	.section	.text._ZN4vllm25paged_attention_v2_kernelIttLi256ELi32ELi128ELNS_18Fp8KVCacheDataTypeE0ELb0ELi512EEEvPfS2_PT_PKS3_PKT0_S9_ifPKiSB_iPKfiiiSD_SD_iiiii,"axG",@progbits,_ZN4vllm25paged_attention_v2_kernelIttLi256ELi32ELi128ELNS_18Fp8KVCacheDataTypeE0ELb0ELi512EEEvPfS2_PT_PKS3_PKT0_S9_ifPKiSB_iPKfiiiSD_SD_iiiii,comdat
	.protected	_ZN4vllm25paged_attention_v2_kernelIttLi256ELi32ELi128ELNS_18Fp8KVCacheDataTypeE0ELb0ELi512EEEvPfS2_PT_PKS3_PKT0_S9_ifPKiSB_iPKfiiiSD_SD_iiiii ; -- Begin function _ZN4vllm25paged_attention_v2_kernelIttLi256ELi32ELi128ELNS_18Fp8KVCacheDataTypeE0ELb0ELi512EEEvPfS2_PT_PKS3_PKT0_S9_ifPKiSB_iPKfiiiSD_SD_iiiii
	.globl	_ZN4vllm25paged_attention_v2_kernelIttLi256ELi32ELi128ELNS_18Fp8KVCacheDataTypeE0ELb0ELi512EEEvPfS2_PT_PKS3_PKT0_S9_ifPKiSB_iPKfiiiSD_SD_iiiii
	.p2align	8
	.type	_ZN4vllm25paged_attention_v2_kernelIttLi256ELi32ELi128ELNS_18Fp8KVCacheDataTypeE0ELb0ELi512EEEvPfS2_PT_PKS3_PKT0_S9_ifPKiSB_iPKfiiiSD_SD_iiiii,@function
_ZN4vllm25paged_attention_v2_kernelIttLi256ELi32ELi128ELNS_18Fp8KVCacheDataTypeE0ELb0ELi512EEEvPfS2_PT_PKS3_PKT0_S9_ifPKiSB_iPKfiiiSD_SD_iiiii: ; @_ZN4vllm25paged_attention_v2_kernelIttLi256ELi32ELi128ELNS_18Fp8KVCacheDataTypeE0ELb0ELi512EEEvPfS2_PT_PKS3_PKT0_S9_ifPKiSB_iPKfiiiSD_SD_iiiii
; %bb.0:
	s_load_dwordx2 s[6:7], s[0:1], 0x40
	s_mov_b32 s26, s3
	s_ashr_i32 s27, s3, 31
	s_lshl_b64 s[8:9], s[26:27], 2
	s_waitcnt lgkmcnt(0)
	s_add_u32 s6, s6, s8
	s_addc_u32 s7, s7, s9
	s_load_dword s27, s[6:7], 0x0
	s_lshl_b32 s42, s4, 9
	s_waitcnt lgkmcnt(0)
	s_cmp_ge_i32 s42, s27
	s_cbranch_scc1 .LBB125_101
; %bb.1:
	s_load_dword s5, s[0:1], 0x90
	s_load_dwordx2 s[12:13], s[0:1], 0x30
	s_waitcnt lgkmcnt(0)
	s_abs_i32 s7, s5
	s_abs_i32 s3, s12
	v_cvt_f32_u32_e32 v1, s3
	s_sub_i32 s8, 0, s3
	s_xor_b32 s6, s5, s12
	s_ashr_i32 s6, s6, 31
	v_rcp_iflag_f32_e32 v1, v1
	s_mov_b32 s12, 0
	v_mul_f32_e32 v1, 0x4f7ffffe, v1
	v_cvt_u32_f32_e32 v1, v1
	s_nop 0
	v_readfirstlane_b32 s9, v1
	s_mul_i32 s8, s8, s9
	s_mul_hi_u32 s8, s9, s8
	s_add_i32 s9, s9, s8
	s_mul_hi_u32 s8, s7, s9
	s_mul_i32 s9, s8, s3
	s_sub_i32 s7, s7, s9
	s_add_i32 s10, s8, 1
	s_sub_i32 s9, s7, s3
	s_cmp_ge_u32 s7, s3
	s_cselect_b32 s8, s10, s8
	s_cselect_b32 s7, s9, s7
	s_add_i32 s9, s8, 1
	s_cmp_ge_u32 s7, s3
	s_cselect_b32 s3, s9, s8
	s_xor_b32 s3, s3, s6
	s_sub_i32 s10, s3, s6
	s_abs_i32 s8, s10
	v_cvt_f32_u32_e32 v1, s8
	s_load_dwordx2 s[6:7], s[0:1], 0x50
	s_sub_i32 s3, 0, s8
	s_abs_i32 s9, s2
	v_rcp_iflag_f32_e32 v1, v1
	s_nop 0
	v_mul_f32_e32 v1, 0x4f7ffffe, v1
	v_cvt_u32_f32_e32 v1, v1
	s_nop 0
	v_readfirstlane_b32 s11, v1
	s_mul_i32 s3, s3, s11
	s_mul_hi_u32 s3, s11, s3
	s_add_i32 s11, s11, s3
	s_waitcnt lgkmcnt(0)
	s_cmp_eq_u64 s[6:7], 0
	s_mul_hi_u32 s20, s9, s11
	s_cbranch_scc1 .LBB125_3
; %bb.2:
	s_ashr_i32 s3, s2, 31
	s_lshl_b64 s[14:15], s[2:3], 2
	s_add_u32 s6, s6, s14
	s_addc_u32 s7, s7, s15
	s_load_dword s12, s[6:7], 0x0
.LBB125_3:
	s_load_dwordx4 s[16:19], s[0:1], 0x58
	s_ashr_i32 s21, s2, 31
	s_ashr_i32 s22, s10, 31
	v_and_b32_e32 v4, 1, v0
	s_lshl_b32 s14, s2, 8
	v_cmp_gt_u32_e64 s[10:11], 64, v0
	v_lshlrev_b32_e32 v68, 3, v0
	s_and_saveexec_b64 s[6:7], s[10:11]
	s_cbranch_execz .LBB125_5
; %bb.4:
	s_load_dwordx2 s[24:25], s[0:1], 0x18
	s_waitcnt lgkmcnt(0)
	s_mul_i32 s28, s26, s16
	s_ashr_i32 s29, s28, 31
	s_lshl_b64 s[28:29], s[28:29], 1
	v_lshlrev_b32_e32 v1, 2, v0
	s_add_u32 s3, s24, s28
	s_addc_u32 s16, s25, s29
	s_ashr_i32 s15, s14, 31
	s_lshl_b64 s[24:25], s[14:15], 1
	s_add_u32 s24, s3, s24
	s_addc_u32 s25, s16, s25
	global_load_dwordx2 v[2:3], v68, s[24:25]
	v_and_b32_e32 v1, 0xff8, v1
	v_lshl_add_u32 v1, v4, 8, v1
	s_waitcnt vmcnt(0)
	ds_write_b64 v1, v[2:3]
.LBB125_5:
	s_or_b64 exec, exec, s[6:7]
	s_add_i32 s3, s27, 31
	s_ashr_i32 s6, s3, 31
	s_lshr_b32 s6, s6, 27
	s_add_i32 s3, s3, s6
	s_waitcnt lgkmcnt(0)
	s_ashr_i32 s16, s3, 5
	s_lshl_b32 s3, s4, 4
	s_mul_i32 s7, s20, s8
	s_add_i32 s6, s3, 16
	s_sub_i32 s7, s9, s7
	s_min_i32 s33, s6, s16
	s_xor_b32 s6, s21, s22
	s_add_i32 s9, s20, 1
	s_sub_i32 s15, s7, s8
	s_cmp_ge_u32 s7, s8
	s_cselect_b32 s9, s9, s20
	s_cselect_b32 s7, s15, s7
	s_add_i32 s15, s9, 1
	s_cmp_ge_u32 s7, s8
	s_load_dwordx2 s[28:29], s[0:1], 0x38
	s_load_dword s8, s[0:1], 0x48
	v_lshrrev_b32_e32 v69, 6, v0
	s_cselect_b32 s7, s15, s9
	s_xor_b32 s7, s7, s6
	v_or_b32_e32 v6, s3, v69
	s_waitcnt lgkmcnt(0)
	s_mul_i32 s30, s26, s8
	s_sub_i32 s19, s7, s6
	s_ashr_i32 s31, s30, 31
	v_cmp_gt_i32_e64 s[6:7], s33, v6
	v_cmp_le_i32_e32 vcc, s33, v6
	v_mbcnt_lo_u32_b32 v8, -1, 0
	s_barrier
	s_waitcnt lgkmcnt(0)
                                        ; implicit-def: $sgpr38
                                        ; implicit-def: $vgpr71
                                        ; implicit-def: $vgpr72
	s_and_saveexec_b64 s[8:9], vcc
	s_xor_b64 s[8:9], exec, s[8:9]
; %bb.6:
	v_mbcnt_hi_u32_b32 v71, -1, v8
	v_and_b32_e32 v1, 64, v71
	v_add_u32_e32 v72, 64, v1
	s_mov_b32 s38, 0xff7fffff
                                        ; implicit-def: $vgpr4
                                        ; implicit-def: $vgpr8
; %bb.7:
	s_or_saveexec_b64 s[36:37], s[8:9]
	s_load_dwordx4 s[20:23], s[0:1], 0x0
	s_load_dwordx2 s[24:25], s[0:1], 0x10
	s_load_dwordx2 s[34:35], s[0:1], 0x28
	s_load_dword s15, s[0:1], 0x98
	v_mov_b32_e32 v1, s38
	s_mul_i32 s18, s19, s18
	v_ashrrev_i32_e32 v7, 31, v6
	v_lshlrev_b32_e32 v70, 5, v69
	s_xor_b64 exec, exec, s[36:37]
	s_cbranch_execz .LBB125_13
; %bb.8:
	s_load_dwordx2 s[0:1], s[0:1], 0x20
	s_ashr_i32 s19, s18, 31
	s_lshl_b64 s[8:9], s[18:19], 1
	v_bfe_u32 v1, v0, 1, 5
	v_lshlrev_b32_e32 v2, 4, v1
	s_waitcnt lgkmcnt(0)
	s_add_u32 s0, s0, s8
	s_addc_u32 s1, s1, s9
	v_mov_b32_e32 v3, 0
	v_lshl_add_u64 v[10:11], s[0:1], 0, v[2:3]
	s_sub_i32 s19, 1, s27
	s_lshl_b64 s[0:1], s[30:31], 2
	v_add3_u32 v74, s42, v70, v1
	v_lshlrev_b32_e32 v1, 2, v1
	s_add_u32 s0, s28, s0
	v_mbcnt_hi_u32_b32 v71, -1, v8
	v_and_b32_e32 v2, 8, v68
	v_lshl_or_b32 v1, v69, 7, v1
	s_addc_u32 s1, s29, s1
	v_and_b32_e32 v8, 64, v71
	s_mov_b32 s43, s17
	v_lshl_add_u64 v[2:3], v[10:11], 0, v[2:3]
	v_lshlrev_b32_e32 v73, 8, v4
	v_cmp_eq_u32_e32 vcc, 0, v4
	v_cmp_neq_f32_e64 s[8:9], s12, 0
	v_add_u32_e32 v75, 0x210, v1
	v_lshl_add_u64 v[4:5], v[6:7], 2, s[0:1]
	s_mov_b64 s[38:39], 0
	v_mov_b32_e32 v1, 0xff7fffff
	s_movk_i32 s44, 0x1000
	s_movk_i32 s45, 0x2000
	;; [unrolled: 1-line block ×3, first 2 shown]
	v_xor_b32_e32 v76, 1, v71
	v_add_u32_e32 v72, 64, v8
	v_mov_b32_e32 v77, v6
	s_branch .LBB125_10
.LBB125_9:                              ;   in Loop: Header=BB125_10 Depth=1
	s_or_b64 exec, exec, s[40:41]
	v_add_u32_e32 v77, 2, v77
	v_cmp_le_i32_e64 s[0:1], s33, v77
	v_add_u32_e32 v74, 64, v74
	v_add_u32_e32 v75, 0x100, v75
	s_or_b64 s[38:39], s[0:1], s[38:39]
	v_lshl_add_u64 v[4:5], v[4:5], 0, 8
	s_andn2_b64 exec, exec, s[38:39]
	s_cbranch_execz .LBB125_12
.LBB125_10:                             ; =>This Inner Loop Header: Depth=1
	global_load_dword v8, v[4:5], off
	s_waitcnt vmcnt(0) lgkmcnt(0)
	v_mad_i64_i32 v[8:9], s[0:1], v8, s43, 0
	v_lshl_add_u64 v[8:9], v[8:9], 1, v[2:3]
	global_load_dwordx2 v[78:79], v[8:9], off
	global_load_dwordx2 v[66:67], v[8:9], off offset:512
	global_load_dwordx2 v[80:81], v[8:9], off offset:1024
	;; [unrolled: 1-line block ×6, first 2 shown]
	ds_read_b64 v[10:11], v73
	global_load_dwordx2 v[54:55], v[8:9], off offset:3584
	s_waitcnt lgkmcnt(0)
	v_lshrrev_b32_e32 v82, 16, v10
	v_and_b32_e32 v83, 0xffff, v10
	v_add_co_u32_e64 v10, s[0:1], s44, v8
	v_lshrrev_b32_e32 v84, 16, v11
	v_and_b32_e32 v85, 0xffff, v11
	v_addc_co_u32_e64 v11, s[0:1], 0, v9, s[0:1]
	v_add_co_u32_e64 v56, s[0:1], s45, v8
	s_waitcnt vmcnt(7)
	v_lshrrev_b32_e32 v86, 16, v78
	v_addc_co_u32_e64 v57, s[0:1], 0, v9, s[0:1]
	v_add_co_u32_e64 v8, s[0:1], s46, v8
	v_and_b32_e32 v78, 0xffff, v78
	s_nop 0
	v_addc_co_u32_e64 v9, s[0:1], 0, v9, s[0:1]
	global_load_dwordx2 v[52:53], v[10:11], off offset:512
	global_load_dwordx2 v[50:51], v[10:11], off offset:1024
	;; [unrolled: 1-line block ×4, first 2 shown]
	global_load_dwordx2 v[38:39], v[56:57], off
	global_load_dwordx2 v[36:37], v[56:57], off offset:512
	global_load_dwordx2 v[34:35], v[56:57], off offset:1024
	;; [unrolled: 1-line block ×10, first 2 shown]
	global_load_dwordx2 v[22:23], v[8:9], off
	global_load_dwordx2 v[20:21], v[8:9], off offset:512
	global_load_dwordx2 v[18:19], v[8:9], off offset:1024
	;; [unrolled: 1-line block ×6, first 2 shown]
	s_nop 0
	global_load_dwordx2 v[56:57], v[56:57], off offset:-4096
	s_nop 0
	global_load_dwordx2 v[8:9], v[8:9], off offset:3584
	v_lshrrev_b32_e32 v87, 16, v79
	v_and_b32_e32 v79, 0xffff, v79
	;;#ASMSTART
	v_cvt_f32_f16 v83, v83;
	;;#ASMEND
	;;#ASMSTART
	v_cvt_f32_f16 v82, v82;
	;;#ASMEND
	s_waitcnt vmcnt(26)
	v_and_b32_e32 v100, 0xffff, v61
	v_lshrrev_b32_e32 v101, 16, v61
	s_waitcnt vmcnt(25)
	v_and_b32_e32 v102, 0xffff, v58
	v_lshrrev_b32_e32 v103, 16, v58
	v_and_b32_e32 v104, 0xffff, v59
	v_lshrrev_b32_e32 v105, 16, v59
	;;#ASMSTART
	v_cvt_f32_f16 v61, v78;
	;;#ASMEND
	;;#ASMSTART
	v_cvt_f32_f16 v78, v86;
	;;#ASMEND
	;; [unrolled: 3-line block ×6, first 2 shown]
	ds_read_b64 v[58:59], v73 offset:8
	v_and_b32_e32 v98, 0xffff, v60
	v_lshrrev_b32_e32 v99, 16, v60
	v_and_b32_e32 v88, 0xffff, v66
	v_and_b32_e32 v94, 0xffff, v62
	s_waitcnt lgkmcnt(0)
	v_and_b32_e32 v60, 0xffff, v58
	v_lshrrev_b32_e32 v58, 16, v58
	v_lshrrev_b32_e32 v95, 16, v62
	v_and_b32_e32 v96, 0xffff, v63
	v_lshrrev_b32_e32 v97, 16, v63
	v_lshrrev_b32_e32 v62, 16, v59
	v_and_b32_e32 v63, 0xffff, v59
	;;#ASMSTART
	v_cvt_f32_f16 v59, v60;
	;;#ASMEND
	;;#ASMSTART
	v_cvt_f32_f16 v60, v58;
	;;#ASMEND
	;; [unrolled: 3-line block ×3, first 2 shown]
	v_lshrrev_b32_e32 v66, 16, v66
	v_mul_f32_e32 v58, v59, v58
	;;#ASMSTART
	v_cvt_f32_f16 v59, v66;
	;;#ASMEND
	v_and_b32_e32 v89, 0xffff, v67
	v_lshrrev_b32_e32 v67, 16, v67
	v_mul_f32_e32 v59, v60, v59
	;;#ASMSTART
	v_cvt_f32_f16 v60, v63;
	;;#ASMEND
	;;#ASMSTART
	v_cvt_f32_f16 v66, v62;
	;;#ASMEND
	;; [unrolled: 3-line block ×4, first 2 shown]
	v_and_b32_e32 v90, 0xffff, v80
	v_mul_f32_e32 v60, v60, v62
	ds_read_b64 v[62:63], v73 offset:16
	v_lshrrev_b32_e32 v80, 16, v80
	v_and_b32_e32 v91, 0xffff, v81
	v_lshrrev_b32_e32 v81, 16, v81
	v_fmac_f32_e32 v58, v83, v61
	v_mul_f32_e32 v61, v66, v67
	s_waitcnt lgkmcnt(0)
	v_and_b32_e32 v66, 0xffff, v62
	v_lshrrev_b32_e32 v62, 16, v62
	v_lshrrev_b32_e32 v67, 16, v63
	v_and_b32_e32 v63, 0xffff, v63
	v_fmac_f32_e32 v59, v82, v78
	v_fmac_f32_e32 v60, v85, v79
	;;#ASMSTART
	v_cvt_f32_f16 v66, v66;
	;;#ASMEND
	;;#ASMSTART
	v_cvt_f32_f16 v78, v62;
	;;#ASMEND
	;;#ASMSTART
	v_cvt_f32_f16 v79, v90;
	;;#ASMEND
	;;#ASMSTART
	v_cvt_f32_f16 v80, v80;
	;;#ASMEND
	;;#ASMSTART
	v_cvt_f32_f16 v82, v63;
	;;#ASMEND
	;;#ASMSTART
	v_cvt_f32_f16 v67, v67;
	;;#ASMEND
	;;#ASMSTART
	v_cvt_f32_f16 v83, v91;
	;;#ASMEND
	;;#ASMSTART
	v_cvt_f32_f16 v81, v81;
	;;#ASMEND
	ds_read_b64 v[62:63], v73 offset:24
	v_fmac_f32_e32 v61, v84, v86
	v_and_b32_e32 v92, 0xffff, v64
	v_lshrrev_b32_e32 v64, 16, v64
	v_and_b32_e32 v93, 0xffff, v65
	v_lshrrev_b32_e32 v65, 16, v65
	v_fmac_f32_e32 v58, v66, v79
	v_fmac_f32_e32 v61, v67, v81
	s_waitcnt lgkmcnt(0)
	v_and_b32_e32 v66, 0xffff, v62
	v_lshrrev_b32_e32 v62, 16, v62
	v_lshrrev_b32_e32 v67, 16, v63
	v_and_b32_e32 v63, 0xffff, v63
	v_fmac_f32_e32 v59, v78, v80
	;;#ASMSTART
	v_cvt_f32_f16 v66, v66;
	;;#ASMEND
	;;#ASMSTART
	v_cvt_f32_f16 v78, v62;
	;;#ASMEND
	;; [unrolled: 3-line block ×8, first 2 shown]
	ds_read_b64 v[62:63], v73 offset:32
	v_fmac_f32_e32 v60, v82, v83
	v_fmac_f32_e32 v59, v78, v64
	;; [unrolled: 1-line block ×4, first 2 shown]
	s_waitcnt lgkmcnt(0)
	v_and_b32_e32 v64, 0xffff, v62
	v_lshrrev_b32_e32 v62, 16, v62
	v_lshrrev_b32_e32 v65, 16, v63
	v_and_b32_e32 v63, 0xffff, v63
	v_fmac_f32_e32 v60, v80, v81
	;;#ASMSTART
	v_cvt_f32_f16 v64, v64;
	;;#ASMEND
	;;#ASMSTART
	v_cvt_f32_f16 v66, v62;
	;;#ASMEND
	;; [unrolled: 3-line block ×8, first 2 shown]
	ds_read_b64 v[62:63], v73 offset:40
	v_fmac_f32_e32 v58, v64, v67
	v_fmac_f32_e32 v61, v65, v81
	;; [unrolled: 1-line block ×4, first 2 shown]
	s_waitcnt lgkmcnt(0)
	v_and_b32_e32 v64, 0xffff, v62
	v_lshrrev_b32_e32 v62, 16, v62
	v_lshrrev_b32_e32 v65, 16, v63
	v_and_b32_e32 v63, 0xffff, v63
	;;#ASMSTART
	v_cvt_f32_f16 v64, v64;
	;;#ASMEND
	;;#ASMSTART
	v_cvt_f32_f16 v66, v62;
	;;#ASMEND
	;; [unrolled: 3-line block ×8, first 2 shown]
	ds_read_b64 v[62:63], v73 offset:48
	v_fmac_f32_e32 v58, v64, v67
	v_fmac_f32_e32 v61, v65, v81
	;; [unrolled: 1-line block ×4, first 2 shown]
	s_waitcnt lgkmcnt(0)
	v_and_b32_e32 v64, 0xffff, v62
	v_lshrrev_b32_e32 v62, 16, v62
	v_lshrrev_b32_e32 v65, 16, v63
	v_and_b32_e32 v63, 0xffff, v63
	;;#ASMSTART
	v_cvt_f32_f16 v64, v64;
	;;#ASMEND
	;;#ASMSTART
	v_cvt_f32_f16 v66, v62;
	;;#ASMEND
	;; [unrolled: 3-line block ×8, first 2 shown]
	ds_read_b64 v[62:63], v73 offset:56
	s_waitcnt vmcnt(24)
	v_and_b32_e32 v87, 0xffff, v54
	v_lshrrev_b32_e32 v54, 16, v54
	v_fmac_f32_e32 v58, v64, v67
	v_fmac_f32_e32 v59, v66, v78
	s_waitcnt lgkmcnt(0)
	v_and_b32_e32 v64, 0xffff, v62
	v_lshrrev_b32_e32 v62, 16, v62
	v_fmac_f32_e32 v61, v65, v81
	v_lshrrev_b32_e32 v65, 16, v63
	v_and_b32_e32 v63, 0xffff, v63
	;;#ASMSTART
	v_cvt_f32_f16 v64, v64;
	;;#ASMEND
	;;#ASMSTART
	v_cvt_f32_f16 v62, v62;
	;;#ASMEND
	;; [unrolled: 3-line block ×4, first 2 shown]
	v_and_b32_e32 v54, 0xffff, v55
	;;#ASMSTART
	v_cvt_f32_f16 v63, v63;
	;;#ASMEND
	;;#ASMSTART
	v_cvt_f32_f16 v65, v65;
	;;#ASMEND
	;; [unrolled: 3-line block ×3, first 2 shown]
	v_lshrrev_b32_e32 v54, 16, v55
	v_fmac_f32_e32 v60, v79, v80
	;;#ASMSTART
	v_cvt_f32_f16 v79, v54;
	;;#ASMEND
	ds_read_b64 v[54:55], v73 offset:64
	v_fmac_f32_e32 v59, v62, v67
	v_fmac_f32_e32 v60, v63, v78
	;; [unrolled: 1-line block ×4, first 2 shown]
	s_waitcnt lgkmcnt(0)
	v_and_b32_e32 v62, 0xffff, v54
	v_lshrrev_b32_e32 v54, 16, v54
	;;#ASMSTART
	v_cvt_f32_f16 v62, v62;
	;;#ASMEND
	;;#ASMSTART
	v_cvt_f32_f16 v63, v54;
	;;#ASMEND
	s_waitcnt vmcnt(1)
	v_and_b32_e32 v54, 0xffff, v56
	;;#ASMSTART
	v_cvt_f32_f16 v64, v54;
	;;#ASMEND
	v_lshrrev_b32_e32 v54, 16, v56
	;;#ASMSTART
	v_cvt_f32_f16 v56, v54;
	;;#ASMEND
	v_lshrrev_b32_e32 v54, 16, v55
	v_and_b32_e32 v55, 0xffff, v55
	;;#ASMSTART
	v_cvt_f32_f16 v65, v55;
	;;#ASMEND
	;;#ASMSTART
	v_cvt_f32_f16 v66, v54;
	;;#ASMEND
	v_and_b32_e32 v54, 0xffff, v57
	;;#ASMSTART
	v_cvt_f32_f16 v67, v54;
	;;#ASMEND
	v_lshrrev_b32_e32 v54, 16, v57
	;;#ASMSTART
	v_cvt_f32_f16 v57, v54;
	;;#ASMEND
	ds_read_b64 v[54:55], v73 offset:72
	v_fmac_f32_e32 v59, v63, v56
	v_fmac_f32_e32 v61, v66, v57
	v_and_b32_e32 v57, 0xffff, v52
	v_lshrrev_b32_e32 v52, 16, v52
	s_waitcnt lgkmcnt(0)
	v_and_b32_e32 v56, 0xffff, v54
	v_lshrrev_b32_e32 v54, 16, v54
	v_fmac_f32_e32 v58, v62, v64
	;;#ASMSTART
	v_cvt_f32_f16 v56, v56;
	;;#ASMEND
	;;#ASMSTART
	v_cvt_f32_f16 v54, v54;
	;;#ASMEND
	;; [unrolled: 3-line block ×4, first 2 shown]
	v_lshrrev_b32_e32 v52, 16, v55
	v_and_b32_e32 v55, 0xffff, v55
	v_lshrrev_b32_e32 v63, 16, v53
	v_and_b32_e32 v53, 0xffff, v53
	v_fmac_f32_e32 v60, v65, v67
	;;#ASMSTART
	v_cvt_f32_f16 v55, v55;
	;;#ASMEND
	;;#ASMSTART
	v_cvt_f32_f16 v64, v52;
	;;#ASMEND
	;; [unrolled: 3-line block ×4, first 2 shown]
	ds_read_b64 v[52:53], v73 offset:80
	v_fmac_f32_e32 v59, v54, v62
	v_fmac_f32_e32 v60, v55, v65
	v_and_b32_e32 v55, 0xffff, v50
	v_lshrrev_b32_e32 v50, 16, v50
	s_waitcnt lgkmcnt(0)
	v_lshrrev_b32_e32 v54, 16, v52
	v_and_b32_e32 v52, 0xffff, v52
	v_fmac_f32_e32 v58, v56, v57
	;;#ASMSTART
	v_cvt_f32_f16 v52, v52;
	;;#ASMEND
	;;#ASMSTART
	v_cvt_f32_f16 v54, v54;
	;;#ASMEND
	;;#ASMSTART
	v_cvt_f32_f16 v55, v55;
	;;#ASMEND
	;;#ASMSTART
	v_cvt_f32_f16 v56, v50;
	;;#ASMEND
	v_lshrrev_b32_e32 v50, 16, v53
	v_and_b32_e32 v53, 0xffff, v53
	;;#ASMSTART
	v_cvt_f32_f16 v53, v53;
	;;#ASMEND
	;;#ASMSTART
	v_cvt_f32_f16 v57, v50;
	;;#ASMEND
	v_lshrrev_b32_e32 v50, 16, v51
	v_and_b32_e32 v51, 0xffff, v51
	v_fmac_f32_e32 v61, v64, v63
	;;#ASMSTART
	v_cvt_f32_f16 v62, v51;
	;;#ASMEND
	;;#ASMSTART
	v_cvt_f32_f16 v63, v50;
	;;#ASMEND
	ds_read_b64 v[50:51], v73 offset:88
	v_fmac_f32_e32 v58, v52, v55
	v_fmac_f32_e32 v60, v53, v62
	v_lshrrev_b32_e32 v53, 16, v48
	v_and_b32_e32 v48, 0xffff, v48
	s_waitcnt lgkmcnt(0)
	v_lshrrev_b32_e32 v52, 16, v50
	v_and_b32_e32 v50, 0xffff, v50
	v_fmac_f32_e32 v59, v54, v56
	;;#ASMSTART
	v_cvt_f32_f16 v50, v50;
	;;#ASMEND
	;;#ASMSTART
	v_cvt_f32_f16 v52, v52;
	;;#ASMEND
	;;#ASMSTART
	v_cvt_f32_f16 v54, v48;
	;;#ASMEND
	v_lshrrev_b32_e32 v48, 16, v51
	v_and_b32_e32 v51, 0xffff, v51
	;;#ASMSTART
	v_cvt_f32_f16 v53, v53;
	;;#ASMEND
	;;#ASMSTART
	v_cvt_f32_f16 v51, v51;
	;;#ASMEND
	;;#ASMSTART
	v_cvt_f32_f16 v55, v48;
	;;#ASMEND
	v_lshrrev_b32_e32 v48, 16, v49
	v_and_b32_e32 v49, 0xffff, v49
	v_fmac_f32_e32 v61, v57, v63
	;;#ASMSTART
	v_cvt_f32_f16 v56, v49;
	;;#ASMEND
	;;#ASMSTART
	v_cvt_f32_f16 v57, v48;
	;;#ASMEND
	ds_read_b64 v[48:49], v73 offset:96
	v_fmac_f32_e32 v58, v50, v54
	v_fmac_f32_e32 v60, v51, v56
	v_lshrrev_b32_e32 v51, 16, v46
	v_and_b32_e32 v46, 0xffff, v46
	s_waitcnt lgkmcnt(0)
	v_lshrrev_b32_e32 v50, 16, v48
	v_and_b32_e32 v48, 0xffff, v48
	v_fmac_f32_e32 v59, v52, v53
	;;#ASMSTART
	v_cvt_f32_f16 v48, v48;
	;;#ASMEND
	;;#ASMSTART
	v_cvt_f32_f16 v50, v50;
	;;#ASMEND
	;;#ASMSTART
	v_cvt_f32_f16 v52, v46;
	;;#ASMEND
	v_lshrrev_b32_e32 v46, 16, v49
	v_and_b32_e32 v49, 0xffff, v49
	;;#ASMSTART
	v_cvt_f32_f16 v51, v51;
	;;#ASMEND
	;;#ASMSTART
	v_cvt_f32_f16 v49, v49;
	;;#ASMEND
	;;#ASMSTART
	v_cvt_f32_f16 v53, v46;
	;;#ASMEND
	v_lshrrev_b32_e32 v46, 16, v47
	v_and_b32_e32 v47, 0xffff, v47
	v_fmac_f32_e32 v61, v55, v57
	;;#ASMSTART
	v_cvt_f32_f16 v54, v47;
	;;#ASMEND
	;;#ASMSTART
	v_cvt_f32_f16 v55, v46;
	;;#ASMEND
	ds_read_b64 v[46:47], v73 offset:104
	v_fmac_f32_e32 v58, v48, v52
	v_fmac_f32_e32 v60, v49, v54
	v_lshrrev_b32_e32 v49, 16, v44
	v_and_b32_e32 v44, 0xffff, v44
	s_waitcnt lgkmcnt(0)
	v_lshrrev_b32_e32 v48, 16, v46
	v_and_b32_e32 v46, 0xffff, v46
	v_fmac_f32_e32 v59, v50, v51
	;;#ASMSTART
	v_cvt_f32_f16 v46, v46;
	;;#ASMEND
	;;#ASMSTART
	v_cvt_f32_f16 v48, v48;
	;;#ASMEND
	;;#ASMSTART
	v_cvt_f32_f16 v50, v44;
	;;#ASMEND
	v_lshrrev_b32_e32 v44, 16, v47
	v_and_b32_e32 v47, 0xffff, v47
	;;#ASMSTART
	v_cvt_f32_f16 v49, v49;
	;;#ASMEND
	;;#ASMSTART
	v_cvt_f32_f16 v47, v47;
	;;#ASMEND
	;;#ASMSTART
	v_cvt_f32_f16 v51, v44;
	;;#ASMEND
	v_lshrrev_b32_e32 v44, 16, v45
	v_and_b32_e32 v45, 0xffff, v45
	v_fmac_f32_e32 v61, v53, v55
	;;#ASMSTART
	v_cvt_f32_f16 v52, v45;
	;;#ASMEND
	;;#ASMSTART
	v_cvt_f32_f16 v53, v44;
	;;#ASMEND
	ds_read_b64 v[44:45], v73 offset:112
	v_fmac_f32_e32 v58, v46, v50
	v_fmac_f32_e32 v60, v47, v52
	v_lshrrev_b32_e32 v47, 16, v42
	v_and_b32_e32 v42, 0xffff, v42
	s_waitcnt lgkmcnt(0)
	v_lshrrev_b32_e32 v46, 16, v44
	v_and_b32_e32 v44, 0xffff, v44
	v_fmac_f32_e32 v59, v48, v49
	;;#ASMSTART
	v_cvt_f32_f16 v44, v44;
	;;#ASMEND
	;;#ASMSTART
	v_cvt_f32_f16 v46, v46;
	;;#ASMEND
	;;#ASMSTART
	v_cvt_f32_f16 v48, v42;
	;;#ASMEND
	v_lshrrev_b32_e32 v42, 16, v45
	v_and_b32_e32 v45, 0xffff, v45
	;;#ASMSTART
	v_cvt_f32_f16 v47, v47;
	;;#ASMEND
	;;#ASMSTART
	v_cvt_f32_f16 v45, v45;
	;;#ASMEND
	;;#ASMSTART
	v_cvt_f32_f16 v49, v42;
	;;#ASMEND
	v_lshrrev_b32_e32 v42, 16, v43
	v_and_b32_e32 v43, 0xffff, v43
	v_fmac_f32_e32 v61, v51, v53
	;;#ASMSTART
	v_cvt_f32_f16 v50, v43;
	;;#ASMEND
	;;#ASMSTART
	v_cvt_f32_f16 v51, v42;
	;;#ASMEND
	ds_read_b64 v[42:43], v73 offset:120
	v_fmac_f32_e32 v58, v44, v48
	v_fmac_f32_e32 v60, v45, v50
	v_lshrrev_b32_e32 v45, 16, v40
	v_and_b32_e32 v40, 0xffff, v40
	s_waitcnt lgkmcnt(0)
	v_lshrrev_b32_e32 v44, 16, v42
	v_and_b32_e32 v42, 0xffff, v42
	v_fmac_f32_e32 v59, v46, v47
	;;#ASMSTART
	v_cvt_f32_f16 v42, v42;
	;;#ASMEND
	;;#ASMSTART
	v_cvt_f32_f16 v44, v44;
	;;#ASMEND
	;;#ASMSTART
	v_cvt_f32_f16 v46, v40;
	;;#ASMEND
	v_lshrrev_b32_e32 v40, 16, v43
	v_and_b32_e32 v43, 0xffff, v43
	;;#ASMSTART
	v_cvt_f32_f16 v45, v45;
	;;#ASMEND
	;;#ASMSTART
	v_cvt_f32_f16 v43, v43;
	;;#ASMEND
	;;#ASMSTART
	v_cvt_f32_f16 v47, v40;
	;;#ASMEND
	v_lshrrev_b32_e32 v40, 16, v41
	v_and_b32_e32 v41, 0xffff, v41
	v_fmac_f32_e32 v61, v49, v51
	;;#ASMSTART
	v_cvt_f32_f16 v48, v41;
	;;#ASMEND
	;;#ASMSTART
	v_cvt_f32_f16 v49, v40;
	;;#ASMEND
	ds_read_b64 v[40:41], v73 offset:128
	v_fmac_f32_e32 v58, v42, v46
	v_fmac_f32_e32 v60, v43, v48
	v_lshrrev_b32_e32 v43, 16, v38
	v_and_b32_e32 v38, 0xffff, v38
	s_waitcnt lgkmcnt(0)
	v_lshrrev_b32_e32 v42, 16, v40
	v_and_b32_e32 v40, 0xffff, v40
	v_fmac_f32_e32 v59, v44, v45
	;;#ASMSTART
	v_cvt_f32_f16 v40, v40;
	;;#ASMEND
	;;#ASMSTART
	v_cvt_f32_f16 v42, v42;
	;;#ASMEND
	;;#ASMSTART
	v_cvt_f32_f16 v44, v38;
	;;#ASMEND
	v_lshrrev_b32_e32 v38, 16, v41
	v_and_b32_e32 v41, 0xffff, v41
	;;#ASMSTART
	v_cvt_f32_f16 v43, v43;
	;;#ASMEND
	;;#ASMSTART
	v_cvt_f32_f16 v41, v41;
	;;#ASMEND
	;;#ASMSTART
	v_cvt_f32_f16 v45, v38;
	;;#ASMEND
	v_lshrrev_b32_e32 v38, 16, v39
	v_and_b32_e32 v39, 0xffff, v39
	v_fmac_f32_e32 v61, v47, v49
	;;#ASMSTART
	v_cvt_f32_f16 v46, v39;
	;;#ASMEND
	;;#ASMSTART
	v_cvt_f32_f16 v47, v38;
	;;#ASMEND
	ds_read_b64 v[38:39], v73 offset:136
	v_fmac_f32_e32 v58, v40, v44
	v_fmac_f32_e32 v60, v41, v46
	v_lshrrev_b32_e32 v41, 16, v36
	v_and_b32_e32 v36, 0xffff, v36
	s_waitcnt lgkmcnt(0)
	v_lshrrev_b32_e32 v40, 16, v38
	v_and_b32_e32 v38, 0xffff, v38
	v_fmac_f32_e32 v59, v42, v43
	;;#ASMSTART
	v_cvt_f32_f16 v38, v38;
	;;#ASMEND
	;;#ASMSTART
	v_cvt_f32_f16 v40, v40;
	;;#ASMEND
	;;#ASMSTART
	v_cvt_f32_f16 v42, v36;
	;;#ASMEND
	v_lshrrev_b32_e32 v36, 16, v39
	v_and_b32_e32 v39, 0xffff, v39
	;;#ASMSTART
	v_cvt_f32_f16 v41, v41;
	;;#ASMEND
	;;#ASMSTART
	v_cvt_f32_f16 v39, v39;
	;;#ASMEND
	;;#ASMSTART
	v_cvt_f32_f16 v43, v36;
	;;#ASMEND
	v_lshrrev_b32_e32 v36, 16, v37
	v_and_b32_e32 v37, 0xffff, v37
	v_fmac_f32_e32 v61, v45, v47
	;;#ASMSTART
	v_cvt_f32_f16 v44, v37;
	;;#ASMEND
	;;#ASMSTART
	v_cvt_f32_f16 v45, v36;
	;;#ASMEND
	ds_read_b64 v[36:37], v73 offset:144
	v_fmac_f32_e32 v58, v38, v42
	v_fmac_f32_e32 v60, v39, v44
	v_lshrrev_b32_e32 v39, 16, v34
	v_and_b32_e32 v34, 0xffff, v34
	s_waitcnt lgkmcnt(0)
	v_lshrrev_b32_e32 v38, 16, v36
	v_and_b32_e32 v36, 0xffff, v36
	v_fmac_f32_e32 v59, v40, v41
	;;#ASMSTART
	v_cvt_f32_f16 v36, v36;
	;;#ASMEND
	;;#ASMSTART
	v_cvt_f32_f16 v38, v38;
	;;#ASMEND
	;;#ASMSTART
	v_cvt_f32_f16 v40, v34;
	;;#ASMEND
	v_lshrrev_b32_e32 v34, 16, v37
	v_and_b32_e32 v37, 0xffff, v37
	;;#ASMSTART
	v_cvt_f32_f16 v39, v39;
	;;#ASMEND
	;;#ASMSTART
	v_cvt_f32_f16 v37, v37;
	;;#ASMEND
	;;#ASMSTART
	v_cvt_f32_f16 v41, v34;
	;;#ASMEND
	v_lshrrev_b32_e32 v34, 16, v35
	v_and_b32_e32 v35, 0xffff, v35
	v_fmac_f32_e32 v61, v43, v45
	;;#ASMSTART
	v_cvt_f32_f16 v42, v35;
	;;#ASMEND
	;;#ASMSTART
	v_cvt_f32_f16 v43, v34;
	;;#ASMEND
	ds_read_b64 v[34:35], v73 offset:152
	v_fmac_f32_e32 v58, v36, v40
	v_fmac_f32_e32 v60, v37, v42
	v_lshrrev_b32_e32 v37, 16, v32
	v_and_b32_e32 v32, 0xffff, v32
	s_waitcnt lgkmcnt(0)
	v_lshrrev_b32_e32 v36, 16, v34
	v_and_b32_e32 v34, 0xffff, v34
	v_fmac_f32_e32 v59, v38, v39
	;;#ASMSTART
	v_cvt_f32_f16 v34, v34;
	;;#ASMEND
	;;#ASMSTART
	v_cvt_f32_f16 v36, v36;
	;;#ASMEND
	;;#ASMSTART
	v_cvt_f32_f16 v38, v32;
	;;#ASMEND
	v_lshrrev_b32_e32 v32, 16, v35
	v_and_b32_e32 v35, 0xffff, v35
	;;#ASMSTART
	v_cvt_f32_f16 v37, v37;
	;;#ASMEND
	;;#ASMSTART
	v_cvt_f32_f16 v35, v35;
	;;#ASMEND
	;;#ASMSTART
	v_cvt_f32_f16 v39, v32;
	;;#ASMEND
	v_lshrrev_b32_e32 v32, 16, v33
	v_and_b32_e32 v33, 0xffff, v33
	v_fmac_f32_e32 v61, v41, v43
	;;#ASMSTART
	v_cvt_f32_f16 v40, v33;
	;;#ASMEND
	;;#ASMSTART
	v_cvt_f32_f16 v41, v32;
	;;#ASMEND
	ds_read_b64 v[32:33], v73 offset:160
	v_fmac_f32_e32 v58, v34, v38
	v_fmac_f32_e32 v60, v35, v40
	v_lshrrev_b32_e32 v35, 16, v30
	v_and_b32_e32 v30, 0xffff, v30
	s_waitcnt lgkmcnt(0)
	v_lshrrev_b32_e32 v34, 16, v32
	v_and_b32_e32 v32, 0xffff, v32
	v_fmac_f32_e32 v59, v36, v37
	;;#ASMSTART
	v_cvt_f32_f16 v32, v32;
	;;#ASMEND
	;;#ASMSTART
	v_cvt_f32_f16 v34, v34;
	;;#ASMEND
	;;#ASMSTART
	v_cvt_f32_f16 v36, v30;
	;;#ASMEND
	v_lshrrev_b32_e32 v30, 16, v33
	v_and_b32_e32 v33, 0xffff, v33
	;;#ASMSTART
	v_cvt_f32_f16 v35, v35;
	;;#ASMEND
	;;#ASMSTART
	v_cvt_f32_f16 v33, v33;
	;;#ASMEND
	;;#ASMSTART
	v_cvt_f32_f16 v37, v30;
	;;#ASMEND
	v_lshrrev_b32_e32 v30, 16, v31
	v_and_b32_e32 v31, 0xffff, v31
	v_fmac_f32_e32 v61, v39, v41
	;;#ASMSTART
	v_cvt_f32_f16 v38, v31;
	;;#ASMEND
	;;#ASMSTART
	v_cvt_f32_f16 v39, v30;
	;;#ASMEND
	ds_read_b64 v[30:31], v73 offset:168
	v_fmac_f32_e32 v58, v32, v36
	v_fmac_f32_e32 v60, v33, v38
	v_lshrrev_b32_e32 v33, 16, v28
	v_and_b32_e32 v28, 0xffff, v28
	s_waitcnt lgkmcnt(0)
	v_lshrrev_b32_e32 v32, 16, v30
	v_and_b32_e32 v30, 0xffff, v30
	v_fmac_f32_e32 v59, v34, v35
	;;#ASMSTART
	v_cvt_f32_f16 v30, v30;
	;;#ASMEND
	;;#ASMSTART
	v_cvt_f32_f16 v32, v32;
	;;#ASMEND
	;;#ASMSTART
	v_cvt_f32_f16 v34, v28;
	;;#ASMEND
	v_lshrrev_b32_e32 v28, 16, v31
	v_and_b32_e32 v31, 0xffff, v31
	;;#ASMSTART
	v_cvt_f32_f16 v33, v33;
	;;#ASMEND
	;;#ASMSTART
	v_cvt_f32_f16 v31, v31;
	;;#ASMEND
	;;#ASMSTART
	v_cvt_f32_f16 v35, v28;
	;;#ASMEND
	v_lshrrev_b32_e32 v28, 16, v29
	v_and_b32_e32 v29, 0xffff, v29
	v_fmac_f32_e32 v61, v37, v39
	;;#ASMSTART
	v_cvt_f32_f16 v36, v29;
	;;#ASMEND
	;;#ASMSTART
	v_cvt_f32_f16 v37, v28;
	;;#ASMEND
	ds_read_b64 v[28:29], v73 offset:176
	v_fmac_f32_e32 v58, v30, v34
	v_fmac_f32_e32 v60, v31, v36
	v_lshrrev_b32_e32 v31, 16, v26
	v_and_b32_e32 v26, 0xffff, v26
	s_waitcnt lgkmcnt(0)
	v_lshrrev_b32_e32 v30, 16, v28
	v_and_b32_e32 v28, 0xffff, v28
	v_fmac_f32_e32 v59, v32, v33
	;;#ASMSTART
	v_cvt_f32_f16 v28, v28;
	;;#ASMEND
	;;#ASMSTART
	v_cvt_f32_f16 v30, v30;
	;;#ASMEND
	;;#ASMSTART
	v_cvt_f32_f16 v32, v26;
	;;#ASMEND
	v_lshrrev_b32_e32 v26, 16, v29
	v_and_b32_e32 v29, 0xffff, v29
	;;#ASMSTART
	v_cvt_f32_f16 v31, v31;
	;;#ASMEND
	;;#ASMSTART
	v_cvt_f32_f16 v29, v29;
	;;#ASMEND
	;;#ASMSTART
	v_cvt_f32_f16 v33, v26;
	;;#ASMEND
	v_lshrrev_b32_e32 v26, 16, v27
	v_and_b32_e32 v27, 0xffff, v27
	v_fmac_f32_e32 v61, v35, v37
	;;#ASMSTART
	v_cvt_f32_f16 v34, v27;
	;;#ASMEND
	;;#ASMSTART
	v_cvt_f32_f16 v35, v26;
	;;#ASMEND
	ds_read_b64 v[26:27], v73 offset:184
	v_fmac_f32_e32 v58, v28, v32
	v_fmac_f32_e32 v60, v29, v34
	v_lshrrev_b32_e32 v29, 16, v24
	v_and_b32_e32 v24, 0xffff, v24
	s_waitcnt lgkmcnt(0)
	v_lshrrev_b32_e32 v28, 16, v26
	v_and_b32_e32 v26, 0xffff, v26
	v_fmac_f32_e32 v59, v30, v31
	;;#ASMSTART
	v_cvt_f32_f16 v26, v26;
	;;#ASMEND
	;;#ASMSTART
	v_cvt_f32_f16 v28, v28;
	;;#ASMEND
	;;#ASMSTART
	v_cvt_f32_f16 v30, v24;
	;;#ASMEND
	v_lshrrev_b32_e32 v24, 16, v27
	v_and_b32_e32 v27, 0xffff, v27
	;;#ASMSTART
	v_cvt_f32_f16 v29, v29;
	;;#ASMEND
	;;#ASMSTART
	v_cvt_f32_f16 v27, v27;
	;;#ASMEND
	;;#ASMSTART
	v_cvt_f32_f16 v31, v24;
	;;#ASMEND
	v_lshrrev_b32_e32 v24, 16, v25
	v_and_b32_e32 v25, 0xffff, v25
	v_fmac_f32_e32 v61, v33, v35
	;;#ASMSTART
	v_cvt_f32_f16 v32, v25;
	;;#ASMEND
	;;#ASMSTART
	v_cvt_f32_f16 v33, v24;
	;;#ASMEND
	ds_read_b64 v[24:25], v73 offset:192
	v_fmac_f32_e32 v58, v26, v30
	v_fmac_f32_e32 v60, v27, v32
	v_lshrrev_b32_e32 v27, 16, v22
	v_and_b32_e32 v22, 0xffff, v22
	s_waitcnt lgkmcnt(0)
	v_lshrrev_b32_e32 v26, 16, v24
	v_and_b32_e32 v24, 0xffff, v24
	v_fmac_f32_e32 v59, v28, v29
	;;#ASMSTART
	v_cvt_f32_f16 v24, v24;
	;;#ASMEND
	;;#ASMSTART
	v_cvt_f32_f16 v26, v26;
	;;#ASMEND
	;;#ASMSTART
	v_cvt_f32_f16 v28, v22;
	;;#ASMEND
	v_lshrrev_b32_e32 v22, 16, v25
	v_and_b32_e32 v25, 0xffff, v25
	;;#ASMSTART
	v_cvt_f32_f16 v27, v27;
	;;#ASMEND
	;;#ASMSTART
	v_cvt_f32_f16 v25, v25;
	;;#ASMEND
	;;#ASMSTART
	v_cvt_f32_f16 v29, v22;
	;;#ASMEND
	v_lshrrev_b32_e32 v22, 16, v23
	v_and_b32_e32 v23, 0xffff, v23
	v_fmac_f32_e32 v61, v31, v33
	;;#ASMSTART
	v_cvt_f32_f16 v30, v23;
	;;#ASMEND
	;;#ASMSTART
	v_cvt_f32_f16 v31, v22;
	;;#ASMEND
	ds_read_b64 v[22:23], v73 offset:200
	v_fmac_f32_e32 v58, v24, v28
	v_fmac_f32_e32 v60, v25, v30
	v_lshrrev_b32_e32 v25, 16, v20
	v_and_b32_e32 v20, 0xffff, v20
	s_waitcnt lgkmcnt(0)
	v_lshrrev_b32_e32 v24, 16, v22
	v_and_b32_e32 v22, 0xffff, v22
	v_fmac_f32_e32 v59, v26, v27
	;;#ASMSTART
	v_cvt_f32_f16 v22, v22;
	;;#ASMEND
	;;#ASMSTART
	v_cvt_f32_f16 v24, v24;
	;;#ASMEND
	;;#ASMSTART
	v_cvt_f32_f16 v26, v20;
	;;#ASMEND
	v_lshrrev_b32_e32 v20, 16, v23
	v_and_b32_e32 v23, 0xffff, v23
	;;#ASMSTART
	v_cvt_f32_f16 v25, v25;
	;;#ASMEND
	;;#ASMSTART
	v_cvt_f32_f16 v23, v23;
	;;#ASMEND
	;;#ASMSTART
	v_cvt_f32_f16 v27, v20;
	;;#ASMEND
	v_lshrrev_b32_e32 v20, 16, v21
	v_and_b32_e32 v21, 0xffff, v21
	v_fmac_f32_e32 v61, v29, v31
	;;#ASMSTART
	v_cvt_f32_f16 v28, v21;
	;;#ASMEND
	;;#ASMSTART
	v_cvt_f32_f16 v29, v20;
	;;#ASMEND
	ds_read_b64 v[20:21], v73 offset:208
	v_fmac_f32_e32 v58, v22, v26
	v_fmac_f32_e32 v60, v23, v28
	v_lshrrev_b32_e32 v23, 16, v18
	v_and_b32_e32 v18, 0xffff, v18
	s_waitcnt lgkmcnt(0)
	v_lshrrev_b32_e32 v22, 16, v20
	v_and_b32_e32 v20, 0xffff, v20
	v_fmac_f32_e32 v59, v24, v25
	;;#ASMSTART
	v_cvt_f32_f16 v20, v20;
	;;#ASMEND
	;;#ASMSTART
	v_cvt_f32_f16 v22, v22;
	;;#ASMEND
	;;#ASMSTART
	v_cvt_f32_f16 v24, v18;
	;;#ASMEND
	v_lshrrev_b32_e32 v18, 16, v21
	v_and_b32_e32 v21, 0xffff, v21
	;;#ASMSTART
	v_cvt_f32_f16 v23, v23;
	;;#ASMEND
	;;#ASMSTART
	v_cvt_f32_f16 v21, v21;
	;;#ASMEND
	;;#ASMSTART
	v_cvt_f32_f16 v25, v18;
	;;#ASMEND
	v_lshrrev_b32_e32 v18, 16, v19
	v_and_b32_e32 v19, 0xffff, v19
	v_fmac_f32_e32 v61, v27, v29
	;;#ASMSTART
	v_cvt_f32_f16 v26, v19;
	;;#ASMEND
	;;#ASMSTART
	v_cvt_f32_f16 v27, v18;
	;;#ASMEND
	ds_read_b64 v[18:19], v73 offset:216
	v_fmac_f32_e32 v58, v20, v24
	v_fmac_f32_e32 v60, v21, v26
	v_lshrrev_b32_e32 v21, 16, v16
	v_and_b32_e32 v16, 0xffff, v16
	s_waitcnt lgkmcnt(0)
	v_lshrrev_b32_e32 v20, 16, v18
	v_and_b32_e32 v18, 0xffff, v18
	v_fmac_f32_e32 v59, v22, v23
	;;#ASMSTART
	v_cvt_f32_f16 v18, v18;
	;;#ASMEND
	;;#ASMSTART
	v_cvt_f32_f16 v20, v20;
	;;#ASMEND
	;;#ASMSTART
	v_cvt_f32_f16 v22, v16;
	;;#ASMEND
	v_lshrrev_b32_e32 v16, 16, v19
	v_and_b32_e32 v19, 0xffff, v19
	;;#ASMSTART
	v_cvt_f32_f16 v21, v21;
	;;#ASMEND
	;;#ASMSTART
	v_cvt_f32_f16 v19, v19;
	;;#ASMEND
	;;#ASMSTART
	v_cvt_f32_f16 v23, v16;
	;;#ASMEND
	v_lshrrev_b32_e32 v16, 16, v17
	v_and_b32_e32 v17, 0xffff, v17
	v_fmac_f32_e32 v61, v25, v27
	;;#ASMSTART
	v_cvt_f32_f16 v24, v17;
	;;#ASMEND
	;;#ASMSTART
	v_cvt_f32_f16 v25, v16;
	;;#ASMEND
	ds_read_b64 v[16:17], v73 offset:224
	v_fmac_f32_e32 v58, v18, v22
	v_fmac_f32_e32 v60, v19, v24
	v_lshrrev_b32_e32 v19, 16, v14
	v_and_b32_e32 v14, 0xffff, v14
	s_waitcnt lgkmcnt(0)
	v_lshrrev_b32_e32 v18, 16, v16
	v_and_b32_e32 v16, 0xffff, v16
	v_fmac_f32_e32 v59, v20, v21
	;;#ASMSTART
	v_cvt_f32_f16 v16, v16;
	;;#ASMEND
	;;#ASMSTART
	v_cvt_f32_f16 v18, v18;
	;;#ASMEND
	;;#ASMSTART
	v_cvt_f32_f16 v20, v14;
	;;#ASMEND
	v_lshrrev_b32_e32 v14, 16, v17
	v_and_b32_e32 v17, 0xffff, v17
	;;#ASMSTART
	v_cvt_f32_f16 v19, v19;
	;;#ASMEND
	;;#ASMSTART
	v_cvt_f32_f16 v17, v17;
	;;#ASMEND
	;;#ASMSTART
	v_cvt_f32_f16 v21, v14;
	;;#ASMEND
	v_lshrrev_b32_e32 v14, 16, v15
	v_and_b32_e32 v15, 0xffff, v15
	v_fmac_f32_e32 v61, v23, v25
	;;#ASMSTART
	v_cvt_f32_f16 v22, v15;
	;;#ASMEND
	;;#ASMSTART
	v_cvt_f32_f16 v23, v14;
	;;#ASMEND
	ds_read_b64 v[14:15], v73 offset:232
	v_fmac_f32_e32 v58, v16, v20
	v_fmac_f32_e32 v60, v17, v22
	v_lshrrev_b32_e32 v17, 16, v12
	v_and_b32_e32 v12, 0xffff, v12
	s_waitcnt lgkmcnt(0)
	v_lshrrev_b32_e32 v16, 16, v14
	v_and_b32_e32 v14, 0xffff, v14
	v_fmac_f32_e32 v59, v18, v19
	;;#ASMSTART
	v_cvt_f32_f16 v14, v14;
	;;#ASMEND
	;;#ASMSTART
	v_cvt_f32_f16 v16, v16;
	;;#ASMEND
	;;#ASMSTART
	v_cvt_f32_f16 v18, v12;
	;;#ASMEND
	v_lshrrev_b32_e32 v12, 16, v15
	v_and_b32_e32 v15, 0xffff, v15
	;;#ASMSTART
	v_cvt_f32_f16 v17, v17;
	;;#ASMEND
	;;#ASMSTART
	v_cvt_f32_f16 v15, v15;
	;;#ASMEND
	;;#ASMSTART
	v_cvt_f32_f16 v19, v12;
	;;#ASMEND
	v_lshrrev_b32_e32 v12, 16, v13
	v_and_b32_e32 v13, 0xffff, v13
	v_fmac_f32_e32 v61, v21, v23
	;;#ASMSTART
	v_cvt_f32_f16 v20, v13;
	;;#ASMEND
	;;#ASMSTART
	v_cvt_f32_f16 v21, v12;
	;;#ASMEND
	ds_read_b64 v[12:13], v73 offset:240
	v_fmac_f32_e32 v58, v14, v18
	v_fmac_f32_e32 v60, v15, v20
	v_lshrrev_b32_e32 v15, 16, v10
	v_and_b32_e32 v10, 0xffff, v10
	s_waitcnt lgkmcnt(0)
	v_lshrrev_b32_e32 v14, 16, v12
	v_and_b32_e32 v12, 0xffff, v12
	v_fmac_f32_e32 v59, v16, v17
	;;#ASMSTART
	v_cvt_f32_f16 v12, v12;
	;;#ASMEND
	;;#ASMSTART
	v_cvt_f32_f16 v14, v14;
	;;#ASMEND
	;;#ASMSTART
	v_cvt_f32_f16 v16, v10;
	;;#ASMEND
	v_lshrrev_b32_e32 v10, 16, v13
	v_and_b32_e32 v13, 0xffff, v13
	;;#ASMSTART
	v_cvt_f32_f16 v15, v15;
	;;#ASMEND
	;;#ASMSTART
	v_cvt_f32_f16 v13, v13;
	;;#ASMEND
	;;#ASMSTART
	v_cvt_f32_f16 v17, v10;
	;;#ASMEND
	v_lshrrev_b32_e32 v10, 16, v11
	v_and_b32_e32 v11, 0xffff, v11
	v_fmac_f32_e32 v61, v19, v21
	;;#ASMSTART
	v_cvt_f32_f16 v18, v11;
	;;#ASMEND
	;;#ASMSTART
	v_cvt_f32_f16 v19, v10;
	;;#ASMEND
	ds_read_b64 v[10:11], v73 offset:248
	v_fmac_f32_e32 v58, v12, v16
	v_fmac_f32_e32 v60, v13, v18
	s_waitcnt vmcnt(0)
	v_lshrrev_b32_e32 v13, 16, v8
	v_and_b32_e32 v8, 0xffff, v8
	s_waitcnt lgkmcnt(0)
	v_lshrrev_b32_e32 v12, 16, v10
	v_and_b32_e32 v10, 0xffff, v10
	;;#ASMSTART
	v_cvt_f32_f16 v10, v10;
	;;#ASMEND
	;;#ASMSTART
	v_cvt_f32_f16 v12, v12;
	;;#ASMEND
	;; [unrolled: 3-line block ×3, first 2 shown]
	v_fmac_f32_e32 v59, v14, v15
	v_fmac_f32_e32 v58, v10, v8
	v_lshrrev_b32_e32 v8, 16, v11
	v_and_b32_e32 v10, 0xffff, v11
	v_fmac_f32_e32 v61, v17, v19
	;;#ASMSTART
	v_cvt_f32_f16 v13, v13;
	;;#ASMEND
	;;#ASMSTART
	v_cvt_f32_f16 v10, v10;
	;;#ASMEND
	;; [unrolled: 3-line block ×3, first 2 shown]
	v_lshrrev_b32_e32 v11, 16, v9
	v_fmac_f32_e32 v59, v12, v13
	v_and_b32_e32 v9, 0xffff, v9
	;;#ASMSTART
	v_cvt_f32_f16 v9, v9;
	;;#ASMEND
	;;#ASMSTART
	v_cvt_f32_f16 v11, v11;
	;;#ASMEND
	v_cmp_lt_i32_e64 s[0:1], v76, v72
	v_fmac_f32_e32 v60, v10, v9
	v_fmac_f32_e32 v61, v8, v11
	v_add_f32_e32 v8, v58, v59
	v_add_f32_e32 v8, v8, v60
	v_cndmask_b32_e64 v9, v71, v76, s[0:1]
	v_add_f32_e32 v8, v61, v8
	v_lshlrev_b32_e32 v9, 2, v9
	ds_bpermute_b32 v9, v9, v8
	s_and_saveexec_b64 s[40:41], vcc
	s_cbranch_execz .LBB125_9
; %bb.11:                               ;   in Loop: Header=BB125_10 Depth=1
	v_add_u32_e32 v10, s19, v74
	v_cvt_f32_i32_e32 v10, v10
	s_waitcnt lgkmcnt(0)
	v_add_f32_e32 v8, v8, v9
	v_cmp_gt_i32_e64 s[0:1], s27, v74
	v_max_f32_e32 v9, v1, v1
	v_mul_f32_e32 v10, s12, v10
	v_cndmask_b32_e64 v10, 0, v10, s[8:9]
	v_fmac_f32_e32 v10, s13, v8
	v_cndmask_b32_e64 v8, 0, v10, s[0:1]
	ds_write_b32 v75, v8
	v_max_f32_e32 v8, v9, v10
	v_cndmask_b32_e64 v1, v1, v8, s[0:1]
	s_branch .LBB125_9
.LBB125_12:
	s_or_b64 exec, exec, s[38:39]
.LBB125_13:
	s_or_b64 exec, exec, s[36:37]
	v_xor_b32_e32 v2, 32, v71
	v_cmp_lt_i32_e32 vcc, v2, v72
	v_xor_b32_e32 v4, 16, v71
	v_xor_b32_e32 v5, 8, v71
	v_cndmask_b32_e32 v2, v71, v2, vcc
	v_lshlrev_b32_e32 v2, 2, v2
	ds_bpermute_b32 v3, v2, v1
	v_max_f32_e32 v1, v1, v1
	v_cmp_lt_i32_e32 vcc, v4, v72
	v_xor_b32_e32 v8, 4, v71
	s_waitcnt lgkmcnt(0)
	v_xor_b32_e32 v9, 2, v71
	v_max_f32_e32 v3, v3, v3
	v_max_f32_e32 v1, v1, v3
	v_cndmask_b32_e32 v3, v71, v4, vcc
	v_lshlrev_b32_e32 v3, 2, v3
	ds_bpermute_b32 v4, v3, v1
	v_cmp_lt_i32_e32 vcc, v5, v72
	s_waitcnt lgkmcnt(0)
	v_max_f32_e32 v4, v4, v4
	v_max_f32_e32 v1, v1, v4
	v_cndmask_b32_e32 v4, v71, v5, vcc
	v_lshlrev_b32_e32 v5, 2, v4
	ds_bpermute_b32 v4, v5, v1
	v_cmp_lt_i32_e32 vcc, v8, v72
	s_waitcnt lgkmcnt(0)
	;; [unrolled: 7-line block ×3, first 2 shown]
	v_max_f32_e32 v4, v4, v4
	v_max_f32_e32 v4, v1, v4
	v_cndmask_b32_e32 v1, v71, v9, vcc
	v_lshlrev_b32_e32 v56, 2, v1
	ds_bpermute_b32 v10, v56, v4
	v_and_b32_e32 v1, 63, v0
	v_cmp_eq_u32_e32 vcc, 0, v1
	v_lshlrev_b32_e32 v9, 2, v69
	s_and_saveexec_b64 s[0:1], vcc
	s_cbranch_execz .LBB125_15
; %bb.14:
	s_waitcnt lgkmcnt(0)
	v_max_f32_e32 v10, v10, v10
	v_max_f32_e32 v4, v4, v4
	;; [unrolled: 1-line block ×3, first 2 shown]
	ds_write_b32 v9, v4 offset:512
.LBB125_15:
	s_or_b64 exec, exec, s[0:1]
	v_cmp_gt_u32_e64 s[0:1], 2, v1
	v_mov_b32_e32 v4, 0xff7fffff
	s_waitcnt lgkmcnt(0)
	v_lshlrev_b32_e32 v10, 2, v1
	s_barrier
	s_and_saveexec_b64 s[8:9], s[0:1]
	s_cbranch_execz .LBB125_17
; %bb.16:
	ds_read_b32 v4, v10 offset:512
.LBB125_17:
	s_or_b64 exec, exec, s[8:9]
	v_xor_b32_e32 v11, 1, v71
	v_cmp_lt_i32_e64 s[8:9], v11, v72
	s_sub_i32 s3, s33, s3
	s_lshl_b32 s3, s3, 5
	v_cndmask_b32_e64 v11, v71, v11, s[8:9]
	v_lshlrev_b32_e32 v57, 2, v11
	s_waitcnt lgkmcnt(0)
	ds_bpermute_b32 v11, v57, v4
	v_max_f32_e32 v4, v4, v4
	s_add_i32 s3, s3, s42
	s_min_i32 s19, s3, s27
	s_sub_i32 s3, s19, s42
	s_waitcnt lgkmcnt(0)
	v_max_f32_e32 v11, v11, v11
	v_max_f32_e32 v4, v4, v11
	v_lshlrev_b32_e32 v11, 2, v71
	v_and_b32_e32 v11, 0xffffff00, v11
	ds_bpermute_b32 v4, v11, v4
	v_cmp_gt_i32_e64 s[8:9], s3, v0
	v_mov_b32_e32 v12, 0
	s_and_saveexec_b64 s[36:37], s[8:9]
	s_cbranch_execz .LBB125_21
; %bb.18:
	v_mov_b32_e32 v12, 0x210
	v_lshl_add_u32 v13, v0, 2, v12
	s_mov_b64 s[38:39], 0
	v_mov_b32_e32 v12, 0
	v_mov_b32_e32 v14, v0
.LBB125_19:                             ; =>This Inner Loop Header: Depth=1
	ds_read_b32 v15, v13
	v_add_u32_e32 v14, 0x80, v14
	v_cmp_le_i32_e64 s[12:13], s3, v14
	s_or_b64 s[38:39], s[12:13], s[38:39]
	s_waitcnt lgkmcnt(0)
	v_sub_f32_e32 v15, v15, v4
	v_mul_f32_e32 v15, 0x3fb8aa3b, v15
	v_exp_f32_e32 v15, v15
	ds_write_b32 v13, v15
	v_add_f32_e32 v12, v12, v15
	v_add_u32_e32 v13, 0x200, v13
	s_andn2_b64 exec, exec, s[38:39]
	s_cbranch_execnz .LBB125_19
; %bb.20:
	s_or_b64 exec, exec, s[38:39]
.LBB125_21:
	s_or_b64 exec, exec, s[36:37]
	ds_bpermute_b32 v2, v2, v12
	s_waitcnt lgkmcnt(0)
	v_add_f32_e32 v2, v12, v2
	ds_bpermute_b32 v3, v3, v2
	s_waitcnt lgkmcnt(0)
	v_add_f32_e32 v2, v2, v3
	;; [unrolled: 3-line block ×6, first 2 shown]
	s_and_saveexec_b64 s[12:13], vcc
	s_cbranch_execz .LBB125_23
; %bb.22:
	ds_write_b32 v9, v2 offset:520
.LBB125_23:
	s_or_b64 exec, exec, s[12:13]
	s_waitcnt lgkmcnt(0)
	s_barrier
	s_and_saveexec_b64 s[12:13], s[0:1]
	s_cbranch_execz .LBB125_25
; %bb.24:
	ds_read_b32 v2, v10 offset:520
.LBB125_25:
	s_or_b64 exec, exec, s[12:13]
	s_waitcnt lgkmcnt(0)
	ds_bpermute_b32 v3, v57, v2
	s_waitcnt lgkmcnt(0)
	v_add_f32_e32 v2, v2, v3
	ds_bpermute_b32 v5, v11, v2
	s_and_saveexec_b64 s[0:1], s[8:9]
	s_cbranch_execz .LBB125_38
; %bb.26:
	s_waitcnt lgkmcnt(0)
	v_add_f32_e32 v2, 0x358637bd, v5
	v_div_scale_f32 v3, s[8:9], v2, v2, 1.0
	v_rcp_f32_e32 v8, v3
	v_div_scale_f32 v9, vcc, 1.0, v2, 1.0
	s_movk_i32 s8, 0x7f
	v_fma_f32 v10, -v3, v8, 1.0
	v_fmac_f32_e32 v8, v10, v8
	v_mul_f32_e32 v10, v9, v8
	v_fma_f32 v11, -v3, v10, v9
	v_fmac_f32_e32 v10, v11, v8
	v_fma_f32 v3, -v3, v10, v9
	v_div_fmas_f32 v3, v3, v8, v10
	v_div_fixup_f32 v2, v3, v2, 1.0
	v_xad_u32 v3, v0, -1, s19
	v_subrev_u32_e32 v8, s42, v3
	v_cmp_lt_u32_e32 vcc, s8, v8
	s_mov_b64 s[12:13], -1
	v_mov_b32_e32 v3, v0
	s_and_saveexec_b64 s[8:9], vcc
	s_cbranch_execz .LBB125_35
; %bb.27:
	v_lshrrev_b32_e32 v8, 7, v8
	v_add_u32_e32 v10, -1, v8
	v_lshrrev_b32_e32 v9, 1, v10
	v_mov_b32_e32 v3, v2
	v_add_u32_e32 v9, 1, v9
	v_cmp_lt_u32_e32 vcc, 13, v10
	v_mov_b32_e32 v12, 0
	s_and_saveexec_b64 s[12:13], vcc
	s_cbranch_execz .LBB125_31
; %bb.28:
	v_mov_b32_e32 v11, 0x210
	v_and_b32_e32 v10, -8, v9
	v_lshl_add_u32 v11, v0, 2, v11
	s_mov_b32 s19, 0
	s_mov_b64 s[36:37], 0
.LBB125_29:                             ; =>This Inner Loop Header: Depth=1
	ds_read2st64_b32 v[12:13], v11 offset1:2
	ds_read2st64_b32 v[14:15], v11 offset0:4 offset1:6
	ds_read2st64_b32 v[16:17], v11 offset0:8 offset1:10
	;; [unrolled: 1-line block ×3, first 2 shown]
	v_add_u32_e32 v10, -8, v10
	s_waitcnt lgkmcnt(3)
	v_pk_mul_f32 v[12:13], v[2:3], v[12:13]
	s_waitcnt lgkmcnt(2)
	v_pk_mul_f32 v[14:15], v[2:3], v[14:15]
	ds_write2st64_b32 v11, v12, v13 offset1:2
	ds_write2st64_b32 v11, v14, v15 offset0:4 offset1:6
	ds_read2st64_b32 v[14:15], v11 offset0:16 offset1:18
	s_waitcnt lgkmcnt(4)
	v_pk_mul_f32 v[12:13], v[2:3], v[16:17]
	ds_write2st64_b32 v11, v12, v13 offset0:8 offset1:10
	s_waitcnt lgkmcnt(4)
	v_pk_mul_f32 v[12:13], v[2:3], v[18:19]
	ds_write2st64_b32 v11, v12, v13 offset0:12 offset1:14
	ds_read2st64_b32 v[12:13], v11 offset0:20 offset1:22
	s_waitcnt lgkmcnt(3)
	v_pk_mul_f32 v[14:15], v[2:3], v[14:15]
	ds_read2st64_b32 v[16:17], v11 offset0:24 offset1:26
	ds_write2st64_b32 v11, v14, v15 offset0:16 offset1:18
	ds_read2st64_b32 v[14:15], v11 offset0:28 offset1:30
	s_waitcnt lgkmcnt(3)
	v_pk_mul_f32 v[12:13], v[2:3], v[12:13]
	ds_write2st64_b32 v11, v12, v13 offset0:20 offset1:22
	s_waitcnt lgkmcnt(3)
	v_pk_mul_f32 v[12:13], v[2:3], v[16:17]
	ds_write2st64_b32 v11, v12, v13 offset0:24 offset1:26
	s_waitcnt lgkmcnt(2)
	v_pk_mul_f32 v[12:13], v[2:3], v[14:15]
	s_add_i32 s19, s19, 16
	v_cmp_eq_u32_e32 vcc, 0, v10
	ds_write2st64_b32 v11, v12, v13 offset0:28 offset1:30
	v_add_u32_e32 v11, 0x2000, v11
	s_or_b64 s[36:37], vcc, s[36:37]
	v_mov_b32_e32 v12, s19
	s_andn2_b64 exec, exec, s[36:37]
	s_cbranch_execnz .LBB125_29
; %bb.30:
	s_or_b64 exec, exec, s[36:37]
.LBB125_31:
	s_or_b64 exec, exec, s[12:13]
	v_and_b32_e32 v9, 7, v9
	v_cmp_ne_u32_e32 vcc, 0, v9
	s_and_saveexec_b64 s[12:13], vcc
	s_cbranch_execz .LBB125_34
; %bb.32:
	v_lshlrev_b32_e32 v10, 9, v12
	v_lshlrev_b32_e32 v11, 2, v0
	s_movk_i32 s19, 0x210
	v_add3_u32 v10, v10, v11, s19
	s_mov_b64 s[36:37], 0
.LBB125_33:                             ; =>This Inner Loop Header: Depth=1
	ds_read2st64_b32 v[12:13], v10 offset1:2
	v_add_u32_e32 v9, -1, v9
	v_cmp_eq_u32_e32 vcc, 0, v9
	s_or_b64 s[36:37], vcc, s[36:37]
	s_waitcnt lgkmcnt(0)
	v_pk_mul_f32 v[12:13], v[2:3], v[12:13]
	ds_write2st64_b32 v10, v12, v13 offset1:2
	v_add_u32_e32 v10, 0x400, v10
	s_andn2_b64 exec, exec, s[36:37]
	s_cbranch_execnz .LBB125_33
.LBB125_34:
	s_or_b64 exec, exec, s[12:13]
	v_add_u32_e32 v8, 1, v8
	v_and_b32_e32 v9, 0x3fffffe, v8
	v_cmp_ne_u32_e32 vcc, v8, v9
	v_lshl_add_u32 v3, v9, 7, v0
	s_orn2_b64 s[12:13], vcc, exec
.LBB125_35:
	s_or_b64 exec, exec, s[8:9]
	s_and_b64 exec, exec, s[12:13]
	s_cbranch_execz .LBB125_38
; %bb.36:
	v_mov_b32_e32 v8, 0x210
	v_lshl_add_u32 v8, v3, 2, v8
	s_mov_b64 s[8:9], 0
.LBB125_37:                             ; =>This Inner Loop Header: Depth=1
	ds_read_b32 v9, v8
	v_add_u32_e32 v3, 0x80, v3
	v_cmp_le_i32_e32 vcc, s3, v3
	s_or_b64 s[8:9], vcc, s[8:9]
	s_waitcnt lgkmcnt(0)
	v_mul_f32_e32 v9, v2, v9
	ds_write_b32 v8, v9
	v_add_u32_e32 v8, 0x200, v8
	s_andn2_b64 exec, exec, s[8:9]
	s_cbranch_execnz .LBB125_37
.LBB125_38:
	s_or_b64 exec, exec, s[0:1]
	s_mul_i32 s0, s15, s26
	v_cmp_eq_u32_e32 vcc, 0, v0
	s_mul_i32 s8, s0, s5
	s_waitcnt lgkmcnt(0)
	s_barrier
	s_and_saveexec_b64 s[0:1], vcc
	s_cbranch_execz .LBB125_40
; %bb.39:
	s_ashr_i32 s9, s8, 31
	s_lshl_b64 s[12:13], s[8:9], 2
	s_add_u32 s5, s22, s12
	s_mul_i32 s2, s15, s2
	s_addc_u32 s9, s23, s13
	s_ashr_i32 s3, s2, 31
	s_lshl_b64 s[2:3], s[2:3], 2
	s_add_u32 s19, s5, s2
	s_addc_u32 s9, s9, s3
	s_ashr_i32 s5, s4, 31
	s_lshl_b64 s[22:23], s[4:5], 2
	s_add_u32 s36, s19, s22
	s_addc_u32 s37, s9, s23
	s_add_u32 s5, s20, s12
	s_addc_u32 s9, s21, s13
	;; [unrolled: 2-line block ×3, first 2 shown]
	s_add_u32 s2, s2, s22
	v_mov_b32_e32 v2, 0
	s_addc_u32 s3, s3, s23
	global_store_dword v2, v4, s[36:37]
	global_store_dword v2, v5, s[2:3]
.LBB125_40:
	s_or_b64 exec, exec, s[0:1]
	v_mov_b32_e32 v24, 0
	v_and_b32_e32 v58, 3, v0
	v_mov_b32_e32 v25, 0
	v_mov_b32_e32 v20, 0
	v_mov_b32_e32 v21, 0
	v_mov_b32_e32 v18, 0
	v_mov_b32_e32 v19, 0
	v_mov_b32_e32 v16, 0
	v_mov_b32_e32 v17, 0
	v_mov_b32_e32 v14, 0
	v_mov_b32_e32 v15, 0
	v_mov_b32_e32 v12, 0
	v_mov_b32_e32 v13, 0
	v_mov_b32_e32 v10, 0
	v_mov_b32_e32 v11, 0
	v_mov_b32_e32 v8, 0
	v_mov_b32_e32 v9, 0
	s_and_saveexec_b64 s[2:3], s[6:7]
	s_cbranch_execz .LBB125_76
; %bb.41:
	s_ashr_i32 s19, s18, 31
	s_lshl_b64 s[0:1], s[18:19], 1
	s_add_u32 s6, s34, s0
	v_and_b32_e32 v3, 24, v68
	s_addc_u32 s7, s35, s1
	s_add_i32 s9, s16, -1
	s_lshl_b64 s[0:1], s[30:31], 2
	v_and_b32_e32 v2, 0x1f8, v68
	v_add3_u32 v59, s42, v70, v3
	v_lshlrev_b32_e32 v3, 5, v58
	s_add_u32 s0, s28, s0
	v_mov_b32_e32 v23, 0
	v_or_b32_e32 v4, 0x800, v2
	v_or_b32_e32 v8, 0xa00, v2
	;; [unrolled: 1-line block ×12, first 2 shown]
	v_lshl_or_b32 v3, v69, 7, v3
	s_addc_u32 s1, s29, s1
	s_mov_b32 s5, s17
	s_mov_b32 s18, s27
	;; [unrolled: 1-line block ×8, first 2 shown]
	v_add_u32_e32 v60, 0x210, v3
	v_lshl_add_u64 v[26:27], v[6:7], 2, s[0:1]
	s_mov_b64 s[12:13], 0
	v_lshlrev_b32_e32 v28, 1, v2
	s_mov_b32 s28, 0x5040100
	v_lshlrev_b32_e32 v22, 1, v4
	v_lshlrev_b32_e32 v30, 1, v8
	;; [unrolled: 1-line block ×12, first 2 shown]
	v_mov_b32_e32 v29, v23
	v_mov_b32_e32 v9, v23
	;; [unrolled: 1-line block ×17, first 2 shown]
	s_branch .LBB125_43
.LBB125_42:                             ;   in Loop: Header=BB125_43 Depth=1
	s_or_b64 exec, exec, s[0:1]
	v_add_f32_e32 v7, v49, v88
	v_add_f32_e32 v8, v8, v7
	;; [unrolled: 1-line block ×17, first 2 shown]
	s_waitcnt vmcnt(0)
	;;#ASMSTART
	v_pk_mul_f16 v2, v66, v2;

	;;#ASMEND
	v_add_f32_e32 v16, v16, v7
	v_add_f32_e32 v7, v31, v79
	;;#ASMSTART
	v_pk_mul_f16 v3, v65, v3;

	;;#ASMEND
	;;#ASMSTART
	v_pk_mul_f16 v4, v64, v4;

	;;#ASMEND
	;; [unrolled: 4-line block ×3, first 2 shown]
	v_add_f32_e32 v19, v19, v7
	;;#ASMSTART
	v_pk_add_f16 v2, v2, v3;

	;;#ASMEND
	v_add_f32_e32 v7, v77, v78
	;;#ASMSTART
	v_pk_add_f16 v2, v2, v4;

	;;#ASMEND
	v_add_f32_e32 v18, v18, v7
	v_add_f32_e32 v7, v54, v55
	;;#ASMSTART
	v_pk_add_f16 v2, v2, v5;

	;;#ASMEND
	v_add_f32_e32 v21, v21, v7
	v_add_f32_e32 v7, v75, v76
	v_lshrrev_b32_e32 v3, 16, v2
	v_and_b32_e32 v2, 0xffff, v2
	v_add_f32_e32 v20, v20, v7
	v_add_f32_e32 v7, v73, v74
	;;#ASMSTART
	v_cvt_f32_f16 v2, v2;
	;;#ASMEND
	v_add_u32_e32 v6, 2, v6
	v_add_f32_e32 v25, v25, v7
	v_add_f32_e32 v7, v71, v72
	;;#ASMSTART
	v_cvt_f32_f16 v3, v3;
	;;#ASMEND
	v_cmp_le_i32_e32 vcc, s33, v6
	v_add_f32_e32 v2, v2, v3
	v_add_f32_e32 v24, v24, v7
	;; [unrolled: 1-line block ×3, first 2 shown]
	v_add_u32_e32 v59, 64, v59
	v_add_u32_e32 v60, 0x100, v60
	s_or_b64 s[12:13], vcc, s[12:13]
	v_lshl_add_u64 v[26:27], v[26:27], 0, 8
	s_andn2_b64 exec, exec, s[12:13]
	s_cbranch_execz .LBB125_75
.LBB125_43:                             ; =>This Inner Loop Header: Depth=1
	global_load_dword v7, v[26:27], off
	ds_read2_b64 v[2:5], v60 offset1:1
	ds_read2_b64 v[52:55], v60 offset0:2 offset1:3
	v_cmp_eq_u32_e32 vcc, s9, v6
	v_or_b32_e32 v63, 3, v59
	s_waitcnt lgkmcnt(1)
	;;#ASMSTART
	v_cvt_f16_f32 v31, v2;

	;;#ASMEND
	;;#ASMSTART
	v_cvt_f16_f32 v33, v3;

	;;#ASMEND
	;; [unrolled: 4-line block ×4, first 2 shown]
	s_waitcnt lgkmcnt(0)
	;;#ASMSTART
	v_cvt_f16_f32 v39, v52;

	;;#ASMEND
	;;#ASMSTART
	v_cvt_f16_f32 v41, v53;

	;;#ASMEND
	;; [unrolled: 4-line block ×4, first 2 shown]
	v_or_b32_e32 v61, 2, v59
	v_or_b32_e32 v68, 5, v59
	;; [unrolled: 1-line block ×5, first 2 shown]
	s_waitcnt vmcnt(0)
	v_mad_i64_i32 v[2:3], s[0:1], v7, s5, 0
	v_lshl_add_u64 v[52:53], v[2:3], 1, s[6:7]
	v_lshl_add_u64 v[54:55], v[52:53], 0, v[28:29]
	global_load_dwordx4 v[2:5], v[54:55], off
	v_add_u32_e32 v7, 1, v59
	s_and_saveexec_b64 s[16:17], vcc
	s_cbranch_execz .LBB125_45
; %bb.44:                               ;   in Loop: Header=BB125_43 Depth=1
	s_waitcnt vmcnt(0)
	v_lshrrev_b32_e32 v47, 16, v5
	v_cmp_gt_i32_e64 s[0:1], s26, v70
	s_nop 1
	v_cndmask_b32_e64 v47, 0, v47, s[0:1]
	v_cmp_gt_i32_e64 s[0:1], s23, v69
	s_nop 1
	v_cndmask_b32_e64 v5, 0, v5, s[0:1]
	v_perm_b32 v5, v47, v5, s28
	v_lshrrev_b32_e32 v47, 16, v4
	v_cmp_gt_i32_e64 s[0:1], s22, v68
	s_nop 1
	v_cndmask_b32_e64 v47, 0, v47, s[0:1]
	v_cmp_gt_i32_e64 s[0:1], s21, v67
	s_nop 1
	v_cndmask_b32_e64 v4, 0, v4, s[0:1]
	v_perm_b32 v4, v47, v4, s28
	;; [unrolled: 8-line block ×4, first 2 shown]
.LBB125_45:                             ;   in Loop: Header=BB125_43 Depth=1
	s_or_b64 exec, exec, s[16:17]
	v_and_b32_e32 v31, 0xffff, v31
	v_lshl_or_b32 v66, v33, 16, v31
	v_and_b32_e32 v31, 0xffff, v35
	v_lshl_or_b32 v65, v37, 16, v31
	;; [unrolled: 2-line block ×3, first 2 shown]
	v_and_b32_e32 v31, 0xffff, v43
	s_waitcnt vmcnt(0)
	;;#ASMSTART
	v_pk_mul_f16 v2, v66, v2;

	;;#ASMEND
	v_lshl_or_b32 v62, v45, 16, v31
	;;#ASMSTART
	v_pk_mul_f16 v3, v65, v3;

	;;#ASMEND
	;;#ASMSTART
	v_pk_mul_f16 v4, v64, v4;

	;;#ASMEND
	;; [unrolled: 4-line block ×3, first 2 shown]
	s_nop 0
	;;#ASMSTART
	v_pk_add_f16 v2, v2, v3;

	;;#ASMEND
	s_nop 0
	;;#ASMSTART
	v_pk_add_f16 v2, v2, v4;

	;;#ASMEND
	;; [unrolled: 5-line block ×3, first 2 shown]
	s_nop 0
	v_lshrrev_b32_e32 v3, 16, v2
	v_and_b32_e32 v2, 0xffff, v2
	;;#ASMSTART
	v_cvt_f32_f16 v71, v2;
	;;#ASMEND
	;;#ASMSTART
	v_cvt_f32_f16 v72, v3;
	;;#ASMEND
	global_load_dwordx4 v[2:5], v[54:55], off offset:1024
	s_and_saveexec_b64 s[16:17], vcc
	s_cbranch_execz .LBB125_47
; %bb.46:                               ;   in Loop: Header=BB125_43 Depth=1
	s_waitcnt vmcnt(0)
	v_lshrrev_b32_e32 v31, 16, v5
	v_cmp_gt_i32_e64 s[0:1], s26, v70
	s_nop 1
	v_cndmask_b32_e64 v31, 0, v31, s[0:1]
	v_cmp_gt_i32_e64 s[0:1], s23, v69
	s_nop 1
	v_cndmask_b32_e64 v5, 0, v5, s[0:1]
	v_perm_b32 v5, v31, v5, s28
	v_lshrrev_b32_e32 v31, 16, v4
	v_cmp_gt_i32_e64 s[0:1], s22, v68
	s_nop 1
	v_cndmask_b32_e64 v31, 0, v31, s[0:1]
	v_cmp_gt_i32_e64 s[0:1], s21, v67
	s_nop 1
	v_cndmask_b32_e64 v4, 0, v4, s[0:1]
	v_perm_b32 v4, v31, v4, s28
	;; [unrolled: 8-line block ×4, first 2 shown]
.LBB125_47:                             ;   in Loop: Header=BB125_43 Depth=1
	s_or_b64 exec, exec, s[16:17]
	s_waitcnt vmcnt(0)
	;;#ASMSTART
	v_pk_mul_f16 v2, v66, v2;

	;;#ASMEND
	;;#ASMSTART
	v_pk_mul_f16 v3, v65, v3;

	;;#ASMEND
	;; [unrolled: 4-line block ×4, first 2 shown]
	s_nop 0
	;;#ASMSTART
	v_pk_add_f16 v2, v2, v3;

	;;#ASMEND
	s_nop 0
	;;#ASMSTART
	v_pk_add_f16 v2, v2, v4;

	;;#ASMEND
	;; [unrolled: 5-line block ×3, first 2 shown]
	s_nop 0
	v_lshrrev_b32_e32 v3, 16, v2
	v_and_b32_e32 v2, 0xffff, v2
	;;#ASMSTART
	v_cvt_f32_f16 v73, v2;
	;;#ASMEND
	;;#ASMSTART
	v_cvt_f32_f16 v74, v3;
	;;#ASMEND
	global_load_dwordx4 v[2:5], v[54:55], off offset:2048
	s_and_saveexec_b64 s[16:17], vcc
	s_cbranch_execz .LBB125_49
; %bb.48:                               ;   in Loop: Header=BB125_43 Depth=1
	s_waitcnt vmcnt(0)
	v_lshrrev_b32_e32 v31, 16, v5
	v_cmp_gt_i32_e64 s[0:1], s26, v70
	s_nop 1
	v_cndmask_b32_e64 v31, 0, v31, s[0:1]
	v_cmp_gt_i32_e64 s[0:1], s23, v69
	s_nop 1
	v_cndmask_b32_e64 v5, 0, v5, s[0:1]
	v_perm_b32 v5, v31, v5, s28
	v_lshrrev_b32_e32 v31, 16, v4
	v_cmp_gt_i32_e64 s[0:1], s22, v68
	s_nop 1
	v_cndmask_b32_e64 v31, 0, v31, s[0:1]
	v_cmp_gt_i32_e64 s[0:1], s21, v67
	s_nop 1
	v_cndmask_b32_e64 v4, 0, v4, s[0:1]
	v_perm_b32 v4, v31, v4, s28
	;; [unrolled: 8-line block ×4, first 2 shown]
.LBB125_49:                             ;   in Loop: Header=BB125_43 Depth=1
	s_or_b64 exec, exec, s[16:17]
	s_waitcnt vmcnt(0)
	;;#ASMSTART
	v_pk_mul_f16 v2, v66, v2;

	;;#ASMEND
	;;#ASMSTART
	v_pk_mul_f16 v3, v65, v3;

	;;#ASMEND
	;; [unrolled: 4-line block ×4, first 2 shown]
	s_nop 0
	;;#ASMSTART
	v_pk_add_f16 v2, v2, v3;

	;;#ASMEND
	s_nop 0
	;;#ASMSTART
	v_pk_add_f16 v2, v2, v4;

	;;#ASMEND
	;; [unrolled: 5-line block ×3, first 2 shown]
	s_nop 0
	v_lshrrev_b32_e32 v3, 16, v2
	v_and_b32_e32 v2, 0xffff, v2
	;;#ASMSTART
	v_cvt_f32_f16 v75, v2;
	;;#ASMEND
	;;#ASMSTART
	v_cvt_f32_f16 v76, v3;
	;;#ASMEND
	global_load_dwordx4 v[2:5], v[54:55], off offset:3072
	s_and_saveexec_b64 s[16:17], vcc
	s_cbranch_execz .LBB125_51
; %bb.50:                               ;   in Loop: Header=BB125_43 Depth=1
	s_waitcnt vmcnt(0)
	v_lshrrev_b32_e32 v31, 16, v5
	v_cmp_gt_i32_e64 s[0:1], s26, v70
	s_nop 1
	v_cndmask_b32_e64 v31, 0, v31, s[0:1]
	v_cmp_gt_i32_e64 s[0:1], s23, v69
	s_nop 1
	v_cndmask_b32_e64 v5, 0, v5, s[0:1]
	v_perm_b32 v5, v31, v5, s28
	v_lshrrev_b32_e32 v31, 16, v4
	v_cmp_gt_i32_e64 s[0:1], s22, v68
	s_nop 1
	v_cndmask_b32_e64 v31, 0, v31, s[0:1]
	v_cmp_gt_i32_e64 s[0:1], s21, v67
	s_nop 1
	v_cndmask_b32_e64 v4, 0, v4, s[0:1]
	v_perm_b32 v4, v31, v4, s28
	;; [unrolled: 8-line block ×4, first 2 shown]
.LBB125_51:                             ;   in Loop: Header=BB125_43 Depth=1
	s_or_b64 exec, exec, s[16:17]
	s_waitcnt vmcnt(0)
	;;#ASMSTART
	v_pk_mul_f16 v2, v66, v2;

	;;#ASMEND
	;;#ASMSTART
	v_pk_mul_f16 v3, v65, v3;

	;;#ASMEND
	;; [unrolled: 4-line block ×4, first 2 shown]
	s_nop 0
	;;#ASMSTART
	v_pk_add_f16 v2, v2, v3;

	;;#ASMEND
	s_nop 0
	;;#ASMSTART
	v_pk_add_f16 v2, v2, v4;

	;;#ASMEND
	;; [unrolled: 5-line block ×3, first 2 shown]
	s_nop 0
	v_lshrrev_b32_e32 v3, 16, v2
	v_and_b32_e32 v2, 0xffff, v2
	;;#ASMSTART
	v_cvt_f32_f16 v54, v2;
	;;#ASMEND
	;;#ASMSTART
	v_cvt_f32_f16 v55, v3;
	;;#ASMEND
	v_lshl_add_u64 v[2:3], v[52:53], 0, v[22:23]
	global_load_dwordx4 v[2:5], v[2:3], off
	s_and_saveexec_b64 s[16:17], vcc
	s_cbranch_execz .LBB125_53
; %bb.52:                               ;   in Loop: Header=BB125_43 Depth=1
	s_waitcnt vmcnt(0)
	v_lshrrev_b32_e32 v31, 16, v5
	v_cmp_gt_i32_e64 s[0:1], s26, v70
	s_nop 1
	v_cndmask_b32_e64 v31, 0, v31, s[0:1]
	v_cmp_gt_i32_e64 s[0:1], s23, v69
	s_nop 1
	v_cndmask_b32_e64 v5, 0, v5, s[0:1]
	v_perm_b32 v5, v31, v5, s28
	v_lshrrev_b32_e32 v31, 16, v4
	v_cmp_gt_i32_e64 s[0:1], s22, v68
	s_nop 1
	v_cndmask_b32_e64 v31, 0, v31, s[0:1]
	v_cmp_gt_i32_e64 s[0:1], s21, v67
	s_nop 1
	v_cndmask_b32_e64 v4, 0, v4, s[0:1]
	v_perm_b32 v4, v31, v4, s28
	;; [unrolled: 8-line block ×4, first 2 shown]
.LBB125_53:                             ;   in Loop: Header=BB125_43 Depth=1
	s_or_b64 exec, exec, s[16:17]
	s_waitcnt vmcnt(0)
	;;#ASMSTART
	v_pk_mul_f16 v2, v66, v2;

	;;#ASMEND
	;;#ASMSTART
	v_pk_mul_f16 v3, v65, v3;

	;;#ASMEND
	;; [unrolled: 4-line block ×4, first 2 shown]
	v_mov_b32_e32 v31, v23
	;;#ASMSTART
	v_pk_add_f16 v2, v2, v3;

	;;#ASMEND
	s_nop 0
	;;#ASMSTART
	v_pk_add_f16 v2, v2, v4;

	;;#ASMEND
	s_nop 0
	;; [unrolled: 5-line block ×3, first 2 shown]
	v_lshrrev_b32_e32 v3, 16, v2
	v_and_b32_e32 v2, 0xffff, v2
	;;#ASMSTART
	v_cvt_f32_f16 v77, v2;
	;;#ASMEND
	;;#ASMSTART
	v_cvt_f32_f16 v78, v3;
	;;#ASMEND
	v_lshl_add_u64 v[2:3], v[52:53], 0, v[30:31]
	global_load_dwordx4 v[2:5], v[2:3], off
	s_and_saveexec_b64 s[16:17], vcc
	s_cbranch_execz .LBB125_55
; %bb.54:                               ;   in Loop: Header=BB125_43 Depth=1
	s_waitcnt vmcnt(0)
	v_lshrrev_b32_e32 v31, 16, v5
	v_cmp_gt_i32_e64 s[0:1], s26, v70
	s_nop 1
	v_cndmask_b32_e64 v31, 0, v31, s[0:1]
	v_cmp_gt_i32_e64 s[0:1], s23, v69
	s_nop 1
	v_cndmask_b32_e64 v5, 0, v5, s[0:1]
	v_perm_b32 v5, v31, v5, s28
	v_lshrrev_b32_e32 v31, 16, v4
	v_cmp_gt_i32_e64 s[0:1], s22, v68
	s_nop 1
	v_cndmask_b32_e64 v31, 0, v31, s[0:1]
	v_cmp_gt_i32_e64 s[0:1], s21, v67
	s_nop 1
	v_cndmask_b32_e64 v4, 0, v4, s[0:1]
	v_perm_b32 v4, v31, v4, s28
	;; [unrolled: 8-line block ×4, first 2 shown]
.LBB125_55:                             ;   in Loop: Header=BB125_43 Depth=1
	s_or_b64 exec, exec, s[16:17]
	s_waitcnt vmcnt(0)
	;;#ASMSTART
	v_pk_mul_f16 v2, v66, v2;

	;;#ASMEND
	;;#ASMSTART
	v_pk_mul_f16 v3, v65, v3;

	;;#ASMEND
	;; [unrolled: 4-line block ×4, first 2 shown]
	v_mov_b32_e32 v33, v23
	;;#ASMSTART
	v_pk_add_f16 v2, v2, v3;

	;;#ASMEND
	s_nop 0
	;;#ASMSTART
	v_pk_add_f16 v2, v2, v4;

	;;#ASMEND
	s_nop 0
	;; [unrolled: 5-line block ×3, first 2 shown]
	v_lshrrev_b32_e32 v3, 16, v2
	v_and_b32_e32 v2, 0xffff, v2
	;;#ASMSTART
	v_cvt_f32_f16 v31, v2;
	;;#ASMEND
	;;#ASMSTART
	v_cvt_f32_f16 v79, v3;
	;;#ASMEND
	v_lshl_add_u64 v[2:3], v[52:53], 0, v[32:33]
	global_load_dwordx4 v[2:5], v[2:3], off
	s_and_saveexec_b64 s[16:17], vcc
	s_cbranch_execz .LBB125_57
; %bb.56:                               ;   in Loop: Header=BB125_43 Depth=1
	s_waitcnt vmcnt(0)
	v_lshrrev_b32_e32 v33, 16, v5
	v_cmp_gt_i32_e64 s[0:1], s26, v70
	s_nop 1
	v_cndmask_b32_e64 v33, 0, v33, s[0:1]
	v_cmp_gt_i32_e64 s[0:1], s23, v69
	s_nop 1
	v_cndmask_b32_e64 v5, 0, v5, s[0:1]
	v_perm_b32 v5, v33, v5, s28
	v_lshrrev_b32_e32 v33, 16, v4
	v_cmp_gt_i32_e64 s[0:1], s22, v68
	s_nop 1
	v_cndmask_b32_e64 v33, 0, v33, s[0:1]
	v_cmp_gt_i32_e64 s[0:1], s21, v67
	s_nop 1
	v_cndmask_b32_e64 v4, 0, v4, s[0:1]
	v_perm_b32 v4, v33, v4, s28
	;; [unrolled: 8-line block ×4, first 2 shown]
.LBB125_57:                             ;   in Loop: Header=BB125_43 Depth=1
	s_or_b64 exec, exec, s[16:17]
	s_waitcnt vmcnt(0)
	;;#ASMSTART
	v_pk_mul_f16 v2, v66, v2;

	;;#ASMEND
	;;#ASMSTART
	v_pk_mul_f16 v3, v65, v3;

	;;#ASMEND
	;; [unrolled: 4-line block ×4, first 2 shown]
	v_mov_b32_e32 v35, v23
	;;#ASMSTART
	v_pk_add_f16 v2, v2, v3;

	;;#ASMEND
	s_nop 0
	;;#ASMSTART
	v_pk_add_f16 v2, v2, v4;

	;;#ASMEND
	s_nop 0
	;; [unrolled: 5-line block ×3, first 2 shown]
	v_lshrrev_b32_e32 v3, 16, v2
	v_and_b32_e32 v2, 0xffff, v2
	;;#ASMSTART
	v_cvt_f32_f16 v33, v2;
	;;#ASMEND
	;;#ASMSTART
	v_cvt_f32_f16 v80, v3;
	;;#ASMEND
	v_lshl_add_u64 v[2:3], v[52:53], 0, v[34:35]
	global_load_dwordx4 v[2:5], v[2:3], off
	s_and_saveexec_b64 s[16:17], vcc
	s_cbranch_execz .LBB125_59
; %bb.58:                               ;   in Loop: Header=BB125_43 Depth=1
	s_waitcnt vmcnt(0)
	v_lshrrev_b32_e32 v35, 16, v5
	v_cmp_gt_i32_e64 s[0:1], s26, v70
	s_nop 1
	v_cndmask_b32_e64 v35, 0, v35, s[0:1]
	v_cmp_gt_i32_e64 s[0:1], s23, v69
	s_nop 1
	v_cndmask_b32_e64 v5, 0, v5, s[0:1]
	v_perm_b32 v5, v35, v5, s28
	v_lshrrev_b32_e32 v35, 16, v4
	v_cmp_gt_i32_e64 s[0:1], s22, v68
	s_nop 1
	v_cndmask_b32_e64 v35, 0, v35, s[0:1]
	v_cmp_gt_i32_e64 s[0:1], s21, v67
	s_nop 1
	v_cndmask_b32_e64 v4, 0, v4, s[0:1]
	v_perm_b32 v4, v35, v4, s28
	;; [unrolled: 8-line block ×4, first 2 shown]
.LBB125_59:                             ;   in Loop: Header=BB125_43 Depth=1
	s_or_b64 exec, exec, s[16:17]
	s_waitcnt vmcnt(0)
	;;#ASMSTART
	v_pk_mul_f16 v2, v66, v2;

	;;#ASMEND
	;;#ASMSTART
	v_pk_mul_f16 v3, v65, v3;

	;;#ASMEND
	;; [unrolled: 4-line block ×4, first 2 shown]
	v_mov_b32_e32 v37, v23
	;;#ASMSTART
	v_pk_add_f16 v2, v2, v3;

	;;#ASMEND
	s_nop 0
	;;#ASMSTART
	v_pk_add_f16 v2, v2, v4;

	;;#ASMEND
	s_nop 0
	;; [unrolled: 5-line block ×3, first 2 shown]
	v_lshrrev_b32_e32 v3, 16, v2
	v_and_b32_e32 v2, 0xffff, v2
	;;#ASMSTART
	v_cvt_f32_f16 v35, v2;
	;;#ASMEND
	;;#ASMSTART
	v_cvt_f32_f16 v81, v3;
	;;#ASMEND
	v_lshl_add_u64 v[2:3], v[52:53], 0, v[36:37]
	global_load_dwordx4 v[2:5], v[2:3], off
	s_and_saveexec_b64 s[16:17], vcc
	s_cbranch_execz .LBB125_61
; %bb.60:                               ;   in Loop: Header=BB125_43 Depth=1
	s_waitcnt vmcnt(0)
	v_lshrrev_b32_e32 v37, 16, v5
	v_cmp_gt_i32_e64 s[0:1], s26, v70
	s_nop 1
	v_cndmask_b32_e64 v37, 0, v37, s[0:1]
	v_cmp_gt_i32_e64 s[0:1], s23, v69
	s_nop 1
	v_cndmask_b32_e64 v5, 0, v5, s[0:1]
	v_perm_b32 v5, v37, v5, s28
	v_lshrrev_b32_e32 v37, 16, v4
	v_cmp_gt_i32_e64 s[0:1], s22, v68
	s_nop 1
	v_cndmask_b32_e64 v37, 0, v37, s[0:1]
	v_cmp_gt_i32_e64 s[0:1], s21, v67
	s_nop 1
	v_cndmask_b32_e64 v4, 0, v4, s[0:1]
	v_perm_b32 v4, v37, v4, s28
	;; [unrolled: 8-line block ×4, first 2 shown]
.LBB125_61:                             ;   in Loop: Header=BB125_43 Depth=1
	s_or_b64 exec, exec, s[16:17]
	s_waitcnt vmcnt(0)
	;;#ASMSTART
	v_pk_mul_f16 v2, v66, v2;

	;;#ASMEND
	;;#ASMSTART
	v_pk_mul_f16 v3, v65, v3;

	;;#ASMEND
	;; [unrolled: 4-line block ×4, first 2 shown]
	v_mov_b32_e32 v39, v23
	;;#ASMSTART
	v_pk_add_f16 v2, v2, v3;

	;;#ASMEND
	s_nop 0
	;;#ASMSTART
	v_pk_add_f16 v2, v2, v4;

	;;#ASMEND
	s_nop 0
	;; [unrolled: 5-line block ×3, first 2 shown]
	v_lshrrev_b32_e32 v3, 16, v2
	v_and_b32_e32 v2, 0xffff, v2
	;;#ASMSTART
	v_cvt_f32_f16 v37, v2;
	;;#ASMEND
	;;#ASMSTART
	v_cvt_f32_f16 v82, v3;
	;;#ASMEND
	v_lshl_add_u64 v[2:3], v[52:53], 0, v[38:39]
	global_load_dwordx4 v[2:5], v[2:3], off
	s_and_saveexec_b64 s[16:17], vcc
	s_cbranch_execz .LBB125_63
; %bb.62:                               ;   in Loop: Header=BB125_43 Depth=1
	s_waitcnt vmcnt(0)
	v_lshrrev_b32_e32 v39, 16, v5
	v_cmp_gt_i32_e64 s[0:1], s26, v70
	s_nop 1
	v_cndmask_b32_e64 v39, 0, v39, s[0:1]
	v_cmp_gt_i32_e64 s[0:1], s23, v69
	s_nop 1
	v_cndmask_b32_e64 v5, 0, v5, s[0:1]
	v_perm_b32 v5, v39, v5, s28
	v_lshrrev_b32_e32 v39, 16, v4
	v_cmp_gt_i32_e64 s[0:1], s22, v68
	s_nop 1
	v_cndmask_b32_e64 v39, 0, v39, s[0:1]
	v_cmp_gt_i32_e64 s[0:1], s21, v67
	s_nop 1
	v_cndmask_b32_e64 v4, 0, v4, s[0:1]
	v_perm_b32 v4, v39, v4, s28
	;; [unrolled: 8-line block ×4, first 2 shown]
.LBB125_63:                             ;   in Loop: Header=BB125_43 Depth=1
	s_or_b64 exec, exec, s[16:17]
	s_waitcnt vmcnt(0)
	;;#ASMSTART
	v_pk_mul_f16 v2, v66, v2;

	;;#ASMEND
	;;#ASMSTART
	v_pk_mul_f16 v3, v65, v3;

	;;#ASMEND
	;;#ASMSTART
	v_pk_mul_f16 v4, v64, v4;

	;;#ASMEND
	;;#ASMSTART
	v_pk_mul_f16 v5, v62, v5;

	;;#ASMEND
	v_mov_b32_e32 v41, v23
	;;#ASMSTART
	v_pk_add_f16 v2, v2, v3;

	;;#ASMEND
	s_nop 0
	;;#ASMSTART
	v_pk_add_f16 v2, v2, v4;

	;;#ASMEND
	s_nop 0
	;; [unrolled: 5-line block ×3, first 2 shown]
	v_lshrrev_b32_e32 v3, 16, v2
	v_and_b32_e32 v2, 0xffff, v2
	;;#ASMSTART
	v_cvt_f32_f16 v39, v2;
	;;#ASMEND
	;;#ASMSTART
	v_cvt_f32_f16 v83, v3;
	;;#ASMEND
	v_lshl_add_u64 v[2:3], v[52:53], 0, v[40:41]
	global_load_dwordx4 v[2:5], v[2:3], off
	s_and_saveexec_b64 s[16:17], vcc
	s_cbranch_execz .LBB125_65
; %bb.64:                               ;   in Loop: Header=BB125_43 Depth=1
	s_waitcnt vmcnt(0)
	v_lshrrev_b32_e32 v41, 16, v5
	v_cmp_gt_i32_e64 s[0:1], s26, v70
	s_nop 1
	v_cndmask_b32_e64 v41, 0, v41, s[0:1]
	v_cmp_gt_i32_e64 s[0:1], s23, v69
	s_nop 1
	v_cndmask_b32_e64 v5, 0, v5, s[0:1]
	v_perm_b32 v5, v41, v5, s28
	v_lshrrev_b32_e32 v41, 16, v4
	v_cmp_gt_i32_e64 s[0:1], s22, v68
	s_nop 1
	v_cndmask_b32_e64 v41, 0, v41, s[0:1]
	v_cmp_gt_i32_e64 s[0:1], s21, v67
	s_nop 1
	v_cndmask_b32_e64 v4, 0, v4, s[0:1]
	v_perm_b32 v4, v41, v4, s28
	;; [unrolled: 8-line block ×4, first 2 shown]
.LBB125_65:                             ;   in Loop: Header=BB125_43 Depth=1
	s_or_b64 exec, exec, s[16:17]
	s_waitcnt vmcnt(0)
	;;#ASMSTART
	v_pk_mul_f16 v2, v66, v2;

	;;#ASMEND
	;;#ASMSTART
	v_pk_mul_f16 v3, v65, v3;

	;;#ASMEND
	;; [unrolled: 4-line block ×4, first 2 shown]
	v_mov_b32_e32 v43, v23
	;;#ASMSTART
	v_pk_add_f16 v2, v2, v3;

	;;#ASMEND
	s_nop 0
	;;#ASMSTART
	v_pk_add_f16 v2, v2, v4;

	;;#ASMEND
	s_nop 0
	;; [unrolled: 5-line block ×3, first 2 shown]
	v_lshrrev_b32_e32 v3, 16, v2
	v_and_b32_e32 v2, 0xffff, v2
	;;#ASMSTART
	v_cvt_f32_f16 v41, v2;
	;;#ASMEND
	;;#ASMSTART
	v_cvt_f32_f16 v84, v3;
	;;#ASMEND
	v_lshl_add_u64 v[2:3], v[52:53], 0, v[42:43]
	global_load_dwordx4 v[2:5], v[2:3], off
	s_and_saveexec_b64 s[16:17], vcc
	s_cbranch_execz .LBB125_67
; %bb.66:                               ;   in Loop: Header=BB125_43 Depth=1
	s_waitcnt vmcnt(0)
	v_lshrrev_b32_e32 v43, 16, v5
	v_cmp_gt_i32_e64 s[0:1], s26, v70
	s_nop 1
	v_cndmask_b32_e64 v43, 0, v43, s[0:1]
	v_cmp_gt_i32_e64 s[0:1], s23, v69
	s_nop 1
	v_cndmask_b32_e64 v5, 0, v5, s[0:1]
	v_perm_b32 v5, v43, v5, s28
	v_lshrrev_b32_e32 v43, 16, v4
	v_cmp_gt_i32_e64 s[0:1], s22, v68
	s_nop 1
	v_cndmask_b32_e64 v43, 0, v43, s[0:1]
	v_cmp_gt_i32_e64 s[0:1], s21, v67
	s_nop 1
	v_cndmask_b32_e64 v4, 0, v4, s[0:1]
	v_perm_b32 v4, v43, v4, s28
	;; [unrolled: 8-line block ×4, first 2 shown]
.LBB125_67:                             ;   in Loop: Header=BB125_43 Depth=1
	s_or_b64 exec, exec, s[16:17]
	s_waitcnt vmcnt(0)
	;;#ASMSTART
	v_pk_mul_f16 v2, v66, v2;

	;;#ASMEND
	;;#ASMSTART
	v_pk_mul_f16 v3, v65, v3;

	;;#ASMEND
	;; [unrolled: 4-line block ×4, first 2 shown]
	v_mov_b32_e32 v45, v23
	;;#ASMSTART
	v_pk_add_f16 v2, v2, v3;

	;;#ASMEND
	s_nop 0
	;;#ASMSTART
	v_pk_add_f16 v2, v2, v4;

	;;#ASMEND
	s_nop 0
	;; [unrolled: 5-line block ×3, first 2 shown]
	v_lshrrev_b32_e32 v3, 16, v2
	v_and_b32_e32 v2, 0xffff, v2
	;;#ASMSTART
	v_cvt_f32_f16 v43, v2;
	;;#ASMEND
	;;#ASMSTART
	v_cvt_f32_f16 v85, v3;
	;;#ASMEND
	v_lshl_add_u64 v[2:3], v[52:53], 0, v[44:45]
	global_load_dwordx4 v[2:5], v[2:3], off
	s_and_saveexec_b64 s[16:17], vcc
	s_cbranch_execz .LBB125_69
; %bb.68:                               ;   in Loop: Header=BB125_43 Depth=1
	s_waitcnt vmcnt(0)
	v_lshrrev_b32_e32 v45, 16, v5
	v_cmp_gt_i32_e64 s[0:1], s26, v70
	s_nop 1
	v_cndmask_b32_e64 v45, 0, v45, s[0:1]
	v_cmp_gt_i32_e64 s[0:1], s23, v69
	s_nop 1
	v_cndmask_b32_e64 v5, 0, v5, s[0:1]
	v_perm_b32 v5, v45, v5, s28
	v_lshrrev_b32_e32 v45, 16, v4
	v_cmp_gt_i32_e64 s[0:1], s22, v68
	s_nop 1
	v_cndmask_b32_e64 v45, 0, v45, s[0:1]
	v_cmp_gt_i32_e64 s[0:1], s21, v67
	s_nop 1
	v_cndmask_b32_e64 v4, 0, v4, s[0:1]
	v_perm_b32 v4, v45, v4, s28
	v_lshrrev_b32_e32 v45, 16, v3
	v_cmp_gt_i32_e64 s[0:1], s20, v63
	s_nop 1
	v_cndmask_b32_e64 v45, 0, v45, s[0:1]
	v_cmp_gt_i32_e64 s[0:1], s19, v61
	s_nop 1
	v_cndmask_b32_e64 v3, 0, v3, s[0:1]
	v_perm_b32 v3, v45, v3, s28
	v_lshrrev_b32_e32 v45, 16, v2
	v_cmp_gt_i32_e64 s[0:1], s18, v7
	s_nop 1
	v_cndmask_b32_e64 v45, 0, v45, s[0:1]
	v_cmp_gt_i32_e64 s[0:1], s27, v59
	s_nop 1
	v_cndmask_b32_e64 v2, 0, v2, s[0:1]
	v_perm_b32 v2, v45, v2, s28
.LBB125_69:                             ;   in Loop: Header=BB125_43 Depth=1
	s_or_b64 exec, exec, s[16:17]
	s_waitcnt vmcnt(0)
	;;#ASMSTART
	v_pk_mul_f16 v2, v66, v2;

	;;#ASMEND
	;;#ASMSTART
	v_pk_mul_f16 v3, v65, v3;

	;;#ASMEND
	;; [unrolled: 4-line block ×4, first 2 shown]
	v_mov_b32_e32 v47, v23
	;;#ASMSTART
	v_pk_add_f16 v2, v2, v3;

	;;#ASMEND
	s_nop 0
	;;#ASMSTART
	v_pk_add_f16 v2, v2, v4;

	;;#ASMEND
	s_nop 0
	;; [unrolled: 5-line block ×3, first 2 shown]
	v_lshrrev_b32_e32 v3, 16, v2
	v_and_b32_e32 v2, 0xffff, v2
	;;#ASMSTART
	v_cvt_f32_f16 v45, v2;
	;;#ASMEND
	;;#ASMSTART
	v_cvt_f32_f16 v86, v3;
	;;#ASMEND
	v_lshl_add_u64 v[2:3], v[52:53], 0, v[46:47]
	global_load_dwordx4 v[2:5], v[2:3], off
	s_and_saveexec_b64 s[16:17], vcc
	s_cbranch_execz .LBB125_71
; %bb.70:                               ;   in Loop: Header=BB125_43 Depth=1
	s_waitcnt vmcnt(0)
	v_lshrrev_b32_e32 v47, 16, v5
	v_cmp_gt_i32_e64 s[0:1], s26, v70
	s_nop 1
	v_cndmask_b32_e64 v47, 0, v47, s[0:1]
	v_cmp_gt_i32_e64 s[0:1], s23, v69
	s_nop 1
	v_cndmask_b32_e64 v5, 0, v5, s[0:1]
	v_perm_b32 v5, v47, v5, s28
	v_lshrrev_b32_e32 v47, 16, v4
	v_cmp_gt_i32_e64 s[0:1], s22, v68
	s_nop 1
	v_cndmask_b32_e64 v47, 0, v47, s[0:1]
	v_cmp_gt_i32_e64 s[0:1], s21, v67
	s_nop 1
	v_cndmask_b32_e64 v4, 0, v4, s[0:1]
	v_perm_b32 v4, v47, v4, s28
	;; [unrolled: 8-line block ×4, first 2 shown]
.LBB125_71:                             ;   in Loop: Header=BB125_43 Depth=1
	s_or_b64 exec, exec, s[16:17]
	s_waitcnt vmcnt(0)
	;;#ASMSTART
	v_pk_mul_f16 v2, v66, v2;

	;;#ASMEND
	;;#ASMSTART
	v_pk_mul_f16 v3, v65, v3;

	;;#ASMEND
	;; [unrolled: 4-line block ×4, first 2 shown]
	v_mov_b32_e32 v49, v23
	;;#ASMSTART
	v_pk_add_f16 v2, v2, v3;

	;;#ASMEND
	s_nop 0
	;;#ASMSTART
	v_pk_add_f16 v2, v2, v4;

	;;#ASMEND
	s_nop 0
	;; [unrolled: 5-line block ×3, first 2 shown]
	v_lshrrev_b32_e32 v3, 16, v2
	v_and_b32_e32 v2, 0xffff, v2
	;;#ASMSTART
	v_cvt_f32_f16 v47, v2;
	;;#ASMEND
	;;#ASMSTART
	v_cvt_f32_f16 v87, v3;
	;;#ASMEND
	v_lshl_add_u64 v[2:3], v[52:53], 0, v[48:49]
	global_load_dwordx4 v[2:5], v[2:3], off
	s_and_saveexec_b64 s[16:17], vcc
	s_cbranch_execz .LBB125_73
; %bb.72:                               ;   in Loop: Header=BB125_43 Depth=1
	s_waitcnt vmcnt(0)
	v_lshrrev_b32_e32 v49, 16, v5
	v_cmp_gt_i32_e64 s[0:1], s26, v70
	s_nop 1
	v_cndmask_b32_e64 v49, 0, v49, s[0:1]
	v_cmp_gt_i32_e64 s[0:1], s23, v69
	s_nop 1
	v_cndmask_b32_e64 v5, 0, v5, s[0:1]
	v_perm_b32 v5, v49, v5, s28
	v_lshrrev_b32_e32 v49, 16, v4
	v_cmp_gt_i32_e64 s[0:1], s22, v68
	s_nop 1
	v_cndmask_b32_e64 v49, 0, v49, s[0:1]
	v_cmp_gt_i32_e64 s[0:1], s21, v67
	s_nop 1
	v_cndmask_b32_e64 v4, 0, v4, s[0:1]
	v_perm_b32 v4, v49, v4, s28
	;; [unrolled: 8-line block ×4, first 2 shown]
.LBB125_73:                             ;   in Loop: Header=BB125_43 Depth=1
	s_or_b64 exec, exec, s[16:17]
	s_waitcnt vmcnt(0)
	;;#ASMSTART
	v_pk_mul_f16 v2, v66, v2;

	;;#ASMEND
	;;#ASMSTART
	v_pk_mul_f16 v3, v65, v3;

	;;#ASMEND
	;; [unrolled: 4-line block ×4, first 2 shown]
	v_mov_b32_e32 v51, v23
	;;#ASMSTART
	v_pk_add_f16 v2, v2, v3;

	;;#ASMEND
	s_nop 0
	;;#ASMSTART
	v_pk_add_f16 v2, v2, v4;

	;;#ASMEND
	s_nop 0
	;;#ASMSTART
	v_pk_add_f16 v2, v2, v5;

	;;#ASMEND
	s_nop 0
	v_lshrrev_b32_e32 v3, 16, v2
	v_and_b32_e32 v2, 0xffff, v2
	;;#ASMSTART
	v_cvt_f32_f16 v49, v2;
	;;#ASMEND
	;;#ASMSTART
	v_cvt_f32_f16 v88, v3;
	;;#ASMEND
	v_lshl_add_u64 v[2:3], v[52:53], 0, v[50:51]
	global_load_dwordx4 v[2:5], v[2:3], off
	s_and_saveexec_b64 s[0:1], vcc
	s_cbranch_execz .LBB125_42
; %bb.74:                               ;   in Loop: Header=BB125_43 Depth=1
	s_waitcnt vmcnt(0)
	v_lshrrev_b32_e32 v51, 16, v5
	v_cmp_gt_i32_e32 vcc, s26, v70
	s_nop 1
	v_cndmask_b32_e32 v51, 0, v51, vcc
	v_cmp_gt_i32_e32 vcc, s23, v69
	s_nop 1
	v_cndmask_b32_e32 v5, 0, v5, vcc
	v_perm_b32 v5, v51, v5, s28
	v_lshrrev_b32_e32 v51, 16, v4
	v_cmp_gt_i32_e32 vcc, s22, v68
	s_nop 1
	v_cndmask_b32_e32 v51, 0, v51, vcc
	v_cmp_gt_i32_e32 vcc, s21, v67
	s_nop 1
	v_cndmask_b32_e32 v4, 0, v4, vcc
	v_perm_b32 v4, v51, v4, s28
	;; [unrolled: 8-line block ×4, first 2 shown]
	s_branch .LBB125_42
.LBB125_75:
	s_or_b64 exec, exec, s[12:13]
.LBB125_76:
	s_or_b64 exec, exec, s[2:3]
	ds_bpermute_b32 v4, v56, v20
	ds_bpermute_b32 v5, v56, v21
	;; [unrolled: 1-line block ×6, first 2 shown]
	s_waitcnt lgkmcnt(4)
	v_pk_add_f32 v[4:5], v[20:21], v[4:5]
	ds_bpermute_b32 v20, v57, v4
	ds_bpermute_b32 v21, v57, v5
	s_waitcnt lgkmcnt(4)
	v_pk_add_f32 v[2:3], v[24:25], v[2:3]
	ds_bpermute_b32 v6, v57, v2
	ds_bpermute_b32 v7, v57, v3
	;; [unrolled: 1-line block ×3, first 2 shown]
	s_waitcnt lgkmcnt(3)
	v_pk_add_f32 v[4:5], v[4:5], v[20:21]
	ds_bpermute_b32 v20, v56, v14
	ds_bpermute_b32 v21, v56, v15
	s_waitcnt lgkmcnt(3)
	v_pk_add_f32 v[2:3], v[2:3], v[6:7]
	v_pk_add_f32 v[6:7], v[18:19], v[22:23]
	ds_bpermute_b32 v22, v56, v16
	ds_bpermute_b32 v23, v56, v17
	;; [unrolled: 1-line block ×4, first 2 shown]
	s_waitcnt lgkmcnt(4)
	v_pk_add_f32 v[14:15], v[14:15], v[20:21]
	ds_bpermute_b32 v20, v56, v12
	ds_bpermute_b32 v21, v56, v13
	;; [unrolled: 1-line block ×3, first 2 shown]
	s_waitcnt lgkmcnt(5)
	v_pk_add_f32 v[16:17], v[16:17], v[22:23]
	ds_bpermute_b32 v26, v56, v8
	ds_bpermute_b32 v27, v56, v9
	s_waitcnt lgkmcnt(5)
	v_pk_add_f32 v[6:7], v[6:7], v[18:19]
	ds_bpermute_b32 v18, v57, v16
	ds_bpermute_b32 v19, v57, v17
	;; [unrolled: 4-line block ×4, first 2 shown]
	ds_bpermute_b32 v24, v57, v10
	ds_bpermute_b32 v25, v57, v11
	s_waitcnt lgkmcnt(8)
	v_pk_add_f32 v[8:9], v[8:9], v[26:27]
	s_waitcnt lgkmcnt(6)
	v_pk_add_f32 v[16:17], v[16:17], v[18:19]
	ds_bpermute_b32 v18, v57, v8
	ds_bpermute_b32 v19, v57, v9
	s_waitcnt lgkmcnt(6)
	v_pk_add_f32 v[12:13], v[12:13], v[20:21]
	v_and_b32_e32 v20, 0x3c3, v0
	s_waitcnt lgkmcnt(4)
	v_pk_add_f32 v[14:15], v[14:15], v[22:23]
	s_waitcnt lgkmcnt(2)
	v_pk_add_f32 v[10:11], v[10:11], v[24:25]
	v_cmp_ne_u32_e32 vcc, 64, v20
	s_waitcnt lgkmcnt(0)
	s_barrier
	s_and_saveexec_b64 s[0:1], vcc
	s_xor_b64 s[0:1], exec, s[0:1]
; %bb.77:
                                        ; implicit-def: $vgpr1
; %bb.78:
	s_or_saveexec_b64 s[0:1], s[0:1]
	v_pk_add_f32 v[8:9], v[8:9], v[18:19]
	s_xor_b64 exec, exec, s[0:1]
	s_cbranch_execz .LBB125_80
; %bb.79:
	v_add_u32_e32 v1, 0x210, v1
	ds_write2_b32 v1, v2, v3 offset1:16
	ds_write2_b32 v1, v4, v5 offset0:32 offset1:48
	ds_write2_b32 v1, v6, v7 offset0:64 offset1:80
	;; [unrolled: 1-line block ×7, first 2 shown]
.LBB125_80:
	s_or_b64 exec, exec, s[0:1]
	s_waitcnt lgkmcnt(0)
	s_barrier
	s_and_saveexec_b64 s[0:1], s[10:11]
	s_cbranch_execz .LBB125_99
; %bb.81:
	v_cmp_eq_u32_e32 vcc, 0, v58
	v_lshrrev_b32_e32 v1, 2, v0
	s_and_saveexec_b64 s[2:3], vcc
	s_cbranch_execnz .LBB125_102
; %bb.82:
	s_or_b64 exec, exec, s[2:3]
	s_and_saveexec_b64 s[2:3], vcc
	s_cbranch_execnz .LBB125_103
.LBB125_83:
	s_or_b64 exec, exec, s[2:3]
	s_and_saveexec_b64 s[2:3], vcc
	s_cbranch_execnz .LBB125_104
.LBB125_84:
	s_or_b64 exec, exec, s[2:3]
	s_and_saveexec_b64 s[2:3], vcc
	s_cbranch_execnz .LBB125_105
.LBB125_85:
	s_or_b64 exec, exec, s[2:3]
	s_and_saveexec_b64 s[2:3], vcc
	s_cbranch_execnz .LBB125_106
.LBB125_86:
	s_or_b64 exec, exec, s[2:3]
	s_and_saveexec_b64 s[2:3], vcc
	s_cbranch_execnz .LBB125_107
.LBB125_87:
	s_or_b64 exec, exec, s[2:3]
	s_and_saveexec_b64 s[2:3], vcc
	s_cbranch_execnz .LBB125_108
.LBB125_88:
	s_or_b64 exec, exec, s[2:3]
	s_and_saveexec_b64 s[2:3], vcc
	s_cbranch_execnz .LBB125_109
.LBB125_89:
	s_or_b64 exec, exec, s[2:3]
	s_and_saveexec_b64 s[2:3], vcc
	s_cbranch_execnz .LBB125_110
.LBB125_90:
	s_or_b64 exec, exec, s[2:3]
	s_and_saveexec_b64 s[2:3], vcc
	s_cbranch_execnz .LBB125_111
.LBB125_91:
	s_or_b64 exec, exec, s[2:3]
	s_and_saveexec_b64 s[2:3], vcc
	s_cbranch_execnz .LBB125_112
.LBB125_92:
	s_or_b64 exec, exec, s[2:3]
	s_and_saveexec_b64 s[2:3], vcc
	s_cbranch_execnz .LBB125_113
.LBB125_93:
	s_or_b64 exec, exec, s[2:3]
	s_and_saveexec_b64 s[2:3], vcc
	s_cbranch_execnz .LBB125_114
.LBB125_94:
	s_or_b64 exec, exec, s[2:3]
	s_and_saveexec_b64 s[2:3], vcc
	s_cbranch_execnz .LBB125_115
.LBB125_95:
	s_or_b64 exec, exec, s[2:3]
	s_and_saveexec_b64 s[2:3], vcc
	s_cbranch_execnz .LBB125_116
.LBB125_96:
	s_or_b64 exec, exec, s[2:3]
	s_and_saveexec_b64 s[2:3], vcc
	s_cbranch_execz .LBB125_98
.LBB125_97:
	v_mov_b32_e32 v18, 0x210
	v_lshl_add_u32 v1, v1, 2, v18
	ds_read_b32 v1, v1 offset:960
	s_waitcnt lgkmcnt(0)
	v_add_f32_e32 v9, v9, v1
.LBB125_98:
	s_or_b64 exec, exec, s[2:3]
.LBB125_99:
	s_or_b64 exec, exec, s[0:1]
	v_cmp_eq_u32_e32 vcc, 0, v20
	s_barrier
	s_and_saveexec_b64 s[0:1], vcc
	s_cbranch_execz .LBB125_101
; %bb.100:
	s_lshl_b32 s0, s8, 8
	s_ashr_i32 s1, s0, 31
	s_lshl_b64 s[0:1], s[0:1], 1
	s_add_u32 s2, s24, s0
	s_mul_i32 s0, s15, s14
	s_addc_u32 s3, s25, s1
	s_ashr_i32 s1, s0, 31
	s_lshl_b64 s[0:1], s[0:1], 1
	s_add_u32 s2, s2, s0
	s_addc_u32 s3, s3, s1
	s_lshl_b32 s0, s4, 8
	s_ashr_i32 s1, s0, 31
	s_lshl_b64 s[0:1], s[0:1], 1
	s_add_u32 s0, s2, s0
	s_addc_u32 s1, s3, s1
	v_lshrrev_b32_e32 v0, 1, v0
	;;#ASMSTART
	v_cvt_f16_f32 v1, v2;

	;;#ASMEND
	global_store_short v0, v1, s[0:1]
	;;#ASMSTART
	v_cvt_f16_f32 v1, v3;

	;;#ASMEND
	global_store_short v0, v1, s[0:1] offset:32
	;;#ASMSTART
	v_cvt_f16_f32 v1, v4;

	;;#ASMEND
	global_store_short v0, v1, s[0:1] offset:64
	;; [unrolled: 5-line block ×15, first 2 shown]
.LBB125_101:
	s_endpgm
.LBB125_102:
	v_mov_b32_e32 v18, 0x210
	v_lshl_add_u32 v18, v1, 2, v18
	ds_read_b32 v18, v18
	s_waitcnt lgkmcnt(0)
	v_add_f32_e32 v2, v2, v18
	s_or_b64 exec, exec, s[2:3]
	s_and_saveexec_b64 s[2:3], vcc
	s_cbranch_execz .LBB125_83
.LBB125_103:
	v_mov_b32_e32 v18, 0x210
	v_lshl_add_u32 v18, v1, 2, v18
	ds_read_b32 v18, v18 offset:64
	s_waitcnt lgkmcnt(0)
	v_add_f32_e32 v3, v3, v18
	s_or_b64 exec, exec, s[2:3]
	s_and_saveexec_b64 s[2:3], vcc
	s_cbranch_execz .LBB125_84
.LBB125_104:
	v_mov_b32_e32 v18, 0x210
	v_lshl_add_u32 v18, v1, 2, v18
	ds_read_b32 v18, v18 offset:128
	s_waitcnt lgkmcnt(0)
	v_add_f32_e32 v4, v4, v18
	s_or_b64 exec, exec, s[2:3]
	s_and_saveexec_b64 s[2:3], vcc
	s_cbranch_execz .LBB125_85
.LBB125_105:
	v_mov_b32_e32 v18, 0x210
	v_lshl_add_u32 v18, v1, 2, v18
	ds_read_b32 v18, v18 offset:192
	s_waitcnt lgkmcnt(0)
	v_add_f32_e32 v5, v5, v18
	s_or_b64 exec, exec, s[2:3]
	s_and_saveexec_b64 s[2:3], vcc
	s_cbranch_execz .LBB125_86
.LBB125_106:
	v_mov_b32_e32 v18, 0x210
	v_lshl_add_u32 v18, v1, 2, v18
	ds_read_b32 v18, v18 offset:256
	s_waitcnt lgkmcnt(0)
	v_add_f32_e32 v6, v6, v18
	s_or_b64 exec, exec, s[2:3]
	s_and_saveexec_b64 s[2:3], vcc
	s_cbranch_execz .LBB125_87
.LBB125_107:
	v_mov_b32_e32 v18, 0x210
	v_lshl_add_u32 v18, v1, 2, v18
	ds_read_b32 v18, v18 offset:320
	s_waitcnt lgkmcnt(0)
	v_add_f32_e32 v7, v7, v18
	s_or_b64 exec, exec, s[2:3]
	s_and_saveexec_b64 s[2:3], vcc
	s_cbranch_execz .LBB125_88
.LBB125_108:
	v_mov_b32_e32 v18, 0x210
	v_lshl_add_u32 v18, v1, 2, v18
	ds_read_b32 v18, v18 offset:384
	s_waitcnt lgkmcnt(0)
	v_add_f32_e32 v16, v16, v18
	s_or_b64 exec, exec, s[2:3]
	s_and_saveexec_b64 s[2:3], vcc
	s_cbranch_execz .LBB125_89
.LBB125_109:
	v_mov_b32_e32 v18, 0x210
	v_lshl_add_u32 v18, v1, 2, v18
	ds_read_b32 v18, v18 offset:448
	s_waitcnt lgkmcnt(0)
	v_add_f32_e32 v17, v17, v18
	s_or_b64 exec, exec, s[2:3]
	s_and_saveexec_b64 s[2:3], vcc
	s_cbranch_execz .LBB125_90
.LBB125_110:
	v_mov_b32_e32 v18, 0x210
	v_lshl_add_u32 v18, v1, 2, v18
	ds_read_b32 v18, v18 offset:512
	s_waitcnt lgkmcnt(0)
	v_add_f32_e32 v14, v14, v18
	s_or_b64 exec, exec, s[2:3]
	s_and_saveexec_b64 s[2:3], vcc
	s_cbranch_execz .LBB125_91
.LBB125_111:
	v_mov_b32_e32 v18, 0x210
	v_lshl_add_u32 v18, v1, 2, v18
	ds_read_b32 v18, v18 offset:576
	s_waitcnt lgkmcnt(0)
	v_add_f32_e32 v15, v15, v18
	s_or_b64 exec, exec, s[2:3]
	s_and_saveexec_b64 s[2:3], vcc
	s_cbranch_execz .LBB125_92
.LBB125_112:
	v_mov_b32_e32 v18, 0x210
	v_lshl_add_u32 v18, v1, 2, v18
	ds_read_b32 v18, v18 offset:640
	s_waitcnt lgkmcnt(0)
	v_add_f32_e32 v12, v12, v18
	s_or_b64 exec, exec, s[2:3]
	s_and_saveexec_b64 s[2:3], vcc
	s_cbranch_execz .LBB125_93
.LBB125_113:
	v_mov_b32_e32 v18, 0x210
	v_lshl_add_u32 v18, v1, 2, v18
	ds_read_b32 v18, v18 offset:704
	s_waitcnt lgkmcnt(0)
	v_add_f32_e32 v13, v13, v18
	s_or_b64 exec, exec, s[2:3]
	s_and_saveexec_b64 s[2:3], vcc
	s_cbranch_execz .LBB125_94
.LBB125_114:
	v_mov_b32_e32 v18, 0x210
	v_lshl_add_u32 v18, v1, 2, v18
	ds_read_b32 v18, v18 offset:768
	s_waitcnt lgkmcnt(0)
	v_add_f32_e32 v10, v10, v18
	s_or_b64 exec, exec, s[2:3]
	s_and_saveexec_b64 s[2:3], vcc
	s_cbranch_execz .LBB125_95
.LBB125_115:
	v_mov_b32_e32 v18, 0x210
	v_lshl_add_u32 v18, v1, 2, v18
	ds_read_b32 v18, v18 offset:832
	s_waitcnt lgkmcnt(0)
	v_add_f32_e32 v11, v11, v18
	s_or_b64 exec, exec, s[2:3]
	s_and_saveexec_b64 s[2:3], vcc
	s_cbranch_execz .LBB125_96
.LBB125_116:
	v_mov_b32_e32 v18, 0x210
	v_lshl_add_u32 v18, v1, 2, v18
	ds_read_b32 v18, v18 offset:896
	s_waitcnt lgkmcnt(0)
	v_add_f32_e32 v8, v8, v18
	s_or_b64 exec, exec, s[2:3]
	s_and_saveexec_b64 s[2:3], vcc
	s_cbranch_execnz .LBB125_97
	s_branch .LBB125_98
	.section	.rodata,"a",@progbits
	.p2align	6, 0x0
	.amdhsa_kernel _ZN4vllm25paged_attention_v2_kernelIttLi256ELi32ELi128ELNS_18Fp8KVCacheDataTypeE0ELb0ELi512EEEvPfS2_PT_PKS3_PKT0_S9_ifPKiSB_iPKfiiiSD_SD_iiiii
		.amdhsa_group_segment_fixed_size 528
		.amdhsa_private_segment_fixed_size 0
		.amdhsa_kernarg_size 400
		.amdhsa_user_sgpr_count 2
		.amdhsa_user_sgpr_dispatch_ptr 0
		.amdhsa_user_sgpr_queue_ptr 0
		.amdhsa_user_sgpr_kernarg_segment_ptr 1
		.amdhsa_user_sgpr_dispatch_id 0
		.amdhsa_user_sgpr_kernarg_preload_length 0
		.amdhsa_user_sgpr_kernarg_preload_offset 0
		.amdhsa_user_sgpr_private_segment_size 0
		.amdhsa_uses_dynamic_stack 0
		.amdhsa_enable_private_segment 0
		.amdhsa_system_sgpr_workgroup_id_x 1
		.amdhsa_system_sgpr_workgroup_id_y 1
		.amdhsa_system_sgpr_workgroup_id_z 1
		.amdhsa_system_sgpr_workgroup_info 0
		.amdhsa_system_vgpr_workitem_id 0
		.amdhsa_next_free_vgpr 106
		.amdhsa_next_free_sgpr 47
		.amdhsa_accum_offset 108
		.amdhsa_reserve_vcc 1
		.amdhsa_float_round_mode_32 0
		.amdhsa_float_round_mode_16_64 0
		.amdhsa_float_denorm_mode_32 3
		.amdhsa_float_denorm_mode_16_64 3
		.amdhsa_dx10_clamp 1
		.amdhsa_ieee_mode 1
		.amdhsa_fp16_overflow 0
		.amdhsa_tg_split 0
		.amdhsa_exception_fp_ieee_invalid_op 0
		.amdhsa_exception_fp_denorm_src 0
		.amdhsa_exception_fp_ieee_div_zero 0
		.amdhsa_exception_fp_ieee_overflow 0
		.amdhsa_exception_fp_ieee_underflow 0
		.amdhsa_exception_fp_ieee_inexact 0
		.amdhsa_exception_int_div_zero 0
	.end_amdhsa_kernel
	.section	.text._ZN4vllm25paged_attention_v2_kernelIttLi256ELi32ELi128ELNS_18Fp8KVCacheDataTypeE0ELb0ELi512EEEvPfS2_PT_PKS3_PKT0_S9_ifPKiSB_iPKfiiiSD_SD_iiiii,"axG",@progbits,_ZN4vllm25paged_attention_v2_kernelIttLi256ELi32ELi128ELNS_18Fp8KVCacheDataTypeE0ELb0ELi512EEEvPfS2_PT_PKS3_PKT0_S9_ifPKiSB_iPKfiiiSD_SD_iiiii,comdat
.Lfunc_end125:
	.size	_ZN4vllm25paged_attention_v2_kernelIttLi256ELi32ELi128ELNS_18Fp8KVCacheDataTypeE0ELb0ELi512EEEvPfS2_PT_PKS3_PKT0_S9_ifPKiSB_iPKfiiiSD_SD_iiiii, .Lfunc_end125-_ZN4vllm25paged_attention_v2_kernelIttLi256ELi32ELi128ELNS_18Fp8KVCacheDataTypeE0ELb0ELi512EEEvPfS2_PT_PKS3_PKT0_S9_ifPKiSB_iPKfiiiSD_SD_iiiii
                                        ; -- End function
	.section	.AMDGPU.csdata,"",@progbits
; Kernel info:
; codeLenInByte = 15392
; NumSgprs: 53
; NumVgprs: 106
; NumAgprs: 0
; TotalNumVgprs: 106
; ScratchSize: 0
; MemoryBound: 0
; FloatMode: 240
; IeeeMode: 1
; LDSByteSize: 528 bytes/workgroup (compile time only)
; SGPRBlocks: 6
; VGPRBlocks: 13
; NumSGPRsForWavesPerEU: 53
; NumVGPRsForWavesPerEU: 106
; AccumOffset: 108
; Occupancy: 4
; WaveLimiterHint : 1
; COMPUTE_PGM_RSRC2:SCRATCH_EN: 0
; COMPUTE_PGM_RSRC2:USER_SGPR: 2
; COMPUTE_PGM_RSRC2:TRAP_HANDLER: 0
; COMPUTE_PGM_RSRC2:TGID_X_EN: 1
; COMPUTE_PGM_RSRC2:TGID_Y_EN: 1
; COMPUTE_PGM_RSRC2:TGID_Z_EN: 1
; COMPUTE_PGM_RSRC2:TIDIG_COMP_CNT: 0
; COMPUTE_PGM_RSRC3_GFX90A:ACCUM_OFFSET: 26
; COMPUTE_PGM_RSRC3_GFX90A:TG_SPLIT: 0
	.section	.text._ZN4vllm25paged_attention_v2_kernelI14__hip_bfloat16S1_Li32ELi8ELi128ELNS_18Fp8KVCacheDataTypeE0ELb1ELi512EEEvPfS3_PT_PKS4_PKT0_SA_ifPKiSC_iPKfiiiSE_SE_iiiii,"axG",@progbits,_ZN4vllm25paged_attention_v2_kernelI14__hip_bfloat16S1_Li32ELi8ELi128ELNS_18Fp8KVCacheDataTypeE0ELb1ELi512EEEvPfS3_PT_PKS4_PKT0_SA_ifPKiSC_iPKfiiiSE_SE_iiiii,comdat
	.protected	_ZN4vllm25paged_attention_v2_kernelI14__hip_bfloat16S1_Li32ELi8ELi128ELNS_18Fp8KVCacheDataTypeE0ELb1ELi512EEEvPfS3_PT_PKS4_PKT0_SA_ifPKiSC_iPKfiiiSE_SE_iiiii ; -- Begin function _ZN4vllm25paged_attention_v2_kernelI14__hip_bfloat16S1_Li32ELi8ELi128ELNS_18Fp8KVCacheDataTypeE0ELb1ELi512EEEvPfS3_PT_PKS4_PKT0_SA_ifPKiSC_iPKfiiiSE_SE_iiiii
	.globl	_ZN4vllm25paged_attention_v2_kernelI14__hip_bfloat16S1_Li32ELi8ELi128ELNS_18Fp8KVCacheDataTypeE0ELb1ELi512EEEvPfS3_PT_PKS4_PKT0_SA_ifPKiSC_iPKfiiiSE_SE_iiiii
	.p2align	8
	.type	_ZN4vllm25paged_attention_v2_kernelI14__hip_bfloat16S1_Li32ELi8ELi128ELNS_18Fp8KVCacheDataTypeE0ELb1ELi512EEEvPfS3_PT_PKS4_PKT0_SA_ifPKiSC_iPKfiiiSE_SE_iiiii,@function
_ZN4vllm25paged_attention_v2_kernelI14__hip_bfloat16S1_Li32ELi8ELi128ELNS_18Fp8KVCacheDataTypeE0ELb1ELi512EEEvPfS3_PT_PKS4_PKT0_SA_ifPKiSC_iPKfiiiSE_SE_iiiii: ; @_ZN4vllm25paged_attention_v2_kernelI14__hip_bfloat16S1_Li32ELi8ELi128ELNS_18Fp8KVCacheDataTypeE0ELb1ELi512EEEvPfS3_PT_PKS4_PKT0_SA_ifPKiSC_iPKfiiiSE_SE_iiiii
; %bb.0:
	s_load_dwordx2 s[6:7], s[0:1], 0x40
	s_mov_b32 s28, s3
	s_ashr_i32 s29, s3, 31
	s_lshl_b64 s[8:9], s[28:29], 2
	s_waitcnt lgkmcnt(0)
	s_add_u32 s6, s6, s8
	s_addc_u32 s7, s7, s9
	s_load_dword s29, s[6:7], 0x0
	s_lshl_b32 s48, s4, 9
	s_waitcnt lgkmcnt(0)
	s_cmp_ge_i32 s48, s29
	s_cbranch_scc1 .LBB126_131
; %bb.1:
	s_load_dword s5, s[0:1], 0x90
	s_load_dwordx2 s[38:39], s[0:1], 0x30
	s_mov_b32 s49, 0
	s_waitcnt lgkmcnt(0)
	s_abs_i32 s7, s5
	s_abs_i32 s3, s38
	v_cvt_f32_u32_e32 v1, s3
	s_sub_i32 s8, 0, s3
	s_xor_b32 s6, s5, s38
	s_ashr_i32 s6, s6, 31
	v_rcp_iflag_f32_e32 v1, v1
	s_nop 0
	v_mul_f32_e32 v1, 0x4f7ffffe, v1
	v_cvt_u32_f32_e32 v1, v1
	s_nop 0
	v_readfirstlane_b32 s9, v1
	s_mul_i32 s8, s8, s9
	s_mul_hi_u32 s8, s9, s8
	s_add_i32 s9, s9, s8
	s_mul_hi_u32 s8, s7, s9
	s_mul_i32 s9, s8, s3
	s_sub_i32 s7, s7, s9
	s_add_i32 s10, s8, 1
	s_sub_i32 s9, s7, s3
	s_cmp_ge_u32 s7, s3
	s_cselect_b32 s8, s10, s8
	s_cselect_b32 s7, s9, s7
	s_add_i32 s9, s8, 1
	s_cmp_ge_u32 s7, s3
	s_cselect_b32 s3, s9, s8
	s_xor_b32 s3, s3, s6
	s_sub_i32 s11, s3, s6
	s_abs_i32 s8, s11
	v_cvt_f32_u32_e32 v1, s8
	s_load_dwordx2 s[6:7], s[0:1], 0x50
	s_sub_i32 s3, 0, s8
	s_abs_i32 s9, s2
	v_rcp_iflag_f32_e32 v1, v1
	s_nop 0
	v_mul_f32_e32 v1, 0x4f7ffffe, v1
	v_cvt_u32_f32_e32 v1, v1
	s_nop 0
	v_readfirstlane_b32 s10, v1
	s_mul_i32 s3, s3, s10
	s_mul_hi_u32 s3, s10, s3
	s_add_i32 s10, s10, s3
	s_waitcnt lgkmcnt(0)
	s_cmp_eq_u64 s[6:7], 0
	s_mul_hi_u32 s10, s9, s10
	s_cbranch_scc1 .LBB126_3
; %bb.2:
	s_ashr_i32 s3, s2, 31
	s_lshl_b64 s[12:13], s[2:3], 2
	s_add_u32 s6, s6, s12
	s_addc_u32 s7, s7, s13
	s_load_dword s49, s[6:7], 0x0
.LBB126_3:
	s_load_dwordx4 s[12:15], s[0:1], 0x58
	s_ashr_i32 s3, s2, 31
	s_ashr_i32 s11, s11, 31
	v_and_b32_e32 v4, 7, v0
	s_lshl_b32 s24, s2, 5
	v_cmp_gt_u32_e32 vcc, 32, v0
	s_and_saveexec_b64 s[6:7], vcc
	s_cbranch_execz .LBB126_5
; %bb.4:
	s_load_dwordx2 s[16:17], s[0:1], 0x18
	s_waitcnt lgkmcnt(0)
	s_mul_i32 s18, s28, s12
	s_ashr_i32 s19, s18, 31
	s_lshl_b64 s[18:19], s[18:19], 1
	v_lshlrev_b32_e32 v1, 1, v0
	s_add_u32 s12, s16, s18
	s_addc_u32 s15, s17, s19
	s_ashr_i32 s25, s24, 31
	s_lshl_b64 s[16:17], s[24:25], 1
	s_add_u32 s16, s12, s16
	s_addc_u32 s17, s15, s17
	global_load_ushort v1, v1, s[16:17]
	v_lshrrev_b32_e32 v2, 2, v0
	v_and_b32_e32 v2, 0xfe, v2
	v_lshl_add_u32 v2, v4, 3, v2
	s_waitcnt vmcnt(0)
	ds_write_b16 v2, v1
.LBB126_5:
	s_or_b64 exec, exec, s[6:7]
	s_mul_i32 s6, s10, s8
	s_sub_i32 s6, s9, s6
	s_xor_b32 s3, s3, s11
	s_add_i32 s7, s10, 1
	s_sub_i32 s9, s6, s8
	s_load_dwordx4 s[16:19], s[0:1], 0x78
	s_cmp_ge_u32 s6, s8
	s_cselect_b32 s7, s7, s10
	s_load_dword s10, s[0:1], 0x88
	s_cselect_b32 s6, s9, s6
	s_add_i32 s9, s7, 1
	s_cmp_ge_u32 s6, s8
	s_cselect_b32 s6, s9, s7
	s_waitcnt lgkmcnt(0)
	s_abs_i32 s25, s19
	v_cvt_f32_u32_e32 v1, s25
	s_xor_b32 s6, s6, s3
	s_sub_i32 s8, s6, s3
	s_sub_i32 s6, 0, s25
	v_rcp_iflag_f32_e32 v1, v1
	s_add_i32 s11, s29, -1
	s_abs_i32 s3, s11
	v_mul_f32_e32 v1, 0x4f7ffffe, v1
	v_cvt_u32_f32_e32 v1, v1
	s_barrier
	v_readfirstlane_b32 s33, v1
	s_mul_i32 s6, s6, s33
	s_mul_hi_u32 s6, s33, s6
	s_add_i32 s33, s33, s6
	s_cmp_lt_i32 s10, 0
	s_mul_hi_u32 s9, s3, s33
	s_cbranch_scc0 .LBB126_7
; %bb.6:
	s_mul_i32 s6, s16, s38
	s_add_i32 s6, s8, s6
	s_mul_i32 s6, s6, s10
	s_sub_i32 s46, 1, s6
	s_mov_b64 s[6:7], 0
	s_branch .LBB126_8
.LBB126_7:
	s_mov_b64 s[6:7], -1
                                        ; implicit-def: $sgpr46
.LBB126_8:
	s_load_dwordx2 s[30:31], s[0:1], 0x38
	s_ashr_i32 s11, s11, 31
	s_andn2_b64 vcc, exec, s[6:7]
	s_ashr_i32 s19, s19, 31
	s_cbranch_vccnz .LBB126_10
; %bb.9:
	s_mul_i32 s6, s5, s16
	s_add_i32 s6, s6, s2
	s_mul_i32 s6, s6, s10
	s_add_i32 s46, s6, 1
.LBB126_10:
	s_load_dword s6, s[0:1], 0x48
	s_load_dwordx2 s[36:37], s[0:1], 0x28
	s_load_dword s16, s[0:1], 0x98
	s_load_dwordx4 s[20:23], s[0:1], 0x0
	s_load_dwordx2 s[26:27], s[0:1], 0x10
	s_mul_i32 s7, s9, s25
	s_waitcnt lgkmcnt(0)
	s_mul_i32 s34, s28, s6
	s_sub_i32 s3, s3, s7
	s_ashr_i32 s35, s34, 31
	s_xor_b32 s6, s11, s19
	s_add_i32 s7, s9, 1
	s_sub_i32 s10, s3, s25
	s_cmp_ge_u32 s3, s25
	s_cselect_b32 s7, s7, s9
	s_cselect_b32 s3, s10, s3
	s_add_i32 s9, s7, 1
	s_cmp_ge_u32 s3, s25
	s_cselect_b32 s3, s9, s7
	s_xor_b32 s3, s3, s6
	s_sub_i32 s12, s3, s6
	s_add_i32 s3, s29, 7
	s_ashr_i32 s6, s3, 31
	s_lshr_b32 s6, s6, 29
	s_add_i32 s3, s3, s6
	s_lshl_b32 s38, s4, 6
	s_ashr_i32 s3, s3, 3
	s_add_i32 s6, s38, 64
	v_lshrrev_b32_e32 v6, 6, v0
	s_min_i32 s47, s6, s3
	v_or_b32_e32 v10, s38, v6
	v_cmp_gt_i32_e64 s[6:7], s47, v10
	v_mov_b32_e32 v12, 0xff7fffff
	s_mul_i32 s14, s8, s14
	v_ashrrev_i32_e32 v11, 31, v10
	v_lshl_add_u32 v1, v6, 3, s48
	v_mbcnt_lo_u32_b32 v7, -1, 0
	s_and_saveexec_b64 s[40:41], s[6:7]
	s_cbranch_execz .LBB126_20
; %bb.11:
	s_load_dwordx2 s[0:1], s[0:1], 0x20
	s_ashr_i32 s15, s14, 31
	s_sub_i32 s50, s12, s17
	s_lshl_b64 s[8:9], s[14:15], 1
	v_bfe_u32 v8, v0, 3, 3
	s_waitcnt lgkmcnt(0)
	s_add_u32 s0, s0, s8
	s_addc_u32 s1, s1, s9
	s_abs_i32 s15, s18
	v_cvt_f32_u32_e32 v5, s15
	v_lshlrev_b32_e32 v2, 4, v8
	v_mov_b32_e32 v3, 0
	v_lshl_add_u64 v[12:13], s[0:1], 0, v[2:3]
	v_rcp_iflag_f32_e32 v5, v5
	v_lshlrev_b32_e32 v2, 1, v4
	v_lshl_add_u64 v[2:3], v[12:13], 0, v[2:3]
	s_sub_i32 s8, 0, s15
	v_mul_f32_e32 v5, 0x4f7ffffe, v5
	v_cvt_u32_f32_e32 v5, v5
	v_lshlrev_b32_e32 v12, 2, v8
	v_cmp_eq_u32_e32 vcc, 0, v4
	v_lshlrev_b32_e32 v9, 3, v4
	v_mul_lo_u32 v4, s8, v5
	s_lshl_b64 s[8:9], s[34:35], 2
	v_lshl_or_b32 v12, v6, 5, v12
	s_add_u32 s8, s30, s8
	v_add_u32_e32 v15, 0x50, v12
	v_subrev_u32_e32 v12, s29, v8
	v_mbcnt_hi_u32_b32 v18, -1, v7
	v_mul_hi_u32 v4, v5, v4
	s_addc_u32 s9, s31, s9
	v_add_u32_e32 v16, 1, v12
	v_and_b32_e32 v12, 64, v18
	s_mov_b32 s51, s13
	v_cmp_neq_f32_e64 s[0:1], s49, 0
	v_add_u32_e32 v13, v5, v4
	v_lshl_add_u64 v[4:5], v[10:11], 2, s[8:9]
	v_lshl_add_u32 v14, v6, 3, s48
	s_mov_b64 s[42:43], 0
	v_mov_b32_e32 v17, 0xff7fffff
	v_add_u32_e32 v19, 64, v12
	v_xor_b32_e32 v20, 4, v18
	v_xor_b32_e32 v21, 2, v18
	;; [unrolled: 1-line block ×3, first 2 shown]
	v_mov_b32_e32 v12, 0xff7fffff
	v_mov_b32_e32 v23, v10
	s_branch .LBB126_14
.LBB126_12:                             ;   in Loop: Header=BB126_14 Depth=1
	s_or_b64 exec, exec, s[44:45]
.LBB126_13:                             ;   in Loop: Header=BB126_14 Depth=1
	s_or_b64 exec, exec, s[10:11]
	v_add_u32_e32 v23, 2, v23
	v_cmp_le_i32_e64 s[8:9], s47, v23
	v_lshl_add_u64 v[4:5], v[4:5], 0, 8
	v_add_u32_e32 v14, 16, v14
	s_or_b64 s[42:43], s[8:9], s[42:43]
	v_add_u32_e32 v15, 64, v15
	s_andn2_b64 exec, exec, s[42:43]
	s_cbranch_execz .LBB126_19
.LBB126_14:                             ; =>This Inner Loop Header: Depth=1
	s_waitcnt lgkmcnt(0)
	v_sub_u32_e32 v25, 0, v14
	v_max_i32_e32 v25, v14, v25
	v_mul_hi_u32 v26, v25, s33
	v_mul_lo_u32 v27, v26, s25
	v_sub_u32_e32 v25, v25, v27
	v_add_u32_e32 v27, 1, v26
	v_cmp_le_u32_e64 s[8:9], s25, v25
	v_ashrrev_i32_e32 v24, 31, v14
	v_xor_b32_e32 v24, s19, v24
	v_cndmask_b32_e64 v26, v26, v27, s[8:9]
	v_subrev_u32_e32 v27, s25, v25
	v_cndmask_b32_e64 v25, v25, v27, s[8:9]
	v_add_u32_e32 v27, 1, v26
	v_cmp_le_u32_e64 s[8:9], s25, v25
	s_nop 1
	v_cndmask_b32_e64 v25, v26, v27, s[8:9]
	v_xor_b32_e32 v25, v25, v24
	v_sub_u32_e32 v24, v25, v24
	v_add_u32_e32 v25, s46, v24
	v_sub_u32_e32 v27, 0, v25
	v_ashrrev_i32_e32 v26, 31, v25
	v_max_i32_e32 v25, v25, v27
	v_mul_hi_u32 v27, v25, v13
	v_mul_lo_u32 v27, v27, s15
	v_sub_u32_e32 v25, v25, v27
	v_subrev_u32_e32 v27, s15, v25
	v_cmp_le_u32_e64 s[8:9], s15, v25
	v_cmp_ge_i32_e64 s[10:11], s50, v24
	s_nop 0
	v_cndmask_b32_e64 v25, v25, v27, s[8:9]
	v_subrev_u32_e32 v27, s15, v25
	v_cmp_le_u32_e64 s[8:9], s15, v25
	s_nop 1
	v_cndmask_b32_e64 v25, v25, v27, s[8:9]
	v_xor_b32_e32 v25, v25, v26
	v_sub_u32_e32 v25, v25, v26
	v_cmp_ne_u32_e64 s[8:9], 0, v25
	s_and_b64 s[8:9], s[8:9], s[10:11]
	s_and_b64 s[44:45], vcc, s[8:9]
	s_and_saveexec_b64 s[10:11], s[44:45]
	s_cbranch_execz .LBB126_16
; %bb.15:                               ;   in Loop: Header=BB126_14 Depth=1
	ds_write_b32 v15, v17
.LBB126_16:                             ;   in Loop: Header=BB126_14 Depth=1
	s_or_b64 exec, exec, s[10:11]
	s_xor_b64 s[8:9], s[8:9], -1
	s_and_saveexec_b64 s[10:11], s[8:9]
	s_cbranch_execz .LBB126_13
; %bb.17:                               ;   in Loop: Header=BB126_14 Depth=1
	global_load_dword v24, v[4:5], off
	s_waitcnt vmcnt(0)
	v_mad_i64_i32 v[24:25], s[8:9], v24, s51, 0
	v_lshl_add_u64 v[24:25], v[24:25], 1, v[2:3]
	global_load_ushort v26, v[24:25], off
	global_load_ushort v27, v[24:25], off offset:128
	global_load_ushort v28, v[24:25], off offset:256
	global_load_ushort v29, v[24:25], off offset:384
	ds_read_b64 v[24:25], v9
	v_cmp_lt_i32_e64 s[8:9], v20, v19
	s_waitcnt lgkmcnt(0)
	v_lshlrev_b32_e32 v31, 16, v24
	v_and_b32_e32 v24, 0xffff0000, v24
	v_lshlrev_b32_e32 v32, 16, v25
	v_cndmask_b32_e64 v30, v18, v20, s[8:9]
	v_and_b32_e32 v25, 0xffff0000, v25
	v_lshlrev_b32_e32 v30, 2, v30
	v_cmp_lt_i32_e64 s[8:9], v21, v19
	s_waitcnt vmcnt(3)
	v_lshlrev_b32_e32 v26, 16, v26
	s_waitcnt vmcnt(2)
	v_lshlrev_b32_e32 v27, 16, v27
	v_mul_f32_e32 v24, v24, v27
	s_waitcnt vmcnt(1)
	v_lshlrev_b32_e32 v28, 16, v28
	v_fmac_f32_e32 v24, v31, v26
	v_fmac_f32_e32 v24, v32, v28
	s_waitcnt vmcnt(0)
	v_lshlrev_b32_e32 v26, 16, v29
	v_fmac_f32_e32 v24, v25, v26
	ds_bpermute_b32 v25, v30, v24
	v_cndmask_b32_e64 v26, v18, v21, s[8:9]
	v_lshlrev_b32_e32 v26, 2, v26
	v_cmp_lt_i32_e64 s[8:9], v22, v19
	s_waitcnt lgkmcnt(0)
	v_add_f32_e32 v24, v24, v25
	ds_bpermute_b32 v25, v26, v24
	v_cndmask_b32_e64 v26, v18, v22, s[8:9]
	v_lshlrev_b32_e32 v26, 2, v26
	s_waitcnt lgkmcnt(0)
	v_add_f32_e32 v24, v24, v25
	ds_bpermute_b32 v25, v26, v24
	s_and_saveexec_b64 s[44:45], vcc
	s_cbranch_execz .LBB126_12
; %bb.18:                               ;   in Loop: Header=BB126_14 Depth=1
	v_add_u32_e32 v26, v16, v14
	v_cvt_f32_i32_e32 v26, v26
	s_waitcnt lgkmcnt(0)
	v_add_f32_e32 v24, v24, v25
	v_add_u32_e32 v27, v8, v14
	v_cmp_gt_i32_e64 s[8:9], s29, v27
	v_mul_f32_e32 v25, s49, v26
	v_cndmask_b32_e64 v25, 0, v25, s[0:1]
	v_fmac_f32_e32 v25, s39, v24
	v_cndmask_b32_e64 v24, 0, v25, s[8:9]
	ds_write_b32 v15, v24
	v_max_f32_e32 v24, v12, v12
	v_max_f32_e32 v24, v24, v25
	v_cndmask_b32_e64 v12, v12, v24, s[8:9]
	s_branch .LBB126_12
.LBB126_19:
	s_or_b64 exec, exec, s[42:43]
.LBB126_20:
	s_or_b64 exec, exec, s[40:41]
	v_mbcnt_hi_u32_b32 v2, -1, v7
	v_and_b32_e32 v3, 64, v2
	v_add_u32_e32 v3, 64, v3
	v_xor_b32_e32 v4, 32, v2
	v_cmp_lt_i32_e32 vcc, v4, v3
	v_xor_b32_e32 v8, 16, v2
	v_max_f32_e32 v5, v12, v12
	v_cndmask_b32_e32 v4, v2, v4, vcc
	v_lshlrev_b32_e32 v7, 2, v4
	ds_bpermute_b32 v4, v7, v12
	v_cmp_lt_i32_e32 vcc, v8, v3
	v_and_b32_e32 v18, 63, v0
	s_waitcnt lgkmcnt(0)
	v_max_f32_e32 v4, v4, v4
	v_max_f32_e32 v4, v5, v4
	v_cndmask_b32_e32 v5, v2, v8, vcc
	v_lshlrev_b32_e32 v9, 2, v5
	ds_bpermute_b32 v5, v9, v4
	v_xor_b32_e32 v8, 8, v2
	v_cmp_lt_i32_e32 vcc, v8, v3
	s_waitcnt lgkmcnt(0)
	v_max_f32_e32 v5, v5, v5
	v_max_f32_e32 v4, v4, v5
	v_cndmask_b32_e32 v5, v2, v8, vcc
	v_lshlrev_b32_e32 v12, 2, v5
	ds_bpermute_b32 v8, v12, v4
	v_cmp_eq_u32_e32 vcc, 0, v18
	v_lshlrev_b32_e32 v5, 2, v6
	s_and_saveexec_b64 s[0:1], vcc
	s_cbranch_execz .LBB126_22
; %bb.21:
	s_waitcnt lgkmcnt(0)
	v_max_f32_e32 v8, v8, v8
	v_max_f32_e32 v4, v4, v4
	;; [unrolled: 1-line block ×3, first 2 shown]
	ds_write_b32 v5, v4 offset:64
.LBB126_22:
	s_or_b64 exec, exec, s[0:1]
	v_cmp_gt_u32_e64 s[0:1], 2, v18
	v_mov_b32_e32 v4, 0xff7fffff
	s_waitcnt lgkmcnt(0)
	v_lshlrev_b32_e32 v8, 2, v18
	s_barrier
	s_and_saveexec_b64 s[8:9], s[0:1]
	s_cbranch_execz .LBB126_24
; %bb.23:
	ds_read_b32 v4, v8 offset:64
.LBB126_24:
	s_or_b64 exec, exec, s[8:9]
	v_xor_b32_e32 v13, 1, v2
	v_cmp_lt_i32_e64 s[8:9], v13, v3
	v_mov_b32_e32 v15, 0
	s_nop 0
	v_cndmask_b32_e64 v13, v2, v13, s[8:9]
	v_lshlrev_b32_e32 v13, 2, v13
	s_waitcnt lgkmcnt(0)
	ds_bpermute_b32 v14, v13, v4
	v_max_f32_e32 v4, v4, v4
	s_sub_i32 s8, s47, s38
	s_lshl_b32 s8, s8, 3
	s_add_i32 s8, s8, s48
	s_waitcnt lgkmcnt(0)
	v_max_f32_e32 v14, v14, v14
	v_max_f32_e32 v4, v4, v14
	v_lshlrev_b32_e32 v14, 2, v2
	v_and_b32_e32 v14, 0x100, v14
	ds_bpermute_b32 v4, v14, v4
	s_min_i32 s42, s8, s29
	s_sub_i32 s15, s42, s48
	v_cmp_gt_i32_e64 s[8:9], s15, v0
	s_and_saveexec_b64 s[38:39], s[8:9]
	s_cbranch_execz .LBB126_28
; %bb.25:
	v_mov_b32_e32 v15, 0x50
	v_lshl_add_u32 v16, v0, 2, v15
	s_mov_b64 s[40:41], 0
	v_mov_b32_e32 v15, 0
	v_mov_b32_e32 v17, v0
.LBB126_26:                             ; =>This Inner Loop Header: Depth=1
	ds_read_b32 v19, v16
	v_add_u32_e32 v17, 0x80, v17
	v_cmp_le_i32_e64 s[10:11], s15, v17
	s_or_b64 s[40:41], s[10:11], s[40:41]
	s_waitcnt lgkmcnt(0)
	v_sub_f32_e32 v19, v19, v4
	v_mul_f32_e32 v19, 0x3fb8aa3b, v19
	v_exp_f32_e32 v19, v19
	ds_write_b32 v16, v19
	v_add_f32_e32 v15, v15, v19
	v_add_u32_e32 v16, 0x200, v16
	s_andn2_b64 exec, exec, s[40:41]
	s_cbranch_execnz .LBB126_26
; %bb.27:
	s_or_b64 exec, exec, s[40:41]
.LBB126_28:
	s_or_b64 exec, exec, s[38:39]
	ds_bpermute_b32 v7, v7, v15
	s_waitcnt lgkmcnt(0)
	v_add_f32_e32 v7, v15, v7
	ds_bpermute_b32 v9, v9, v7
	s_waitcnt lgkmcnt(0)
	v_add_f32_e32 v7, v7, v9
	ds_bpermute_b32 v9, v12, v7
	v_xor_b32_e32 v12, 4, v2
	v_cmp_lt_i32_e64 s[10:11], v12, v3
	s_waitcnt lgkmcnt(0)
	v_add_f32_e32 v7, v7, v9
	v_cndmask_b32_e64 v12, v2, v12, s[10:11]
	v_lshlrev_b32_e32 v12, 2, v12
	ds_bpermute_b32 v9, v12, v7
	v_xor_b32_e32 v12, 2, v2
	v_cmp_lt_i32_e64 s[10:11], v12, v3
	s_waitcnt lgkmcnt(0)
	v_add_f32_e32 v3, v7, v9
	v_cndmask_b32_e64 v2, v2, v12, s[10:11]
	v_lshlrev_b32_e32 v2, 2, v2
	ds_bpermute_b32 v2, v2, v3
	s_waitcnt lgkmcnt(0)
	v_add_f32_e32 v2, v3, v2
	ds_bpermute_b32 v3, v13, v2
	s_waitcnt lgkmcnt(0)
	v_add_f32_e32 v2, v2, v3
	s_and_saveexec_b64 s[10:11], vcc
	s_cbranch_execz .LBB126_30
; %bb.29:
	ds_write_b32 v5, v2 offset:72
.LBB126_30:
	s_or_b64 exec, exec, s[10:11]
	s_waitcnt lgkmcnt(0)
	s_barrier
	s_and_saveexec_b64 s[10:11], s[0:1]
	s_cbranch_execz .LBB126_32
; %bb.31:
	ds_read_b32 v2, v8 offset:72
.LBB126_32:
	s_or_b64 exec, exec, s[10:11]
	s_waitcnt lgkmcnt(0)
	ds_bpermute_b32 v3, v13, v2
	s_waitcnt lgkmcnt(0)
	v_add_f32_e32 v2, v2, v3
	ds_bpermute_b32 v5, v14, v2
	s_and_saveexec_b64 s[0:1], s[8:9]
	s_cbranch_execz .LBB126_45
; %bb.33:
	s_waitcnt lgkmcnt(0)
	v_add_f32_e32 v2, 0x358637bd, v5
	v_div_scale_f32 v3, s[8:9], v2, v2, 1.0
	v_rcp_f32_e32 v7, v3
	v_div_scale_f32 v8, vcc, 1.0, v2, 1.0
	s_movk_i32 s8, 0x7f
	v_fma_f32 v9, -v3, v7, 1.0
	v_fmac_f32_e32 v7, v9, v7
	v_mul_f32_e32 v9, v8, v7
	v_fma_f32 v12, -v3, v9, v8
	v_fmac_f32_e32 v9, v12, v7
	v_fma_f32 v3, -v3, v9, v8
	v_div_fmas_f32 v3, v3, v7, v9
	v_div_fixup_f32 v2, v3, v2, 1.0
	v_xad_u32 v3, v0, -1, s42
	v_subrev_u32_e32 v7, s48, v3
	v_cmp_lt_u32_e32 vcc, s8, v7
	s_mov_b64 s[10:11], -1
	v_mov_b32_e32 v3, v0
	s_and_saveexec_b64 s[8:9], vcc
	s_cbranch_execz .LBB126_42
; %bb.34:
	v_lshrrev_b32_e32 v7, 7, v7
	v_add_u32_e32 v9, -1, v7
	v_lshrrev_b32_e32 v8, 1, v9
	v_mov_b32_e32 v3, v2
	v_add_u32_e32 v8, 1, v8
	v_cmp_lt_u32_e32 vcc, 13, v9
	v_mov_b32_e32 v13, 0
	s_and_saveexec_b64 s[10:11], vcc
	s_cbranch_execz .LBB126_38
; %bb.35:
	v_mov_b32_e32 v12, 0x50
	v_and_b32_e32 v9, -8, v8
	v_lshl_add_u32 v12, v0, 2, v12
	s_mov_b32 s40, 0
	s_mov_b64 s[38:39], 0
.LBB126_36:                             ; =>This Inner Loop Header: Depth=1
	ds_read2st64_b32 v[14:15], v12 offset1:2
	ds_read2st64_b32 v[16:17], v12 offset0:4 offset1:6
	ds_read2st64_b32 v[20:21], v12 offset0:8 offset1:10
	;; [unrolled: 1-line block ×3, first 2 shown]
	v_add_u32_e32 v9, -8, v9
	s_waitcnt lgkmcnt(3)
	v_pk_mul_f32 v[14:15], v[2:3], v[14:15]
	s_waitcnt lgkmcnt(2)
	v_pk_mul_f32 v[16:17], v[2:3], v[16:17]
	ds_write2st64_b32 v12, v14, v15 offset1:2
	ds_write2st64_b32 v12, v16, v17 offset0:4 offset1:6
	ds_read2st64_b32 v[16:17], v12 offset0:16 offset1:18
	s_waitcnt lgkmcnt(4)
	v_pk_mul_f32 v[14:15], v[2:3], v[20:21]
	ds_write2st64_b32 v12, v14, v15 offset0:8 offset1:10
	s_waitcnt lgkmcnt(4)
	v_pk_mul_f32 v[14:15], v[2:3], v[22:23]
	ds_write2st64_b32 v12, v14, v15 offset0:12 offset1:14
	ds_read2st64_b32 v[14:15], v12 offset0:20 offset1:22
	s_waitcnt lgkmcnt(3)
	v_pk_mul_f32 v[16:17], v[2:3], v[16:17]
	ds_read2st64_b32 v[20:21], v12 offset0:24 offset1:26
	ds_write2st64_b32 v12, v16, v17 offset0:16 offset1:18
	ds_read2st64_b32 v[16:17], v12 offset0:28 offset1:30
	s_waitcnt lgkmcnt(3)
	v_pk_mul_f32 v[14:15], v[2:3], v[14:15]
	ds_write2st64_b32 v12, v14, v15 offset0:20 offset1:22
	s_waitcnt lgkmcnt(3)
	v_pk_mul_f32 v[14:15], v[2:3], v[20:21]
	ds_write2st64_b32 v12, v14, v15 offset0:24 offset1:26
	s_waitcnt lgkmcnt(2)
	v_pk_mul_f32 v[14:15], v[2:3], v[16:17]
	s_add_i32 s40, s40, 16
	v_cmp_eq_u32_e32 vcc, 0, v9
	ds_write2st64_b32 v12, v14, v15 offset0:28 offset1:30
	v_add_u32_e32 v12, 0x2000, v12
	s_or_b64 s[38:39], vcc, s[38:39]
	v_mov_b32_e32 v13, s40
	s_andn2_b64 exec, exec, s[38:39]
	s_cbranch_execnz .LBB126_36
; %bb.37:
	s_or_b64 exec, exec, s[38:39]
.LBB126_38:
	s_or_b64 exec, exec, s[10:11]
	v_and_b32_e32 v8, 7, v8
	v_cmp_ne_u32_e32 vcc, 0, v8
	s_and_saveexec_b64 s[10:11], vcc
	s_cbranch_execz .LBB126_41
; %bb.39:
	v_lshlrev_b32_e32 v9, 9, v13
	v_lshlrev_b32_e32 v12, 2, v0
	s_movk_i32 s38, 0x50
	v_add3_u32 v9, v9, v12, s38
	s_mov_b64 s[38:39], 0
.LBB126_40:                             ; =>This Inner Loop Header: Depth=1
	ds_read2st64_b32 v[12:13], v9 offset1:2
	v_add_u32_e32 v8, -1, v8
	v_cmp_eq_u32_e32 vcc, 0, v8
	s_or_b64 s[38:39], vcc, s[38:39]
	s_waitcnt lgkmcnt(0)
	v_pk_mul_f32 v[12:13], v[2:3], v[12:13]
	ds_write2st64_b32 v9, v12, v13 offset1:2
	v_add_u32_e32 v9, 0x400, v9
	s_andn2_b64 exec, exec, s[38:39]
	s_cbranch_execnz .LBB126_40
.LBB126_41:
	s_or_b64 exec, exec, s[10:11]
	v_add_u32_e32 v7, 1, v7
	v_and_b32_e32 v8, 0x3fffffe, v7
	v_cmp_ne_u32_e32 vcc, v7, v8
	v_lshl_add_u32 v3, v8, 7, v0
	s_orn2_b64 s[10:11], vcc, exec
.LBB126_42:
	s_or_b64 exec, exec, s[8:9]
	s_and_b64 exec, exec, s[10:11]
	s_cbranch_execz .LBB126_45
; %bb.43:
	v_mov_b32_e32 v7, 0x50
	v_lshl_add_u32 v7, v3, 2, v7
	s_mov_b64 s[8:9], 0
.LBB126_44:                             ; =>This Inner Loop Header: Depth=1
	ds_read_b32 v8, v7
	v_add_u32_e32 v3, 0x80, v3
	v_cmp_le_i32_e32 vcc, s15, v3
	s_or_b64 s[8:9], vcc, s[8:9]
	s_waitcnt lgkmcnt(0)
	v_mul_f32_e32 v8, v2, v8
	ds_write_b32 v7, v8
	v_add_u32_e32 v7, 0x200, v7
	s_andn2_b64 exec, exec, s[8:9]
	s_cbranch_execnz .LBB126_44
.LBB126_45:
	s_or_b64 exec, exec, s[0:1]
	s_mul_i32 s0, s16, s28
	v_cmp_eq_u32_e32 vcc, 0, v0
	s_mul_i32 s8, s0, s5
	s_waitcnt lgkmcnt(0)
	s_barrier
	s_and_saveexec_b64 s[0:1], vcc
	s_cbranch_execz .LBB126_47
; %bb.46:
	s_ashr_i32 s9, s8, 31
	s_lshl_b64 s[10:11], s[8:9], 2
	s_add_u32 s5, s22, s10
	s_mul_i32 s22, s16, s2
	s_addc_u32 s9, s23, s11
	s_ashr_i32 s23, s22, 31
	s_lshl_b64 s[22:23], s[22:23], 2
	s_add_u32 s2, s5, s22
	s_addc_u32 s9, s9, s23
	s_ashr_i32 s5, s4, 31
	s_lshl_b64 s[38:39], s[4:5], 2
	s_add_u32 s40, s2, s38
	s_addc_u32 s41, s9, s39
	s_add_u32 s2, s20, s10
	s_addc_u32 s5, s21, s11
	;; [unrolled: 2-line block ×3, first 2 shown]
	s_add_u32 s10, s2, s38
	v_mov_b32_e32 v2, 0
	s_addc_u32 s11, s5, s39
	global_store_dword v2, v4, s[40:41]
	global_store_dword v2, v5, s[10:11]
.LBB126_47:
	s_or_b64 exec, exec, s[0:1]
	v_mov_b32_e32 v12, 0
	s_and_saveexec_b64 s[10:11], s[6:7]
	s_cbranch_execz .LBB126_121
; %bb.48:
	s_ashr_i32 s15, s14, 31
	s_sub_i32 s5, s12, s17
	s_lshl_b64 s[0:1], s[14:15], 1
	s_add_u32 s0, s36, s0
	s_addc_u32 s1, s37, s1
	s_abs_i32 s9, s18
	v_cvt_f32_u32_e32 v2, s9
	v_lshlrev_b32_e32 v12, 4, v18
	v_mov_b32_e32 v13, 0
	v_lshl_add_u64 v[14:15], s[0:1], 0, v[12:13]
	v_rcp_iflag_f32_e32 v2, v2
	s_sub_i32 s0, 0, s9
	s_add_i32 s18, s3, -1
	v_cmp_gt_u32_e32 vcc, 32, v18
	v_mul_f32_e32 v2, 0x4f7ffffe, v2
	v_cvt_u32_f32_e32 v2, v2
	s_mov_b32 s17, s13
	s_mov_b64 s[6:7], 0
	s_mov_b32 s20, 0x7f800000
	v_mul_lo_u32 v3, s0, v2
	s_lshl_b64 s[0:1], s[34:35], 2
	v_mul_hi_u32 v3, v2, v3
	s_add_u32 s0, s30, s0
	v_add_u32_e32 v19, v2, v3
	s_addc_u32 s1, s31, s1
	v_mov_b32_e32 v2, 0x50
	v_lshl_add_u64 v[16:17], v[10:11], 2, s[0:1]
	v_lshl_add_u32 v11, v6, 5, v2
	s_movk_i32 s21, 0x7fff
	v_mov_b32_e32 v12, 0
	s_branch .LBB126_52
.LBB126_49:                             ;   in Loop: Header=BB126_52 Depth=1
	s_or_b64 exec, exec, s[14:15]
	v_and_b32_e32 v6, 0xffff0000, v8
	v_and_b32_e32 v9, 0xffff0000, v20
	v_and_b32_e32 v8, 0xffff0000, v22
	v_and_b32_e32 v3, 0xffff0000, v3
	v_and_b32_e32 v2, 0xffff0000, v2
	v_and_b32_e32 v7, 0xffff0000, v7
	v_and_b32_e32 v5, 0xffff0000, v5
	v_and_b32_e32 v4, 0xffff0000, v4
	v_pk_add_f32 v[2:3], v[2:3], v[8:9]
	v_pk_add_f32 v[4:5], v[4:5], v[6:7]
	v_add_f32_e32 v2, v2, v3
	v_add_f32_e32 v2, v2, v4
	;; [unrolled: 1-line block ×4, first 2 shown]
.LBB126_50:                             ;   in Loop: Header=BB126_52 Depth=1
	s_or_b64 exec, exec, s[12:13]
.LBB126_51:                             ;   in Loop: Header=BB126_52 Depth=1
	s_or_b64 exec, exec, s[2:3]
	v_add_u32_e32 v10, 2, v10
	v_cmp_le_i32_e64 s[0:1], s47, v10
	v_lshl_add_u64 v[16:17], v[16:17], 0, 8
	v_add_u32_e32 v1, 16, v1
	s_or_b64 s[6:7], s[0:1], s[6:7]
	v_add_u32_e32 v11, 64, v11
	s_andn2_b64 exec, exec, s[6:7]
	s_cbranch_execz .LBB126_120
.LBB126_52:                             ; =>This Inner Loop Header: Depth=1
	v_sub_u32_e32 v3, 0, v1
	v_max_i32_e32 v3, v1, v3
	v_mul_hi_u32 v4, v3, s33
	v_mul_lo_u32 v5, v4, s25
	v_sub_u32_e32 v3, v3, v5
	v_add_u32_e32 v5, 1, v4
	v_cmp_le_u32_e64 s[0:1], s25, v3
	v_ashrrev_i32_e32 v2, 31, v1
	v_xor_b32_e32 v2, s19, v2
	v_cndmask_b32_e64 v4, v4, v5, s[0:1]
	v_subrev_u32_e32 v5, s25, v3
	v_cndmask_b32_e64 v3, v3, v5, s[0:1]
	v_add_u32_e32 v5, 1, v4
	v_cmp_le_u32_e64 s[0:1], s25, v3
	s_nop 1
	v_cndmask_b32_e64 v3, v4, v5, s[0:1]
	v_xor_b32_e32 v3, v3, v2
	v_sub_u32_e32 v2, v3, v2
	v_add_u32_e32 v3, s46, v2
	v_sub_u32_e32 v5, 0, v3
	v_ashrrev_i32_e32 v4, 31, v3
	v_max_i32_e32 v3, v3, v5
	v_mul_hi_u32 v5, v3, v19
	v_mul_lo_u32 v5, v5, s9
	v_sub_u32_e32 v3, v3, v5
	v_subrev_u32_e32 v5, s9, v3
	v_cmp_le_u32_e64 s[0:1], s9, v3
	v_cmp_lt_i32_e64 s[2:3], s5, v2
	s_nop 0
	v_cndmask_b32_e64 v3, v3, v5, s[0:1]
	v_subrev_u32_e32 v5, s9, v3
	v_cmp_le_u32_e64 s[0:1], s9, v3
	s_nop 1
	v_cndmask_b32_e64 v3, v3, v5, s[0:1]
	v_xor_b32_e32 v3, v3, v4
	v_sub_u32_e32 v3, v3, v4
	v_cmp_eq_u32_e64 s[0:1], 0, v3
	s_or_b64 s[0:1], s[0:1], s[2:3]
	s_and_saveexec_b64 s[2:3], s[0:1]
	s_cbranch_execz .LBB126_51
; %bb.53:                               ;   in Loop: Header=BB126_52 Depth=1
	global_load_dword v24, v[16:17], off
	ds_read2_b64 v[6:9], v11 offset1:1
	ds_read2_b64 v[2:5], v11 offset0:2 offset1:3
                                        ; implicit-def: $vgpr23
	s_waitcnt lgkmcnt(1)
	v_and_b32_e32 v20, 0x7f800000, v6
	v_cmp_ne_u32_e64 s[0:1], s20, v20
	s_and_saveexec_b64 s[12:13], s[0:1]
	s_xor_b64 s[0:1], exec, s[12:13]
; %bb.54:                               ;   in Loop: Header=BB126_52 Depth=1
	v_bfe_u32 v20, v6, 16, 1
	v_add3_u32 v23, v6, v20, s21
; %bb.55:                               ;   in Loop: Header=BB126_52 Depth=1
	s_andn2_saveexec_b64 s[12:13], s[0:1]
; %bb.56:                               ;   in Loop: Header=BB126_52 Depth=1
	v_or_b32_e32 v20, 0x10000, v6
	v_cmp_eq_u32_sdwa s[0:1], v6, v13 src0_sel:WORD_0 src1_sel:DWORD
	s_nop 1
	v_cndmask_b32_e64 v23, v20, v6, s[0:1]
; %bb.57:                               ;   in Loop: Header=BB126_52 Depth=1
	s_or_b64 exec, exec, s[12:13]
	v_and_b32_e32 v6, 0x7f800000, v7
	v_cmp_ne_u32_e64 s[0:1], s20, v6
                                        ; implicit-def: $vgpr22
	s_and_saveexec_b64 s[12:13], s[0:1]
	s_xor_b64 s[0:1], exec, s[12:13]
; %bb.58:                               ;   in Loop: Header=BB126_52 Depth=1
	v_bfe_u32 v6, v7, 16, 1
	v_add3_u32 v22, v7, v6, s21
; %bb.59:                               ;   in Loop: Header=BB126_52 Depth=1
	s_andn2_saveexec_b64 s[12:13], s[0:1]
; %bb.60:                               ;   in Loop: Header=BB126_52 Depth=1
	v_or_b32_e32 v6, 0x10000, v7
	v_cmp_eq_u32_sdwa s[0:1], v7, v13 src0_sel:WORD_0 src1_sel:DWORD
	s_nop 1
	v_cndmask_b32_e64 v22, v6, v7, s[0:1]
; %bb.61:                               ;   in Loop: Header=BB126_52 Depth=1
	s_or_b64 exec, exec, s[12:13]
	v_and_b32_e32 v6, 0x7f800000, v8
	v_cmp_ne_u32_e64 s[0:1], s20, v6
                                        ; implicit-def: $vgpr21
	s_and_saveexec_b64 s[12:13], s[0:1]
	s_xor_b64 s[0:1], exec, s[12:13]
; %bb.62:                               ;   in Loop: Header=BB126_52 Depth=1
	v_bfe_u32 v6, v8, 16, 1
	v_add3_u32 v21, v8, v6, s21
; %bb.63:                               ;   in Loop: Header=BB126_52 Depth=1
	s_andn2_saveexec_b64 s[12:13], s[0:1]
; %bb.64:                               ;   in Loop: Header=BB126_52 Depth=1
	v_or_b32_e32 v6, 0x10000, v8
	v_cmp_eq_u32_sdwa s[0:1], v8, v13 src0_sel:WORD_0 src1_sel:DWORD
	s_nop 1
	v_cndmask_b32_e64 v21, v6, v8, s[0:1]
; %bb.65:                               ;   in Loop: Header=BB126_52 Depth=1
	s_or_b64 exec, exec, s[12:13]
	v_and_b32_e32 v6, 0x7f800000, v9
	v_cmp_ne_u32_e64 s[0:1], s20, v6
                                        ; implicit-def: $vgpr20
	s_and_saveexec_b64 s[12:13], s[0:1]
	s_xor_b64 s[0:1], exec, s[12:13]
; %bb.66:                               ;   in Loop: Header=BB126_52 Depth=1
	v_bfe_u32 v6, v9, 16, 1
	v_add3_u32 v20, v9, v6, s21
                                        ; implicit-def: $vgpr6_vgpr7_vgpr8_vgpr9
; %bb.67:                               ;   in Loop: Header=BB126_52 Depth=1
	s_andn2_saveexec_b64 s[12:13], s[0:1]
; %bb.68:                               ;   in Loop: Header=BB126_52 Depth=1
	v_or_b32_e32 v6, 0x10000, v9
	v_cmp_eq_u32_sdwa s[0:1], v9, v13 src0_sel:WORD_0 src1_sel:DWORD
	s_nop 1
	v_cndmask_b32_e64 v20, v6, v9, s[0:1]
; %bb.69:                               ;   in Loop: Header=BB126_52 Depth=1
	s_or_b64 exec, exec, s[12:13]
	s_waitcnt lgkmcnt(0)
	v_and_b32_e32 v6, 0x7f800000, v2
	v_cmp_ne_u32_e64 s[0:1], s20, v6
                                        ; implicit-def: $vgpr9
	s_and_saveexec_b64 s[12:13], s[0:1]
	s_xor_b64 s[0:1], exec, s[12:13]
; %bb.70:                               ;   in Loop: Header=BB126_52 Depth=1
	v_bfe_u32 v6, v2, 16, 1
	v_add3_u32 v9, v2, v6, s21
; %bb.71:                               ;   in Loop: Header=BB126_52 Depth=1
	s_andn2_saveexec_b64 s[12:13], s[0:1]
; %bb.72:                               ;   in Loop: Header=BB126_52 Depth=1
	v_or_b32_e32 v6, 0x10000, v2
	v_cmp_eq_u32_sdwa s[0:1], v2, v13 src0_sel:WORD_0 src1_sel:DWORD
	s_nop 1
	v_cndmask_b32_e64 v9, v6, v2, s[0:1]
; %bb.73:                               ;   in Loop: Header=BB126_52 Depth=1
	s_or_b64 exec, exec, s[12:13]
	v_and_b32_e32 v2, 0x7f800000, v3
	v_cmp_ne_u32_e64 s[0:1], s20, v2
                                        ; implicit-def: $vgpr8
	s_and_saveexec_b64 s[12:13], s[0:1]
	s_xor_b64 s[0:1], exec, s[12:13]
; %bb.74:                               ;   in Loop: Header=BB126_52 Depth=1
	v_bfe_u32 v2, v3, 16, 1
	v_add3_u32 v8, v3, v2, s21
; %bb.75:                               ;   in Loop: Header=BB126_52 Depth=1
	s_andn2_saveexec_b64 s[12:13], s[0:1]
; %bb.76:                               ;   in Loop: Header=BB126_52 Depth=1
	v_or_b32_e32 v2, 0x10000, v3
	v_cmp_eq_u32_sdwa s[0:1], v3, v13 src0_sel:WORD_0 src1_sel:DWORD
	s_nop 1
	v_cndmask_b32_e64 v8, v2, v3, s[0:1]
; %bb.77:                               ;   in Loop: Header=BB126_52 Depth=1
	s_or_b64 exec, exec, s[12:13]
	v_and_b32_e32 v2, 0x7f800000, v4
	v_cmp_ne_u32_e64 s[0:1], s20, v2
                                        ; implicit-def: $vgpr7
	s_and_saveexec_b64 s[12:13], s[0:1]
	s_xor_b64 s[0:1], exec, s[12:13]
; %bb.78:                               ;   in Loop: Header=BB126_52 Depth=1
	v_bfe_u32 v2, v4, 16, 1
	v_add3_u32 v7, v4, v2, s21
; %bb.79:                               ;   in Loop: Header=BB126_52 Depth=1
	s_andn2_saveexec_b64 s[12:13], s[0:1]
; %bb.80:                               ;   in Loop: Header=BB126_52 Depth=1
	v_or_b32_e32 v2, 0x10000, v4
	v_cmp_eq_u32_sdwa s[0:1], v4, v13 src0_sel:WORD_0 src1_sel:DWORD
	s_nop 1
	v_cndmask_b32_e64 v7, v2, v4, s[0:1]
; %bb.81:                               ;   in Loop: Header=BB126_52 Depth=1
	s_or_b64 exec, exec, s[12:13]
	v_and_b32_e32 v2, 0x7f800000, v5
	v_cmp_ne_u32_e64 s[0:1], s20, v2
                                        ; implicit-def: $vgpr6
	s_and_saveexec_b64 s[12:13], s[0:1]
	s_xor_b64 s[0:1], exec, s[12:13]
	s_cbranch_execnz .LBB126_84
; %bb.82:                               ;   in Loop: Header=BB126_52 Depth=1
	s_andn2_saveexec_b64 s[12:13], s[0:1]
	s_cbranch_execnz .LBB126_85
.LBB126_83:                             ;   in Loop: Header=BB126_52 Depth=1
	s_or_b64 exec, exec, s[12:13]
	s_and_saveexec_b64 s[12:13], vcc
	s_cbranch_execz .LBB126_50
	s_branch .LBB126_86
.LBB126_84:                             ;   in Loop: Header=BB126_52 Depth=1
	v_bfe_u32 v2, v5, 16, 1
	v_add3_u32 v6, v5, v2, s21
                                        ; implicit-def: $vgpr2_vgpr3_vgpr4_vgpr5
	s_andn2_saveexec_b64 s[12:13], s[0:1]
	s_cbranch_execz .LBB126_83
.LBB126_85:                             ;   in Loop: Header=BB126_52 Depth=1
	v_or_b32_e32 v2, 0x10000, v5
	v_cmp_eq_u32_sdwa s[0:1], v5, v13 src0_sel:WORD_0 src1_sel:DWORD
	s_nop 1
	v_cndmask_b32_e64 v6, v2, v5, s[0:1]
	s_or_b64 exec, exec, s[12:13]
	s_and_saveexec_b64 s[12:13], vcc
	s_cbranch_execz .LBB126_50
.LBB126_86:                             ;   in Loop: Header=BB126_52 Depth=1
	s_waitcnt vmcnt(0)
	v_mad_i64_i32 v[2:3], s[0:1], v24, s17, 0
	v_lshl_add_u64 v[2:3], v[2:3], 1, v[14:15]
	global_load_dwordx4 v[2:5], v[2:3], off
	v_cmp_eq_u32_e64 s[0:1], s18, v10
	s_waitcnt vmcnt(0)
	v_lshrrev_b32_e32 v27, 16, v2
	v_lshrrev_b32_e32 v26, 16, v3
	;; [unrolled: 1-line block ×4, first 2 shown]
	s_and_saveexec_b64 s[14:15], s[0:1]
	s_cbranch_execz .LBB126_88
; %bb.87:                               ;   in Loop: Header=BB126_52 Depth=1
	v_cmp_gt_i32_e64 s[0:1], s29, v1
	v_add_u32_e32 v28, 1, v1
	s_nop 0
	v_cndmask_b32_e64 v2, 0, v2, s[0:1]
	v_cmp_gt_i32_e64 s[0:1], s29, v28
	v_add_u32_e32 v28, 2, v1
	s_nop 0
	v_cndmask_b32_e64 v27, 0, v27, s[0:1]
	;; [unrolled: 4-line block ×7, first 2 shown]
	v_cmp_gt_i32_e64 s[0:1], s29, v28
	s_nop 1
	v_cndmask_b32_e64 v24, 0, v24, s[0:1]
.LBB126_88:                             ;   in Loop: Header=BB126_52 Depth=1
	s_or_b64 exec, exec, s[14:15]
	v_and_b32_e32 v23, 0xffff0000, v23
	v_lshlrev_b32_e32 v2, 16, v2
	v_mul_f32_e32 v23, v23, v2
	v_and_b32_e32 v2, 0x7f800000, v23
	v_cmp_ne_u32_e64 s[0:1], s20, v2
                                        ; implicit-def: $vgpr2
	s_and_saveexec_b64 s[14:15], s[0:1]
	s_xor_b64 s[0:1], exec, s[14:15]
; %bb.89:                               ;   in Loop: Header=BB126_52 Depth=1
	v_bfe_u32 v2, v23, 16, 1
	v_add3_u32 v2, v23, v2, s21
                                        ; implicit-def: $vgpr23
; %bb.90:                               ;   in Loop: Header=BB126_52 Depth=1
	s_andn2_saveexec_b64 s[14:15], s[0:1]
; %bb.91:                               ;   in Loop: Header=BB126_52 Depth=1
	v_or_b32_e32 v2, 0x10000, v23
	v_cmp_eq_u32_sdwa s[0:1], v23, v13 src0_sel:WORD_0 src1_sel:DWORD
	s_nop 1
	v_cndmask_b32_e64 v2, v2, v23, s[0:1]
; %bb.92:                               ;   in Loop: Header=BB126_52 Depth=1
	s_or_b64 exec, exec, s[14:15]
	v_and_b32_e32 v22, 0xffff0000, v22
	v_lshlrev_b32_e32 v23, 16, v27
	v_mul_f32_e32 v23, v22, v23
	v_and_b32_e32 v22, 0x7f800000, v23
	v_cmp_ne_u32_e64 s[0:1], s20, v22
                                        ; implicit-def: $vgpr22
	s_and_saveexec_b64 s[14:15], s[0:1]
	s_xor_b64 s[0:1], exec, s[14:15]
; %bb.93:                               ;   in Loop: Header=BB126_52 Depth=1
	v_bfe_u32 v22, v23, 16, 1
	v_add3_u32 v22, v23, v22, s21
                                        ; implicit-def: $vgpr23
; %bb.94:                               ;   in Loop: Header=BB126_52 Depth=1
	s_andn2_saveexec_b64 s[14:15], s[0:1]
; %bb.95:                               ;   in Loop: Header=BB126_52 Depth=1
	v_or_b32_e32 v22, 0x10000, v23
	v_cmp_eq_u32_sdwa s[0:1], v23, v13 src0_sel:WORD_0 src1_sel:DWORD
	s_nop 1
	v_cndmask_b32_e64 v22, v22, v23, s[0:1]
; %bb.96:                               ;   in Loop: Header=BB126_52 Depth=1
	s_or_b64 exec, exec, s[14:15]
	v_and_b32_e32 v21, 0xffff0000, v21
	v_lshlrev_b32_e32 v3, 16, v3
	v_mul_f32_e32 v21, v21, v3
	v_and_b32_e32 v3, 0x7f800000, v21
	v_cmp_ne_u32_e64 s[0:1], s20, v3
                                        ; implicit-def: $vgpr3
	s_and_saveexec_b64 s[14:15], s[0:1]
	s_xor_b64 s[0:1], exec, s[14:15]
; %bb.97:                               ;   in Loop: Header=BB126_52 Depth=1
	v_bfe_u32 v3, v21, 16, 1
	v_add3_u32 v3, v21, v3, s21
                                        ; implicit-def: $vgpr21
; %bb.98:                               ;   in Loop: Header=BB126_52 Depth=1
	s_andn2_saveexec_b64 s[14:15], s[0:1]
; %bb.99:                               ;   in Loop: Header=BB126_52 Depth=1
	v_or_b32_e32 v3, 0x10000, v21
	v_cmp_eq_u32_sdwa s[0:1], v21, v13 src0_sel:WORD_0 src1_sel:DWORD
	s_nop 1
	v_cndmask_b32_e64 v3, v3, v21, s[0:1]
; %bb.100:                              ;   in Loop: Header=BB126_52 Depth=1
	s_or_b64 exec, exec, s[14:15]
	v_and_b32_e32 v20, 0xffff0000, v20
	v_lshlrev_b32_e32 v21, 16, v26
	v_mul_f32_e32 v21, v20, v21
	v_and_b32_e32 v20, 0x7f800000, v21
	v_cmp_ne_u32_e64 s[0:1], s20, v20
                                        ; implicit-def: $vgpr20
	s_and_saveexec_b64 s[14:15], s[0:1]
	s_xor_b64 s[0:1], exec, s[14:15]
; %bb.101:                              ;   in Loop: Header=BB126_52 Depth=1
	v_bfe_u32 v20, v21, 16, 1
	v_add3_u32 v20, v21, v20, s21
                                        ; implicit-def: $vgpr21
; %bb.102:                              ;   in Loop: Header=BB126_52 Depth=1
	s_andn2_saveexec_b64 s[14:15], s[0:1]
; %bb.103:                              ;   in Loop: Header=BB126_52 Depth=1
	v_or_b32_e32 v20, 0x10000, v21
	v_cmp_eq_u32_sdwa s[0:1], v21, v13 src0_sel:WORD_0 src1_sel:DWORD
	s_nop 1
	v_cndmask_b32_e64 v20, v20, v21, s[0:1]
; %bb.104:                              ;   in Loop: Header=BB126_52 Depth=1
	s_or_b64 exec, exec, s[14:15]
	v_and_b32_e32 v9, 0xffff0000, v9
	v_lshlrev_b32_e32 v4, 16, v4
	v_mul_f32_e32 v9, v9, v4
	v_and_b32_e32 v4, 0x7f800000, v9
	v_cmp_ne_u32_e64 s[0:1], s20, v4
                                        ; implicit-def: $vgpr4
	s_and_saveexec_b64 s[14:15], s[0:1]
	s_xor_b64 s[0:1], exec, s[14:15]
; %bb.105:                              ;   in Loop: Header=BB126_52 Depth=1
	v_bfe_u32 v4, v9, 16, 1
	v_add3_u32 v4, v9, v4, s21
                                        ; implicit-def: $vgpr9
; %bb.106:                              ;   in Loop: Header=BB126_52 Depth=1
	s_andn2_saveexec_b64 s[14:15], s[0:1]
; %bb.107:                              ;   in Loop: Header=BB126_52 Depth=1
	v_or_b32_e32 v4, 0x10000, v9
	v_cmp_eq_u32_sdwa s[0:1], v9, v13 src0_sel:WORD_0 src1_sel:DWORD
	s_nop 1
	v_cndmask_b32_e64 v4, v4, v9, s[0:1]
; %bb.108:                              ;   in Loop: Header=BB126_52 Depth=1
	s_or_b64 exec, exec, s[14:15]
	v_and_b32_e32 v8, 0xffff0000, v8
	v_lshlrev_b32_e32 v9, 16, v25
	v_mul_f32_e32 v9, v8, v9
	v_and_b32_e32 v8, 0x7f800000, v9
	v_cmp_ne_u32_e64 s[0:1], s20, v8
                                        ; implicit-def: $vgpr8
	s_and_saveexec_b64 s[14:15], s[0:1]
	s_xor_b64 s[0:1], exec, s[14:15]
; %bb.109:                              ;   in Loop: Header=BB126_52 Depth=1
	v_bfe_u32 v8, v9, 16, 1
	v_add3_u32 v8, v9, v8, s21
                                        ; implicit-def: $vgpr9
; %bb.110:                              ;   in Loop: Header=BB126_52 Depth=1
	s_andn2_saveexec_b64 s[14:15], s[0:1]
; %bb.111:                              ;   in Loop: Header=BB126_52 Depth=1
	v_or_b32_e32 v8, 0x10000, v9
	v_cmp_eq_u32_sdwa s[0:1], v9, v13 src0_sel:WORD_0 src1_sel:DWORD
	s_nop 1
	v_cndmask_b32_e64 v8, v8, v9, s[0:1]
; %bb.112:                              ;   in Loop: Header=BB126_52 Depth=1
	s_or_b64 exec, exec, s[14:15]
	v_and_b32_e32 v7, 0xffff0000, v7
	v_lshlrev_b32_e32 v5, 16, v5
	v_mul_f32_e32 v7, v7, v5
	v_and_b32_e32 v5, 0x7f800000, v7
	v_cmp_ne_u32_e64 s[0:1], s20, v5
                                        ; implicit-def: $vgpr5
	s_and_saveexec_b64 s[14:15], s[0:1]
	s_xor_b64 s[0:1], exec, s[14:15]
; %bb.113:                              ;   in Loop: Header=BB126_52 Depth=1
	v_bfe_u32 v5, v7, 16, 1
	v_add3_u32 v5, v7, v5, s21
                                        ; implicit-def: $vgpr7
; %bb.114:                              ;   in Loop: Header=BB126_52 Depth=1
	s_andn2_saveexec_b64 s[14:15], s[0:1]
; %bb.115:                              ;   in Loop: Header=BB126_52 Depth=1
	v_or_b32_e32 v5, 0x10000, v7
	v_cmp_eq_u32_sdwa s[0:1], v7, v13 src0_sel:WORD_0 src1_sel:DWORD
	s_nop 1
	v_cndmask_b32_e64 v5, v5, v7, s[0:1]
; %bb.116:                              ;   in Loop: Header=BB126_52 Depth=1
	s_or_b64 exec, exec, s[14:15]
	v_and_b32_e32 v6, 0xffff0000, v6
	v_lshlrev_b32_e32 v7, 16, v24
	v_mul_f32_e32 v6, v6, v7
	v_and_b32_e32 v7, 0x7f800000, v6
	v_cmp_ne_u32_e64 s[0:1], s20, v7
                                        ; implicit-def: $vgpr7
	s_and_saveexec_b64 s[14:15], s[0:1]
	s_xor_b64 s[0:1], exec, s[14:15]
; %bb.117:                              ;   in Loop: Header=BB126_52 Depth=1
	v_bfe_u32 v7, v6, 16, 1
	v_add3_u32 v7, v6, v7, s21
                                        ; implicit-def: $vgpr6
; %bb.118:                              ;   in Loop: Header=BB126_52 Depth=1
	s_andn2_saveexec_b64 s[14:15], s[0:1]
	s_cbranch_execz .LBB126_49
; %bb.119:                              ;   in Loop: Header=BB126_52 Depth=1
	v_or_b32_e32 v7, 0x10000, v6
	v_cmp_eq_u32_sdwa s[0:1], v6, v13 src0_sel:WORD_0 src1_sel:DWORD
	s_nop 1
	v_cndmask_b32_e64 v7, v7, v6, s[0:1]
	s_branch .LBB126_49
.LBB126_120:
	s_or_b64 exec, exec, s[6:7]
.LBB126_121:
	s_or_b64 exec, exec, s[10:11]
	v_and_b32_e32 v1, 0x3c0, v0
	v_cmp_eq_u32_e64 s[0:1], 64, v1
	v_cmp_gt_u32_e32 vcc, 32, v18
	s_and_b64 s[2:3], s[0:1], vcc
	s_barrier
	s_and_saveexec_b64 s[0:1], s[2:3]
	s_cbranch_execz .LBB126_123
; %bb.122:
	v_mov_b32_e32 v1, 0x50
	v_lshl_add_u32 v1, v18, 2, v1
	ds_write_b32 v1, v12
.LBB126_123:
	s_or_b64 exec, exec, s[0:1]
	v_cmp_gt_u32_e64 s[0:1], 64, v0
	s_and_b64 s[0:1], s[0:1], vcc
	s_waitcnt lgkmcnt(0)
	s_barrier
	s_and_saveexec_b64 s[2:3], s[0:1]
	s_cbranch_execz .LBB126_125
; %bb.124:
	v_mov_b32_e32 v0, 0x50
	v_lshl_add_u32 v0, v18, 2, v0
	ds_read_b32 v0, v0
	s_waitcnt lgkmcnt(0)
	v_add_f32_e32 v12, v12, v0
.LBB126_125:
	s_or_b64 exec, exec, s[2:3]
	s_barrier
	s_and_saveexec_b64 s[2:3], s[0:1]
	s_cbranch_execz .LBB126_131
; %bb.126:
	s_mov_b32 s0, 0x7f800000
	v_and_b32_e32 v0, 0x7f800000, v12
	v_cmp_ne_u32_e32 vcc, s0, v0
                                        ; implicit-def: $vgpr0
	s_and_saveexec_b64 s[0:1], vcc
	s_xor_b64 s[0:1], exec, s[0:1]
; %bb.127:
	v_bfe_u32 v0, v12, 16, 1
	s_movk_i32 s2, 0x7fff
	v_add3_u32 v0, v12, v0, s2
                                        ; implicit-def: $vgpr12
; %bb.128:
	s_andn2_saveexec_b64 s[0:1], s[0:1]
; %bb.129:
	v_mov_b32_e32 v0, 0
	v_or_b32_e32 v1, 0x10000, v12
	v_cmp_eq_u32_sdwa vcc, v12, v0 src0_sel:WORD_0 src1_sel:DWORD
	s_nop 1
	v_cndmask_b32_e32 v0, v1, v12, vcc
; %bb.130:
	s_or_b64 exec, exec, s[0:1]
	s_lshl_b32 s0, s8, 5
	s_ashr_i32 s1, s0, 31
	s_lshl_b64 s[0:1], s[0:1], 1
	s_add_u32 s2, s26, s0
	s_mul_i32 s0, s16, s24
	s_addc_u32 s3, s27, s1
	s_ashr_i32 s1, s0, 31
	s_lshl_b64 s[0:1], s[0:1], 1
	s_add_u32 s2, s2, s0
	s_addc_u32 s3, s3, s1
	s_lshl_b32 s0, s4, 5
	s_ashr_i32 s1, s0, 31
	s_lshl_b64 s[0:1], s[0:1], 1
	s_add_u32 s0, s2, s0
	s_addc_u32 s1, s3, s1
	v_lshlrev_b32_e32 v1, 1, v18
	global_store_short_d16_hi v1, v0, s[0:1]
.LBB126_131:
	s_endpgm
	.section	.rodata,"a",@progbits
	.p2align	6, 0x0
	.amdhsa_kernel _ZN4vllm25paged_attention_v2_kernelI14__hip_bfloat16S1_Li32ELi8ELi128ELNS_18Fp8KVCacheDataTypeE0ELb1ELi512EEEvPfS3_PT_PKS4_PKT0_SA_ifPKiSC_iPKfiiiSE_SE_iiiii
		.amdhsa_group_segment_fixed_size 80
		.amdhsa_private_segment_fixed_size 0
		.amdhsa_kernarg_size 400
		.amdhsa_user_sgpr_count 2
		.amdhsa_user_sgpr_dispatch_ptr 0
		.amdhsa_user_sgpr_queue_ptr 0
		.amdhsa_user_sgpr_kernarg_segment_ptr 1
		.amdhsa_user_sgpr_dispatch_id 0
		.amdhsa_user_sgpr_kernarg_preload_length 0
		.amdhsa_user_sgpr_kernarg_preload_offset 0
		.amdhsa_user_sgpr_private_segment_size 0
		.amdhsa_uses_dynamic_stack 0
		.amdhsa_enable_private_segment 0
		.amdhsa_system_sgpr_workgroup_id_x 1
		.amdhsa_system_sgpr_workgroup_id_y 1
		.amdhsa_system_sgpr_workgroup_id_z 1
		.amdhsa_system_sgpr_workgroup_info 0
		.amdhsa_system_vgpr_workitem_id 0
		.amdhsa_next_free_vgpr 33
		.amdhsa_next_free_sgpr 52
		.amdhsa_accum_offset 36
		.amdhsa_reserve_vcc 1
		.amdhsa_float_round_mode_32 0
		.amdhsa_float_round_mode_16_64 0
		.amdhsa_float_denorm_mode_32 3
		.amdhsa_float_denorm_mode_16_64 3
		.amdhsa_dx10_clamp 1
		.amdhsa_ieee_mode 1
		.amdhsa_fp16_overflow 0
		.amdhsa_tg_split 0
		.amdhsa_exception_fp_ieee_invalid_op 0
		.amdhsa_exception_fp_denorm_src 0
		.amdhsa_exception_fp_ieee_div_zero 0
		.amdhsa_exception_fp_ieee_overflow 0
		.amdhsa_exception_fp_ieee_underflow 0
		.amdhsa_exception_fp_ieee_inexact 0
		.amdhsa_exception_int_div_zero 0
	.end_amdhsa_kernel
	.section	.text._ZN4vllm25paged_attention_v2_kernelI14__hip_bfloat16S1_Li32ELi8ELi128ELNS_18Fp8KVCacheDataTypeE0ELb1ELi512EEEvPfS3_PT_PKS4_PKT0_SA_ifPKiSC_iPKfiiiSE_SE_iiiii,"axG",@progbits,_ZN4vllm25paged_attention_v2_kernelI14__hip_bfloat16S1_Li32ELi8ELi128ELNS_18Fp8KVCacheDataTypeE0ELb1ELi512EEEvPfS3_PT_PKS4_PKT0_SA_ifPKiSC_iPKfiiiSE_SE_iiiii,comdat
.Lfunc_end126:
	.size	_ZN4vllm25paged_attention_v2_kernelI14__hip_bfloat16S1_Li32ELi8ELi128ELNS_18Fp8KVCacheDataTypeE0ELb1ELi512EEEvPfS3_PT_PKS4_PKT0_SA_ifPKiSC_iPKfiiiSE_SE_iiiii, .Lfunc_end126-_ZN4vllm25paged_attention_v2_kernelI14__hip_bfloat16S1_Li32ELi8ELi128ELNS_18Fp8KVCacheDataTypeE0ELb1ELi512EEEvPfS3_PT_PKS4_PKT0_SA_ifPKiSC_iPKfiiiSE_SE_iiiii
                                        ; -- End function
	.section	.AMDGPU.csdata,"",@progbits
; Kernel info:
; codeLenInByte = 5708
; NumSgprs: 58
; NumVgprs: 33
; NumAgprs: 0
; TotalNumVgprs: 33
; ScratchSize: 0
; MemoryBound: 0
; FloatMode: 240
; IeeeMode: 1
; LDSByteSize: 80 bytes/workgroup (compile time only)
; SGPRBlocks: 7
; VGPRBlocks: 4
; NumSGPRsForWavesPerEU: 58
; NumVGPRsForWavesPerEU: 33
; AccumOffset: 36
; Occupancy: 8
; WaveLimiterHint : 1
; COMPUTE_PGM_RSRC2:SCRATCH_EN: 0
; COMPUTE_PGM_RSRC2:USER_SGPR: 2
; COMPUTE_PGM_RSRC2:TRAP_HANDLER: 0
; COMPUTE_PGM_RSRC2:TGID_X_EN: 1
; COMPUTE_PGM_RSRC2:TGID_Y_EN: 1
; COMPUTE_PGM_RSRC2:TGID_Z_EN: 1
; COMPUTE_PGM_RSRC2:TIDIG_COMP_CNT: 0
; COMPUTE_PGM_RSRC3_GFX90A:ACCUM_OFFSET: 8
; COMPUTE_PGM_RSRC3_GFX90A:TG_SPLIT: 0
	.section	.text._ZN4vllm32paged_attention_v2_reduce_kernelI14__hip_bfloat16Li32ELi128ELi512EEEvPT_PKfS5_PKS2_PKii,"axG",@progbits,_ZN4vllm32paged_attention_v2_reduce_kernelI14__hip_bfloat16Li32ELi128ELi512EEEvPT_PKfS5_PKS2_PKii,comdat
	.protected	_ZN4vllm32paged_attention_v2_reduce_kernelI14__hip_bfloat16Li32ELi128ELi512EEEvPT_PKfS5_PKS2_PKii ; -- Begin function _ZN4vllm32paged_attention_v2_reduce_kernelI14__hip_bfloat16Li32ELi128ELi512EEEvPT_PKfS5_PKS2_PKii
	.globl	_ZN4vllm32paged_attention_v2_reduce_kernelI14__hip_bfloat16Li32ELi128ELi512EEEvPT_PKfS5_PKS2_PKii
	.p2align	8
	.type	_ZN4vllm32paged_attention_v2_reduce_kernelI14__hip_bfloat16Li32ELi128ELi512EEEvPT_PKfS5_PKS2_PKii,@function
_ZN4vllm32paged_attention_v2_reduce_kernelI14__hip_bfloat16Li32ELi128ELi512EEEvPT_PKfS5_PKS2_PKii: ; @_ZN4vllm32paged_attention_v2_reduce_kernelI14__hip_bfloat16Li32ELi128ELi512EEEvPT_PKfS5_PKS2_PKii
; %bb.0:
	s_load_dwordx4 s[8:11], s[0:1], 0x18
	s_add_u32 s6, s0, 48
	s_mov_b32 s12, s3
	s_addc_u32 s7, s1, 0
	s_ashr_i32 s13, s3, 31
	s_lshl_b64 s[4:5], s[12:13], 2
	s_waitcnt lgkmcnt(0)
	s_add_u32 s4, s10, s4
	s_addc_u32 s5, s11, s5
	s_load_dword s26, s[4:5], 0x0
	s_load_dwordx2 s[10:11], s[0:1], 0x0
	s_load_dword s3, s[0:1], 0x28
	s_load_dword s13, s[0:1], 0x30
	s_waitcnt lgkmcnt(0)
	s_add_i32 s4, s26, -1
	s_cmpk_gt_u32 s4, 0x1ff
	s_mov_b64 s[4:5], -1
	s_cbranch_scc0 .LBB127_29
; %bb.1:
	s_add_i32 s4, s26, 0x1ff
	s_load_dwordx2 s[18:19], s[0:1], 0x8
	s_ashr_i32 s5, s4, 31
	s_lshr_b32 s5, s5, 23
	s_add_i32 s4, s4, s5
	s_mul_i32 s24, s13, s12
	s_ashr_i32 s25, s4, 9
	s_mul_i32 s14, s24, s3
	s_mul_i32 s16, s2, s3
	s_ashr_i32 s15, s14, 31
	s_ashr_i32 s17, s16, 31
	v_cmp_gt_i32_e32 vcc, s25, v0
	v_mov_b32_e32 v6, 0xff7fffff
	v_lshlrev_b32_e32 v2, 2, v0
	s_and_saveexec_b64 s[4:5], vcc
	s_cbranch_execz .LBB127_5
; %bb.2:
	s_load_dword s20, s[6:7], 0xc
	s_load_dwordx2 s[22:23], s[0:1], 0x10
	s_lshl_b64 s[0:1], s[14:15], 2
	s_lshl_b64 s[28:29], s[16:17], 2
	v_mov_b32_e32 v3, 0
	s_waitcnt lgkmcnt(0)
	s_and_b32 s27, s20, 0xffff
	s_add_u32 s0, s0, s28
	s_addc_u32 s1, s1, s29
	s_add_u32 s0, s22, s0
	s_addc_u32 s1, s23, s1
	s_mov_b32 s21, 0
	v_lshl_add_u64 v[4:5], s[0:1], 0, v[2:3]
	s_lshl_b32 s20, s27, 2
	v_add_u32_e32 v1, 16, v2
	s_mov_b64 s[22:23], 0
	v_mov_b32_e32 v6, 0xff7fffff
	v_mov_b32_e32 v3, v0
.LBB127_3:                              ; =>This Inner Loop Header: Depth=1
	global_load_dword v7, v[4:5], off
	v_add_u32_e32 v3, s27, v3
	v_max_f32_e32 v6, v6, v6
	v_cmp_le_i32_e64 s[0:1], s25, v3
	v_lshl_add_u64 v[4:5], v[4:5], 0, s[20:21]
	s_or_b64 s[22:23], s[0:1], s[22:23]
	s_waitcnt vmcnt(0)
	ds_write_b32 v1, v7
	v_max_f32_e32 v7, v7, v7
	v_add_u32_e32 v1, s20, v1
	v_max_f32_e32 v6, v6, v7
	s_andn2_b64 exec, exec, s[22:23]
	s_cbranch_execnz .LBB127_3
; %bb.4:
	s_or_b64 exec, exec, s[22:23]
.LBB127_5:
	s_or_b64 exec, exec, s[4:5]
	v_mbcnt_lo_u32_b32 v1, -1, 0
	v_mbcnt_hi_u32_b32 v3, -1, v1
	v_and_b32_e32 v1, 64, v3
	v_add_u32_e32 v7, 64, v1
	v_xor_b32_e32 v1, 32, v3
	v_cmp_lt_i32_e64 s[0:1], v1, v7
	v_max_f32_e32 v5, v6, v6
	v_xor_b32_e32 v8, 8, v3
	v_cndmask_b32_e64 v1, v3, v1, s[0:1]
	v_lshlrev_b32_e32 v1, 2, v1
	ds_bpermute_b32 v4, v1, v6
	v_xor_b32_e32 v6, 16, v3
	v_cmp_lt_i32_e64 s[0:1], v6, v7
	v_xor_b32_e32 v9, 4, v3
	v_xor_b32_e32 v10, 2, v3
	s_waitcnt lgkmcnt(0)
	v_max_f32_e32 v4, v4, v4
	v_max_f32_e32 v4, v5, v4
	v_cndmask_b32_e64 v5, v3, v6, s[0:1]
	v_lshlrev_b32_e32 v6, 2, v5
	ds_bpermute_b32 v5, v6, v4
	v_cmp_lt_i32_e64 s[0:1], v8, v7
	v_lshrrev_b32_e32 v13, 6, v0
	s_waitcnt lgkmcnt(0)
	s_barrier
	v_max_f32_e32 v5, v5, v5
	v_max_f32_e32 v4, v4, v5
	v_cndmask_b32_e64 v5, v3, v8, s[0:1]
	v_lshlrev_b32_e32 v8, 2, v5
	ds_bpermute_b32 v5, v8, v4
	v_cmp_lt_i32_e64 s[0:1], v9, v7
	s_waitcnt lgkmcnt(0)
	v_max_f32_e32 v5, v5, v5
	v_max_f32_e32 v4, v4, v5
	v_cndmask_b32_e64 v5, v3, v9, s[0:1]
	v_lshlrev_b32_e32 v9, 2, v5
	ds_bpermute_b32 v5, v9, v4
	v_cmp_lt_i32_e64 s[0:1], v10, v7
	s_waitcnt lgkmcnt(0)
	v_max_f32_e32 v5, v5, v5
	v_max_f32_e32 v5, v4, v5
	v_cndmask_b32_e64 v4, v3, v10, s[0:1]
	v_lshlrev_b32_e32 v10, 2, v4
	ds_bpermute_b32 v11, v10, v5
	v_and_b32_e32 v4, 63, v0
	s_waitcnt lgkmcnt(0)
	v_max_f32_e32 v11, v11, v11
	v_max_f32_e32 v5, v5, v11
	v_xor_b32_e32 v11, 1, v3
	v_cmp_lt_i32_e64 s[0:1], v11, v7
	s_nop 1
	v_cndmask_b32_e64 v7, v3, v11, s[0:1]
	v_lshlrev_b32_e32 v7, 2, v7
	ds_bpermute_b32 v12, v7, v5
	v_cmp_eq_u32_e64 s[0:1], 0, v4
	v_lshlrev_b32_e32 v11, 2, v13
	s_and_saveexec_b64 s[4:5], s[0:1]
	s_cbranch_execz .LBB127_7
; %bb.6:
	s_waitcnt lgkmcnt(0)
	v_max_f32_e32 v12, v12, v12
	v_max_f32_e32 v5, v5, v5
	;; [unrolled: 1-line block ×3, first 2 shown]
	ds_write_b32 v11, v5
.LBB127_7:
	s_or_b64 exec, exec, s[4:5]
	v_cmp_gt_u32_e64 s[4:5], 2, v4
	v_mov_b32_e32 v5, 0xff7fffff
	s_waitcnt lgkmcnt(0)
	v_lshlrev_b32_e32 v12, 2, v4
	s_barrier
	s_and_saveexec_b64 s[20:21], s[4:5]
	s_cbranch_execz .LBB127_9
; %bb.8:
	ds_read_b32 v5, v12
.LBB127_9:
	s_or_b64 exec, exec, s[20:21]
	s_waitcnt lgkmcnt(0)
	ds_bpermute_b32 v4, v7, v5
	v_max_f32_e32 v5, v5, v5
	v_lshlrev_b32_e32 v3, 2, v3
	v_and_b32_e32 v13, 0x100, v3
	s_lshl_b32 s27, s25, 2
	s_waitcnt lgkmcnt(0)
	v_max_f32_e32 v4, v4, v4
	v_max_f32_e32 v4, v5, v4
	ds_bpermute_b32 v14, v13, v4
	v_mov_b32_e32 v3, 0
	s_and_saveexec_b64 s[20:21], vcc
	s_cbranch_execz .LBB127_13
; %bb.10:
	s_load_dword s22, s[6:7], 0xc
	s_lshl_b64 s[28:29], s[14:15], 2
	s_lshl_b64 s[30:31], s[16:17], 2
	v_mov_b32_e32 v3, 0
	s_mov_b32 s23, 0
	s_waitcnt lgkmcnt(0)
	s_and_b32 s15, s22, 0xffff
	s_add_u32 s17, s28, s30
	s_addc_u32 s22, s29, s31
	s_add_u32 s18, s18, s17
	s_addc_u32 s19, s19, s22
	v_lshl_add_u64 v[4:5], s[18:19], 0, v[2:3]
	s_lshl_b32 s22, s15, 2
	v_add_u32_e32 v2, 16, v2
	s_mov_b64 s[18:19], 0
	s_mov_b32 s17, 0x3fb8aa3b
	s_mov_b32 s28, 0xc2ce8ed0
	s_mov_b32 s29, 0x42b17218
	v_mov_b32_e32 v15, 0x7f800000
	v_mov_b32_e32 v16, v0
.LBB127_11:                             ; =>This Inner Loop Header: Depth=1
	global_load_dword v17, v[4:5], off
	ds_read_b32 v18, v2
	v_add_u32_e32 v16, s15, v16
	v_cmp_le_i32_e32 vcc, s25, v16
	s_or_b64 s[18:19], vcc, s[18:19]
	v_add_u32_e32 v19, s27, v2
	s_waitcnt lgkmcnt(0)
	v_sub_f32_e32 v18, v18, v14
	v_mul_f32_e32 v20, 0x3fb8aa3b, v18
	v_fma_f32 v21, v18, s17, -v20
	v_rndne_f32_e32 v22, v20
	v_fmac_f32_e32 v21, 0x32a5705f, v18
	v_sub_f32_e32 v20, v20, v22
	v_add_f32_e32 v20, v20, v21
	v_cvt_i32_f32_e32 v22, v22
	v_exp_f32_e32 v20, v20
	v_cmp_ngt_f32_e32 vcc, s28, v18
	v_lshl_add_u64 v[4:5], v[4:5], 0, s[22:23]
	v_add_u32_e32 v2, s22, v2
	v_ldexp_f32 v20, v20, v22
	v_cndmask_b32_e32 v20, 0, v20, vcc
	v_cmp_nlt_f32_e32 vcc, s29, v18
	s_nop 1
	v_cndmask_b32_e32 v18, v15, v20, vcc
	s_waitcnt vmcnt(0)
	v_mul_f32_e32 v20, v17, v18
	v_fmac_f32_e32 v3, v17, v18
	ds_write_b32 v19, v20
	s_andn2_b64 exec, exec, s[18:19]
	s_cbranch_execnz .LBB127_11
; %bb.12:
	s_or_b64 exec, exec, s[18:19]
.LBB127_13:
	s_or_b64 exec, exec, s[20:21]
	ds_bpermute_b32 v1, v1, v3
	s_waitcnt lgkmcnt(0)
	s_barrier
	v_add_f32_e32 v1, v3, v1
	ds_bpermute_b32 v2, v6, v1
	s_waitcnt lgkmcnt(0)
	v_add_f32_e32 v1, v1, v2
	ds_bpermute_b32 v2, v8, v1
	s_waitcnt lgkmcnt(0)
	v_add_f32_e32 v1, v1, v2
	ds_bpermute_b32 v2, v9, v1
	s_waitcnt lgkmcnt(0)
	v_add_f32_e32 v1, v1, v2
	ds_bpermute_b32 v2, v10, v1
	s_waitcnt lgkmcnt(0)
	v_add_f32_e32 v1, v1, v2
	ds_bpermute_b32 v2, v7, v1
	s_waitcnt lgkmcnt(0)
	v_add_f32_e32 v1, v1, v2
	s_and_saveexec_b64 s[18:19], s[0:1]
	s_cbranch_execz .LBB127_15
; %bb.14:
	ds_write_b32 v11, v1 offset:8
.LBB127_15:
	s_or_b64 exec, exec, s[18:19]
	s_waitcnt lgkmcnt(0)
	s_barrier
	s_and_saveexec_b64 s[0:1], s[4:5]
	s_cbranch_execz .LBB127_17
; %bb.16:
	ds_read_b32 v1, v12 offset:8
.LBB127_17:
	s_or_b64 exec, exec, s[0:1]
	s_waitcnt lgkmcnt(0)
	ds_bpermute_b32 v2, v7, v1
	v_cmp_gt_u32_e32 vcc, 32, v0
	s_waitcnt lgkmcnt(0)
	v_add_f32_e32 v1, v1, v2
	ds_bpermute_b32 v2, v13, v1
	s_and_saveexec_b64 s[0:1], vcc
	s_cbranch_execz .LBB127_28
; %bb.18:
	s_cmp_gt_i32 s26, 0
	s_mov_b32 s15, 0
	s_cbranch_scc1 .LBB127_20
; %bb.19:
	v_mov_b32_e32 v1, 0
	v_mov_b32_e32 v4, s15
	s_cbranch_execz .LBB127_21
	s_branch .LBB127_23
.LBB127_20:
                                        ; implicit-def: $sgpr15
	v_mov_b32_e32 v4, s15
.LBB127_21:
	s_waitcnt lgkmcnt(0)
	v_add_f32_e32 v1, 0x358637bd, v2
	v_div_scale_f32 v2, s[4:5], v1, v1, 1.0
	v_rcp_f32_e32 v3, v2
	s_lshl_b32 s14, s14, 5
	s_lshl_b32 s16, s16, 5
	s_ashr_i32 s15, s14, 31
	v_fma_f32 v4, -v2, v3, 1.0
	v_fmac_f32_e32 v3, v4, v3
	v_div_scale_f32 v4, vcc, 1.0, v1, 1.0
	v_mul_f32_e32 v5, v4, v3
	v_fma_f32 v6, -v2, v5, v4
	s_ashr_i32 s17, s16, 31
	s_max_i32 s4, s25, 1
	v_fmac_f32_e32 v5, v6, v3
	s_add_i32 s5, s27, 16
	s_lshl_b64 s[14:15], s[14:15], 1
	s_lshl_b64 s[16:17], s[16:17], 1
	v_fma_f32 v2, -v2, v5, v4
	s_add_u32 s14, s14, s16
	v_div_fmas_f32 v2, v2, v3, v5
	s_addc_u32 s15, s15, s17
	v_div_fixup_f32 v5, v2, v1, 1.0
	v_mov_b32_e32 v1, 0
	s_add_u32 s14, s8, s14
	v_lshlrev_b32_e32 v2, 1, v0
	v_mov_b32_e32 v3, v1
	s_addc_u32 s15, s9, s15
	v_lshl_add_u64 v[2:3], s[14:15], 0, v[2:3]
	v_mov_b32_e32 v4, v1
.LBB127_22:                             ; =>This Inner Loop Header: Depth=1
	global_load_ushort v6, v[2:3], off
	v_mov_b32_e32 v7, s5
	ds_read_b32 v7, v7
	s_add_i32 s4, s4, -1
	s_add_i32 s5, s5, 4
	v_lshl_add_u64 v[2:3], v[2:3], 0, 64
	s_cmp_eq_u32 s4, 0
	s_waitcnt vmcnt(0)
	v_lshlrev_b32_e32 v6, 16, v6
	s_waitcnt lgkmcnt(0)
	v_mul_f32_e32 v6, v7, v6
	v_fmac_f32_e32 v4, v5, v6
	s_cbranch_scc0 .LBB127_22
.LBB127_23:
	s_mov_b32 s4, 0x7f800000
	s_waitcnt lgkmcnt(0)
	v_and_b32_e32 v2, 0x7f800000, v4
	v_cmp_ne_u32_e32 vcc, s4, v2
                                        ; implicit-def: $vgpr2
	s_and_saveexec_b64 s[4:5], vcc
	s_xor_b64 s[4:5], exec, s[4:5]
; %bb.24:
	v_bfe_u32 v2, v4, 16, 1
	s_movk_i32 s14, 0x7fff
	v_add3_u32 v2, v4, v2, s14
                                        ; implicit-def: $vgpr4
; %bb.25:
	s_andn2_saveexec_b64 s[4:5], s[4:5]
; %bb.26:
	v_mov_b32_e32 v2, 0
	v_or_b32_e32 v3, 0x10000, v4
	v_cmp_eq_u32_sdwa vcc, v4, v2 src0_sel:WORD_0 src1_sel:DWORD
	s_nop 1
	v_cndmask_b32_e32 v2, v3, v4, vcc
; %bb.27:
	s_or_b64 exec, exec, s[4:5]
	s_lshl_b32 s4, s24, 5
	s_ashr_i32 s5, s4, 31
	s_lshl_b64 s[4:5], s[4:5], 1
	s_add_u32 s14, s10, s4
	s_addc_u32 s15, s11, s5
	s_lshl_b32 s4, s2, 5
	s_ashr_i32 s5, s4, 31
	s_lshl_b64 s[4:5], s[4:5], 1
	s_add_u32 s4, s14, s4
	s_addc_u32 s5, s15, s5
	v_lshl_add_u64 v[4:5], v[0:1], 1, s[4:5]
	global_store_short_d16_hi v[4:5], v2, off
.LBB127_28:
	s_or_b64 exec, exec, s[0:1]
	s_mov_b64 s[4:5], 0
.LBB127_29:
	s_and_b64 vcc, exec, s[4:5]
	s_cbranch_vccz .LBB127_38
; %bb.30:
	v_cmp_gt_u32_e32 vcc, 32, v0
	s_and_saveexec_b64 s[0:1], vcc
	s_cbranch_execz .LBB127_38
; %bb.31:
	s_mul_i32 s13, s13, s12
	s_lshl_b32 s0, s13, 5
	s_ashr_i32 s1, s0, 31
	s_lshl_b64 s[0:1], s[0:1], 1
	s_add_u32 s4, s10, s0
	s_addc_u32 s5, s11, s1
	s_lshl_b32 s0, s2, 5
	s_ashr_i32 s1, s0, 31
	s_lshl_b64 s[0:1], s[0:1], 1
	s_add_u32 s4, s4, s0
	s_mul_i32 s0, s3, s13
	s_addc_u32 s5, s5, s1
	s_lshl_b32 s0, s0, 5
	s_ashr_i32 s1, s0, 31
	s_lshl_b64 s[0:1], s[0:1], 1
	s_add_u32 s8, s8, s0
	s_mul_i32 s2, s2, s3
	s_load_dword s6, s[6:7], 0xc
	s_addc_u32 s9, s9, s1
	s_lshl_b32 s0, s2, 5
	s_ashr_i32 s1, s0, 31
	s_lshl_b64 s[0:1], s[0:1], 1
	s_add_u32 s2, s8, s0
	s_addc_u32 s3, s9, s1
	s_waitcnt lgkmcnt(0)
	s_and_b32 s8, s6, 0xffff
	v_cvt_f32_u32_e32 v1, s8
	v_add_u32_e32 v2, s8, v0
	v_mov_b32_e32 v4, s8
	v_cmp_gt_u32_e32 vcc, 32, v2
	v_rcp_iflag_f32_e32 v1, v1
	s_cmp_eq_u32 s8, 1
	v_max_u32_e32 v3, 32, v2
	v_addc_co_u32_e64 v2, s[0:1], v0, v4, vcc
	v_mul_f32_e32 v1, 0x4f7ffffe, v1
	v_cvt_u32_f32_e32 v1, v1
	s_cselect_b64 s[6:7], -1, 0
	s_sub_i32 s0, 0, s8
	v_sub_u32_e32 v2, v3, v2
	v_mul_lo_u32 v3, s0, v1
	v_mul_hi_u32 v3, v1, v3
	v_add_u32_e32 v1, v1, v3
	v_mul_hi_u32 v1, v2, v1
	v_mul_lo_u32 v3, v1, s8
	v_sub_u32_e32 v2, v2, v3
	v_add_u32_e32 v3, 1, v1
	v_cmp_le_u32_e64 s[0:1], s8, v2
	s_nop 1
	v_cndmask_b32_e64 v1, v1, v3, s[0:1]
	v_subrev_u32_e32 v3, s8, v2
	v_cndmask_b32_e64 v2, v2, v3, s[0:1]
	v_add_u32_e32 v3, 1, v1
	v_cmp_le_u32_e64 s[0:1], s8, v2
	s_nop 1
	v_cndmask_b32_e64 v1, v1, v3, s[0:1]
	v_addc_co_u32_e32 v1, vcc, 1, v1, vcc
	v_cmp_lt_u32_e32 vcc, 15, v1
	s_and_b64 s[10:11], vcc, s[6:7]
	s_mov_b64 s[6:7], -1
	s_and_saveexec_b64 s[0:1], s[10:11]
	s_cbranch_execz .LBB127_35
; %bb.32:
	v_and_b32_e32 v4, -16, v1
	s_mov_b64 s[6:7], 0
	v_mov_b32_e32 v3, 0
	v_mov_b32_e32 v2, v0
	v_mov_b32_e32 v5, v4
.LBB127_33:                             ; =>This Inner Loop Header: Depth=1
	v_lshlrev_b64 v[14:15], 1, v[2:3]
	v_lshl_add_u64 v[16:17], s[2:3], 0, v[14:15]
	global_load_dwordx4 v[6:9], v[16:17], off
	global_load_dwordx4 v[10:13], v[16:17], off offset:16
	v_add_u32_e32 v5, -16, v5
	v_cmp_eq_u32_e32 vcc, 0, v5
	v_add_u32_e32 v2, 16, v2
	v_lshl_add_u64 v[14:15], s[4:5], 0, v[14:15]
	s_or_b64 s[6:7], vcc, s[6:7]
	s_waitcnt vmcnt(1)
	global_store_dwordx4 v[14:15], v[6:9], off
	s_waitcnt vmcnt(1)
	global_store_dwordx4 v[14:15], v[10:13], off offset:16
	s_andn2_b64 exec, exec, s[6:7]
	s_cbranch_execnz .LBB127_33
; %bb.34:
	s_or_b64 exec, exec, s[6:7]
	v_cmp_ne_u32_e32 vcc, v1, v4
	v_add_u32_e32 v0, v0, v4
	s_orn2_b64 s[6:7], vcc, exec
.LBB127_35:
	s_or_b64 exec, exec, s[0:1]
	s_and_b64 exec, exec, s[6:7]
	s_cbranch_execz .LBB127_38
; %bb.36:
	v_mov_b32_e32 v1, 0
	s_mov_b32 s1, 0
	v_lshlrev_b64 v[2:3], 1, v[0:1]
	s_lshl_b32 s0, s8, 1
	s_mov_b64 s[6:7], 0
.LBB127_37:                             ; =>This Inner Loop Header: Depth=1
	v_lshl_add_u64 v[4:5], s[2:3], 0, v[2:3]
	global_load_ushort v1, v[4:5], off
	v_add_u32_e32 v0, s8, v0
	v_cmp_lt_u32_e32 vcc, 31, v0
	v_lshl_add_u64 v[4:5], s[4:5], 0, v[2:3]
	v_lshl_add_u64 v[2:3], v[2:3], 0, s[0:1]
	s_or_b64 s[6:7], vcc, s[6:7]
	s_waitcnt vmcnt(0)
	global_store_short v[4:5], v1, off
	s_andn2_b64 exec, exec, s[6:7]
	s_cbranch_execnz .LBB127_37
.LBB127_38:
	s_endpgm
	.section	.rodata,"a",@progbits
	.p2align	6, 0x0
	.amdhsa_kernel _ZN4vllm32paged_attention_v2_reduce_kernelI14__hip_bfloat16Li32ELi128ELi512EEEvPT_PKfS5_PKS2_PKii
		.amdhsa_group_segment_fixed_size 16
		.amdhsa_private_segment_fixed_size 0
		.amdhsa_kernarg_size 304
		.amdhsa_user_sgpr_count 2
		.amdhsa_user_sgpr_dispatch_ptr 0
		.amdhsa_user_sgpr_queue_ptr 0
		.amdhsa_user_sgpr_kernarg_segment_ptr 1
		.amdhsa_user_sgpr_dispatch_id 0
		.amdhsa_user_sgpr_kernarg_preload_length 0
		.amdhsa_user_sgpr_kernarg_preload_offset 0
		.amdhsa_user_sgpr_private_segment_size 0
		.amdhsa_uses_dynamic_stack 0
		.amdhsa_enable_private_segment 0
		.amdhsa_system_sgpr_workgroup_id_x 1
		.amdhsa_system_sgpr_workgroup_id_y 1
		.amdhsa_system_sgpr_workgroup_id_z 0
		.amdhsa_system_sgpr_workgroup_info 0
		.amdhsa_system_vgpr_workitem_id 0
		.amdhsa_next_free_vgpr 23
		.amdhsa_next_free_sgpr 32
		.amdhsa_accum_offset 24
		.amdhsa_reserve_vcc 1
		.amdhsa_float_round_mode_32 0
		.amdhsa_float_round_mode_16_64 0
		.amdhsa_float_denorm_mode_32 3
		.amdhsa_float_denorm_mode_16_64 3
		.amdhsa_dx10_clamp 1
		.amdhsa_ieee_mode 1
		.amdhsa_fp16_overflow 0
		.amdhsa_tg_split 0
		.amdhsa_exception_fp_ieee_invalid_op 0
		.amdhsa_exception_fp_denorm_src 0
		.amdhsa_exception_fp_ieee_div_zero 0
		.amdhsa_exception_fp_ieee_overflow 0
		.amdhsa_exception_fp_ieee_underflow 0
		.amdhsa_exception_fp_ieee_inexact 0
		.amdhsa_exception_int_div_zero 0
	.end_amdhsa_kernel
	.section	.text._ZN4vllm32paged_attention_v2_reduce_kernelI14__hip_bfloat16Li32ELi128ELi512EEEvPT_PKfS5_PKS2_PKii,"axG",@progbits,_ZN4vllm32paged_attention_v2_reduce_kernelI14__hip_bfloat16Li32ELi128ELi512EEEvPT_PKfS5_PKS2_PKii,comdat
.Lfunc_end127:
	.size	_ZN4vllm32paged_attention_v2_reduce_kernelI14__hip_bfloat16Li32ELi128ELi512EEEvPT_PKfS5_PKS2_PKii, .Lfunc_end127-_ZN4vllm32paged_attention_v2_reduce_kernelI14__hip_bfloat16Li32ELi128ELi512EEEvPT_PKfS5_PKS2_PKii
                                        ; -- End function
	.section	.AMDGPU.csdata,"",@progbits
; Kernel info:
; codeLenInByte = 2196
; NumSgprs: 38
; NumVgprs: 23
; NumAgprs: 0
; TotalNumVgprs: 23
; ScratchSize: 0
; MemoryBound: 0
; FloatMode: 240
; IeeeMode: 1
; LDSByteSize: 16 bytes/workgroup (compile time only)
; SGPRBlocks: 4
; VGPRBlocks: 2
; NumSGPRsForWavesPerEU: 38
; NumVGPRsForWavesPerEU: 23
; AccumOffset: 24
; Occupancy: 8
; WaveLimiterHint : 0
; COMPUTE_PGM_RSRC2:SCRATCH_EN: 0
; COMPUTE_PGM_RSRC2:USER_SGPR: 2
; COMPUTE_PGM_RSRC2:TRAP_HANDLER: 0
; COMPUTE_PGM_RSRC2:TGID_X_EN: 1
; COMPUTE_PGM_RSRC2:TGID_Y_EN: 1
; COMPUTE_PGM_RSRC2:TGID_Z_EN: 0
; COMPUTE_PGM_RSRC2:TIDIG_COMP_CNT: 0
; COMPUTE_PGM_RSRC3_GFX90A:ACCUM_OFFSET: 5
; COMPUTE_PGM_RSRC3_GFX90A:TG_SPLIT: 0
	.section	.text._ZN4vllm25paged_attention_v2_kernelI14__hip_bfloat16S1_Li64ELi8ELi128ELNS_18Fp8KVCacheDataTypeE0ELb1ELi512EEEvPfS3_PT_PKS4_PKT0_SA_ifPKiSC_iPKfiiiSE_SE_iiiii,"axG",@progbits,_ZN4vllm25paged_attention_v2_kernelI14__hip_bfloat16S1_Li64ELi8ELi128ELNS_18Fp8KVCacheDataTypeE0ELb1ELi512EEEvPfS3_PT_PKS4_PKT0_SA_ifPKiSC_iPKfiiiSE_SE_iiiii,comdat
	.protected	_ZN4vllm25paged_attention_v2_kernelI14__hip_bfloat16S1_Li64ELi8ELi128ELNS_18Fp8KVCacheDataTypeE0ELb1ELi512EEEvPfS3_PT_PKS4_PKT0_SA_ifPKiSC_iPKfiiiSE_SE_iiiii ; -- Begin function _ZN4vllm25paged_attention_v2_kernelI14__hip_bfloat16S1_Li64ELi8ELi128ELNS_18Fp8KVCacheDataTypeE0ELb1ELi512EEEvPfS3_PT_PKS4_PKT0_SA_ifPKiSC_iPKfiiiSE_SE_iiiii
	.globl	_ZN4vllm25paged_attention_v2_kernelI14__hip_bfloat16S1_Li64ELi8ELi128ELNS_18Fp8KVCacheDataTypeE0ELb1ELi512EEEvPfS3_PT_PKS4_PKT0_SA_ifPKiSC_iPKfiiiSE_SE_iiiii
	.p2align	8
	.type	_ZN4vllm25paged_attention_v2_kernelI14__hip_bfloat16S1_Li64ELi8ELi128ELNS_18Fp8KVCacheDataTypeE0ELb1ELi512EEEvPfS3_PT_PKS4_PKT0_SA_ifPKiSC_iPKfiiiSE_SE_iiiii,@function
_ZN4vllm25paged_attention_v2_kernelI14__hip_bfloat16S1_Li64ELi8ELi128ELNS_18Fp8KVCacheDataTypeE0ELb1ELi512EEEvPfS3_PT_PKS4_PKT0_SA_ifPKiSC_iPKfiiiSE_SE_iiiii: ; @_ZN4vllm25paged_attention_v2_kernelI14__hip_bfloat16S1_Li64ELi8ELi128ELNS_18Fp8KVCacheDataTypeE0ELb1ELi512EEEvPfS3_PT_PKS4_PKT0_SA_ifPKiSC_iPKfiiiSE_SE_iiiii
; %bb.0:
	s_load_dwordx2 s[6:7], s[0:1], 0x40
	s_mov_b32 s30, s3
	s_ashr_i32 s31, s3, 31
	s_lshl_b64 s[8:9], s[30:31], 2
	s_waitcnt lgkmcnt(0)
	s_add_u32 s6, s6, s8
	s_addc_u32 s7, s7, s9
	s_load_dword s31, s[6:7], 0x0
	s_lshl_b32 s52, s4, 9
	s_waitcnt lgkmcnt(0)
	s_cmp_ge_i32 s52, s31
	s_cbranch_scc1 .LBB128_129
; %bb.1:
	s_load_dword s5, s[0:1], 0x90
	s_load_dwordx2 s[40:41], s[0:1], 0x30
	s_waitcnt lgkmcnt(0)
	s_abs_i32 s7, s5
	s_abs_i32 s3, s40
	v_cvt_f32_u32_e32 v1, s3
	s_sub_i32 s8, 0, s3
	s_xor_b32 s6, s5, s40
	s_ashr_i32 s6, s6, 31
	v_rcp_iflag_f32_e32 v1, v1
	s_nop 0
	v_mul_f32_e32 v1, 0x4f7ffffe, v1
	v_cvt_u32_f32_e32 v1, v1
	s_nop 0
	v_readfirstlane_b32 s9, v1
	s_mul_i32 s8, s8, s9
	s_mul_hi_u32 s8, s9, s8
	s_add_i32 s9, s9, s8
	s_mul_hi_u32 s8, s7, s9
	s_mul_i32 s9, s8, s3
	s_sub_i32 s7, s7, s9
	s_add_i32 s10, s8, 1
	s_sub_i32 s9, s7, s3
	s_cmp_ge_u32 s7, s3
	s_cselect_b32 s8, s10, s8
	s_cselect_b32 s7, s9, s7
	s_add_i32 s9, s8, 1
	s_cmp_ge_u32 s7, s3
	s_cselect_b32 s3, s9, s8
	s_xor_b32 s3, s3, s6
	s_sub_i32 s8, s3, s6
	s_abs_i32 s10, s8
	v_cvt_f32_u32_e32 v1, s10
	s_load_dwordx2 s[6:7], s[0:1], 0x50
	s_sub_i32 s9, 0, s10
	s_abs_i32 s11, s2
	v_rcp_iflag_f32_e32 v1, v1
	s_mov_b32 s3, 0
	v_mul_f32_e32 v1, 0x4f7ffffe, v1
	v_cvt_u32_f32_e32 v1, v1
	s_nop 0
	v_readfirstlane_b32 s12, v1
	s_mul_i32 s9, s9, s12
	s_mul_hi_u32 s9, s12, s9
	s_add_i32 s12, s12, s9
	s_waitcnt lgkmcnt(0)
	s_cmp_eq_u64 s[6:7], 0
	s_mul_hi_u32 s12, s11, s12
	s_cbranch_scc1 .LBB128_3
; %bb.2:
	s_ashr_i32 s3, s2, 31
	s_lshl_b64 s[14:15], s[2:3], 2
	s_add_u32 s6, s6, s14
	s_addc_u32 s7, s7, s15
	s_load_dword s3, s[6:7], 0x0
.LBB128_3:
	s_load_dwordx4 s[16:19], s[0:1], 0x58
	s_ashr_i32 s13, s2, 31
	s_waitcnt lgkmcnt(0)
	s_ashr_i32 s19, s8, 31
	v_and_b32_e32 v4, 7, v0
	s_lshl_b32 s14, s2, 6
	v_cmp_gt_u32_e64 s[8:9], 64, v0
	s_and_saveexec_b64 s[6:7], s[8:9]
	s_cbranch_execz .LBB128_5
; %bb.4:
	s_load_dwordx2 s[20:21], s[0:1], 0x18
	s_mul_i32 s22, s30, s16
	s_ashr_i32 s23, s22, 31
	s_lshl_b64 s[22:23], s[22:23], 1
	v_lshlrev_b32_e32 v1, 1, v0
	s_waitcnt lgkmcnt(0)
	s_add_u32 s16, s20, s22
	s_addc_u32 s22, s21, s23
	s_ashr_i32 s15, s14, 31
	s_lshl_b64 s[20:21], s[14:15], 1
	s_add_u32 s20, s16, s20
	s_addc_u32 s21, s22, s21
	global_load_ushort v1, v1, s[20:21]
	v_lshrrev_b32_e32 v2, 2, v0
	v_and_b32_e32 v2, 0xfe, v2
	v_lshl_add_u32 v2, v4, 4, v2
	s_waitcnt vmcnt(0)
	ds_write_b16 v2, v1
.LBB128_5:
	s_or_b64 exec, exec, s[6:7]
	s_mul_i32 s7, s12, s10
	s_sub_i32 s7, s11, s7
	s_xor_b32 s6, s13, s19
	s_add_i32 s11, s12, 1
	s_sub_i32 s13, s7, s10
	s_load_dwordx4 s[20:23], s[0:1], 0x78
	s_cmp_ge_u32 s7, s10
	s_cselect_b32 s11, s11, s12
	s_cselect_b32 s7, s13, s7
	s_load_dword s13, s[0:1], 0x88
	s_add_i32 s12, s11, 1
	s_cmp_ge_u32 s7, s10
	s_cselect_b32 s7, s12, s11
	s_waitcnt lgkmcnt(0)
	s_abs_i32 s33, s23
	v_cvt_f32_u32_e32 v1, s33
	s_xor_b32 s7, s7, s6
	s_sub_i32 s10, s7, s6
	s_sub_i32 s6, 0, s33
	v_rcp_iflag_f32_e32 v1, v1
	s_add_i32 s15, s31, -1
	s_abs_i32 s11, s15
	v_mul_f32_e32 v1, 0x4f7ffffe, v1
	v_cvt_u32_f32_e32 v1, v1
	s_barrier
	v_readfirstlane_b32 s48, v1
	s_mul_i32 s6, s6, s48
	s_mul_hi_u32 s6, s48, s6
	s_add_i32 s48, s48, s6
	s_cmp_lt_i32 s13, 0
	s_mul_hi_u32 s12, s11, s48
	s_cbranch_scc0 .LBB128_7
; %bb.6:
	s_mul_i32 s6, s20, s40
	s_add_i32 s6, s10, s6
	s_mul_i32 s6, s6, s13
	s_sub_i32 s49, 1, s6
	s_mov_b64 s[6:7], 0
	s_branch .LBB128_8
.LBB128_7:
	s_mov_b64 s[6:7], -1
                                        ; implicit-def: $sgpr49
.LBB128_8:
	s_load_dwordx2 s[34:35], s[0:1], 0x38
	s_ashr_i32 s16, s15, 31
	s_andn2_b64 vcc, exec, s[6:7]
	s_ashr_i32 s23, s23, 31
	s_cbranch_vccnz .LBB128_10
; %bb.9:
	s_mul_i32 s6, s5, s20
	s_add_i32 s6, s6, s2
	s_mul_i32 s6, s6, s13
	s_add_i32 s49, s6, 1
.LBB128_10:
	s_load_dword s6, s[0:1], 0x48
	s_load_dwordx2 s[38:39], s[0:1], 0x28
	s_load_dword s15, s[0:1], 0x98
	s_load_dwordx4 s[24:27], s[0:1], 0x0
	s_load_dwordx2 s[28:29], s[0:1], 0x10
	s_mul_i32 s7, s12, s33
	s_waitcnt lgkmcnt(0)
	s_mul_i32 s36, s30, s6
	s_sub_i32 s7, s11, s7
	s_ashr_i32 s37, s36, 31
	s_xor_b32 s6, s16, s23
	s_add_i32 s11, s12, 1
	s_sub_i32 s13, s7, s33
	s_cmp_ge_u32 s7, s33
	s_cselect_b32 s11, s11, s12
	s_cselect_b32 s7, s13, s7
	s_add_i32 s12, s11, 1
	s_cmp_ge_u32 s7, s33
	s_cselect_b32 s7, s12, s11
	s_xor_b32 s7, s7, s6
	s_sub_i32 s51, s7, s6
	s_add_i32 s6, s31, 7
	s_ashr_i32 s7, s6, 31
	s_lshr_b32 s7, s7, 29
	s_add_i32 s6, s6, s7
	s_lshl_b32 s16, s4, 6
	s_ashr_i32 s50, s6, 3
	s_add_i32 s6, s16, 64
	v_lshrrev_b32_e32 v6, 6, v0
	s_min_i32 s20, s6, s50
	v_or_b32_e32 v10, s16, v6
	v_cmp_gt_i32_e64 s[6:7], s20, v10
	v_mov_b32_e32 v12, 0xff7fffff
	s_mul_i32 s18, s10, s18
	v_ashrrev_i32_e32 v11, 31, v10
	v_lshl_add_u32 v1, v6, 3, s52
	v_mbcnt_lo_u32_b32 v7, -1, 0
	s_and_saveexec_b64 s[42:43], s[6:7]
	s_cbranch_execz .LBB128_20
; %bb.11:
	s_load_dwordx2 s[0:1], s[0:1], 0x20
	s_ashr_i32 s19, s18, 31
	s_sub_i32 s40, s51, s21
	s_lshl_b64 s[10:11], s[18:19], 1
	v_bfe_u32 v8, v0, 3, 3
	s_waitcnt lgkmcnt(0)
	s_add_u32 s0, s0, s10
	s_addc_u32 s1, s1, s11
	s_abs_i32 s19, s22
	v_cvt_f32_u32_e32 v5, s19
	v_lshlrev_b32_e32 v2, 4, v8
	v_mov_b32_e32 v3, 0
	v_lshl_add_u64 v[12:13], s[0:1], 0, v[2:3]
	v_rcp_iflag_f32_e32 v5, v5
	v_lshlrev_b32_e32 v2, 1, v4
	v_lshl_add_u64 v[2:3], v[12:13], 0, v[2:3]
	s_sub_i32 s10, 0, s19
	v_mul_f32_e32 v5, 0x4f7ffffe, v5
	v_cvt_u32_f32_e32 v5, v5
	v_lshlrev_b32_e32 v12, 2, v8
	v_cmp_eq_u32_e32 vcc, 0, v4
	v_lshlrev_b32_e32 v9, 4, v4
	v_mul_lo_u32 v4, s10, v5
	s_lshl_b64 s[10:11], s[36:37], 2
	v_lshl_or_b32 v12, v6, 5, v12
	s_add_u32 s10, s34, s10
	v_add_u32_e32 v15, 0x90, v12
	v_subrev_u32_e32 v12, s31, v8
	v_mbcnt_hi_u32_b32 v18, -1, v7
	v_mul_hi_u32 v4, v5, v4
	s_addc_u32 s11, s35, s11
	v_add_u32_e32 v16, 1, v12
	v_and_b32_e32 v12, 64, v18
	s_mov_b32 s53, s17
	v_cmp_neq_f32_e64 s[0:1], s3, 0
	v_add_u32_e32 v13, v5, v4
	v_lshl_add_u64 v[4:5], v[10:11], 2, s[10:11]
	v_lshl_add_u32 v14, v6, 3, s52
	s_mov_b64 s[44:45], 0
	v_mov_b32_e32 v17, 0xff7fffff
	v_add_u32_e32 v19, 64, v12
	v_xor_b32_e32 v20, 4, v18
	v_xor_b32_e32 v21, 2, v18
	;; [unrolled: 1-line block ×3, first 2 shown]
	v_mov_b32_e32 v12, 0xff7fffff
	v_mov_b32_e32 v23, v10
	s_branch .LBB128_14
.LBB128_12:                             ;   in Loop: Header=BB128_14 Depth=1
	s_or_b64 exec, exec, s[46:47]
.LBB128_13:                             ;   in Loop: Header=BB128_14 Depth=1
	s_or_b64 exec, exec, s[12:13]
	v_add_u32_e32 v23, 2, v23
	v_cmp_le_i32_e64 s[10:11], s20, v23
	v_lshl_add_u64 v[4:5], v[4:5], 0, 8
	v_add_u32_e32 v14, 16, v14
	s_or_b64 s[44:45], s[10:11], s[44:45]
	v_add_u32_e32 v15, 64, v15
	s_andn2_b64 exec, exec, s[44:45]
	s_cbranch_execz .LBB128_19
.LBB128_14:                             ; =>This Inner Loop Header: Depth=1
	s_waitcnt lgkmcnt(0)
	v_sub_u32_e32 v25, 0, v14
	v_max_i32_e32 v25, v14, v25
	v_mul_hi_u32 v26, v25, s48
	v_mul_lo_u32 v27, v26, s33
	v_sub_u32_e32 v25, v25, v27
	v_add_u32_e32 v27, 1, v26
	v_cmp_le_u32_e64 s[10:11], s33, v25
	v_ashrrev_i32_e32 v24, 31, v14
	v_xor_b32_e32 v24, s23, v24
	v_cndmask_b32_e64 v26, v26, v27, s[10:11]
	v_subrev_u32_e32 v27, s33, v25
	v_cndmask_b32_e64 v25, v25, v27, s[10:11]
	v_add_u32_e32 v27, 1, v26
	v_cmp_le_u32_e64 s[10:11], s33, v25
	s_nop 1
	v_cndmask_b32_e64 v25, v26, v27, s[10:11]
	v_xor_b32_e32 v25, v25, v24
	v_sub_u32_e32 v24, v25, v24
	v_add_u32_e32 v25, s49, v24
	v_sub_u32_e32 v27, 0, v25
	v_ashrrev_i32_e32 v26, 31, v25
	v_max_i32_e32 v25, v25, v27
	v_mul_hi_u32 v27, v25, v13
	v_mul_lo_u32 v27, v27, s19
	v_sub_u32_e32 v25, v25, v27
	v_subrev_u32_e32 v27, s19, v25
	v_cmp_le_u32_e64 s[10:11], s19, v25
	v_cmp_ge_i32_e64 s[12:13], s40, v24
	s_nop 0
	v_cndmask_b32_e64 v25, v25, v27, s[10:11]
	v_subrev_u32_e32 v27, s19, v25
	v_cmp_le_u32_e64 s[10:11], s19, v25
	s_nop 1
	v_cndmask_b32_e64 v25, v25, v27, s[10:11]
	v_xor_b32_e32 v25, v25, v26
	v_sub_u32_e32 v25, v25, v26
	v_cmp_ne_u32_e64 s[10:11], 0, v25
	s_and_b64 s[10:11], s[10:11], s[12:13]
	s_and_b64 s[46:47], vcc, s[10:11]
	s_and_saveexec_b64 s[12:13], s[46:47]
	s_cbranch_execz .LBB128_16
; %bb.15:                               ;   in Loop: Header=BB128_14 Depth=1
	ds_write_b32 v15, v17
.LBB128_16:                             ;   in Loop: Header=BB128_14 Depth=1
	s_or_b64 exec, exec, s[12:13]
	s_xor_b64 s[10:11], s[10:11], -1
	s_and_saveexec_b64 s[12:13], s[10:11]
	s_cbranch_execz .LBB128_13
; %bb.17:                               ;   in Loop: Header=BB128_14 Depth=1
	global_load_dword v24, v[4:5], off
	s_waitcnt vmcnt(0)
	v_mad_i64_i32 v[24:25], s[10:11], v24, s53, 0
	v_lshl_add_u64 v[24:25], v[24:25], 1, v[2:3]
	global_load_ushort v28, v[24:25], off
	global_load_ushort v29, v[24:25], off offset:128
	global_load_ushort v30, v[24:25], off offset:256
	;; [unrolled: 1-line block ×7, first 2 shown]
	ds_read_b128 v[24:27], v9
	v_cmp_lt_i32_e64 s[10:11], v20, v19
	s_waitcnt lgkmcnt(0)
	v_lshlrev_b32_e32 v37, 16, v24
	v_and_b32_e32 v24, 0xffff0000, v24
	v_lshlrev_b32_e32 v38, 16, v25
	v_and_b32_e32 v25, 0xffff0000, v25
	v_lshlrev_b32_e32 v39, 16, v26
	v_and_b32_e32 v26, 0xffff0000, v26
	v_lshlrev_b32_e32 v40, 16, v27
	v_cndmask_b32_e64 v36, v18, v20, s[10:11]
	v_and_b32_e32 v27, 0xffff0000, v27
	v_lshlrev_b32_e32 v36, 2, v36
	v_cmp_lt_i32_e64 s[10:11], v21, v19
	s_waitcnt vmcnt(7)
	v_lshlrev_b32_e32 v28, 16, v28
	s_waitcnt vmcnt(6)
	v_lshlrev_b32_e32 v29, 16, v29
	v_mul_f32_e32 v24, v24, v29
	s_waitcnt vmcnt(5)
	v_lshlrev_b32_e32 v30, 16, v30
	v_fmac_f32_e32 v24, v37, v28
	s_waitcnt vmcnt(4)
	v_lshlrev_b32_e32 v31, 16, v31
	v_fmac_f32_e32 v24, v38, v30
	;; [unrolled: 3-line block ×5, first 2 shown]
	v_fmac_f32_e32 v24, v40, v34
	s_waitcnt vmcnt(0)
	v_lshlrev_b32_e32 v25, 16, v35
	v_fmac_f32_e32 v24, v27, v25
	ds_bpermute_b32 v25, v36, v24
	v_cndmask_b32_e64 v26, v18, v21, s[10:11]
	v_lshlrev_b32_e32 v26, 2, v26
	v_cmp_lt_i32_e64 s[10:11], v22, v19
	s_waitcnt lgkmcnt(0)
	v_add_f32_e32 v24, v24, v25
	ds_bpermute_b32 v25, v26, v24
	v_cndmask_b32_e64 v26, v18, v22, s[10:11]
	v_lshlrev_b32_e32 v26, 2, v26
	s_waitcnt lgkmcnt(0)
	v_add_f32_e32 v24, v24, v25
	ds_bpermute_b32 v25, v26, v24
	s_and_saveexec_b64 s[46:47], vcc
	s_cbranch_execz .LBB128_12
; %bb.18:                               ;   in Loop: Header=BB128_14 Depth=1
	v_add_u32_e32 v26, v16, v14
	v_cvt_f32_i32_e32 v26, v26
	s_waitcnt lgkmcnt(0)
	v_add_f32_e32 v24, v24, v25
	v_add_u32_e32 v27, v8, v14
	v_cmp_gt_i32_e64 s[10:11], s31, v27
	v_mul_f32_e32 v25, s3, v26
	v_cndmask_b32_e64 v25, 0, v25, s[0:1]
	v_fmac_f32_e32 v25, s41, v24
	v_cndmask_b32_e64 v24, 0, v25, s[10:11]
	ds_write_b32 v15, v24
	v_max_f32_e32 v24, v12, v12
	v_max_f32_e32 v24, v24, v25
	v_cndmask_b32_e64 v12, v12, v24, s[10:11]
	s_branch .LBB128_12
.LBB128_19:
	s_or_b64 exec, exec, s[44:45]
.LBB128_20:
	s_or_b64 exec, exec, s[42:43]
	v_mbcnt_hi_u32_b32 v2, -1, v7
	v_and_b32_e32 v3, 64, v2
	v_add_u32_e32 v3, 64, v3
	v_xor_b32_e32 v4, 32, v2
	v_cmp_lt_i32_e32 vcc, v4, v3
	v_xor_b32_e32 v8, 16, v2
	v_max_f32_e32 v5, v12, v12
	v_cndmask_b32_e32 v4, v2, v4, vcc
	v_lshlrev_b32_e32 v7, 2, v4
	ds_bpermute_b32 v4, v7, v12
	v_cmp_lt_i32_e32 vcc, v8, v3
	v_and_b32_e32 v18, 63, v0
	s_waitcnt lgkmcnt(0)
	v_max_f32_e32 v4, v4, v4
	v_max_f32_e32 v4, v5, v4
	v_cndmask_b32_e32 v5, v2, v8, vcc
	v_lshlrev_b32_e32 v9, 2, v5
	ds_bpermute_b32 v5, v9, v4
	v_xor_b32_e32 v8, 8, v2
	v_cmp_lt_i32_e32 vcc, v8, v3
	s_waitcnt lgkmcnt(0)
	v_max_f32_e32 v5, v5, v5
	v_max_f32_e32 v4, v4, v5
	v_cndmask_b32_e32 v5, v2, v8, vcc
	v_lshlrev_b32_e32 v12, 2, v5
	ds_bpermute_b32 v8, v12, v4
	v_cmp_eq_u32_e32 vcc, 0, v18
	v_lshlrev_b32_e32 v5, 2, v6
	s_and_saveexec_b64 s[0:1], vcc
	s_cbranch_execz .LBB128_22
; %bb.21:
	s_waitcnt lgkmcnt(0)
	v_max_f32_e32 v8, v8, v8
	v_max_f32_e32 v4, v4, v4
	;; [unrolled: 1-line block ×3, first 2 shown]
	ds_write_b32 v5, v4 offset:128
.LBB128_22:
	s_or_b64 exec, exec, s[0:1]
	v_cmp_gt_u32_e64 s[0:1], 2, v18
	v_mov_b32_e32 v4, 0xff7fffff
	s_waitcnt lgkmcnt(0)
	v_lshlrev_b32_e32 v8, 2, v18
	s_barrier
	s_and_saveexec_b64 s[10:11], s[0:1]
	s_cbranch_execz .LBB128_24
; %bb.23:
	ds_read_b32 v4, v8 offset:128
.LBB128_24:
	s_or_b64 exec, exec, s[10:11]
	v_xor_b32_e32 v13, 1, v2
	v_cmp_lt_i32_e64 s[10:11], v13, v3
	s_sub_i32 s3, s20, s16
	s_lshl_b32 s3, s3, 3
	v_cndmask_b32_e64 v13, v2, v13, s[10:11]
	v_lshlrev_b32_e32 v13, 2, v13
	s_waitcnt lgkmcnt(0)
	ds_bpermute_b32 v14, v13, v4
	v_max_f32_e32 v4, v4, v4
	s_add_i32 s3, s3, s52
	s_min_i32 s19, s3, s31
	s_sub_i32 s3, s19, s52
	s_waitcnt lgkmcnt(0)
	v_max_f32_e32 v14, v14, v14
	v_max_f32_e32 v4, v4, v14
	v_lshlrev_b32_e32 v14, 2, v2
	v_and_b32_e32 v14, 0x100, v14
	ds_bpermute_b32 v4, v14, v4
	v_cmp_gt_i32_e64 s[10:11], s3, v0
	v_mov_b32_e32 v15, 0
	s_and_saveexec_b64 s[40:41], s[10:11]
	s_cbranch_execz .LBB128_28
; %bb.25:
	v_mov_b32_e32 v15, 0x90
	v_lshl_add_u32 v16, v0, 2, v15
	s_mov_b64 s[42:43], 0
	v_mov_b32_e32 v15, 0
	v_mov_b32_e32 v17, v0
.LBB128_26:                             ; =>This Inner Loop Header: Depth=1
	ds_read_b32 v19, v16
	v_add_u32_e32 v17, 0x80, v17
	v_cmp_le_i32_e64 s[12:13], s3, v17
	s_or_b64 s[42:43], s[12:13], s[42:43]
	s_waitcnt lgkmcnt(0)
	v_sub_f32_e32 v19, v19, v4
	v_mul_f32_e32 v19, 0x3fb8aa3b, v19
	v_exp_f32_e32 v19, v19
	ds_write_b32 v16, v19
	v_add_f32_e32 v15, v15, v19
	v_add_u32_e32 v16, 0x200, v16
	s_andn2_b64 exec, exec, s[42:43]
	s_cbranch_execnz .LBB128_26
; %bb.27:
	s_or_b64 exec, exec, s[42:43]
.LBB128_28:
	s_or_b64 exec, exec, s[40:41]
	ds_bpermute_b32 v7, v7, v15
	s_waitcnt lgkmcnt(0)
	v_add_f32_e32 v7, v15, v7
	ds_bpermute_b32 v9, v9, v7
	s_waitcnt lgkmcnt(0)
	v_add_f32_e32 v7, v7, v9
	ds_bpermute_b32 v9, v12, v7
	v_xor_b32_e32 v12, 4, v2
	v_cmp_lt_i32_e64 s[12:13], v12, v3
	s_waitcnt lgkmcnt(0)
	v_add_f32_e32 v7, v7, v9
	v_cndmask_b32_e64 v12, v2, v12, s[12:13]
	v_lshlrev_b32_e32 v12, 2, v12
	ds_bpermute_b32 v9, v12, v7
	v_xor_b32_e32 v12, 2, v2
	v_cmp_lt_i32_e64 s[12:13], v12, v3
	s_waitcnt lgkmcnt(0)
	v_add_f32_e32 v3, v7, v9
	v_cndmask_b32_e64 v2, v2, v12, s[12:13]
	v_lshlrev_b32_e32 v2, 2, v2
	ds_bpermute_b32 v2, v2, v3
	s_waitcnt lgkmcnt(0)
	v_add_f32_e32 v2, v3, v2
	ds_bpermute_b32 v3, v13, v2
	s_waitcnt lgkmcnt(0)
	v_add_f32_e32 v2, v2, v3
	s_and_saveexec_b64 s[12:13], vcc
	s_cbranch_execz .LBB128_30
; %bb.29:
	ds_write_b32 v5, v2 offset:136
.LBB128_30:
	s_or_b64 exec, exec, s[12:13]
	s_waitcnt lgkmcnt(0)
	s_barrier
	s_and_saveexec_b64 s[12:13], s[0:1]
	s_cbranch_execz .LBB128_32
; %bb.31:
	ds_read_b32 v2, v8 offset:136
.LBB128_32:
	s_or_b64 exec, exec, s[12:13]
	s_waitcnt lgkmcnt(0)
	ds_bpermute_b32 v3, v13, v2
	s_waitcnt lgkmcnt(0)
	v_add_f32_e32 v2, v2, v3
	ds_bpermute_b32 v5, v14, v2
	s_and_saveexec_b64 s[0:1], s[10:11]
	s_cbranch_execz .LBB128_45
; %bb.33:
	s_waitcnt lgkmcnt(0)
	v_add_f32_e32 v2, 0x358637bd, v5
	v_div_scale_f32 v3, s[10:11], v2, v2, 1.0
	v_rcp_f32_e32 v7, v3
	v_div_scale_f32 v8, vcc, 1.0, v2, 1.0
	s_movk_i32 s10, 0x7f
	v_fma_f32 v9, -v3, v7, 1.0
	v_fmac_f32_e32 v7, v9, v7
	v_mul_f32_e32 v9, v8, v7
	v_fma_f32 v12, -v3, v9, v8
	v_fmac_f32_e32 v9, v12, v7
	v_fma_f32 v3, -v3, v9, v8
	v_div_fmas_f32 v3, v3, v7, v9
	v_div_fixup_f32 v2, v3, v2, 1.0
	v_xad_u32 v3, v0, -1, s19
	v_subrev_u32_e32 v7, s52, v3
	v_cmp_lt_u32_e32 vcc, s10, v7
	s_mov_b64 s[12:13], -1
	v_mov_b32_e32 v3, v0
	s_and_saveexec_b64 s[10:11], vcc
	s_cbranch_execz .LBB128_42
; %bb.34:
	v_lshrrev_b32_e32 v7, 7, v7
	v_add_u32_e32 v9, -1, v7
	v_lshrrev_b32_e32 v8, 1, v9
	v_mov_b32_e32 v3, v2
	v_add_u32_e32 v8, 1, v8
	v_cmp_lt_u32_e32 vcc, 13, v9
	v_mov_b32_e32 v13, 0
	s_and_saveexec_b64 s[12:13], vcc
	s_cbranch_execz .LBB128_38
; %bb.35:
	v_mov_b32_e32 v12, 0x90
	v_and_b32_e32 v9, -8, v8
	v_lshl_add_u32 v12, v0, 2, v12
	s_mov_b32 s19, 0
	s_mov_b64 s[40:41], 0
.LBB128_36:                             ; =>This Inner Loop Header: Depth=1
	ds_read2st64_b32 v[14:15], v12 offset1:2
	ds_read2st64_b32 v[16:17], v12 offset0:4 offset1:6
	ds_read2st64_b32 v[20:21], v12 offset0:8 offset1:10
	;; [unrolled: 1-line block ×3, first 2 shown]
	v_add_u32_e32 v9, -8, v9
	s_waitcnt lgkmcnt(3)
	v_pk_mul_f32 v[14:15], v[2:3], v[14:15]
	s_waitcnt lgkmcnt(2)
	v_pk_mul_f32 v[16:17], v[2:3], v[16:17]
	ds_write2st64_b32 v12, v14, v15 offset1:2
	ds_write2st64_b32 v12, v16, v17 offset0:4 offset1:6
	ds_read2st64_b32 v[16:17], v12 offset0:16 offset1:18
	s_waitcnt lgkmcnt(4)
	v_pk_mul_f32 v[14:15], v[2:3], v[20:21]
	ds_write2st64_b32 v12, v14, v15 offset0:8 offset1:10
	s_waitcnt lgkmcnt(4)
	v_pk_mul_f32 v[14:15], v[2:3], v[22:23]
	ds_write2st64_b32 v12, v14, v15 offset0:12 offset1:14
	ds_read2st64_b32 v[14:15], v12 offset0:20 offset1:22
	s_waitcnt lgkmcnt(3)
	v_pk_mul_f32 v[16:17], v[2:3], v[16:17]
	ds_read2st64_b32 v[20:21], v12 offset0:24 offset1:26
	ds_write2st64_b32 v12, v16, v17 offset0:16 offset1:18
	ds_read2st64_b32 v[16:17], v12 offset0:28 offset1:30
	s_waitcnt lgkmcnt(3)
	v_pk_mul_f32 v[14:15], v[2:3], v[14:15]
	ds_write2st64_b32 v12, v14, v15 offset0:20 offset1:22
	s_waitcnt lgkmcnt(3)
	v_pk_mul_f32 v[14:15], v[2:3], v[20:21]
	ds_write2st64_b32 v12, v14, v15 offset0:24 offset1:26
	s_waitcnt lgkmcnt(2)
	v_pk_mul_f32 v[14:15], v[2:3], v[16:17]
	s_add_i32 s19, s19, 16
	v_cmp_eq_u32_e32 vcc, 0, v9
	ds_write2st64_b32 v12, v14, v15 offset0:28 offset1:30
	v_add_u32_e32 v12, 0x2000, v12
	s_or_b64 s[40:41], vcc, s[40:41]
	v_mov_b32_e32 v13, s19
	s_andn2_b64 exec, exec, s[40:41]
	s_cbranch_execnz .LBB128_36
; %bb.37:
	s_or_b64 exec, exec, s[40:41]
.LBB128_38:
	s_or_b64 exec, exec, s[12:13]
	v_and_b32_e32 v8, 7, v8
	v_cmp_ne_u32_e32 vcc, 0, v8
	s_and_saveexec_b64 s[12:13], vcc
	s_cbranch_execz .LBB128_41
; %bb.39:
	v_lshlrev_b32_e32 v9, 9, v13
	v_lshlrev_b32_e32 v12, 2, v0
	s_movk_i32 s19, 0x90
	v_add3_u32 v9, v9, v12, s19
	s_mov_b64 s[40:41], 0
.LBB128_40:                             ; =>This Inner Loop Header: Depth=1
	ds_read2st64_b32 v[12:13], v9 offset1:2
	v_add_u32_e32 v8, -1, v8
	v_cmp_eq_u32_e32 vcc, 0, v8
	s_or_b64 s[40:41], vcc, s[40:41]
	s_waitcnt lgkmcnt(0)
	v_pk_mul_f32 v[12:13], v[2:3], v[12:13]
	ds_write2st64_b32 v9, v12, v13 offset1:2
	v_add_u32_e32 v9, 0x400, v9
	s_andn2_b64 exec, exec, s[40:41]
	s_cbranch_execnz .LBB128_40
.LBB128_41:
	s_or_b64 exec, exec, s[12:13]
	v_add_u32_e32 v7, 1, v7
	v_and_b32_e32 v8, 0x3fffffe, v7
	v_cmp_ne_u32_e32 vcc, v7, v8
	v_lshl_add_u32 v3, v8, 7, v0
	s_orn2_b64 s[12:13], vcc, exec
.LBB128_42:
	s_or_b64 exec, exec, s[10:11]
	s_and_b64 exec, exec, s[12:13]
	s_cbranch_execz .LBB128_45
; %bb.43:
	v_mov_b32_e32 v7, 0x90
	v_lshl_add_u32 v7, v3, 2, v7
	s_mov_b64 s[10:11], 0
.LBB128_44:                             ; =>This Inner Loop Header: Depth=1
	ds_read_b32 v8, v7
	v_add_u32_e32 v3, 0x80, v3
	v_cmp_le_i32_e32 vcc, s3, v3
	s_or_b64 s[10:11], vcc, s[10:11]
	s_waitcnt lgkmcnt(0)
	v_mul_f32_e32 v8, v2, v8
	ds_write_b32 v7, v8
	v_add_u32_e32 v7, 0x200, v7
	s_andn2_b64 exec, exec, s[10:11]
	s_cbranch_execnz .LBB128_44
.LBB128_45:
	s_or_b64 exec, exec, s[0:1]
	s_mul_i32 s0, s15, s30
	v_cmp_eq_u32_e32 vcc, 0, v0
	s_mul_i32 s10, s0, s5
	s_waitcnt lgkmcnt(0)
	s_barrier
	s_and_saveexec_b64 s[0:1], vcc
	s_cbranch_execz .LBB128_47
; %bb.46:
	s_ashr_i32 s11, s10, 31
	s_lshl_b64 s[12:13], s[10:11], 2
	s_add_u32 s5, s26, s12
	s_mul_i32 s2, s15, s2
	s_addc_u32 s11, s27, s13
	s_ashr_i32 s3, s2, 31
	s_lshl_b64 s[2:3], s[2:3], 2
	s_add_u32 s19, s5, s2
	s_addc_u32 s11, s11, s3
	s_ashr_i32 s5, s4, 31
	s_lshl_b64 s[4:5], s[4:5], 2
	s_add_u32 s26, s19, s4
	s_addc_u32 s27, s11, s5
	s_add_u32 s11, s24, s12
	s_addc_u32 s12, s25, s13
	;; [unrolled: 2-line block ×3, first 2 shown]
	s_add_u32 s2, s2, s4
	v_mov_b32_e32 v2, 0
	s_addc_u32 s3, s3, s5
	global_store_dword v2, v4, s[26:27]
	global_store_dword v2, v5, s[2:3]
.LBB128_47:
	s_or_b64 exec, exec, s[0:1]
	v_mov_b32_e32 v12, 0
	s_and_saveexec_b64 s[2:3], s[6:7]
	s_cbranch_execz .LBB128_119
; %bb.48:
	s_ashr_i32 s19, s18, 31
	s_sub_i32 s11, s51, s21
	s_lshl_b64 s[0:1], s[18:19], 1
	s_add_u32 s0, s38, s0
	s_addc_u32 s1, s39, s1
	s_abs_i32 s12, s22
	v_cvt_f32_u32_e32 v2, s12
	v_lshlrev_b32_e32 v12, 4, v18
	v_mov_b32_e32 v13, 0
	v_lshl_add_u64 v[14:15], s[0:1], 0, v[12:13]
	v_rcp_iflag_f32_e32 v2, v2
	s_sub_i32 s0, 0, s12
	s_add_i32 s50, s50, -1
	s_lshl_b64 s[4:5], s[36:37], 2
	v_mul_f32_e32 v2, 0x4f7ffffe, v2
	v_cvt_u32_f32_e32 v2, v2
	s_mov_b32 s13, s17
	s_mov_b32 s17, 0x7f800000
	s_movk_i32 s18, 0x7fff
	v_mul_lo_u32 v3, s0, v2
	v_mul_hi_u32 v3, v2, v3
	s_add_u32 s0, s34, s4
	v_add_u32_e32 v19, v2, v3
	s_addc_u32 s1, s35, s5
	v_mov_b32_e32 v2, 0x90
	v_lshl_add_u64 v[16:17], v[10:11], 2, s[0:1]
	v_lshl_add_u32 v11, v6, 5, v2
	s_mov_b64 s[4:5], 0
	v_mov_b32_e32 v12, 0
	s_branch .LBB128_51
.LBB128_49:                             ;   in Loop: Header=BB128_51 Depth=1
	s_or_b64 exec, exec, s[6:7]
	v_and_b32_e32 v6, 0xffff0000, v8
	v_and_b32_e32 v9, 0xffff0000, v20
	;; [unrolled: 1-line block ×8, first 2 shown]
	v_pk_add_f32 v[2:3], v[2:3], v[8:9]
	v_pk_add_f32 v[4:5], v[4:5], v[6:7]
	v_add_f32_e32 v2, v2, v3
	v_add_f32_e32 v2, v2, v4
	;; [unrolled: 1-line block ×4, first 2 shown]
.LBB128_50:                             ;   in Loop: Header=BB128_51 Depth=1
	s_or_b64 exec, exec, s[0:1]
	v_add_u32_e32 v10, 2, v10
	v_cmp_le_i32_e32 vcc, s20, v10
	v_lshl_add_u64 v[16:17], v[16:17], 0, 8
	v_add_u32_e32 v1, 16, v1
	s_or_b64 s[4:5], vcc, s[4:5]
	v_add_u32_e32 v11, 64, v11
	s_andn2_b64 exec, exec, s[4:5]
	s_cbranch_execz .LBB128_118
.LBB128_51:                             ; =>This Inner Loop Header: Depth=1
	v_sub_u32_e32 v3, 0, v1
	v_max_i32_e32 v3, v1, v3
	v_mul_hi_u32 v4, v3, s48
	v_mul_lo_u32 v5, v4, s33
	v_sub_u32_e32 v3, v3, v5
	v_add_u32_e32 v5, 1, v4
	v_cmp_le_u32_e32 vcc, s33, v3
	v_ashrrev_i32_e32 v2, 31, v1
	v_xor_b32_e32 v2, s23, v2
	v_cndmask_b32_e32 v4, v4, v5, vcc
	v_subrev_u32_e32 v5, s33, v3
	v_cndmask_b32_e32 v3, v3, v5, vcc
	v_add_u32_e32 v5, 1, v4
	v_cmp_le_u32_e32 vcc, s33, v3
	s_nop 1
	v_cndmask_b32_e32 v3, v4, v5, vcc
	v_xor_b32_e32 v3, v3, v2
	v_sub_u32_e32 v2, v3, v2
	v_add_u32_e32 v3, s49, v2
	v_sub_u32_e32 v5, 0, v3
	v_ashrrev_i32_e32 v4, 31, v3
	v_max_i32_e32 v3, v3, v5
	v_mul_hi_u32 v5, v3, v19
	v_mul_lo_u32 v5, v5, s12
	v_sub_u32_e32 v3, v3, v5
	v_subrev_u32_e32 v5, s12, v3
	v_cmp_le_u32_e32 vcc, s12, v3
	v_cmp_lt_i32_e64 s[0:1], s11, v2
	s_nop 0
	v_cndmask_b32_e32 v3, v3, v5, vcc
	v_subrev_u32_e32 v5, s12, v3
	v_cmp_le_u32_e32 vcc, s12, v3
	s_nop 1
	v_cndmask_b32_e32 v3, v3, v5, vcc
	v_xor_b32_e32 v3, v3, v4
	v_sub_u32_e32 v3, v3, v4
	v_cmp_eq_u32_e32 vcc, 0, v3
	s_or_b64 s[6:7], vcc, s[0:1]
	s_and_saveexec_b64 s[0:1], s[6:7]
	s_cbranch_execz .LBB128_50
; %bb.52:                               ;   in Loop: Header=BB128_51 Depth=1
	global_load_dword v24, v[16:17], off
	ds_read2_b64 v[6:9], v11 offset1:1
	ds_read2_b64 v[2:5], v11 offset0:2 offset1:3
                                        ; implicit-def: $vgpr23
	s_waitcnt lgkmcnt(1)
	v_and_b32_e32 v20, 0x7f800000, v6
	v_cmp_ne_u32_e32 vcc, s17, v20
	s_and_saveexec_b64 s[6:7], vcc
	s_xor_b64 s[6:7], exec, s[6:7]
; %bb.53:                               ;   in Loop: Header=BB128_51 Depth=1
	v_bfe_u32 v20, v6, 16, 1
	v_add3_u32 v23, v6, v20, s18
; %bb.54:                               ;   in Loop: Header=BB128_51 Depth=1
	s_andn2_saveexec_b64 s[6:7], s[6:7]
; %bb.55:                               ;   in Loop: Header=BB128_51 Depth=1
	v_or_b32_e32 v20, 0x10000, v6
	v_cmp_eq_u32_sdwa vcc, v6, v13 src0_sel:WORD_0 src1_sel:DWORD
	s_nop 1
	v_cndmask_b32_e32 v23, v20, v6, vcc
; %bb.56:                               ;   in Loop: Header=BB128_51 Depth=1
	s_or_b64 exec, exec, s[6:7]
	v_and_b32_e32 v6, 0x7f800000, v7
	v_cmp_ne_u32_e32 vcc, s17, v6
                                        ; implicit-def: $vgpr22
	s_and_saveexec_b64 s[6:7], vcc
	s_xor_b64 s[6:7], exec, s[6:7]
; %bb.57:                               ;   in Loop: Header=BB128_51 Depth=1
	v_bfe_u32 v6, v7, 16, 1
	v_add3_u32 v22, v7, v6, s18
; %bb.58:                               ;   in Loop: Header=BB128_51 Depth=1
	s_andn2_saveexec_b64 s[6:7], s[6:7]
; %bb.59:                               ;   in Loop: Header=BB128_51 Depth=1
	v_or_b32_e32 v6, 0x10000, v7
	v_cmp_eq_u32_sdwa vcc, v7, v13 src0_sel:WORD_0 src1_sel:DWORD
	s_nop 1
	v_cndmask_b32_e32 v22, v6, v7, vcc
; %bb.60:                               ;   in Loop: Header=BB128_51 Depth=1
	s_or_b64 exec, exec, s[6:7]
	v_and_b32_e32 v6, 0x7f800000, v8
	v_cmp_ne_u32_e32 vcc, s17, v6
                                        ; implicit-def: $vgpr21
	s_and_saveexec_b64 s[6:7], vcc
	s_xor_b64 s[6:7], exec, s[6:7]
; %bb.61:                               ;   in Loop: Header=BB128_51 Depth=1
	v_bfe_u32 v6, v8, 16, 1
	v_add3_u32 v21, v8, v6, s18
; %bb.62:                               ;   in Loop: Header=BB128_51 Depth=1
	s_andn2_saveexec_b64 s[6:7], s[6:7]
; %bb.63:                               ;   in Loop: Header=BB128_51 Depth=1
	v_or_b32_e32 v6, 0x10000, v8
	v_cmp_eq_u32_sdwa vcc, v8, v13 src0_sel:WORD_0 src1_sel:DWORD
	s_nop 1
	v_cndmask_b32_e32 v21, v6, v8, vcc
; %bb.64:                               ;   in Loop: Header=BB128_51 Depth=1
	s_or_b64 exec, exec, s[6:7]
	v_and_b32_e32 v6, 0x7f800000, v9
	v_cmp_ne_u32_e32 vcc, s17, v6
                                        ; implicit-def: $vgpr20
	s_and_saveexec_b64 s[6:7], vcc
	s_xor_b64 s[6:7], exec, s[6:7]
; %bb.65:                               ;   in Loop: Header=BB128_51 Depth=1
	v_bfe_u32 v6, v9, 16, 1
	v_add3_u32 v20, v9, v6, s18
                                        ; implicit-def: $vgpr6_vgpr7_vgpr8_vgpr9
; %bb.66:                               ;   in Loop: Header=BB128_51 Depth=1
	s_andn2_saveexec_b64 s[6:7], s[6:7]
; %bb.67:                               ;   in Loop: Header=BB128_51 Depth=1
	v_or_b32_e32 v6, 0x10000, v9
	v_cmp_eq_u32_sdwa vcc, v9, v13 src0_sel:WORD_0 src1_sel:DWORD
	s_nop 1
	v_cndmask_b32_e32 v20, v6, v9, vcc
; %bb.68:                               ;   in Loop: Header=BB128_51 Depth=1
	s_or_b64 exec, exec, s[6:7]
	s_waitcnt lgkmcnt(0)
	v_and_b32_e32 v6, 0x7f800000, v2
	v_cmp_ne_u32_e32 vcc, s17, v6
                                        ; implicit-def: $vgpr9
	s_and_saveexec_b64 s[6:7], vcc
	s_xor_b64 s[6:7], exec, s[6:7]
; %bb.69:                               ;   in Loop: Header=BB128_51 Depth=1
	v_bfe_u32 v6, v2, 16, 1
	v_add3_u32 v9, v2, v6, s18
; %bb.70:                               ;   in Loop: Header=BB128_51 Depth=1
	s_andn2_saveexec_b64 s[6:7], s[6:7]
; %bb.71:                               ;   in Loop: Header=BB128_51 Depth=1
	v_or_b32_e32 v6, 0x10000, v2
	v_cmp_eq_u32_sdwa vcc, v2, v13 src0_sel:WORD_0 src1_sel:DWORD
	s_nop 1
	v_cndmask_b32_e32 v9, v6, v2, vcc
; %bb.72:                               ;   in Loop: Header=BB128_51 Depth=1
	s_or_b64 exec, exec, s[6:7]
	v_and_b32_e32 v2, 0x7f800000, v3
	v_cmp_ne_u32_e32 vcc, s17, v2
                                        ; implicit-def: $vgpr8
	s_and_saveexec_b64 s[6:7], vcc
	s_xor_b64 s[6:7], exec, s[6:7]
; %bb.73:                               ;   in Loop: Header=BB128_51 Depth=1
	v_bfe_u32 v2, v3, 16, 1
	v_add3_u32 v8, v3, v2, s18
; %bb.74:                               ;   in Loop: Header=BB128_51 Depth=1
	s_andn2_saveexec_b64 s[6:7], s[6:7]
; %bb.75:                               ;   in Loop: Header=BB128_51 Depth=1
	v_or_b32_e32 v2, 0x10000, v3
	v_cmp_eq_u32_sdwa vcc, v3, v13 src0_sel:WORD_0 src1_sel:DWORD
	s_nop 1
	v_cndmask_b32_e32 v8, v2, v3, vcc
; %bb.76:                               ;   in Loop: Header=BB128_51 Depth=1
	s_or_b64 exec, exec, s[6:7]
	v_and_b32_e32 v2, 0x7f800000, v4
	v_cmp_ne_u32_e32 vcc, s17, v2
                                        ; implicit-def: $vgpr7
	s_and_saveexec_b64 s[6:7], vcc
	s_xor_b64 s[6:7], exec, s[6:7]
; %bb.77:                               ;   in Loop: Header=BB128_51 Depth=1
	v_bfe_u32 v2, v4, 16, 1
	v_add3_u32 v7, v4, v2, s18
; %bb.78:                               ;   in Loop: Header=BB128_51 Depth=1
	s_andn2_saveexec_b64 s[6:7], s[6:7]
; %bb.79:                               ;   in Loop: Header=BB128_51 Depth=1
	v_or_b32_e32 v2, 0x10000, v4
	v_cmp_eq_u32_sdwa vcc, v4, v13 src0_sel:WORD_0 src1_sel:DWORD
	s_nop 1
	v_cndmask_b32_e32 v7, v2, v4, vcc
; %bb.80:                               ;   in Loop: Header=BB128_51 Depth=1
	s_or_b64 exec, exec, s[6:7]
	v_and_b32_e32 v2, 0x7f800000, v5
	v_cmp_ne_u32_e32 vcc, s17, v2
                                        ; implicit-def: $vgpr6
	s_and_saveexec_b64 s[6:7], vcc
	s_xor_b64 s[6:7], exec, s[6:7]
; %bb.81:                               ;   in Loop: Header=BB128_51 Depth=1
	v_bfe_u32 v2, v5, 16, 1
	v_add3_u32 v6, v5, v2, s18
                                        ; implicit-def: $vgpr2_vgpr3_vgpr4_vgpr5
; %bb.82:                               ;   in Loop: Header=BB128_51 Depth=1
	s_andn2_saveexec_b64 s[6:7], s[6:7]
; %bb.83:                               ;   in Loop: Header=BB128_51 Depth=1
	v_or_b32_e32 v2, 0x10000, v5
	v_cmp_eq_u32_sdwa vcc, v5, v13 src0_sel:WORD_0 src1_sel:DWORD
	s_nop 1
	v_cndmask_b32_e32 v6, v2, v5, vcc
; %bb.84:                               ;   in Loop: Header=BB128_51 Depth=1
	s_or_b64 exec, exec, s[6:7]
	s_waitcnt vmcnt(0)
	v_mad_i64_i32 v[2:3], s[6:7], v24, s13, 0
	v_lshl_add_u64 v[2:3], v[2:3], 1, v[14:15]
	global_load_dwordx4 v[2:5], v[2:3], off
	v_cmp_eq_u32_e32 vcc, s50, v10
	s_waitcnt vmcnt(0)
	v_lshrrev_b32_e32 v27, 16, v2
	v_lshrrev_b32_e32 v26, 16, v3
	;; [unrolled: 1-line block ×4, first 2 shown]
	s_and_saveexec_b64 s[6:7], vcc
	s_cbranch_execz .LBB128_86
; %bb.85:                               ;   in Loop: Header=BB128_51 Depth=1
	v_cmp_gt_i32_e32 vcc, s31, v1
	v_add_u32_e32 v28, 1, v1
	s_nop 0
	v_cndmask_b32_e32 v2, 0, v2, vcc
	v_cmp_gt_i32_e32 vcc, s31, v28
	v_add_u32_e32 v28, 2, v1
	s_nop 0
	v_cndmask_b32_e32 v27, 0, v27, vcc
	;; [unrolled: 4-line block ×7, first 2 shown]
	v_cmp_gt_i32_e32 vcc, s31, v28
	s_nop 1
	v_cndmask_b32_e32 v24, 0, v24, vcc
.LBB128_86:                             ;   in Loop: Header=BB128_51 Depth=1
	s_or_b64 exec, exec, s[6:7]
	v_and_b32_e32 v23, 0xffff0000, v23
	v_lshlrev_b32_e32 v2, 16, v2
	v_mul_f32_e32 v23, v23, v2
	v_and_b32_e32 v2, 0x7f800000, v23
	v_cmp_ne_u32_e32 vcc, s17, v2
                                        ; implicit-def: $vgpr2
	s_and_saveexec_b64 s[6:7], vcc
	s_xor_b64 s[6:7], exec, s[6:7]
; %bb.87:                               ;   in Loop: Header=BB128_51 Depth=1
	v_bfe_u32 v2, v23, 16, 1
	v_add3_u32 v2, v23, v2, s18
                                        ; implicit-def: $vgpr23
; %bb.88:                               ;   in Loop: Header=BB128_51 Depth=1
	s_andn2_saveexec_b64 s[6:7], s[6:7]
; %bb.89:                               ;   in Loop: Header=BB128_51 Depth=1
	v_or_b32_e32 v2, 0x10000, v23
	v_cmp_eq_u32_sdwa vcc, v23, v13 src0_sel:WORD_0 src1_sel:DWORD
	s_nop 1
	v_cndmask_b32_e32 v2, v2, v23, vcc
; %bb.90:                               ;   in Loop: Header=BB128_51 Depth=1
	s_or_b64 exec, exec, s[6:7]
	v_and_b32_e32 v22, 0xffff0000, v22
	v_lshlrev_b32_e32 v23, 16, v27
	v_mul_f32_e32 v23, v22, v23
	v_and_b32_e32 v22, 0x7f800000, v23
	v_cmp_ne_u32_e32 vcc, s17, v22
                                        ; implicit-def: $vgpr22
	s_and_saveexec_b64 s[6:7], vcc
	s_xor_b64 s[6:7], exec, s[6:7]
; %bb.91:                               ;   in Loop: Header=BB128_51 Depth=1
	v_bfe_u32 v22, v23, 16, 1
	v_add3_u32 v22, v23, v22, s18
                                        ; implicit-def: $vgpr23
; %bb.92:                               ;   in Loop: Header=BB128_51 Depth=1
	s_andn2_saveexec_b64 s[6:7], s[6:7]
; %bb.93:                               ;   in Loop: Header=BB128_51 Depth=1
	v_or_b32_e32 v22, 0x10000, v23
	v_cmp_eq_u32_sdwa vcc, v23, v13 src0_sel:WORD_0 src1_sel:DWORD
	s_nop 1
	v_cndmask_b32_e32 v22, v22, v23, vcc
; %bb.94:                               ;   in Loop: Header=BB128_51 Depth=1
	s_or_b64 exec, exec, s[6:7]
	v_and_b32_e32 v21, 0xffff0000, v21
	v_lshlrev_b32_e32 v3, 16, v3
	v_mul_f32_e32 v21, v21, v3
	v_and_b32_e32 v3, 0x7f800000, v21
	v_cmp_ne_u32_e32 vcc, s17, v3
                                        ; implicit-def: $vgpr3
	s_and_saveexec_b64 s[6:7], vcc
	s_xor_b64 s[6:7], exec, s[6:7]
; %bb.95:                               ;   in Loop: Header=BB128_51 Depth=1
	v_bfe_u32 v3, v21, 16, 1
	v_add3_u32 v3, v21, v3, s18
                                        ; implicit-def: $vgpr21
; %bb.96:                               ;   in Loop: Header=BB128_51 Depth=1
	s_andn2_saveexec_b64 s[6:7], s[6:7]
; %bb.97:                               ;   in Loop: Header=BB128_51 Depth=1
	v_or_b32_e32 v3, 0x10000, v21
	v_cmp_eq_u32_sdwa vcc, v21, v13 src0_sel:WORD_0 src1_sel:DWORD
	s_nop 1
	v_cndmask_b32_e32 v3, v3, v21, vcc
; %bb.98:                               ;   in Loop: Header=BB128_51 Depth=1
	s_or_b64 exec, exec, s[6:7]
	v_and_b32_e32 v20, 0xffff0000, v20
	v_lshlrev_b32_e32 v21, 16, v26
	v_mul_f32_e32 v21, v20, v21
	v_and_b32_e32 v20, 0x7f800000, v21
	v_cmp_ne_u32_e32 vcc, s17, v20
                                        ; implicit-def: $vgpr20
	s_and_saveexec_b64 s[6:7], vcc
	s_xor_b64 s[6:7], exec, s[6:7]
; %bb.99:                               ;   in Loop: Header=BB128_51 Depth=1
	v_bfe_u32 v20, v21, 16, 1
	v_add3_u32 v20, v21, v20, s18
                                        ; implicit-def: $vgpr21
; %bb.100:                              ;   in Loop: Header=BB128_51 Depth=1
	s_andn2_saveexec_b64 s[6:7], s[6:7]
; %bb.101:                              ;   in Loop: Header=BB128_51 Depth=1
	v_or_b32_e32 v20, 0x10000, v21
	v_cmp_eq_u32_sdwa vcc, v21, v13 src0_sel:WORD_0 src1_sel:DWORD
	s_nop 1
	v_cndmask_b32_e32 v20, v20, v21, vcc
; %bb.102:                              ;   in Loop: Header=BB128_51 Depth=1
	s_or_b64 exec, exec, s[6:7]
	v_and_b32_e32 v9, 0xffff0000, v9
	v_lshlrev_b32_e32 v4, 16, v4
	v_mul_f32_e32 v9, v9, v4
	v_and_b32_e32 v4, 0x7f800000, v9
	v_cmp_ne_u32_e32 vcc, s17, v4
                                        ; implicit-def: $vgpr4
	s_and_saveexec_b64 s[6:7], vcc
	s_xor_b64 s[6:7], exec, s[6:7]
; %bb.103:                              ;   in Loop: Header=BB128_51 Depth=1
	v_bfe_u32 v4, v9, 16, 1
	v_add3_u32 v4, v9, v4, s18
                                        ; implicit-def: $vgpr9
; %bb.104:                              ;   in Loop: Header=BB128_51 Depth=1
	s_andn2_saveexec_b64 s[6:7], s[6:7]
; %bb.105:                              ;   in Loop: Header=BB128_51 Depth=1
	v_or_b32_e32 v4, 0x10000, v9
	v_cmp_eq_u32_sdwa vcc, v9, v13 src0_sel:WORD_0 src1_sel:DWORD
	s_nop 1
	v_cndmask_b32_e32 v4, v4, v9, vcc
; %bb.106:                              ;   in Loop: Header=BB128_51 Depth=1
	s_or_b64 exec, exec, s[6:7]
	v_and_b32_e32 v8, 0xffff0000, v8
	v_lshlrev_b32_e32 v9, 16, v25
	v_mul_f32_e32 v9, v8, v9
	v_and_b32_e32 v8, 0x7f800000, v9
	v_cmp_ne_u32_e32 vcc, s17, v8
                                        ; implicit-def: $vgpr8
	s_and_saveexec_b64 s[6:7], vcc
	s_xor_b64 s[6:7], exec, s[6:7]
; %bb.107:                              ;   in Loop: Header=BB128_51 Depth=1
	v_bfe_u32 v8, v9, 16, 1
	v_add3_u32 v8, v9, v8, s18
                                        ; implicit-def: $vgpr9
; %bb.108:                              ;   in Loop: Header=BB128_51 Depth=1
	s_andn2_saveexec_b64 s[6:7], s[6:7]
; %bb.109:                              ;   in Loop: Header=BB128_51 Depth=1
	v_or_b32_e32 v8, 0x10000, v9
	v_cmp_eq_u32_sdwa vcc, v9, v13 src0_sel:WORD_0 src1_sel:DWORD
	s_nop 1
	v_cndmask_b32_e32 v8, v8, v9, vcc
; %bb.110:                              ;   in Loop: Header=BB128_51 Depth=1
	s_or_b64 exec, exec, s[6:7]
	v_and_b32_e32 v7, 0xffff0000, v7
	v_lshlrev_b32_e32 v5, 16, v5
	v_mul_f32_e32 v7, v7, v5
	v_and_b32_e32 v5, 0x7f800000, v7
	v_cmp_ne_u32_e32 vcc, s17, v5
                                        ; implicit-def: $vgpr5
	s_and_saveexec_b64 s[6:7], vcc
	s_xor_b64 s[6:7], exec, s[6:7]
; %bb.111:                              ;   in Loop: Header=BB128_51 Depth=1
	v_bfe_u32 v5, v7, 16, 1
	v_add3_u32 v5, v7, v5, s18
                                        ; implicit-def: $vgpr7
; %bb.112:                              ;   in Loop: Header=BB128_51 Depth=1
	s_andn2_saveexec_b64 s[6:7], s[6:7]
; %bb.113:                              ;   in Loop: Header=BB128_51 Depth=1
	v_or_b32_e32 v5, 0x10000, v7
	v_cmp_eq_u32_sdwa vcc, v7, v13 src0_sel:WORD_0 src1_sel:DWORD
	s_nop 1
	v_cndmask_b32_e32 v5, v5, v7, vcc
; %bb.114:                              ;   in Loop: Header=BB128_51 Depth=1
	s_or_b64 exec, exec, s[6:7]
	v_and_b32_e32 v6, 0xffff0000, v6
	v_lshlrev_b32_e32 v7, 16, v24
	v_mul_f32_e32 v6, v6, v7
	v_and_b32_e32 v7, 0x7f800000, v6
	v_cmp_ne_u32_e32 vcc, s17, v7
                                        ; implicit-def: $vgpr7
	s_and_saveexec_b64 s[6:7], vcc
	s_xor_b64 s[6:7], exec, s[6:7]
; %bb.115:                              ;   in Loop: Header=BB128_51 Depth=1
	v_bfe_u32 v7, v6, 16, 1
	v_add3_u32 v7, v6, v7, s18
                                        ; implicit-def: $vgpr6
; %bb.116:                              ;   in Loop: Header=BB128_51 Depth=1
	s_andn2_saveexec_b64 s[6:7], s[6:7]
	s_cbranch_execz .LBB128_49
; %bb.117:                              ;   in Loop: Header=BB128_51 Depth=1
	v_or_b32_e32 v7, 0x10000, v6
	v_cmp_eq_u32_sdwa vcc, v6, v13 src0_sel:WORD_0 src1_sel:DWORD
	s_nop 1
	v_cndmask_b32_e32 v7, v7, v6, vcc
	s_branch .LBB128_49
.LBB128_118:
	s_or_b64 exec, exec, s[4:5]
.LBB128_119:
	s_or_b64 exec, exec, s[2:3]
	v_and_b32_e32 v0, 0x3c0, v0
	v_cmp_eq_u32_e32 vcc, 64, v0
	s_barrier
	s_and_saveexec_b64 s[0:1], vcc
	s_cbranch_execz .LBB128_121
; %bb.120:
	v_mov_b32_e32 v0, 0x90
	v_lshl_add_u32 v0, v18, 2, v0
	ds_write_b32 v0, v12
.LBB128_121:
	s_or_b64 exec, exec, s[0:1]
	s_waitcnt lgkmcnt(0)
	s_barrier
	s_and_saveexec_b64 s[0:1], s[8:9]
	s_cbranch_execz .LBB128_123
; %bb.122:
	v_mov_b32_e32 v0, 0x90
	v_lshl_add_u32 v0, v18, 2, v0
	ds_read_b32 v0, v0
	s_waitcnt lgkmcnt(0)
	v_add_f32_e32 v12, v12, v0
.LBB128_123:
	s_or_b64 exec, exec, s[0:1]
	s_barrier
	s_and_saveexec_b64 s[0:1], s[8:9]
	s_cbranch_execz .LBB128_129
; %bb.124:
	s_mov_b32 s0, 0x7f800000
	v_and_b32_e32 v0, 0x7f800000, v12
	v_cmp_ne_u32_e32 vcc, s0, v0
                                        ; implicit-def: $vgpr0
	s_and_saveexec_b64 s[0:1], vcc
	s_xor_b64 s[0:1], exec, s[0:1]
; %bb.125:
	v_bfe_u32 v0, v12, 16, 1
	s_movk_i32 s2, 0x7fff
	v_add3_u32 v0, v12, v0, s2
                                        ; implicit-def: $vgpr12
; %bb.126:
	s_andn2_saveexec_b64 s[0:1], s[0:1]
; %bb.127:
	v_mov_b32_e32 v0, 0
	v_or_b32_e32 v1, 0x10000, v12
	v_cmp_eq_u32_sdwa vcc, v12, v0 src0_sel:WORD_0 src1_sel:DWORD
	s_nop 1
	v_cndmask_b32_e32 v0, v1, v12, vcc
; %bb.128:
	s_or_b64 exec, exec, s[0:1]
	s_lshl_b32 s0, s10, 6
	s_ashr_i32 s1, s0, 31
	s_lshl_b64 s[0:1], s[0:1], 1
	s_add_u32 s2, s28, s0
	s_mul_i32 s0, s15, s14
	s_addc_u32 s3, s29, s1
	s_ashr_i32 s1, s0, 31
	s_lshl_b64 s[0:1], s[0:1], 1
	s_add_u32 s2, s2, s0
	s_addc_u32 s3, s3, s1
	s_ashr_i32 s17, s16, 31
	s_lshl_b64 s[0:1], s[16:17], 1
	s_add_u32 s0, s2, s0
	s_addc_u32 s1, s3, s1
	v_lshlrev_b32_e32 v1, 1, v18
	global_store_short_d16_hi v1, v0, s[0:1]
.LBB128_129:
	s_endpgm
	.section	.rodata,"a",@progbits
	.p2align	6, 0x0
	.amdhsa_kernel _ZN4vllm25paged_attention_v2_kernelI14__hip_bfloat16S1_Li64ELi8ELi128ELNS_18Fp8KVCacheDataTypeE0ELb1ELi512EEEvPfS3_PT_PKS4_PKT0_SA_ifPKiSC_iPKfiiiSE_SE_iiiii
		.amdhsa_group_segment_fixed_size 144
		.amdhsa_private_segment_fixed_size 0
		.amdhsa_kernarg_size 400
		.amdhsa_user_sgpr_count 2
		.amdhsa_user_sgpr_dispatch_ptr 0
		.amdhsa_user_sgpr_queue_ptr 0
		.amdhsa_user_sgpr_kernarg_segment_ptr 1
		.amdhsa_user_sgpr_dispatch_id 0
		.amdhsa_user_sgpr_kernarg_preload_length 0
		.amdhsa_user_sgpr_kernarg_preload_offset 0
		.amdhsa_user_sgpr_private_segment_size 0
		.amdhsa_uses_dynamic_stack 0
		.amdhsa_enable_private_segment 0
		.amdhsa_system_sgpr_workgroup_id_x 1
		.amdhsa_system_sgpr_workgroup_id_y 1
		.amdhsa_system_sgpr_workgroup_id_z 1
		.amdhsa_system_sgpr_workgroup_info 0
		.amdhsa_system_vgpr_workitem_id 0
		.amdhsa_next_free_vgpr 41
		.amdhsa_next_free_sgpr 54
		.amdhsa_accum_offset 44
		.amdhsa_reserve_vcc 1
		.amdhsa_float_round_mode_32 0
		.amdhsa_float_round_mode_16_64 0
		.amdhsa_float_denorm_mode_32 3
		.amdhsa_float_denorm_mode_16_64 3
		.amdhsa_dx10_clamp 1
		.amdhsa_ieee_mode 1
		.amdhsa_fp16_overflow 0
		.amdhsa_tg_split 0
		.amdhsa_exception_fp_ieee_invalid_op 0
		.amdhsa_exception_fp_denorm_src 0
		.amdhsa_exception_fp_ieee_div_zero 0
		.amdhsa_exception_fp_ieee_overflow 0
		.amdhsa_exception_fp_ieee_underflow 0
		.amdhsa_exception_fp_ieee_inexact 0
		.amdhsa_exception_int_div_zero 0
	.end_amdhsa_kernel
	.section	.text._ZN4vllm25paged_attention_v2_kernelI14__hip_bfloat16S1_Li64ELi8ELi128ELNS_18Fp8KVCacheDataTypeE0ELb1ELi512EEEvPfS3_PT_PKS4_PKT0_SA_ifPKiSC_iPKfiiiSE_SE_iiiii,"axG",@progbits,_ZN4vllm25paged_attention_v2_kernelI14__hip_bfloat16S1_Li64ELi8ELi128ELNS_18Fp8KVCacheDataTypeE0ELb1ELi512EEEvPfS3_PT_PKS4_PKT0_SA_ifPKiSC_iPKfiiiSE_SE_iiiii,comdat
.Lfunc_end128:
	.size	_ZN4vllm25paged_attention_v2_kernelI14__hip_bfloat16S1_Li64ELi8ELi128ELNS_18Fp8KVCacheDataTypeE0ELb1ELi512EEEvPfS3_PT_PKS4_PKT0_SA_ifPKiSC_iPKfiiiSE_SE_iiiii, .Lfunc_end128-_ZN4vllm25paged_attention_v2_kernelI14__hip_bfloat16S1_Li64ELi8ELi128ELNS_18Fp8KVCacheDataTypeE0ELb1ELi512EEEvPfS3_PT_PKS4_PKT0_SA_ifPKiSC_iPKfiiiSE_SE_iiiii
                                        ; -- End function
	.section	.AMDGPU.csdata,"",@progbits
; Kernel info:
; codeLenInByte = 5496
; NumSgprs: 60
; NumVgprs: 41
; NumAgprs: 0
; TotalNumVgprs: 41
; ScratchSize: 0
; MemoryBound: 0
; FloatMode: 240
; IeeeMode: 1
; LDSByteSize: 144 bytes/workgroup (compile time only)
; SGPRBlocks: 7
; VGPRBlocks: 5
; NumSGPRsForWavesPerEU: 60
; NumVGPRsForWavesPerEU: 41
; AccumOffset: 44
; Occupancy: 8
; WaveLimiterHint : 1
; COMPUTE_PGM_RSRC2:SCRATCH_EN: 0
; COMPUTE_PGM_RSRC2:USER_SGPR: 2
; COMPUTE_PGM_RSRC2:TRAP_HANDLER: 0
; COMPUTE_PGM_RSRC2:TGID_X_EN: 1
; COMPUTE_PGM_RSRC2:TGID_Y_EN: 1
; COMPUTE_PGM_RSRC2:TGID_Z_EN: 1
; COMPUTE_PGM_RSRC2:TIDIG_COMP_CNT: 0
; COMPUTE_PGM_RSRC3_GFX90A:ACCUM_OFFSET: 10
; COMPUTE_PGM_RSRC3_GFX90A:TG_SPLIT: 0
	.section	.text._ZN4vllm32paged_attention_v2_reduce_kernelI14__hip_bfloat16Li64ELi128ELi512EEEvPT_PKfS5_PKS2_PKii,"axG",@progbits,_ZN4vllm32paged_attention_v2_reduce_kernelI14__hip_bfloat16Li64ELi128ELi512EEEvPT_PKfS5_PKS2_PKii,comdat
	.protected	_ZN4vllm32paged_attention_v2_reduce_kernelI14__hip_bfloat16Li64ELi128ELi512EEEvPT_PKfS5_PKS2_PKii ; -- Begin function _ZN4vllm32paged_attention_v2_reduce_kernelI14__hip_bfloat16Li64ELi128ELi512EEEvPT_PKfS5_PKS2_PKii
	.globl	_ZN4vllm32paged_attention_v2_reduce_kernelI14__hip_bfloat16Li64ELi128ELi512EEEvPT_PKfS5_PKS2_PKii
	.p2align	8
	.type	_ZN4vllm32paged_attention_v2_reduce_kernelI14__hip_bfloat16Li64ELi128ELi512EEEvPT_PKfS5_PKS2_PKii,@function
_ZN4vllm32paged_attention_v2_reduce_kernelI14__hip_bfloat16Li64ELi128ELi512EEEvPT_PKfS5_PKS2_PKii: ; @_ZN4vllm32paged_attention_v2_reduce_kernelI14__hip_bfloat16Li64ELi128ELi512EEEvPT_PKfS5_PKS2_PKii
; %bb.0:
	s_load_dwordx4 s[8:11], s[0:1], 0x18
	s_add_u32 s6, s0, 48
	s_mov_b32 s12, s3
	s_addc_u32 s7, s1, 0
	s_ashr_i32 s13, s3, 31
	s_lshl_b64 s[4:5], s[12:13], 2
	s_waitcnt lgkmcnt(0)
	s_add_u32 s4, s10, s4
	s_addc_u32 s5, s11, s5
	s_load_dword s26, s[4:5], 0x0
	s_load_dwordx2 s[10:11], s[0:1], 0x0
	s_load_dword s3, s[0:1], 0x28
	s_load_dword s13, s[0:1], 0x30
	s_waitcnt lgkmcnt(0)
	s_add_i32 s4, s26, -1
	s_cmpk_gt_u32 s4, 0x1ff
	s_mov_b64 s[4:5], -1
	s_cbranch_scc0 .LBB129_29
; %bb.1:
	s_add_i32 s4, s26, 0x1ff
	s_load_dwordx2 s[18:19], s[0:1], 0x8
	s_ashr_i32 s5, s4, 31
	s_lshr_b32 s5, s5, 23
	s_add_i32 s4, s4, s5
	s_mul_i32 s24, s13, s12
	s_ashr_i32 s25, s4, 9
	s_mul_i32 s14, s24, s3
	s_mul_i32 s16, s2, s3
	s_ashr_i32 s15, s14, 31
	s_ashr_i32 s17, s16, 31
	v_cmp_gt_i32_e32 vcc, s25, v0
	v_mov_b32_e32 v6, 0xff7fffff
	v_lshlrev_b32_e32 v2, 2, v0
	s_and_saveexec_b64 s[4:5], vcc
	s_cbranch_execz .LBB129_5
; %bb.2:
	s_load_dword s20, s[6:7], 0xc
	s_load_dwordx2 s[22:23], s[0:1], 0x10
	s_lshl_b64 s[0:1], s[14:15], 2
	s_lshl_b64 s[28:29], s[16:17], 2
	v_mov_b32_e32 v3, 0
	s_waitcnt lgkmcnt(0)
	s_and_b32 s27, s20, 0xffff
	s_add_u32 s0, s0, s28
	s_addc_u32 s1, s1, s29
	s_add_u32 s0, s22, s0
	s_addc_u32 s1, s23, s1
	s_mov_b32 s21, 0
	v_lshl_add_u64 v[4:5], s[0:1], 0, v[2:3]
	s_lshl_b32 s20, s27, 2
	v_add_u32_e32 v1, 16, v2
	s_mov_b64 s[22:23], 0
	v_mov_b32_e32 v6, 0xff7fffff
	v_mov_b32_e32 v3, v0
.LBB129_3:                              ; =>This Inner Loop Header: Depth=1
	global_load_dword v7, v[4:5], off
	v_add_u32_e32 v3, s27, v3
	v_max_f32_e32 v6, v6, v6
	v_cmp_le_i32_e64 s[0:1], s25, v3
	v_lshl_add_u64 v[4:5], v[4:5], 0, s[20:21]
	s_or_b64 s[22:23], s[0:1], s[22:23]
	s_waitcnt vmcnt(0)
	ds_write_b32 v1, v7
	v_max_f32_e32 v7, v7, v7
	v_add_u32_e32 v1, s20, v1
	v_max_f32_e32 v6, v6, v7
	s_andn2_b64 exec, exec, s[22:23]
	s_cbranch_execnz .LBB129_3
; %bb.4:
	s_or_b64 exec, exec, s[22:23]
.LBB129_5:
	s_or_b64 exec, exec, s[4:5]
	v_mbcnt_lo_u32_b32 v1, -1, 0
	v_mbcnt_hi_u32_b32 v3, -1, v1
	v_and_b32_e32 v1, 64, v3
	v_add_u32_e32 v7, 64, v1
	v_xor_b32_e32 v1, 32, v3
	v_cmp_lt_i32_e64 s[0:1], v1, v7
	v_max_f32_e32 v5, v6, v6
	v_xor_b32_e32 v8, 8, v3
	v_cndmask_b32_e64 v1, v3, v1, s[0:1]
	v_lshlrev_b32_e32 v1, 2, v1
	ds_bpermute_b32 v4, v1, v6
	v_xor_b32_e32 v6, 16, v3
	v_cmp_lt_i32_e64 s[0:1], v6, v7
	v_xor_b32_e32 v9, 4, v3
	v_xor_b32_e32 v10, 2, v3
	s_waitcnt lgkmcnt(0)
	v_max_f32_e32 v4, v4, v4
	v_max_f32_e32 v4, v5, v4
	v_cndmask_b32_e64 v5, v3, v6, s[0:1]
	v_lshlrev_b32_e32 v6, 2, v5
	ds_bpermute_b32 v5, v6, v4
	v_cmp_lt_i32_e64 s[0:1], v8, v7
	v_lshrrev_b32_e32 v13, 6, v0
	s_waitcnt lgkmcnt(0)
	s_barrier
	v_max_f32_e32 v5, v5, v5
	v_max_f32_e32 v4, v4, v5
	v_cndmask_b32_e64 v5, v3, v8, s[0:1]
	v_lshlrev_b32_e32 v8, 2, v5
	ds_bpermute_b32 v5, v8, v4
	v_cmp_lt_i32_e64 s[0:1], v9, v7
	s_waitcnt lgkmcnt(0)
	v_max_f32_e32 v5, v5, v5
	v_max_f32_e32 v4, v4, v5
	v_cndmask_b32_e64 v5, v3, v9, s[0:1]
	v_lshlrev_b32_e32 v9, 2, v5
	ds_bpermute_b32 v5, v9, v4
	v_cmp_lt_i32_e64 s[0:1], v10, v7
	s_waitcnt lgkmcnt(0)
	v_max_f32_e32 v5, v5, v5
	v_max_f32_e32 v5, v4, v5
	v_cndmask_b32_e64 v4, v3, v10, s[0:1]
	v_lshlrev_b32_e32 v10, 2, v4
	ds_bpermute_b32 v11, v10, v5
	v_and_b32_e32 v4, 63, v0
	s_waitcnt lgkmcnt(0)
	v_max_f32_e32 v11, v11, v11
	v_max_f32_e32 v5, v5, v11
	v_xor_b32_e32 v11, 1, v3
	v_cmp_lt_i32_e64 s[0:1], v11, v7
	s_nop 1
	v_cndmask_b32_e64 v7, v3, v11, s[0:1]
	v_lshlrev_b32_e32 v7, 2, v7
	ds_bpermute_b32 v12, v7, v5
	v_cmp_eq_u32_e64 s[0:1], 0, v4
	v_lshlrev_b32_e32 v11, 2, v13
	s_and_saveexec_b64 s[4:5], s[0:1]
	s_cbranch_execz .LBB129_7
; %bb.6:
	s_waitcnt lgkmcnt(0)
	v_max_f32_e32 v12, v12, v12
	v_max_f32_e32 v5, v5, v5
	;; [unrolled: 1-line block ×3, first 2 shown]
	ds_write_b32 v11, v5
.LBB129_7:
	s_or_b64 exec, exec, s[4:5]
	v_cmp_gt_u32_e64 s[4:5], 2, v4
	v_mov_b32_e32 v5, 0xff7fffff
	s_waitcnt lgkmcnt(0)
	v_lshlrev_b32_e32 v12, 2, v4
	s_barrier
	s_and_saveexec_b64 s[20:21], s[4:5]
	s_cbranch_execz .LBB129_9
; %bb.8:
	ds_read_b32 v5, v12
.LBB129_9:
	s_or_b64 exec, exec, s[20:21]
	s_waitcnt lgkmcnt(0)
	ds_bpermute_b32 v4, v7, v5
	v_max_f32_e32 v5, v5, v5
	v_lshlrev_b32_e32 v3, 2, v3
	v_and_b32_e32 v13, 0x100, v3
	s_lshl_b32 s27, s25, 2
	s_waitcnt lgkmcnt(0)
	v_max_f32_e32 v4, v4, v4
	v_max_f32_e32 v4, v5, v4
	ds_bpermute_b32 v14, v13, v4
	v_mov_b32_e32 v3, 0
	s_and_saveexec_b64 s[20:21], vcc
	s_cbranch_execz .LBB129_13
; %bb.10:
	s_load_dword s22, s[6:7], 0xc
	s_lshl_b64 s[28:29], s[14:15], 2
	s_lshl_b64 s[30:31], s[16:17], 2
	v_mov_b32_e32 v3, 0
	s_mov_b32 s23, 0
	s_waitcnt lgkmcnt(0)
	s_and_b32 s15, s22, 0xffff
	s_add_u32 s17, s28, s30
	s_addc_u32 s22, s29, s31
	s_add_u32 s18, s18, s17
	s_addc_u32 s19, s19, s22
	v_lshl_add_u64 v[4:5], s[18:19], 0, v[2:3]
	s_lshl_b32 s22, s15, 2
	v_add_u32_e32 v2, 16, v2
	s_mov_b64 s[18:19], 0
	s_mov_b32 s17, 0x3fb8aa3b
	s_mov_b32 s28, 0xc2ce8ed0
	;; [unrolled: 1-line block ×3, first 2 shown]
	v_mov_b32_e32 v15, 0x7f800000
	v_mov_b32_e32 v16, v0
.LBB129_11:                             ; =>This Inner Loop Header: Depth=1
	global_load_dword v17, v[4:5], off
	ds_read_b32 v18, v2
	v_add_u32_e32 v16, s15, v16
	v_cmp_le_i32_e32 vcc, s25, v16
	s_or_b64 s[18:19], vcc, s[18:19]
	v_add_u32_e32 v19, s27, v2
	s_waitcnt lgkmcnt(0)
	v_sub_f32_e32 v18, v18, v14
	v_mul_f32_e32 v20, 0x3fb8aa3b, v18
	v_fma_f32 v21, v18, s17, -v20
	v_rndne_f32_e32 v22, v20
	v_fmac_f32_e32 v21, 0x32a5705f, v18
	v_sub_f32_e32 v20, v20, v22
	v_add_f32_e32 v20, v20, v21
	v_cvt_i32_f32_e32 v22, v22
	v_exp_f32_e32 v20, v20
	v_cmp_ngt_f32_e32 vcc, s28, v18
	v_lshl_add_u64 v[4:5], v[4:5], 0, s[22:23]
	v_add_u32_e32 v2, s22, v2
	v_ldexp_f32 v20, v20, v22
	v_cndmask_b32_e32 v20, 0, v20, vcc
	v_cmp_nlt_f32_e32 vcc, s29, v18
	s_nop 1
	v_cndmask_b32_e32 v18, v15, v20, vcc
	s_waitcnt vmcnt(0)
	v_mul_f32_e32 v20, v17, v18
	v_fmac_f32_e32 v3, v17, v18
	ds_write_b32 v19, v20
	s_andn2_b64 exec, exec, s[18:19]
	s_cbranch_execnz .LBB129_11
; %bb.12:
	s_or_b64 exec, exec, s[18:19]
.LBB129_13:
	s_or_b64 exec, exec, s[20:21]
	ds_bpermute_b32 v1, v1, v3
	s_waitcnt lgkmcnt(0)
	s_barrier
	v_add_f32_e32 v1, v3, v1
	ds_bpermute_b32 v2, v6, v1
	s_waitcnt lgkmcnt(0)
	v_add_f32_e32 v1, v1, v2
	ds_bpermute_b32 v2, v8, v1
	s_waitcnt lgkmcnt(0)
	;; [unrolled: 3-line block ×5, first 2 shown]
	v_add_f32_e32 v1, v1, v2
	s_and_saveexec_b64 s[18:19], s[0:1]
	s_cbranch_execz .LBB129_15
; %bb.14:
	ds_write_b32 v11, v1 offset:8
.LBB129_15:
	s_or_b64 exec, exec, s[18:19]
	s_waitcnt lgkmcnt(0)
	s_barrier
	s_and_saveexec_b64 s[0:1], s[4:5]
	s_cbranch_execz .LBB129_17
; %bb.16:
	ds_read_b32 v1, v12 offset:8
.LBB129_17:
	s_or_b64 exec, exec, s[0:1]
	s_waitcnt lgkmcnt(0)
	ds_bpermute_b32 v2, v7, v1
	v_cmp_gt_u32_e32 vcc, 64, v0
	s_waitcnt lgkmcnt(0)
	v_add_f32_e32 v1, v1, v2
	ds_bpermute_b32 v2, v13, v1
	s_and_saveexec_b64 s[0:1], vcc
	s_cbranch_execz .LBB129_28
; %bb.18:
	s_cmp_gt_i32 s26, 0
	s_mov_b32 s15, 0
	s_cbranch_scc1 .LBB129_20
; %bb.19:
	v_mov_b32_e32 v1, 0
	v_mov_b32_e32 v4, s15
	s_cbranch_execz .LBB129_21
	s_branch .LBB129_23
.LBB129_20:
                                        ; implicit-def: $sgpr15
	v_mov_b32_e32 v4, s15
.LBB129_21:
	s_waitcnt lgkmcnt(0)
	v_add_f32_e32 v1, 0x358637bd, v2
	v_div_scale_f32 v2, s[4:5], v1, v1, 1.0
	v_rcp_f32_e32 v3, v2
	s_lshl_b32 s4, s14, 6
	s_lshl_b32 s16, s16, 6
	s_ashr_i32 s5, s4, 31
	v_fma_f32 v4, -v2, v3, 1.0
	v_fmac_f32_e32 v3, v4, v3
	v_div_scale_f32 v4, vcc, 1.0, v1, 1.0
	v_mul_f32_e32 v5, v4, v3
	v_fma_f32 v6, -v2, v5, v4
	s_ashr_i32 s17, s16, 31
	s_max_i32 s15, s25, 1
	v_fmac_f32_e32 v5, v6, v3
	s_add_i32 s14, s27, 16
	s_lshl_b64 s[4:5], s[4:5], 1
	s_lshl_b64 s[16:17], s[16:17], 1
	v_fma_f32 v2, -v2, v5, v4
	s_add_u32 s4, s4, s16
	v_div_fmas_f32 v2, v2, v3, v5
	s_addc_u32 s5, s5, s17
	v_div_fixup_f32 v5, v2, v1, 1.0
	v_mov_b32_e32 v1, 0
	s_add_u32 s4, s8, s4
	v_lshlrev_b32_e32 v2, 1, v0
	v_mov_b32_e32 v3, v1
	s_addc_u32 s5, s9, s5
	v_lshl_add_u64 v[2:3], s[4:5], 0, v[2:3]
	s_mov_b64 s[4:5], 0x80
	v_mov_b32_e32 v4, v1
.LBB129_22:                             ; =>This Inner Loop Header: Depth=1
	global_load_ushort v6, v[2:3], off
	v_mov_b32_e32 v7, s14
	ds_read_b32 v7, v7
	s_add_i32 s15, s15, -1
	s_add_i32 s14, s14, 4
	v_lshl_add_u64 v[2:3], v[2:3], 0, s[4:5]
	s_cmp_eq_u32 s15, 0
	s_waitcnt vmcnt(0)
	v_lshlrev_b32_e32 v6, 16, v6
	s_waitcnt lgkmcnt(0)
	v_mul_f32_e32 v6, v7, v6
	v_fmac_f32_e32 v4, v5, v6
	s_cbranch_scc0 .LBB129_22
.LBB129_23:
	s_mov_b32 s4, 0x7f800000
	s_waitcnt lgkmcnt(0)
	v_and_b32_e32 v2, 0x7f800000, v4
	v_cmp_ne_u32_e32 vcc, s4, v2
                                        ; implicit-def: $vgpr2
	s_and_saveexec_b64 s[4:5], vcc
	s_xor_b64 s[4:5], exec, s[4:5]
; %bb.24:
	v_bfe_u32 v2, v4, 16, 1
	s_movk_i32 s14, 0x7fff
	v_add3_u32 v2, v4, v2, s14
                                        ; implicit-def: $vgpr4
; %bb.25:
	s_andn2_saveexec_b64 s[4:5], s[4:5]
; %bb.26:
	v_mov_b32_e32 v2, 0
	v_or_b32_e32 v3, 0x10000, v4
	v_cmp_eq_u32_sdwa vcc, v4, v2 src0_sel:WORD_0 src1_sel:DWORD
	s_nop 1
	v_cndmask_b32_e32 v2, v3, v4, vcc
; %bb.27:
	s_or_b64 exec, exec, s[4:5]
	s_lshl_b32 s4, s24, 6
	s_ashr_i32 s5, s4, 31
	s_lshl_b64 s[4:5], s[4:5], 1
	s_add_u32 s14, s10, s4
	s_addc_u32 s15, s11, s5
	s_lshl_b32 s4, s2, 6
	s_ashr_i32 s5, s4, 31
	s_lshl_b64 s[4:5], s[4:5], 1
	s_add_u32 s4, s14, s4
	s_addc_u32 s5, s15, s5
	v_lshl_add_u64 v[4:5], v[0:1], 1, s[4:5]
	global_store_short_d16_hi v[4:5], v2, off
.LBB129_28:
	s_or_b64 exec, exec, s[0:1]
	s_mov_b64 s[4:5], 0
.LBB129_29:
	s_and_b64 vcc, exec, s[4:5]
	s_cbranch_vccz .LBB129_38
; %bb.30:
	v_cmp_gt_u32_e32 vcc, 64, v0
	s_and_saveexec_b64 s[0:1], vcc
	s_cbranch_execz .LBB129_38
; %bb.31:
	s_mul_i32 s13, s13, s12
	s_lshl_b32 s0, s13, 6
	s_ashr_i32 s1, s0, 31
	s_lshl_b64 s[0:1], s[0:1], 1
	s_add_u32 s4, s10, s0
	s_addc_u32 s5, s11, s1
	s_lshl_b32 s0, s2, 6
	s_ashr_i32 s1, s0, 31
	s_lshl_b64 s[0:1], s[0:1], 1
	s_add_u32 s4, s4, s0
	s_mul_i32 s0, s3, s13
	s_addc_u32 s5, s5, s1
	s_lshl_b32 s0, s0, 6
	s_ashr_i32 s1, s0, 31
	s_lshl_b64 s[0:1], s[0:1], 1
	s_add_u32 s8, s8, s0
	s_mul_i32 s2, s2, s3
	s_load_dword s6, s[6:7], 0xc
	s_addc_u32 s9, s9, s1
	s_lshl_b32 s0, s2, 6
	s_ashr_i32 s1, s0, 31
	s_lshl_b64 s[0:1], s[0:1], 1
	s_add_u32 s2, s8, s0
	s_addc_u32 s3, s9, s1
	s_waitcnt lgkmcnt(0)
	s_and_b32 s8, s6, 0xffff
	v_cvt_f32_u32_e32 v1, s8
	v_add_u32_e32 v2, s8, v0
	v_mov_b32_e32 v4, s8
	v_cmp_gt_u32_e32 vcc, 64, v2
	v_rcp_iflag_f32_e32 v1, v1
	s_cmp_eq_u32 s8, 1
	v_max_u32_e32 v3, 64, v2
	v_addc_co_u32_e64 v2, s[0:1], v0, v4, vcc
	v_mul_f32_e32 v1, 0x4f7ffffe, v1
	v_cvt_u32_f32_e32 v1, v1
	s_cselect_b64 s[6:7], -1, 0
	s_sub_i32 s0, 0, s8
	v_sub_u32_e32 v2, v3, v2
	v_mul_lo_u32 v3, s0, v1
	v_mul_hi_u32 v3, v1, v3
	v_add_u32_e32 v1, v1, v3
	v_mul_hi_u32 v1, v2, v1
	v_mul_lo_u32 v3, v1, s8
	v_sub_u32_e32 v2, v2, v3
	v_add_u32_e32 v3, 1, v1
	v_cmp_le_u32_e64 s[0:1], s8, v2
	s_nop 1
	v_cndmask_b32_e64 v1, v1, v3, s[0:1]
	v_subrev_u32_e32 v3, s8, v2
	v_cndmask_b32_e64 v2, v2, v3, s[0:1]
	v_add_u32_e32 v3, 1, v1
	v_cmp_le_u32_e64 s[0:1], s8, v2
	s_nop 1
	v_cndmask_b32_e64 v1, v1, v3, s[0:1]
	v_addc_co_u32_e32 v1, vcc, 1, v1, vcc
	v_cmp_lt_u32_e32 vcc, 31, v1
	s_and_b64 s[10:11], vcc, s[6:7]
	s_mov_b64 s[6:7], -1
	s_and_saveexec_b64 s[0:1], s[10:11]
	s_cbranch_execz .LBB129_35
; %bb.32:
	v_and_b32_e32 v4, 0xffffffe0, v1
	s_mov_b64 s[6:7], 0
	v_mov_b32_e32 v3, 0
	v_mov_b32_e32 v2, v0
	;; [unrolled: 1-line block ×3, first 2 shown]
.LBB129_33:                             ; =>This Inner Loop Header: Depth=1
	v_lshlrev_b64 v[22:23], 1, v[2:3]
	v_lshl_add_u64 v[24:25], s[2:3], 0, v[22:23]
	global_load_dwordx4 v[6:9], v[24:25], off
	global_load_dwordx4 v[10:13], v[24:25], off offset:16
	global_load_dwordx4 v[14:17], v[24:25], off offset:32
	;; [unrolled: 1-line block ×3, first 2 shown]
	v_subrev_u32_e32 v5, 32, v5
	v_cmp_eq_u32_e32 vcc, 0, v5
	v_add_u32_e32 v2, 32, v2
	v_lshl_add_u64 v[22:23], s[4:5], 0, v[22:23]
	s_or_b64 s[6:7], vcc, s[6:7]
	s_waitcnt vmcnt(3)
	global_store_dwordx4 v[22:23], v[6:9], off
	s_waitcnt vmcnt(3)
	global_store_dwordx4 v[22:23], v[10:13], off offset:16
	s_waitcnt vmcnt(3)
	global_store_dwordx4 v[22:23], v[14:17], off offset:32
	;; [unrolled: 2-line block ×3, first 2 shown]
	s_andn2_b64 exec, exec, s[6:7]
	s_cbranch_execnz .LBB129_33
; %bb.34:
	s_or_b64 exec, exec, s[6:7]
	v_cmp_ne_u32_e32 vcc, v1, v4
	v_add_u32_e32 v0, v0, v4
	s_orn2_b64 s[6:7], vcc, exec
.LBB129_35:
	s_or_b64 exec, exec, s[0:1]
	s_and_b64 exec, exec, s[6:7]
	s_cbranch_execz .LBB129_38
; %bb.36:
	v_mov_b32_e32 v1, 0
	s_mov_b32 s1, 0
	v_lshlrev_b64 v[2:3], 1, v[0:1]
	s_lshl_b32 s0, s8, 1
	s_mov_b64 s[6:7], 0
.LBB129_37:                             ; =>This Inner Loop Header: Depth=1
	v_lshl_add_u64 v[4:5], s[2:3], 0, v[2:3]
	global_load_ushort v1, v[4:5], off
	v_add_u32_e32 v0, s8, v0
	v_cmp_lt_u32_e32 vcc, 63, v0
	v_lshl_add_u64 v[4:5], s[4:5], 0, v[2:3]
	v_lshl_add_u64 v[2:3], v[2:3], 0, s[0:1]
	s_or_b64 s[6:7], vcc, s[6:7]
	s_waitcnt vmcnt(0)
	global_store_short v[4:5], v1, off
	s_andn2_b64 exec, exec, s[6:7]
	s_cbranch_execnz .LBB129_37
.LBB129_38:
	s_endpgm
	.section	.rodata,"a",@progbits
	.p2align	6, 0x0
	.amdhsa_kernel _ZN4vllm32paged_attention_v2_reduce_kernelI14__hip_bfloat16Li64ELi128ELi512EEEvPT_PKfS5_PKS2_PKii
		.amdhsa_group_segment_fixed_size 16
		.amdhsa_private_segment_fixed_size 0
		.amdhsa_kernarg_size 304
		.amdhsa_user_sgpr_count 2
		.amdhsa_user_sgpr_dispatch_ptr 0
		.amdhsa_user_sgpr_queue_ptr 0
		.amdhsa_user_sgpr_kernarg_segment_ptr 1
		.amdhsa_user_sgpr_dispatch_id 0
		.amdhsa_user_sgpr_kernarg_preload_length 0
		.amdhsa_user_sgpr_kernarg_preload_offset 0
		.amdhsa_user_sgpr_private_segment_size 0
		.amdhsa_uses_dynamic_stack 0
		.amdhsa_enable_private_segment 0
		.amdhsa_system_sgpr_workgroup_id_x 1
		.amdhsa_system_sgpr_workgroup_id_y 1
		.amdhsa_system_sgpr_workgroup_id_z 0
		.amdhsa_system_sgpr_workgroup_info 0
		.amdhsa_system_vgpr_workitem_id 0
		.amdhsa_next_free_vgpr 26
		.amdhsa_next_free_sgpr 32
		.amdhsa_accum_offset 28
		.amdhsa_reserve_vcc 1
		.amdhsa_float_round_mode_32 0
		.amdhsa_float_round_mode_16_64 0
		.amdhsa_float_denorm_mode_32 3
		.amdhsa_float_denorm_mode_16_64 3
		.amdhsa_dx10_clamp 1
		.amdhsa_ieee_mode 1
		.amdhsa_fp16_overflow 0
		.amdhsa_tg_split 0
		.amdhsa_exception_fp_ieee_invalid_op 0
		.amdhsa_exception_fp_denorm_src 0
		.amdhsa_exception_fp_ieee_div_zero 0
		.amdhsa_exception_fp_ieee_overflow 0
		.amdhsa_exception_fp_ieee_underflow 0
		.amdhsa_exception_fp_ieee_inexact 0
		.amdhsa_exception_int_div_zero 0
	.end_amdhsa_kernel
	.section	.text._ZN4vllm32paged_attention_v2_reduce_kernelI14__hip_bfloat16Li64ELi128ELi512EEEvPT_PKfS5_PKS2_PKii,"axG",@progbits,_ZN4vllm32paged_attention_v2_reduce_kernelI14__hip_bfloat16Li64ELi128ELi512EEEvPT_PKfS5_PKS2_PKii,comdat
.Lfunc_end129:
	.size	_ZN4vllm32paged_attention_v2_reduce_kernelI14__hip_bfloat16Li64ELi128ELi512EEEvPT_PKfS5_PKS2_PKii, .Lfunc_end129-_ZN4vllm32paged_attention_v2_reduce_kernelI14__hip_bfloat16Li64ELi128ELi512EEEvPT_PKfS5_PKS2_PKii
                                        ; -- End function
	.section	.AMDGPU.csdata,"",@progbits
; Kernel info:
; codeLenInByte = 2248
; NumSgprs: 38
; NumVgprs: 26
; NumAgprs: 0
; TotalNumVgprs: 26
; ScratchSize: 0
; MemoryBound: 0
; FloatMode: 240
; IeeeMode: 1
; LDSByteSize: 16 bytes/workgroup (compile time only)
; SGPRBlocks: 4
; VGPRBlocks: 3
; NumSGPRsForWavesPerEU: 38
; NumVGPRsForWavesPerEU: 26
; AccumOffset: 28
; Occupancy: 8
; WaveLimiterHint : 0
; COMPUTE_PGM_RSRC2:SCRATCH_EN: 0
; COMPUTE_PGM_RSRC2:USER_SGPR: 2
; COMPUTE_PGM_RSRC2:TRAP_HANDLER: 0
; COMPUTE_PGM_RSRC2:TGID_X_EN: 1
; COMPUTE_PGM_RSRC2:TGID_Y_EN: 1
; COMPUTE_PGM_RSRC2:TGID_Z_EN: 0
; COMPUTE_PGM_RSRC2:TIDIG_COMP_CNT: 0
; COMPUTE_PGM_RSRC3_GFX90A:ACCUM_OFFSET: 6
; COMPUTE_PGM_RSRC3_GFX90A:TG_SPLIT: 0
	.section	.text._ZN4vllm25paged_attention_v2_kernelI14__hip_bfloat16S1_Li80ELi8ELi128ELNS_18Fp8KVCacheDataTypeE0ELb1ELi512EEEvPfS3_PT_PKS4_PKT0_SA_ifPKiSC_iPKfiiiSE_SE_iiiii,"axG",@progbits,_ZN4vllm25paged_attention_v2_kernelI14__hip_bfloat16S1_Li80ELi8ELi128ELNS_18Fp8KVCacheDataTypeE0ELb1ELi512EEEvPfS3_PT_PKS4_PKT0_SA_ifPKiSC_iPKfiiiSE_SE_iiiii,comdat
	.protected	_ZN4vllm25paged_attention_v2_kernelI14__hip_bfloat16S1_Li80ELi8ELi128ELNS_18Fp8KVCacheDataTypeE0ELb1ELi512EEEvPfS3_PT_PKS4_PKT0_SA_ifPKiSC_iPKfiiiSE_SE_iiiii ; -- Begin function _ZN4vllm25paged_attention_v2_kernelI14__hip_bfloat16S1_Li80ELi8ELi128ELNS_18Fp8KVCacheDataTypeE0ELb1ELi512EEEvPfS3_PT_PKS4_PKT0_SA_ifPKiSC_iPKfiiiSE_SE_iiiii
	.globl	_ZN4vllm25paged_attention_v2_kernelI14__hip_bfloat16S1_Li80ELi8ELi128ELNS_18Fp8KVCacheDataTypeE0ELb1ELi512EEEvPfS3_PT_PKS4_PKT0_SA_ifPKiSC_iPKfiiiSE_SE_iiiii
	.p2align	8
	.type	_ZN4vllm25paged_attention_v2_kernelI14__hip_bfloat16S1_Li80ELi8ELi128ELNS_18Fp8KVCacheDataTypeE0ELb1ELi512EEEvPfS3_PT_PKS4_PKT0_SA_ifPKiSC_iPKfiiiSE_SE_iiiii,@function
_ZN4vllm25paged_attention_v2_kernelI14__hip_bfloat16S1_Li80ELi8ELi128ELNS_18Fp8KVCacheDataTypeE0ELb1ELi512EEEvPfS3_PT_PKS4_PKT0_SA_ifPKiSC_iPKfiiiSE_SE_iiiii: ; @_ZN4vllm25paged_attention_v2_kernelI14__hip_bfloat16S1_Li80ELi8ELi128ELNS_18Fp8KVCacheDataTypeE0ELb1ELi512EEEvPfS3_PT_PKS4_PKT0_SA_ifPKiSC_iPKfiiiSE_SE_iiiii
; %bb.0:
	s_load_dwordx2 s[6:7], s[0:1], 0x40
	s_mov_b32 s30, s3
	s_ashr_i32 s31, s3, 31
	s_lshl_b64 s[8:9], s[30:31], 2
	s_waitcnt lgkmcnt(0)
	s_add_u32 s6, s6, s8
	s_addc_u32 s7, s7, s9
	s_load_dword s31, s[6:7], 0x0
	s_lshl_b32 s52, s4, 9
	s_waitcnt lgkmcnt(0)
	s_cmp_ge_i32 s52, s31
	s_cbranch_scc1 .LBB130_173
; %bb.1:
	s_load_dword s5, s[0:1], 0x90
	s_load_dwordx2 s[40:41], s[0:1], 0x30
	s_mov_b32 s53, 0
	s_waitcnt lgkmcnt(0)
	s_abs_i32 s7, s5
	s_abs_i32 s3, s40
	v_cvt_f32_u32_e32 v1, s3
	s_sub_i32 s8, 0, s3
	s_xor_b32 s6, s5, s40
	s_ashr_i32 s6, s6, 31
	v_rcp_iflag_f32_e32 v1, v1
	s_nop 0
	v_mul_f32_e32 v1, 0x4f7ffffe, v1
	v_cvt_u32_f32_e32 v1, v1
	s_nop 0
	v_readfirstlane_b32 s9, v1
	s_mul_i32 s8, s8, s9
	s_mul_hi_u32 s8, s9, s8
	s_add_i32 s9, s9, s8
	s_mul_hi_u32 s8, s7, s9
	s_mul_i32 s9, s8, s3
	s_sub_i32 s7, s7, s9
	s_add_i32 s10, s8, 1
	s_sub_i32 s9, s7, s3
	s_cmp_ge_u32 s7, s3
	s_cselect_b32 s8, s10, s8
	s_cselect_b32 s7, s9, s7
	s_add_i32 s9, s8, 1
	s_cmp_ge_u32 s7, s3
	s_cselect_b32 s3, s9, s8
	s_xor_b32 s3, s3, s6
	s_sub_i32 s8, s3, s6
	s_abs_i32 s10, s8
	v_cvt_f32_u32_e32 v1, s10
	s_load_dwordx2 s[6:7], s[0:1], 0x50
	s_sub_i32 s3, 0, s10
	s_abs_i32 s11, s2
	v_rcp_iflag_f32_e32 v1, v1
	s_nop 0
	v_mul_f32_e32 v1, 0x4f7ffffe, v1
	v_cvt_u32_f32_e32 v1, v1
	s_nop 0
	v_readfirstlane_b32 s9, v1
	s_mul_i32 s3, s3, s9
	s_mul_hi_u32 s3, s9, s3
	s_add_i32 s9, s9, s3
	s_waitcnt lgkmcnt(0)
	s_cmp_eq_u64 s[6:7], 0
	s_mul_hi_u32 s12, s11, s9
	s_cbranch_scc1 .LBB130_3
; %bb.2:
	s_ashr_i32 s3, s2, 31
	s_lshl_b64 s[14:15], s[2:3], 2
	s_add_u32 s6, s6, s14
	s_addc_u32 s7, s7, s15
	s_load_dword s53, s[6:7], 0x0
.LBB130_3:
	s_load_dwordx4 s[16:19], s[0:1], 0x58
	s_movk_i32 s6, 0x50
	s_ashr_i32 s3, s2, 31
	s_ashr_i32 s13, s8, 31
	v_and_b32_e32 v4, 7, v0
	s_mul_i32 s14, s2, 0x50
	v_cmp_gt_u32_e64 s[8:9], s6, v0
	v_lshlrev_b32_e32 v10, 1, v0
	s_and_saveexec_b64 s[6:7], s[8:9]
	s_cbranch_execz .LBB130_5
; %bb.4:
	s_load_dwordx2 s[20:21], s[0:1], 0x18
	s_waitcnt lgkmcnt(0)
	s_mul_i32 s22, s30, s16
	s_ashr_i32 s23, s22, 31
	s_lshl_b64 s[22:23], s[22:23], 1
	v_lshrrev_b32_e32 v2, 2, v0
	s_add_u32 s16, s20, s22
	s_addc_u32 s19, s21, s23
	s_ashr_i32 s15, s14, 31
	s_lshl_b64 s[20:21], s[14:15], 1
	s_add_u32 s20, s16, s20
	s_addc_u32 s21, s19, s21
	global_load_ushort v1, v10, s[20:21]
	v_and_b32_e32 v2, 0xfe, v2
	v_mad_u32_u24 v2, v4, 20, v2
	s_waitcnt vmcnt(0)
	ds_write_b16 v2, v1
.LBB130_5:
	s_or_b64 exec, exec, s[6:7]
	s_mul_i32 s6, s12, s10
	s_sub_i32 s6, s11, s6
	s_xor_b32 s3, s3, s13
	s_add_i32 s7, s12, 1
	s_sub_i32 s11, s6, s10
	s_load_dwordx4 s[20:23], s[0:1], 0x78
	s_cmp_ge_u32 s6, s10
	s_cselect_b32 s7, s7, s12
	s_load_dword s12, s[0:1], 0x88
	s_cselect_b32 s6, s11, s6
	s_add_i32 s11, s7, 1
	s_cmp_ge_u32 s6, s10
	s_cselect_b32 s6, s11, s7
	s_waitcnt lgkmcnt(0)
	s_abs_i32 s33, s23
	v_cvt_f32_u32_e32 v1, s33
	s_xor_b32 s6, s6, s3
	s_sub_i32 s10, s6, s3
	s_sub_i32 s6, 0, s33
	v_rcp_iflag_f32_e32 v1, v1
	s_add_i32 s13, s31, -1
	s_abs_i32 s3, s13
	v_mul_f32_e32 v1, 0x4f7ffffe, v1
	v_cvt_u32_f32_e32 v1, v1
	s_barrier
	v_readfirstlane_b32 s48, v1
	s_mul_i32 s6, s6, s48
	s_mul_hi_u32 s6, s48, s6
	s_add_i32 s48, s48, s6
	s_cmp_lt_i32 s12, 0
	s_mul_hi_u32 s11, s3, s48
	s_cbranch_scc0 .LBB130_7
; %bb.6:
	s_mul_i32 s6, s20, s40
	s_add_i32 s6, s10, s6
	s_mul_i32 s6, s6, s12
	s_sub_i32 s49, 1, s6
	s_mov_b64 s[6:7], 0
	s_branch .LBB130_8
.LBB130_7:
	s_mov_b64 s[6:7], -1
                                        ; implicit-def: $sgpr49
.LBB130_8:
	s_load_dwordx2 s[34:35], s[0:1], 0x38
	s_ashr_i32 s13, s13, 31
	s_andn2_b64 vcc, exec, s[6:7]
	s_ashr_i32 s50, s23, 31
	s_cbranch_vccnz .LBB130_10
; %bb.9:
	s_mul_i32 s6, s5, s20
	s_add_i32 s6, s6, s2
	s_mul_i32 s6, s6, s12
	s_add_i32 s49, s6, 1
.LBB130_10:
	s_load_dword s6, s[0:1], 0x48
	s_load_dwordx2 s[38:39], s[0:1], 0x28
	s_load_dword s15, s[0:1], 0x98
	s_load_dwordx4 s[24:27], s[0:1], 0x0
	s_load_dwordx2 s[28:29], s[0:1], 0x10
	s_mul_i32 s7, s11, s33
	s_waitcnt lgkmcnt(0)
	s_mul_i32 s36, s30, s6
	s_sub_i32 s3, s3, s7
	s_ashr_i32 s37, s36, 31
	s_xor_b32 s6, s13, s50
	s_add_i32 s7, s11, 1
	s_sub_i32 s12, s3, s33
	s_cmp_ge_u32 s3, s33
	s_cselect_b32 s7, s7, s11
	s_cselect_b32 s3, s12, s3
	s_add_i32 s11, s7, 1
	s_cmp_ge_u32 s3, s33
	s_cselect_b32 s3, s11, s7
	s_xor_b32 s3, s3, s6
	s_sub_i32 s16, s3, s6
	s_add_i32 s3, s31, 7
	s_ashr_i32 s6, s3, 31
	s_lshr_b32 s6, s6, 29
	s_add_i32 s3, s3, s6
	s_lshl_b32 s20, s4, 6
	s_ashr_i32 s3, s3, 3
	s_add_i32 s6, s20, 64
	v_lshrrev_b32_e32 v6, 6, v0
	s_min_i32 s51, s6, s3
	v_or_b32_e32 v12, s20, v6
	v_cmp_gt_i32_e64 s[6:7], s51, v12
	v_mov_b32_e32 v11, 0xff7fffff
	s_mul_i32 s18, s10, s18
	v_ashrrev_i32_e32 v13, 31, v12
	v_lshl_add_u32 v1, v6, 3, s52
	v_mbcnt_lo_u32_b32 v7, -1, 0
	s_and_saveexec_b64 s[42:43], s[6:7]
	s_cbranch_execz .LBB130_20
; %bb.11:
	s_load_dwordx2 s[0:1], s[0:1], 0x20
	s_ashr_i32 s19, s18, 31
	s_sub_i32 s23, s16, s21
	s_lshl_b64 s[10:11], s[18:19], 1
	v_bfe_u32 v8, v0, 3, 3
	s_waitcnt lgkmcnt(0)
	s_add_u32 s0, s0, s10
	s_addc_u32 s1, s1, s11
	s_abs_i32 s19, s22
	v_cvt_f32_u32_e32 v5, s19
	v_lshlrev_b32_e32 v2, 4, v8
	v_mov_b32_e32 v3, 0
	s_sub_i32 s10, 0, s19
	v_rcp_iflag_f32_e32 v5, v5
	v_lshlrev_b32_e32 v11, 2, v8
	v_cmp_eq_u32_e32 vcc, 0, v4
	v_lshl_add_u64 v[14:15], s[0:1], 0, v[2:3]
	v_mul_f32_e32 v5, 0x4f7ffffe, v5
	v_cvt_u32_f32_e32 v5, v5
	v_lshlrev_b32_e32 v2, 1, v4
	v_mul_u32_u24_e32 v9, 20, v4
	v_lshl_or_b32 v11, v6, 5, v11
	v_mul_lo_u32 v4, s10, v5
	s_lshl_b64 s[10:11], s[36:37], 2
	s_add_u32 s10, s34, s10
	v_add_u32_e32 v16, 0xb0, v11
	v_subrev_u32_e32 v11, s31, v8
	v_mbcnt_hi_u32_b32 v19, -1, v7
	v_mul_hi_u32 v4, v5, v4
	s_addc_u32 s11, s35, s11
	v_add_u32_e32 v17, 1, v11
	v_and_b32_e32 v11, 64, v19
	s_mov_b32 s40, s17
	v_lshl_add_u64 v[2:3], v[14:15], 0, v[2:3]
	v_cmp_neq_f32_e64 s[0:1], s53, 0
	v_add_u32_e32 v14, v5, v4
	v_lshl_add_u64 v[4:5], v[12:13], 2, s[10:11]
	v_lshl_add_u32 v15, v6, 3, s52
	s_mov_b64 s[44:45], 0
	v_mov_b32_e32 v18, 0xff7fffff
	v_add_u32_e32 v20, 64, v11
	v_xor_b32_e32 v21, 4, v19
	v_xor_b32_e32 v22, 2, v19
	;; [unrolled: 1-line block ×3, first 2 shown]
	v_mov_b32_e32 v11, 0xff7fffff
	v_mov_b32_e32 v24, v12
	s_branch .LBB130_14
.LBB130_12:                             ;   in Loop: Header=BB130_14 Depth=1
	s_or_b64 exec, exec, s[46:47]
.LBB130_13:                             ;   in Loop: Header=BB130_14 Depth=1
	s_or_b64 exec, exec, s[12:13]
	v_add_u32_e32 v24, 2, v24
	v_cmp_le_i32_e64 s[10:11], s51, v24
	v_lshl_add_u64 v[4:5], v[4:5], 0, 8
	v_add_u32_e32 v15, 16, v15
	s_or_b64 s[44:45], s[10:11], s[44:45]
	v_add_u32_e32 v16, 64, v16
	s_andn2_b64 exec, exec, s[44:45]
	s_cbranch_execz .LBB130_19
.LBB130_14:                             ; =>This Inner Loop Header: Depth=1
	s_waitcnt lgkmcnt(0)
	v_sub_u32_e32 v26, 0, v15
	v_max_i32_e32 v26, v15, v26
	v_mul_hi_u32 v27, v26, s48
	v_mul_lo_u32 v28, v27, s33
	v_sub_u32_e32 v26, v26, v28
	v_add_u32_e32 v28, 1, v27
	v_cmp_le_u32_e64 s[10:11], s33, v26
	v_ashrrev_i32_e32 v25, 31, v15
	v_xor_b32_e32 v25, s50, v25
	v_cndmask_b32_e64 v27, v27, v28, s[10:11]
	v_subrev_u32_e32 v28, s33, v26
	v_cndmask_b32_e64 v26, v26, v28, s[10:11]
	v_add_u32_e32 v28, 1, v27
	v_cmp_le_u32_e64 s[10:11], s33, v26
	s_nop 1
	v_cndmask_b32_e64 v26, v27, v28, s[10:11]
	v_xor_b32_e32 v26, v26, v25
	v_sub_u32_e32 v25, v26, v25
	v_add_u32_e32 v26, s49, v25
	v_sub_u32_e32 v28, 0, v26
	v_ashrrev_i32_e32 v27, 31, v26
	v_max_i32_e32 v26, v26, v28
	v_mul_hi_u32 v28, v26, v14
	v_mul_lo_u32 v28, v28, s19
	v_sub_u32_e32 v26, v26, v28
	v_subrev_u32_e32 v28, s19, v26
	v_cmp_le_u32_e64 s[10:11], s19, v26
	v_cmp_ge_i32_e64 s[12:13], s23, v25
	s_nop 0
	v_cndmask_b32_e64 v26, v26, v28, s[10:11]
	v_subrev_u32_e32 v28, s19, v26
	v_cmp_le_u32_e64 s[10:11], s19, v26
	s_nop 1
	v_cndmask_b32_e64 v26, v26, v28, s[10:11]
	v_xor_b32_e32 v26, v26, v27
	v_sub_u32_e32 v26, v26, v27
	v_cmp_ne_u32_e64 s[10:11], 0, v26
	s_and_b64 s[10:11], s[10:11], s[12:13]
	s_and_b64 s[46:47], vcc, s[10:11]
	s_and_saveexec_b64 s[12:13], s[46:47]
	s_cbranch_execz .LBB130_16
; %bb.15:                               ;   in Loop: Header=BB130_14 Depth=1
	ds_write_b32 v16, v18
.LBB130_16:                             ;   in Loop: Header=BB130_14 Depth=1
	s_or_b64 exec, exec, s[12:13]
	s_xor_b64 s[10:11], s[10:11], -1
	s_and_saveexec_b64 s[12:13], s[10:11]
	s_cbranch_execz .LBB130_13
; %bb.17:                               ;   in Loop: Header=BB130_14 Depth=1
	global_load_dword v25, v[4:5], off
	s_waitcnt vmcnt(0)
	v_mad_i64_i32 v[26:27], s[10:11], v25, s40, 0
	v_lshl_add_u64 v[26:27], v[26:27], 1, v[2:3]
	global_load_ushort v25, v[26:27], off
	global_load_ushort v30, v[26:27], off offset:128
	global_load_ushort v31, v[26:27], off offset:256
	global_load_ushort v32, v[26:27], off offset:384
	global_load_ushort v33, v[26:27], off offset:512
	global_load_ushort v34, v[26:27], off offset:640
	global_load_ushort v35, v[26:27], off offset:768
	global_load_ushort v36, v[26:27], off offset:896
	global_load_ushort v37, v[26:27], off offset:1024
	global_load_ushort v38, v[26:27], off offset:1152
	ds_read2_b32 v[26:27], v9 offset1:1
	ds_read2_b32 v[28:29], v9 offset0:2 offset1:3
	ds_read_b32 v39, v9 offset:16
	v_cmp_lt_i32_e64 s[10:11], v21, v20
	s_waitcnt lgkmcnt(2)
	v_lshlrev_b32_e32 v41, 16, v26
	v_and_b32_e32 v26, 0xffff0000, v26
	v_lshlrev_b32_e32 v42, 16, v27
	v_and_b32_e32 v27, 0xffff0000, v27
	s_waitcnt lgkmcnt(1)
	v_lshlrev_b32_e32 v43, 16, v28
	v_and_b32_e32 v28, 0xffff0000, v28
	v_lshlrev_b32_e32 v44, 16, v29
	v_and_b32_e32 v29, 0xffff0000, v29
	s_waitcnt lgkmcnt(0)
	v_lshlrev_b32_e32 v45, 16, v39
	v_cndmask_b32_e64 v40, v19, v21, s[10:11]
	v_and_b32_e32 v39, 0xffff0000, v39
	v_lshlrev_b32_e32 v40, 2, v40
	v_cmp_lt_i32_e64 s[10:11], v22, v20
	s_waitcnt vmcnt(9)
	v_lshlrev_b32_e32 v25, 16, v25
	s_waitcnt vmcnt(8)
	v_lshlrev_b32_e32 v30, 16, v30
	v_mul_f32_e32 v26, v26, v30
	s_waitcnt vmcnt(7)
	v_lshlrev_b32_e32 v31, 16, v31
	v_fmac_f32_e32 v26, v41, v25
	s_waitcnt vmcnt(6)
	v_lshlrev_b32_e32 v32, 16, v32
	v_fmac_f32_e32 v26, v42, v31
	;; [unrolled: 3-line block ×7, first 2 shown]
	v_fmac_f32_e32 v26, v45, v37
	s_waitcnt vmcnt(0)
	v_lshlrev_b32_e32 v25, 16, v38
	v_fmac_f32_e32 v26, v39, v25
	ds_bpermute_b32 v25, v40, v26
	v_cndmask_b32_e64 v27, v19, v22, s[10:11]
	v_lshlrev_b32_e32 v27, 2, v27
	v_cmp_lt_i32_e64 s[10:11], v23, v20
	s_waitcnt lgkmcnt(0)
	v_add_f32_e32 v25, v26, v25
	ds_bpermute_b32 v26, v27, v25
	v_cndmask_b32_e64 v27, v19, v23, s[10:11]
	v_lshlrev_b32_e32 v27, 2, v27
	s_waitcnt lgkmcnt(0)
	v_add_f32_e32 v25, v25, v26
	ds_bpermute_b32 v26, v27, v25
	s_and_saveexec_b64 s[46:47], vcc
	s_cbranch_execz .LBB130_12
; %bb.18:                               ;   in Loop: Header=BB130_14 Depth=1
	v_add_u32_e32 v27, v17, v15
	v_cvt_f32_i32_e32 v27, v27
	s_waitcnt lgkmcnt(0)
	v_add_f32_e32 v25, v25, v26
	v_add_u32_e32 v28, v8, v15
	v_cmp_gt_i32_e64 s[10:11], s31, v28
	v_mul_f32_e32 v26, s53, v27
	v_cndmask_b32_e64 v26, 0, v26, s[0:1]
	v_fmac_f32_e32 v26, s41, v25
	v_cndmask_b32_e64 v25, 0, v26, s[10:11]
	ds_write_b32 v16, v25
	v_max_f32_e32 v25, v11, v11
	v_max_f32_e32 v25, v25, v26
	v_cndmask_b32_e64 v11, v11, v25, s[10:11]
	s_branch .LBB130_12
.LBB130_19:
	s_or_b64 exec, exec, s[44:45]
.LBB130_20:
	s_or_b64 exec, exec, s[42:43]
	v_mbcnt_hi_u32_b32 v2, -1, v7
	v_and_b32_e32 v3, 64, v2
	v_add_u32_e32 v3, 64, v3
	v_xor_b32_e32 v4, 32, v2
	v_cmp_lt_i32_e32 vcc, v4, v3
	v_xor_b32_e32 v8, 16, v2
	v_max_f32_e32 v5, v11, v11
	v_cndmask_b32_e32 v4, v2, v4, vcc
	v_lshlrev_b32_e32 v7, 2, v4
	ds_bpermute_b32 v4, v7, v11
	v_cmp_lt_i32_e32 vcc, v8, v3
	v_and_b32_e32 v11, 63, v0
	s_waitcnt lgkmcnt(0)
	v_max_f32_e32 v4, v4, v4
	v_max_f32_e32 v4, v5, v4
	v_cndmask_b32_e32 v5, v2, v8, vcc
	v_lshlrev_b32_e32 v9, 2, v5
	ds_bpermute_b32 v5, v9, v4
	v_xor_b32_e32 v8, 8, v2
	v_cmp_lt_i32_e32 vcc, v8, v3
	s_waitcnt lgkmcnt(0)
	v_max_f32_e32 v5, v5, v5
	v_max_f32_e32 v4, v4, v5
	v_cndmask_b32_e32 v5, v2, v8, vcc
	v_lshlrev_b32_e32 v14, 2, v5
	ds_bpermute_b32 v8, v14, v4
	v_cmp_eq_u32_e32 vcc, 0, v11
	v_lshlrev_b32_e32 v5, 2, v6
	s_and_saveexec_b64 s[0:1], vcc
	s_cbranch_execz .LBB130_22
; %bb.21:
	s_waitcnt lgkmcnt(0)
	v_max_f32_e32 v8, v8, v8
	v_max_f32_e32 v4, v4, v4
	;; [unrolled: 1-line block ×3, first 2 shown]
	ds_write_b32 v5, v4 offset:160
.LBB130_22:
	s_or_b64 exec, exec, s[0:1]
	v_cmp_gt_u32_e64 s[0:1], 2, v11
	v_mov_b32_e32 v4, 0xff7fffff
	s_waitcnt lgkmcnt(0)
	v_lshlrev_b32_e32 v8, 2, v11
	s_barrier
	s_and_saveexec_b64 s[10:11], s[0:1]
	s_cbranch_execz .LBB130_24
; %bb.23:
	ds_read_b32 v4, v8 offset:160
.LBB130_24:
	s_or_b64 exec, exec, s[10:11]
	v_xor_b32_e32 v15, 1, v2
	v_cmp_lt_i32_e64 s[10:11], v15, v3
	v_mov_b32_e32 v17, 0
	s_nop 0
	v_cndmask_b32_e64 v15, v2, v15, s[10:11]
	v_lshlrev_b32_e32 v15, 2, v15
	s_waitcnt lgkmcnt(0)
	ds_bpermute_b32 v16, v15, v4
	v_max_f32_e32 v4, v4, v4
	s_sub_i32 s10, s51, s20
	s_lshl_b32 s10, s10, 3
	s_add_i32 s10, s10, s52
	s_waitcnt lgkmcnt(0)
	v_max_f32_e32 v16, v16, v16
	v_max_f32_e32 v4, v4, v16
	v_lshlrev_b32_e32 v16, 2, v2
	v_and_b32_e32 v16, 0x100, v16
	ds_bpermute_b32 v4, v16, v4
	s_min_i32 s20, s10, s31
	s_sub_i32 s19, s20, s52
	v_cmp_gt_i32_e64 s[10:11], s19, v0
	s_and_saveexec_b64 s[40:41], s[10:11]
	s_cbranch_execz .LBB130_28
; %bb.25:
	v_mov_b32_e32 v17, 0xb0
	v_lshl_add_u32 v18, v0, 2, v17
	s_mov_b64 s[42:43], 0
	v_mov_b32_e32 v17, 0
	v_mov_b32_e32 v19, v0
.LBB130_26:                             ; =>This Inner Loop Header: Depth=1
	ds_read_b32 v20, v18
	v_add_u32_e32 v19, 0x80, v19
	v_cmp_le_i32_e64 s[12:13], s19, v19
	s_or_b64 s[42:43], s[12:13], s[42:43]
	s_waitcnt lgkmcnt(0)
	v_sub_f32_e32 v20, v20, v4
	v_mul_f32_e32 v20, 0x3fb8aa3b, v20
	v_exp_f32_e32 v20, v20
	ds_write_b32 v18, v20
	v_add_f32_e32 v17, v17, v20
	v_add_u32_e32 v18, 0x200, v18
	s_andn2_b64 exec, exec, s[42:43]
	s_cbranch_execnz .LBB130_26
; %bb.27:
	s_or_b64 exec, exec, s[42:43]
.LBB130_28:
	s_or_b64 exec, exec, s[40:41]
	ds_bpermute_b32 v7, v7, v17
	s_waitcnt lgkmcnt(0)
	v_add_f32_e32 v7, v17, v7
	ds_bpermute_b32 v9, v9, v7
	s_waitcnt lgkmcnt(0)
	v_add_f32_e32 v7, v7, v9
	ds_bpermute_b32 v9, v14, v7
	v_xor_b32_e32 v14, 4, v2
	v_cmp_lt_i32_e64 s[12:13], v14, v3
	s_waitcnt lgkmcnt(0)
	v_add_f32_e32 v7, v7, v9
	v_cndmask_b32_e64 v14, v2, v14, s[12:13]
	v_lshlrev_b32_e32 v14, 2, v14
	ds_bpermute_b32 v9, v14, v7
	v_xor_b32_e32 v14, 2, v2
	v_cmp_lt_i32_e64 s[12:13], v14, v3
	s_waitcnt lgkmcnt(0)
	v_add_f32_e32 v3, v7, v9
	v_cndmask_b32_e64 v2, v2, v14, s[12:13]
	v_lshlrev_b32_e32 v2, 2, v2
	ds_bpermute_b32 v2, v2, v3
	s_waitcnt lgkmcnt(0)
	v_add_f32_e32 v2, v3, v2
	ds_bpermute_b32 v3, v15, v2
	s_waitcnt lgkmcnt(0)
	v_add_f32_e32 v2, v2, v3
	s_and_saveexec_b64 s[12:13], vcc
	s_cbranch_execz .LBB130_30
; %bb.29:
	ds_write_b32 v5, v2 offset:168
.LBB130_30:
	s_or_b64 exec, exec, s[12:13]
	s_waitcnt lgkmcnt(0)
	s_barrier
	s_and_saveexec_b64 s[12:13], s[0:1]
	s_cbranch_execz .LBB130_32
; %bb.31:
	ds_read_b32 v2, v8 offset:168
.LBB130_32:
	s_or_b64 exec, exec, s[12:13]
	s_waitcnt lgkmcnt(0)
	ds_bpermute_b32 v3, v15, v2
	s_waitcnt lgkmcnt(0)
	v_add_f32_e32 v2, v2, v3
	ds_bpermute_b32 v5, v16, v2
	s_and_saveexec_b64 s[0:1], s[10:11]
	s_cbranch_execz .LBB130_45
; %bb.33:
	s_waitcnt lgkmcnt(0)
	v_add_f32_e32 v2, 0x358637bd, v5
	v_div_scale_f32 v3, s[10:11], v2, v2, 1.0
	v_rcp_f32_e32 v7, v3
	v_div_scale_f32 v8, vcc, 1.0, v2, 1.0
	s_movk_i32 s10, 0x7f
	v_fma_f32 v9, -v3, v7, 1.0
	v_fmac_f32_e32 v7, v9, v7
	v_mul_f32_e32 v9, v8, v7
	v_fma_f32 v14, -v3, v9, v8
	v_fmac_f32_e32 v9, v14, v7
	v_fma_f32 v3, -v3, v9, v8
	v_div_fmas_f32 v3, v3, v7, v9
	v_div_fixup_f32 v2, v3, v2, 1.0
	v_xad_u32 v3, v0, -1, s20
	v_subrev_u32_e32 v7, s52, v3
	v_cmp_lt_u32_e32 vcc, s10, v7
	s_mov_b64 s[12:13], -1
	v_mov_b32_e32 v3, v0
	s_and_saveexec_b64 s[10:11], vcc
	s_cbranch_execz .LBB130_42
; %bb.34:
	v_lshrrev_b32_e32 v7, 7, v7
	v_add_u32_e32 v9, -1, v7
	v_lshrrev_b32_e32 v8, 1, v9
	v_mov_b32_e32 v3, v2
	v_add_u32_e32 v8, 1, v8
	v_cmp_lt_u32_e32 vcc, 13, v9
	v_mov_b32_e32 v15, 0
	s_and_saveexec_b64 s[12:13], vcc
	s_cbranch_execz .LBB130_38
; %bb.35:
	v_mov_b32_e32 v14, 0xb0
	v_and_b32_e32 v9, -8, v8
	v_lshl_add_u32 v14, v0, 2, v14
	s_mov_b32 s20, 0
	s_mov_b64 s[40:41], 0
.LBB130_36:                             ; =>This Inner Loop Header: Depth=1
	ds_read2st64_b32 v[16:17], v14 offset1:2
	ds_read2st64_b32 v[18:19], v14 offset0:4 offset1:6
	ds_read2st64_b32 v[20:21], v14 offset0:8 offset1:10
	;; [unrolled: 1-line block ×3, first 2 shown]
	v_add_u32_e32 v9, -8, v9
	s_waitcnt lgkmcnt(3)
	v_pk_mul_f32 v[16:17], v[2:3], v[16:17]
	s_waitcnt lgkmcnt(2)
	v_pk_mul_f32 v[18:19], v[2:3], v[18:19]
	ds_write2st64_b32 v14, v16, v17 offset1:2
	ds_write2st64_b32 v14, v18, v19 offset0:4 offset1:6
	ds_read2st64_b32 v[18:19], v14 offset0:16 offset1:18
	s_waitcnt lgkmcnt(4)
	v_pk_mul_f32 v[16:17], v[2:3], v[20:21]
	ds_write2st64_b32 v14, v16, v17 offset0:8 offset1:10
	s_waitcnt lgkmcnt(4)
	v_pk_mul_f32 v[16:17], v[2:3], v[22:23]
	ds_write2st64_b32 v14, v16, v17 offset0:12 offset1:14
	ds_read2st64_b32 v[16:17], v14 offset0:20 offset1:22
	s_waitcnt lgkmcnt(3)
	v_pk_mul_f32 v[18:19], v[2:3], v[18:19]
	ds_read2st64_b32 v[20:21], v14 offset0:24 offset1:26
	ds_write2st64_b32 v14, v18, v19 offset0:16 offset1:18
	ds_read2st64_b32 v[18:19], v14 offset0:28 offset1:30
	s_waitcnt lgkmcnt(3)
	v_pk_mul_f32 v[16:17], v[2:3], v[16:17]
	ds_write2st64_b32 v14, v16, v17 offset0:20 offset1:22
	s_waitcnt lgkmcnt(3)
	v_pk_mul_f32 v[16:17], v[2:3], v[20:21]
	ds_write2st64_b32 v14, v16, v17 offset0:24 offset1:26
	s_waitcnt lgkmcnt(2)
	v_pk_mul_f32 v[16:17], v[2:3], v[18:19]
	s_add_i32 s20, s20, 16
	v_cmp_eq_u32_e32 vcc, 0, v9
	ds_write2st64_b32 v14, v16, v17 offset0:28 offset1:30
	v_add_u32_e32 v14, 0x2000, v14
	s_or_b64 s[40:41], vcc, s[40:41]
	v_mov_b32_e32 v15, s20
	s_andn2_b64 exec, exec, s[40:41]
	s_cbranch_execnz .LBB130_36
; %bb.37:
	s_or_b64 exec, exec, s[40:41]
.LBB130_38:
	s_or_b64 exec, exec, s[12:13]
	v_and_b32_e32 v8, 7, v8
	v_cmp_ne_u32_e32 vcc, 0, v8
	s_and_saveexec_b64 s[12:13], vcc
	s_cbranch_execz .LBB130_41
; %bb.39:
	v_lshlrev_b32_e32 v9, 9, v15
	v_lshlrev_b32_e32 v14, 2, v0
	s_movk_i32 s20, 0xb0
	v_add3_u32 v9, v9, v14, s20
	s_mov_b64 s[40:41], 0
.LBB130_40:                             ; =>This Inner Loop Header: Depth=1
	ds_read2st64_b32 v[14:15], v9 offset1:2
	v_add_u32_e32 v8, -1, v8
	v_cmp_eq_u32_e32 vcc, 0, v8
	s_or_b64 s[40:41], vcc, s[40:41]
	s_waitcnt lgkmcnt(0)
	v_pk_mul_f32 v[14:15], v[2:3], v[14:15]
	ds_write2st64_b32 v9, v14, v15 offset1:2
	v_add_u32_e32 v9, 0x400, v9
	s_andn2_b64 exec, exec, s[40:41]
	s_cbranch_execnz .LBB130_40
.LBB130_41:
	s_or_b64 exec, exec, s[12:13]
	v_add_u32_e32 v7, 1, v7
	v_and_b32_e32 v8, 0x3fffffe, v7
	v_cmp_ne_u32_e32 vcc, v7, v8
	v_lshl_add_u32 v3, v8, 7, v0
	s_orn2_b64 s[12:13], vcc, exec
.LBB130_42:
	s_or_b64 exec, exec, s[10:11]
	s_and_b64 exec, exec, s[12:13]
	s_cbranch_execz .LBB130_45
; %bb.43:
	v_mov_b32_e32 v7, 0xb0
	v_lshl_add_u32 v7, v3, 2, v7
	s_mov_b64 s[10:11], 0
.LBB130_44:                             ; =>This Inner Loop Header: Depth=1
	ds_read_b32 v8, v7
	v_add_u32_e32 v3, 0x80, v3
	v_cmp_le_i32_e32 vcc, s19, v3
	s_or_b64 s[10:11], vcc, s[10:11]
	s_waitcnt lgkmcnt(0)
	v_mul_f32_e32 v8, v2, v8
	ds_write_b32 v7, v8
	v_add_u32_e32 v7, 0x200, v7
	s_andn2_b64 exec, exec, s[10:11]
	s_cbranch_execnz .LBB130_44
.LBB130_45:
	s_or_b64 exec, exec, s[0:1]
	s_mul_i32 s0, s15, s30
	v_cmp_eq_u32_e32 vcc, 0, v0
	s_mul_i32 s10, s0, s5
	s_waitcnt lgkmcnt(0)
	s_barrier
	s_and_saveexec_b64 s[0:1], vcc
	s_cbranch_execz .LBB130_47
; %bb.46:
	s_ashr_i32 s11, s10, 31
	s_lshl_b64 s[12:13], s[10:11], 2
	s_add_u32 s5, s26, s12
	s_mul_i32 s26, s15, s2
	s_addc_u32 s11, s27, s13
	s_ashr_i32 s27, s26, 31
	s_lshl_b64 s[26:27], s[26:27], 2
	s_add_u32 s2, s5, s26
	s_addc_u32 s11, s11, s27
	s_ashr_i32 s5, s4, 31
	s_lshl_b64 s[40:41], s[4:5], 2
	s_add_u32 s42, s2, s40
	s_addc_u32 s43, s11, s41
	s_add_u32 s2, s24, s12
	s_addc_u32 s5, s25, s13
	;; [unrolled: 2-line block ×3, first 2 shown]
	s_add_u32 s12, s2, s40
	v_mov_b32_e32 v2, 0
	s_addc_u32 s13, s5, s41
	global_store_dword v2, v4, s[42:43]
	global_store_dword v2, v5, s[12:13]
.LBB130_47:
	s_or_b64 exec, exec, s[0:1]
	v_mov_b32_e32 v15, 0
	v_mov_b32_e32 v14, v15
	s_and_saveexec_b64 s[12:13], s[6:7]
	s_cbranch_execz .LBB130_155
; %bb.48:
	s_ashr_i32 s19, s18, 31
	s_sub_i32 s5, s16, s21
	s_lshl_b64 s[0:1], s[18:19], 1
	s_add_u32 s6, s38, s0
	s_addc_u32 s7, s39, s1
	s_abs_i32 s11, s22
	v_cvt_f32_u32_e32 v3, s11
	v_or_b32_e32 v4, 64, v11
	s_movk_i32 s0, 0x50
	v_cmp_gt_u32_e32 vcc, s0, v4
	v_rcp_iflag_f32_e32 v3, v3
	s_sub_i32 s0, 0, s11
	s_add_i32 s25, s3, -1
	v_lshlrev_b32_e32 v2, 3, v11
	v_mul_f32_e32 v3, 0x4f7ffffe, v3
	v_cvt_u32_f32_e32 v3, v3
	v_mov_b32_e32 v17, 0
	v_lshlrev_b32_e32 v4, 3, v4
	s_mov_b32 s24, s17
	v_mul_lo_u32 v5, s0, v3
	s_lshl_b64 s[0:1], s[36:37], 2
	v_mul_hi_u32 v5, v3, v5
	s_add_u32 s0, s34, s0
	v_add_u32_e32 v22, v3, v5
	s_addc_u32 s1, s35, s1
	v_mov_b32_e32 v3, 0xb0
	v_lshl_add_u64 v[18:19], v[12:13], 2, s[0:1]
	v_lshl_add_u32 v13, v6, 5, v3
	s_mov_b64 s[16:17], 0
	s_mov_b32 s26, 0x7f800000
	s_movk_i32 s27, 0x7fff
	v_lshlrev_b32_e32 v16, 1, v2
	v_lshlrev_b32_e32 v20, 1, v4
	v_mov_b32_e32 v14, v17
	v_mov_b32_e32 v15, v17
	s_branch .LBB130_52
.LBB130_49:                             ;   in Loop: Header=BB130_52 Depth=1
	s_or_b64 exec, exec, s[2:3]
	v_and_b32_e32 v27, 0xffff0000, v21
	v_and_b32_e32 v26, 0xffff0000, v7
	;; [unrolled: 1-line block ×4, first 2 shown]
	v_pk_add_f32 v[2:3], v[2:3], v[26:27]
	v_and_b32_e32 v25, 0xffff0000, v23
	v_and_b32_e32 v24, 0xffff0000, v9
	;; [unrolled: 1-line block ×4, first 2 shown]
	v_mov_b32_e32 v6, v3
	v_pk_add_f32 v[2:3], v[2:3], v[6:7]
	v_pk_add_f32 v[4:5], v[4:5], v[24:25]
	s_nop 0
	v_pk_add_f32 v[2:3], v[2:3], v[4:5]
	v_mov_b32_e32 v4, v5
	v_pk_add_f32 v[2:3], v[2:3], v[4:5]
	s_nop 0
	v_mov_b32_e32 v3, v2
	v_pk_add_f32 v[14:15], v[14:15], v[2:3]
.LBB130_50:                             ;   in Loop: Header=BB130_52 Depth=1
	s_or_b64 exec, exec, s[20:21]
	v_mov_b32_e32 v14, v8
.LBB130_51:                             ;   in Loop: Header=BB130_52 Depth=1
	s_or_b64 exec, exec, s[18:19]
	v_add_u32_e32 v12, 2, v12
	v_cmp_le_i32_e64 s[0:1], s51, v12
	v_lshl_add_u64 v[18:19], v[18:19], 0, 8
	v_add_u32_e32 v1, 16, v1
	s_or_b64 s[16:17], s[0:1], s[16:17]
	v_add_u32_e32 v13, 64, v13
	s_andn2_b64 exec, exec, s[16:17]
	s_cbranch_execz .LBB130_154
.LBB130_52:                             ; =>This Inner Loop Header: Depth=1
	v_sub_u32_e32 v3, 0, v1
	v_max_i32_e32 v3, v1, v3
	v_mul_hi_u32 v4, v3, s48
	v_mul_lo_u32 v5, v4, s33
	v_sub_u32_e32 v3, v3, v5
	v_add_u32_e32 v5, 1, v4
	v_cmp_le_u32_e64 s[0:1], s33, v3
	v_ashrrev_i32_e32 v2, 31, v1
	v_xor_b32_e32 v2, s50, v2
	v_cndmask_b32_e64 v4, v4, v5, s[0:1]
	v_subrev_u32_e32 v5, s33, v3
	v_cndmask_b32_e64 v3, v3, v5, s[0:1]
	v_add_u32_e32 v5, 1, v4
	v_cmp_le_u32_e64 s[0:1], s33, v3
	s_nop 1
	v_cndmask_b32_e64 v3, v4, v5, s[0:1]
	v_xor_b32_e32 v3, v3, v2
	v_sub_u32_e32 v2, v3, v2
	v_add_u32_e32 v3, s49, v2
	v_sub_u32_e32 v5, 0, v3
	v_ashrrev_i32_e32 v4, 31, v3
	v_max_i32_e32 v3, v3, v5
	v_mul_hi_u32 v5, v3, v22
	v_mul_lo_u32 v5, v5, s11
	v_sub_u32_e32 v3, v3, v5
	v_subrev_u32_e32 v5, s11, v3
	v_cmp_le_u32_e64 s[0:1], s11, v3
	v_cmp_lt_i32_e64 s[2:3], s5, v2
	s_nop 0
	v_cndmask_b32_e64 v3, v3, v5, s[0:1]
	v_subrev_u32_e32 v5, s11, v3
	v_cmp_le_u32_e64 s[0:1], s11, v3
	s_nop 1
	v_cndmask_b32_e64 v3, v3, v5, s[0:1]
	v_xor_b32_e32 v3, v3, v4
	v_sub_u32_e32 v3, v3, v4
	v_cmp_eq_u32_e64 s[0:1], 0, v3
	s_or_b64 s[0:1], s[0:1], s[2:3]
	s_and_saveexec_b64 s[18:19], s[0:1]
	s_cbranch_execz .LBB130_51
; %bb.53:                               ;   in Loop: Header=BB130_52 Depth=1
	global_load_dword v28, v[18:19], off
	ds_read2_b64 v[6:9], v13 offset1:1
	ds_read2_b64 v[2:5], v13 offset0:2 offset1:3
                                        ; implicit-def: $vgpr23
	s_waitcnt lgkmcnt(1)
	v_and_b32_e32 v21, 0x7f800000, v6
	v_cmp_ne_u32_e64 s[0:1], s26, v21
	s_and_saveexec_b64 s[2:3], s[0:1]
	s_xor_b64 s[0:1], exec, s[2:3]
; %bb.54:                               ;   in Loop: Header=BB130_52 Depth=1
	v_bfe_u32 v21, v6, 16, 1
	v_add3_u32 v23, v6, v21, s27
; %bb.55:                               ;   in Loop: Header=BB130_52 Depth=1
	s_andn2_saveexec_b64 s[2:3], s[0:1]
; %bb.56:                               ;   in Loop: Header=BB130_52 Depth=1
	v_or_b32_e32 v21, 0x10000, v6
	v_cmp_eq_u32_sdwa s[0:1], v6, v17 src0_sel:WORD_0 src1_sel:DWORD
	s_nop 1
	v_cndmask_b32_e64 v23, v21, v6, s[0:1]
; %bb.57:                               ;   in Loop: Header=BB130_52 Depth=1
	s_or_b64 exec, exec, s[2:3]
	v_and_b32_e32 v6, 0x7f800000, v7
	v_cmp_ne_u32_e64 s[0:1], s26, v6
                                        ; implicit-def: $vgpr24
	s_and_saveexec_b64 s[2:3], s[0:1]
	s_xor_b64 s[0:1], exec, s[2:3]
; %bb.58:                               ;   in Loop: Header=BB130_52 Depth=1
	v_bfe_u32 v6, v7, 16, 1
	v_add3_u32 v24, v7, v6, s27
; %bb.59:                               ;   in Loop: Header=BB130_52 Depth=1
	s_andn2_saveexec_b64 s[2:3], s[0:1]
; %bb.60:                               ;   in Loop: Header=BB130_52 Depth=1
	v_or_b32_e32 v6, 0x10000, v7
	v_cmp_eq_u32_sdwa s[0:1], v7, v17 src0_sel:WORD_0 src1_sel:DWORD
	s_nop 1
	v_cndmask_b32_e64 v24, v6, v7, s[0:1]
; %bb.61:                               ;   in Loop: Header=BB130_52 Depth=1
	s_or_b64 exec, exec, s[2:3]
	v_and_b32_e32 v6, 0x7f800000, v8
	v_cmp_ne_u32_e64 s[0:1], s26, v6
                                        ; implicit-def: $vgpr25
	s_and_saveexec_b64 s[2:3], s[0:1]
	s_xor_b64 s[0:1], exec, s[2:3]
; %bb.62:                               ;   in Loop: Header=BB130_52 Depth=1
	v_bfe_u32 v6, v8, 16, 1
	v_add3_u32 v25, v8, v6, s27
; %bb.63:                               ;   in Loop: Header=BB130_52 Depth=1
	s_andn2_saveexec_b64 s[2:3], s[0:1]
; %bb.64:                               ;   in Loop: Header=BB130_52 Depth=1
	v_or_b32_e32 v6, 0x10000, v8
	v_cmp_eq_u32_sdwa s[0:1], v8, v17 src0_sel:WORD_0 src1_sel:DWORD
	s_nop 1
	v_cndmask_b32_e64 v25, v6, v8, s[0:1]
; %bb.65:                               ;   in Loop: Header=BB130_52 Depth=1
	s_or_b64 exec, exec, s[2:3]
	v_and_b32_e32 v6, 0x7f800000, v9
	v_cmp_ne_u32_e64 s[0:1], s26, v6
                                        ; implicit-def: $vgpr26
	s_and_saveexec_b64 s[2:3], s[0:1]
	s_xor_b64 s[0:1], exec, s[2:3]
; %bb.66:                               ;   in Loop: Header=BB130_52 Depth=1
	v_bfe_u32 v6, v9, 16, 1
	v_add3_u32 v26, v9, v6, s27
                                        ; implicit-def: $vgpr6_vgpr7_vgpr8_vgpr9
; %bb.67:                               ;   in Loop: Header=BB130_52 Depth=1
	s_andn2_saveexec_b64 s[2:3], s[0:1]
; %bb.68:                               ;   in Loop: Header=BB130_52 Depth=1
	v_or_b32_e32 v6, 0x10000, v9
	v_cmp_eq_u32_sdwa s[0:1], v9, v17 src0_sel:WORD_0 src1_sel:DWORD
	s_nop 1
	v_cndmask_b32_e64 v26, v6, v9, s[0:1]
; %bb.69:                               ;   in Loop: Header=BB130_52 Depth=1
	s_or_b64 exec, exec, s[2:3]
	s_waitcnt lgkmcnt(0)
	v_and_b32_e32 v6, 0x7f800000, v2
	v_cmp_ne_u32_e64 s[0:1], s26, v6
                                        ; implicit-def: $vgpr27
	s_and_saveexec_b64 s[2:3], s[0:1]
	s_xor_b64 s[0:1], exec, s[2:3]
; %bb.70:                               ;   in Loop: Header=BB130_52 Depth=1
	v_bfe_u32 v6, v2, 16, 1
	v_add3_u32 v27, v2, v6, s27
; %bb.71:                               ;   in Loop: Header=BB130_52 Depth=1
	s_andn2_saveexec_b64 s[2:3], s[0:1]
; %bb.72:                               ;   in Loop: Header=BB130_52 Depth=1
	v_or_b32_e32 v6, 0x10000, v2
	v_cmp_eq_u32_sdwa s[0:1], v2, v17 src0_sel:WORD_0 src1_sel:DWORD
	s_nop 1
	v_cndmask_b32_e64 v27, v6, v2, s[0:1]
; %bb.73:                               ;   in Loop: Header=BB130_52 Depth=1
	s_or_b64 exec, exec, s[2:3]
	v_and_b32_e32 v2, 0x7f800000, v3
	v_cmp_ne_u32_e64 s[0:1], s26, v2
                                        ; implicit-def: $vgpr21
	s_and_saveexec_b64 s[2:3], s[0:1]
	s_xor_b64 s[0:1], exec, s[2:3]
; %bb.74:                               ;   in Loop: Header=BB130_52 Depth=1
	v_bfe_u32 v2, v3, 16, 1
	v_add3_u32 v21, v3, v2, s27
; %bb.75:                               ;   in Loop: Header=BB130_52 Depth=1
	s_andn2_saveexec_b64 s[2:3], s[0:1]
; %bb.76:                               ;   in Loop: Header=BB130_52 Depth=1
	v_or_b32_e32 v2, 0x10000, v3
	v_cmp_eq_u32_sdwa s[0:1], v3, v17 src0_sel:WORD_0 src1_sel:DWORD
	s_nop 1
	v_cndmask_b32_e64 v21, v2, v3, s[0:1]
; %bb.77:                               ;   in Loop: Header=BB130_52 Depth=1
	s_or_b64 exec, exec, s[2:3]
	v_and_b32_e32 v2, 0x7f800000, v4
	v_cmp_ne_u32_e64 s[0:1], s26, v2
                                        ; implicit-def: $vgpr9
	s_and_saveexec_b64 s[2:3], s[0:1]
	s_xor_b64 s[0:1], exec, s[2:3]
; %bb.78:                               ;   in Loop: Header=BB130_52 Depth=1
	v_bfe_u32 v2, v4, 16, 1
	v_add3_u32 v9, v4, v2, s27
; %bb.79:                               ;   in Loop: Header=BB130_52 Depth=1
	s_andn2_saveexec_b64 s[2:3], s[0:1]
; %bb.80:                               ;   in Loop: Header=BB130_52 Depth=1
	v_or_b32_e32 v2, 0x10000, v4
	v_cmp_eq_u32_sdwa s[0:1], v4, v17 src0_sel:WORD_0 src1_sel:DWORD
	s_nop 1
	v_cndmask_b32_e64 v9, v2, v4, s[0:1]
; %bb.81:                               ;   in Loop: Header=BB130_52 Depth=1
	s_or_b64 exec, exec, s[2:3]
	v_and_b32_e32 v2, 0x7f800000, v5
	v_cmp_ne_u32_e64 s[0:1], s26, v2
                                        ; implicit-def: $vgpr8
	s_and_saveexec_b64 s[2:3], s[0:1]
	s_xor_b64 s[0:1], exec, s[2:3]
; %bb.82:                               ;   in Loop: Header=BB130_52 Depth=1
	v_bfe_u32 v2, v5, 16, 1
	v_add3_u32 v8, v5, v2, s27
                                        ; implicit-def: $vgpr2_vgpr3_vgpr4_vgpr5
; %bb.83:                               ;   in Loop: Header=BB130_52 Depth=1
	s_andn2_saveexec_b64 s[2:3], s[0:1]
; %bb.84:                               ;   in Loop: Header=BB130_52 Depth=1
	v_or_b32_e32 v2, 0x10000, v5
	v_cmp_eq_u32_sdwa s[0:1], v5, v17 src0_sel:WORD_0 src1_sel:DWORD
	s_nop 1
	v_cndmask_b32_e64 v8, v2, v5, s[0:1]
; %bb.85:                               ;   in Loop: Header=BB130_52 Depth=1
	s_or_b64 exec, exec, s[2:3]
	s_waitcnt vmcnt(0)
	v_mad_i64_i32 v[2:3], s[0:1], v28, s24, 0
	v_lshl_add_u64 v[6:7], v[2:3], 1, s[6:7]
	v_lshl_add_u64 v[2:3], v[6:7], 0, v[16:17]
	global_load_dwordx4 v[2:5], v[2:3], off
	v_cmp_eq_u32_e64 s[2:3], s25, v12
	s_waitcnt vmcnt(0)
	v_lshrrev_b32_e32 v30, 16, v2
	v_lshrrev_b32_e32 v28, 16, v3
	;; [unrolled: 1-line block ×4, first 2 shown]
	s_and_saveexec_b64 s[20:21], s[2:3]
	s_cbranch_execz .LBB130_87
; %bb.86:                               ;   in Loop: Header=BB130_52 Depth=1
	v_cmp_gt_i32_e64 s[0:1], s31, v1
	v_add_u32_e32 v32, 1, v1
	s_nop 0
	v_cndmask_b32_e64 v2, 0, v2, s[0:1]
	v_cmp_gt_i32_e64 s[0:1], s31, v32
	v_add_u32_e32 v32, 2, v1
	s_nop 0
	v_cndmask_b32_e64 v30, 0, v30, s[0:1]
	;; [unrolled: 4-line block ×7, first 2 shown]
	v_cmp_gt_i32_e64 s[0:1], s31, v32
	s_nop 1
	v_cndmask_b32_e64 v31, 0, v31, s[0:1]
.LBB130_87:                             ;   in Loop: Header=BB130_52 Depth=1
	s_or_b64 exec, exec, s[20:21]
	v_and_b32_e32 v23, 0xffff0000, v23
	v_lshlrev_b32_e32 v2, 16, v2
	v_mul_f32_e32 v32, v23, v2
	v_and_b32_e32 v2, 0x7f800000, v32
	v_cmp_ne_u32_e64 s[0:1], s26, v2
                                        ; implicit-def: $vgpr2
	s_and_saveexec_b64 s[20:21], s[0:1]
	s_xor_b64 s[0:1], exec, s[20:21]
; %bb.88:                               ;   in Loop: Header=BB130_52 Depth=1
	v_bfe_u32 v2, v32, 16, 1
	v_add3_u32 v2, v32, v2, s27
                                        ; implicit-def: $vgpr32
; %bb.89:                               ;   in Loop: Header=BB130_52 Depth=1
	s_andn2_saveexec_b64 s[20:21], s[0:1]
; %bb.90:                               ;   in Loop: Header=BB130_52 Depth=1
	v_or_b32_e32 v2, 0x10000, v32
	v_cmp_eq_u32_sdwa s[0:1], v32, v17 src0_sel:WORD_0 src1_sel:DWORD
	s_nop 1
	v_cndmask_b32_e64 v2, v2, v32, s[0:1]
; %bb.91:                               ;   in Loop: Header=BB130_52 Depth=1
	s_or_b64 exec, exec, s[20:21]
	v_and_b32_e32 v24, 0xffff0000, v24
	v_lshlrev_b32_e32 v30, 16, v30
	v_mul_f32_e32 v30, v24, v30
	v_and_b32_e32 v32, 0x7f800000, v30
	v_cmp_ne_u32_e64 s[0:1], s26, v32
                                        ; implicit-def: $vgpr32
	s_and_saveexec_b64 s[20:21], s[0:1]
	s_xor_b64 s[0:1], exec, s[20:21]
; %bb.92:                               ;   in Loop: Header=BB130_52 Depth=1
	v_bfe_u32 v32, v30, 16, 1
	v_add3_u32 v32, v30, v32, s27
                                        ; implicit-def: $vgpr30
; %bb.93:                               ;   in Loop: Header=BB130_52 Depth=1
	s_andn2_saveexec_b64 s[20:21], s[0:1]
; %bb.94:                               ;   in Loop: Header=BB130_52 Depth=1
	v_or_b32_e32 v32, 0x10000, v30
	v_cmp_eq_u32_sdwa s[0:1], v30, v17 src0_sel:WORD_0 src1_sel:DWORD
	s_nop 1
	v_cndmask_b32_e64 v32, v32, v30, s[0:1]
; %bb.95:                               ;   in Loop: Header=BB130_52 Depth=1
	s_or_b64 exec, exec, s[20:21]
	v_and_b32_e32 v25, 0xffff0000, v25
	v_lshlrev_b32_e32 v3, 16, v3
	v_mul_f32_e32 v30, v25, v3
	v_and_b32_e32 v3, 0x7f800000, v30
	v_cmp_ne_u32_e64 s[0:1], s26, v3
                                        ; implicit-def: $vgpr3
	s_and_saveexec_b64 s[20:21], s[0:1]
	s_xor_b64 s[0:1], exec, s[20:21]
; %bb.96:                               ;   in Loop: Header=BB130_52 Depth=1
	v_bfe_u32 v3, v30, 16, 1
	v_add3_u32 v3, v30, v3, s27
                                        ; implicit-def: $vgpr30
; %bb.97:                               ;   in Loop: Header=BB130_52 Depth=1
	s_andn2_saveexec_b64 s[20:21], s[0:1]
; %bb.98:                               ;   in Loop: Header=BB130_52 Depth=1
	v_or_b32_e32 v3, 0x10000, v30
	v_cmp_eq_u32_sdwa s[0:1], v30, v17 src0_sel:WORD_0 src1_sel:DWORD
	s_nop 1
	v_cndmask_b32_e64 v3, v3, v30, s[0:1]
; %bb.99:                               ;   in Loop: Header=BB130_52 Depth=1
	s_or_b64 exec, exec, s[20:21]
	v_and_b32_e32 v26, 0xffff0000, v26
	v_lshlrev_b32_e32 v28, 16, v28
	v_mul_f32_e32 v28, v26, v28
	v_and_b32_e32 v30, 0x7f800000, v28
	v_cmp_ne_u32_e64 s[0:1], s26, v30
                                        ; implicit-def: $vgpr33
	s_and_saveexec_b64 s[20:21], s[0:1]
	s_xor_b64 s[0:1], exec, s[20:21]
; %bb.100:                              ;   in Loop: Header=BB130_52 Depth=1
	v_bfe_u32 v30, v28, 16, 1
	v_add3_u32 v33, v28, v30, s27
                                        ; implicit-def: $vgpr28
; %bb.101:                              ;   in Loop: Header=BB130_52 Depth=1
	s_andn2_saveexec_b64 s[20:21], s[0:1]
; %bb.102:                              ;   in Loop: Header=BB130_52 Depth=1
	v_or_b32_e32 v30, 0x10000, v28
	v_cmp_eq_u32_sdwa s[0:1], v28, v17 src0_sel:WORD_0 src1_sel:DWORD
	s_nop 1
	v_cndmask_b32_e64 v33, v30, v28, s[0:1]
; %bb.103:                              ;   in Loop: Header=BB130_52 Depth=1
	s_or_b64 exec, exec, s[20:21]
	v_and_b32_e32 v27, 0xffff0000, v27
	v_lshlrev_b32_e32 v4, 16, v4
	v_mul_f32_e32 v28, v27, v4
	v_and_b32_e32 v4, 0x7f800000, v28
	v_cmp_ne_u32_e64 s[0:1], s26, v4
                                        ; implicit-def: $vgpr4
	s_and_saveexec_b64 s[20:21], s[0:1]
	s_xor_b64 s[0:1], exec, s[20:21]
; %bb.104:                              ;   in Loop: Header=BB130_52 Depth=1
	v_bfe_u32 v4, v28, 16, 1
	v_add3_u32 v4, v28, v4, s27
                                        ; implicit-def: $vgpr28
; %bb.105:                              ;   in Loop: Header=BB130_52 Depth=1
	s_andn2_saveexec_b64 s[20:21], s[0:1]
; %bb.106:                              ;   in Loop: Header=BB130_52 Depth=1
	v_or_b32_e32 v4, 0x10000, v28
	v_cmp_eq_u32_sdwa s[0:1], v28, v17 src0_sel:WORD_0 src1_sel:DWORD
	s_nop 1
	v_cndmask_b32_e64 v4, v4, v28, s[0:1]
; %bb.107:                              ;   in Loop: Header=BB130_52 Depth=1
	s_or_b64 exec, exec, s[20:21]
	v_and_b32_e32 v28, 0xffff0000, v21
	v_lshlrev_b32_e32 v21, 16, v29
	v_mul_f32_e32 v29, v28, v21
	v_and_b32_e32 v21, 0x7f800000, v29
	v_cmp_ne_u32_e64 s[0:1], s26, v21
                                        ; implicit-def: $vgpr21
	s_and_saveexec_b64 s[20:21], s[0:1]
	s_xor_b64 s[0:1], exec, s[20:21]
; %bb.108:                              ;   in Loop: Header=BB130_52 Depth=1
	v_bfe_u32 v21, v29, 16, 1
	v_add3_u32 v21, v29, v21, s27
                                        ; implicit-def: $vgpr29
; %bb.109:                              ;   in Loop: Header=BB130_52 Depth=1
	s_andn2_saveexec_b64 s[20:21], s[0:1]
; %bb.110:                              ;   in Loop: Header=BB130_52 Depth=1
	v_or_b32_e32 v21, 0x10000, v29
	v_cmp_eq_u32_sdwa s[0:1], v29, v17 src0_sel:WORD_0 src1_sel:DWORD
	s_nop 1
	v_cndmask_b32_e64 v21, v21, v29, s[0:1]
; %bb.111:                              ;   in Loop: Header=BB130_52 Depth=1
	s_or_b64 exec, exec, s[20:21]
	v_and_b32_e32 v29, 0xffff0000, v9
	v_lshlrev_b32_e32 v5, 16, v5
	v_mul_f32_e32 v9, v29, v5
	v_and_b32_e32 v5, 0x7f800000, v9
	v_cmp_ne_u32_e64 s[0:1], s26, v5
                                        ; implicit-def: $vgpr5
	s_and_saveexec_b64 s[20:21], s[0:1]
	s_xor_b64 s[0:1], exec, s[20:21]
; %bb.112:                              ;   in Loop: Header=BB130_52 Depth=1
	v_bfe_u32 v5, v9, 16, 1
	v_add3_u32 v5, v9, v5, s27
                                        ; implicit-def: $vgpr9
; %bb.113:                              ;   in Loop: Header=BB130_52 Depth=1
	s_andn2_saveexec_b64 s[20:21], s[0:1]
; %bb.114:                              ;   in Loop: Header=BB130_52 Depth=1
	v_or_b32_e32 v5, 0x10000, v9
	v_cmp_eq_u32_sdwa s[0:1], v9, v17 src0_sel:WORD_0 src1_sel:DWORD
	s_nop 1
	v_cndmask_b32_e64 v5, v5, v9, s[0:1]
; %bb.115:                              ;   in Loop: Header=BB130_52 Depth=1
	s_or_b64 exec, exec, s[20:21]
	v_and_b32_e32 v30, 0xffff0000, v8
	v_lshlrev_b32_e32 v8, 16, v31
	v_mul_f32_e32 v8, v30, v8
	v_and_b32_e32 v9, 0x7f800000, v8
	v_cmp_ne_u32_e64 s[0:1], s26, v9
                                        ; implicit-def: $vgpr9
	s_and_saveexec_b64 s[20:21], s[0:1]
	s_xor_b64 s[0:1], exec, s[20:21]
; %bb.116:                              ;   in Loop: Header=BB130_52 Depth=1
	v_bfe_u32 v9, v8, 16, 1
	v_add3_u32 v9, v8, v9, s27
                                        ; implicit-def: $vgpr8
; %bb.117:                              ;   in Loop: Header=BB130_52 Depth=1
	s_andn2_saveexec_b64 s[20:21], s[0:1]
; %bb.118:                              ;   in Loop: Header=BB130_52 Depth=1
	v_or_b32_e32 v9, 0x10000, v8
	v_cmp_eq_u32_sdwa s[0:1], v8, v17 src0_sel:WORD_0 src1_sel:DWORD
	s_nop 1
	v_cndmask_b32_e64 v9, v9, v8, s[0:1]
; %bb.119:                              ;   in Loop: Header=BB130_52 Depth=1
	s_or_b64 exec, exec, s[20:21]
	v_and_b32_e32 v33, 0xffff0000, v33
	v_and_b32_e32 v32, 0xffff0000, v32
	;; [unrolled: 1-line block ×4, first 2 shown]
	v_pk_add_f32 v[2:3], v[2:3], v[32:33]
	v_and_b32_e32 v9, 0xffff0000, v9
	v_and_b32_e32 v8, 0xffff0000, v21
	;; [unrolled: 1-line block ×4, first 2 shown]
	v_mov_b32_e32 v32, v3
	v_pk_add_f32 v[2:3], v[2:3], v[32:33]
	v_pk_add_f32 v[4:5], v[4:5], v[8:9]
	s_nop 0
	v_pk_add_f32 v[2:3], v[2:3], v[4:5]
	v_mov_b32_e32 v4, v5
	v_pk_add_f32 v[2:3], v[2:3], v[4:5]
	s_nop 0
	v_pk_add_f32 v[8:9], v[14:15], v[2:3]
	s_and_saveexec_b64 s[20:21], vcc
	s_cbranch_execz .LBB130_50
; %bb.120:                              ;   in Loop: Header=BB130_52 Depth=1
	v_mov_b32_e32 v21, v17
	v_lshl_add_u64 v[2:3], v[6:7], 0, v[20:21]
	global_load_dwordx4 v[2:5], v[2:3], off
	s_waitcnt vmcnt(0)
	v_lshrrev_b32_e32 v7, 16, v2
	v_lshrrev_b32_e32 v21, 16, v3
	;; [unrolled: 1-line block ×4, first 2 shown]
	s_and_saveexec_b64 s[22:23], s[2:3]
	s_cbranch_execz .LBB130_122
; %bb.121:                              ;   in Loop: Header=BB130_52 Depth=1
	v_cmp_gt_i32_e64 s[0:1], s31, v1
	v_add_u32_e32 v31, 1, v1
	s_nop 0
	v_cndmask_b32_e64 v2, 0, v2, s[0:1]
	v_cmp_gt_i32_e64 s[0:1], s31, v31
	v_add_u32_e32 v31, 2, v1
	s_nop 0
	v_cndmask_b32_e64 v7, 0, v7, s[0:1]
	;; [unrolled: 4-line block ×7, first 2 shown]
	v_cmp_gt_i32_e64 s[0:1], s31, v31
	s_nop 1
	v_cndmask_b32_e64 v6, 0, v6, s[0:1]
.LBB130_122:                            ;   in Loop: Header=BB130_52 Depth=1
	s_or_b64 exec, exec, s[22:23]
	v_lshlrev_b32_e32 v2, 16, v2
	v_mul_f32_e32 v23, v23, v2
	v_and_b32_e32 v2, 0x7f800000, v23
	v_cmp_ne_u32_e64 s[0:1], s26, v2
                                        ; implicit-def: $vgpr2
	s_and_saveexec_b64 s[2:3], s[0:1]
	s_xor_b64 s[0:1], exec, s[2:3]
; %bb.123:                              ;   in Loop: Header=BB130_52 Depth=1
	v_bfe_u32 v2, v23, 16, 1
	v_add3_u32 v2, v23, v2, s27
                                        ; implicit-def: $vgpr23
; %bb.124:                              ;   in Loop: Header=BB130_52 Depth=1
	s_andn2_saveexec_b64 s[2:3], s[0:1]
; %bb.125:                              ;   in Loop: Header=BB130_52 Depth=1
	v_or_b32_e32 v2, 0x10000, v23
	v_cmp_eq_u32_sdwa s[0:1], v23, v17 src0_sel:WORD_0 src1_sel:DWORD
	s_nop 1
	v_cndmask_b32_e64 v2, v2, v23, s[0:1]
; %bb.126:                              ;   in Loop: Header=BB130_52 Depth=1
	s_or_b64 exec, exec, s[2:3]
	v_lshlrev_b32_e32 v7, 16, v7
	v_mul_f32_e32 v23, v24, v7
	v_and_b32_e32 v7, 0x7f800000, v23
	v_cmp_ne_u32_e64 s[0:1], s26, v7
                                        ; implicit-def: $vgpr7
	s_and_saveexec_b64 s[2:3], s[0:1]
	s_xor_b64 s[0:1], exec, s[2:3]
; %bb.127:                              ;   in Loop: Header=BB130_52 Depth=1
	v_bfe_u32 v7, v23, 16, 1
	v_add3_u32 v7, v23, v7, s27
                                        ; implicit-def: $vgpr23
; %bb.128:                              ;   in Loop: Header=BB130_52 Depth=1
	s_andn2_saveexec_b64 s[2:3], s[0:1]
; %bb.129:                              ;   in Loop: Header=BB130_52 Depth=1
	v_or_b32_e32 v7, 0x10000, v23
	v_cmp_eq_u32_sdwa s[0:1], v23, v17 src0_sel:WORD_0 src1_sel:DWORD
	s_nop 1
	v_cndmask_b32_e64 v7, v7, v23, s[0:1]
; %bb.130:                              ;   in Loop: Header=BB130_52 Depth=1
	s_or_b64 exec, exec, s[2:3]
	v_lshlrev_b32_e32 v3, 16, v3
	v_mul_f32_e32 v23, v25, v3
	v_and_b32_e32 v3, 0x7f800000, v23
	v_cmp_ne_u32_e64 s[0:1], s26, v3
                                        ; implicit-def: $vgpr3
	s_and_saveexec_b64 s[2:3], s[0:1]
	s_xor_b64 s[0:1], exec, s[2:3]
; %bb.131:                              ;   in Loop: Header=BB130_52 Depth=1
	v_bfe_u32 v3, v23, 16, 1
	v_add3_u32 v3, v23, v3, s27
                                        ; implicit-def: $vgpr23
; %bb.132:                              ;   in Loop: Header=BB130_52 Depth=1
	s_andn2_saveexec_b64 s[2:3], s[0:1]
; %bb.133:                              ;   in Loop: Header=BB130_52 Depth=1
	v_or_b32_e32 v3, 0x10000, v23
	v_cmp_eq_u32_sdwa s[0:1], v23, v17 src0_sel:WORD_0 src1_sel:DWORD
	s_nop 1
	v_cndmask_b32_e64 v3, v3, v23, s[0:1]
; %bb.134:                              ;   in Loop: Header=BB130_52 Depth=1
	s_or_b64 exec, exec, s[2:3]
	v_lshlrev_b32_e32 v21, 16, v21
	v_mul_f32_e32 v23, v26, v21
	v_and_b32_e32 v21, 0x7f800000, v23
	v_cmp_ne_u32_e64 s[0:1], s26, v21
                                        ; implicit-def: $vgpr21
	s_and_saveexec_b64 s[2:3], s[0:1]
	s_xor_b64 s[0:1], exec, s[2:3]
; %bb.135:                              ;   in Loop: Header=BB130_52 Depth=1
	v_bfe_u32 v21, v23, 16, 1
	v_add3_u32 v21, v23, v21, s27
                                        ; implicit-def: $vgpr23
; %bb.136:                              ;   in Loop: Header=BB130_52 Depth=1
	s_andn2_saveexec_b64 s[2:3], s[0:1]
; %bb.137:                              ;   in Loop: Header=BB130_52 Depth=1
	v_or_b32_e32 v21, 0x10000, v23
	v_cmp_eq_u32_sdwa s[0:1], v23, v17 src0_sel:WORD_0 src1_sel:DWORD
	s_nop 1
	v_cndmask_b32_e64 v21, v21, v23, s[0:1]
; %bb.138:                              ;   in Loop: Header=BB130_52 Depth=1
	s_or_b64 exec, exec, s[2:3]
	v_lshlrev_b32_e32 v4, 16, v4
	v_mul_f32_e32 v23, v27, v4
	v_and_b32_e32 v4, 0x7f800000, v23
	v_cmp_ne_u32_e64 s[0:1], s26, v4
                                        ; implicit-def: $vgpr4
	s_and_saveexec_b64 s[2:3], s[0:1]
	s_xor_b64 s[0:1], exec, s[2:3]
; %bb.139:                              ;   in Loop: Header=BB130_52 Depth=1
	v_bfe_u32 v4, v23, 16, 1
	v_add3_u32 v4, v23, v4, s27
                                        ; implicit-def: $vgpr23
; %bb.140:                              ;   in Loop: Header=BB130_52 Depth=1
	s_andn2_saveexec_b64 s[2:3], s[0:1]
; %bb.141:                              ;   in Loop: Header=BB130_52 Depth=1
	v_or_b32_e32 v4, 0x10000, v23
	v_cmp_eq_u32_sdwa s[0:1], v23, v17 src0_sel:WORD_0 src1_sel:DWORD
	s_nop 1
	v_cndmask_b32_e64 v4, v4, v23, s[0:1]
; %bb.142:                              ;   in Loop: Header=BB130_52 Depth=1
	s_or_b64 exec, exec, s[2:3]
	v_lshlrev_b32_e32 v9, 16, v9
	v_mul_f32_e32 v23, v28, v9
	v_and_b32_e32 v9, 0x7f800000, v23
	v_cmp_ne_u32_e64 s[0:1], s26, v9
                                        ; implicit-def: $vgpr9
	s_and_saveexec_b64 s[2:3], s[0:1]
	s_xor_b64 s[0:1], exec, s[2:3]
; %bb.143:                              ;   in Loop: Header=BB130_52 Depth=1
	v_bfe_u32 v9, v23, 16, 1
	v_add3_u32 v9, v23, v9, s27
                                        ; implicit-def: $vgpr23
; %bb.144:                              ;   in Loop: Header=BB130_52 Depth=1
	s_andn2_saveexec_b64 s[2:3], s[0:1]
; %bb.145:                              ;   in Loop: Header=BB130_52 Depth=1
	v_or_b32_e32 v9, 0x10000, v23
	v_cmp_eq_u32_sdwa s[0:1], v23, v17 src0_sel:WORD_0 src1_sel:DWORD
	s_nop 1
	v_cndmask_b32_e64 v9, v9, v23, s[0:1]
; %bb.146:                              ;   in Loop: Header=BB130_52 Depth=1
	s_or_b64 exec, exec, s[2:3]
	v_lshlrev_b32_e32 v5, 16, v5
	v_mul_f32_e32 v23, v29, v5
	v_and_b32_e32 v5, 0x7f800000, v23
	v_cmp_ne_u32_e64 s[0:1], s26, v5
                                        ; implicit-def: $vgpr5
	s_and_saveexec_b64 s[2:3], s[0:1]
	s_xor_b64 s[0:1], exec, s[2:3]
; %bb.147:                              ;   in Loop: Header=BB130_52 Depth=1
	v_bfe_u32 v5, v23, 16, 1
	v_add3_u32 v5, v23, v5, s27
                                        ; implicit-def: $vgpr23
; %bb.148:                              ;   in Loop: Header=BB130_52 Depth=1
	s_andn2_saveexec_b64 s[2:3], s[0:1]
; %bb.149:                              ;   in Loop: Header=BB130_52 Depth=1
	v_or_b32_e32 v5, 0x10000, v23
	v_cmp_eq_u32_sdwa s[0:1], v23, v17 src0_sel:WORD_0 src1_sel:DWORD
	s_nop 1
	v_cndmask_b32_e64 v5, v5, v23, s[0:1]
; %bb.150:                              ;   in Loop: Header=BB130_52 Depth=1
	s_or_b64 exec, exec, s[2:3]
	v_lshlrev_b32_e32 v6, 16, v6
	v_mul_f32_e32 v6, v30, v6
	v_and_b32_e32 v23, 0x7f800000, v6
	v_cmp_ne_u32_e64 s[0:1], s26, v23
                                        ; implicit-def: $vgpr23
	s_and_saveexec_b64 s[2:3], s[0:1]
	s_xor_b64 s[0:1], exec, s[2:3]
; %bb.151:                              ;   in Loop: Header=BB130_52 Depth=1
	v_bfe_u32 v23, v6, 16, 1
	v_add3_u32 v23, v6, v23, s27
                                        ; implicit-def: $vgpr6
; %bb.152:                              ;   in Loop: Header=BB130_52 Depth=1
	s_andn2_saveexec_b64 s[2:3], s[0:1]
	s_cbranch_execz .LBB130_49
; %bb.153:                              ;   in Loop: Header=BB130_52 Depth=1
	v_or_b32_e32 v23, 0x10000, v6
	v_cmp_eq_u32_sdwa s[0:1], v6, v17 src0_sel:WORD_0 src1_sel:DWORD
	s_nop 1
	v_cndmask_b32_e64 v23, v23, v6, s[0:1]
	s_branch .LBB130_49
.LBB130_154:
	s_or_b64 exec, exec, s[16:17]
.LBB130_155:
	s_or_b64 exec, exec, s[12:13]
	v_and_b32_e32 v1, 0x3c0, v0
	v_cmp_eq_u32_e32 vcc, 64, v1
	s_barrier
	s_and_saveexec_b64 s[0:1], vcc
	s_cbranch_execz .LBB130_158
; %bb.156:
	v_mov_b32_e32 v1, 0xb0
	v_lshl_add_u32 v2, v11, 2, v1
	ds_write_b32 v2, v14
	s_and_b64 exec, exec, s[8:9]
	s_cbranch_execz .LBB130_158
; %bb.157:
	v_lshl_add_u32 v1, v0, 2, v1
	ds_write_b32 v1, v15
.LBB130_158:
	s_or_b64 exec, exec, s[0:1]
	v_cmp_gt_u32_e32 vcc, 64, v0
	v_or_b32_e32 v1, 64, v0
	s_waitcnt lgkmcnt(0)
	s_barrier
	s_and_saveexec_b64 s[2:3], vcc
	s_cbranch_execz .LBB130_162
; %bb.159:
	v_mov_b32_e32 v2, 0xb0
	v_lshl_add_u32 v2, v0, 2, v2
	ds_read_b32 v0, v2
	s_movk_i32 s0, 0x50
	v_cmp_gt_u32_e64 s[0:1], s0, v1
	s_and_saveexec_b64 s[6:7], s[0:1]
	s_cbranch_execz .LBB130_161
; %bb.160:
	ds_read_b32 v2, v2 offset:256
	s_waitcnt lgkmcnt(0)
	v_add_f32_e32 v15, v15, v2
.LBB130_161:
	s_or_b64 exec, exec, s[6:7]
	s_waitcnt lgkmcnt(0)
	v_add_f32_e32 v14, v14, v0
.LBB130_162:
	s_or_b64 exec, exec, s[2:3]
	s_barrier
	s_and_saveexec_b64 s[0:1], vcc
	s_cbranch_execz .LBB130_173
; %bb.163:
	s_mov_b32 s0, 0x7f800000
	v_and_b32_e32 v0, 0x7f800000, v14
	v_cmp_ne_u32_e32 vcc, s0, v0
                                        ; implicit-def: $vgpr0
	s_and_saveexec_b64 s[0:1], vcc
	s_xor_b64 s[0:1], exec, s[0:1]
; %bb.164:
	v_bfe_u32 v0, v14, 16, 1
	s_movk_i32 s2, 0x7fff
	v_add3_u32 v0, v14, v0, s2
; %bb.165:
	s_andn2_saveexec_b64 s[0:1], s[0:1]
; %bb.166:
	v_mov_b32_e32 v0, 0
	v_or_b32_e32 v2, 0x10000, v14
	v_cmp_eq_u32_sdwa vcc, v14, v0 src0_sel:WORD_0 src1_sel:DWORD
	s_nop 1
	v_cndmask_b32_e32 v0, v2, v14, vcc
; %bb.167:
	s_or_b64 exec, exec, s[0:1]
	s_mul_i32 s0, s10, 0x50
	s_ashr_i32 s1, s0, 31
	s_lshl_b64 s[0:1], s[0:1], 1
	s_add_u32 s3, s28, s0
	s_mul_i32 s0, s15, s14
	s_addc_u32 s5, s29, s1
	s_ashr_i32 s1, s0, 31
	s_lshl_b64 s[0:1], s[0:1], 1
	s_add_u32 s3, s3, s0
	s_mul_i32 s0, s4, 0x50
	s_addc_u32 s5, s5, s1
	s_ashr_i32 s1, s0, 31
	s_lshl_b64 s[0:1], s[0:1], 1
	s_movk_i32 s2, 0x50
	s_add_u32 s0, s3, s0
	s_addc_u32 s1, s5, s1
	v_cmp_gt_u32_e32 vcc, s2, v1
	global_store_short_d16_hi v10, v0, s[0:1]
	s_and_b64 exec, exec, vcc
	s_cbranch_execz .LBB130_173
; %bb.168:
	s_mov_b32 s2, 0x7f800000
	v_and_b32_e32 v0, 0x7f800000, v15
	v_mov_b32_e32 v11, 0
	v_cmp_ne_u32_e32 vcc, s2, v0
                                        ; implicit-def: $vgpr2
	s_and_saveexec_b64 s[2:3], vcc
	s_xor_b64 s[2:3], exec, s[2:3]
; %bb.169:
	v_bfe_u32 v0, v15, 16, 1
	s_movk_i32 s4, 0x7fff
	v_add3_u32 v2, v15, v0, s4
                                        ; implicit-def: $vgpr15
; %bb.170:
	s_or_saveexec_b64 s[2:3], s[2:3]
	v_lshl_add_u64 v[0:1], s[0:1], 0, v[10:11]
	s_xor_b64 exec, exec, s[2:3]
; %bb.171:
	v_mov_b32_e32 v2, 0
	v_or_b32_e32 v3, 0x10000, v15
	v_cmp_eq_u32_sdwa vcc, v15, v2 src0_sel:WORD_0 src1_sel:DWORD
	s_nop 1
	v_cndmask_b32_e32 v2, v3, v15, vcc
; %bb.172:
	s_or_b64 exec, exec, s[2:3]
	global_store_short_d16_hi v[0:1], v2, off offset:128
.LBB130_173:
	s_endpgm
	.section	.rodata,"a",@progbits
	.p2align	6, 0x0
	.amdhsa_kernel _ZN4vllm25paged_attention_v2_kernelI14__hip_bfloat16S1_Li80ELi8ELi128ELNS_18Fp8KVCacheDataTypeE0ELb1ELi512EEEvPfS3_PT_PKS4_PKT0_SA_ifPKiSC_iPKfiiiSE_SE_iiiii
		.amdhsa_group_segment_fixed_size 176
		.amdhsa_private_segment_fixed_size 0
		.amdhsa_kernarg_size 400
		.amdhsa_user_sgpr_count 2
		.amdhsa_user_sgpr_dispatch_ptr 0
		.amdhsa_user_sgpr_queue_ptr 0
		.amdhsa_user_sgpr_kernarg_segment_ptr 1
		.amdhsa_user_sgpr_dispatch_id 0
		.amdhsa_user_sgpr_kernarg_preload_length 0
		.amdhsa_user_sgpr_kernarg_preload_offset 0
		.amdhsa_user_sgpr_private_segment_size 0
		.amdhsa_uses_dynamic_stack 0
		.amdhsa_enable_private_segment 0
		.amdhsa_system_sgpr_workgroup_id_x 1
		.amdhsa_system_sgpr_workgroup_id_y 1
		.amdhsa_system_sgpr_workgroup_id_z 1
		.amdhsa_system_sgpr_workgroup_info 0
		.amdhsa_system_vgpr_workitem_id 0
		.amdhsa_next_free_vgpr 46
		.amdhsa_next_free_sgpr 54
		.amdhsa_accum_offset 48
		.amdhsa_reserve_vcc 1
		.amdhsa_float_round_mode_32 0
		.amdhsa_float_round_mode_16_64 0
		.amdhsa_float_denorm_mode_32 3
		.amdhsa_float_denorm_mode_16_64 3
		.amdhsa_dx10_clamp 1
		.amdhsa_ieee_mode 1
		.amdhsa_fp16_overflow 0
		.amdhsa_tg_split 0
		.amdhsa_exception_fp_ieee_invalid_op 0
		.amdhsa_exception_fp_denorm_src 0
		.amdhsa_exception_fp_ieee_div_zero 0
		.amdhsa_exception_fp_ieee_overflow 0
		.amdhsa_exception_fp_ieee_underflow 0
		.amdhsa_exception_fp_ieee_inexact 0
		.amdhsa_exception_int_div_zero 0
	.end_amdhsa_kernel
	.section	.text._ZN4vllm25paged_attention_v2_kernelI14__hip_bfloat16S1_Li80ELi8ELi128ELNS_18Fp8KVCacheDataTypeE0ELb1ELi512EEEvPfS3_PT_PKS4_PKT0_SA_ifPKiSC_iPKfiiiSE_SE_iiiii,"axG",@progbits,_ZN4vllm25paged_attention_v2_kernelI14__hip_bfloat16S1_Li80ELi8ELi128ELNS_18Fp8KVCacheDataTypeE0ELb1ELi512EEEvPfS3_PT_PKS4_PKT0_SA_ifPKiSC_iPKfiiiSE_SE_iiiii,comdat
.Lfunc_end130:
	.size	_ZN4vllm25paged_attention_v2_kernelI14__hip_bfloat16S1_Li80ELi8ELi128ELNS_18Fp8KVCacheDataTypeE0ELb1ELi512EEEvPfS3_PT_PKS4_PKT0_SA_ifPKiSC_iPKfiiiSE_SE_iiiii, .Lfunc_end130-_ZN4vllm25paged_attention_v2_kernelI14__hip_bfloat16S1_Li80ELi8ELi128ELNS_18Fp8KVCacheDataTypeE0ELb1ELi512EEEvPfS3_PT_PKS4_PKT0_SA_ifPKiSC_iPKfiiiSE_SE_iiiii
                                        ; -- End function
	.section	.AMDGPU.csdata,"",@progbits
; Kernel info:
; codeLenInByte = 7152
; NumSgprs: 60
; NumVgprs: 46
; NumAgprs: 0
; TotalNumVgprs: 46
; ScratchSize: 0
; MemoryBound: 0
; FloatMode: 240
; IeeeMode: 1
; LDSByteSize: 176 bytes/workgroup (compile time only)
; SGPRBlocks: 7
; VGPRBlocks: 5
; NumSGPRsForWavesPerEU: 60
; NumVGPRsForWavesPerEU: 46
; AccumOffset: 48
; Occupancy: 8
; WaveLimiterHint : 1
; COMPUTE_PGM_RSRC2:SCRATCH_EN: 0
; COMPUTE_PGM_RSRC2:USER_SGPR: 2
; COMPUTE_PGM_RSRC2:TRAP_HANDLER: 0
; COMPUTE_PGM_RSRC2:TGID_X_EN: 1
; COMPUTE_PGM_RSRC2:TGID_Y_EN: 1
; COMPUTE_PGM_RSRC2:TGID_Z_EN: 1
; COMPUTE_PGM_RSRC2:TIDIG_COMP_CNT: 0
; COMPUTE_PGM_RSRC3_GFX90A:ACCUM_OFFSET: 11
; COMPUTE_PGM_RSRC3_GFX90A:TG_SPLIT: 0
	.section	.text._ZN4vllm32paged_attention_v2_reduce_kernelI14__hip_bfloat16Li80ELi128ELi512EEEvPT_PKfS5_PKS2_PKii,"axG",@progbits,_ZN4vllm32paged_attention_v2_reduce_kernelI14__hip_bfloat16Li80ELi128ELi512EEEvPT_PKfS5_PKS2_PKii,comdat
	.protected	_ZN4vllm32paged_attention_v2_reduce_kernelI14__hip_bfloat16Li80ELi128ELi512EEEvPT_PKfS5_PKS2_PKii ; -- Begin function _ZN4vllm32paged_attention_v2_reduce_kernelI14__hip_bfloat16Li80ELi128ELi512EEEvPT_PKfS5_PKS2_PKii
	.globl	_ZN4vllm32paged_attention_v2_reduce_kernelI14__hip_bfloat16Li80ELi128ELi512EEEvPT_PKfS5_PKS2_PKii
	.p2align	8
	.type	_ZN4vllm32paged_attention_v2_reduce_kernelI14__hip_bfloat16Li80ELi128ELi512EEEvPT_PKfS5_PKS2_PKii,@function
_ZN4vllm32paged_attention_v2_reduce_kernelI14__hip_bfloat16Li80ELi128ELi512EEEvPT_PKfS5_PKS2_PKii: ; @_ZN4vllm32paged_attention_v2_reduce_kernelI14__hip_bfloat16Li80ELi128ELi512EEEvPT_PKfS5_PKS2_PKii
; %bb.0:
	s_load_dwordx4 s[8:11], s[0:1], 0x18
	s_add_u32 s6, s0, 48
	s_mov_b32 s12, s3
	s_addc_u32 s7, s1, 0
	s_ashr_i32 s13, s3, 31
	s_lshl_b64 s[4:5], s[12:13], 2
	s_waitcnt lgkmcnt(0)
	s_add_u32 s4, s10, s4
	s_addc_u32 s5, s11, s5
	s_load_dword s26, s[4:5], 0x0
	s_load_dwordx2 s[10:11], s[0:1], 0x0
	s_load_dword s13, s[0:1], 0x28
	s_load_dword s3, s[0:1], 0x30
	s_waitcnt lgkmcnt(0)
	s_add_i32 s4, s26, -1
	s_cmpk_gt_u32 s4, 0x1ff
	s_mov_b64 s[4:5], -1
	s_cbranch_scc0 .LBB131_29
; %bb.1:
	s_add_i32 s4, s26, 0x1ff
	s_load_dwordx2 s[18:19], s[0:1], 0x8
	s_ashr_i32 s5, s4, 31
	s_lshr_b32 s5, s5, 23
	s_add_i32 s4, s4, s5
	s_mul_i32 s24, s3, s12
	s_ashr_i32 s25, s4, 9
	s_mul_i32 s14, s24, s13
	s_mul_i32 s16, s2, s13
	s_ashr_i32 s15, s14, 31
	s_ashr_i32 s17, s16, 31
	v_cmp_gt_i32_e32 vcc, s25, v0
	v_mov_b32_e32 v6, 0xff7fffff
	v_lshlrev_b32_e32 v2, 2, v0
	s_and_saveexec_b64 s[4:5], vcc
	s_cbranch_execz .LBB131_5
; %bb.2:
	s_load_dword s20, s[6:7], 0xc
	s_load_dwordx2 s[22:23], s[0:1], 0x10
	s_lshl_b64 s[0:1], s[14:15], 2
	s_lshl_b64 s[28:29], s[16:17], 2
	v_mov_b32_e32 v3, 0
	s_waitcnt lgkmcnt(0)
	s_and_b32 s27, s20, 0xffff
	s_add_u32 s0, s0, s28
	s_addc_u32 s1, s1, s29
	s_add_u32 s0, s22, s0
	s_addc_u32 s1, s23, s1
	s_mov_b32 s21, 0
	v_lshl_add_u64 v[4:5], s[0:1], 0, v[2:3]
	s_lshl_b32 s20, s27, 2
	v_add_u32_e32 v1, 16, v2
	s_mov_b64 s[22:23], 0
	v_mov_b32_e32 v6, 0xff7fffff
	v_mov_b32_e32 v3, v0
.LBB131_3:                              ; =>This Inner Loop Header: Depth=1
	global_load_dword v7, v[4:5], off
	v_add_u32_e32 v3, s27, v3
	v_max_f32_e32 v6, v6, v6
	v_cmp_le_i32_e64 s[0:1], s25, v3
	v_lshl_add_u64 v[4:5], v[4:5], 0, s[20:21]
	s_or_b64 s[22:23], s[0:1], s[22:23]
	s_waitcnt vmcnt(0)
	ds_write_b32 v1, v7
	v_max_f32_e32 v7, v7, v7
	v_add_u32_e32 v1, s20, v1
	v_max_f32_e32 v6, v6, v7
	s_andn2_b64 exec, exec, s[22:23]
	s_cbranch_execnz .LBB131_3
; %bb.4:
	s_or_b64 exec, exec, s[22:23]
.LBB131_5:
	s_or_b64 exec, exec, s[4:5]
	v_mbcnt_lo_u32_b32 v1, -1, 0
	v_mbcnt_hi_u32_b32 v3, -1, v1
	v_and_b32_e32 v1, 64, v3
	v_add_u32_e32 v7, 64, v1
	v_xor_b32_e32 v1, 32, v3
	v_cmp_lt_i32_e64 s[0:1], v1, v7
	v_max_f32_e32 v5, v6, v6
	v_xor_b32_e32 v8, 8, v3
	v_cndmask_b32_e64 v1, v3, v1, s[0:1]
	v_lshlrev_b32_e32 v1, 2, v1
	ds_bpermute_b32 v4, v1, v6
	v_xor_b32_e32 v6, 16, v3
	v_cmp_lt_i32_e64 s[0:1], v6, v7
	v_xor_b32_e32 v9, 4, v3
	v_xor_b32_e32 v10, 2, v3
	s_waitcnt lgkmcnt(0)
	v_max_f32_e32 v4, v4, v4
	v_max_f32_e32 v4, v5, v4
	v_cndmask_b32_e64 v5, v3, v6, s[0:1]
	v_lshlrev_b32_e32 v6, 2, v5
	ds_bpermute_b32 v5, v6, v4
	v_cmp_lt_i32_e64 s[0:1], v8, v7
	v_lshrrev_b32_e32 v13, 6, v0
	s_waitcnt lgkmcnt(0)
	s_barrier
	v_max_f32_e32 v5, v5, v5
	v_max_f32_e32 v4, v4, v5
	v_cndmask_b32_e64 v5, v3, v8, s[0:1]
	v_lshlrev_b32_e32 v8, 2, v5
	ds_bpermute_b32 v5, v8, v4
	v_cmp_lt_i32_e64 s[0:1], v9, v7
	s_waitcnt lgkmcnt(0)
	v_max_f32_e32 v5, v5, v5
	v_max_f32_e32 v4, v4, v5
	v_cndmask_b32_e64 v5, v3, v9, s[0:1]
	v_lshlrev_b32_e32 v9, 2, v5
	ds_bpermute_b32 v5, v9, v4
	v_cmp_lt_i32_e64 s[0:1], v10, v7
	s_waitcnt lgkmcnt(0)
	v_max_f32_e32 v5, v5, v5
	v_max_f32_e32 v5, v4, v5
	v_cndmask_b32_e64 v4, v3, v10, s[0:1]
	v_lshlrev_b32_e32 v10, 2, v4
	ds_bpermute_b32 v11, v10, v5
	v_and_b32_e32 v4, 63, v0
	s_waitcnt lgkmcnt(0)
	v_max_f32_e32 v11, v11, v11
	v_max_f32_e32 v5, v5, v11
	v_xor_b32_e32 v11, 1, v3
	v_cmp_lt_i32_e64 s[0:1], v11, v7
	s_nop 1
	v_cndmask_b32_e64 v7, v3, v11, s[0:1]
	v_lshlrev_b32_e32 v7, 2, v7
	ds_bpermute_b32 v12, v7, v5
	v_cmp_eq_u32_e64 s[0:1], 0, v4
	v_lshlrev_b32_e32 v11, 2, v13
	s_and_saveexec_b64 s[4:5], s[0:1]
	s_cbranch_execz .LBB131_7
; %bb.6:
	s_waitcnt lgkmcnt(0)
	v_max_f32_e32 v12, v12, v12
	v_max_f32_e32 v5, v5, v5
	;; [unrolled: 1-line block ×3, first 2 shown]
	ds_write_b32 v11, v5
.LBB131_7:
	s_or_b64 exec, exec, s[4:5]
	v_cmp_gt_u32_e64 s[4:5], 2, v4
	v_mov_b32_e32 v5, 0xff7fffff
	s_waitcnt lgkmcnt(0)
	v_lshlrev_b32_e32 v12, 2, v4
	s_barrier
	s_and_saveexec_b64 s[20:21], s[4:5]
	s_cbranch_execz .LBB131_9
; %bb.8:
	ds_read_b32 v5, v12
.LBB131_9:
	s_or_b64 exec, exec, s[20:21]
	s_waitcnt lgkmcnt(0)
	ds_bpermute_b32 v4, v7, v5
	v_max_f32_e32 v5, v5, v5
	v_lshlrev_b32_e32 v3, 2, v3
	v_and_b32_e32 v13, 0x100, v3
	s_lshl_b32 s27, s25, 2
	s_waitcnt lgkmcnt(0)
	v_max_f32_e32 v4, v4, v4
	v_max_f32_e32 v4, v5, v4
	ds_bpermute_b32 v14, v13, v4
	v_mov_b32_e32 v3, 0
	s_and_saveexec_b64 s[20:21], vcc
	s_cbranch_execz .LBB131_13
; %bb.10:
	s_load_dword s22, s[6:7], 0xc
	s_lshl_b64 s[28:29], s[14:15], 2
	s_lshl_b64 s[30:31], s[16:17], 2
	v_mov_b32_e32 v3, 0
	s_mov_b32 s23, 0
	s_waitcnt lgkmcnt(0)
	s_and_b32 s15, s22, 0xffff
	s_add_u32 s17, s28, s30
	s_addc_u32 s22, s29, s31
	s_add_u32 s18, s18, s17
	s_addc_u32 s19, s19, s22
	v_lshl_add_u64 v[4:5], s[18:19], 0, v[2:3]
	s_lshl_b32 s22, s15, 2
	v_add_u32_e32 v2, 16, v2
	s_mov_b64 s[18:19], 0
	s_mov_b32 s17, 0x3fb8aa3b
	s_mov_b32 s28, 0xc2ce8ed0
	;; [unrolled: 1-line block ×3, first 2 shown]
	v_mov_b32_e32 v15, 0x7f800000
	v_mov_b32_e32 v16, v0
.LBB131_11:                             ; =>This Inner Loop Header: Depth=1
	global_load_dword v17, v[4:5], off
	ds_read_b32 v18, v2
	v_add_u32_e32 v16, s15, v16
	v_cmp_le_i32_e32 vcc, s25, v16
	s_or_b64 s[18:19], vcc, s[18:19]
	v_add_u32_e32 v19, s27, v2
	s_waitcnt lgkmcnt(0)
	v_sub_f32_e32 v18, v18, v14
	v_mul_f32_e32 v20, 0x3fb8aa3b, v18
	v_fma_f32 v21, v18, s17, -v20
	v_rndne_f32_e32 v22, v20
	v_fmac_f32_e32 v21, 0x32a5705f, v18
	v_sub_f32_e32 v20, v20, v22
	v_add_f32_e32 v20, v20, v21
	v_cvt_i32_f32_e32 v22, v22
	v_exp_f32_e32 v20, v20
	v_cmp_ngt_f32_e32 vcc, s28, v18
	v_lshl_add_u64 v[4:5], v[4:5], 0, s[22:23]
	v_add_u32_e32 v2, s22, v2
	v_ldexp_f32 v20, v20, v22
	v_cndmask_b32_e32 v20, 0, v20, vcc
	v_cmp_nlt_f32_e32 vcc, s29, v18
	s_nop 1
	v_cndmask_b32_e32 v18, v15, v20, vcc
	s_waitcnt vmcnt(0)
	v_mul_f32_e32 v20, v17, v18
	v_fmac_f32_e32 v3, v17, v18
	ds_write_b32 v19, v20
	s_andn2_b64 exec, exec, s[18:19]
	s_cbranch_execnz .LBB131_11
; %bb.12:
	s_or_b64 exec, exec, s[18:19]
.LBB131_13:
	s_or_b64 exec, exec, s[20:21]
	ds_bpermute_b32 v1, v1, v3
	s_waitcnt lgkmcnt(0)
	s_barrier
	v_add_f32_e32 v1, v3, v1
	ds_bpermute_b32 v2, v6, v1
	s_waitcnt lgkmcnt(0)
	v_add_f32_e32 v1, v1, v2
	ds_bpermute_b32 v2, v8, v1
	s_waitcnt lgkmcnt(0)
	;; [unrolled: 3-line block ×5, first 2 shown]
	v_add_f32_e32 v1, v1, v2
	s_and_saveexec_b64 s[18:19], s[0:1]
	s_cbranch_execz .LBB131_15
; %bb.14:
	ds_write_b32 v11, v1 offset:8
.LBB131_15:
	s_or_b64 exec, exec, s[18:19]
	s_waitcnt lgkmcnt(0)
	s_barrier
	s_and_saveexec_b64 s[0:1], s[4:5]
	s_cbranch_execz .LBB131_17
; %bb.16:
	ds_read_b32 v1, v12 offset:8
.LBB131_17:
	s_or_b64 exec, exec, s[0:1]
	s_waitcnt lgkmcnt(0)
	ds_bpermute_b32 v2, v7, v1
	s_movk_i32 s0, 0x50
	v_cmp_gt_u32_e32 vcc, s0, v0
	s_waitcnt lgkmcnt(0)
	v_add_f32_e32 v1, v1, v2
	ds_bpermute_b32 v2, v13, v1
	s_and_saveexec_b64 s[0:1], vcc
	s_cbranch_execz .LBB131_28
; %bb.18:
	s_cmp_gt_i32 s26, 0
	s_mov_b32 s15, 0
	s_cbranch_scc1 .LBB131_20
; %bb.19:
	v_mov_b32_e32 v1, 0
	v_mov_b32_e32 v4, s15
	s_cbranch_execz .LBB131_21
	s_branch .LBB131_23
.LBB131_20:
                                        ; implicit-def: $sgpr15
	v_mov_b32_e32 v4, s15
.LBB131_21:
	s_waitcnt lgkmcnt(0)
	v_add_f32_e32 v1, 0x358637bd, v2
	v_div_scale_f32 v2, s[4:5], v1, v1, 1.0
	v_rcp_f32_e32 v3, v2
	s_mul_i32 s4, s14, 0x50
	s_mulk_i32 s16, 0x50
	s_ashr_i32 s5, s4, 31
	v_fma_f32 v4, -v2, v3, 1.0
	v_fmac_f32_e32 v3, v4, v3
	v_div_scale_f32 v4, vcc, 1.0, v1, 1.0
	v_mul_f32_e32 v5, v4, v3
	v_fma_f32 v6, -v2, v5, v4
	s_ashr_i32 s17, s16, 31
	s_max_i32 s15, s25, 1
	v_fmac_f32_e32 v5, v6, v3
	s_add_i32 s14, s27, 16
	s_lshl_b64 s[4:5], s[4:5], 1
	s_lshl_b64 s[16:17], s[16:17], 1
	v_fma_f32 v2, -v2, v5, v4
	s_add_u32 s4, s4, s16
	v_div_fmas_f32 v2, v2, v3, v5
	s_addc_u32 s5, s5, s17
	v_div_fixup_f32 v5, v2, v1, 1.0
	v_mov_b32_e32 v1, 0
	s_add_u32 s4, s8, s4
	v_lshlrev_b32_e32 v2, 1, v0
	v_mov_b32_e32 v3, v1
	s_addc_u32 s5, s9, s5
	v_lshl_add_u64 v[2:3], s[4:5], 0, v[2:3]
	s_mov_b64 s[4:5], 0xa0
	v_mov_b32_e32 v4, v1
.LBB131_22:                             ; =>This Inner Loop Header: Depth=1
	global_load_ushort v6, v[2:3], off
	v_mov_b32_e32 v7, s14
	ds_read_b32 v7, v7
	s_add_i32 s15, s15, -1
	s_add_i32 s14, s14, 4
	v_lshl_add_u64 v[2:3], v[2:3], 0, s[4:5]
	s_cmp_eq_u32 s15, 0
	s_waitcnt vmcnt(0)
	v_lshlrev_b32_e32 v6, 16, v6
	s_waitcnt lgkmcnt(0)
	v_mul_f32_e32 v6, v7, v6
	v_fmac_f32_e32 v4, v5, v6
	s_cbranch_scc0 .LBB131_22
.LBB131_23:
	s_mov_b32 s4, 0x7f800000
	s_waitcnt lgkmcnt(0)
	v_and_b32_e32 v2, 0x7f800000, v4
	v_cmp_ne_u32_e32 vcc, s4, v2
                                        ; implicit-def: $vgpr2
	s_and_saveexec_b64 s[4:5], vcc
	s_xor_b64 s[4:5], exec, s[4:5]
; %bb.24:
	v_bfe_u32 v2, v4, 16, 1
	s_movk_i32 s14, 0x7fff
	v_add3_u32 v2, v4, v2, s14
                                        ; implicit-def: $vgpr4
; %bb.25:
	s_andn2_saveexec_b64 s[4:5], s[4:5]
; %bb.26:
	v_mov_b32_e32 v2, 0
	v_or_b32_e32 v3, 0x10000, v4
	v_cmp_eq_u32_sdwa vcc, v4, v2 src0_sel:WORD_0 src1_sel:DWORD
	s_nop 1
	v_cndmask_b32_e32 v2, v3, v4, vcc
; %bb.27:
	s_or_b64 exec, exec, s[4:5]
	s_mul_i32 s4, s24, 0x50
	s_ashr_i32 s5, s4, 31
	s_lshl_b64 s[4:5], s[4:5], 1
	s_add_u32 s14, s10, s4
	s_mul_i32 s4, s2, 0x50
	s_addc_u32 s15, s11, s5
	s_ashr_i32 s5, s4, 31
	s_lshl_b64 s[4:5], s[4:5], 1
	s_add_u32 s4, s14, s4
	s_addc_u32 s5, s15, s5
	v_lshl_add_u64 v[4:5], v[0:1], 1, s[4:5]
	global_store_short_d16_hi v[4:5], v2, off
.LBB131_28:
	s_or_b64 exec, exec, s[0:1]
	s_mov_b64 s[4:5], 0
.LBB131_29:
	s_and_b64 vcc, exec, s[4:5]
	s_cbranch_vccz .LBB131_38
; %bb.30:
	s_movk_i32 s0, 0x50
	v_cmp_gt_u32_e32 vcc, s0, v0
	s_and_saveexec_b64 s[4:5], vcc
	s_cbranch_execz .LBB131_38
; %bb.31:
	s_mul_i32 s1, s3, s12
	s_mul_i32 s4, s1, 0x50
	s_ashr_i32 s5, s4, 31
	s_lshl_b64 s[14:15], s[4:5], 1
	s_add_u32 s1, s10, s14
	s_mul_i32 s10, s2, 0x50
	s_addc_u32 s5, s11, s15
	s_ashr_i32 s11, s10, 31
	s_lshl_b64 s[2:3], s[10:11], 1
	s_add_u32 s2, s1, s2
	s_mul_i32 s4, s4, s13
	s_addc_u32 s3, s5, s3
	s_ashr_i32 s5, s4, 31
	s_lshl_b64 s[4:5], s[4:5], 1
	s_load_dword s6, s[6:7], 0xc
	s_add_u32 s1, s8, s4
	s_mul_i32 s4, s10, s13
	s_addc_u32 s8, s9, s5
	s_ashr_i32 s5, s4, 31
	s_lshl_b64 s[4:5], s[4:5], 1
	s_add_u32 s4, s1, s4
	s_addc_u32 s5, s8, s5
	s_waitcnt lgkmcnt(0)
	s_and_b32 s8, s6, 0xffff
	v_cvt_f32_u32_e32 v1, s8
	v_add_u32_e32 v2, s8, v0
	v_mov_b32_e32 v4, s8
	v_cmp_gt_u32_e32 vcc, s0, v2
	v_rcp_iflag_f32_e32 v1, v1
	s_cmp_eq_u32 s8, 1
	v_max_u32_e32 v3, 0x50, v2
	v_addc_co_u32_e64 v2, s[0:1], v0, v4, vcc
	v_mul_f32_e32 v1, 0x4f7ffffe, v1
	v_cvt_u32_f32_e32 v1, v1
	s_cselect_b64 s[6:7], -1, 0
	s_sub_i32 s0, 0, s8
	v_sub_u32_e32 v2, v3, v2
	v_mul_lo_u32 v3, s0, v1
	v_mul_hi_u32 v3, v1, v3
	v_add_u32_e32 v1, v1, v3
	v_mul_hi_u32 v1, v2, v1
	v_mul_lo_u32 v3, v1, s8
	v_sub_u32_e32 v2, v2, v3
	v_add_u32_e32 v3, 1, v1
	v_cmp_le_u32_e64 s[0:1], s8, v2
	s_nop 1
	v_cndmask_b32_e64 v1, v1, v3, s[0:1]
	v_subrev_u32_e32 v3, s8, v2
	v_cndmask_b32_e64 v2, v2, v3, s[0:1]
	v_add_u32_e32 v3, 1, v1
	v_cmp_le_u32_e64 s[0:1], s8, v2
	s_nop 1
	v_cndmask_b32_e64 v1, v1, v3, s[0:1]
	v_addc_co_u32_e32 v1, vcc, 1, v1, vcc
	v_cmp_lt_u32_e32 vcc, 31, v1
	s_and_b64 s[10:11], vcc, s[6:7]
	s_mov_b64 s[6:7], -1
	s_and_saveexec_b64 s[0:1], s[10:11]
	s_cbranch_execz .LBB131_35
; %bb.32:
	v_and_b32_e32 v4, 0xffffffe0, v1
	s_mov_b64 s[6:7], 0
	v_mov_b32_e32 v3, 0
	v_mov_b32_e32 v2, v0
	;; [unrolled: 1-line block ×3, first 2 shown]
.LBB131_33:                             ; =>This Inner Loop Header: Depth=1
	v_lshlrev_b64 v[22:23], 1, v[2:3]
	v_lshl_add_u64 v[24:25], s[4:5], 0, v[22:23]
	global_load_dwordx4 v[6:9], v[24:25], off
	global_load_dwordx4 v[10:13], v[24:25], off offset:16
	global_load_dwordx4 v[14:17], v[24:25], off offset:32
	;; [unrolled: 1-line block ×3, first 2 shown]
	v_subrev_u32_e32 v5, 32, v5
	v_cmp_eq_u32_e32 vcc, 0, v5
	v_add_u32_e32 v2, 32, v2
	v_lshl_add_u64 v[22:23], s[2:3], 0, v[22:23]
	s_or_b64 s[6:7], vcc, s[6:7]
	s_waitcnt vmcnt(3)
	global_store_dwordx4 v[22:23], v[6:9], off
	s_waitcnt vmcnt(3)
	global_store_dwordx4 v[22:23], v[10:13], off offset:16
	s_waitcnt vmcnt(3)
	global_store_dwordx4 v[22:23], v[14:17], off offset:32
	;; [unrolled: 2-line block ×3, first 2 shown]
	s_andn2_b64 exec, exec, s[6:7]
	s_cbranch_execnz .LBB131_33
; %bb.34:
	s_or_b64 exec, exec, s[6:7]
	v_cmp_ne_u32_e32 vcc, v1, v4
	v_add_u32_e32 v0, v0, v4
	s_orn2_b64 s[6:7], vcc, exec
.LBB131_35:
	s_or_b64 exec, exec, s[0:1]
	s_and_b64 exec, exec, s[6:7]
	s_cbranch_execz .LBB131_38
; %bb.36:
	v_mov_b32_e32 v1, 0
	s_mov_b32 s1, 0
	v_lshlrev_b64 v[2:3], 1, v[0:1]
	s_lshl_b32 s0, s8, 1
	s_mov_b64 s[6:7], 0
	s_movk_i32 s9, 0x4f
.LBB131_37:                             ; =>This Inner Loop Header: Depth=1
	v_lshl_add_u64 v[4:5], s[4:5], 0, v[2:3]
	global_load_ushort v1, v[4:5], off
	v_add_u32_e32 v0, s8, v0
	v_cmp_lt_u32_e32 vcc, s9, v0
	v_lshl_add_u64 v[4:5], s[2:3], 0, v[2:3]
	v_lshl_add_u64 v[2:3], v[2:3], 0, s[0:1]
	s_or_b64 s[6:7], vcc, s[6:7]
	s_waitcnt vmcnt(0)
	global_store_short v[4:5], v1, off
	s_andn2_b64 exec, exec, s[6:7]
	s_cbranch_execnz .LBB131_37
.LBB131_38:
	s_endpgm
	.section	.rodata,"a",@progbits
	.p2align	6, 0x0
	.amdhsa_kernel _ZN4vllm32paged_attention_v2_reduce_kernelI14__hip_bfloat16Li80ELi128ELi512EEEvPT_PKfS5_PKS2_PKii
		.amdhsa_group_segment_fixed_size 16
		.amdhsa_private_segment_fixed_size 0
		.amdhsa_kernarg_size 304
		.amdhsa_user_sgpr_count 2
		.amdhsa_user_sgpr_dispatch_ptr 0
		.amdhsa_user_sgpr_queue_ptr 0
		.amdhsa_user_sgpr_kernarg_segment_ptr 1
		.amdhsa_user_sgpr_dispatch_id 0
		.amdhsa_user_sgpr_kernarg_preload_length 0
		.amdhsa_user_sgpr_kernarg_preload_offset 0
		.amdhsa_user_sgpr_private_segment_size 0
		.amdhsa_uses_dynamic_stack 0
		.amdhsa_enable_private_segment 0
		.amdhsa_system_sgpr_workgroup_id_x 1
		.amdhsa_system_sgpr_workgroup_id_y 1
		.amdhsa_system_sgpr_workgroup_id_z 0
		.amdhsa_system_sgpr_workgroup_info 0
		.amdhsa_system_vgpr_workitem_id 0
		.amdhsa_next_free_vgpr 26
		.amdhsa_next_free_sgpr 32
		.amdhsa_accum_offset 28
		.amdhsa_reserve_vcc 1
		.amdhsa_float_round_mode_32 0
		.amdhsa_float_round_mode_16_64 0
		.amdhsa_float_denorm_mode_32 3
		.amdhsa_float_denorm_mode_16_64 3
		.amdhsa_dx10_clamp 1
		.amdhsa_ieee_mode 1
		.amdhsa_fp16_overflow 0
		.amdhsa_tg_split 0
		.amdhsa_exception_fp_ieee_invalid_op 0
		.amdhsa_exception_fp_denorm_src 0
		.amdhsa_exception_fp_ieee_div_zero 0
		.amdhsa_exception_fp_ieee_overflow 0
		.amdhsa_exception_fp_ieee_underflow 0
		.amdhsa_exception_fp_ieee_inexact 0
		.amdhsa_exception_int_div_zero 0
	.end_amdhsa_kernel
	.section	.text._ZN4vllm32paged_attention_v2_reduce_kernelI14__hip_bfloat16Li80ELi128ELi512EEEvPT_PKfS5_PKS2_PKii,"axG",@progbits,_ZN4vllm32paged_attention_v2_reduce_kernelI14__hip_bfloat16Li80ELi128ELi512EEEvPT_PKfS5_PKS2_PKii,comdat
.Lfunc_end131:
	.size	_ZN4vllm32paged_attention_v2_reduce_kernelI14__hip_bfloat16Li80ELi128ELi512EEEvPT_PKfS5_PKS2_PKii, .Lfunc_end131-_ZN4vllm32paged_attention_v2_reduce_kernelI14__hip_bfloat16Li80ELi128ELi512EEEvPT_PKfS5_PKS2_PKii
                                        ; -- End function
	.section	.AMDGPU.csdata,"",@progbits
; Kernel info:
; codeLenInByte = 2276
; NumSgprs: 38
; NumVgprs: 26
; NumAgprs: 0
; TotalNumVgprs: 26
; ScratchSize: 0
; MemoryBound: 0
; FloatMode: 240
; IeeeMode: 1
; LDSByteSize: 16 bytes/workgroup (compile time only)
; SGPRBlocks: 4
; VGPRBlocks: 3
; NumSGPRsForWavesPerEU: 38
; NumVGPRsForWavesPerEU: 26
; AccumOffset: 28
; Occupancy: 8
; WaveLimiterHint : 0
; COMPUTE_PGM_RSRC2:SCRATCH_EN: 0
; COMPUTE_PGM_RSRC2:USER_SGPR: 2
; COMPUTE_PGM_RSRC2:TRAP_HANDLER: 0
; COMPUTE_PGM_RSRC2:TGID_X_EN: 1
; COMPUTE_PGM_RSRC2:TGID_Y_EN: 1
; COMPUTE_PGM_RSRC2:TGID_Z_EN: 0
; COMPUTE_PGM_RSRC2:TIDIG_COMP_CNT: 0
; COMPUTE_PGM_RSRC3_GFX90A:ACCUM_OFFSET: 6
; COMPUTE_PGM_RSRC3_GFX90A:TG_SPLIT: 0
	.section	.text._ZN4vllm25paged_attention_v2_kernelI14__hip_bfloat16S1_Li96ELi8ELi128ELNS_18Fp8KVCacheDataTypeE0ELb1ELi512EEEvPfS3_PT_PKS4_PKT0_SA_ifPKiSC_iPKfiiiSE_SE_iiiii,"axG",@progbits,_ZN4vllm25paged_attention_v2_kernelI14__hip_bfloat16S1_Li96ELi8ELi128ELNS_18Fp8KVCacheDataTypeE0ELb1ELi512EEEvPfS3_PT_PKS4_PKT0_SA_ifPKiSC_iPKfiiiSE_SE_iiiii,comdat
	.protected	_ZN4vllm25paged_attention_v2_kernelI14__hip_bfloat16S1_Li96ELi8ELi128ELNS_18Fp8KVCacheDataTypeE0ELb1ELi512EEEvPfS3_PT_PKS4_PKT0_SA_ifPKiSC_iPKfiiiSE_SE_iiiii ; -- Begin function _ZN4vllm25paged_attention_v2_kernelI14__hip_bfloat16S1_Li96ELi8ELi128ELNS_18Fp8KVCacheDataTypeE0ELb1ELi512EEEvPfS3_PT_PKS4_PKT0_SA_ifPKiSC_iPKfiiiSE_SE_iiiii
	.globl	_ZN4vllm25paged_attention_v2_kernelI14__hip_bfloat16S1_Li96ELi8ELi128ELNS_18Fp8KVCacheDataTypeE0ELb1ELi512EEEvPfS3_PT_PKS4_PKT0_SA_ifPKiSC_iPKfiiiSE_SE_iiiii
	.p2align	8
	.type	_ZN4vllm25paged_attention_v2_kernelI14__hip_bfloat16S1_Li96ELi8ELi128ELNS_18Fp8KVCacheDataTypeE0ELb1ELi512EEEvPfS3_PT_PKS4_PKT0_SA_ifPKiSC_iPKfiiiSE_SE_iiiii,@function
_ZN4vllm25paged_attention_v2_kernelI14__hip_bfloat16S1_Li96ELi8ELi128ELNS_18Fp8KVCacheDataTypeE0ELb1ELi512EEEvPfS3_PT_PKS4_PKT0_SA_ifPKiSC_iPKfiiiSE_SE_iiiii: ; @_ZN4vllm25paged_attention_v2_kernelI14__hip_bfloat16S1_Li96ELi8ELi128ELNS_18Fp8KVCacheDataTypeE0ELb1ELi512EEEvPfS3_PT_PKS4_PKT0_SA_ifPKiSC_iPKfiiiSE_SE_iiiii
; %bb.0:
	s_load_dwordx2 s[6:7], s[0:1], 0x40
	s_mov_b32 s30, s3
	s_ashr_i32 s31, s3, 31
	s_lshl_b64 s[8:9], s[30:31], 2
	s_waitcnt lgkmcnt(0)
	s_add_u32 s6, s6, s8
	s_addc_u32 s7, s7, s9
	s_load_dword s31, s[6:7], 0x0
	s_lshl_b32 s52, s4, 9
	s_waitcnt lgkmcnt(0)
	s_cmp_ge_i32 s52, s31
	s_cbranch_scc1 .LBB132_173
; %bb.1:
	s_load_dword s5, s[0:1], 0x90
	s_load_dwordx2 s[40:41], s[0:1], 0x30
	s_mov_b32 s53, 0
	s_waitcnt lgkmcnt(0)
	s_abs_i32 s7, s5
	s_abs_i32 s3, s40
	v_cvt_f32_u32_e32 v1, s3
	s_sub_i32 s8, 0, s3
	s_xor_b32 s6, s5, s40
	s_ashr_i32 s6, s6, 31
	v_rcp_iflag_f32_e32 v1, v1
	s_nop 0
	v_mul_f32_e32 v1, 0x4f7ffffe, v1
	v_cvt_u32_f32_e32 v1, v1
	s_nop 0
	v_readfirstlane_b32 s9, v1
	s_mul_i32 s8, s8, s9
	s_mul_hi_u32 s8, s9, s8
	s_add_i32 s9, s9, s8
	s_mul_hi_u32 s8, s7, s9
	s_mul_i32 s9, s8, s3
	s_sub_i32 s7, s7, s9
	s_add_i32 s10, s8, 1
	s_sub_i32 s9, s7, s3
	s_cmp_ge_u32 s7, s3
	s_cselect_b32 s8, s10, s8
	s_cselect_b32 s7, s9, s7
	s_add_i32 s9, s8, 1
	s_cmp_ge_u32 s7, s3
	s_cselect_b32 s3, s9, s8
	s_xor_b32 s3, s3, s6
	s_sub_i32 s10, s3, s6
	s_abs_i32 s8, s10
	v_cvt_f32_u32_e32 v1, s8
	s_load_dwordx2 s[6:7], s[0:1], 0x50
	s_sub_i32 s3, 0, s8
	s_abs_i32 s9, s2
	v_rcp_iflag_f32_e32 v1, v1
	s_nop 0
	v_mul_f32_e32 v1, 0x4f7ffffe, v1
	v_cvt_u32_f32_e32 v1, v1
	s_nop 0
	v_readfirstlane_b32 s11, v1
	s_mul_i32 s3, s3, s11
	s_mul_hi_u32 s3, s11, s3
	s_add_i32 s11, s11, s3
	s_waitcnt lgkmcnt(0)
	s_cmp_eq_u64 s[6:7], 0
	s_mul_hi_u32 s12, s9, s11
	s_cbranch_scc1 .LBB132_3
; %bb.2:
	s_ashr_i32 s3, s2, 31
	s_lshl_b64 s[14:15], s[2:3], 2
	s_add_u32 s6, s6, s14
	s_addc_u32 s7, s7, s15
	s_load_dword s53, s[6:7], 0x0
.LBB132_3:
	s_load_dwordx4 s[16:19], s[0:1], 0x58
	s_movk_i32 s6, 0x60
	s_ashr_i32 s3, s2, 31
	s_ashr_i32 s13, s10, 31
	v_and_b32_e32 v4, 7, v0
	s_mul_i32 s14, s2, 0x60
	v_cmp_gt_u32_e64 s[10:11], s6, v0
	v_lshlrev_b32_e32 v10, 1, v0
	s_and_saveexec_b64 s[6:7], s[10:11]
	s_cbranch_execz .LBB132_5
; %bb.4:
	s_load_dwordx2 s[20:21], s[0:1], 0x18
	s_waitcnt lgkmcnt(0)
	s_mul_i32 s22, s30, s16
	s_ashr_i32 s23, s22, 31
	s_lshl_b64 s[22:23], s[22:23], 1
	v_lshrrev_b32_e32 v2, 2, v0
	s_add_u32 s16, s20, s22
	s_addc_u32 s19, s21, s23
	s_ashr_i32 s15, s14, 31
	s_lshl_b64 s[20:21], s[14:15], 1
	s_add_u32 s20, s16, s20
	s_addc_u32 s21, s19, s21
	global_load_ushort v1, v10, s[20:21]
	v_and_b32_e32 v2, 0xfe, v2
	v_mad_u32_u24 v2, v4, 24, v2
	s_waitcnt vmcnt(0)
	ds_write_b16 v2, v1
.LBB132_5:
	s_or_b64 exec, exec, s[6:7]
	s_mul_i32 s6, s12, s8
	s_sub_i32 s6, s9, s6
	s_xor_b32 s3, s3, s13
	s_add_i32 s7, s12, 1
	s_sub_i32 s9, s6, s8
	s_load_dwordx4 s[20:23], s[0:1], 0x78
	s_cmp_ge_u32 s6, s8
	s_cselect_b32 s7, s7, s12
	s_load_dword s12, s[0:1], 0x88
	s_cselect_b32 s6, s9, s6
	s_add_i32 s9, s7, 1
	s_cmp_ge_u32 s6, s8
	s_cselect_b32 s6, s9, s7
	s_waitcnt lgkmcnt(0)
	s_abs_i32 s33, s23
	v_cvt_f32_u32_e32 v1, s33
	s_xor_b32 s6, s6, s3
	s_sub_i32 s8, s6, s3
	s_sub_i32 s6, 0, s33
	v_rcp_iflag_f32_e32 v1, v1
	s_add_i32 s13, s31, -1
	s_abs_i32 s3, s13
	v_mul_f32_e32 v1, 0x4f7ffffe, v1
	v_cvt_u32_f32_e32 v1, v1
	s_barrier
	v_readfirstlane_b32 s48, v1
	s_mul_i32 s6, s6, s48
	s_mul_hi_u32 s6, s48, s6
	s_add_i32 s48, s48, s6
	s_cmp_lt_i32 s12, 0
	s_mul_hi_u32 s9, s3, s48
	s_cbranch_scc0 .LBB132_7
; %bb.6:
	s_mul_i32 s6, s20, s40
	s_add_i32 s6, s8, s6
	s_mul_i32 s6, s6, s12
	s_sub_i32 s49, 1, s6
	s_mov_b64 s[6:7], 0
	s_branch .LBB132_8
.LBB132_7:
	s_mov_b64 s[6:7], -1
                                        ; implicit-def: $sgpr49
.LBB132_8:
	s_load_dwordx2 s[34:35], s[0:1], 0x38
	s_ashr_i32 s13, s13, 31
	s_andn2_b64 vcc, exec, s[6:7]
	s_ashr_i32 s50, s23, 31
	s_cbranch_vccnz .LBB132_10
; %bb.9:
	s_mul_i32 s6, s5, s20
	s_add_i32 s6, s6, s2
	s_mul_i32 s6, s6, s12
	s_add_i32 s49, s6, 1
.LBB132_10:
	s_load_dword s6, s[0:1], 0x48
	s_load_dwordx2 s[38:39], s[0:1], 0x28
	s_load_dword s15, s[0:1], 0x98
	s_load_dwordx4 s[24:27], s[0:1], 0x0
	s_load_dwordx2 s[28:29], s[0:1], 0x10
	s_mul_i32 s7, s9, s33
	s_waitcnt lgkmcnt(0)
	s_mul_i32 s36, s30, s6
	s_sub_i32 s3, s3, s7
	s_ashr_i32 s37, s36, 31
	s_xor_b32 s6, s13, s50
	s_add_i32 s7, s9, 1
	s_sub_i32 s12, s3, s33
	s_cmp_ge_u32 s3, s33
	s_cselect_b32 s7, s7, s9
	s_cselect_b32 s3, s12, s3
	s_add_i32 s9, s7, 1
	s_cmp_ge_u32 s3, s33
	s_cselect_b32 s3, s9, s7
	s_xor_b32 s3, s3, s6
	s_sub_i32 s16, s3, s6
	s_add_i32 s3, s31, 7
	s_ashr_i32 s6, s3, 31
	s_lshr_b32 s6, s6, 29
	s_add_i32 s3, s3, s6
	s_lshl_b32 s20, s4, 6
	s_ashr_i32 s3, s3, 3
	s_add_i32 s6, s20, 64
	v_lshrrev_b32_e32 v6, 6, v0
	s_min_i32 s51, s6, s3
	v_or_b32_e32 v12, s20, v6
	v_cmp_gt_i32_e64 s[6:7], s51, v12
	v_mov_b32_e32 v11, 0xff7fffff
	s_mul_i32 s18, s8, s18
	v_ashrrev_i32_e32 v13, 31, v12
	v_lshl_add_u32 v1, v6, 3, s52
	v_mbcnt_lo_u32_b32 v7, -1, 0
	s_and_saveexec_b64 s[42:43], s[6:7]
	s_cbranch_execz .LBB132_20
; %bb.11:
	s_load_dwordx2 s[0:1], s[0:1], 0x20
	s_ashr_i32 s19, s18, 31
	s_sub_i32 s23, s16, s21
	s_lshl_b64 s[8:9], s[18:19], 1
	v_bfe_u32 v8, v0, 3, 3
	s_waitcnt lgkmcnt(0)
	s_add_u32 s0, s0, s8
	s_addc_u32 s1, s1, s9
	s_abs_i32 s19, s22
	v_cvt_f32_u32_e32 v5, s19
	v_lshlrev_b32_e32 v2, 4, v8
	v_mov_b32_e32 v3, 0
	v_lshl_add_u64 v[14:15], s[0:1], 0, v[2:3]
	v_rcp_iflag_f32_e32 v5, v5
	s_sub_i32 s0, 0, s19
	v_lshlrev_b32_e32 v11, 2, v8
	v_cmp_eq_u32_e32 vcc, 0, v4
	v_mul_f32_e32 v5, 0x4f7ffffe, v5
	v_cvt_u32_f32_e32 v5, v5
	v_lshlrev_b32_e32 v2, 1, v4
	v_mul_u32_u24_e32 v9, 24, v4
	v_lshl_or_b32 v11, v6, 5, v11
	v_mul_lo_u32 v4, s0, v5
	s_lshl_b64 s[0:1], s[36:37], 2
	s_add_u32 s0, s34, s0
	v_add_u32_e32 v16, 0xd0, v11
	v_subrev_u32_e32 v11, s31, v8
	v_mbcnt_hi_u32_b32 v19, -1, v7
	v_mul_hi_u32 v4, v5, v4
	s_addc_u32 s1, s35, s1
	v_add_u32_e32 v17, 1, v11
	v_and_b32_e32 v11, 64, v19
	s_mov_b32 s40, s17
	v_lshl_add_u64 v[2:3], v[14:15], 0, v[2:3]
	v_cmp_neq_f32_e64 s[8:9], s53, 0
	v_add_u32_e32 v14, v5, v4
	v_lshl_add_u64 v[4:5], v[12:13], 2, s[0:1]
	v_lshl_add_u32 v15, v6, 3, s52
	s_mov_b64 s[44:45], 0
	v_mov_b32_e32 v18, 0xff7fffff
	v_add_u32_e32 v20, 64, v11
	v_xor_b32_e32 v21, 4, v19
	v_xor_b32_e32 v22, 2, v19
	;; [unrolled: 1-line block ×3, first 2 shown]
	v_mov_b32_e32 v11, 0xff7fffff
	v_mov_b32_e32 v24, v12
	s_branch .LBB132_14
.LBB132_12:                             ;   in Loop: Header=BB132_14 Depth=1
	s_or_b64 exec, exec, s[46:47]
.LBB132_13:                             ;   in Loop: Header=BB132_14 Depth=1
	s_or_b64 exec, exec, s[12:13]
	v_add_u32_e32 v24, 2, v24
	v_cmp_le_i32_e64 s[0:1], s51, v24
	v_lshl_add_u64 v[4:5], v[4:5], 0, 8
	v_add_u32_e32 v15, 16, v15
	s_or_b64 s[44:45], s[0:1], s[44:45]
	v_add_u32_e32 v16, 64, v16
	s_andn2_b64 exec, exec, s[44:45]
	s_cbranch_execz .LBB132_19
.LBB132_14:                             ; =>This Inner Loop Header: Depth=1
	s_waitcnt lgkmcnt(0)
	v_sub_u32_e32 v26, 0, v15
	v_max_i32_e32 v26, v15, v26
	v_mul_hi_u32 v27, v26, s48
	v_mul_lo_u32 v28, v27, s33
	v_sub_u32_e32 v26, v26, v28
	v_add_u32_e32 v28, 1, v27
	v_cmp_le_u32_e64 s[0:1], s33, v26
	v_ashrrev_i32_e32 v25, 31, v15
	v_xor_b32_e32 v25, s50, v25
	v_cndmask_b32_e64 v27, v27, v28, s[0:1]
	v_subrev_u32_e32 v28, s33, v26
	v_cndmask_b32_e64 v26, v26, v28, s[0:1]
	v_add_u32_e32 v28, 1, v27
	v_cmp_le_u32_e64 s[0:1], s33, v26
	s_nop 1
	v_cndmask_b32_e64 v26, v27, v28, s[0:1]
	v_xor_b32_e32 v26, v26, v25
	v_sub_u32_e32 v25, v26, v25
	v_add_u32_e32 v26, s49, v25
	v_sub_u32_e32 v28, 0, v26
	v_ashrrev_i32_e32 v27, 31, v26
	v_max_i32_e32 v26, v26, v28
	v_mul_hi_u32 v28, v26, v14
	v_mul_lo_u32 v28, v28, s19
	v_sub_u32_e32 v26, v26, v28
	v_subrev_u32_e32 v28, s19, v26
	v_cmp_le_u32_e64 s[0:1], s19, v26
	v_cmp_ge_i32_e64 s[12:13], s23, v25
	s_nop 0
	v_cndmask_b32_e64 v26, v26, v28, s[0:1]
	v_subrev_u32_e32 v28, s19, v26
	v_cmp_le_u32_e64 s[0:1], s19, v26
	s_nop 1
	v_cndmask_b32_e64 v26, v26, v28, s[0:1]
	v_xor_b32_e32 v26, v26, v27
	v_sub_u32_e32 v26, v26, v27
	v_cmp_ne_u32_e64 s[0:1], 0, v26
	s_and_b64 s[0:1], s[0:1], s[12:13]
	s_and_b64 s[46:47], vcc, s[0:1]
	s_and_saveexec_b64 s[12:13], s[46:47]
	s_cbranch_execz .LBB132_16
; %bb.15:                               ;   in Loop: Header=BB132_14 Depth=1
	ds_write_b32 v16, v18
.LBB132_16:                             ;   in Loop: Header=BB132_14 Depth=1
	s_or_b64 exec, exec, s[12:13]
	s_xor_b64 s[0:1], s[0:1], -1
	s_and_saveexec_b64 s[12:13], s[0:1]
	s_cbranch_execz .LBB132_13
; %bb.17:                               ;   in Loop: Header=BB132_14 Depth=1
	global_load_dword v25, v[4:5], off
	s_waitcnt vmcnt(0)
	v_mad_i64_i32 v[26:27], s[0:1], v25, s40, 0
	v_lshl_add_u64 v[26:27], v[26:27], 1, v[2:3]
	global_load_ushort v25, v[26:27], off
	global_load_ushort v32, v[26:27], off offset:128
	global_load_ushort v33, v[26:27], off offset:256
	;; [unrolled: 1-line block ×11, first 2 shown]
	ds_read2_b64 v[26:29], v9 offset1:1
	ds_read_b64 v[30:31], v9 offset:16
	v_cmp_lt_i32_e64 s[0:1], v21, v20
	s_waitcnt lgkmcnt(1)
	v_lshlrev_b32_e32 v44, 16, v26
	v_and_b32_e32 v26, 0xffff0000, v26
	v_lshlrev_b32_e32 v45, 16, v27
	v_and_b32_e32 v27, 0xffff0000, v27
	;; [unrolled: 2-line block ×4, first 2 shown]
	s_waitcnt lgkmcnt(0)
	v_lshlrev_b32_e32 v48, 16, v30
	v_and_b32_e32 v30, 0xffff0000, v30
	v_lshlrev_b32_e32 v49, 16, v31
	v_cndmask_b32_e64 v43, v19, v21, s[0:1]
	v_and_b32_e32 v31, 0xffff0000, v31
	v_lshlrev_b32_e32 v43, 2, v43
	v_cmp_lt_i32_e64 s[0:1], v22, v20
	s_waitcnt vmcnt(11)
	v_lshlrev_b32_e32 v25, 16, v25
	s_waitcnt vmcnt(10)
	v_lshlrev_b32_e32 v32, 16, v32
	v_mul_f32_e32 v26, v26, v32
	s_waitcnt vmcnt(9)
	v_lshlrev_b32_e32 v33, 16, v33
	v_fmac_f32_e32 v26, v44, v25
	s_waitcnt vmcnt(8)
	v_lshlrev_b32_e32 v34, 16, v34
	v_fmac_f32_e32 v26, v45, v33
	;; [unrolled: 3-line block ×9, first 2 shown]
	v_fmac_f32_e32 v26, v49, v41
	s_waitcnt vmcnt(0)
	v_lshlrev_b32_e32 v25, 16, v42
	v_fmac_f32_e32 v26, v31, v25
	ds_bpermute_b32 v25, v43, v26
	v_cndmask_b32_e64 v27, v19, v22, s[0:1]
	v_lshlrev_b32_e32 v27, 2, v27
	v_cmp_lt_i32_e64 s[0:1], v23, v20
	s_waitcnt lgkmcnt(0)
	v_add_f32_e32 v25, v26, v25
	ds_bpermute_b32 v26, v27, v25
	v_cndmask_b32_e64 v27, v19, v23, s[0:1]
	v_lshlrev_b32_e32 v27, 2, v27
	s_waitcnt lgkmcnt(0)
	v_add_f32_e32 v25, v25, v26
	ds_bpermute_b32 v26, v27, v25
	s_and_saveexec_b64 s[46:47], vcc
	s_cbranch_execz .LBB132_12
; %bb.18:                               ;   in Loop: Header=BB132_14 Depth=1
	v_add_u32_e32 v27, v17, v15
	v_cvt_f32_i32_e32 v27, v27
	s_waitcnt lgkmcnt(0)
	v_add_f32_e32 v25, v25, v26
	v_add_u32_e32 v28, v8, v15
	v_cmp_gt_i32_e64 s[0:1], s31, v28
	v_mul_f32_e32 v26, s53, v27
	v_cndmask_b32_e64 v26, 0, v26, s[8:9]
	v_fmac_f32_e32 v26, s41, v25
	v_cndmask_b32_e64 v25, 0, v26, s[0:1]
	ds_write_b32 v16, v25
	v_max_f32_e32 v25, v11, v11
	v_max_f32_e32 v25, v25, v26
	v_cndmask_b32_e64 v11, v11, v25, s[0:1]
	s_branch .LBB132_12
.LBB132_19:
	s_or_b64 exec, exec, s[44:45]
.LBB132_20:
	s_or_b64 exec, exec, s[42:43]
	v_mbcnt_hi_u32_b32 v2, -1, v7
	v_and_b32_e32 v3, 64, v2
	v_add_u32_e32 v3, 64, v3
	v_xor_b32_e32 v4, 32, v2
	v_cmp_lt_i32_e32 vcc, v4, v3
	v_xor_b32_e32 v8, 16, v2
	v_max_f32_e32 v5, v11, v11
	v_cndmask_b32_e32 v4, v2, v4, vcc
	v_lshlrev_b32_e32 v7, 2, v4
	ds_bpermute_b32 v4, v7, v11
	v_cmp_lt_i32_e32 vcc, v8, v3
	v_and_b32_e32 v11, 63, v0
	s_waitcnt lgkmcnt(0)
	v_max_f32_e32 v4, v4, v4
	v_max_f32_e32 v4, v5, v4
	v_cndmask_b32_e32 v5, v2, v8, vcc
	v_lshlrev_b32_e32 v9, 2, v5
	ds_bpermute_b32 v5, v9, v4
	v_xor_b32_e32 v8, 8, v2
	v_cmp_lt_i32_e32 vcc, v8, v3
	s_waitcnt lgkmcnt(0)
	v_max_f32_e32 v5, v5, v5
	v_max_f32_e32 v4, v4, v5
	v_cndmask_b32_e32 v5, v2, v8, vcc
	v_lshlrev_b32_e32 v14, 2, v5
	ds_bpermute_b32 v8, v14, v4
	v_cmp_eq_u32_e32 vcc, 0, v11
	v_lshlrev_b32_e32 v5, 2, v6
	s_and_saveexec_b64 s[0:1], vcc
	s_cbranch_execz .LBB132_22
; %bb.21:
	s_waitcnt lgkmcnt(0)
	v_max_f32_e32 v8, v8, v8
	v_max_f32_e32 v4, v4, v4
	v_max_f32_e32 v4, v4, v8
	ds_write_b32 v5, v4 offset:192
.LBB132_22:
	s_or_b64 exec, exec, s[0:1]
	v_cmp_gt_u32_e64 s[0:1], 2, v11
	v_mov_b32_e32 v4, 0xff7fffff
	s_waitcnt lgkmcnt(0)
	v_lshlrev_b32_e32 v8, 2, v11
	s_barrier
	s_and_saveexec_b64 s[8:9], s[0:1]
	s_cbranch_execz .LBB132_24
; %bb.23:
	ds_read_b32 v4, v8 offset:192
.LBB132_24:
	s_or_b64 exec, exec, s[8:9]
	v_xor_b32_e32 v15, 1, v2
	v_cmp_lt_i32_e64 s[8:9], v15, v3
	v_mov_b32_e32 v17, 0
	s_nop 0
	v_cndmask_b32_e64 v15, v2, v15, s[8:9]
	v_lshlrev_b32_e32 v15, 2, v15
	s_waitcnt lgkmcnt(0)
	ds_bpermute_b32 v16, v15, v4
	v_max_f32_e32 v4, v4, v4
	s_sub_i32 s8, s51, s20
	s_lshl_b32 s8, s8, 3
	s_add_i32 s8, s8, s52
	s_waitcnt lgkmcnt(0)
	v_max_f32_e32 v16, v16, v16
	v_max_f32_e32 v4, v4, v16
	v_lshlrev_b32_e32 v16, 2, v2
	v_and_b32_e32 v16, 0x100, v16
	ds_bpermute_b32 v4, v16, v4
	s_min_i32 s20, s8, s31
	s_sub_i32 s19, s20, s52
	v_cmp_gt_i32_e64 s[8:9], s19, v0
	s_and_saveexec_b64 s[40:41], s[8:9]
	s_cbranch_execz .LBB132_28
; %bb.25:
	v_mov_b32_e32 v17, 0xd0
	v_lshl_add_u32 v18, v0, 2, v17
	s_mov_b64 s[42:43], 0
	v_mov_b32_e32 v17, 0
	v_mov_b32_e32 v19, v0
.LBB132_26:                             ; =>This Inner Loop Header: Depth=1
	ds_read_b32 v20, v18
	v_add_u32_e32 v19, 0x80, v19
	v_cmp_le_i32_e64 s[12:13], s19, v19
	s_or_b64 s[42:43], s[12:13], s[42:43]
	s_waitcnt lgkmcnt(0)
	v_sub_f32_e32 v20, v20, v4
	v_mul_f32_e32 v20, 0x3fb8aa3b, v20
	v_exp_f32_e32 v20, v20
	ds_write_b32 v18, v20
	v_add_f32_e32 v17, v17, v20
	v_add_u32_e32 v18, 0x200, v18
	s_andn2_b64 exec, exec, s[42:43]
	s_cbranch_execnz .LBB132_26
; %bb.27:
	s_or_b64 exec, exec, s[42:43]
.LBB132_28:
	s_or_b64 exec, exec, s[40:41]
	ds_bpermute_b32 v7, v7, v17
	s_waitcnt lgkmcnt(0)
	v_add_f32_e32 v7, v17, v7
	ds_bpermute_b32 v9, v9, v7
	s_waitcnt lgkmcnt(0)
	v_add_f32_e32 v7, v7, v9
	ds_bpermute_b32 v9, v14, v7
	v_xor_b32_e32 v14, 4, v2
	v_cmp_lt_i32_e64 s[12:13], v14, v3
	s_waitcnt lgkmcnt(0)
	v_add_f32_e32 v7, v7, v9
	v_cndmask_b32_e64 v14, v2, v14, s[12:13]
	v_lshlrev_b32_e32 v14, 2, v14
	ds_bpermute_b32 v9, v14, v7
	v_xor_b32_e32 v14, 2, v2
	v_cmp_lt_i32_e64 s[12:13], v14, v3
	s_waitcnt lgkmcnt(0)
	v_add_f32_e32 v3, v7, v9
	v_cndmask_b32_e64 v2, v2, v14, s[12:13]
	v_lshlrev_b32_e32 v2, 2, v2
	ds_bpermute_b32 v2, v2, v3
	s_waitcnt lgkmcnt(0)
	v_add_f32_e32 v2, v3, v2
	ds_bpermute_b32 v3, v15, v2
	s_waitcnt lgkmcnt(0)
	v_add_f32_e32 v2, v2, v3
	s_and_saveexec_b64 s[12:13], vcc
	s_cbranch_execz .LBB132_30
; %bb.29:
	ds_write_b32 v5, v2 offset:200
.LBB132_30:
	s_or_b64 exec, exec, s[12:13]
	s_waitcnt lgkmcnt(0)
	s_barrier
	s_and_saveexec_b64 s[12:13], s[0:1]
	s_cbranch_execz .LBB132_32
; %bb.31:
	ds_read_b32 v2, v8 offset:200
.LBB132_32:
	s_or_b64 exec, exec, s[12:13]
	s_waitcnt lgkmcnt(0)
	ds_bpermute_b32 v3, v15, v2
	s_waitcnt lgkmcnt(0)
	v_add_f32_e32 v2, v2, v3
	ds_bpermute_b32 v5, v16, v2
	s_and_saveexec_b64 s[0:1], s[8:9]
	s_cbranch_execz .LBB132_45
; %bb.33:
	s_waitcnt lgkmcnt(0)
	v_add_f32_e32 v2, 0x358637bd, v5
	v_div_scale_f32 v3, s[8:9], v2, v2, 1.0
	v_rcp_f32_e32 v7, v3
	v_div_scale_f32 v8, vcc, 1.0, v2, 1.0
	s_movk_i32 s8, 0x7f
	v_fma_f32 v9, -v3, v7, 1.0
	v_fmac_f32_e32 v7, v9, v7
	v_mul_f32_e32 v9, v8, v7
	v_fma_f32 v14, -v3, v9, v8
	v_fmac_f32_e32 v9, v14, v7
	v_fma_f32 v3, -v3, v9, v8
	v_div_fmas_f32 v3, v3, v7, v9
	v_div_fixup_f32 v2, v3, v2, 1.0
	v_xad_u32 v3, v0, -1, s20
	v_subrev_u32_e32 v7, s52, v3
	v_cmp_lt_u32_e32 vcc, s8, v7
	s_mov_b64 s[12:13], -1
	v_mov_b32_e32 v3, v0
	s_and_saveexec_b64 s[8:9], vcc
	s_cbranch_execz .LBB132_42
; %bb.34:
	v_lshrrev_b32_e32 v7, 7, v7
	v_add_u32_e32 v9, -1, v7
	v_lshrrev_b32_e32 v8, 1, v9
	v_mov_b32_e32 v3, v2
	v_add_u32_e32 v8, 1, v8
	v_cmp_lt_u32_e32 vcc, 13, v9
	v_mov_b32_e32 v15, 0
	s_and_saveexec_b64 s[12:13], vcc
	s_cbranch_execz .LBB132_38
; %bb.35:
	v_mov_b32_e32 v14, 0xd0
	v_and_b32_e32 v9, -8, v8
	v_lshl_add_u32 v14, v0, 2, v14
	s_mov_b32 s20, 0
	s_mov_b64 s[40:41], 0
.LBB132_36:                             ; =>This Inner Loop Header: Depth=1
	ds_read2st64_b32 v[16:17], v14 offset1:2
	ds_read2st64_b32 v[18:19], v14 offset0:4 offset1:6
	ds_read2st64_b32 v[20:21], v14 offset0:8 offset1:10
	;; [unrolled: 1-line block ×3, first 2 shown]
	v_add_u32_e32 v9, -8, v9
	s_waitcnt lgkmcnt(3)
	v_pk_mul_f32 v[16:17], v[2:3], v[16:17]
	s_waitcnt lgkmcnt(2)
	v_pk_mul_f32 v[18:19], v[2:3], v[18:19]
	ds_write2st64_b32 v14, v16, v17 offset1:2
	ds_write2st64_b32 v14, v18, v19 offset0:4 offset1:6
	ds_read2st64_b32 v[18:19], v14 offset0:16 offset1:18
	s_waitcnt lgkmcnt(4)
	v_pk_mul_f32 v[16:17], v[2:3], v[20:21]
	ds_write2st64_b32 v14, v16, v17 offset0:8 offset1:10
	s_waitcnt lgkmcnt(4)
	v_pk_mul_f32 v[16:17], v[2:3], v[22:23]
	ds_write2st64_b32 v14, v16, v17 offset0:12 offset1:14
	ds_read2st64_b32 v[16:17], v14 offset0:20 offset1:22
	s_waitcnt lgkmcnt(3)
	v_pk_mul_f32 v[18:19], v[2:3], v[18:19]
	ds_read2st64_b32 v[20:21], v14 offset0:24 offset1:26
	ds_write2st64_b32 v14, v18, v19 offset0:16 offset1:18
	ds_read2st64_b32 v[18:19], v14 offset0:28 offset1:30
	s_waitcnt lgkmcnt(3)
	v_pk_mul_f32 v[16:17], v[2:3], v[16:17]
	ds_write2st64_b32 v14, v16, v17 offset0:20 offset1:22
	s_waitcnt lgkmcnt(3)
	v_pk_mul_f32 v[16:17], v[2:3], v[20:21]
	ds_write2st64_b32 v14, v16, v17 offset0:24 offset1:26
	s_waitcnt lgkmcnt(2)
	v_pk_mul_f32 v[16:17], v[2:3], v[18:19]
	s_add_i32 s20, s20, 16
	v_cmp_eq_u32_e32 vcc, 0, v9
	ds_write2st64_b32 v14, v16, v17 offset0:28 offset1:30
	v_add_u32_e32 v14, 0x2000, v14
	s_or_b64 s[40:41], vcc, s[40:41]
	v_mov_b32_e32 v15, s20
	s_andn2_b64 exec, exec, s[40:41]
	s_cbranch_execnz .LBB132_36
; %bb.37:
	s_or_b64 exec, exec, s[40:41]
.LBB132_38:
	s_or_b64 exec, exec, s[12:13]
	v_and_b32_e32 v8, 7, v8
	v_cmp_ne_u32_e32 vcc, 0, v8
	s_and_saveexec_b64 s[12:13], vcc
	s_cbranch_execz .LBB132_41
; %bb.39:
	v_lshlrev_b32_e32 v9, 9, v15
	v_lshlrev_b32_e32 v14, 2, v0
	s_movk_i32 s20, 0xd0
	v_add3_u32 v9, v9, v14, s20
	s_mov_b64 s[40:41], 0
.LBB132_40:                             ; =>This Inner Loop Header: Depth=1
	ds_read2st64_b32 v[14:15], v9 offset1:2
	v_add_u32_e32 v8, -1, v8
	v_cmp_eq_u32_e32 vcc, 0, v8
	s_or_b64 s[40:41], vcc, s[40:41]
	s_waitcnt lgkmcnt(0)
	v_pk_mul_f32 v[14:15], v[2:3], v[14:15]
	ds_write2st64_b32 v9, v14, v15 offset1:2
	v_add_u32_e32 v9, 0x400, v9
	s_andn2_b64 exec, exec, s[40:41]
	s_cbranch_execnz .LBB132_40
.LBB132_41:
	s_or_b64 exec, exec, s[12:13]
	v_add_u32_e32 v7, 1, v7
	v_and_b32_e32 v8, 0x3fffffe, v7
	v_cmp_ne_u32_e32 vcc, v7, v8
	v_lshl_add_u32 v3, v8, 7, v0
	s_orn2_b64 s[12:13], vcc, exec
.LBB132_42:
	s_or_b64 exec, exec, s[8:9]
	s_and_b64 exec, exec, s[12:13]
	s_cbranch_execz .LBB132_45
; %bb.43:
	v_mov_b32_e32 v7, 0xd0
	v_lshl_add_u32 v7, v3, 2, v7
	s_mov_b64 s[8:9], 0
.LBB132_44:                             ; =>This Inner Loop Header: Depth=1
	ds_read_b32 v8, v7
	v_add_u32_e32 v3, 0x80, v3
	v_cmp_le_i32_e32 vcc, s19, v3
	s_or_b64 s[8:9], vcc, s[8:9]
	s_waitcnt lgkmcnt(0)
	v_mul_f32_e32 v8, v2, v8
	ds_write_b32 v7, v8
	v_add_u32_e32 v7, 0x200, v7
	s_andn2_b64 exec, exec, s[8:9]
	s_cbranch_execnz .LBB132_44
.LBB132_45:
	s_or_b64 exec, exec, s[0:1]
	s_mul_i32 s0, s15, s30
	v_cmp_eq_u32_e32 vcc, 0, v0
	s_mul_i32 s8, s0, s5
	s_waitcnt lgkmcnt(0)
	s_barrier
	s_and_saveexec_b64 s[0:1], vcc
	s_cbranch_execz .LBB132_47
; %bb.46:
	s_ashr_i32 s9, s8, 31
	s_lshl_b64 s[12:13], s[8:9], 2
	s_add_u32 s5, s26, s12
	s_mul_i32 s26, s15, s2
	s_addc_u32 s9, s27, s13
	s_ashr_i32 s27, s26, 31
	s_lshl_b64 s[26:27], s[26:27], 2
	s_add_u32 s2, s5, s26
	s_addc_u32 s9, s9, s27
	s_ashr_i32 s5, s4, 31
	s_lshl_b64 s[40:41], s[4:5], 2
	s_add_u32 s42, s2, s40
	s_addc_u32 s43, s9, s41
	s_add_u32 s2, s24, s12
	s_addc_u32 s5, s25, s13
	;; [unrolled: 2-line block ×3, first 2 shown]
	s_add_u32 s12, s2, s40
	v_mov_b32_e32 v2, 0
	s_addc_u32 s13, s5, s41
	global_store_dword v2, v4, s[42:43]
	global_store_dword v2, v5, s[12:13]
.LBB132_47:
	s_or_b64 exec, exec, s[0:1]
	v_mov_b32_e32 v15, 0
	v_mov_b32_e32 v14, v15
	s_and_saveexec_b64 s[12:13], s[6:7]
	s_cbranch_execz .LBB132_155
; %bb.48:
	s_ashr_i32 s19, s18, 31
	s_sub_i32 s5, s16, s21
	s_lshl_b64 s[0:1], s[18:19], 1
	s_add_u32 s6, s38, s0
	s_addc_u32 s7, s39, s1
	s_abs_i32 s9, s22
	v_cvt_f32_u32_e32 v3, s9
	v_or_b32_e32 v4, 64, v11
	s_movk_i32 s0, 0x60
	v_cmp_gt_u32_e32 vcc, s0, v4
	v_rcp_iflag_f32_e32 v3, v3
	s_sub_i32 s0, 0, s9
	s_add_i32 s25, s3, -1
	v_lshlrev_b32_e32 v2, 3, v11
	v_mul_f32_e32 v3, 0x4f7ffffe, v3
	v_cvt_u32_f32_e32 v3, v3
	v_mov_b32_e32 v17, 0
	v_lshlrev_b32_e32 v4, 3, v4
	s_mov_b32 s24, s17
	v_mul_lo_u32 v5, s0, v3
	s_lshl_b64 s[0:1], s[36:37], 2
	v_mul_hi_u32 v5, v3, v5
	s_add_u32 s0, s34, s0
	v_add_u32_e32 v22, v3, v5
	s_addc_u32 s1, s35, s1
	v_mov_b32_e32 v3, 0xd0
	v_lshl_add_u64 v[18:19], v[12:13], 2, s[0:1]
	v_lshl_add_u32 v13, v6, 5, v3
	s_mov_b64 s[16:17], 0
	s_mov_b32 s26, 0x7f800000
	s_movk_i32 s27, 0x7fff
	v_lshlrev_b32_e32 v16, 1, v2
	v_lshlrev_b32_e32 v20, 1, v4
	v_mov_b32_e32 v14, v17
	v_mov_b32_e32 v15, v17
	s_branch .LBB132_52
.LBB132_49:                             ;   in Loop: Header=BB132_52 Depth=1
	s_or_b64 exec, exec, s[2:3]
	v_and_b32_e32 v27, 0xffff0000, v21
	v_and_b32_e32 v26, 0xffff0000, v7
	;; [unrolled: 1-line block ×4, first 2 shown]
	v_pk_add_f32 v[2:3], v[2:3], v[26:27]
	v_and_b32_e32 v25, 0xffff0000, v23
	v_and_b32_e32 v24, 0xffff0000, v9
	v_and_b32_e32 v5, 0xffff0000, v5
	v_and_b32_e32 v4, 0xffff0000, v4
	v_mov_b32_e32 v6, v3
	v_pk_add_f32 v[2:3], v[2:3], v[6:7]
	v_pk_add_f32 v[4:5], v[4:5], v[24:25]
	s_nop 0
	v_pk_add_f32 v[2:3], v[2:3], v[4:5]
	v_mov_b32_e32 v4, v5
	v_pk_add_f32 v[2:3], v[2:3], v[4:5]
	s_nop 0
	v_mov_b32_e32 v3, v2
	v_pk_add_f32 v[14:15], v[14:15], v[2:3]
.LBB132_50:                             ;   in Loop: Header=BB132_52 Depth=1
	s_or_b64 exec, exec, s[20:21]
	v_mov_b32_e32 v14, v8
.LBB132_51:                             ;   in Loop: Header=BB132_52 Depth=1
	s_or_b64 exec, exec, s[18:19]
	v_add_u32_e32 v12, 2, v12
	v_cmp_le_i32_e64 s[0:1], s51, v12
	v_lshl_add_u64 v[18:19], v[18:19], 0, 8
	v_add_u32_e32 v1, 16, v1
	s_or_b64 s[16:17], s[0:1], s[16:17]
	v_add_u32_e32 v13, 64, v13
	s_andn2_b64 exec, exec, s[16:17]
	s_cbranch_execz .LBB132_154
.LBB132_52:                             ; =>This Inner Loop Header: Depth=1
	v_sub_u32_e32 v3, 0, v1
	v_max_i32_e32 v3, v1, v3
	v_mul_hi_u32 v4, v3, s48
	v_mul_lo_u32 v5, v4, s33
	v_sub_u32_e32 v3, v3, v5
	v_add_u32_e32 v5, 1, v4
	v_cmp_le_u32_e64 s[0:1], s33, v3
	v_ashrrev_i32_e32 v2, 31, v1
	v_xor_b32_e32 v2, s50, v2
	v_cndmask_b32_e64 v4, v4, v5, s[0:1]
	v_subrev_u32_e32 v5, s33, v3
	v_cndmask_b32_e64 v3, v3, v5, s[0:1]
	v_add_u32_e32 v5, 1, v4
	v_cmp_le_u32_e64 s[0:1], s33, v3
	s_nop 1
	v_cndmask_b32_e64 v3, v4, v5, s[0:1]
	v_xor_b32_e32 v3, v3, v2
	v_sub_u32_e32 v2, v3, v2
	v_add_u32_e32 v3, s49, v2
	v_sub_u32_e32 v5, 0, v3
	v_ashrrev_i32_e32 v4, 31, v3
	v_max_i32_e32 v3, v3, v5
	v_mul_hi_u32 v5, v3, v22
	v_mul_lo_u32 v5, v5, s9
	v_sub_u32_e32 v3, v3, v5
	v_subrev_u32_e32 v5, s9, v3
	v_cmp_le_u32_e64 s[0:1], s9, v3
	v_cmp_lt_i32_e64 s[2:3], s5, v2
	s_nop 0
	v_cndmask_b32_e64 v3, v3, v5, s[0:1]
	v_subrev_u32_e32 v5, s9, v3
	v_cmp_le_u32_e64 s[0:1], s9, v3
	s_nop 1
	v_cndmask_b32_e64 v3, v3, v5, s[0:1]
	v_xor_b32_e32 v3, v3, v4
	v_sub_u32_e32 v3, v3, v4
	v_cmp_eq_u32_e64 s[0:1], 0, v3
	s_or_b64 s[0:1], s[0:1], s[2:3]
	s_and_saveexec_b64 s[18:19], s[0:1]
	s_cbranch_execz .LBB132_51
; %bb.53:                               ;   in Loop: Header=BB132_52 Depth=1
	global_load_dword v28, v[18:19], off
	ds_read2_b64 v[6:9], v13 offset1:1
	ds_read2_b64 v[2:5], v13 offset0:2 offset1:3
                                        ; implicit-def: $vgpr23
	s_waitcnt lgkmcnt(1)
	v_and_b32_e32 v21, 0x7f800000, v6
	v_cmp_ne_u32_e64 s[0:1], s26, v21
	s_and_saveexec_b64 s[2:3], s[0:1]
	s_xor_b64 s[0:1], exec, s[2:3]
; %bb.54:                               ;   in Loop: Header=BB132_52 Depth=1
	v_bfe_u32 v21, v6, 16, 1
	v_add3_u32 v23, v6, v21, s27
; %bb.55:                               ;   in Loop: Header=BB132_52 Depth=1
	s_andn2_saveexec_b64 s[2:3], s[0:1]
; %bb.56:                               ;   in Loop: Header=BB132_52 Depth=1
	v_or_b32_e32 v21, 0x10000, v6
	v_cmp_eq_u32_sdwa s[0:1], v6, v17 src0_sel:WORD_0 src1_sel:DWORD
	s_nop 1
	v_cndmask_b32_e64 v23, v21, v6, s[0:1]
; %bb.57:                               ;   in Loop: Header=BB132_52 Depth=1
	s_or_b64 exec, exec, s[2:3]
	v_and_b32_e32 v6, 0x7f800000, v7
	v_cmp_ne_u32_e64 s[0:1], s26, v6
                                        ; implicit-def: $vgpr24
	s_and_saveexec_b64 s[2:3], s[0:1]
	s_xor_b64 s[0:1], exec, s[2:3]
; %bb.58:                               ;   in Loop: Header=BB132_52 Depth=1
	v_bfe_u32 v6, v7, 16, 1
	v_add3_u32 v24, v7, v6, s27
; %bb.59:                               ;   in Loop: Header=BB132_52 Depth=1
	s_andn2_saveexec_b64 s[2:3], s[0:1]
; %bb.60:                               ;   in Loop: Header=BB132_52 Depth=1
	v_or_b32_e32 v6, 0x10000, v7
	v_cmp_eq_u32_sdwa s[0:1], v7, v17 src0_sel:WORD_0 src1_sel:DWORD
	s_nop 1
	v_cndmask_b32_e64 v24, v6, v7, s[0:1]
; %bb.61:                               ;   in Loop: Header=BB132_52 Depth=1
	s_or_b64 exec, exec, s[2:3]
	v_and_b32_e32 v6, 0x7f800000, v8
	v_cmp_ne_u32_e64 s[0:1], s26, v6
                                        ; implicit-def: $vgpr25
	s_and_saveexec_b64 s[2:3], s[0:1]
	s_xor_b64 s[0:1], exec, s[2:3]
; %bb.62:                               ;   in Loop: Header=BB132_52 Depth=1
	v_bfe_u32 v6, v8, 16, 1
	v_add3_u32 v25, v8, v6, s27
; %bb.63:                               ;   in Loop: Header=BB132_52 Depth=1
	s_andn2_saveexec_b64 s[2:3], s[0:1]
; %bb.64:                               ;   in Loop: Header=BB132_52 Depth=1
	v_or_b32_e32 v6, 0x10000, v8
	v_cmp_eq_u32_sdwa s[0:1], v8, v17 src0_sel:WORD_0 src1_sel:DWORD
	s_nop 1
	v_cndmask_b32_e64 v25, v6, v8, s[0:1]
; %bb.65:                               ;   in Loop: Header=BB132_52 Depth=1
	s_or_b64 exec, exec, s[2:3]
	v_and_b32_e32 v6, 0x7f800000, v9
	v_cmp_ne_u32_e64 s[0:1], s26, v6
                                        ; implicit-def: $vgpr26
	s_and_saveexec_b64 s[2:3], s[0:1]
	s_xor_b64 s[0:1], exec, s[2:3]
; %bb.66:                               ;   in Loop: Header=BB132_52 Depth=1
	v_bfe_u32 v6, v9, 16, 1
	v_add3_u32 v26, v9, v6, s27
                                        ; implicit-def: $vgpr6_vgpr7_vgpr8_vgpr9
; %bb.67:                               ;   in Loop: Header=BB132_52 Depth=1
	s_andn2_saveexec_b64 s[2:3], s[0:1]
; %bb.68:                               ;   in Loop: Header=BB132_52 Depth=1
	v_or_b32_e32 v6, 0x10000, v9
	v_cmp_eq_u32_sdwa s[0:1], v9, v17 src0_sel:WORD_0 src1_sel:DWORD
	s_nop 1
	v_cndmask_b32_e64 v26, v6, v9, s[0:1]
; %bb.69:                               ;   in Loop: Header=BB132_52 Depth=1
	s_or_b64 exec, exec, s[2:3]
	s_waitcnt lgkmcnt(0)
	v_and_b32_e32 v6, 0x7f800000, v2
	v_cmp_ne_u32_e64 s[0:1], s26, v6
                                        ; implicit-def: $vgpr27
	s_and_saveexec_b64 s[2:3], s[0:1]
	s_xor_b64 s[0:1], exec, s[2:3]
; %bb.70:                               ;   in Loop: Header=BB132_52 Depth=1
	v_bfe_u32 v6, v2, 16, 1
	v_add3_u32 v27, v2, v6, s27
; %bb.71:                               ;   in Loop: Header=BB132_52 Depth=1
	s_andn2_saveexec_b64 s[2:3], s[0:1]
; %bb.72:                               ;   in Loop: Header=BB132_52 Depth=1
	v_or_b32_e32 v6, 0x10000, v2
	v_cmp_eq_u32_sdwa s[0:1], v2, v17 src0_sel:WORD_0 src1_sel:DWORD
	s_nop 1
	v_cndmask_b32_e64 v27, v6, v2, s[0:1]
; %bb.73:                               ;   in Loop: Header=BB132_52 Depth=1
	s_or_b64 exec, exec, s[2:3]
	v_and_b32_e32 v2, 0x7f800000, v3
	v_cmp_ne_u32_e64 s[0:1], s26, v2
                                        ; implicit-def: $vgpr21
	s_and_saveexec_b64 s[2:3], s[0:1]
	s_xor_b64 s[0:1], exec, s[2:3]
; %bb.74:                               ;   in Loop: Header=BB132_52 Depth=1
	v_bfe_u32 v2, v3, 16, 1
	v_add3_u32 v21, v3, v2, s27
; %bb.75:                               ;   in Loop: Header=BB132_52 Depth=1
	s_andn2_saveexec_b64 s[2:3], s[0:1]
; %bb.76:                               ;   in Loop: Header=BB132_52 Depth=1
	v_or_b32_e32 v2, 0x10000, v3
	v_cmp_eq_u32_sdwa s[0:1], v3, v17 src0_sel:WORD_0 src1_sel:DWORD
	s_nop 1
	v_cndmask_b32_e64 v21, v2, v3, s[0:1]
; %bb.77:                               ;   in Loop: Header=BB132_52 Depth=1
	s_or_b64 exec, exec, s[2:3]
	v_and_b32_e32 v2, 0x7f800000, v4
	v_cmp_ne_u32_e64 s[0:1], s26, v2
                                        ; implicit-def: $vgpr9
	s_and_saveexec_b64 s[2:3], s[0:1]
	s_xor_b64 s[0:1], exec, s[2:3]
; %bb.78:                               ;   in Loop: Header=BB132_52 Depth=1
	v_bfe_u32 v2, v4, 16, 1
	v_add3_u32 v9, v4, v2, s27
; %bb.79:                               ;   in Loop: Header=BB132_52 Depth=1
	s_andn2_saveexec_b64 s[2:3], s[0:1]
; %bb.80:                               ;   in Loop: Header=BB132_52 Depth=1
	v_or_b32_e32 v2, 0x10000, v4
	v_cmp_eq_u32_sdwa s[0:1], v4, v17 src0_sel:WORD_0 src1_sel:DWORD
	s_nop 1
	v_cndmask_b32_e64 v9, v2, v4, s[0:1]
; %bb.81:                               ;   in Loop: Header=BB132_52 Depth=1
	s_or_b64 exec, exec, s[2:3]
	v_and_b32_e32 v2, 0x7f800000, v5
	v_cmp_ne_u32_e64 s[0:1], s26, v2
                                        ; implicit-def: $vgpr8
	s_and_saveexec_b64 s[2:3], s[0:1]
	s_xor_b64 s[0:1], exec, s[2:3]
; %bb.82:                               ;   in Loop: Header=BB132_52 Depth=1
	v_bfe_u32 v2, v5, 16, 1
	v_add3_u32 v8, v5, v2, s27
                                        ; implicit-def: $vgpr2_vgpr3_vgpr4_vgpr5
; %bb.83:                               ;   in Loop: Header=BB132_52 Depth=1
	s_andn2_saveexec_b64 s[2:3], s[0:1]
; %bb.84:                               ;   in Loop: Header=BB132_52 Depth=1
	v_or_b32_e32 v2, 0x10000, v5
	v_cmp_eq_u32_sdwa s[0:1], v5, v17 src0_sel:WORD_0 src1_sel:DWORD
	s_nop 1
	v_cndmask_b32_e64 v8, v2, v5, s[0:1]
; %bb.85:                               ;   in Loop: Header=BB132_52 Depth=1
	s_or_b64 exec, exec, s[2:3]
	s_waitcnt vmcnt(0)
	v_mad_i64_i32 v[2:3], s[0:1], v28, s24, 0
	v_lshl_add_u64 v[6:7], v[2:3], 1, s[6:7]
	v_lshl_add_u64 v[2:3], v[6:7], 0, v[16:17]
	global_load_dwordx4 v[2:5], v[2:3], off
	v_cmp_eq_u32_e64 s[2:3], s25, v12
	s_waitcnt vmcnt(0)
	v_lshrrev_b32_e32 v30, 16, v2
	v_lshrrev_b32_e32 v28, 16, v3
	;; [unrolled: 1-line block ×4, first 2 shown]
	s_and_saveexec_b64 s[20:21], s[2:3]
	s_cbranch_execz .LBB132_87
; %bb.86:                               ;   in Loop: Header=BB132_52 Depth=1
	v_cmp_gt_i32_e64 s[0:1], s31, v1
	v_add_u32_e32 v32, 1, v1
	s_nop 0
	v_cndmask_b32_e64 v2, 0, v2, s[0:1]
	v_cmp_gt_i32_e64 s[0:1], s31, v32
	v_add_u32_e32 v32, 2, v1
	s_nop 0
	v_cndmask_b32_e64 v30, 0, v30, s[0:1]
	;; [unrolled: 4-line block ×7, first 2 shown]
	v_cmp_gt_i32_e64 s[0:1], s31, v32
	s_nop 1
	v_cndmask_b32_e64 v31, 0, v31, s[0:1]
.LBB132_87:                             ;   in Loop: Header=BB132_52 Depth=1
	s_or_b64 exec, exec, s[20:21]
	v_and_b32_e32 v23, 0xffff0000, v23
	v_lshlrev_b32_e32 v2, 16, v2
	v_mul_f32_e32 v32, v23, v2
	v_and_b32_e32 v2, 0x7f800000, v32
	v_cmp_ne_u32_e64 s[0:1], s26, v2
                                        ; implicit-def: $vgpr2
	s_and_saveexec_b64 s[20:21], s[0:1]
	s_xor_b64 s[0:1], exec, s[20:21]
; %bb.88:                               ;   in Loop: Header=BB132_52 Depth=1
	v_bfe_u32 v2, v32, 16, 1
	v_add3_u32 v2, v32, v2, s27
                                        ; implicit-def: $vgpr32
; %bb.89:                               ;   in Loop: Header=BB132_52 Depth=1
	s_andn2_saveexec_b64 s[20:21], s[0:1]
; %bb.90:                               ;   in Loop: Header=BB132_52 Depth=1
	v_or_b32_e32 v2, 0x10000, v32
	v_cmp_eq_u32_sdwa s[0:1], v32, v17 src0_sel:WORD_0 src1_sel:DWORD
	s_nop 1
	v_cndmask_b32_e64 v2, v2, v32, s[0:1]
; %bb.91:                               ;   in Loop: Header=BB132_52 Depth=1
	s_or_b64 exec, exec, s[20:21]
	v_and_b32_e32 v24, 0xffff0000, v24
	v_lshlrev_b32_e32 v30, 16, v30
	v_mul_f32_e32 v30, v24, v30
	v_and_b32_e32 v32, 0x7f800000, v30
	v_cmp_ne_u32_e64 s[0:1], s26, v32
                                        ; implicit-def: $vgpr32
	s_and_saveexec_b64 s[20:21], s[0:1]
	s_xor_b64 s[0:1], exec, s[20:21]
; %bb.92:                               ;   in Loop: Header=BB132_52 Depth=1
	v_bfe_u32 v32, v30, 16, 1
	v_add3_u32 v32, v30, v32, s27
                                        ; implicit-def: $vgpr30
; %bb.93:                               ;   in Loop: Header=BB132_52 Depth=1
	s_andn2_saveexec_b64 s[20:21], s[0:1]
; %bb.94:                               ;   in Loop: Header=BB132_52 Depth=1
	v_or_b32_e32 v32, 0x10000, v30
	v_cmp_eq_u32_sdwa s[0:1], v30, v17 src0_sel:WORD_0 src1_sel:DWORD
	s_nop 1
	v_cndmask_b32_e64 v32, v32, v30, s[0:1]
; %bb.95:                               ;   in Loop: Header=BB132_52 Depth=1
	s_or_b64 exec, exec, s[20:21]
	v_and_b32_e32 v25, 0xffff0000, v25
	v_lshlrev_b32_e32 v3, 16, v3
	v_mul_f32_e32 v30, v25, v3
	v_and_b32_e32 v3, 0x7f800000, v30
	v_cmp_ne_u32_e64 s[0:1], s26, v3
                                        ; implicit-def: $vgpr3
	s_and_saveexec_b64 s[20:21], s[0:1]
	s_xor_b64 s[0:1], exec, s[20:21]
; %bb.96:                               ;   in Loop: Header=BB132_52 Depth=1
	v_bfe_u32 v3, v30, 16, 1
	v_add3_u32 v3, v30, v3, s27
                                        ; implicit-def: $vgpr30
; %bb.97:                               ;   in Loop: Header=BB132_52 Depth=1
	s_andn2_saveexec_b64 s[20:21], s[0:1]
; %bb.98:                               ;   in Loop: Header=BB132_52 Depth=1
	v_or_b32_e32 v3, 0x10000, v30
	v_cmp_eq_u32_sdwa s[0:1], v30, v17 src0_sel:WORD_0 src1_sel:DWORD
	s_nop 1
	v_cndmask_b32_e64 v3, v3, v30, s[0:1]
; %bb.99:                               ;   in Loop: Header=BB132_52 Depth=1
	s_or_b64 exec, exec, s[20:21]
	v_and_b32_e32 v26, 0xffff0000, v26
	v_lshlrev_b32_e32 v28, 16, v28
	v_mul_f32_e32 v28, v26, v28
	v_and_b32_e32 v30, 0x7f800000, v28
	v_cmp_ne_u32_e64 s[0:1], s26, v30
                                        ; implicit-def: $vgpr33
	s_and_saveexec_b64 s[20:21], s[0:1]
	s_xor_b64 s[0:1], exec, s[20:21]
; %bb.100:                              ;   in Loop: Header=BB132_52 Depth=1
	v_bfe_u32 v30, v28, 16, 1
	v_add3_u32 v33, v28, v30, s27
                                        ; implicit-def: $vgpr28
; %bb.101:                              ;   in Loop: Header=BB132_52 Depth=1
	s_andn2_saveexec_b64 s[20:21], s[0:1]
; %bb.102:                              ;   in Loop: Header=BB132_52 Depth=1
	v_or_b32_e32 v30, 0x10000, v28
	v_cmp_eq_u32_sdwa s[0:1], v28, v17 src0_sel:WORD_0 src1_sel:DWORD
	s_nop 1
	v_cndmask_b32_e64 v33, v30, v28, s[0:1]
; %bb.103:                              ;   in Loop: Header=BB132_52 Depth=1
	s_or_b64 exec, exec, s[20:21]
	v_and_b32_e32 v27, 0xffff0000, v27
	v_lshlrev_b32_e32 v4, 16, v4
	v_mul_f32_e32 v28, v27, v4
	v_and_b32_e32 v4, 0x7f800000, v28
	v_cmp_ne_u32_e64 s[0:1], s26, v4
                                        ; implicit-def: $vgpr4
	s_and_saveexec_b64 s[20:21], s[0:1]
	s_xor_b64 s[0:1], exec, s[20:21]
; %bb.104:                              ;   in Loop: Header=BB132_52 Depth=1
	v_bfe_u32 v4, v28, 16, 1
	v_add3_u32 v4, v28, v4, s27
                                        ; implicit-def: $vgpr28
; %bb.105:                              ;   in Loop: Header=BB132_52 Depth=1
	s_andn2_saveexec_b64 s[20:21], s[0:1]
; %bb.106:                              ;   in Loop: Header=BB132_52 Depth=1
	v_or_b32_e32 v4, 0x10000, v28
	v_cmp_eq_u32_sdwa s[0:1], v28, v17 src0_sel:WORD_0 src1_sel:DWORD
	s_nop 1
	v_cndmask_b32_e64 v4, v4, v28, s[0:1]
; %bb.107:                              ;   in Loop: Header=BB132_52 Depth=1
	s_or_b64 exec, exec, s[20:21]
	v_and_b32_e32 v28, 0xffff0000, v21
	v_lshlrev_b32_e32 v21, 16, v29
	v_mul_f32_e32 v29, v28, v21
	v_and_b32_e32 v21, 0x7f800000, v29
	v_cmp_ne_u32_e64 s[0:1], s26, v21
                                        ; implicit-def: $vgpr21
	s_and_saveexec_b64 s[20:21], s[0:1]
	s_xor_b64 s[0:1], exec, s[20:21]
; %bb.108:                              ;   in Loop: Header=BB132_52 Depth=1
	v_bfe_u32 v21, v29, 16, 1
	v_add3_u32 v21, v29, v21, s27
                                        ; implicit-def: $vgpr29
; %bb.109:                              ;   in Loop: Header=BB132_52 Depth=1
	s_andn2_saveexec_b64 s[20:21], s[0:1]
; %bb.110:                              ;   in Loop: Header=BB132_52 Depth=1
	v_or_b32_e32 v21, 0x10000, v29
	v_cmp_eq_u32_sdwa s[0:1], v29, v17 src0_sel:WORD_0 src1_sel:DWORD
	s_nop 1
	v_cndmask_b32_e64 v21, v21, v29, s[0:1]
; %bb.111:                              ;   in Loop: Header=BB132_52 Depth=1
	s_or_b64 exec, exec, s[20:21]
	v_and_b32_e32 v29, 0xffff0000, v9
	v_lshlrev_b32_e32 v5, 16, v5
	v_mul_f32_e32 v9, v29, v5
	v_and_b32_e32 v5, 0x7f800000, v9
	v_cmp_ne_u32_e64 s[0:1], s26, v5
                                        ; implicit-def: $vgpr5
	s_and_saveexec_b64 s[20:21], s[0:1]
	s_xor_b64 s[0:1], exec, s[20:21]
; %bb.112:                              ;   in Loop: Header=BB132_52 Depth=1
	v_bfe_u32 v5, v9, 16, 1
	v_add3_u32 v5, v9, v5, s27
                                        ; implicit-def: $vgpr9
; %bb.113:                              ;   in Loop: Header=BB132_52 Depth=1
	s_andn2_saveexec_b64 s[20:21], s[0:1]
; %bb.114:                              ;   in Loop: Header=BB132_52 Depth=1
	v_or_b32_e32 v5, 0x10000, v9
	v_cmp_eq_u32_sdwa s[0:1], v9, v17 src0_sel:WORD_0 src1_sel:DWORD
	s_nop 1
	v_cndmask_b32_e64 v5, v5, v9, s[0:1]
; %bb.115:                              ;   in Loop: Header=BB132_52 Depth=1
	s_or_b64 exec, exec, s[20:21]
	v_and_b32_e32 v30, 0xffff0000, v8
	v_lshlrev_b32_e32 v8, 16, v31
	v_mul_f32_e32 v8, v30, v8
	v_and_b32_e32 v9, 0x7f800000, v8
	v_cmp_ne_u32_e64 s[0:1], s26, v9
                                        ; implicit-def: $vgpr9
	s_and_saveexec_b64 s[20:21], s[0:1]
	s_xor_b64 s[0:1], exec, s[20:21]
; %bb.116:                              ;   in Loop: Header=BB132_52 Depth=1
	v_bfe_u32 v9, v8, 16, 1
	v_add3_u32 v9, v8, v9, s27
                                        ; implicit-def: $vgpr8
; %bb.117:                              ;   in Loop: Header=BB132_52 Depth=1
	s_andn2_saveexec_b64 s[20:21], s[0:1]
; %bb.118:                              ;   in Loop: Header=BB132_52 Depth=1
	v_or_b32_e32 v9, 0x10000, v8
	v_cmp_eq_u32_sdwa s[0:1], v8, v17 src0_sel:WORD_0 src1_sel:DWORD
	s_nop 1
	v_cndmask_b32_e64 v9, v9, v8, s[0:1]
; %bb.119:                              ;   in Loop: Header=BB132_52 Depth=1
	s_or_b64 exec, exec, s[20:21]
	v_and_b32_e32 v33, 0xffff0000, v33
	v_and_b32_e32 v32, 0xffff0000, v32
	;; [unrolled: 1-line block ×4, first 2 shown]
	v_pk_add_f32 v[2:3], v[2:3], v[32:33]
	v_and_b32_e32 v9, 0xffff0000, v9
	v_and_b32_e32 v8, 0xffff0000, v21
	;; [unrolled: 1-line block ×4, first 2 shown]
	v_mov_b32_e32 v32, v3
	v_pk_add_f32 v[2:3], v[2:3], v[32:33]
	v_pk_add_f32 v[4:5], v[4:5], v[8:9]
	s_nop 0
	v_pk_add_f32 v[2:3], v[2:3], v[4:5]
	v_mov_b32_e32 v4, v5
	v_pk_add_f32 v[2:3], v[2:3], v[4:5]
	s_nop 0
	v_pk_add_f32 v[8:9], v[14:15], v[2:3]
	s_and_saveexec_b64 s[20:21], vcc
	s_cbranch_execz .LBB132_50
; %bb.120:                              ;   in Loop: Header=BB132_52 Depth=1
	v_mov_b32_e32 v21, v17
	v_lshl_add_u64 v[2:3], v[6:7], 0, v[20:21]
	global_load_dwordx4 v[2:5], v[2:3], off
	s_waitcnt vmcnt(0)
	v_lshrrev_b32_e32 v7, 16, v2
	v_lshrrev_b32_e32 v21, 16, v3
	;; [unrolled: 1-line block ×4, first 2 shown]
	s_and_saveexec_b64 s[22:23], s[2:3]
	s_cbranch_execz .LBB132_122
; %bb.121:                              ;   in Loop: Header=BB132_52 Depth=1
	v_cmp_gt_i32_e64 s[0:1], s31, v1
	v_add_u32_e32 v31, 1, v1
	s_nop 0
	v_cndmask_b32_e64 v2, 0, v2, s[0:1]
	v_cmp_gt_i32_e64 s[0:1], s31, v31
	v_add_u32_e32 v31, 2, v1
	s_nop 0
	v_cndmask_b32_e64 v7, 0, v7, s[0:1]
	;; [unrolled: 4-line block ×7, first 2 shown]
	v_cmp_gt_i32_e64 s[0:1], s31, v31
	s_nop 1
	v_cndmask_b32_e64 v6, 0, v6, s[0:1]
.LBB132_122:                            ;   in Loop: Header=BB132_52 Depth=1
	s_or_b64 exec, exec, s[22:23]
	v_lshlrev_b32_e32 v2, 16, v2
	v_mul_f32_e32 v23, v23, v2
	v_and_b32_e32 v2, 0x7f800000, v23
	v_cmp_ne_u32_e64 s[0:1], s26, v2
                                        ; implicit-def: $vgpr2
	s_and_saveexec_b64 s[2:3], s[0:1]
	s_xor_b64 s[0:1], exec, s[2:3]
; %bb.123:                              ;   in Loop: Header=BB132_52 Depth=1
	v_bfe_u32 v2, v23, 16, 1
	v_add3_u32 v2, v23, v2, s27
                                        ; implicit-def: $vgpr23
; %bb.124:                              ;   in Loop: Header=BB132_52 Depth=1
	s_andn2_saveexec_b64 s[2:3], s[0:1]
; %bb.125:                              ;   in Loop: Header=BB132_52 Depth=1
	v_or_b32_e32 v2, 0x10000, v23
	v_cmp_eq_u32_sdwa s[0:1], v23, v17 src0_sel:WORD_0 src1_sel:DWORD
	s_nop 1
	v_cndmask_b32_e64 v2, v2, v23, s[0:1]
; %bb.126:                              ;   in Loop: Header=BB132_52 Depth=1
	s_or_b64 exec, exec, s[2:3]
	v_lshlrev_b32_e32 v7, 16, v7
	v_mul_f32_e32 v23, v24, v7
	v_and_b32_e32 v7, 0x7f800000, v23
	v_cmp_ne_u32_e64 s[0:1], s26, v7
                                        ; implicit-def: $vgpr7
	s_and_saveexec_b64 s[2:3], s[0:1]
	s_xor_b64 s[0:1], exec, s[2:3]
; %bb.127:                              ;   in Loop: Header=BB132_52 Depth=1
	v_bfe_u32 v7, v23, 16, 1
	v_add3_u32 v7, v23, v7, s27
                                        ; implicit-def: $vgpr23
; %bb.128:                              ;   in Loop: Header=BB132_52 Depth=1
	s_andn2_saveexec_b64 s[2:3], s[0:1]
; %bb.129:                              ;   in Loop: Header=BB132_52 Depth=1
	v_or_b32_e32 v7, 0x10000, v23
	v_cmp_eq_u32_sdwa s[0:1], v23, v17 src0_sel:WORD_0 src1_sel:DWORD
	s_nop 1
	v_cndmask_b32_e64 v7, v7, v23, s[0:1]
; %bb.130:                              ;   in Loop: Header=BB132_52 Depth=1
	s_or_b64 exec, exec, s[2:3]
	v_lshlrev_b32_e32 v3, 16, v3
	v_mul_f32_e32 v23, v25, v3
	v_and_b32_e32 v3, 0x7f800000, v23
	v_cmp_ne_u32_e64 s[0:1], s26, v3
                                        ; implicit-def: $vgpr3
	s_and_saveexec_b64 s[2:3], s[0:1]
	s_xor_b64 s[0:1], exec, s[2:3]
; %bb.131:                              ;   in Loop: Header=BB132_52 Depth=1
	v_bfe_u32 v3, v23, 16, 1
	v_add3_u32 v3, v23, v3, s27
                                        ; implicit-def: $vgpr23
; %bb.132:                              ;   in Loop: Header=BB132_52 Depth=1
	s_andn2_saveexec_b64 s[2:3], s[0:1]
; %bb.133:                              ;   in Loop: Header=BB132_52 Depth=1
	v_or_b32_e32 v3, 0x10000, v23
	v_cmp_eq_u32_sdwa s[0:1], v23, v17 src0_sel:WORD_0 src1_sel:DWORD
	s_nop 1
	v_cndmask_b32_e64 v3, v3, v23, s[0:1]
; %bb.134:                              ;   in Loop: Header=BB132_52 Depth=1
	s_or_b64 exec, exec, s[2:3]
	v_lshlrev_b32_e32 v21, 16, v21
	v_mul_f32_e32 v23, v26, v21
	v_and_b32_e32 v21, 0x7f800000, v23
	v_cmp_ne_u32_e64 s[0:1], s26, v21
                                        ; implicit-def: $vgpr21
	s_and_saveexec_b64 s[2:3], s[0:1]
	s_xor_b64 s[0:1], exec, s[2:3]
; %bb.135:                              ;   in Loop: Header=BB132_52 Depth=1
	v_bfe_u32 v21, v23, 16, 1
	v_add3_u32 v21, v23, v21, s27
                                        ; implicit-def: $vgpr23
; %bb.136:                              ;   in Loop: Header=BB132_52 Depth=1
	s_andn2_saveexec_b64 s[2:3], s[0:1]
; %bb.137:                              ;   in Loop: Header=BB132_52 Depth=1
	v_or_b32_e32 v21, 0x10000, v23
	v_cmp_eq_u32_sdwa s[0:1], v23, v17 src0_sel:WORD_0 src1_sel:DWORD
	s_nop 1
	v_cndmask_b32_e64 v21, v21, v23, s[0:1]
; %bb.138:                              ;   in Loop: Header=BB132_52 Depth=1
	s_or_b64 exec, exec, s[2:3]
	v_lshlrev_b32_e32 v4, 16, v4
	v_mul_f32_e32 v23, v27, v4
	v_and_b32_e32 v4, 0x7f800000, v23
	v_cmp_ne_u32_e64 s[0:1], s26, v4
                                        ; implicit-def: $vgpr4
	s_and_saveexec_b64 s[2:3], s[0:1]
	s_xor_b64 s[0:1], exec, s[2:3]
; %bb.139:                              ;   in Loop: Header=BB132_52 Depth=1
	v_bfe_u32 v4, v23, 16, 1
	v_add3_u32 v4, v23, v4, s27
                                        ; implicit-def: $vgpr23
; %bb.140:                              ;   in Loop: Header=BB132_52 Depth=1
	s_andn2_saveexec_b64 s[2:3], s[0:1]
; %bb.141:                              ;   in Loop: Header=BB132_52 Depth=1
	v_or_b32_e32 v4, 0x10000, v23
	v_cmp_eq_u32_sdwa s[0:1], v23, v17 src0_sel:WORD_0 src1_sel:DWORD
	s_nop 1
	v_cndmask_b32_e64 v4, v4, v23, s[0:1]
; %bb.142:                              ;   in Loop: Header=BB132_52 Depth=1
	s_or_b64 exec, exec, s[2:3]
	v_lshlrev_b32_e32 v9, 16, v9
	v_mul_f32_e32 v23, v28, v9
	v_and_b32_e32 v9, 0x7f800000, v23
	v_cmp_ne_u32_e64 s[0:1], s26, v9
                                        ; implicit-def: $vgpr9
	s_and_saveexec_b64 s[2:3], s[0:1]
	s_xor_b64 s[0:1], exec, s[2:3]
; %bb.143:                              ;   in Loop: Header=BB132_52 Depth=1
	v_bfe_u32 v9, v23, 16, 1
	v_add3_u32 v9, v23, v9, s27
                                        ; implicit-def: $vgpr23
; %bb.144:                              ;   in Loop: Header=BB132_52 Depth=1
	s_andn2_saveexec_b64 s[2:3], s[0:1]
; %bb.145:                              ;   in Loop: Header=BB132_52 Depth=1
	v_or_b32_e32 v9, 0x10000, v23
	v_cmp_eq_u32_sdwa s[0:1], v23, v17 src0_sel:WORD_0 src1_sel:DWORD
	s_nop 1
	v_cndmask_b32_e64 v9, v9, v23, s[0:1]
; %bb.146:                              ;   in Loop: Header=BB132_52 Depth=1
	s_or_b64 exec, exec, s[2:3]
	v_lshlrev_b32_e32 v5, 16, v5
	v_mul_f32_e32 v23, v29, v5
	v_and_b32_e32 v5, 0x7f800000, v23
	v_cmp_ne_u32_e64 s[0:1], s26, v5
                                        ; implicit-def: $vgpr5
	s_and_saveexec_b64 s[2:3], s[0:1]
	s_xor_b64 s[0:1], exec, s[2:3]
; %bb.147:                              ;   in Loop: Header=BB132_52 Depth=1
	v_bfe_u32 v5, v23, 16, 1
	v_add3_u32 v5, v23, v5, s27
                                        ; implicit-def: $vgpr23
; %bb.148:                              ;   in Loop: Header=BB132_52 Depth=1
	s_andn2_saveexec_b64 s[2:3], s[0:1]
; %bb.149:                              ;   in Loop: Header=BB132_52 Depth=1
	v_or_b32_e32 v5, 0x10000, v23
	v_cmp_eq_u32_sdwa s[0:1], v23, v17 src0_sel:WORD_0 src1_sel:DWORD
	s_nop 1
	v_cndmask_b32_e64 v5, v5, v23, s[0:1]
; %bb.150:                              ;   in Loop: Header=BB132_52 Depth=1
	s_or_b64 exec, exec, s[2:3]
	v_lshlrev_b32_e32 v6, 16, v6
	v_mul_f32_e32 v6, v30, v6
	v_and_b32_e32 v23, 0x7f800000, v6
	v_cmp_ne_u32_e64 s[0:1], s26, v23
                                        ; implicit-def: $vgpr23
	s_and_saveexec_b64 s[2:3], s[0:1]
	s_xor_b64 s[0:1], exec, s[2:3]
; %bb.151:                              ;   in Loop: Header=BB132_52 Depth=1
	v_bfe_u32 v23, v6, 16, 1
	v_add3_u32 v23, v6, v23, s27
                                        ; implicit-def: $vgpr6
; %bb.152:                              ;   in Loop: Header=BB132_52 Depth=1
	s_andn2_saveexec_b64 s[2:3], s[0:1]
	s_cbranch_execz .LBB132_49
; %bb.153:                              ;   in Loop: Header=BB132_52 Depth=1
	v_or_b32_e32 v23, 0x10000, v6
	v_cmp_eq_u32_sdwa s[0:1], v6, v17 src0_sel:WORD_0 src1_sel:DWORD
	s_nop 1
	v_cndmask_b32_e64 v23, v23, v6, s[0:1]
	s_branch .LBB132_49
.LBB132_154:
	s_or_b64 exec, exec, s[16:17]
.LBB132_155:
	s_or_b64 exec, exec, s[12:13]
	v_and_b32_e32 v1, 0x3c0, v0
	v_cmp_eq_u32_e32 vcc, 64, v1
	s_barrier
	s_and_saveexec_b64 s[0:1], vcc
	s_cbranch_execz .LBB132_158
; %bb.156:
	v_mov_b32_e32 v1, 0xd0
	v_lshl_add_u32 v2, v11, 2, v1
	ds_write_b32 v2, v14
	s_and_b64 exec, exec, s[10:11]
	s_cbranch_execz .LBB132_158
; %bb.157:
	v_lshl_add_u32 v1, v0, 2, v1
	ds_write_b32 v1, v15
.LBB132_158:
	s_or_b64 exec, exec, s[0:1]
	v_cmp_gt_u32_e32 vcc, 64, v0
	v_or_b32_e32 v1, 64, v0
	s_waitcnt lgkmcnt(0)
	s_barrier
	s_and_saveexec_b64 s[2:3], vcc
	s_cbranch_execz .LBB132_162
; %bb.159:
	v_mov_b32_e32 v2, 0xd0
	v_lshl_add_u32 v2, v0, 2, v2
	ds_read_b32 v0, v2
	s_movk_i32 s0, 0x60
	v_cmp_gt_u32_e64 s[0:1], s0, v1
	s_and_saveexec_b64 s[6:7], s[0:1]
	s_cbranch_execz .LBB132_161
; %bb.160:
	ds_read_b32 v2, v2 offset:256
	s_waitcnt lgkmcnt(0)
	v_add_f32_e32 v15, v15, v2
.LBB132_161:
	s_or_b64 exec, exec, s[6:7]
	s_waitcnt lgkmcnt(0)
	v_add_f32_e32 v14, v14, v0
.LBB132_162:
	s_or_b64 exec, exec, s[2:3]
	s_barrier
	s_and_saveexec_b64 s[0:1], vcc
	s_cbranch_execz .LBB132_173
; %bb.163:
	s_mov_b32 s0, 0x7f800000
	v_and_b32_e32 v0, 0x7f800000, v14
	v_cmp_ne_u32_e32 vcc, s0, v0
                                        ; implicit-def: $vgpr0
	s_and_saveexec_b64 s[0:1], vcc
	s_xor_b64 s[0:1], exec, s[0:1]
; %bb.164:
	v_bfe_u32 v0, v14, 16, 1
	s_movk_i32 s2, 0x7fff
	v_add3_u32 v0, v14, v0, s2
; %bb.165:
	s_andn2_saveexec_b64 s[0:1], s[0:1]
; %bb.166:
	v_mov_b32_e32 v0, 0
	v_or_b32_e32 v2, 0x10000, v14
	v_cmp_eq_u32_sdwa vcc, v14, v0 src0_sel:WORD_0 src1_sel:DWORD
	s_nop 1
	v_cndmask_b32_e32 v0, v2, v14, vcc
; %bb.167:
	s_or_b64 exec, exec, s[0:1]
	s_mul_i32 s0, s8, 0x60
	s_ashr_i32 s1, s0, 31
	s_lshl_b64 s[0:1], s[0:1], 1
	s_add_u32 s3, s28, s0
	s_mul_i32 s0, s15, s14
	s_addc_u32 s5, s29, s1
	s_ashr_i32 s1, s0, 31
	s_lshl_b64 s[0:1], s[0:1], 1
	s_add_u32 s3, s3, s0
	s_mul_i32 s0, s4, 0x60
	s_addc_u32 s5, s5, s1
	s_ashr_i32 s1, s0, 31
	s_lshl_b64 s[0:1], s[0:1], 1
	s_movk_i32 s2, 0x60
	s_add_u32 s0, s3, s0
	s_addc_u32 s1, s5, s1
	v_cmp_gt_u32_e32 vcc, s2, v1
	global_store_short_d16_hi v10, v0, s[0:1]
	s_and_b64 exec, exec, vcc
	s_cbranch_execz .LBB132_173
; %bb.168:
	s_mov_b32 s2, 0x7f800000
	v_and_b32_e32 v0, 0x7f800000, v15
	v_mov_b32_e32 v11, 0
	v_cmp_ne_u32_e32 vcc, s2, v0
                                        ; implicit-def: $vgpr2
	s_and_saveexec_b64 s[2:3], vcc
	s_xor_b64 s[2:3], exec, s[2:3]
; %bb.169:
	v_bfe_u32 v0, v15, 16, 1
	s_movk_i32 s4, 0x7fff
	v_add3_u32 v2, v15, v0, s4
                                        ; implicit-def: $vgpr15
; %bb.170:
	s_or_saveexec_b64 s[2:3], s[2:3]
	v_lshl_add_u64 v[0:1], s[0:1], 0, v[10:11]
	s_xor_b64 exec, exec, s[2:3]
; %bb.171:
	v_mov_b32_e32 v2, 0
	v_or_b32_e32 v3, 0x10000, v15
	v_cmp_eq_u32_sdwa vcc, v15, v2 src0_sel:WORD_0 src1_sel:DWORD
	s_nop 1
	v_cndmask_b32_e32 v2, v3, v15, vcc
; %bb.172:
	s_or_b64 exec, exec, s[2:3]
	global_store_short_d16_hi v[0:1], v2, off offset:128
.LBB132_173:
	s_endpgm
	.section	.rodata,"a",@progbits
	.p2align	6, 0x0
	.amdhsa_kernel _ZN4vllm25paged_attention_v2_kernelI14__hip_bfloat16S1_Li96ELi8ELi128ELNS_18Fp8KVCacheDataTypeE0ELb1ELi512EEEvPfS3_PT_PKS4_PKT0_SA_ifPKiSC_iPKfiiiSE_SE_iiiii
		.amdhsa_group_segment_fixed_size 208
		.amdhsa_private_segment_fixed_size 0
		.amdhsa_kernarg_size 400
		.amdhsa_user_sgpr_count 2
		.amdhsa_user_sgpr_dispatch_ptr 0
		.amdhsa_user_sgpr_queue_ptr 0
		.amdhsa_user_sgpr_kernarg_segment_ptr 1
		.amdhsa_user_sgpr_dispatch_id 0
		.amdhsa_user_sgpr_kernarg_preload_length 0
		.amdhsa_user_sgpr_kernarg_preload_offset 0
		.amdhsa_user_sgpr_private_segment_size 0
		.amdhsa_uses_dynamic_stack 0
		.amdhsa_enable_private_segment 0
		.amdhsa_system_sgpr_workgroup_id_x 1
		.amdhsa_system_sgpr_workgroup_id_y 1
		.amdhsa_system_sgpr_workgroup_id_z 1
		.amdhsa_system_sgpr_workgroup_info 0
		.amdhsa_system_vgpr_workitem_id 0
		.amdhsa_next_free_vgpr 50
		.amdhsa_next_free_sgpr 54
		.amdhsa_accum_offset 52
		.amdhsa_reserve_vcc 1
		.amdhsa_float_round_mode_32 0
		.amdhsa_float_round_mode_16_64 0
		.amdhsa_float_denorm_mode_32 3
		.amdhsa_float_denorm_mode_16_64 3
		.amdhsa_dx10_clamp 1
		.amdhsa_ieee_mode 1
		.amdhsa_fp16_overflow 0
		.amdhsa_tg_split 0
		.amdhsa_exception_fp_ieee_invalid_op 0
		.amdhsa_exception_fp_denorm_src 0
		.amdhsa_exception_fp_ieee_div_zero 0
		.amdhsa_exception_fp_ieee_overflow 0
		.amdhsa_exception_fp_ieee_underflow 0
		.amdhsa_exception_fp_ieee_inexact 0
		.amdhsa_exception_int_div_zero 0
	.end_amdhsa_kernel
	.section	.text._ZN4vllm25paged_attention_v2_kernelI14__hip_bfloat16S1_Li96ELi8ELi128ELNS_18Fp8KVCacheDataTypeE0ELb1ELi512EEEvPfS3_PT_PKS4_PKT0_SA_ifPKiSC_iPKfiiiSE_SE_iiiii,"axG",@progbits,_ZN4vllm25paged_attention_v2_kernelI14__hip_bfloat16S1_Li96ELi8ELi128ELNS_18Fp8KVCacheDataTypeE0ELb1ELi512EEEvPfS3_PT_PKS4_PKT0_SA_ifPKiSC_iPKfiiiSE_SE_iiiii,comdat
.Lfunc_end132:
	.size	_ZN4vllm25paged_attention_v2_kernelI14__hip_bfloat16S1_Li96ELi8ELi128ELNS_18Fp8KVCacheDataTypeE0ELb1ELi512EEEvPfS3_PT_PKS4_PKT0_SA_ifPKiSC_iPKfiiiSE_SE_iiiii, .Lfunc_end132-_ZN4vllm25paged_attention_v2_kernelI14__hip_bfloat16S1_Li96ELi8ELi128ELNS_18Fp8KVCacheDataTypeE0ELb1ELi512EEEvPfS3_PT_PKS4_PKT0_SA_ifPKiSC_iPKfiiiSE_SE_iiiii
                                        ; -- End function
	.section	.AMDGPU.csdata,"",@progbits
; Kernel info:
; codeLenInByte = 7192
; NumSgprs: 60
; NumVgprs: 50
; NumAgprs: 0
; TotalNumVgprs: 50
; ScratchSize: 0
; MemoryBound: 0
; FloatMode: 240
; IeeeMode: 1
; LDSByteSize: 208 bytes/workgroup (compile time only)
; SGPRBlocks: 7
; VGPRBlocks: 6
; NumSGPRsForWavesPerEU: 60
; NumVGPRsForWavesPerEU: 50
; AccumOffset: 52
; Occupancy: 8
; WaveLimiterHint : 1
; COMPUTE_PGM_RSRC2:SCRATCH_EN: 0
; COMPUTE_PGM_RSRC2:USER_SGPR: 2
; COMPUTE_PGM_RSRC2:TRAP_HANDLER: 0
; COMPUTE_PGM_RSRC2:TGID_X_EN: 1
; COMPUTE_PGM_RSRC2:TGID_Y_EN: 1
; COMPUTE_PGM_RSRC2:TGID_Z_EN: 1
; COMPUTE_PGM_RSRC2:TIDIG_COMP_CNT: 0
; COMPUTE_PGM_RSRC3_GFX90A:ACCUM_OFFSET: 12
; COMPUTE_PGM_RSRC3_GFX90A:TG_SPLIT: 0
	.section	.text._ZN4vllm32paged_attention_v2_reduce_kernelI14__hip_bfloat16Li96ELi128ELi512EEEvPT_PKfS5_PKS2_PKii,"axG",@progbits,_ZN4vllm32paged_attention_v2_reduce_kernelI14__hip_bfloat16Li96ELi128ELi512EEEvPT_PKfS5_PKS2_PKii,comdat
	.protected	_ZN4vllm32paged_attention_v2_reduce_kernelI14__hip_bfloat16Li96ELi128ELi512EEEvPT_PKfS5_PKS2_PKii ; -- Begin function _ZN4vllm32paged_attention_v2_reduce_kernelI14__hip_bfloat16Li96ELi128ELi512EEEvPT_PKfS5_PKS2_PKii
	.globl	_ZN4vllm32paged_attention_v2_reduce_kernelI14__hip_bfloat16Li96ELi128ELi512EEEvPT_PKfS5_PKS2_PKii
	.p2align	8
	.type	_ZN4vllm32paged_attention_v2_reduce_kernelI14__hip_bfloat16Li96ELi128ELi512EEEvPT_PKfS5_PKS2_PKii,@function
_ZN4vllm32paged_attention_v2_reduce_kernelI14__hip_bfloat16Li96ELi128ELi512EEEvPT_PKfS5_PKS2_PKii: ; @_ZN4vllm32paged_attention_v2_reduce_kernelI14__hip_bfloat16Li96ELi128ELi512EEEvPT_PKfS5_PKS2_PKii
; %bb.0:
	s_load_dwordx4 s[8:11], s[0:1], 0x18
	s_add_u32 s6, s0, 48
	s_mov_b32 s12, s3
	s_addc_u32 s7, s1, 0
	s_ashr_i32 s13, s3, 31
	s_lshl_b64 s[4:5], s[12:13], 2
	s_waitcnt lgkmcnt(0)
	s_add_u32 s4, s10, s4
	s_addc_u32 s5, s11, s5
	s_load_dword s26, s[4:5], 0x0
	s_load_dwordx2 s[10:11], s[0:1], 0x0
	s_load_dword s13, s[0:1], 0x28
	s_load_dword s3, s[0:1], 0x30
	s_waitcnt lgkmcnt(0)
	s_add_i32 s4, s26, -1
	s_cmpk_gt_u32 s4, 0x1ff
	s_mov_b64 s[4:5], -1
	s_cbranch_scc0 .LBB133_29
; %bb.1:
	s_add_i32 s4, s26, 0x1ff
	s_load_dwordx2 s[18:19], s[0:1], 0x8
	s_ashr_i32 s5, s4, 31
	s_lshr_b32 s5, s5, 23
	s_add_i32 s4, s4, s5
	s_mul_i32 s24, s3, s12
	s_ashr_i32 s25, s4, 9
	s_mul_i32 s14, s24, s13
	s_mul_i32 s16, s2, s13
	s_ashr_i32 s15, s14, 31
	s_ashr_i32 s17, s16, 31
	v_cmp_gt_i32_e32 vcc, s25, v0
	v_mov_b32_e32 v6, 0xff7fffff
	v_lshlrev_b32_e32 v2, 2, v0
	s_and_saveexec_b64 s[4:5], vcc
	s_cbranch_execz .LBB133_5
; %bb.2:
	s_load_dword s20, s[6:7], 0xc
	s_load_dwordx2 s[22:23], s[0:1], 0x10
	s_lshl_b64 s[0:1], s[14:15], 2
	s_lshl_b64 s[28:29], s[16:17], 2
	v_mov_b32_e32 v3, 0
	s_waitcnt lgkmcnt(0)
	s_and_b32 s27, s20, 0xffff
	s_add_u32 s0, s0, s28
	s_addc_u32 s1, s1, s29
	s_add_u32 s0, s22, s0
	s_addc_u32 s1, s23, s1
	s_mov_b32 s21, 0
	v_lshl_add_u64 v[4:5], s[0:1], 0, v[2:3]
	s_lshl_b32 s20, s27, 2
	v_add_u32_e32 v1, 16, v2
	s_mov_b64 s[22:23], 0
	v_mov_b32_e32 v6, 0xff7fffff
	v_mov_b32_e32 v3, v0
.LBB133_3:                              ; =>This Inner Loop Header: Depth=1
	global_load_dword v7, v[4:5], off
	v_add_u32_e32 v3, s27, v3
	v_max_f32_e32 v6, v6, v6
	v_cmp_le_i32_e64 s[0:1], s25, v3
	v_lshl_add_u64 v[4:5], v[4:5], 0, s[20:21]
	s_or_b64 s[22:23], s[0:1], s[22:23]
	s_waitcnt vmcnt(0)
	ds_write_b32 v1, v7
	v_max_f32_e32 v7, v7, v7
	v_add_u32_e32 v1, s20, v1
	v_max_f32_e32 v6, v6, v7
	s_andn2_b64 exec, exec, s[22:23]
	s_cbranch_execnz .LBB133_3
; %bb.4:
	s_or_b64 exec, exec, s[22:23]
.LBB133_5:
	s_or_b64 exec, exec, s[4:5]
	v_mbcnt_lo_u32_b32 v1, -1, 0
	v_mbcnt_hi_u32_b32 v3, -1, v1
	v_and_b32_e32 v1, 64, v3
	v_add_u32_e32 v7, 64, v1
	v_xor_b32_e32 v1, 32, v3
	v_cmp_lt_i32_e64 s[0:1], v1, v7
	v_max_f32_e32 v5, v6, v6
	v_xor_b32_e32 v8, 8, v3
	v_cndmask_b32_e64 v1, v3, v1, s[0:1]
	v_lshlrev_b32_e32 v1, 2, v1
	ds_bpermute_b32 v4, v1, v6
	v_xor_b32_e32 v6, 16, v3
	v_cmp_lt_i32_e64 s[0:1], v6, v7
	v_xor_b32_e32 v9, 4, v3
	v_xor_b32_e32 v10, 2, v3
	s_waitcnt lgkmcnt(0)
	v_max_f32_e32 v4, v4, v4
	v_max_f32_e32 v4, v5, v4
	v_cndmask_b32_e64 v5, v3, v6, s[0:1]
	v_lshlrev_b32_e32 v6, 2, v5
	ds_bpermute_b32 v5, v6, v4
	v_cmp_lt_i32_e64 s[0:1], v8, v7
	v_lshrrev_b32_e32 v13, 6, v0
	s_waitcnt lgkmcnt(0)
	s_barrier
	v_max_f32_e32 v5, v5, v5
	v_max_f32_e32 v4, v4, v5
	v_cndmask_b32_e64 v5, v3, v8, s[0:1]
	v_lshlrev_b32_e32 v8, 2, v5
	ds_bpermute_b32 v5, v8, v4
	v_cmp_lt_i32_e64 s[0:1], v9, v7
	s_waitcnt lgkmcnt(0)
	v_max_f32_e32 v5, v5, v5
	v_max_f32_e32 v4, v4, v5
	v_cndmask_b32_e64 v5, v3, v9, s[0:1]
	v_lshlrev_b32_e32 v9, 2, v5
	ds_bpermute_b32 v5, v9, v4
	v_cmp_lt_i32_e64 s[0:1], v10, v7
	s_waitcnt lgkmcnt(0)
	v_max_f32_e32 v5, v5, v5
	v_max_f32_e32 v5, v4, v5
	v_cndmask_b32_e64 v4, v3, v10, s[0:1]
	v_lshlrev_b32_e32 v10, 2, v4
	ds_bpermute_b32 v11, v10, v5
	v_and_b32_e32 v4, 63, v0
	s_waitcnt lgkmcnt(0)
	v_max_f32_e32 v11, v11, v11
	v_max_f32_e32 v5, v5, v11
	v_xor_b32_e32 v11, 1, v3
	v_cmp_lt_i32_e64 s[0:1], v11, v7
	s_nop 1
	v_cndmask_b32_e64 v7, v3, v11, s[0:1]
	v_lshlrev_b32_e32 v7, 2, v7
	ds_bpermute_b32 v12, v7, v5
	v_cmp_eq_u32_e64 s[0:1], 0, v4
	v_lshlrev_b32_e32 v11, 2, v13
	s_and_saveexec_b64 s[4:5], s[0:1]
	s_cbranch_execz .LBB133_7
; %bb.6:
	s_waitcnt lgkmcnt(0)
	v_max_f32_e32 v12, v12, v12
	v_max_f32_e32 v5, v5, v5
	;; [unrolled: 1-line block ×3, first 2 shown]
	ds_write_b32 v11, v5
.LBB133_7:
	s_or_b64 exec, exec, s[4:5]
	v_cmp_gt_u32_e64 s[4:5], 2, v4
	v_mov_b32_e32 v5, 0xff7fffff
	s_waitcnt lgkmcnt(0)
	v_lshlrev_b32_e32 v12, 2, v4
	s_barrier
	s_and_saveexec_b64 s[20:21], s[4:5]
	s_cbranch_execz .LBB133_9
; %bb.8:
	ds_read_b32 v5, v12
.LBB133_9:
	s_or_b64 exec, exec, s[20:21]
	s_waitcnt lgkmcnt(0)
	ds_bpermute_b32 v4, v7, v5
	v_max_f32_e32 v5, v5, v5
	v_lshlrev_b32_e32 v3, 2, v3
	v_and_b32_e32 v13, 0x100, v3
	s_lshl_b32 s27, s25, 2
	s_waitcnt lgkmcnt(0)
	v_max_f32_e32 v4, v4, v4
	v_max_f32_e32 v4, v5, v4
	ds_bpermute_b32 v14, v13, v4
	v_mov_b32_e32 v3, 0
	s_and_saveexec_b64 s[20:21], vcc
	s_cbranch_execz .LBB133_13
; %bb.10:
	s_load_dword s22, s[6:7], 0xc
	s_lshl_b64 s[28:29], s[14:15], 2
	s_lshl_b64 s[30:31], s[16:17], 2
	v_mov_b32_e32 v3, 0
	s_mov_b32 s23, 0
	s_waitcnt lgkmcnt(0)
	s_and_b32 s15, s22, 0xffff
	s_add_u32 s17, s28, s30
	s_addc_u32 s22, s29, s31
	s_add_u32 s18, s18, s17
	s_addc_u32 s19, s19, s22
	v_lshl_add_u64 v[4:5], s[18:19], 0, v[2:3]
	s_lshl_b32 s22, s15, 2
	v_add_u32_e32 v2, 16, v2
	s_mov_b64 s[18:19], 0
	s_mov_b32 s17, 0x3fb8aa3b
	s_mov_b32 s28, 0xc2ce8ed0
	;; [unrolled: 1-line block ×3, first 2 shown]
	v_mov_b32_e32 v15, 0x7f800000
	v_mov_b32_e32 v16, v0
.LBB133_11:                             ; =>This Inner Loop Header: Depth=1
	global_load_dword v17, v[4:5], off
	ds_read_b32 v18, v2
	v_add_u32_e32 v16, s15, v16
	v_cmp_le_i32_e32 vcc, s25, v16
	s_or_b64 s[18:19], vcc, s[18:19]
	v_add_u32_e32 v19, s27, v2
	s_waitcnt lgkmcnt(0)
	v_sub_f32_e32 v18, v18, v14
	v_mul_f32_e32 v20, 0x3fb8aa3b, v18
	v_fma_f32 v21, v18, s17, -v20
	v_rndne_f32_e32 v22, v20
	v_fmac_f32_e32 v21, 0x32a5705f, v18
	v_sub_f32_e32 v20, v20, v22
	v_add_f32_e32 v20, v20, v21
	v_cvt_i32_f32_e32 v22, v22
	v_exp_f32_e32 v20, v20
	v_cmp_ngt_f32_e32 vcc, s28, v18
	v_lshl_add_u64 v[4:5], v[4:5], 0, s[22:23]
	v_add_u32_e32 v2, s22, v2
	v_ldexp_f32 v20, v20, v22
	v_cndmask_b32_e32 v20, 0, v20, vcc
	v_cmp_nlt_f32_e32 vcc, s29, v18
	s_nop 1
	v_cndmask_b32_e32 v18, v15, v20, vcc
	s_waitcnt vmcnt(0)
	v_mul_f32_e32 v20, v17, v18
	v_fmac_f32_e32 v3, v17, v18
	ds_write_b32 v19, v20
	s_andn2_b64 exec, exec, s[18:19]
	s_cbranch_execnz .LBB133_11
; %bb.12:
	s_or_b64 exec, exec, s[18:19]
.LBB133_13:
	s_or_b64 exec, exec, s[20:21]
	ds_bpermute_b32 v1, v1, v3
	s_waitcnt lgkmcnt(0)
	s_barrier
	v_add_f32_e32 v1, v3, v1
	ds_bpermute_b32 v2, v6, v1
	s_waitcnt lgkmcnt(0)
	v_add_f32_e32 v1, v1, v2
	ds_bpermute_b32 v2, v8, v1
	s_waitcnt lgkmcnt(0)
	;; [unrolled: 3-line block ×5, first 2 shown]
	v_add_f32_e32 v1, v1, v2
	s_and_saveexec_b64 s[18:19], s[0:1]
	s_cbranch_execz .LBB133_15
; %bb.14:
	ds_write_b32 v11, v1 offset:8
.LBB133_15:
	s_or_b64 exec, exec, s[18:19]
	s_waitcnt lgkmcnt(0)
	s_barrier
	s_and_saveexec_b64 s[0:1], s[4:5]
	s_cbranch_execz .LBB133_17
; %bb.16:
	ds_read_b32 v1, v12 offset:8
.LBB133_17:
	s_or_b64 exec, exec, s[0:1]
	s_waitcnt lgkmcnt(0)
	ds_bpermute_b32 v2, v7, v1
	s_movk_i32 s0, 0x60
	v_cmp_gt_u32_e32 vcc, s0, v0
	s_waitcnt lgkmcnt(0)
	v_add_f32_e32 v1, v1, v2
	ds_bpermute_b32 v2, v13, v1
	s_and_saveexec_b64 s[0:1], vcc
	s_cbranch_execz .LBB133_28
; %bb.18:
	s_cmp_gt_i32 s26, 0
	s_mov_b32 s15, 0
	s_cbranch_scc1 .LBB133_20
; %bb.19:
	v_mov_b32_e32 v1, 0
	v_mov_b32_e32 v4, s15
	s_cbranch_execz .LBB133_21
	s_branch .LBB133_23
.LBB133_20:
                                        ; implicit-def: $sgpr15
	v_mov_b32_e32 v4, s15
.LBB133_21:
	s_waitcnt lgkmcnt(0)
	v_add_f32_e32 v1, 0x358637bd, v2
	v_div_scale_f32 v2, s[4:5], v1, v1, 1.0
	v_rcp_f32_e32 v3, v2
	s_mul_i32 s4, s14, 0x60
	s_mulk_i32 s16, 0x60
	s_ashr_i32 s5, s4, 31
	v_fma_f32 v4, -v2, v3, 1.0
	v_fmac_f32_e32 v3, v4, v3
	v_div_scale_f32 v4, vcc, 1.0, v1, 1.0
	v_mul_f32_e32 v5, v4, v3
	v_fma_f32 v6, -v2, v5, v4
	s_ashr_i32 s17, s16, 31
	s_max_i32 s15, s25, 1
	v_fmac_f32_e32 v5, v6, v3
	s_add_i32 s14, s27, 16
	s_lshl_b64 s[4:5], s[4:5], 1
	s_lshl_b64 s[16:17], s[16:17], 1
	v_fma_f32 v2, -v2, v5, v4
	s_add_u32 s4, s4, s16
	v_div_fmas_f32 v2, v2, v3, v5
	s_addc_u32 s5, s5, s17
	v_div_fixup_f32 v5, v2, v1, 1.0
	v_mov_b32_e32 v1, 0
	s_add_u32 s4, s8, s4
	v_lshlrev_b32_e32 v2, 1, v0
	v_mov_b32_e32 v3, v1
	s_addc_u32 s5, s9, s5
	v_lshl_add_u64 v[2:3], s[4:5], 0, v[2:3]
	s_mov_b64 s[4:5], 0xc0
	v_mov_b32_e32 v4, v1
.LBB133_22:                             ; =>This Inner Loop Header: Depth=1
	global_load_ushort v6, v[2:3], off
	v_mov_b32_e32 v7, s14
	ds_read_b32 v7, v7
	s_add_i32 s15, s15, -1
	s_add_i32 s14, s14, 4
	v_lshl_add_u64 v[2:3], v[2:3], 0, s[4:5]
	s_cmp_eq_u32 s15, 0
	s_waitcnt vmcnt(0)
	v_lshlrev_b32_e32 v6, 16, v6
	s_waitcnt lgkmcnt(0)
	v_mul_f32_e32 v6, v7, v6
	v_fmac_f32_e32 v4, v5, v6
	s_cbranch_scc0 .LBB133_22
.LBB133_23:
	s_mov_b32 s4, 0x7f800000
	s_waitcnt lgkmcnt(0)
	v_and_b32_e32 v2, 0x7f800000, v4
	v_cmp_ne_u32_e32 vcc, s4, v2
                                        ; implicit-def: $vgpr2
	s_and_saveexec_b64 s[4:5], vcc
	s_xor_b64 s[4:5], exec, s[4:5]
; %bb.24:
	v_bfe_u32 v2, v4, 16, 1
	s_movk_i32 s14, 0x7fff
	v_add3_u32 v2, v4, v2, s14
                                        ; implicit-def: $vgpr4
; %bb.25:
	s_andn2_saveexec_b64 s[4:5], s[4:5]
; %bb.26:
	v_mov_b32_e32 v2, 0
	v_or_b32_e32 v3, 0x10000, v4
	v_cmp_eq_u32_sdwa vcc, v4, v2 src0_sel:WORD_0 src1_sel:DWORD
	s_nop 1
	v_cndmask_b32_e32 v2, v3, v4, vcc
; %bb.27:
	s_or_b64 exec, exec, s[4:5]
	s_mul_i32 s4, s24, 0x60
	s_ashr_i32 s5, s4, 31
	s_lshl_b64 s[4:5], s[4:5], 1
	s_add_u32 s14, s10, s4
	s_mul_i32 s4, s2, 0x60
	s_addc_u32 s15, s11, s5
	s_ashr_i32 s5, s4, 31
	s_lshl_b64 s[4:5], s[4:5], 1
	s_add_u32 s4, s14, s4
	s_addc_u32 s5, s15, s5
	v_lshl_add_u64 v[4:5], v[0:1], 1, s[4:5]
	global_store_short_d16_hi v[4:5], v2, off
.LBB133_28:
	s_or_b64 exec, exec, s[0:1]
	s_mov_b64 s[4:5], 0
.LBB133_29:
	s_and_b64 vcc, exec, s[4:5]
	s_cbranch_vccz .LBB133_38
; %bb.30:
	s_movk_i32 s0, 0x60
	v_cmp_gt_u32_e32 vcc, s0, v0
	s_and_saveexec_b64 s[4:5], vcc
	s_cbranch_execz .LBB133_38
; %bb.31:
	s_mul_i32 s1, s3, s12
	s_mul_i32 s4, s1, 0x60
	s_ashr_i32 s5, s4, 31
	s_lshl_b64 s[14:15], s[4:5], 1
	s_add_u32 s1, s10, s14
	s_mul_i32 s10, s2, 0x60
	s_addc_u32 s5, s11, s15
	s_ashr_i32 s11, s10, 31
	s_lshl_b64 s[2:3], s[10:11], 1
	s_add_u32 s2, s1, s2
	s_mul_i32 s4, s4, s13
	s_addc_u32 s3, s5, s3
	s_ashr_i32 s5, s4, 31
	s_lshl_b64 s[4:5], s[4:5], 1
	s_load_dword s6, s[6:7], 0xc
	s_add_u32 s1, s8, s4
	s_mul_i32 s4, s10, s13
	s_addc_u32 s8, s9, s5
	s_ashr_i32 s5, s4, 31
	s_lshl_b64 s[4:5], s[4:5], 1
	s_add_u32 s4, s1, s4
	s_addc_u32 s5, s8, s5
	s_waitcnt lgkmcnt(0)
	s_and_b32 s8, s6, 0xffff
	v_cvt_f32_u32_e32 v1, s8
	v_add_u32_e32 v2, s8, v0
	v_mov_b32_e32 v4, s8
	v_cmp_gt_u32_e32 vcc, s0, v2
	v_rcp_iflag_f32_e32 v1, v1
	s_cmp_eq_u32 s8, 1
	v_max_u32_e32 v3, 0x60, v2
	v_addc_co_u32_e64 v2, s[0:1], v0, v4, vcc
	v_mul_f32_e32 v1, 0x4f7ffffe, v1
	v_cvt_u32_f32_e32 v1, v1
	s_cselect_b64 s[6:7], -1, 0
	s_sub_i32 s0, 0, s8
	v_sub_u32_e32 v2, v3, v2
	v_mul_lo_u32 v3, s0, v1
	v_mul_hi_u32 v3, v1, v3
	v_add_u32_e32 v1, v1, v3
	v_mul_hi_u32 v1, v2, v1
	v_mul_lo_u32 v3, v1, s8
	v_sub_u32_e32 v2, v2, v3
	v_add_u32_e32 v3, 1, v1
	v_cmp_le_u32_e64 s[0:1], s8, v2
	s_nop 1
	v_cndmask_b32_e64 v1, v1, v3, s[0:1]
	v_subrev_u32_e32 v3, s8, v2
	v_cndmask_b32_e64 v2, v2, v3, s[0:1]
	v_add_u32_e32 v3, 1, v1
	v_cmp_le_u32_e64 s[0:1], s8, v2
	s_nop 1
	v_cndmask_b32_e64 v1, v1, v3, s[0:1]
	v_addc_co_u32_e32 v1, vcc, 1, v1, vcc
	v_cmp_lt_u32_e32 vcc, 31, v1
	s_and_b64 s[10:11], vcc, s[6:7]
	s_mov_b64 s[6:7], -1
	s_and_saveexec_b64 s[0:1], s[10:11]
	s_cbranch_execz .LBB133_35
; %bb.32:
	v_and_b32_e32 v4, 0xffffffe0, v1
	s_mov_b64 s[6:7], 0
	v_mov_b32_e32 v3, 0
	v_mov_b32_e32 v2, v0
	v_mov_b32_e32 v5, v4
.LBB133_33:                             ; =>This Inner Loop Header: Depth=1
	v_lshlrev_b64 v[22:23], 1, v[2:3]
	v_lshl_add_u64 v[24:25], s[4:5], 0, v[22:23]
	global_load_dwordx4 v[6:9], v[24:25], off
	global_load_dwordx4 v[10:13], v[24:25], off offset:16
	global_load_dwordx4 v[14:17], v[24:25], off offset:32
	;; [unrolled: 1-line block ×3, first 2 shown]
	v_subrev_u32_e32 v5, 32, v5
	v_cmp_eq_u32_e32 vcc, 0, v5
	v_add_u32_e32 v2, 32, v2
	v_lshl_add_u64 v[22:23], s[2:3], 0, v[22:23]
	s_or_b64 s[6:7], vcc, s[6:7]
	s_waitcnt vmcnt(3)
	global_store_dwordx4 v[22:23], v[6:9], off
	s_waitcnt vmcnt(3)
	global_store_dwordx4 v[22:23], v[10:13], off offset:16
	s_waitcnt vmcnt(3)
	global_store_dwordx4 v[22:23], v[14:17], off offset:32
	s_waitcnt vmcnt(3)
	global_store_dwordx4 v[22:23], v[18:21], off offset:48
	s_andn2_b64 exec, exec, s[6:7]
	s_cbranch_execnz .LBB133_33
; %bb.34:
	s_or_b64 exec, exec, s[6:7]
	v_cmp_ne_u32_e32 vcc, v1, v4
	v_add_u32_e32 v0, v0, v4
	s_orn2_b64 s[6:7], vcc, exec
.LBB133_35:
	s_or_b64 exec, exec, s[0:1]
	s_and_b64 exec, exec, s[6:7]
	s_cbranch_execz .LBB133_38
; %bb.36:
	v_mov_b32_e32 v1, 0
	s_mov_b32 s1, 0
	v_lshlrev_b64 v[2:3], 1, v[0:1]
	s_lshl_b32 s0, s8, 1
	s_mov_b64 s[6:7], 0
	s_movk_i32 s9, 0x5f
.LBB133_37:                             ; =>This Inner Loop Header: Depth=1
	v_lshl_add_u64 v[4:5], s[4:5], 0, v[2:3]
	global_load_ushort v1, v[4:5], off
	v_add_u32_e32 v0, s8, v0
	v_cmp_lt_u32_e32 vcc, s9, v0
	v_lshl_add_u64 v[4:5], s[2:3], 0, v[2:3]
	v_lshl_add_u64 v[2:3], v[2:3], 0, s[0:1]
	s_or_b64 s[6:7], vcc, s[6:7]
	s_waitcnt vmcnt(0)
	global_store_short v[4:5], v1, off
	s_andn2_b64 exec, exec, s[6:7]
	s_cbranch_execnz .LBB133_37
.LBB133_38:
	s_endpgm
	.section	.rodata,"a",@progbits
	.p2align	6, 0x0
	.amdhsa_kernel _ZN4vllm32paged_attention_v2_reduce_kernelI14__hip_bfloat16Li96ELi128ELi512EEEvPT_PKfS5_PKS2_PKii
		.amdhsa_group_segment_fixed_size 16
		.amdhsa_private_segment_fixed_size 0
		.amdhsa_kernarg_size 304
		.amdhsa_user_sgpr_count 2
		.amdhsa_user_sgpr_dispatch_ptr 0
		.amdhsa_user_sgpr_queue_ptr 0
		.amdhsa_user_sgpr_kernarg_segment_ptr 1
		.amdhsa_user_sgpr_dispatch_id 0
		.amdhsa_user_sgpr_kernarg_preload_length 0
		.amdhsa_user_sgpr_kernarg_preload_offset 0
		.amdhsa_user_sgpr_private_segment_size 0
		.amdhsa_uses_dynamic_stack 0
		.amdhsa_enable_private_segment 0
		.amdhsa_system_sgpr_workgroup_id_x 1
		.amdhsa_system_sgpr_workgroup_id_y 1
		.amdhsa_system_sgpr_workgroup_id_z 0
		.amdhsa_system_sgpr_workgroup_info 0
		.amdhsa_system_vgpr_workitem_id 0
		.amdhsa_next_free_vgpr 26
		.amdhsa_next_free_sgpr 32
		.amdhsa_accum_offset 28
		.amdhsa_reserve_vcc 1
		.amdhsa_float_round_mode_32 0
		.amdhsa_float_round_mode_16_64 0
		.amdhsa_float_denorm_mode_32 3
		.amdhsa_float_denorm_mode_16_64 3
		.amdhsa_dx10_clamp 1
		.amdhsa_ieee_mode 1
		.amdhsa_fp16_overflow 0
		.amdhsa_tg_split 0
		.amdhsa_exception_fp_ieee_invalid_op 0
		.amdhsa_exception_fp_denorm_src 0
		.amdhsa_exception_fp_ieee_div_zero 0
		.amdhsa_exception_fp_ieee_overflow 0
		.amdhsa_exception_fp_ieee_underflow 0
		.amdhsa_exception_fp_ieee_inexact 0
		.amdhsa_exception_int_div_zero 0
	.end_amdhsa_kernel
	.section	.text._ZN4vllm32paged_attention_v2_reduce_kernelI14__hip_bfloat16Li96ELi128ELi512EEEvPT_PKfS5_PKS2_PKii,"axG",@progbits,_ZN4vllm32paged_attention_v2_reduce_kernelI14__hip_bfloat16Li96ELi128ELi512EEEvPT_PKfS5_PKS2_PKii,comdat
.Lfunc_end133:
	.size	_ZN4vllm32paged_attention_v2_reduce_kernelI14__hip_bfloat16Li96ELi128ELi512EEEvPT_PKfS5_PKS2_PKii, .Lfunc_end133-_ZN4vllm32paged_attention_v2_reduce_kernelI14__hip_bfloat16Li96ELi128ELi512EEEvPT_PKfS5_PKS2_PKii
                                        ; -- End function
	.section	.AMDGPU.csdata,"",@progbits
; Kernel info:
; codeLenInByte = 2276
; NumSgprs: 38
; NumVgprs: 26
; NumAgprs: 0
; TotalNumVgprs: 26
; ScratchSize: 0
; MemoryBound: 0
; FloatMode: 240
; IeeeMode: 1
; LDSByteSize: 16 bytes/workgroup (compile time only)
; SGPRBlocks: 4
; VGPRBlocks: 3
; NumSGPRsForWavesPerEU: 38
; NumVGPRsForWavesPerEU: 26
; AccumOffset: 28
; Occupancy: 8
; WaveLimiterHint : 0
; COMPUTE_PGM_RSRC2:SCRATCH_EN: 0
; COMPUTE_PGM_RSRC2:USER_SGPR: 2
; COMPUTE_PGM_RSRC2:TRAP_HANDLER: 0
; COMPUTE_PGM_RSRC2:TGID_X_EN: 1
; COMPUTE_PGM_RSRC2:TGID_Y_EN: 1
; COMPUTE_PGM_RSRC2:TGID_Z_EN: 0
; COMPUTE_PGM_RSRC2:TIDIG_COMP_CNT: 0
; COMPUTE_PGM_RSRC3_GFX90A:ACCUM_OFFSET: 6
; COMPUTE_PGM_RSRC3_GFX90A:TG_SPLIT: 0
	.section	.text._ZN4vllm25paged_attention_v2_kernelI14__hip_bfloat16S1_Li112ELi8ELi128ELNS_18Fp8KVCacheDataTypeE0ELb1ELi512EEEvPfS3_PT_PKS4_PKT0_SA_ifPKiSC_iPKfiiiSE_SE_iiiii,"axG",@progbits,_ZN4vllm25paged_attention_v2_kernelI14__hip_bfloat16S1_Li112ELi8ELi128ELNS_18Fp8KVCacheDataTypeE0ELb1ELi512EEEvPfS3_PT_PKS4_PKT0_SA_ifPKiSC_iPKfiiiSE_SE_iiiii,comdat
	.protected	_ZN4vllm25paged_attention_v2_kernelI14__hip_bfloat16S1_Li112ELi8ELi128ELNS_18Fp8KVCacheDataTypeE0ELb1ELi512EEEvPfS3_PT_PKS4_PKT0_SA_ifPKiSC_iPKfiiiSE_SE_iiiii ; -- Begin function _ZN4vllm25paged_attention_v2_kernelI14__hip_bfloat16S1_Li112ELi8ELi128ELNS_18Fp8KVCacheDataTypeE0ELb1ELi512EEEvPfS3_PT_PKS4_PKT0_SA_ifPKiSC_iPKfiiiSE_SE_iiiii
	.globl	_ZN4vllm25paged_attention_v2_kernelI14__hip_bfloat16S1_Li112ELi8ELi128ELNS_18Fp8KVCacheDataTypeE0ELb1ELi512EEEvPfS3_PT_PKS4_PKT0_SA_ifPKiSC_iPKfiiiSE_SE_iiiii
	.p2align	8
	.type	_ZN4vllm25paged_attention_v2_kernelI14__hip_bfloat16S1_Li112ELi8ELi128ELNS_18Fp8KVCacheDataTypeE0ELb1ELi512EEEvPfS3_PT_PKS4_PKT0_SA_ifPKiSC_iPKfiiiSE_SE_iiiii,@function
_ZN4vllm25paged_attention_v2_kernelI14__hip_bfloat16S1_Li112ELi8ELi128ELNS_18Fp8KVCacheDataTypeE0ELb1ELi512EEEvPfS3_PT_PKS4_PKT0_SA_ifPKiSC_iPKfiiiSE_SE_iiiii: ; @_ZN4vllm25paged_attention_v2_kernelI14__hip_bfloat16S1_Li112ELi8ELi128ELNS_18Fp8KVCacheDataTypeE0ELb1ELi512EEEvPfS3_PT_PKS4_PKT0_SA_ifPKiSC_iPKfiiiSE_SE_iiiii
; %bb.0:
	s_load_dwordx2 s[6:7], s[0:1], 0x40
	s_mov_b32 s30, s3
	s_ashr_i32 s31, s3, 31
	s_lshl_b64 s[8:9], s[30:31], 2
	s_waitcnt lgkmcnt(0)
	s_add_u32 s6, s6, s8
	s_addc_u32 s7, s7, s9
	s_load_dword s31, s[6:7], 0x0
	s_lshl_b32 s52, s4, 9
	s_waitcnt lgkmcnt(0)
	s_cmp_ge_i32 s52, s31
	s_cbranch_scc1 .LBB134_173
; %bb.1:
	s_load_dword s5, s[0:1], 0x90
	s_load_dwordx2 s[40:41], s[0:1], 0x30
	s_mov_b32 s53, 0
	s_waitcnt lgkmcnt(0)
	s_abs_i32 s7, s5
	s_abs_i32 s3, s40
	v_cvt_f32_u32_e32 v1, s3
	s_sub_i32 s8, 0, s3
	s_xor_b32 s6, s5, s40
	s_ashr_i32 s6, s6, 31
	v_rcp_iflag_f32_e32 v1, v1
	s_nop 0
	v_mul_f32_e32 v1, 0x4f7ffffe, v1
	v_cvt_u32_f32_e32 v1, v1
	s_nop 0
	v_readfirstlane_b32 s9, v1
	s_mul_i32 s8, s8, s9
	s_mul_hi_u32 s8, s9, s8
	s_add_i32 s9, s9, s8
	s_mul_hi_u32 s8, s7, s9
	s_mul_i32 s9, s8, s3
	s_sub_i32 s7, s7, s9
	s_add_i32 s10, s8, 1
	s_sub_i32 s9, s7, s3
	s_cmp_ge_u32 s7, s3
	s_cselect_b32 s8, s10, s8
	s_cselect_b32 s7, s9, s7
	s_add_i32 s9, s8, 1
	s_cmp_ge_u32 s7, s3
	s_cselect_b32 s3, s9, s8
	s_xor_b32 s3, s3, s6
	s_sub_i32 s10, s3, s6
	s_abs_i32 s8, s10
	v_cvt_f32_u32_e32 v1, s8
	s_load_dwordx2 s[6:7], s[0:1], 0x50
	s_sub_i32 s3, 0, s8
	s_abs_i32 s9, s2
	v_rcp_iflag_f32_e32 v1, v1
	s_nop 0
	v_mul_f32_e32 v1, 0x4f7ffffe, v1
	v_cvt_u32_f32_e32 v1, v1
	s_nop 0
	v_readfirstlane_b32 s11, v1
	s_mul_i32 s3, s3, s11
	s_mul_hi_u32 s3, s11, s3
	s_add_i32 s11, s11, s3
	s_waitcnt lgkmcnt(0)
	s_cmp_eq_u64 s[6:7], 0
	s_mul_hi_u32 s12, s9, s11
	s_cbranch_scc1 .LBB134_3
; %bb.2:
	s_ashr_i32 s3, s2, 31
	s_lshl_b64 s[14:15], s[2:3], 2
	s_add_u32 s6, s6, s14
	s_addc_u32 s7, s7, s15
	s_load_dword s53, s[6:7], 0x0
.LBB134_3:
	s_load_dwordx4 s[16:19], s[0:1], 0x58
	s_movk_i32 s6, 0x70
	s_ashr_i32 s3, s2, 31
	s_ashr_i32 s13, s10, 31
	v_and_b32_e32 v4, 7, v0
	s_mul_i32 s14, s2, 0x70
	v_cmp_gt_u32_e64 s[10:11], s6, v0
	v_lshlrev_b32_e32 v10, 1, v0
	s_and_saveexec_b64 s[6:7], s[10:11]
	s_cbranch_execz .LBB134_5
; %bb.4:
	s_load_dwordx2 s[20:21], s[0:1], 0x18
	s_waitcnt lgkmcnt(0)
	s_mul_i32 s22, s30, s16
	s_ashr_i32 s23, s22, 31
	s_lshl_b64 s[22:23], s[22:23], 1
	v_lshrrev_b32_e32 v2, 2, v0
	s_add_u32 s16, s20, s22
	s_addc_u32 s19, s21, s23
	s_ashr_i32 s15, s14, 31
	s_lshl_b64 s[20:21], s[14:15], 1
	s_add_u32 s20, s16, s20
	s_addc_u32 s21, s19, s21
	global_load_ushort v1, v10, s[20:21]
	v_and_b32_e32 v2, 0xfe, v2
	v_mad_u32_u24 v2, v4, 28, v2
	s_waitcnt vmcnt(0)
	ds_write_b16 v2, v1
.LBB134_5:
	s_or_b64 exec, exec, s[6:7]
	s_mul_i32 s6, s12, s8
	s_sub_i32 s6, s9, s6
	s_xor_b32 s3, s3, s13
	s_add_i32 s7, s12, 1
	s_sub_i32 s9, s6, s8
	s_load_dwordx4 s[20:23], s[0:1], 0x78
	s_cmp_ge_u32 s6, s8
	s_cselect_b32 s7, s7, s12
	s_load_dword s12, s[0:1], 0x88
	s_cselect_b32 s6, s9, s6
	s_add_i32 s9, s7, 1
	s_cmp_ge_u32 s6, s8
	s_cselect_b32 s6, s9, s7
	s_waitcnt lgkmcnt(0)
	s_abs_i32 s33, s23
	v_cvt_f32_u32_e32 v1, s33
	s_xor_b32 s6, s6, s3
	s_sub_i32 s8, s6, s3
	s_sub_i32 s6, 0, s33
	v_rcp_iflag_f32_e32 v1, v1
	s_add_i32 s13, s31, -1
	s_abs_i32 s3, s13
	v_mul_f32_e32 v1, 0x4f7ffffe, v1
	v_cvt_u32_f32_e32 v1, v1
	s_barrier
	v_readfirstlane_b32 s48, v1
	s_mul_i32 s6, s6, s48
	s_mul_hi_u32 s6, s48, s6
	s_add_i32 s48, s48, s6
	s_cmp_lt_i32 s12, 0
	s_mul_hi_u32 s9, s3, s48
	s_cbranch_scc0 .LBB134_7
; %bb.6:
	s_mul_i32 s6, s20, s40
	s_add_i32 s6, s8, s6
	s_mul_i32 s6, s6, s12
	s_sub_i32 s49, 1, s6
	s_mov_b64 s[6:7], 0
	s_branch .LBB134_8
.LBB134_7:
	s_mov_b64 s[6:7], -1
                                        ; implicit-def: $sgpr49
.LBB134_8:
	s_load_dwordx2 s[34:35], s[0:1], 0x38
	s_ashr_i32 s13, s13, 31
	s_andn2_b64 vcc, exec, s[6:7]
	s_ashr_i32 s50, s23, 31
	s_cbranch_vccnz .LBB134_10
; %bb.9:
	s_mul_i32 s6, s5, s20
	s_add_i32 s6, s6, s2
	s_mul_i32 s6, s6, s12
	s_add_i32 s49, s6, 1
.LBB134_10:
	s_load_dword s6, s[0:1], 0x48
	s_load_dwordx2 s[38:39], s[0:1], 0x28
	s_load_dword s15, s[0:1], 0x98
	s_load_dwordx4 s[24:27], s[0:1], 0x0
	s_load_dwordx2 s[28:29], s[0:1], 0x10
	s_mul_i32 s7, s9, s33
	s_waitcnt lgkmcnt(0)
	s_mul_i32 s36, s30, s6
	s_sub_i32 s3, s3, s7
	s_ashr_i32 s37, s36, 31
	s_xor_b32 s6, s13, s50
	s_add_i32 s7, s9, 1
	s_sub_i32 s12, s3, s33
	s_cmp_ge_u32 s3, s33
	s_cselect_b32 s7, s7, s9
	s_cselect_b32 s3, s12, s3
	s_add_i32 s9, s7, 1
	s_cmp_ge_u32 s3, s33
	s_cselect_b32 s3, s9, s7
	s_xor_b32 s3, s3, s6
	s_sub_i32 s16, s3, s6
	s_add_i32 s3, s31, 7
	s_ashr_i32 s6, s3, 31
	s_lshr_b32 s6, s6, 29
	s_add_i32 s3, s3, s6
	s_lshl_b32 s20, s4, 6
	s_ashr_i32 s3, s3, 3
	s_add_i32 s6, s20, 64
	v_lshrrev_b32_e32 v6, 6, v0
	s_min_i32 s51, s6, s3
	v_or_b32_e32 v12, s20, v6
	v_cmp_gt_i32_e64 s[6:7], s51, v12
	v_mov_b32_e32 v11, 0xff7fffff
	s_mul_i32 s18, s8, s18
	v_ashrrev_i32_e32 v13, 31, v12
	v_lshl_add_u32 v1, v6, 3, s52
	v_mbcnt_lo_u32_b32 v7, -1, 0
	s_and_saveexec_b64 s[42:43], s[6:7]
	s_cbranch_execz .LBB134_20
; %bb.11:
	s_load_dwordx2 s[0:1], s[0:1], 0x20
	s_ashr_i32 s19, s18, 31
	s_sub_i32 s23, s16, s21
	s_lshl_b64 s[8:9], s[18:19], 1
	v_bfe_u32 v8, v0, 3, 3
	s_waitcnt lgkmcnt(0)
	s_add_u32 s0, s0, s8
	s_addc_u32 s1, s1, s9
	s_abs_i32 s19, s22
	v_cvt_f32_u32_e32 v5, s19
	v_lshlrev_b32_e32 v2, 4, v8
	v_mov_b32_e32 v3, 0
	v_lshl_add_u64 v[14:15], s[0:1], 0, v[2:3]
	v_rcp_iflag_f32_e32 v5, v5
	s_sub_i32 s0, 0, s19
	v_lshlrev_b32_e32 v11, 2, v8
	v_cmp_eq_u32_e32 vcc, 0, v4
	v_mul_f32_e32 v5, 0x4f7ffffe, v5
	v_cvt_u32_f32_e32 v5, v5
	v_lshlrev_b32_e32 v2, 1, v4
	v_mul_u32_u24_e32 v9, 28, v4
	v_lshl_or_b32 v11, v6, 5, v11
	v_mul_lo_u32 v4, s0, v5
	s_lshl_b64 s[0:1], s[36:37], 2
	s_add_u32 s0, s34, s0
	v_add_u32_e32 v16, 0xf0, v11
	v_subrev_u32_e32 v11, s31, v8
	v_mbcnt_hi_u32_b32 v19, -1, v7
	v_mul_hi_u32 v4, v5, v4
	s_addc_u32 s1, s35, s1
	v_add_u32_e32 v17, 1, v11
	v_and_b32_e32 v11, 64, v19
	s_mov_b32 s40, s17
	v_lshl_add_u64 v[2:3], v[14:15], 0, v[2:3]
	v_cmp_neq_f32_e64 s[8:9], s53, 0
	v_add_u32_e32 v14, v5, v4
	v_lshl_add_u64 v[4:5], v[12:13], 2, s[0:1]
	v_lshl_add_u32 v15, v6, 3, s52
	s_mov_b64 s[44:45], 0
	v_mov_b32_e32 v18, 0xff7fffff
	v_add_u32_e32 v20, 64, v11
	v_xor_b32_e32 v21, 4, v19
	v_xor_b32_e32 v22, 2, v19
	;; [unrolled: 1-line block ×3, first 2 shown]
	v_mov_b32_e32 v11, 0xff7fffff
	v_mov_b32_e32 v24, v12
	s_branch .LBB134_14
.LBB134_12:                             ;   in Loop: Header=BB134_14 Depth=1
	s_or_b64 exec, exec, s[46:47]
.LBB134_13:                             ;   in Loop: Header=BB134_14 Depth=1
	s_or_b64 exec, exec, s[12:13]
	v_add_u32_e32 v24, 2, v24
	v_cmp_le_i32_e64 s[0:1], s51, v24
	v_lshl_add_u64 v[4:5], v[4:5], 0, 8
	v_add_u32_e32 v15, 16, v15
	s_or_b64 s[44:45], s[0:1], s[44:45]
	v_add_u32_e32 v16, 64, v16
	s_andn2_b64 exec, exec, s[44:45]
	s_cbranch_execz .LBB134_19
.LBB134_14:                             ; =>This Inner Loop Header: Depth=1
	s_waitcnt lgkmcnt(0)
	v_sub_u32_e32 v26, 0, v15
	v_max_i32_e32 v26, v15, v26
	v_mul_hi_u32 v27, v26, s48
	v_mul_lo_u32 v28, v27, s33
	v_sub_u32_e32 v26, v26, v28
	v_add_u32_e32 v28, 1, v27
	v_cmp_le_u32_e64 s[0:1], s33, v26
	v_ashrrev_i32_e32 v25, 31, v15
	v_xor_b32_e32 v25, s50, v25
	v_cndmask_b32_e64 v27, v27, v28, s[0:1]
	v_subrev_u32_e32 v28, s33, v26
	v_cndmask_b32_e64 v26, v26, v28, s[0:1]
	v_add_u32_e32 v28, 1, v27
	v_cmp_le_u32_e64 s[0:1], s33, v26
	s_nop 1
	v_cndmask_b32_e64 v26, v27, v28, s[0:1]
	v_xor_b32_e32 v26, v26, v25
	v_sub_u32_e32 v25, v26, v25
	v_add_u32_e32 v26, s49, v25
	v_sub_u32_e32 v28, 0, v26
	v_ashrrev_i32_e32 v27, 31, v26
	v_max_i32_e32 v26, v26, v28
	v_mul_hi_u32 v28, v26, v14
	v_mul_lo_u32 v28, v28, s19
	v_sub_u32_e32 v26, v26, v28
	v_subrev_u32_e32 v28, s19, v26
	v_cmp_le_u32_e64 s[0:1], s19, v26
	v_cmp_ge_i32_e64 s[12:13], s23, v25
	s_nop 0
	v_cndmask_b32_e64 v26, v26, v28, s[0:1]
	v_subrev_u32_e32 v28, s19, v26
	v_cmp_le_u32_e64 s[0:1], s19, v26
	s_nop 1
	v_cndmask_b32_e64 v26, v26, v28, s[0:1]
	v_xor_b32_e32 v26, v26, v27
	v_sub_u32_e32 v26, v26, v27
	v_cmp_ne_u32_e64 s[0:1], 0, v26
	s_and_b64 s[0:1], s[0:1], s[12:13]
	s_and_b64 s[46:47], vcc, s[0:1]
	s_and_saveexec_b64 s[12:13], s[46:47]
	s_cbranch_execz .LBB134_16
; %bb.15:                               ;   in Loop: Header=BB134_14 Depth=1
	ds_write_b32 v16, v18
.LBB134_16:                             ;   in Loop: Header=BB134_14 Depth=1
	s_or_b64 exec, exec, s[12:13]
	s_xor_b64 s[0:1], s[0:1], -1
	s_and_saveexec_b64 s[12:13], s[0:1]
	s_cbranch_execz .LBB134_13
; %bb.17:                               ;   in Loop: Header=BB134_14 Depth=1
	global_load_dword v25, v[4:5], off
	s_waitcnt vmcnt(0)
	v_mad_i64_i32 v[26:27], s[0:1], v25, s40, 0
	v_lshl_add_u64 v[26:27], v[26:27], 1, v[2:3]
	global_load_ushort v25, v[26:27], off
	global_load_ushort v32, v[26:27], off offset:128
	global_load_ushort v33, v[26:27], off offset:256
	;; [unrolled: 1-line block ×13, first 2 shown]
	ds_read2_b32 v[26:27], v9 offset1:1
	ds_read2_b32 v[28:29], v9 offset0:2 offset1:3
	ds_read2_b32 v[30:31], v9 offset0:4 offset1:5
	ds_read_b32 v45, v9 offset:24
	v_cmp_lt_i32_e64 s[0:1], v21, v20
	s_waitcnt lgkmcnt(3)
	v_lshlrev_b32_e32 v47, 16, v26
	v_and_b32_e32 v26, 0xffff0000, v26
	v_lshlrev_b32_e32 v48, 16, v27
	v_and_b32_e32 v27, 0xffff0000, v27
	s_waitcnt lgkmcnt(2)
	v_lshlrev_b32_e32 v49, 16, v28
	v_and_b32_e32 v28, 0xffff0000, v28
	v_lshlrev_b32_e32 v50, 16, v29
	v_and_b32_e32 v29, 0xffff0000, v29
	s_waitcnt lgkmcnt(1)
	v_lshlrev_b32_e32 v51, 16, v30
	v_and_b32_e32 v30, 0xffff0000, v30
	v_lshlrev_b32_e32 v52, 16, v31
	v_and_b32_e32 v31, 0xffff0000, v31
	s_waitcnt lgkmcnt(0)
	v_lshlrev_b32_e32 v53, 16, v45
	v_cndmask_b32_e64 v46, v19, v21, s[0:1]
	v_and_b32_e32 v45, 0xffff0000, v45
	v_lshlrev_b32_e32 v46, 2, v46
	v_cmp_lt_i32_e64 s[0:1], v22, v20
	s_waitcnt vmcnt(13)
	v_lshlrev_b32_e32 v25, 16, v25
	s_waitcnt vmcnt(12)
	v_lshlrev_b32_e32 v32, 16, v32
	v_mul_f32_e32 v26, v26, v32
	s_waitcnt vmcnt(11)
	v_lshlrev_b32_e32 v33, 16, v33
	v_fmac_f32_e32 v26, v47, v25
	s_waitcnt vmcnt(10)
	v_lshlrev_b32_e32 v34, 16, v34
	v_fmac_f32_e32 v26, v48, v33
	;; [unrolled: 3-line block ×11, first 2 shown]
	v_fmac_f32_e32 v26, v53, v43
	s_waitcnt vmcnt(0)
	v_lshlrev_b32_e32 v25, 16, v44
	v_fmac_f32_e32 v26, v45, v25
	ds_bpermute_b32 v25, v46, v26
	v_cndmask_b32_e64 v27, v19, v22, s[0:1]
	v_lshlrev_b32_e32 v27, 2, v27
	v_cmp_lt_i32_e64 s[0:1], v23, v20
	s_waitcnt lgkmcnt(0)
	v_add_f32_e32 v25, v26, v25
	ds_bpermute_b32 v26, v27, v25
	v_cndmask_b32_e64 v27, v19, v23, s[0:1]
	v_lshlrev_b32_e32 v27, 2, v27
	s_waitcnt lgkmcnt(0)
	v_add_f32_e32 v25, v25, v26
	ds_bpermute_b32 v26, v27, v25
	s_and_saveexec_b64 s[46:47], vcc
	s_cbranch_execz .LBB134_12
; %bb.18:                               ;   in Loop: Header=BB134_14 Depth=1
	v_add_u32_e32 v27, v17, v15
	v_cvt_f32_i32_e32 v27, v27
	s_waitcnt lgkmcnt(0)
	v_add_f32_e32 v25, v25, v26
	v_add_u32_e32 v28, v8, v15
	v_cmp_gt_i32_e64 s[0:1], s31, v28
	v_mul_f32_e32 v26, s53, v27
	v_cndmask_b32_e64 v26, 0, v26, s[8:9]
	v_fmac_f32_e32 v26, s41, v25
	v_cndmask_b32_e64 v25, 0, v26, s[0:1]
	ds_write_b32 v16, v25
	v_max_f32_e32 v25, v11, v11
	v_max_f32_e32 v25, v25, v26
	v_cndmask_b32_e64 v11, v11, v25, s[0:1]
	s_branch .LBB134_12
.LBB134_19:
	s_or_b64 exec, exec, s[44:45]
.LBB134_20:
	s_or_b64 exec, exec, s[42:43]
	v_mbcnt_hi_u32_b32 v2, -1, v7
	v_and_b32_e32 v3, 64, v2
	v_add_u32_e32 v3, 64, v3
	v_xor_b32_e32 v4, 32, v2
	v_cmp_lt_i32_e32 vcc, v4, v3
	v_xor_b32_e32 v8, 16, v2
	v_max_f32_e32 v5, v11, v11
	v_cndmask_b32_e32 v4, v2, v4, vcc
	v_lshlrev_b32_e32 v7, 2, v4
	ds_bpermute_b32 v4, v7, v11
	v_cmp_lt_i32_e32 vcc, v8, v3
	v_and_b32_e32 v11, 63, v0
	s_waitcnt lgkmcnt(0)
	v_max_f32_e32 v4, v4, v4
	v_max_f32_e32 v4, v5, v4
	v_cndmask_b32_e32 v5, v2, v8, vcc
	v_lshlrev_b32_e32 v9, 2, v5
	ds_bpermute_b32 v5, v9, v4
	v_xor_b32_e32 v8, 8, v2
	v_cmp_lt_i32_e32 vcc, v8, v3
	s_waitcnt lgkmcnt(0)
	v_max_f32_e32 v5, v5, v5
	v_max_f32_e32 v4, v4, v5
	v_cndmask_b32_e32 v5, v2, v8, vcc
	v_lshlrev_b32_e32 v14, 2, v5
	ds_bpermute_b32 v8, v14, v4
	v_cmp_eq_u32_e32 vcc, 0, v11
	v_lshlrev_b32_e32 v5, 2, v6
	s_and_saveexec_b64 s[0:1], vcc
	s_cbranch_execz .LBB134_22
; %bb.21:
	s_waitcnt lgkmcnt(0)
	v_max_f32_e32 v8, v8, v8
	v_max_f32_e32 v4, v4, v4
	;; [unrolled: 1-line block ×3, first 2 shown]
	ds_write_b32 v5, v4 offset:224
.LBB134_22:
	s_or_b64 exec, exec, s[0:1]
	v_cmp_gt_u32_e64 s[0:1], 2, v11
	v_mov_b32_e32 v4, 0xff7fffff
	s_waitcnt lgkmcnt(0)
	v_lshlrev_b32_e32 v8, 2, v11
	s_barrier
	s_and_saveexec_b64 s[8:9], s[0:1]
	s_cbranch_execz .LBB134_24
; %bb.23:
	ds_read_b32 v4, v8 offset:224
.LBB134_24:
	s_or_b64 exec, exec, s[8:9]
	v_xor_b32_e32 v15, 1, v2
	v_cmp_lt_i32_e64 s[8:9], v15, v3
	v_mov_b32_e32 v17, 0
	s_nop 0
	v_cndmask_b32_e64 v15, v2, v15, s[8:9]
	v_lshlrev_b32_e32 v15, 2, v15
	s_waitcnt lgkmcnt(0)
	ds_bpermute_b32 v16, v15, v4
	v_max_f32_e32 v4, v4, v4
	s_sub_i32 s8, s51, s20
	s_lshl_b32 s8, s8, 3
	s_add_i32 s8, s8, s52
	s_waitcnt lgkmcnt(0)
	v_max_f32_e32 v16, v16, v16
	v_max_f32_e32 v4, v4, v16
	v_lshlrev_b32_e32 v16, 2, v2
	v_and_b32_e32 v16, 0x100, v16
	ds_bpermute_b32 v4, v16, v4
	s_min_i32 s20, s8, s31
	s_sub_i32 s19, s20, s52
	v_cmp_gt_i32_e64 s[8:9], s19, v0
	s_and_saveexec_b64 s[40:41], s[8:9]
	s_cbranch_execz .LBB134_28
; %bb.25:
	v_mov_b32_e32 v17, 0xf0
	v_lshl_add_u32 v18, v0, 2, v17
	s_mov_b64 s[42:43], 0
	v_mov_b32_e32 v17, 0
	v_mov_b32_e32 v19, v0
.LBB134_26:                             ; =>This Inner Loop Header: Depth=1
	ds_read_b32 v20, v18
	v_add_u32_e32 v19, 0x80, v19
	v_cmp_le_i32_e64 s[12:13], s19, v19
	s_or_b64 s[42:43], s[12:13], s[42:43]
	s_waitcnt lgkmcnt(0)
	v_sub_f32_e32 v20, v20, v4
	v_mul_f32_e32 v20, 0x3fb8aa3b, v20
	v_exp_f32_e32 v20, v20
	ds_write_b32 v18, v20
	v_add_f32_e32 v17, v17, v20
	v_add_u32_e32 v18, 0x200, v18
	s_andn2_b64 exec, exec, s[42:43]
	s_cbranch_execnz .LBB134_26
; %bb.27:
	s_or_b64 exec, exec, s[42:43]
.LBB134_28:
	s_or_b64 exec, exec, s[40:41]
	ds_bpermute_b32 v7, v7, v17
	s_waitcnt lgkmcnt(0)
	v_add_f32_e32 v7, v17, v7
	ds_bpermute_b32 v9, v9, v7
	s_waitcnt lgkmcnt(0)
	v_add_f32_e32 v7, v7, v9
	ds_bpermute_b32 v9, v14, v7
	v_xor_b32_e32 v14, 4, v2
	v_cmp_lt_i32_e64 s[12:13], v14, v3
	s_waitcnt lgkmcnt(0)
	v_add_f32_e32 v7, v7, v9
	v_cndmask_b32_e64 v14, v2, v14, s[12:13]
	v_lshlrev_b32_e32 v14, 2, v14
	ds_bpermute_b32 v9, v14, v7
	v_xor_b32_e32 v14, 2, v2
	v_cmp_lt_i32_e64 s[12:13], v14, v3
	s_waitcnt lgkmcnt(0)
	v_add_f32_e32 v3, v7, v9
	v_cndmask_b32_e64 v2, v2, v14, s[12:13]
	v_lshlrev_b32_e32 v2, 2, v2
	ds_bpermute_b32 v2, v2, v3
	s_waitcnt lgkmcnt(0)
	v_add_f32_e32 v2, v3, v2
	ds_bpermute_b32 v3, v15, v2
	s_waitcnt lgkmcnt(0)
	v_add_f32_e32 v2, v2, v3
	s_and_saveexec_b64 s[12:13], vcc
	s_cbranch_execz .LBB134_30
; %bb.29:
	ds_write_b32 v5, v2 offset:232
.LBB134_30:
	s_or_b64 exec, exec, s[12:13]
	s_waitcnt lgkmcnt(0)
	s_barrier
	s_and_saveexec_b64 s[12:13], s[0:1]
	s_cbranch_execz .LBB134_32
; %bb.31:
	ds_read_b32 v2, v8 offset:232
.LBB134_32:
	s_or_b64 exec, exec, s[12:13]
	s_waitcnt lgkmcnt(0)
	ds_bpermute_b32 v3, v15, v2
	s_waitcnt lgkmcnt(0)
	v_add_f32_e32 v2, v2, v3
	ds_bpermute_b32 v5, v16, v2
	s_and_saveexec_b64 s[0:1], s[8:9]
	s_cbranch_execz .LBB134_45
; %bb.33:
	s_waitcnt lgkmcnt(0)
	v_add_f32_e32 v2, 0x358637bd, v5
	v_div_scale_f32 v3, s[8:9], v2, v2, 1.0
	v_rcp_f32_e32 v7, v3
	v_div_scale_f32 v8, vcc, 1.0, v2, 1.0
	s_movk_i32 s8, 0x7f
	v_fma_f32 v9, -v3, v7, 1.0
	v_fmac_f32_e32 v7, v9, v7
	v_mul_f32_e32 v9, v8, v7
	v_fma_f32 v14, -v3, v9, v8
	v_fmac_f32_e32 v9, v14, v7
	v_fma_f32 v3, -v3, v9, v8
	v_div_fmas_f32 v3, v3, v7, v9
	v_div_fixup_f32 v2, v3, v2, 1.0
	v_xad_u32 v3, v0, -1, s20
	v_subrev_u32_e32 v7, s52, v3
	v_cmp_lt_u32_e32 vcc, s8, v7
	s_mov_b64 s[12:13], -1
	v_mov_b32_e32 v3, v0
	s_and_saveexec_b64 s[8:9], vcc
	s_cbranch_execz .LBB134_42
; %bb.34:
	v_lshrrev_b32_e32 v7, 7, v7
	v_add_u32_e32 v9, -1, v7
	v_lshrrev_b32_e32 v8, 1, v9
	v_mov_b32_e32 v3, v2
	v_add_u32_e32 v8, 1, v8
	v_cmp_lt_u32_e32 vcc, 13, v9
	v_mov_b32_e32 v15, 0
	s_and_saveexec_b64 s[12:13], vcc
	s_cbranch_execz .LBB134_38
; %bb.35:
	v_mov_b32_e32 v14, 0xf0
	v_and_b32_e32 v9, -8, v8
	v_lshl_add_u32 v14, v0, 2, v14
	s_mov_b32 s20, 0
	s_mov_b64 s[40:41], 0
.LBB134_36:                             ; =>This Inner Loop Header: Depth=1
	ds_read2st64_b32 v[16:17], v14 offset1:2
	ds_read2st64_b32 v[18:19], v14 offset0:4 offset1:6
	ds_read2st64_b32 v[20:21], v14 offset0:8 offset1:10
	;; [unrolled: 1-line block ×3, first 2 shown]
	v_add_u32_e32 v9, -8, v9
	s_waitcnt lgkmcnt(3)
	v_pk_mul_f32 v[16:17], v[2:3], v[16:17]
	s_waitcnt lgkmcnt(2)
	v_pk_mul_f32 v[18:19], v[2:3], v[18:19]
	ds_write2st64_b32 v14, v16, v17 offset1:2
	ds_write2st64_b32 v14, v18, v19 offset0:4 offset1:6
	ds_read2st64_b32 v[18:19], v14 offset0:16 offset1:18
	s_waitcnt lgkmcnt(4)
	v_pk_mul_f32 v[16:17], v[2:3], v[20:21]
	ds_write2st64_b32 v14, v16, v17 offset0:8 offset1:10
	s_waitcnt lgkmcnt(4)
	v_pk_mul_f32 v[16:17], v[2:3], v[22:23]
	ds_write2st64_b32 v14, v16, v17 offset0:12 offset1:14
	ds_read2st64_b32 v[16:17], v14 offset0:20 offset1:22
	s_waitcnt lgkmcnt(3)
	v_pk_mul_f32 v[18:19], v[2:3], v[18:19]
	ds_read2st64_b32 v[20:21], v14 offset0:24 offset1:26
	ds_write2st64_b32 v14, v18, v19 offset0:16 offset1:18
	ds_read2st64_b32 v[18:19], v14 offset0:28 offset1:30
	s_waitcnt lgkmcnt(3)
	v_pk_mul_f32 v[16:17], v[2:3], v[16:17]
	ds_write2st64_b32 v14, v16, v17 offset0:20 offset1:22
	s_waitcnt lgkmcnt(3)
	v_pk_mul_f32 v[16:17], v[2:3], v[20:21]
	ds_write2st64_b32 v14, v16, v17 offset0:24 offset1:26
	s_waitcnt lgkmcnt(2)
	v_pk_mul_f32 v[16:17], v[2:3], v[18:19]
	s_add_i32 s20, s20, 16
	v_cmp_eq_u32_e32 vcc, 0, v9
	ds_write2st64_b32 v14, v16, v17 offset0:28 offset1:30
	v_add_u32_e32 v14, 0x2000, v14
	s_or_b64 s[40:41], vcc, s[40:41]
	v_mov_b32_e32 v15, s20
	s_andn2_b64 exec, exec, s[40:41]
	s_cbranch_execnz .LBB134_36
; %bb.37:
	s_or_b64 exec, exec, s[40:41]
.LBB134_38:
	s_or_b64 exec, exec, s[12:13]
	v_and_b32_e32 v8, 7, v8
	v_cmp_ne_u32_e32 vcc, 0, v8
	s_and_saveexec_b64 s[12:13], vcc
	s_cbranch_execz .LBB134_41
; %bb.39:
	v_lshlrev_b32_e32 v9, 9, v15
	v_lshlrev_b32_e32 v14, 2, v0
	s_movk_i32 s20, 0xf0
	v_add3_u32 v9, v9, v14, s20
	s_mov_b64 s[40:41], 0
.LBB134_40:                             ; =>This Inner Loop Header: Depth=1
	ds_read2st64_b32 v[14:15], v9 offset1:2
	v_add_u32_e32 v8, -1, v8
	v_cmp_eq_u32_e32 vcc, 0, v8
	s_or_b64 s[40:41], vcc, s[40:41]
	s_waitcnt lgkmcnt(0)
	v_pk_mul_f32 v[14:15], v[2:3], v[14:15]
	ds_write2st64_b32 v9, v14, v15 offset1:2
	v_add_u32_e32 v9, 0x400, v9
	s_andn2_b64 exec, exec, s[40:41]
	s_cbranch_execnz .LBB134_40
.LBB134_41:
	s_or_b64 exec, exec, s[12:13]
	v_add_u32_e32 v7, 1, v7
	v_and_b32_e32 v8, 0x3fffffe, v7
	v_cmp_ne_u32_e32 vcc, v7, v8
	v_lshl_add_u32 v3, v8, 7, v0
	s_orn2_b64 s[12:13], vcc, exec
.LBB134_42:
	s_or_b64 exec, exec, s[8:9]
	s_and_b64 exec, exec, s[12:13]
	s_cbranch_execz .LBB134_45
; %bb.43:
	v_mov_b32_e32 v7, 0xf0
	v_lshl_add_u32 v7, v3, 2, v7
	s_mov_b64 s[8:9], 0
.LBB134_44:                             ; =>This Inner Loop Header: Depth=1
	ds_read_b32 v8, v7
	v_add_u32_e32 v3, 0x80, v3
	v_cmp_le_i32_e32 vcc, s19, v3
	s_or_b64 s[8:9], vcc, s[8:9]
	s_waitcnt lgkmcnt(0)
	v_mul_f32_e32 v8, v2, v8
	ds_write_b32 v7, v8
	v_add_u32_e32 v7, 0x200, v7
	s_andn2_b64 exec, exec, s[8:9]
	s_cbranch_execnz .LBB134_44
.LBB134_45:
	s_or_b64 exec, exec, s[0:1]
	s_mul_i32 s0, s15, s30
	v_cmp_eq_u32_e32 vcc, 0, v0
	s_mul_i32 s8, s0, s5
	s_waitcnt lgkmcnt(0)
	s_barrier
	s_and_saveexec_b64 s[0:1], vcc
	s_cbranch_execz .LBB134_47
; %bb.46:
	s_ashr_i32 s9, s8, 31
	s_lshl_b64 s[12:13], s[8:9], 2
	s_add_u32 s5, s26, s12
	s_mul_i32 s26, s15, s2
	s_addc_u32 s9, s27, s13
	s_ashr_i32 s27, s26, 31
	s_lshl_b64 s[26:27], s[26:27], 2
	s_add_u32 s2, s5, s26
	s_addc_u32 s9, s9, s27
	s_ashr_i32 s5, s4, 31
	s_lshl_b64 s[40:41], s[4:5], 2
	s_add_u32 s42, s2, s40
	s_addc_u32 s43, s9, s41
	s_add_u32 s2, s24, s12
	s_addc_u32 s5, s25, s13
	s_add_u32 s2, s2, s26
	s_addc_u32 s5, s5, s27
	s_add_u32 s12, s2, s40
	v_mov_b32_e32 v2, 0
	s_addc_u32 s13, s5, s41
	global_store_dword v2, v4, s[42:43]
	global_store_dword v2, v5, s[12:13]
.LBB134_47:
	s_or_b64 exec, exec, s[0:1]
	v_mov_b32_e32 v15, 0
	v_mov_b32_e32 v14, v15
	s_and_saveexec_b64 s[12:13], s[6:7]
	s_cbranch_execz .LBB134_155
; %bb.48:
	s_ashr_i32 s19, s18, 31
	s_sub_i32 s5, s16, s21
	s_lshl_b64 s[0:1], s[18:19], 1
	s_add_u32 s6, s38, s0
	s_addc_u32 s7, s39, s1
	s_abs_i32 s9, s22
	v_cvt_f32_u32_e32 v3, s9
	v_or_b32_e32 v4, 64, v11
	s_movk_i32 s0, 0x70
	v_cmp_gt_u32_e32 vcc, s0, v4
	v_rcp_iflag_f32_e32 v3, v3
	s_sub_i32 s0, 0, s9
	s_add_i32 s25, s3, -1
	v_lshlrev_b32_e32 v2, 3, v11
	v_mul_f32_e32 v3, 0x4f7ffffe, v3
	v_cvt_u32_f32_e32 v3, v3
	v_mov_b32_e32 v17, 0
	v_lshlrev_b32_e32 v4, 3, v4
	s_mov_b32 s24, s17
	v_mul_lo_u32 v5, s0, v3
	s_lshl_b64 s[0:1], s[36:37], 2
	v_mul_hi_u32 v5, v3, v5
	s_add_u32 s0, s34, s0
	v_add_u32_e32 v22, v3, v5
	s_addc_u32 s1, s35, s1
	v_mov_b32_e32 v3, 0xf0
	v_lshl_add_u64 v[18:19], v[12:13], 2, s[0:1]
	v_lshl_add_u32 v13, v6, 5, v3
	s_mov_b64 s[16:17], 0
	s_mov_b32 s26, 0x7f800000
	s_movk_i32 s27, 0x7fff
	v_lshlrev_b32_e32 v16, 1, v2
	v_lshlrev_b32_e32 v20, 1, v4
	v_mov_b32_e32 v14, v17
	v_mov_b32_e32 v15, v17
	s_branch .LBB134_52
.LBB134_49:                             ;   in Loop: Header=BB134_52 Depth=1
	s_or_b64 exec, exec, s[2:3]
	v_and_b32_e32 v27, 0xffff0000, v21
	v_and_b32_e32 v26, 0xffff0000, v7
	;; [unrolled: 1-line block ×4, first 2 shown]
	v_pk_add_f32 v[2:3], v[2:3], v[26:27]
	v_and_b32_e32 v25, 0xffff0000, v23
	v_and_b32_e32 v24, 0xffff0000, v9
	v_and_b32_e32 v5, 0xffff0000, v5
	v_and_b32_e32 v4, 0xffff0000, v4
	v_mov_b32_e32 v6, v3
	v_pk_add_f32 v[2:3], v[2:3], v[6:7]
	v_pk_add_f32 v[4:5], v[4:5], v[24:25]
	s_nop 0
	v_pk_add_f32 v[2:3], v[2:3], v[4:5]
	v_mov_b32_e32 v4, v5
	v_pk_add_f32 v[2:3], v[2:3], v[4:5]
	s_nop 0
	v_mov_b32_e32 v3, v2
	v_pk_add_f32 v[14:15], v[14:15], v[2:3]
.LBB134_50:                             ;   in Loop: Header=BB134_52 Depth=1
	s_or_b64 exec, exec, s[20:21]
	v_mov_b32_e32 v14, v8
.LBB134_51:                             ;   in Loop: Header=BB134_52 Depth=1
	s_or_b64 exec, exec, s[18:19]
	v_add_u32_e32 v12, 2, v12
	v_cmp_le_i32_e64 s[0:1], s51, v12
	v_lshl_add_u64 v[18:19], v[18:19], 0, 8
	v_add_u32_e32 v1, 16, v1
	s_or_b64 s[16:17], s[0:1], s[16:17]
	v_add_u32_e32 v13, 64, v13
	s_andn2_b64 exec, exec, s[16:17]
	s_cbranch_execz .LBB134_154
.LBB134_52:                             ; =>This Inner Loop Header: Depth=1
	v_sub_u32_e32 v3, 0, v1
	v_max_i32_e32 v3, v1, v3
	v_mul_hi_u32 v4, v3, s48
	v_mul_lo_u32 v5, v4, s33
	v_sub_u32_e32 v3, v3, v5
	v_add_u32_e32 v5, 1, v4
	v_cmp_le_u32_e64 s[0:1], s33, v3
	v_ashrrev_i32_e32 v2, 31, v1
	v_xor_b32_e32 v2, s50, v2
	v_cndmask_b32_e64 v4, v4, v5, s[0:1]
	v_subrev_u32_e32 v5, s33, v3
	v_cndmask_b32_e64 v3, v3, v5, s[0:1]
	v_add_u32_e32 v5, 1, v4
	v_cmp_le_u32_e64 s[0:1], s33, v3
	s_nop 1
	v_cndmask_b32_e64 v3, v4, v5, s[0:1]
	v_xor_b32_e32 v3, v3, v2
	v_sub_u32_e32 v2, v3, v2
	v_add_u32_e32 v3, s49, v2
	v_sub_u32_e32 v5, 0, v3
	v_ashrrev_i32_e32 v4, 31, v3
	v_max_i32_e32 v3, v3, v5
	v_mul_hi_u32 v5, v3, v22
	v_mul_lo_u32 v5, v5, s9
	v_sub_u32_e32 v3, v3, v5
	v_subrev_u32_e32 v5, s9, v3
	v_cmp_le_u32_e64 s[0:1], s9, v3
	v_cmp_lt_i32_e64 s[2:3], s5, v2
	s_nop 0
	v_cndmask_b32_e64 v3, v3, v5, s[0:1]
	v_subrev_u32_e32 v5, s9, v3
	v_cmp_le_u32_e64 s[0:1], s9, v3
	s_nop 1
	v_cndmask_b32_e64 v3, v3, v5, s[0:1]
	v_xor_b32_e32 v3, v3, v4
	v_sub_u32_e32 v3, v3, v4
	v_cmp_eq_u32_e64 s[0:1], 0, v3
	s_or_b64 s[0:1], s[0:1], s[2:3]
	s_and_saveexec_b64 s[18:19], s[0:1]
	s_cbranch_execz .LBB134_51
; %bb.53:                               ;   in Loop: Header=BB134_52 Depth=1
	global_load_dword v28, v[18:19], off
	ds_read2_b64 v[6:9], v13 offset1:1
	ds_read2_b64 v[2:5], v13 offset0:2 offset1:3
                                        ; implicit-def: $vgpr23
	s_waitcnt lgkmcnt(1)
	v_and_b32_e32 v21, 0x7f800000, v6
	v_cmp_ne_u32_e64 s[0:1], s26, v21
	s_and_saveexec_b64 s[2:3], s[0:1]
	s_xor_b64 s[0:1], exec, s[2:3]
; %bb.54:                               ;   in Loop: Header=BB134_52 Depth=1
	v_bfe_u32 v21, v6, 16, 1
	v_add3_u32 v23, v6, v21, s27
; %bb.55:                               ;   in Loop: Header=BB134_52 Depth=1
	s_andn2_saveexec_b64 s[2:3], s[0:1]
; %bb.56:                               ;   in Loop: Header=BB134_52 Depth=1
	v_or_b32_e32 v21, 0x10000, v6
	v_cmp_eq_u32_sdwa s[0:1], v6, v17 src0_sel:WORD_0 src1_sel:DWORD
	s_nop 1
	v_cndmask_b32_e64 v23, v21, v6, s[0:1]
; %bb.57:                               ;   in Loop: Header=BB134_52 Depth=1
	s_or_b64 exec, exec, s[2:3]
	v_and_b32_e32 v6, 0x7f800000, v7
	v_cmp_ne_u32_e64 s[0:1], s26, v6
                                        ; implicit-def: $vgpr24
	s_and_saveexec_b64 s[2:3], s[0:1]
	s_xor_b64 s[0:1], exec, s[2:3]
; %bb.58:                               ;   in Loop: Header=BB134_52 Depth=1
	v_bfe_u32 v6, v7, 16, 1
	v_add3_u32 v24, v7, v6, s27
; %bb.59:                               ;   in Loop: Header=BB134_52 Depth=1
	s_andn2_saveexec_b64 s[2:3], s[0:1]
; %bb.60:                               ;   in Loop: Header=BB134_52 Depth=1
	v_or_b32_e32 v6, 0x10000, v7
	v_cmp_eq_u32_sdwa s[0:1], v7, v17 src0_sel:WORD_0 src1_sel:DWORD
	s_nop 1
	v_cndmask_b32_e64 v24, v6, v7, s[0:1]
; %bb.61:                               ;   in Loop: Header=BB134_52 Depth=1
	s_or_b64 exec, exec, s[2:3]
	v_and_b32_e32 v6, 0x7f800000, v8
	v_cmp_ne_u32_e64 s[0:1], s26, v6
                                        ; implicit-def: $vgpr25
	s_and_saveexec_b64 s[2:3], s[0:1]
	s_xor_b64 s[0:1], exec, s[2:3]
; %bb.62:                               ;   in Loop: Header=BB134_52 Depth=1
	v_bfe_u32 v6, v8, 16, 1
	v_add3_u32 v25, v8, v6, s27
; %bb.63:                               ;   in Loop: Header=BB134_52 Depth=1
	s_andn2_saveexec_b64 s[2:3], s[0:1]
; %bb.64:                               ;   in Loop: Header=BB134_52 Depth=1
	v_or_b32_e32 v6, 0x10000, v8
	v_cmp_eq_u32_sdwa s[0:1], v8, v17 src0_sel:WORD_0 src1_sel:DWORD
	s_nop 1
	v_cndmask_b32_e64 v25, v6, v8, s[0:1]
; %bb.65:                               ;   in Loop: Header=BB134_52 Depth=1
	s_or_b64 exec, exec, s[2:3]
	v_and_b32_e32 v6, 0x7f800000, v9
	v_cmp_ne_u32_e64 s[0:1], s26, v6
                                        ; implicit-def: $vgpr26
	s_and_saveexec_b64 s[2:3], s[0:1]
	s_xor_b64 s[0:1], exec, s[2:3]
; %bb.66:                               ;   in Loop: Header=BB134_52 Depth=1
	v_bfe_u32 v6, v9, 16, 1
	v_add3_u32 v26, v9, v6, s27
                                        ; implicit-def: $vgpr6_vgpr7_vgpr8_vgpr9
; %bb.67:                               ;   in Loop: Header=BB134_52 Depth=1
	s_andn2_saveexec_b64 s[2:3], s[0:1]
; %bb.68:                               ;   in Loop: Header=BB134_52 Depth=1
	v_or_b32_e32 v6, 0x10000, v9
	v_cmp_eq_u32_sdwa s[0:1], v9, v17 src0_sel:WORD_0 src1_sel:DWORD
	s_nop 1
	v_cndmask_b32_e64 v26, v6, v9, s[0:1]
; %bb.69:                               ;   in Loop: Header=BB134_52 Depth=1
	s_or_b64 exec, exec, s[2:3]
	s_waitcnt lgkmcnt(0)
	v_and_b32_e32 v6, 0x7f800000, v2
	v_cmp_ne_u32_e64 s[0:1], s26, v6
                                        ; implicit-def: $vgpr27
	s_and_saveexec_b64 s[2:3], s[0:1]
	s_xor_b64 s[0:1], exec, s[2:3]
; %bb.70:                               ;   in Loop: Header=BB134_52 Depth=1
	v_bfe_u32 v6, v2, 16, 1
	v_add3_u32 v27, v2, v6, s27
; %bb.71:                               ;   in Loop: Header=BB134_52 Depth=1
	s_andn2_saveexec_b64 s[2:3], s[0:1]
; %bb.72:                               ;   in Loop: Header=BB134_52 Depth=1
	v_or_b32_e32 v6, 0x10000, v2
	v_cmp_eq_u32_sdwa s[0:1], v2, v17 src0_sel:WORD_0 src1_sel:DWORD
	s_nop 1
	v_cndmask_b32_e64 v27, v6, v2, s[0:1]
; %bb.73:                               ;   in Loop: Header=BB134_52 Depth=1
	s_or_b64 exec, exec, s[2:3]
	v_and_b32_e32 v2, 0x7f800000, v3
	v_cmp_ne_u32_e64 s[0:1], s26, v2
                                        ; implicit-def: $vgpr21
	s_and_saveexec_b64 s[2:3], s[0:1]
	s_xor_b64 s[0:1], exec, s[2:3]
; %bb.74:                               ;   in Loop: Header=BB134_52 Depth=1
	v_bfe_u32 v2, v3, 16, 1
	v_add3_u32 v21, v3, v2, s27
; %bb.75:                               ;   in Loop: Header=BB134_52 Depth=1
	s_andn2_saveexec_b64 s[2:3], s[0:1]
; %bb.76:                               ;   in Loop: Header=BB134_52 Depth=1
	v_or_b32_e32 v2, 0x10000, v3
	v_cmp_eq_u32_sdwa s[0:1], v3, v17 src0_sel:WORD_0 src1_sel:DWORD
	s_nop 1
	v_cndmask_b32_e64 v21, v2, v3, s[0:1]
; %bb.77:                               ;   in Loop: Header=BB134_52 Depth=1
	s_or_b64 exec, exec, s[2:3]
	v_and_b32_e32 v2, 0x7f800000, v4
	v_cmp_ne_u32_e64 s[0:1], s26, v2
                                        ; implicit-def: $vgpr9
	s_and_saveexec_b64 s[2:3], s[0:1]
	s_xor_b64 s[0:1], exec, s[2:3]
; %bb.78:                               ;   in Loop: Header=BB134_52 Depth=1
	v_bfe_u32 v2, v4, 16, 1
	v_add3_u32 v9, v4, v2, s27
; %bb.79:                               ;   in Loop: Header=BB134_52 Depth=1
	s_andn2_saveexec_b64 s[2:3], s[0:1]
; %bb.80:                               ;   in Loop: Header=BB134_52 Depth=1
	v_or_b32_e32 v2, 0x10000, v4
	v_cmp_eq_u32_sdwa s[0:1], v4, v17 src0_sel:WORD_0 src1_sel:DWORD
	s_nop 1
	v_cndmask_b32_e64 v9, v2, v4, s[0:1]
; %bb.81:                               ;   in Loop: Header=BB134_52 Depth=1
	s_or_b64 exec, exec, s[2:3]
	v_and_b32_e32 v2, 0x7f800000, v5
	v_cmp_ne_u32_e64 s[0:1], s26, v2
                                        ; implicit-def: $vgpr8
	s_and_saveexec_b64 s[2:3], s[0:1]
	s_xor_b64 s[0:1], exec, s[2:3]
; %bb.82:                               ;   in Loop: Header=BB134_52 Depth=1
	v_bfe_u32 v2, v5, 16, 1
	v_add3_u32 v8, v5, v2, s27
                                        ; implicit-def: $vgpr2_vgpr3_vgpr4_vgpr5
; %bb.83:                               ;   in Loop: Header=BB134_52 Depth=1
	s_andn2_saveexec_b64 s[2:3], s[0:1]
; %bb.84:                               ;   in Loop: Header=BB134_52 Depth=1
	v_or_b32_e32 v2, 0x10000, v5
	v_cmp_eq_u32_sdwa s[0:1], v5, v17 src0_sel:WORD_0 src1_sel:DWORD
	s_nop 1
	v_cndmask_b32_e64 v8, v2, v5, s[0:1]
; %bb.85:                               ;   in Loop: Header=BB134_52 Depth=1
	s_or_b64 exec, exec, s[2:3]
	s_waitcnt vmcnt(0)
	v_mad_i64_i32 v[2:3], s[0:1], v28, s24, 0
	v_lshl_add_u64 v[6:7], v[2:3], 1, s[6:7]
	v_lshl_add_u64 v[2:3], v[6:7], 0, v[16:17]
	global_load_dwordx4 v[2:5], v[2:3], off
	v_cmp_eq_u32_e64 s[2:3], s25, v12
	s_waitcnt vmcnt(0)
	v_lshrrev_b32_e32 v30, 16, v2
	v_lshrrev_b32_e32 v28, 16, v3
	;; [unrolled: 1-line block ×4, first 2 shown]
	s_and_saveexec_b64 s[20:21], s[2:3]
	s_cbranch_execz .LBB134_87
; %bb.86:                               ;   in Loop: Header=BB134_52 Depth=1
	v_cmp_gt_i32_e64 s[0:1], s31, v1
	v_add_u32_e32 v32, 1, v1
	s_nop 0
	v_cndmask_b32_e64 v2, 0, v2, s[0:1]
	v_cmp_gt_i32_e64 s[0:1], s31, v32
	v_add_u32_e32 v32, 2, v1
	s_nop 0
	v_cndmask_b32_e64 v30, 0, v30, s[0:1]
	;; [unrolled: 4-line block ×7, first 2 shown]
	v_cmp_gt_i32_e64 s[0:1], s31, v32
	s_nop 1
	v_cndmask_b32_e64 v31, 0, v31, s[0:1]
.LBB134_87:                             ;   in Loop: Header=BB134_52 Depth=1
	s_or_b64 exec, exec, s[20:21]
	v_and_b32_e32 v23, 0xffff0000, v23
	v_lshlrev_b32_e32 v2, 16, v2
	v_mul_f32_e32 v32, v23, v2
	v_and_b32_e32 v2, 0x7f800000, v32
	v_cmp_ne_u32_e64 s[0:1], s26, v2
                                        ; implicit-def: $vgpr2
	s_and_saveexec_b64 s[20:21], s[0:1]
	s_xor_b64 s[0:1], exec, s[20:21]
; %bb.88:                               ;   in Loop: Header=BB134_52 Depth=1
	v_bfe_u32 v2, v32, 16, 1
	v_add3_u32 v2, v32, v2, s27
                                        ; implicit-def: $vgpr32
; %bb.89:                               ;   in Loop: Header=BB134_52 Depth=1
	s_andn2_saveexec_b64 s[20:21], s[0:1]
; %bb.90:                               ;   in Loop: Header=BB134_52 Depth=1
	v_or_b32_e32 v2, 0x10000, v32
	v_cmp_eq_u32_sdwa s[0:1], v32, v17 src0_sel:WORD_0 src1_sel:DWORD
	s_nop 1
	v_cndmask_b32_e64 v2, v2, v32, s[0:1]
; %bb.91:                               ;   in Loop: Header=BB134_52 Depth=1
	s_or_b64 exec, exec, s[20:21]
	v_and_b32_e32 v24, 0xffff0000, v24
	v_lshlrev_b32_e32 v30, 16, v30
	v_mul_f32_e32 v30, v24, v30
	v_and_b32_e32 v32, 0x7f800000, v30
	v_cmp_ne_u32_e64 s[0:1], s26, v32
                                        ; implicit-def: $vgpr32
	s_and_saveexec_b64 s[20:21], s[0:1]
	s_xor_b64 s[0:1], exec, s[20:21]
; %bb.92:                               ;   in Loop: Header=BB134_52 Depth=1
	v_bfe_u32 v32, v30, 16, 1
	v_add3_u32 v32, v30, v32, s27
                                        ; implicit-def: $vgpr30
; %bb.93:                               ;   in Loop: Header=BB134_52 Depth=1
	s_andn2_saveexec_b64 s[20:21], s[0:1]
; %bb.94:                               ;   in Loop: Header=BB134_52 Depth=1
	v_or_b32_e32 v32, 0x10000, v30
	v_cmp_eq_u32_sdwa s[0:1], v30, v17 src0_sel:WORD_0 src1_sel:DWORD
	s_nop 1
	v_cndmask_b32_e64 v32, v32, v30, s[0:1]
; %bb.95:                               ;   in Loop: Header=BB134_52 Depth=1
	s_or_b64 exec, exec, s[20:21]
	v_and_b32_e32 v25, 0xffff0000, v25
	v_lshlrev_b32_e32 v3, 16, v3
	v_mul_f32_e32 v30, v25, v3
	v_and_b32_e32 v3, 0x7f800000, v30
	v_cmp_ne_u32_e64 s[0:1], s26, v3
                                        ; implicit-def: $vgpr3
	s_and_saveexec_b64 s[20:21], s[0:1]
	s_xor_b64 s[0:1], exec, s[20:21]
; %bb.96:                               ;   in Loop: Header=BB134_52 Depth=1
	v_bfe_u32 v3, v30, 16, 1
	v_add3_u32 v3, v30, v3, s27
                                        ; implicit-def: $vgpr30
; %bb.97:                               ;   in Loop: Header=BB134_52 Depth=1
	s_andn2_saveexec_b64 s[20:21], s[0:1]
; %bb.98:                               ;   in Loop: Header=BB134_52 Depth=1
	v_or_b32_e32 v3, 0x10000, v30
	v_cmp_eq_u32_sdwa s[0:1], v30, v17 src0_sel:WORD_0 src1_sel:DWORD
	s_nop 1
	v_cndmask_b32_e64 v3, v3, v30, s[0:1]
; %bb.99:                               ;   in Loop: Header=BB134_52 Depth=1
	s_or_b64 exec, exec, s[20:21]
	v_and_b32_e32 v26, 0xffff0000, v26
	v_lshlrev_b32_e32 v28, 16, v28
	v_mul_f32_e32 v28, v26, v28
	v_and_b32_e32 v30, 0x7f800000, v28
	v_cmp_ne_u32_e64 s[0:1], s26, v30
                                        ; implicit-def: $vgpr33
	s_and_saveexec_b64 s[20:21], s[0:1]
	s_xor_b64 s[0:1], exec, s[20:21]
; %bb.100:                              ;   in Loop: Header=BB134_52 Depth=1
	v_bfe_u32 v30, v28, 16, 1
	v_add3_u32 v33, v28, v30, s27
                                        ; implicit-def: $vgpr28
; %bb.101:                              ;   in Loop: Header=BB134_52 Depth=1
	s_andn2_saveexec_b64 s[20:21], s[0:1]
; %bb.102:                              ;   in Loop: Header=BB134_52 Depth=1
	v_or_b32_e32 v30, 0x10000, v28
	v_cmp_eq_u32_sdwa s[0:1], v28, v17 src0_sel:WORD_0 src1_sel:DWORD
	s_nop 1
	v_cndmask_b32_e64 v33, v30, v28, s[0:1]
; %bb.103:                              ;   in Loop: Header=BB134_52 Depth=1
	s_or_b64 exec, exec, s[20:21]
	v_and_b32_e32 v27, 0xffff0000, v27
	v_lshlrev_b32_e32 v4, 16, v4
	v_mul_f32_e32 v28, v27, v4
	v_and_b32_e32 v4, 0x7f800000, v28
	v_cmp_ne_u32_e64 s[0:1], s26, v4
                                        ; implicit-def: $vgpr4
	s_and_saveexec_b64 s[20:21], s[0:1]
	s_xor_b64 s[0:1], exec, s[20:21]
; %bb.104:                              ;   in Loop: Header=BB134_52 Depth=1
	v_bfe_u32 v4, v28, 16, 1
	v_add3_u32 v4, v28, v4, s27
                                        ; implicit-def: $vgpr28
; %bb.105:                              ;   in Loop: Header=BB134_52 Depth=1
	s_andn2_saveexec_b64 s[20:21], s[0:1]
; %bb.106:                              ;   in Loop: Header=BB134_52 Depth=1
	v_or_b32_e32 v4, 0x10000, v28
	v_cmp_eq_u32_sdwa s[0:1], v28, v17 src0_sel:WORD_0 src1_sel:DWORD
	s_nop 1
	v_cndmask_b32_e64 v4, v4, v28, s[0:1]
; %bb.107:                              ;   in Loop: Header=BB134_52 Depth=1
	s_or_b64 exec, exec, s[20:21]
	v_and_b32_e32 v28, 0xffff0000, v21
	v_lshlrev_b32_e32 v21, 16, v29
	v_mul_f32_e32 v29, v28, v21
	v_and_b32_e32 v21, 0x7f800000, v29
	v_cmp_ne_u32_e64 s[0:1], s26, v21
                                        ; implicit-def: $vgpr21
	s_and_saveexec_b64 s[20:21], s[0:1]
	s_xor_b64 s[0:1], exec, s[20:21]
; %bb.108:                              ;   in Loop: Header=BB134_52 Depth=1
	v_bfe_u32 v21, v29, 16, 1
	v_add3_u32 v21, v29, v21, s27
                                        ; implicit-def: $vgpr29
; %bb.109:                              ;   in Loop: Header=BB134_52 Depth=1
	s_andn2_saveexec_b64 s[20:21], s[0:1]
; %bb.110:                              ;   in Loop: Header=BB134_52 Depth=1
	v_or_b32_e32 v21, 0x10000, v29
	v_cmp_eq_u32_sdwa s[0:1], v29, v17 src0_sel:WORD_0 src1_sel:DWORD
	s_nop 1
	v_cndmask_b32_e64 v21, v21, v29, s[0:1]
; %bb.111:                              ;   in Loop: Header=BB134_52 Depth=1
	s_or_b64 exec, exec, s[20:21]
	v_and_b32_e32 v29, 0xffff0000, v9
	v_lshlrev_b32_e32 v5, 16, v5
	v_mul_f32_e32 v9, v29, v5
	v_and_b32_e32 v5, 0x7f800000, v9
	v_cmp_ne_u32_e64 s[0:1], s26, v5
                                        ; implicit-def: $vgpr5
	s_and_saveexec_b64 s[20:21], s[0:1]
	s_xor_b64 s[0:1], exec, s[20:21]
; %bb.112:                              ;   in Loop: Header=BB134_52 Depth=1
	v_bfe_u32 v5, v9, 16, 1
	v_add3_u32 v5, v9, v5, s27
                                        ; implicit-def: $vgpr9
; %bb.113:                              ;   in Loop: Header=BB134_52 Depth=1
	s_andn2_saveexec_b64 s[20:21], s[0:1]
; %bb.114:                              ;   in Loop: Header=BB134_52 Depth=1
	v_or_b32_e32 v5, 0x10000, v9
	v_cmp_eq_u32_sdwa s[0:1], v9, v17 src0_sel:WORD_0 src1_sel:DWORD
	s_nop 1
	v_cndmask_b32_e64 v5, v5, v9, s[0:1]
; %bb.115:                              ;   in Loop: Header=BB134_52 Depth=1
	s_or_b64 exec, exec, s[20:21]
	v_and_b32_e32 v30, 0xffff0000, v8
	v_lshlrev_b32_e32 v8, 16, v31
	v_mul_f32_e32 v8, v30, v8
	v_and_b32_e32 v9, 0x7f800000, v8
	v_cmp_ne_u32_e64 s[0:1], s26, v9
                                        ; implicit-def: $vgpr9
	s_and_saveexec_b64 s[20:21], s[0:1]
	s_xor_b64 s[0:1], exec, s[20:21]
; %bb.116:                              ;   in Loop: Header=BB134_52 Depth=1
	v_bfe_u32 v9, v8, 16, 1
	v_add3_u32 v9, v8, v9, s27
                                        ; implicit-def: $vgpr8
; %bb.117:                              ;   in Loop: Header=BB134_52 Depth=1
	s_andn2_saveexec_b64 s[20:21], s[0:1]
; %bb.118:                              ;   in Loop: Header=BB134_52 Depth=1
	v_or_b32_e32 v9, 0x10000, v8
	v_cmp_eq_u32_sdwa s[0:1], v8, v17 src0_sel:WORD_0 src1_sel:DWORD
	s_nop 1
	v_cndmask_b32_e64 v9, v9, v8, s[0:1]
; %bb.119:                              ;   in Loop: Header=BB134_52 Depth=1
	s_or_b64 exec, exec, s[20:21]
	v_and_b32_e32 v33, 0xffff0000, v33
	v_and_b32_e32 v32, 0xffff0000, v32
	;; [unrolled: 1-line block ×4, first 2 shown]
	v_pk_add_f32 v[2:3], v[2:3], v[32:33]
	v_and_b32_e32 v9, 0xffff0000, v9
	v_and_b32_e32 v8, 0xffff0000, v21
	;; [unrolled: 1-line block ×4, first 2 shown]
	v_mov_b32_e32 v32, v3
	v_pk_add_f32 v[2:3], v[2:3], v[32:33]
	v_pk_add_f32 v[4:5], v[4:5], v[8:9]
	s_nop 0
	v_pk_add_f32 v[2:3], v[2:3], v[4:5]
	v_mov_b32_e32 v4, v5
	v_pk_add_f32 v[2:3], v[2:3], v[4:5]
	s_nop 0
	v_pk_add_f32 v[8:9], v[14:15], v[2:3]
	s_and_saveexec_b64 s[20:21], vcc
	s_cbranch_execz .LBB134_50
; %bb.120:                              ;   in Loop: Header=BB134_52 Depth=1
	v_mov_b32_e32 v21, v17
	v_lshl_add_u64 v[2:3], v[6:7], 0, v[20:21]
	global_load_dwordx4 v[2:5], v[2:3], off
	s_waitcnt vmcnt(0)
	v_lshrrev_b32_e32 v7, 16, v2
	v_lshrrev_b32_e32 v21, 16, v3
	;; [unrolled: 1-line block ×4, first 2 shown]
	s_and_saveexec_b64 s[22:23], s[2:3]
	s_cbranch_execz .LBB134_122
; %bb.121:                              ;   in Loop: Header=BB134_52 Depth=1
	v_cmp_gt_i32_e64 s[0:1], s31, v1
	v_add_u32_e32 v31, 1, v1
	s_nop 0
	v_cndmask_b32_e64 v2, 0, v2, s[0:1]
	v_cmp_gt_i32_e64 s[0:1], s31, v31
	v_add_u32_e32 v31, 2, v1
	s_nop 0
	v_cndmask_b32_e64 v7, 0, v7, s[0:1]
	;; [unrolled: 4-line block ×7, first 2 shown]
	v_cmp_gt_i32_e64 s[0:1], s31, v31
	s_nop 1
	v_cndmask_b32_e64 v6, 0, v6, s[0:1]
.LBB134_122:                            ;   in Loop: Header=BB134_52 Depth=1
	s_or_b64 exec, exec, s[22:23]
	v_lshlrev_b32_e32 v2, 16, v2
	v_mul_f32_e32 v23, v23, v2
	v_and_b32_e32 v2, 0x7f800000, v23
	v_cmp_ne_u32_e64 s[0:1], s26, v2
                                        ; implicit-def: $vgpr2
	s_and_saveexec_b64 s[2:3], s[0:1]
	s_xor_b64 s[0:1], exec, s[2:3]
; %bb.123:                              ;   in Loop: Header=BB134_52 Depth=1
	v_bfe_u32 v2, v23, 16, 1
	v_add3_u32 v2, v23, v2, s27
                                        ; implicit-def: $vgpr23
; %bb.124:                              ;   in Loop: Header=BB134_52 Depth=1
	s_andn2_saveexec_b64 s[2:3], s[0:1]
; %bb.125:                              ;   in Loop: Header=BB134_52 Depth=1
	v_or_b32_e32 v2, 0x10000, v23
	v_cmp_eq_u32_sdwa s[0:1], v23, v17 src0_sel:WORD_0 src1_sel:DWORD
	s_nop 1
	v_cndmask_b32_e64 v2, v2, v23, s[0:1]
; %bb.126:                              ;   in Loop: Header=BB134_52 Depth=1
	s_or_b64 exec, exec, s[2:3]
	v_lshlrev_b32_e32 v7, 16, v7
	v_mul_f32_e32 v23, v24, v7
	v_and_b32_e32 v7, 0x7f800000, v23
	v_cmp_ne_u32_e64 s[0:1], s26, v7
                                        ; implicit-def: $vgpr7
	s_and_saveexec_b64 s[2:3], s[0:1]
	s_xor_b64 s[0:1], exec, s[2:3]
; %bb.127:                              ;   in Loop: Header=BB134_52 Depth=1
	v_bfe_u32 v7, v23, 16, 1
	v_add3_u32 v7, v23, v7, s27
                                        ; implicit-def: $vgpr23
; %bb.128:                              ;   in Loop: Header=BB134_52 Depth=1
	s_andn2_saveexec_b64 s[2:3], s[0:1]
; %bb.129:                              ;   in Loop: Header=BB134_52 Depth=1
	v_or_b32_e32 v7, 0x10000, v23
	v_cmp_eq_u32_sdwa s[0:1], v23, v17 src0_sel:WORD_0 src1_sel:DWORD
	s_nop 1
	v_cndmask_b32_e64 v7, v7, v23, s[0:1]
; %bb.130:                              ;   in Loop: Header=BB134_52 Depth=1
	s_or_b64 exec, exec, s[2:3]
	v_lshlrev_b32_e32 v3, 16, v3
	v_mul_f32_e32 v23, v25, v3
	v_and_b32_e32 v3, 0x7f800000, v23
	v_cmp_ne_u32_e64 s[0:1], s26, v3
                                        ; implicit-def: $vgpr3
	s_and_saveexec_b64 s[2:3], s[0:1]
	s_xor_b64 s[0:1], exec, s[2:3]
; %bb.131:                              ;   in Loop: Header=BB134_52 Depth=1
	v_bfe_u32 v3, v23, 16, 1
	v_add3_u32 v3, v23, v3, s27
                                        ; implicit-def: $vgpr23
; %bb.132:                              ;   in Loop: Header=BB134_52 Depth=1
	s_andn2_saveexec_b64 s[2:3], s[0:1]
; %bb.133:                              ;   in Loop: Header=BB134_52 Depth=1
	v_or_b32_e32 v3, 0x10000, v23
	v_cmp_eq_u32_sdwa s[0:1], v23, v17 src0_sel:WORD_0 src1_sel:DWORD
	s_nop 1
	v_cndmask_b32_e64 v3, v3, v23, s[0:1]
; %bb.134:                              ;   in Loop: Header=BB134_52 Depth=1
	s_or_b64 exec, exec, s[2:3]
	v_lshlrev_b32_e32 v21, 16, v21
	v_mul_f32_e32 v23, v26, v21
	v_and_b32_e32 v21, 0x7f800000, v23
	v_cmp_ne_u32_e64 s[0:1], s26, v21
                                        ; implicit-def: $vgpr21
	s_and_saveexec_b64 s[2:3], s[0:1]
	s_xor_b64 s[0:1], exec, s[2:3]
; %bb.135:                              ;   in Loop: Header=BB134_52 Depth=1
	v_bfe_u32 v21, v23, 16, 1
	v_add3_u32 v21, v23, v21, s27
                                        ; implicit-def: $vgpr23
; %bb.136:                              ;   in Loop: Header=BB134_52 Depth=1
	s_andn2_saveexec_b64 s[2:3], s[0:1]
; %bb.137:                              ;   in Loop: Header=BB134_52 Depth=1
	v_or_b32_e32 v21, 0x10000, v23
	v_cmp_eq_u32_sdwa s[0:1], v23, v17 src0_sel:WORD_0 src1_sel:DWORD
	s_nop 1
	v_cndmask_b32_e64 v21, v21, v23, s[0:1]
; %bb.138:                              ;   in Loop: Header=BB134_52 Depth=1
	s_or_b64 exec, exec, s[2:3]
	v_lshlrev_b32_e32 v4, 16, v4
	v_mul_f32_e32 v23, v27, v4
	v_and_b32_e32 v4, 0x7f800000, v23
	v_cmp_ne_u32_e64 s[0:1], s26, v4
                                        ; implicit-def: $vgpr4
	s_and_saveexec_b64 s[2:3], s[0:1]
	s_xor_b64 s[0:1], exec, s[2:3]
; %bb.139:                              ;   in Loop: Header=BB134_52 Depth=1
	v_bfe_u32 v4, v23, 16, 1
	v_add3_u32 v4, v23, v4, s27
                                        ; implicit-def: $vgpr23
; %bb.140:                              ;   in Loop: Header=BB134_52 Depth=1
	s_andn2_saveexec_b64 s[2:3], s[0:1]
; %bb.141:                              ;   in Loop: Header=BB134_52 Depth=1
	v_or_b32_e32 v4, 0x10000, v23
	v_cmp_eq_u32_sdwa s[0:1], v23, v17 src0_sel:WORD_0 src1_sel:DWORD
	s_nop 1
	v_cndmask_b32_e64 v4, v4, v23, s[0:1]
; %bb.142:                              ;   in Loop: Header=BB134_52 Depth=1
	s_or_b64 exec, exec, s[2:3]
	v_lshlrev_b32_e32 v9, 16, v9
	v_mul_f32_e32 v23, v28, v9
	v_and_b32_e32 v9, 0x7f800000, v23
	v_cmp_ne_u32_e64 s[0:1], s26, v9
                                        ; implicit-def: $vgpr9
	s_and_saveexec_b64 s[2:3], s[0:1]
	s_xor_b64 s[0:1], exec, s[2:3]
; %bb.143:                              ;   in Loop: Header=BB134_52 Depth=1
	v_bfe_u32 v9, v23, 16, 1
	v_add3_u32 v9, v23, v9, s27
                                        ; implicit-def: $vgpr23
; %bb.144:                              ;   in Loop: Header=BB134_52 Depth=1
	s_andn2_saveexec_b64 s[2:3], s[0:1]
; %bb.145:                              ;   in Loop: Header=BB134_52 Depth=1
	v_or_b32_e32 v9, 0x10000, v23
	v_cmp_eq_u32_sdwa s[0:1], v23, v17 src0_sel:WORD_0 src1_sel:DWORD
	s_nop 1
	v_cndmask_b32_e64 v9, v9, v23, s[0:1]
; %bb.146:                              ;   in Loop: Header=BB134_52 Depth=1
	s_or_b64 exec, exec, s[2:3]
	v_lshlrev_b32_e32 v5, 16, v5
	v_mul_f32_e32 v23, v29, v5
	v_and_b32_e32 v5, 0x7f800000, v23
	v_cmp_ne_u32_e64 s[0:1], s26, v5
                                        ; implicit-def: $vgpr5
	s_and_saveexec_b64 s[2:3], s[0:1]
	s_xor_b64 s[0:1], exec, s[2:3]
; %bb.147:                              ;   in Loop: Header=BB134_52 Depth=1
	v_bfe_u32 v5, v23, 16, 1
	v_add3_u32 v5, v23, v5, s27
                                        ; implicit-def: $vgpr23
; %bb.148:                              ;   in Loop: Header=BB134_52 Depth=1
	s_andn2_saveexec_b64 s[2:3], s[0:1]
; %bb.149:                              ;   in Loop: Header=BB134_52 Depth=1
	v_or_b32_e32 v5, 0x10000, v23
	v_cmp_eq_u32_sdwa s[0:1], v23, v17 src0_sel:WORD_0 src1_sel:DWORD
	s_nop 1
	v_cndmask_b32_e64 v5, v5, v23, s[0:1]
; %bb.150:                              ;   in Loop: Header=BB134_52 Depth=1
	s_or_b64 exec, exec, s[2:3]
	v_lshlrev_b32_e32 v6, 16, v6
	v_mul_f32_e32 v6, v30, v6
	v_and_b32_e32 v23, 0x7f800000, v6
	v_cmp_ne_u32_e64 s[0:1], s26, v23
                                        ; implicit-def: $vgpr23
	s_and_saveexec_b64 s[2:3], s[0:1]
	s_xor_b64 s[0:1], exec, s[2:3]
; %bb.151:                              ;   in Loop: Header=BB134_52 Depth=1
	v_bfe_u32 v23, v6, 16, 1
	v_add3_u32 v23, v6, v23, s27
                                        ; implicit-def: $vgpr6
; %bb.152:                              ;   in Loop: Header=BB134_52 Depth=1
	s_andn2_saveexec_b64 s[2:3], s[0:1]
	s_cbranch_execz .LBB134_49
; %bb.153:                              ;   in Loop: Header=BB134_52 Depth=1
	v_or_b32_e32 v23, 0x10000, v6
	v_cmp_eq_u32_sdwa s[0:1], v6, v17 src0_sel:WORD_0 src1_sel:DWORD
	s_nop 1
	v_cndmask_b32_e64 v23, v23, v6, s[0:1]
	s_branch .LBB134_49
.LBB134_154:
	s_or_b64 exec, exec, s[16:17]
.LBB134_155:
	s_or_b64 exec, exec, s[12:13]
	v_and_b32_e32 v1, 0x3c0, v0
	v_cmp_eq_u32_e32 vcc, 64, v1
	s_barrier
	s_and_saveexec_b64 s[0:1], vcc
	s_cbranch_execz .LBB134_158
; %bb.156:
	v_mov_b32_e32 v1, 0xf0
	v_lshl_add_u32 v2, v11, 2, v1
	ds_write_b32 v2, v14
	s_and_b64 exec, exec, s[10:11]
	s_cbranch_execz .LBB134_158
; %bb.157:
	v_lshl_add_u32 v1, v0, 2, v1
	ds_write_b32 v1, v15
.LBB134_158:
	s_or_b64 exec, exec, s[0:1]
	v_cmp_gt_u32_e32 vcc, 64, v0
	v_or_b32_e32 v1, 64, v0
	s_waitcnt lgkmcnt(0)
	s_barrier
	s_and_saveexec_b64 s[2:3], vcc
	s_cbranch_execz .LBB134_162
; %bb.159:
	v_mov_b32_e32 v2, 0xf0
	v_lshl_add_u32 v2, v0, 2, v2
	ds_read_b32 v0, v2
	s_movk_i32 s0, 0x70
	v_cmp_gt_u32_e64 s[0:1], s0, v1
	s_and_saveexec_b64 s[6:7], s[0:1]
	s_cbranch_execz .LBB134_161
; %bb.160:
	ds_read_b32 v2, v2 offset:256
	s_waitcnt lgkmcnt(0)
	v_add_f32_e32 v15, v15, v2
.LBB134_161:
	s_or_b64 exec, exec, s[6:7]
	s_waitcnt lgkmcnt(0)
	v_add_f32_e32 v14, v14, v0
.LBB134_162:
	s_or_b64 exec, exec, s[2:3]
	s_barrier
	s_and_saveexec_b64 s[0:1], vcc
	s_cbranch_execz .LBB134_173
; %bb.163:
	s_mov_b32 s0, 0x7f800000
	v_and_b32_e32 v0, 0x7f800000, v14
	v_cmp_ne_u32_e32 vcc, s0, v0
                                        ; implicit-def: $vgpr0
	s_and_saveexec_b64 s[0:1], vcc
	s_xor_b64 s[0:1], exec, s[0:1]
; %bb.164:
	v_bfe_u32 v0, v14, 16, 1
	s_movk_i32 s2, 0x7fff
	v_add3_u32 v0, v14, v0, s2
; %bb.165:
	s_andn2_saveexec_b64 s[0:1], s[0:1]
; %bb.166:
	v_mov_b32_e32 v0, 0
	v_or_b32_e32 v2, 0x10000, v14
	v_cmp_eq_u32_sdwa vcc, v14, v0 src0_sel:WORD_0 src1_sel:DWORD
	s_nop 1
	v_cndmask_b32_e32 v0, v2, v14, vcc
; %bb.167:
	s_or_b64 exec, exec, s[0:1]
	s_mul_i32 s0, s8, 0x70
	s_ashr_i32 s1, s0, 31
	s_lshl_b64 s[0:1], s[0:1], 1
	s_add_u32 s3, s28, s0
	s_mul_i32 s0, s15, s14
	s_addc_u32 s5, s29, s1
	s_ashr_i32 s1, s0, 31
	s_lshl_b64 s[0:1], s[0:1], 1
	s_add_u32 s3, s3, s0
	s_mul_i32 s0, s4, 0x70
	s_addc_u32 s5, s5, s1
	s_ashr_i32 s1, s0, 31
	s_lshl_b64 s[0:1], s[0:1], 1
	s_movk_i32 s2, 0x70
	s_add_u32 s0, s3, s0
	s_addc_u32 s1, s5, s1
	v_cmp_gt_u32_e32 vcc, s2, v1
	global_store_short_d16_hi v10, v0, s[0:1]
	s_and_b64 exec, exec, vcc
	s_cbranch_execz .LBB134_173
; %bb.168:
	s_mov_b32 s2, 0x7f800000
	v_and_b32_e32 v0, 0x7f800000, v15
	v_mov_b32_e32 v11, 0
	v_cmp_ne_u32_e32 vcc, s2, v0
                                        ; implicit-def: $vgpr2
	s_and_saveexec_b64 s[2:3], vcc
	s_xor_b64 s[2:3], exec, s[2:3]
; %bb.169:
	v_bfe_u32 v0, v15, 16, 1
	s_movk_i32 s4, 0x7fff
	v_add3_u32 v2, v15, v0, s4
                                        ; implicit-def: $vgpr15
; %bb.170:
	s_or_saveexec_b64 s[2:3], s[2:3]
	v_lshl_add_u64 v[0:1], s[0:1], 0, v[10:11]
	s_xor_b64 exec, exec, s[2:3]
; %bb.171:
	v_mov_b32_e32 v2, 0
	v_or_b32_e32 v3, 0x10000, v15
	v_cmp_eq_u32_sdwa vcc, v15, v2 src0_sel:WORD_0 src1_sel:DWORD
	s_nop 1
	v_cndmask_b32_e32 v2, v3, v15, vcc
; %bb.172:
	s_or_b64 exec, exec, s[2:3]
	global_store_short_d16_hi v[0:1], v2, off offset:128
.LBB134_173:
	s_endpgm
	.section	.rodata,"a",@progbits
	.p2align	6, 0x0
	.amdhsa_kernel _ZN4vllm25paged_attention_v2_kernelI14__hip_bfloat16S1_Li112ELi8ELi128ELNS_18Fp8KVCacheDataTypeE0ELb1ELi512EEEvPfS3_PT_PKS4_PKT0_SA_ifPKiSC_iPKfiiiSE_SE_iiiii
		.amdhsa_group_segment_fixed_size 240
		.amdhsa_private_segment_fixed_size 0
		.amdhsa_kernarg_size 400
		.amdhsa_user_sgpr_count 2
		.amdhsa_user_sgpr_dispatch_ptr 0
		.amdhsa_user_sgpr_queue_ptr 0
		.amdhsa_user_sgpr_kernarg_segment_ptr 1
		.amdhsa_user_sgpr_dispatch_id 0
		.amdhsa_user_sgpr_kernarg_preload_length 0
		.amdhsa_user_sgpr_kernarg_preload_offset 0
		.amdhsa_user_sgpr_private_segment_size 0
		.amdhsa_uses_dynamic_stack 0
		.amdhsa_enable_private_segment 0
		.amdhsa_system_sgpr_workgroup_id_x 1
		.amdhsa_system_sgpr_workgroup_id_y 1
		.amdhsa_system_sgpr_workgroup_id_z 1
		.amdhsa_system_sgpr_workgroup_info 0
		.amdhsa_system_vgpr_workitem_id 0
		.amdhsa_next_free_vgpr 54
		.amdhsa_next_free_sgpr 54
		.amdhsa_accum_offset 56
		.amdhsa_reserve_vcc 1
		.amdhsa_float_round_mode_32 0
		.amdhsa_float_round_mode_16_64 0
		.amdhsa_float_denorm_mode_32 3
		.amdhsa_float_denorm_mode_16_64 3
		.amdhsa_dx10_clamp 1
		.amdhsa_ieee_mode 1
		.amdhsa_fp16_overflow 0
		.amdhsa_tg_split 0
		.amdhsa_exception_fp_ieee_invalid_op 0
		.amdhsa_exception_fp_denorm_src 0
		.amdhsa_exception_fp_ieee_div_zero 0
		.amdhsa_exception_fp_ieee_overflow 0
		.amdhsa_exception_fp_ieee_underflow 0
		.amdhsa_exception_fp_ieee_inexact 0
		.amdhsa_exception_int_div_zero 0
	.end_amdhsa_kernel
	.section	.text._ZN4vllm25paged_attention_v2_kernelI14__hip_bfloat16S1_Li112ELi8ELi128ELNS_18Fp8KVCacheDataTypeE0ELb1ELi512EEEvPfS3_PT_PKS4_PKT0_SA_ifPKiSC_iPKfiiiSE_SE_iiiii,"axG",@progbits,_ZN4vllm25paged_attention_v2_kernelI14__hip_bfloat16S1_Li112ELi8ELi128ELNS_18Fp8KVCacheDataTypeE0ELb1ELi512EEEvPfS3_PT_PKS4_PKT0_SA_ifPKiSC_iPKfiiiSE_SE_iiiii,comdat
.Lfunc_end134:
	.size	_ZN4vllm25paged_attention_v2_kernelI14__hip_bfloat16S1_Li112ELi8ELi128ELNS_18Fp8KVCacheDataTypeE0ELb1ELi512EEEvPfS3_PT_PKS4_PKT0_SA_ifPKiSC_iPKfiiiSE_SE_iiiii, .Lfunc_end134-_ZN4vllm25paged_attention_v2_kernelI14__hip_bfloat16S1_Li112ELi8ELi128ELNS_18Fp8KVCacheDataTypeE0ELb1ELi512EEEvPfS3_PT_PKS4_PKT0_SA_ifPKiSC_iPKfiiiSE_SE_iiiii
                                        ; -- End function
	.section	.AMDGPU.csdata,"",@progbits
; Kernel info:
; codeLenInByte = 7268
; NumSgprs: 60
; NumVgprs: 54
; NumAgprs: 0
; TotalNumVgprs: 54
; ScratchSize: 0
; MemoryBound: 0
; FloatMode: 240
; IeeeMode: 1
; LDSByteSize: 240 bytes/workgroup (compile time only)
; SGPRBlocks: 7
; VGPRBlocks: 6
; NumSGPRsForWavesPerEU: 60
; NumVGPRsForWavesPerEU: 54
; AccumOffset: 56
; Occupancy: 8
; WaveLimiterHint : 1
; COMPUTE_PGM_RSRC2:SCRATCH_EN: 0
; COMPUTE_PGM_RSRC2:USER_SGPR: 2
; COMPUTE_PGM_RSRC2:TRAP_HANDLER: 0
; COMPUTE_PGM_RSRC2:TGID_X_EN: 1
; COMPUTE_PGM_RSRC2:TGID_Y_EN: 1
; COMPUTE_PGM_RSRC2:TGID_Z_EN: 1
; COMPUTE_PGM_RSRC2:TIDIG_COMP_CNT: 0
; COMPUTE_PGM_RSRC3_GFX90A:ACCUM_OFFSET: 13
; COMPUTE_PGM_RSRC3_GFX90A:TG_SPLIT: 0
	.section	.text._ZN4vllm32paged_attention_v2_reduce_kernelI14__hip_bfloat16Li112ELi128ELi512EEEvPT_PKfS5_PKS2_PKii,"axG",@progbits,_ZN4vllm32paged_attention_v2_reduce_kernelI14__hip_bfloat16Li112ELi128ELi512EEEvPT_PKfS5_PKS2_PKii,comdat
	.protected	_ZN4vllm32paged_attention_v2_reduce_kernelI14__hip_bfloat16Li112ELi128ELi512EEEvPT_PKfS5_PKS2_PKii ; -- Begin function _ZN4vllm32paged_attention_v2_reduce_kernelI14__hip_bfloat16Li112ELi128ELi512EEEvPT_PKfS5_PKS2_PKii
	.globl	_ZN4vllm32paged_attention_v2_reduce_kernelI14__hip_bfloat16Li112ELi128ELi512EEEvPT_PKfS5_PKS2_PKii
	.p2align	8
	.type	_ZN4vllm32paged_attention_v2_reduce_kernelI14__hip_bfloat16Li112ELi128ELi512EEEvPT_PKfS5_PKS2_PKii,@function
_ZN4vllm32paged_attention_v2_reduce_kernelI14__hip_bfloat16Li112ELi128ELi512EEEvPT_PKfS5_PKS2_PKii: ; @_ZN4vllm32paged_attention_v2_reduce_kernelI14__hip_bfloat16Li112ELi128ELi512EEEvPT_PKfS5_PKS2_PKii
; %bb.0:
	s_load_dwordx4 s[8:11], s[0:1], 0x18
	s_add_u32 s6, s0, 48
	s_mov_b32 s12, s3
	s_addc_u32 s7, s1, 0
	s_ashr_i32 s13, s3, 31
	s_lshl_b64 s[4:5], s[12:13], 2
	s_waitcnt lgkmcnt(0)
	s_add_u32 s4, s10, s4
	s_addc_u32 s5, s11, s5
	s_load_dword s26, s[4:5], 0x0
	s_load_dwordx2 s[10:11], s[0:1], 0x0
	s_load_dword s13, s[0:1], 0x28
	s_load_dword s3, s[0:1], 0x30
	s_waitcnt lgkmcnt(0)
	s_add_i32 s4, s26, -1
	s_cmpk_gt_u32 s4, 0x1ff
	s_mov_b64 s[4:5], -1
	s_cbranch_scc0 .LBB135_29
; %bb.1:
	s_add_i32 s4, s26, 0x1ff
	s_load_dwordx2 s[18:19], s[0:1], 0x8
	s_ashr_i32 s5, s4, 31
	s_lshr_b32 s5, s5, 23
	s_add_i32 s4, s4, s5
	s_mul_i32 s24, s3, s12
	s_ashr_i32 s25, s4, 9
	s_mul_i32 s14, s24, s13
	s_mul_i32 s16, s2, s13
	s_ashr_i32 s15, s14, 31
	s_ashr_i32 s17, s16, 31
	v_cmp_gt_i32_e32 vcc, s25, v0
	v_mov_b32_e32 v6, 0xff7fffff
	v_lshlrev_b32_e32 v2, 2, v0
	s_and_saveexec_b64 s[4:5], vcc
	s_cbranch_execz .LBB135_5
; %bb.2:
	s_load_dword s20, s[6:7], 0xc
	s_load_dwordx2 s[22:23], s[0:1], 0x10
	s_lshl_b64 s[0:1], s[14:15], 2
	s_lshl_b64 s[28:29], s[16:17], 2
	v_mov_b32_e32 v3, 0
	s_waitcnt lgkmcnt(0)
	s_and_b32 s27, s20, 0xffff
	s_add_u32 s0, s0, s28
	s_addc_u32 s1, s1, s29
	s_add_u32 s0, s22, s0
	s_addc_u32 s1, s23, s1
	s_mov_b32 s21, 0
	v_lshl_add_u64 v[4:5], s[0:1], 0, v[2:3]
	s_lshl_b32 s20, s27, 2
	v_add_u32_e32 v1, 16, v2
	s_mov_b64 s[22:23], 0
	v_mov_b32_e32 v6, 0xff7fffff
	v_mov_b32_e32 v3, v0
.LBB135_3:                              ; =>This Inner Loop Header: Depth=1
	global_load_dword v7, v[4:5], off
	v_add_u32_e32 v3, s27, v3
	v_max_f32_e32 v6, v6, v6
	v_cmp_le_i32_e64 s[0:1], s25, v3
	v_lshl_add_u64 v[4:5], v[4:5], 0, s[20:21]
	s_or_b64 s[22:23], s[0:1], s[22:23]
	s_waitcnt vmcnt(0)
	ds_write_b32 v1, v7
	v_max_f32_e32 v7, v7, v7
	v_add_u32_e32 v1, s20, v1
	v_max_f32_e32 v6, v6, v7
	s_andn2_b64 exec, exec, s[22:23]
	s_cbranch_execnz .LBB135_3
; %bb.4:
	s_or_b64 exec, exec, s[22:23]
.LBB135_5:
	s_or_b64 exec, exec, s[4:5]
	v_mbcnt_lo_u32_b32 v1, -1, 0
	v_mbcnt_hi_u32_b32 v3, -1, v1
	v_and_b32_e32 v1, 64, v3
	v_add_u32_e32 v7, 64, v1
	v_xor_b32_e32 v1, 32, v3
	v_cmp_lt_i32_e64 s[0:1], v1, v7
	v_max_f32_e32 v5, v6, v6
	v_xor_b32_e32 v8, 8, v3
	v_cndmask_b32_e64 v1, v3, v1, s[0:1]
	v_lshlrev_b32_e32 v1, 2, v1
	ds_bpermute_b32 v4, v1, v6
	v_xor_b32_e32 v6, 16, v3
	v_cmp_lt_i32_e64 s[0:1], v6, v7
	v_xor_b32_e32 v9, 4, v3
	v_xor_b32_e32 v10, 2, v3
	s_waitcnt lgkmcnt(0)
	v_max_f32_e32 v4, v4, v4
	v_max_f32_e32 v4, v5, v4
	v_cndmask_b32_e64 v5, v3, v6, s[0:1]
	v_lshlrev_b32_e32 v6, 2, v5
	ds_bpermute_b32 v5, v6, v4
	v_cmp_lt_i32_e64 s[0:1], v8, v7
	v_lshrrev_b32_e32 v13, 6, v0
	s_waitcnt lgkmcnt(0)
	s_barrier
	v_max_f32_e32 v5, v5, v5
	v_max_f32_e32 v4, v4, v5
	v_cndmask_b32_e64 v5, v3, v8, s[0:1]
	v_lshlrev_b32_e32 v8, 2, v5
	ds_bpermute_b32 v5, v8, v4
	v_cmp_lt_i32_e64 s[0:1], v9, v7
	s_waitcnt lgkmcnt(0)
	v_max_f32_e32 v5, v5, v5
	v_max_f32_e32 v4, v4, v5
	v_cndmask_b32_e64 v5, v3, v9, s[0:1]
	v_lshlrev_b32_e32 v9, 2, v5
	ds_bpermute_b32 v5, v9, v4
	v_cmp_lt_i32_e64 s[0:1], v10, v7
	s_waitcnt lgkmcnt(0)
	v_max_f32_e32 v5, v5, v5
	v_max_f32_e32 v5, v4, v5
	v_cndmask_b32_e64 v4, v3, v10, s[0:1]
	v_lshlrev_b32_e32 v10, 2, v4
	ds_bpermute_b32 v11, v10, v5
	v_and_b32_e32 v4, 63, v0
	s_waitcnt lgkmcnt(0)
	v_max_f32_e32 v11, v11, v11
	v_max_f32_e32 v5, v5, v11
	v_xor_b32_e32 v11, 1, v3
	v_cmp_lt_i32_e64 s[0:1], v11, v7
	s_nop 1
	v_cndmask_b32_e64 v7, v3, v11, s[0:1]
	v_lshlrev_b32_e32 v7, 2, v7
	ds_bpermute_b32 v12, v7, v5
	v_cmp_eq_u32_e64 s[0:1], 0, v4
	v_lshlrev_b32_e32 v11, 2, v13
	s_and_saveexec_b64 s[4:5], s[0:1]
	s_cbranch_execz .LBB135_7
; %bb.6:
	s_waitcnt lgkmcnt(0)
	v_max_f32_e32 v12, v12, v12
	v_max_f32_e32 v5, v5, v5
	;; [unrolled: 1-line block ×3, first 2 shown]
	ds_write_b32 v11, v5
.LBB135_7:
	s_or_b64 exec, exec, s[4:5]
	v_cmp_gt_u32_e64 s[4:5], 2, v4
	v_mov_b32_e32 v5, 0xff7fffff
	s_waitcnt lgkmcnt(0)
	v_lshlrev_b32_e32 v12, 2, v4
	s_barrier
	s_and_saveexec_b64 s[20:21], s[4:5]
	s_cbranch_execz .LBB135_9
; %bb.8:
	ds_read_b32 v5, v12
.LBB135_9:
	s_or_b64 exec, exec, s[20:21]
	s_waitcnt lgkmcnt(0)
	ds_bpermute_b32 v4, v7, v5
	v_max_f32_e32 v5, v5, v5
	v_lshlrev_b32_e32 v3, 2, v3
	v_and_b32_e32 v13, 0x100, v3
	s_lshl_b32 s27, s25, 2
	s_waitcnt lgkmcnt(0)
	v_max_f32_e32 v4, v4, v4
	v_max_f32_e32 v4, v5, v4
	ds_bpermute_b32 v14, v13, v4
	v_mov_b32_e32 v3, 0
	s_and_saveexec_b64 s[20:21], vcc
	s_cbranch_execz .LBB135_13
; %bb.10:
	s_load_dword s22, s[6:7], 0xc
	s_lshl_b64 s[28:29], s[14:15], 2
	s_lshl_b64 s[30:31], s[16:17], 2
	v_mov_b32_e32 v3, 0
	s_mov_b32 s23, 0
	s_waitcnt lgkmcnt(0)
	s_and_b32 s15, s22, 0xffff
	s_add_u32 s17, s28, s30
	s_addc_u32 s22, s29, s31
	s_add_u32 s18, s18, s17
	s_addc_u32 s19, s19, s22
	v_lshl_add_u64 v[4:5], s[18:19], 0, v[2:3]
	s_lshl_b32 s22, s15, 2
	v_add_u32_e32 v2, 16, v2
	s_mov_b64 s[18:19], 0
	s_mov_b32 s17, 0x3fb8aa3b
	s_mov_b32 s28, 0xc2ce8ed0
	;; [unrolled: 1-line block ×3, first 2 shown]
	v_mov_b32_e32 v15, 0x7f800000
	v_mov_b32_e32 v16, v0
.LBB135_11:                             ; =>This Inner Loop Header: Depth=1
	global_load_dword v17, v[4:5], off
	ds_read_b32 v18, v2
	v_add_u32_e32 v16, s15, v16
	v_cmp_le_i32_e32 vcc, s25, v16
	s_or_b64 s[18:19], vcc, s[18:19]
	v_add_u32_e32 v19, s27, v2
	s_waitcnt lgkmcnt(0)
	v_sub_f32_e32 v18, v18, v14
	v_mul_f32_e32 v20, 0x3fb8aa3b, v18
	v_fma_f32 v21, v18, s17, -v20
	v_rndne_f32_e32 v22, v20
	v_fmac_f32_e32 v21, 0x32a5705f, v18
	v_sub_f32_e32 v20, v20, v22
	v_add_f32_e32 v20, v20, v21
	v_cvt_i32_f32_e32 v22, v22
	v_exp_f32_e32 v20, v20
	v_cmp_ngt_f32_e32 vcc, s28, v18
	v_lshl_add_u64 v[4:5], v[4:5], 0, s[22:23]
	v_add_u32_e32 v2, s22, v2
	v_ldexp_f32 v20, v20, v22
	v_cndmask_b32_e32 v20, 0, v20, vcc
	v_cmp_nlt_f32_e32 vcc, s29, v18
	s_nop 1
	v_cndmask_b32_e32 v18, v15, v20, vcc
	s_waitcnt vmcnt(0)
	v_mul_f32_e32 v20, v17, v18
	v_fmac_f32_e32 v3, v17, v18
	ds_write_b32 v19, v20
	s_andn2_b64 exec, exec, s[18:19]
	s_cbranch_execnz .LBB135_11
; %bb.12:
	s_or_b64 exec, exec, s[18:19]
.LBB135_13:
	s_or_b64 exec, exec, s[20:21]
	ds_bpermute_b32 v1, v1, v3
	s_waitcnt lgkmcnt(0)
	s_barrier
	v_add_f32_e32 v1, v3, v1
	ds_bpermute_b32 v2, v6, v1
	s_waitcnt lgkmcnt(0)
	v_add_f32_e32 v1, v1, v2
	ds_bpermute_b32 v2, v8, v1
	s_waitcnt lgkmcnt(0)
	;; [unrolled: 3-line block ×5, first 2 shown]
	v_add_f32_e32 v1, v1, v2
	s_and_saveexec_b64 s[18:19], s[0:1]
	s_cbranch_execz .LBB135_15
; %bb.14:
	ds_write_b32 v11, v1 offset:8
.LBB135_15:
	s_or_b64 exec, exec, s[18:19]
	s_waitcnt lgkmcnt(0)
	s_barrier
	s_and_saveexec_b64 s[0:1], s[4:5]
	s_cbranch_execz .LBB135_17
; %bb.16:
	ds_read_b32 v1, v12 offset:8
.LBB135_17:
	s_or_b64 exec, exec, s[0:1]
	s_waitcnt lgkmcnt(0)
	ds_bpermute_b32 v2, v7, v1
	s_movk_i32 s0, 0x70
	v_cmp_gt_u32_e32 vcc, s0, v0
	s_waitcnt lgkmcnt(0)
	v_add_f32_e32 v1, v1, v2
	ds_bpermute_b32 v2, v13, v1
	s_and_saveexec_b64 s[0:1], vcc
	s_cbranch_execz .LBB135_28
; %bb.18:
	s_cmp_gt_i32 s26, 0
	s_mov_b32 s15, 0
	s_cbranch_scc1 .LBB135_20
; %bb.19:
	v_mov_b32_e32 v1, 0
	v_mov_b32_e32 v4, s15
	s_cbranch_execz .LBB135_21
	s_branch .LBB135_23
.LBB135_20:
                                        ; implicit-def: $sgpr15
	v_mov_b32_e32 v4, s15
.LBB135_21:
	s_waitcnt lgkmcnt(0)
	v_add_f32_e32 v1, 0x358637bd, v2
	v_div_scale_f32 v2, s[4:5], v1, v1, 1.0
	v_rcp_f32_e32 v3, v2
	s_mul_i32 s4, s14, 0x70
	s_mulk_i32 s16, 0x70
	s_ashr_i32 s5, s4, 31
	v_fma_f32 v4, -v2, v3, 1.0
	v_fmac_f32_e32 v3, v4, v3
	v_div_scale_f32 v4, vcc, 1.0, v1, 1.0
	v_mul_f32_e32 v5, v4, v3
	v_fma_f32 v6, -v2, v5, v4
	s_ashr_i32 s17, s16, 31
	s_max_i32 s15, s25, 1
	v_fmac_f32_e32 v5, v6, v3
	s_add_i32 s14, s27, 16
	s_lshl_b64 s[4:5], s[4:5], 1
	s_lshl_b64 s[16:17], s[16:17], 1
	v_fma_f32 v2, -v2, v5, v4
	s_add_u32 s4, s4, s16
	v_div_fmas_f32 v2, v2, v3, v5
	s_addc_u32 s5, s5, s17
	v_div_fixup_f32 v5, v2, v1, 1.0
	v_mov_b32_e32 v1, 0
	s_add_u32 s4, s8, s4
	v_lshlrev_b32_e32 v2, 1, v0
	v_mov_b32_e32 v3, v1
	s_addc_u32 s5, s9, s5
	v_lshl_add_u64 v[2:3], s[4:5], 0, v[2:3]
	s_mov_b64 s[4:5], 0xe0
	v_mov_b32_e32 v4, v1
.LBB135_22:                             ; =>This Inner Loop Header: Depth=1
	global_load_ushort v6, v[2:3], off
	v_mov_b32_e32 v7, s14
	ds_read_b32 v7, v7
	s_add_i32 s15, s15, -1
	s_add_i32 s14, s14, 4
	v_lshl_add_u64 v[2:3], v[2:3], 0, s[4:5]
	s_cmp_eq_u32 s15, 0
	s_waitcnt vmcnt(0)
	v_lshlrev_b32_e32 v6, 16, v6
	s_waitcnt lgkmcnt(0)
	v_mul_f32_e32 v6, v7, v6
	v_fmac_f32_e32 v4, v5, v6
	s_cbranch_scc0 .LBB135_22
.LBB135_23:
	s_mov_b32 s4, 0x7f800000
	s_waitcnt lgkmcnt(0)
	v_and_b32_e32 v2, 0x7f800000, v4
	v_cmp_ne_u32_e32 vcc, s4, v2
                                        ; implicit-def: $vgpr2
	s_and_saveexec_b64 s[4:5], vcc
	s_xor_b64 s[4:5], exec, s[4:5]
; %bb.24:
	v_bfe_u32 v2, v4, 16, 1
	s_movk_i32 s14, 0x7fff
	v_add3_u32 v2, v4, v2, s14
                                        ; implicit-def: $vgpr4
; %bb.25:
	s_andn2_saveexec_b64 s[4:5], s[4:5]
; %bb.26:
	v_mov_b32_e32 v2, 0
	v_or_b32_e32 v3, 0x10000, v4
	v_cmp_eq_u32_sdwa vcc, v4, v2 src0_sel:WORD_0 src1_sel:DWORD
	s_nop 1
	v_cndmask_b32_e32 v2, v3, v4, vcc
; %bb.27:
	s_or_b64 exec, exec, s[4:5]
	s_mul_i32 s4, s24, 0x70
	s_ashr_i32 s5, s4, 31
	s_lshl_b64 s[4:5], s[4:5], 1
	s_add_u32 s14, s10, s4
	s_mul_i32 s4, s2, 0x70
	s_addc_u32 s15, s11, s5
	s_ashr_i32 s5, s4, 31
	s_lshl_b64 s[4:5], s[4:5], 1
	s_add_u32 s4, s14, s4
	s_addc_u32 s5, s15, s5
	v_lshl_add_u64 v[4:5], v[0:1], 1, s[4:5]
	global_store_short_d16_hi v[4:5], v2, off
.LBB135_28:
	s_or_b64 exec, exec, s[0:1]
	s_mov_b64 s[4:5], 0
.LBB135_29:
	s_and_b64 vcc, exec, s[4:5]
	s_cbranch_vccz .LBB135_38
; %bb.30:
	s_movk_i32 s0, 0x70
	v_cmp_gt_u32_e32 vcc, s0, v0
	s_and_saveexec_b64 s[4:5], vcc
	s_cbranch_execz .LBB135_38
; %bb.31:
	s_mul_i32 s1, s3, s12
	s_mul_i32 s4, s1, 0x70
	s_ashr_i32 s5, s4, 31
	s_lshl_b64 s[14:15], s[4:5], 1
	s_add_u32 s1, s10, s14
	s_mul_i32 s10, s2, 0x70
	s_addc_u32 s5, s11, s15
	s_ashr_i32 s11, s10, 31
	s_lshl_b64 s[2:3], s[10:11], 1
	s_add_u32 s2, s1, s2
	s_mul_i32 s4, s4, s13
	s_addc_u32 s3, s5, s3
	s_ashr_i32 s5, s4, 31
	s_lshl_b64 s[4:5], s[4:5], 1
	s_load_dword s6, s[6:7], 0xc
	s_add_u32 s1, s8, s4
	s_mul_i32 s4, s10, s13
	s_addc_u32 s8, s9, s5
	s_ashr_i32 s5, s4, 31
	s_lshl_b64 s[4:5], s[4:5], 1
	s_add_u32 s4, s1, s4
	s_addc_u32 s5, s8, s5
	s_waitcnt lgkmcnt(0)
	s_and_b32 s8, s6, 0xffff
	v_cvt_f32_u32_e32 v1, s8
	v_add_u32_e32 v2, s8, v0
	v_mov_b32_e32 v4, s8
	v_cmp_gt_u32_e32 vcc, s0, v2
	v_rcp_iflag_f32_e32 v1, v1
	s_cmp_eq_u32 s8, 1
	v_max_u32_e32 v3, 0x70, v2
	v_addc_co_u32_e64 v2, s[0:1], v0, v4, vcc
	v_mul_f32_e32 v1, 0x4f7ffffe, v1
	v_cvt_u32_f32_e32 v1, v1
	s_cselect_b64 s[6:7], -1, 0
	s_sub_i32 s0, 0, s8
	v_sub_u32_e32 v2, v3, v2
	v_mul_lo_u32 v3, s0, v1
	v_mul_hi_u32 v3, v1, v3
	v_add_u32_e32 v1, v1, v3
	v_mul_hi_u32 v1, v2, v1
	v_mul_lo_u32 v3, v1, s8
	v_sub_u32_e32 v2, v2, v3
	v_add_u32_e32 v3, 1, v1
	v_cmp_le_u32_e64 s[0:1], s8, v2
	s_nop 1
	v_cndmask_b32_e64 v1, v1, v3, s[0:1]
	v_subrev_u32_e32 v3, s8, v2
	v_cndmask_b32_e64 v2, v2, v3, s[0:1]
	v_add_u32_e32 v3, 1, v1
	v_cmp_le_u32_e64 s[0:1], s8, v2
	s_nop 1
	v_cndmask_b32_e64 v1, v1, v3, s[0:1]
	v_addc_co_u32_e32 v1, vcc, 1, v1, vcc
	v_cmp_lt_u32_e32 vcc, 31, v1
	s_and_b64 s[10:11], vcc, s[6:7]
	s_mov_b64 s[6:7], -1
	s_and_saveexec_b64 s[0:1], s[10:11]
	s_cbranch_execz .LBB135_35
; %bb.32:
	v_and_b32_e32 v4, 0xffffffe0, v1
	s_mov_b64 s[6:7], 0
	v_mov_b32_e32 v3, 0
	v_mov_b32_e32 v2, v0
	;; [unrolled: 1-line block ×3, first 2 shown]
.LBB135_33:                             ; =>This Inner Loop Header: Depth=1
	v_lshlrev_b64 v[22:23], 1, v[2:3]
	v_lshl_add_u64 v[24:25], s[4:5], 0, v[22:23]
	global_load_dwordx4 v[6:9], v[24:25], off
	global_load_dwordx4 v[10:13], v[24:25], off offset:16
	global_load_dwordx4 v[14:17], v[24:25], off offset:32
	;; [unrolled: 1-line block ×3, first 2 shown]
	v_subrev_u32_e32 v5, 32, v5
	v_cmp_eq_u32_e32 vcc, 0, v5
	v_add_u32_e32 v2, 32, v2
	v_lshl_add_u64 v[22:23], s[2:3], 0, v[22:23]
	s_or_b64 s[6:7], vcc, s[6:7]
	s_waitcnt vmcnt(3)
	global_store_dwordx4 v[22:23], v[6:9], off
	s_waitcnt vmcnt(3)
	global_store_dwordx4 v[22:23], v[10:13], off offset:16
	s_waitcnt vmcnt(3)
	global_store_dwordx4 v[22:23], v[14:17], off offset:32
	;; [unrolled: 2-line block ×3, first 2 shown]
	s_andn2_b64 exec, exec, s[6:7]
	s_cbranch_execnz .LBB135_33
; %bb.34:
	s_or_b64 exec, exec, s[6:7]
	v_cmp_ne_u32_e32 vcc, v1, v4
	v_add_u32_e32 v0, v0, v4
	s_orn2_b64 s[6:7], vcc, exec
.LBB135_35:
	s_or_b64 exec, exec, s[0:1]
	s_and_b64 exec, exec, s[6:7]
	s_cbranch_execz .LBB135_38
; %bb.36:
	v_mov_b32_e32 v1, 0
	s_mov_b32 s1, 0
	v_lshlrev_b64 v[2:3], 1, v[0:1]
	s_lshl_b32 s0, s8, 1
	s_mov_b64 s[6:7], 0
	s_movk_i32 s9, 0x6f
.LBB135_37:                             ; =>This Inner Loop Header: Depth=1
	v_lshl_add_u64 v[4:5], s[4:5], 0, v[2:3]
	global_load_ushort v1, v[4:5], off
	v_add_u32_e32 v0, s8, v0
	v_cmp_lt_u32_e32 vcc, s9, v0
	v_lshl_add_u64 v[4:5], s[2:3], 0, v[2:3]
	v_lshl_add_u64 v[2:3], v[2:3], 0, s[0:1]
	s_or_b64 s[6:7], vcc, s[6:7]
	s_waitcnt vmcnt(0)
	global_store_short v[4:5], v1, off
	s_andn2_b64 exec, exec, s[6:7]
	s_cbranch_execnz .LBB135_37
.LBB135_38:
	s_endpgm
	.section	.rodata,"a",@progbits
	.p2align	6, 0x0
	.amdhsa_kernel _ZN4vllm32paged_attention_v2_reduce_kernelI14__hip_bfloat16Li112ELi128ELi512EEEvPT_PKfS5_PKS2_PKii
		.amdhsa_group_segment_fixed_size 16
		.amdhsa_private_segment_fixed_size 0
		.amdhsa_kernarg_size 304
		.amdhsa_user_sgpr_count 2
		.amdhsa_user_sgpr_dispatch_ptr 0
		.amdhsa_user_sgpr_queue_ptr 0
		.amdhsa_user_sgpr_kernarg_segment_ptr 1
		.amdhsa_user_sgpr_dispatch_id 0
		.amdhsa_user_sgpr_kernarg_preload_length 0
		.amdhsa_user_sgpr_kernarg_preload_offset 0
		.amdhsa_user_sgpr_private_segment_size 0
		.amdhsa_uses_dynamic_stack 0
		.amdhsa_enable_private_segment 0
		.amdhsa_system_sgpr_workgroup_id_x 1
		.amdhsa_system_sgpr_workgroup_id_y 1
		.amdhsa_system_sgpr_workgroup_id_z 0
		.amdhsa_system_sgpr_workgroup_info 0
		.amdhsa_system_vgpr_workitem_id 0
		.amdhsa_next_free_vgpr 26
		.amdhsa_next_free_sgpr 32
		.amdhsa_accum_offset 28
		.amdhsa_reserve_vcc 1
		.amdhsa_float_round_mode_32 0
		.amdhsa_float_round_mode_16_64 0
		.amdhsa_float_denorm_mode_32 3
		.amdhsa_float_denorm_mode_16_64 3
		.amdhsa_dx10_clamp 1
		.amdhsa_ieee_mode 1
		.amdhsa_fp16_overflow 0
		.amdhsa_tg_split 0
		.amdhsa_exception_fp_ieee_invalid_op 0
		.amdhsa_exception_fp_denorm_src 0
		.amdhsa_exception_fp_ieee_div_zero 0
		.amdhsa_exception_fp_ieee_overflow 0
		.amdhsa_exception_fp_ieee_underflow 0
		.amdhsa_exception_fp_ieee_inexact 0
		.amdhsa_exception_int_div_zero 0
	.end_amdhsa_kernel
	.section	.text._ZN4vllm32paged_attention_v2_reduce_kernelI14__hip_bfloat16Li112ELi128ELi512EEEvPT_PKfS5_PKS2_PKii,"axG",@progbits,_ZN4vllm32paged_attention_v2_reduce_kernelI14__hip_bfloat16Li112ELi128ELi512EEEvPT_PKfS5_PKS2_PKii,comdat
.Lfunc_end135:
	.size	_ZN4vllm32paged_attention_v2_reduce_kernelI14__hip_bfloat16Li112ELi128ELi512EEEvPT_PKfS5_PKS2_PKii, .Lfunc_end135-_ZN4vllm32paged_attention_v2_reduce_kernelI14__hip_bfloat16Li112ELi128ELi512EEEvPT_PKfS5_PKS2_PKii
                                        ; -- End function
	.section	.AMDGPU.csdata,"",@progbits
; Kernel info:
; codeLenInByte = 2276
; NumSgprs: 38
; NumVgprs: 26
; NumAgprs: 0
; TotalNumVgprs: 26
; ScratchSize: 0
; MemoryBound: 0
; FloatMode: 240
; IeeeMode: 1
; LDSByteSize: 16 bytes/workgroup (compile time only)
; SGPRBlocks: 4
; VGPRBlocks: 3
; NumSGPRsForWavesPerEU: 38
; NumVGPRsForWavesPerEU: 26
; AccumOffset: 28
; Occupancy: 8
; WaveLimiterHint : 0
; COMPUTE_PGM_RSRC2:SCRATCH_EN: 0
; COMPUTE_PGM_RSRC2:USER_SGPR: 2
; COMPUTE_PGM_RSRC2:TRAP_HANDLER: 0
; COMPUTE_PGM_RSRC2:TGID_X_EN: 1
; COMPUTE_PGM_RSRC2:TGID_Y_EN: 1
; COMPUTE_PGM_RSRC2:TGID_Z_EN: 0
; COMPUTE_PGM_RSRC2:TIDIG_COMP_CNT: 0
; COMPUTE_PGM_RSRC3_GFX90A:ACCUM_OFFSET: 6
; COMPUTE_PGM_RSRC3_GFX90A:TG_SPLIT: 0
	.section	.text._ZN4vllm25paged_attention_v2_kernelI14__hip_bfloat16S1_Li120ELi8ELi128ELNS_18Fp8KVCacheDataTypeE0ELb1ELi512EEEvPfS3_PT_PKS4_PKT0_SA_ifPKiSC_iPKfiiiSE_SE_iiiii,"axG",@progbits,_ZN4vllm25paged_attention_v2_kernelI14__hip_bfloat16S1_Li120ELi8ELi128ELNS_18Fp8KVCacheDataTypeE0ELb1ELi512EEEvPfS3_PT_PKS4_PKT0_SA_ifPKiSC_iPKfiiiSE_SE_iiiii,comdat
	.protected	_ZN4vllm25paged_attention_v2_kernelI14__hip_bfloat16S1_Li120ELi8ELi128ELNS_18Fp8KVCacheDataTypeE0ELb1ELi512EEEvPfS3_PT_PKS4_PKT0_SA_ifPKiSC_iPKfiiiSE_SE_iiiii ; -- Begin function _ZN4vllm25paged_attention_v2_kernelI14__hip_bfloat16S1_Li120ELi8ELi128ELNS_18Fp8KVCacheDataTypeE0ELb1ELi512EEEvPfS3_PT_PKS4_PKT0_SA_ifPKiSC_iPKfiiiSE_SE_iiiii
	.globl	_ZN4vllm25paged_attention_v2_kernelI14__hip_bfloat16S1_Li120ELi8ELi128ELNS_18Fp8KVCacheDataTypeE0ELb1ELi512EEEvPfS3_PT_PKS4_PKT0_SA_ifPKiSC_iPKfiiiSE_SE_iiiii
	.p2align	8
	.type	_ZN4vllm25paged_attention_v2_kernelI14__hip_bfloat16S1_Li120ELi8ELi128ELNS_18Fp8KVCacheDataTypeE0ELb1ELi512EEEvPfS3_PT_PKS4_PKT0_SA_ifPKiSC_iPKfiiiSE_SE_iiiii,@function
_ZN4vllm25paged_attention_v2_kernelI14__hip_bfloat16S1_Li120ELi8ELi128ELNS_18Fp8KVCacheDataTypeE0ELb1ELi512EEEvPfS3_PT_PKS4_PKT0_SA_ifPKiSC_iPKfiiiSE_SE_iiiii: ; @_ZN4vllm25paged_attention_v2_kernelI14__hip_bfloat16S1_Li120ELi8ELi128ELNS_18Fp8KVCacheDataTypeE0ELb1ELi512EEEvPfS3_PT_PKS4_PKT0_SA_ifPKiSC_iPKfiiiSE_SE_iiiii
; %bb.0:
	s_load_dwordx2 s[6:7], s[0:1], 0x40
	s_mov_b32 s30, s3
	s_ashr_i32 s31, s3, 31
	s_lshl_b64 s[8:9], s[30:31], 2
	s_waitcnt lgkmcnt(0)
	s_add_u32 s6, s6, s8
	s_addc_u32 s7, s7, s9
	s_load_dword s31, s[6:7], 0x0
	s_lshl_b32 s52, s4, 9
	s_waitcnt lgkmcnt(0)
	s_cmp_ge_i32 s52, s31
	s_cbranch_scc1 .LBB136_173
; %bb.1:
	s_load_dword s5, s[0:1], 0x90
	s_load_dwordx2 s[40:41], s[0:1], 0x30
	s_mov_b32 s53, 0
	s_waitcnt lgkmcnt(0)
	s_abs_i32 s7, s5
	s_abs_i32 s3, s40
	v_cvt_f32_u32_e32 v1, s3
	s_sub_i32 s8, 0, s3
	s_xor_b32 s6, s5, s40
	s_ashr_i32 s6, s6, 31
	v_rcp_iflag_f32_e32 v1, v1
	s_nop 0
	v_mul_f32_e32 v1, 0x4f7ffffe, v1
	v_cvt_u32_f32_e32 v1, v1
	s_nop 0
	v_readfirstlane_b32 s9, v1
	s_mul_i32 s8, s8, s9
	s_mul_hi_u32 s8, s9, s8
	s_add_i32 s9, s9, s8
	s_mul_hi_u32 s8, s7, s9
	s_mul_i32 s9, s8, s3
	s_sub_i32 s7, s7, s9
	s_add_i32 s10, s8, 1
	s_sub_i32 s9, s7, s3
	s_cmp_ge_u32 s7, s3
	s_cselect_b32 s8, s10, s8
	s_cselect_b32 s7, s9, s7
	s_add_i32 s9, s8, 1
	s_cmp_ge_u32 s7, s3
	s_cselect_b32 s3, s9, s8
	s_xor_b32 s3, s3, s6
	s_sub_i32 s10, s3, s6
	s_abs_i32 s8, s10
	v_cvt_f32_u32_e32 v1, s8
	s_load_dwordx2 s[6:7], s[0:1], 0x50
	s_sub_i32 s3, 0, s8
	s_abs_i32 s9, s2
	v_rcp_iflag_f32_e32 v1, v1
	s_nop 0
	v_mul_f32_e32 v1, 0x4f7ffffe, v1
	v_cvt_u32_f32_e32 v1, v1
	s_nop 0
	v_readfirstlane_b32 s11, v1
	s_mul_i32 s3, s3, s11
	s_mul_hi_u32 s3, s11, s3
	s_add_i32 s11, s11, s3
	s_waitcnt lgkmcnt(0)
	s_cmp_eq_u64 s[6:7], 0
	s_mul_hi_u32 s12, s9, s11
	s_cbranch_scc1 .LBB136_3
; %bb.2:
	s_ashr_i32 s3, s2, 31
	s_lshl_b64 s[14:15], s[2:3], 2
	s_add_u32 s6, s6, s14
	s_addc_u32 s7, s7, s15
	s_load_dword s53, s[6:7], 0x0
.LBB136_3:
	s_load_dwordx4 s[16:19], s[0:1], 0x58
	s_movk_i32 s6, 0x78
	s_ashr_i32 s3, s2, 31
	s_ashr_i32 s13, s10, 31
	v_and_b32_e32 v4, 7, v0
	s_mul_i32 s14, s2, 0x78
	v_cmp_gt_u32_e64 s[10:11], s6, v0
	v_lshlrev_b32_e32 v10, 1, v0
	s_and_saveexec_b64 s[6:7], s[10:11]
	s_cbranch_execz .LBB136_5
; %bb.4:
	s_load_dwordx2 s[20:21], s[0:1], 0x18
	s_waitcnt lgkmcnt(0)
	s_mul_i32 s22, s30, s16
	s_ashr_i32 s23, s22, 31
	s_lshl_b64 s[22:23], s[22:23], 1
	v_lshrrev_b32_e32 v2, 2, v0
	s_add_u32 s16, s20, s22
	s_addc_u32 s19, s21, s23
	s_ashr_i32 s15, s14, 31
	s_lshl_b64 s[20:21], s[14:15], 1
	s_add_u32 s20, s16, s20
	s_addc_u32 s21, s19, s21
	global_load_ushort v1, v10, s[20:21]
	v_and_b32_e32 v2, 0xfe, v2
	v_mad_u32_u24 v2, v4, 30, v2
	s_waitcnt vmcnt(0)
	ds_write_b16 v2, v1
.LBB136_5:
	s_or_b64 exec, exec, s[6:7]
	s_mul_i32 s6, s12, s8
	s_sub_i32 s6, s9, s6
	s_xor_b32 s3, s3, s13
	s_add_i32 s7, s12, 1
	s_sub_i32 s9, s6, s8
	s_load_dwordx4 s[20:23], s[0:1], 0x78
	s_cmp_ge_u32 s6, s8
	s_cselect_b32 s7, s7, s12
	s_load_dword s12, s[0:1], 0x88
	s_cselect_b32 s6, s9, s6
	s_add_i32 s9, s7, 1
	s_cmp_ge_u32 s6, s8
	s_cselect_b32 s6, s9, s7
	s_waitcnt lgkmcnt(0)
	s_abs_i32 s33, s23
	v_cvt_f32_u32_e32 v1, s33
	s_xor_b32 s6, s6, s3
	s_sub_i32 s8, s6, s3
	s_sub_i32 s6, 0, s33
	v_rcp_iflag_f32_e32 v1, v1
	s_add_i32 s13, s31, -1
	s_abs_i32 s3, s13
	v_mul_f32_e32 v1, 0x4f7ffffe, v1
	v_cvt_u32_f32_e32 v1, v1
	s_barrier
	v_readfirstlane_b32 s48, v1
	s_mul_i32 s6, s6, s48
	s_mul_hi_u32 s6, s48, s6
	s_add_i32 s48, s48, s6
	s_cmp_lt_i32 s12, 0
	s_mul_hi_u32 s9, s3, s48
	s_cbranch_scc0 .LBB136_7
; %bb.6:
	s_mul_i32 s6, s20, s40
	s_add_i32 s6, s8, s6
	s_mul_i32 s6, s6, s12
	s_sub_i32 s49, 1, s6
	s_mov_b64 s[6:7], 0
	s_branch .LBB136_8
.LBB136_7:
	s_mov_b64 s[6:7], -1
                                        ; implicit-def: $sgpr49
.LBB136_8:
	s_load_dwordx2 s[34:35], s[0:1], 0x38
	s_ashr_i32 s13, s13, 31
	s_andn2_b64 vcc, exec, s[6:7]
	s_ashr_i32 s50, s23, 31
	s_cbranch_vccnz .LBB136_10
; %bb.9:
	s_mul_i32 s6, s5, s20
	s_add_i32 s6, s6, s2
	s_mul_i32 s6, s6, s12
	s_add_i32 s49, s6, 1
.LBB136_10:
	s_load_dword s6, s[0:1], 0x48
	s_load_dwordx2 s[38:39], s[0:1], 0x28
	s_load_dword s15, s[0:1], 0x98
	s_load_dwordx4 s[24:27], s[0:1], 0x0
	s_load_dwordx2 s[28:29], s[0:1], 0x10
	s_mul_i32 s7, s9, s33
	s_waitcnt lgkmcnt(0)
	s_mul_i32 s36, s30, s6
	s_sub_i32 s3, s3, s7
	s_ashr_i32 s37, s36, 31
	s_xor_b32 s6, s13, s50
	s_add_i32 s7, s9, 1
	s_sub_i32 s12, s3, s33
	s_cmp_ge_u32 s3, s33
	s_cselect_b32 s7, s7, s9
	s_cselect_b32 s3, s12, s3
	s_add_i32 s9, s7, 1
	s_cmp_ge_u32 s3, s33
	s_cselect_b32 s3, s9, s7
	s_xor_b32 s3, s3, s6
	s_sub_i32 s16, s3, s6
	s_add_i32 s3, s31, 7
	s_ashr_i32 s6, s3, 31
	s_lshr_b32 s6, s6, 29
	s_add_i32 s3, s3, s6
	s_lshl_b32 s20, s4, 6
	s_ashr_i32 s3, s3, 3
	s_add_i32 s6, s20, 64
	v_lshrrev_b32_e32 v6, 6, v0
	s_min_i32 s51, s6, s3
	v_or_b32_e32 v12, s20, v6
	v_cmp_gt_i32_e64 s[6:7], s51, v12
	v_mov_b32_e32 v11, 0xff7fffff
	s_mul_i32 s18, s8, s18
	v_ashrrev_i32_e32 v13, 31, v12
	v_lshl_add_u32 v1, v6, 3, s52
	v_mbcnt_lo_u32_b32 v7, -1, 0
	s_and_saveexec_b64 s[42:43], s[6:7]
	s_cbranch_execz .LBB136_20
; %bb.11:
	s_load_dwordx2 s[0:1], s[0:1], 0x20
	s_ashr_i32 s19, s18, 31
	s_sub_i32 s23, s16, s21
	s_lshl_b64 s[8:9], s[18:19], 1
	v_bfe_u32 v8, v0, 3, 3
	s_waitcnt lgkmcnt(0)
	s_add_u32 s0, s0, s8
	s_addc_u32 s1, s1, s9
	s_abs_i32 s19, s22
	v_cvt_f32_u32_e32 v5, s19
	v_lshlrev_b32_e32 v2, 4, v8
	v_mov_b32_e32 v3, 0
	v_lshl_add_u64 v[14:15], s[0:1], 0, v[2:3]
	v_rcp_iflag_f32_e32 v5, v5
	s_sub_i32 s0, 0, s19
	v_lshlrev_b32_e32 v11, 2, v8
	v_cmp_eq_u32_e32 vcc, 0, v4
	v_mul_f32_e32 v5, 0x4f7ffffe, v5
	v_cvt_u32_f32_e32 v5, v5
	v_lshlrev_b32_e32 v2, 1, v4
	v_mul_u32_u24_e32 v9, 30, v4
	v_lshl_or_b32 v11, v6, 5, v11
	v_mul_lo_u32 v4, s0, v5
	s_lshl_b64 s[0:1], s[36:37], 2
	s_add_u32 s0, s34, s0
	v_add_u32_e32 v16, 0x100, v11
	v_subrev_u32_e32 v11, s31, v8
	v_mbcnt_hi_u32_b32 v19, -1, v7
	v_mul_hi_u32 v4, v5, v4
	s_addc_u32 s1, s35, s1
	v_add_u32_e32 v17, 1, v11
	v_and_b32_e32 v11, 64, v19
	s_mov_b32 s40, s17
	v_lshl_add_u64 v[2:3], v[14:15], 0, v[2:3]
	v_cmp_neq_f32_e64 s[8:9], s53, 0
	v_add_u32_e32 v14, v5, v4
	v_lshl_add_u64 v[4:5], v[12:13], 2, s[0:1]
	v_lshl_add_u32 v15, v6, 3, s52
	s_mov_b64 s[44:45], 0
	v_mov_b32_e32 v18, 0xff7fffff
	v_add_u32_e32 v20, 64, v11
	v_xor_b32_e32 v21, 4, v19
	v_xor_b32_e32 v22, 2, v19
	;; [unrolled: 1-line block ×3, first 2 shown]
	v_mov_b32_e32 v11, 0xff7fffff
	v_mov_b32_e32 v24, v12
	s_branch .LBB136_14
.LBB136_12:                             ;   in Loop: Header=BB136_14 Depth=1
	s_or_b64 exec, exec, s[46:47]
.LBB136_13:                             ;   in Loop: Header=BB136_14 Depth=1
	s_or_b64 exec, exec, s[12:13]
	v_add_u32_e32 v24, 2, v24
	v_cmp_le_i32_e64 s[0:1], s51, v24
	v_lshl_add_u64 v[4:5], v[4:5], 0, 8
	v_add_u32_e32 v15, 16, v15
	s_or_b64 s[44:45], s[0:1], s[44:45]
	v_add_u32_e32 v16, 64, v16
	s_andn2_b64 exec, exec, s[44:45]
	s_cbranch_execz .LBB136_19
.LBB136_14:                             ; =>This Inner Loop Header: Depth=1
	s_waitcnt lgkmcnt(0)
	v_sub_u32_e32 v26, 0, v15
	v_max_i32_e32 v26, v15, v26
	v_mul_hi_u32 v27, v26, s48
	v_mul_lo_u32 v28, v27, s33
	v_sub_u32_e32 v26, v26, v28
	v_add_u32_e32 v28, 1, v27
	v_cmp_le_u32_e64 s[0:1], s33, v26
	v_ashrrev_i32_e32 v25, 31, v15
	v_xor_b32_e32 v25, s50, v25
	v_cndmask_b32_e64 v27, v27, v28, s[0:1]
	v_subrev_u32_e32 v28, s33, v26
	v_cndmask_b32_e64 v26, v26, v28, s[0:1]
	v_add_u32_e32 v28, 1, v27
	v_cmp_le_u32_e64 s[0:1], s33, v26
	s_nop 1
	v_cndmask_b32_e64 v26, v27, v28, s[0:1]
	v_xor_b32_e32 v26, v26, v25
	v_sub_u32_e32 v25, v26, v25
	v_add_u32_e32 v26, s49, v25
	v_sub_u32_e32 v28, 0, v26
	v_ashrrev_i32_e32 v27, 31, v26
	v_max_i32_e32 v26, v26, v28
	v_mul_hi_u32 v28, v26, v14
	v_mul_lo_u32 v28, v28, s19
	v_sub_u32_e32 v26, v26, v28
	v_subrev_u32_e32 v28, s19, v26
	v_cmp_le_u32_e64 s[0:1], s19, v26
	v_cmp_ge_i32_e64 s[12:13], s23, v25
	s_nop 0
	v_cndmask_b32_e64 v26, v26, v28, s[0:1]
	v_subrev_u32_e32 v28, s19, v26
	v_cmp_le_u32_e64 s[0:1], s19, v26
	s_nop 1
	v_cndmask_b32_e64 v26, v26, v28, s[0:1]
	v_xor_b32_e32 v26, v26, v27
	v_sub_u32_e32 v26, v26, v27
	v_cmp_ne_u32_e64 s[0:1], 0, v26
	s_and_b64 s[0:1], s[0:1], s[12:13]
	s_and_b64 s[46:47], vcc, s[0:1]
	s_and_saveexec_b64 s[12:13], s[46:47]
	s_cbranch_execz .LBB136_16
; %bb.15:                               ;   in Loop: Header=BB136_14 Depth=1
	ds_write_b32 v16, v18
.LBB136_16:                             ;   in Loop: Header=BB136_14 Depth=1
	s_or_b64 exec, exec, s[12:13]
	s_xor_b64 s[0:1], s[0:1], -1
	s_and_saveexec_b64 s[12:13], s[0:1]
	s_cbranch_execz .LBB136_13
; %bb.17:                               ;   in Loop: Header=BB136_14 Depth=1
	global_load_dword v25, v[4:5], off
	s_waitcnt vmcnt(0)
	v_mad_i64_i32 v[26:27], s[0:1], v25, s40, 0
	v_lshl_add_u64 v[26:27], v[26:27], 1, v[2:3]
	global_load_ushort v25, v[26:27], off
	global_load_ushort v33, v[26:27], off offset:128
	global_load_ushort v34, v[26:27], off offset:256
	;; [unrolled: 1-line block ×14, first 2 shown]
	ds_read_b128 v[26:29], v9
	ds_read_b96 v[30:32], v9 offset:16
	ds_read_u16 v47, v9 offset:28
	v_cmp_lt_i32_e64 s[0:1], v21, v20
	s_waitcnt lgkmcnt(2)
	v_lshlrev_b32_e32 v49, 16, v26
	v_and_b32_e32 v26, 0xffff0000, v26
	v_lshlrev_b32_e32 v50, 16, v27
	v_and_b32_e32 v27, 0xffff0000, v27
	v_lshlrev_b32_e32 v51, 16, v28
	v_and_b32_e32 v28, 0xffff0000, v28
	v_lshlrev_b32_e32 v52, 16, v29
	v_and_b32_e32 v29, 0xffff0000, v29
	s_waitcnt lgkmcnt(1)
	v_lshlrev_b32_e32 v53, 16, v30
	v_and_b32_e32 v30, 0xffff0000, v30
	v_lshlrev_b32_e32 v54, 16, v31
	v_and_b32_e32 v31, 0xffff0000, v31
	v_lshlrev_b32_e32 v55, 16, v32
	v_and_b32_e32 v32, 0xffff0000, v32
	v_cndmask_b32_e64 v48, v19, v21, s[0:1]
	s_waitcnt lgkmcnt(0)
	v_lshlrev_b32_e32 v47, 16, v47
	v_lshlrev_b32_e32 v48, 2, v48
	v_cmp_lt_i32_e64 s[0:1], v22, v20
	s_waitcnt vmcnt(14)
	v_lshlrev_b32_e32 v25, 16, v25
	s_waitcnt vmcnt(13)
	v_lshlrev_b32_e32 v33, 16, v33
	v_mul_f32_e32 v26, v26, v33
	s_waitcnt vmcnt(12)
	v_lshlrev_b32_e32 v34, 16, v34
	v_fmac_f32_e32 v26, v49, v25
	s_waitcnt vmcnt(11)
	v_lshlrev_b32_e32 v35, 16, v35
	v_fmac_f32_e32 v26, v50, v34
	;; [unrolled: 3-line block ×12, first 2 shown]
	v_fmac_f32_e32 v26, v32, v45
	s_waitcnt vmcnt(0)
	v_lshlrev_b32_e32 v25, 16, v46
	v_fmac_f32_e32 v26, v47, v25
	ds_bpermute_b32 v25, v48, v26
	v_cndmask_b32_e64 v27, v19, v22, s[0:1]
	v_lshlrev_b32_e32 v27, 2, v27
	v_cmp_lt_i32_e64 s[0:1], v23, v20
	s_waitcnt lgkmcnt(0)
	v_add_f32_e32 v25, v26, v25
	ds_bpermute_b32 v26, v27, v25
	v_cndmask_b32_e64 v27, v19, v23, s[0:1]
	v_lshlrev_b32_e32 v27, 2, v27
	s_waitcnt lgkmcnt(0)
	v_add_f32_e32 v25, v25, v26
	ds_bpermute_b32 v26, v27, v25
	s_and_saveexec_b64 s[46:47], vcc
	s_cbranch_execz .LBB136_12
; %bb.18:                               ;   in Loop: Header=BB136_14 Depth=1
	v_add_u32_e32 v27, v17, v15
	v_cvt_f32_i32_e32 v27, v27
	s_waitcnt lgkmcnt(0)
	v_add_f32_e32 v25, v25, v26
	v_add_u32_e32 v28, v8, v15
	v_cmp_gt_i32_e64 s[0:1], s31, v28
	v_mul_f32_e32 v26, s53, v27
	v_cndmask_b32_e64 v26, 0, v26, s[8:9]
	v_fmac_f32_e32 v26, s41, v25
	v_cndmask_b32_e64 v25, 0, v26, s[0:1]
	ds_write_b32 v16, v25
	v_max_f32_e32 v25, v11, v11
	v_max_f32_e32 v25, v25, v26
	v_cndmask_b32_e64 v11, v11, v25, s[0:1]
	s_branch .LBB136_12
.LBB136_19:
	s_or_b64 exec, exec, s[44:45]
.LBB136_20:
	s_or_b64 exec, exec, s[42:43]
	v_mbcnt_hi_u32_b32 v2, -1, v7
	v_and_b32_e32 v3, 64, v2
	v_add_u32_e32 v3, 64, v3
	v_xor_b32_e32 v4, 32, v2
	v_cmp_lt_i32_e32 vcc, v4, v3
	v_xor_b32_e32 v8, 16, v2
	v_max_f32_e32 v5, v11, v11
	v_cndmask_b32_e32 v4, v2, v4, vcc
	v_lshlrev_b32_e32 v7, 2, v4
	ds_bpermute_b32 v4, v7, v11
	v_cmp_lt_i32_e32 vcc, v8, v3
	v_and_b32_e32 v11, 63, v0
	s_waitcnt lgkmcnt(0)
	v_max_f32_e32 v4, v4, v4
	v_max_f32_e32 v4, v5, v4
	v_cndmask_b32_e32 v5, v2, v8, vcc
	v_lshlrev_b32_e32 v9, 2, v5
	ds_bpermute_b32 v5, v9, v4
	v_xor_b32_e32 v8, 8, v2
	v_cmp_lt_i32_e32 vcc, v8, v3
	s_waitcnt lgkmcnt(0)
	v_max_f32_e32 v5, v5, v5
	v_max_f32_e32 v4, v4, v5
	v_cndmask_b32_e32 v5, v2, v8, vcc
	v_lshlrev_b32_e32 v14, 2, v5
	ds_bpermute_b32 v8, v14, v4
	v_cmp_eq_u32_e32 vcc, 0, v11
	v_lshlrev_b32_e32 v5, 2, v6
	s_and_saveexec_b64 s[0:1], vcc
	s_cbranch_execz .LBB136_22
; %bb.21:
	s_waitcnt lgkmcnt(0)
	v_max_f32_e32 v8, v8, v8
	v_max_f32_e32 v4, v4, v4
	;; [unrolled: 1-line block ×3, first 2 shown]
	ds_write_b32 v5, v4 offset:240
.LBB136_22:
	s_or_b64 exec, exec, s[0:1]
	v_cmp_gt_u32_e64 s[0:1], 2, v11
	v_mov_b32_e32 v4, 0xff7fffff
	s_waitcnt lgkmcnt(0)
	v_lshlrev_b32_e32 v8, 2, v11
	s_barrier
	s_and_saveexec_b64 s[8:9], s[0:1]
	s_cbranch_execz .LBB136_24
; %bb.23:
	ds_read_b32 v4, v8 offset:240
.LBB136_24:
	s_or_b64 exec, exec, s[8:9]
	v_xor_b32_e32 v15, 1, v2
	v_cmp_lt_i32_e64 s[8:9], v15, v3
	v_mov_b32_e32 v17, 0
	s_nop 0
	v_cndmask_b32_e64 v15, v2, v15, s[8:9]
	v_lshlrev_b32_e32 v15, 2, v15
	s_waitcnt lgkmcnt(0)
	ds_bpermute_b32 v16, v15, v4
	v_max_f32_e32 v4, v4, v4
	s_sub_i32 s8, s51, s20
	s_lshl_b32 s8, s8, 3
	s_add_i32 s8, s8, s52
	s_waitcnt lgkmcnt(0)
	v_max_f32_e32 v16, v16, v16
	v_max_f32_e32 v4, v4, v16
	v_lshlrev_b32_e32 v16, 2, v2
	v_and_b32_e32 v16, 0x100, v16
	ds_bpermute_b32 v4, v16, v4
	s_min_i32 s20, s8, s31
	s_sub_i32 s19, s20, s52
	v_cmp_gt_i32_e64 s[8:9], s19, v0
	s_and_saveexec_b64 s[40:41], s[8:9]
	s_cbranch_execz .LBB136_28
; %bb.25:
	v_mov_b32_e32 v17, 0x100
	v_lshl_add_u32 v18, v0, 2, v17
	s_mov_b64 s[42:43], 0
	v_mov_b32_e32 v17, 0
	v_mov_b32_e32 v19, v0
.LBB136_26:                             ; =>This Inner Loop Header: Depth=1
	ds_read_b32 v20, v18
	v_add_u32_e32 v19, 0x80, v19
	v_cmp_le_i32_e64 s[12:13], s19, v19
	s_or_b64 s[42:43], s[12:13], s[42:43]
	s_waitcnt lgkmcnt(0)
	v_sub_f32_e32 v20, v20, v4
	v_mul_f32_e32 v20, 0x3fb8aa3b, v20
	v_exp_f32_e32 v20, v20
	ds_write_b32 v18, v20
	v_add_f32_e32 v17, v17, v20
	v_add_u32_e32 v18, 0x200, v18
	s_andn2_b64 exec, exec, s[42:43]
	s_cbranch_execnz .LBB136_26
; %bb.27:
	s_or_b64 exec, exec, s[42:43]
.LBB136_28:
	s_or_b64 exec, exec, s[40:41]
	ds_bpermute_b32 v7, v7, v17
	s_waitcnt lgkmcnt(0)
	v_add_f32_e32 v7, v17, v7
	ds_bpermute_b32 v9, v9, v7
	s_waitcnt lgkmcnt(0)
	v_add_f32_e32 v7, v7, v9
	ds_bpermute_b32 v9, v14, v7
	v_xor_b32_e32 v14, 4, v2
	v_cmp_lt_i32_e64 s[12:13], v14, v3
	s_waitcnt lgkmcnt(0)
	v_add_f32_e32 v7, v7, v9
	v_cndmask_b32_e64 v14, v2, v14, s[12:13]
	v_lshlrev_b32_e32 v14, 2, v14
	ds_bpermute_b32 v9, v14, v7
	v_xor_b32_e32 v14, 2, v2
	v_cmp_lt_i32_e64 s[12:13], v14, v3
	s_waitcnt lgkmcnt(0)
	v_add_f32_e32 v3, v7, v9
	v_cndmask_b32_e64 v2, v2, v14, s[12:13]
	v_lshlrev_b32_e32 v2, 2, v2
	ds_bpermute_b32 v2, v2, v3
	s_waitcnt lgkmcnt(0)
	v_add_f32_e32 v2, v3, v2
	ds_bpermute_b32 v3, v15, v2
	s_waitcnt lgkmcnt(0)
	v_add_f32_e32 v2, v2, v3
	s_and_saveexec_b64 s[12:13], vcc
	s_cbranch_execz .LBB136_30
; %bb.29:
	ds_write_b32 v5, v2 offset:248
.LBB136_30:
	s_or_b64 exec, exec, s[12:13]
	s_waitcnt lgkmcnt(0)
	s_barrier
	s_and_saveexec_b64 s[12:13], s[0:1]
	s_cbranch_execz .LBB136_32
; %bb.31:
	ds_read_b32 v2, v8 offset:248
.LBB136_32:
	s_or_b64 exec, exec, s[12:13]
	s_waitcnt lgkmcnt(0)
	ds_bpermute_b32 v3, v15, v2
	s_waitcnt lgkmcnt(0)
	v_add_f32_e32 v2, v2, v3
	ds_bpermute_b32 v5, v16, v2
	s_and_saveexec_b64 s[0:1], s[8:9]
	s_cbranch_execz .LBB136_45
; %bb.33:
	s_waitcnt lgkmcnt(0)
	v_add_f32_e32 v2, 0x358637bd, v5
	v_div_scale_f32 v3, s[8:9], v2, v2, 1.0
	v_rcp_f32_e32 v7, v3
	v_div_scale_f32 v8, vcc, 1.0, v2, 1.0
	s_movk_i32 s8, 0x7f
	v_fma_f32 v9, -v3, v7, 1.0
	v_fmac_f32_e32 v7, v9, v7
	v_mul_f32_e32 v9, v8, v7
	v_fma_f32 v14, -v3, v9, v8
	v_fmac_f32_e32 v9, v14, v7
	v_fma_f32 v3, -v3, v9, v8
	v_div_fmas_f32 v3, v3, v7, v9
	v_div_fixup_f32 v2, v3, v2, 1.0
	v_xad_u32 v3, v0, -1, s20
	v_subrev_u32_e32 v7, s52, v3
	v_cmp_lt_u32_e32 vcc, s8, v7
	s_mov_b64 s[12:13], -1
	v_mov_b32_e32 v3, v0
	s_and_saveexec_b64 s[8:9], vcc
	s_cbranch_execz .LBB136_42
; %bb.34:
	v_lshrrev_b32_e32 v7, 7, v7
	v_add_u32_e32 v9, -1, v7
	v_lshrrev_b32_e32 v8, 1, v9
	v_mov_b32_e32 v3, v2
	v_add_u32_e32 v8, 1, v8
	v_cmp_lt_u32_e32 vcc, 13, v9
	v_mov_b32_e32 v15, 0
	s_and_saveexec_b64 s[12:13], vcc
	s_cbranch_execz .LBB136_38
; %bb.35:
	v_mov_b32_e32 v14, 0x100
	v_and_b32_e32 v9, -8, v8
	v_lshl_add_u32 v14, v0, 2, v14
	s_mov_b32 s20, 0
	s_mov_b64 s[40:41], 0
.LBB136_36:                             ; =>This Inner Loop Header: Depth=1
	ds_read2st64_b32 v[16:17], v14 offset1:2
	ds_read2st64_b32 v[18:19], v14 offset0:4 offset1:6
	ds_read2st64_b32 v[20:21], v14 offset0:8 offset1:10
	;; [unrolled: 1-line block ×3, first 2 shown]
	v_add_u32_e32 v9, -8, v9
	s_waitcnt lgkmcnt(3)
	v_pk_mul_f32 v[16:17], v[2:3], v[16:17]
	s_waitcnt lgkmcnt(2)
	v_pk_mul_f32 v[18:19], v[2:3], v[18:19]
	ds_write2st64_b32 v14, v16, v17 offset1:2
	ds_write2st64_b32 v14, v18, v19 offset0:4 offset1:6
	ds_read2st64_b32 v[18:19], v14 offset0:16 offset1:18
	s_waitcnt lgkmcnt(4)
	v_pk_mul_f32 v[16:17], v[2:3], v[20:21]
	ds_write2st64_b32 v14, v16, v17 offset0:8 offset1:10
	s_waitcnt lgkmcnt(4)
	v_pk_mul_f32 v[16:17], v[2:3], v[22:23]
	ds_write2st64_b32 v14, v16, v17 offset0:12 offset1:14
	ds_read2st64_b32 v[16:17], v14 offset0:20 offset1:22
	s_waitcnt lgkmcnt(3)
	v_pk_mul_f32 v[18:19], v[2:3], v[18:19]
	ds_read2st64_b32 v[20:21], v14 offset0:24 offset1:26
	ds_write2st64_b32 v14, v18, v19 offset0:16 offset1:18
	ds_read2st64_b32 v[18:19], v14 offset0:28 offset1:30
	s_waitcnt lgkmcnt(3)
	v_pk_mul_f32 v[16:17], v[2:3], v[16:17]
	ds_write2st64_b32 v14, v16, v17 offset0:20 offset1:22
	s_waitcnt lgkmcnt(3)
	v_pk_mul_f32 v[16:17], v[2:3], v[20:21]
	ds_write2st64_b32 v14, v16, v17 offset0:24 offset1:26
	s_waitcnt lgkmcnt(2)
	v_pk_mul_f32 v[16:17], v[2:3], v[18:19]
	s_add_i32 s20, s20, 16
	v_cmp_eq_u32_e32 vcc, 0, v9
	ds_write2st64_b32 v14, v16, v17 offset0:28 offset1:30
	v_add_u32_e32 v14, 0x2000, v14
	s_or_b64 s[40:41], vcc, s[40:41]
	v_mov_b32_e32 v15, s20
	s_andn2_b64 exec, exec, s[40:41]
	s_cbranch_execnz .LBB136_36
; %bb.37:
	s_or_b64 exec, exec, s[40:41]
.LBB136_38:
	s_or_b64 exec, exec, s[12:13]
	v_and_b32_e32 v8, 7, v8
	v_cmp_ne_u32_e32 vcc, 0, v8
	s_and_saveexec_b64 s[12:13], vcc
	s_cbranch_execz .LBB136_41
; %bb.39:
	v_lshlrev_b32_e32 v9, 9, v15
	v_lshlrev_b32_e32 v14, 2, v0
	s_movk_i32 s20, 0x100
	v_add3_u32 v9, v9, v14, s20
	s_mov_b64 s[40:41], 0
.LBB136_40:                             ; =>This Inner Loop Header: Depth=1
	ds_read2st64_b32 v[14:15], v9 offset1:2
	v_add_u32_e32 v8, -1, v8
	v_cmp_eq_u32_e32 vcc, 0, v8
	s_or_b64 s[40:41], vcc, s[40:41]
	s_waitcnt lgkmcnt(0)
	v_pk_mul_f32 v[14:15], v[2:3], v[14:15]
	ds_write2st64_b32 v9, v14, v15 offset1:2
	v_add_u32_e32 v9, 0x400, v9
	s_andn2_b64 exec, exec, s[40:41]
	s_cbranch_execnz .LBB136_40
.LBB136_41:
	s_or_b64 exec, exec, s[12:13]
	v_add_u32_e32 v7, 1, v7
	v_and_b32_e32 v8, 0x3fffffe, v7
	v_cmp_ne_u32_e32 vcc, v7, v8
	v_lshl_add_u32 v3, v8, 7, v0
	s_orn2_b64 s[12:13], vcc, exec
.LBB136_42:
	s_or_b64 exec, exec, s[8:9]
	s_and_b64 exec, exec, s[12:13]
	s_cbranch_execz .LBB136_45
; %bb.43:
	v_mov_b32_e32 v7, 0x100
	v_lshl_add_u32 v7, v3, 2, v7
	s_mov_b64 s[8:9], 0
.LBB136_44:                             ; =>This Inner Loop Header: Depth=1
	ds_read_b32 v8, v7
	v_add_u32_e32 v3, 0x80, v3
	v_cmp_le_i32_e32 vcc, s19, v3
	s_or_b64 s[8:9], vcc, s[8:9]
	s_waitcnt lgkmcnt(0)
	v_mul_f32_e32 v8, v2, v8
	ds_write_b32 v7, v8
	v_add_u32_e32 v7, 0x200, v7
	s_andn2_b64 exec, exec, s[8:9]
	s_cbranch_execnz .LBB136_44
.LBB136_45:
	s_or_b64 exec, exec, s[0:1]
	s_mul_i32 s0, s15, s30
	v_cmp_eq_u32_e32 vcc, 0, v0
	s_mul_i32 s8, s0, s5
	s_waitcnt lgkmcnt(0)
	s_barrier
	s_and_saveexec_b64 s[0:1], vcc
	s_cbranch_execz .LBB136_47
; %bb.46:
	s_ashr_i32 s9, s8, 31
	s_lshl_b64 s[12:13], s[8:9], 2
	s_add_u32 s5, s26, s12
	s_mul_i32 s26, s15, s2
	s_addc_u32 s9, s27, s13
	s_ashr_i32 s27, s26, 31
	s_lshl_b64 s[26:27], s[26:27], 2
	s_add_u32 s2, s5, s26
	s_addc_u32 s9, s9, s27
	s_ashr_i32 s5, s4, 31
	s_lshl_b64 s[40:41], s[4:5], 2
	s_add_u32 s42, s2, s40
	s_addc_u32 s43, s9, s41
	s_add_u32 s2, s24, s12
	s_addc_u32 s5, s25, s13
	;; [unrolled: 2-line block ×3, first 2 shown]
	s_add_u32 s12, s2, s40
	v_mov_b32_e32 v2, 0
	s_addc_u32 s13, s5, s41
	global_store_dword v2, v4, s[42:43]
	global_store_dword v2, v5, s[12:13]
.LBB136_47:
	s_or_b64 exec, exec, s[0:1]
	v_mov_b32_e32 v15, 0
	v_mov_b32_e32 v14, v15
	s_and_saveexec_b64 s[12:13], s[6:7]
	s_cbranch_execz .LBB136_155
; %bb.48:
	s_ashr_i32 s19, s18, 31
	s_sub_i32 s5, s16, s21
	s_lshl_b64 s[0:1], s[18:19], 1
	s_add_u32 s6, s38, s0
	s_addc_u32 s7, s39, s1
	s_abs_i32 s9, s22
	v_cvt_f32_u32_e32 v3, s9
	v_or_b32_e32 v4, 64, v11
	s_movk_i32 s0, 0x78
	v_cmp_gt_u32_e32 vcc, s0, v4
	v_rcp_iflag_f32_e32 v3, v3
	s_sub_i32 s0, 0, s9
	s_add_i32 s25, s3, -1
	v_lshlrev_b32_e32 v2, 3, v11
	v_mul_f32_e32 v3, 0x4f7ffffe, v3
	v_cvt_u32_f32_e32 v3, v3
	v_mov_b32_e32 v17, 0
	v_lshlrev_b32_e32 v4, 3, v4
	s_mov_b32 s24, s17
	v_mul_lo_u32 v5, s0, v3
	s_lshl_b64 s[0:1], s[36:37], 2
	v_mul_hi_u32 v5, v3, v5
	s_add_u32 s0, s34, s0
	v_add_u32_e32 v22, v3, v5
	s_addc_u32 s1, s35, s1
	v_mov_b32_e32 v3, 0x100
	v_lshl_add_u64 v[18:19], v[12:13], 2, s[0:1]
	v_lshl_add_u32 v13, v6, 5, v3
	s_mov_b64 s[16:17], 0
	s_mov_b32 s26, 0x7f800000
	s_movk_i32 s27, 0x7fff
	v_lshlrev_b32_e32 v16, 1, v2
	v_lshlrev_b32_e32 v20, 1, v4
	v_mov_b32_e32 v14, v17
	v_mov_b32_e32 v15, v17
	s_branch .LBB136_52
.LBB136_49:                             ;   in Loop: Header=BB136_52 Depth=1
	s_or_b64 exec, exec, s[2:3]
	v_and_b32_e32 v27, 0xffff0000, v21
	v_and_b32_e32 v26, 0xffff0000, v7
	;; [unrolled: 1-line block ×4, first 2 shown]
	v_pk_add_f32 v[2:3], v[2:3], v[26:27]
	v_and_b32_e32 v25, 0xffff0000, v23
	v_and_b32_e32 v24, 0xffff0000, v9
	;; [unrolled: 1-line block ×4, first 2 shown]
	v_mov_b32_e32 v6, v3
	v_pk_add_f32 v[2:3], v[2:3], v[6:7]
	v_pk_add_f32 v[4:5], v[4:5], v[24:25]
	s_nop 0
	v_pk_add_f32 v[2:3], v[2:3], v[4:5]
	v_mov_b32_e32 v4, v5
	v_pk_add_f32 v[2:3], v[2:3], v[4:5]
	s_nop 0
	v_mov_b32_e32 v3, v2
	v_pk_add_f32 v[14:15], v[14:15], v[2:3]
.LBB136_50:                             ;   in Loop: Header=BB136_52 Depth=1
	s_or_b64 exec, exec, s[20:21]
	v_mov_b32_e32 v14, v8
.LBB136_51:                             ;   in Loop: Header=BB136_52 Depth=1
	s_or_b64 exec, exec, s[18:19]
	v_add_u32_e32 v12, 2, v12
	v_cmp_le_i32_e64 s[0:1], s51, v12
	v_lshl_add_u64 v[18:19], v[18:19], 0, 8
	v_add_u32_e32 v1, 16, v1
	s_or_b64 s[16:17], s[0:1], s[16:17]
	v_add_u32_e32 v13, 64, v13
	s_andn2_b64 exec, exec, s[16:17]
	s_cbranch_execz .LBB136_154
.LBB136_52:                             ; =>This Inner Loop Header: Depth=1
	v_sub_u32_e32 v3, 0, v1
	v_max_i32_e32 v3, v1, v3
	v_mul_hi_u32 v4, v3, s48
	v_mul_lo_u32 v5, v4, s33
	v_sub_u32_e32 v3, v3, v5
	v_add_u32_e32 v5, 1, v4
	v_cmp_le_u32_e64 s[0:1], s33, v3
	v_ashrrev_i32_e32 v2, 31, v1
	v_xor_b32_e32 v2, s50, v2
	v_cndmask_b32_e64 v4, v4, v5, s[0:1]
	v_subrev_u32_e32 v5, s33, v3
	v_cndmask_b32_e64 v3, v3, v5, s[0:1]
	v_add_u32_e32 v5, 1, v4
	v_cmp_le_u32_e64 s[0:1], s33, v3
	s_nop 1
	v_cndmask_b32_e64 v3, v4, v5, s[0:1]
	v_xor_b32_e32 v3, v3, v2
	v_sub_u32_e32 v2, v3, v2
	v_add_u32_e32 v3, s49, v2
	v_sub_u32_e32 v5, 0, v3
	v_ashrrev_i32_e32 v4, 31, v3
	v_max_i32_e32 v3, v3, v5
	v_mul_hi_u32 v5, v3, v22
	v_mul_lo_u32 v5, v5, s9
	v_sub_u32_e32 v3, v3, v5
	v_subrev_u32_e32 v5, s9, v3
	v_cmp_le_u32_e64 s[0:1], s9, v3
	v_cmp_lt_i32_e64 s[2:3], s5, v2
	s_nop 0
	v_cndmask_b32_e64 v3, v3, v5, s[0:1]
	v_subrev_u32_e32 v5, s9, v3
	v_cmp_le_u32_e64 s[0:1], s9, v3
	s_nop 1
	v_cndmask_b32_e64 v3, v3, v5, s[0:1]
	v_xor_b32_e32 v3, v3, v4
	v_sub_u32_e32 v3, v3, v4
	v_cmp_eq_u32_e64 s[0:1], 0, v3
	s_or_b64 s[0:1], s[0:1], s[2:3]
	s_and_saveexec_b64 s[18:19], s[0:1]
	s_cbranch_execz .LBB136_51
; %bb.53:                               ;   in Loop: Header=BB136_52 Depth=1
	global_load_dword v28, v[18:19], off
	ds_read2_b64 v[6:9], v13 offset1:1
	ds_read2_b64 v[2:5], v13 offset0:2 offset1:3
                                        ; implicit-def: $vgpr23
	s_waitcnt lgkmcnt(1)
	v_and_b32_e32 v21, 0x7f800000, v6
	v_cmp_ne_u32_e64 s[0:1], s26, v21
	s_and_saveexec_b64 s[2:3], s[0:1]
	s_xor_b64 s[0:1], exec, s[2:3]
; %bb.54:                               ;   in Loop: Header=BB136_52 Depth=1
	v_bfe_u32 v21, v6, 16, 1
	v_add3_u32 v23, v6, v21, s27
; %bb.55:                               ;   in Loop: Header=BB136_52 Depth=1
	s_andn2_saveexec_b64 s[2:3], s[0:1]
; %bb.56:                               ;   in Loop: Header=BB136_52 Depth=1
	v_or_b32_e32 v21, 0x10000, v6
	v_cmp_eq_u32_sdwa s[0:1], v6, v17 src0_sel:WORD_0 src1_sel:DWORD
	s_nop 1
	v_cndmask_b32_e64 v23, v21, v6, s[0:1]
; %bb.57:                               ;   in Loop: Header=BB136_52 Depth=1
	s_or_b64 exec, exec, s[2:3]
	v_and_b32_e32 v6, 0x7f800000, v7
	v_cmp_ne_u32_e64 s[0:1], s26, v6
                                        ; implicit-def: $vgpr24
	s_and_saveexec_b64 s[2:3], s[0:1]
	s_xor_b64 s[0:1], exec, s[2:3]
; %bb.58:                               ;   in Loop: Header=BB136_52 Depth=1
	v_bfe_u32 v6, v7, 16, 1
	v_add3_u32 v24, v7, v6, s27
; %bb.59:                               ;   in Loop: Header=BB136_52 Depth=1
	s_andn2_saveexec_b64 s[2:3], s[0:1]
; %bb.60:                               ;   in Loop: Header=BB136_52 Depth=1
	v_or_b32_e32 v6, 0x10000, v7
	v_cmp_eq_u32_sdwa s[0:1], v7, v17 src0_sel:WORD_0 src1_sel:DWORD
	s_nop 1
	v_cndmask_b32_e64 v24, v6, v7, s[0:1]
; %bb.61:                               ;   in Loop: Header=BB136_52 Depth=1
	s_or_b64 exec, exec, s[2:3]
	v_and_b32_e32 v6, 0x7f800000, v8
	v_cmp_ne_u32_e64 s[0:1], s26, v6
                                        ; implicit-def: $vgpr25
	s_and_saveexec_b64 s[2:3], s[0:1]
	s_xor_b64 s[0:1], exec, s[2:3]
; %bb.62:                               ;   in Loop: Header=BB136_52 Depth=1
	v_bfe_u32 v6, v8, 16, 1
	v_add3_u32 v25, v8, v6, s27
; %bb.63:                               ;   in Loop: Header=BB136_52 Depth=1
	s_andn2_saveexec_b64 s[2:3], s[0:1]
; %bb.64:                               ;   in Loop: Header=BB136_52 Depth=1
	v_or_b32_e32 v6, 0x10000, v8
	v_cmp_eq_u32_sdwa s[0:1], v8, v17 src0_sel:WORD_0 src1_sel:DWORD
	s_nop 1
	v_cndmask_b32_e64 v25, v6, v8, s[0:1]
; %bb.65:                               ;   in Loop: Header=BB136_52 Depth=1
	s_or_b64 exec, exec, s[2:3]
	v_and_b32_e32 v6, 0x7f800000, v9
	v_cmp_ne_u32_e64 s[0:1], s26, v6
                                        ; implicit-def: $vgpr26
	s_and_saveexec_b64 s[2:3], s[0:1]
	s_xor_b64 s[0:1], exec, s[2:3]
; %bb.66:                               ;   in Loop: Header=BB136_52 Depth=1
	v_bfe_u32 v6, v9, 16, 1
	v_add3_u32 v26, v9, v6, s27
                                        ; implicit-def: $vgpr6_vgpr7_vgpr8_vgpr9
; %bb.67:                               ;   in Loop: Header=BB136_52 Depth=1
	s_andn2_saveexec_b64 s[2:3], s[0:1]
; %bb.68:                               ;   in Loop: Header=BB136_52 Depth=1
	v_or_b32_e32 v6, 0x10000, v9
	v_cmp_eq_u32_sdwa s[0:1], v9, v17 src0_sel:WORD_0 src1_sel:DWORD
	s_nop 1
	v_cndmask_b32_e64 v26, v6, v9, s[0:1]
; %bb.69:                               ;   in Loop: Header=BB136_52 Depth=1
	s_or_b64 exec, exec, s[2:3]
	s_waitcnt lgkmcnt(0)
	v_and_b32_e32 v6, 0x7f800000, v2
	v_cmp_ne_u32_e64 s[0:1], s26, v6
                                        ; implicit-def: $vgpr27
	s_and_saveexec_b64 s[2:3], s[0:1]
	s_xor_b64 s[0:1], exec, s[2:3]
; %bb.70:                               ;   in Loop: Header=BB136_52 Depth=1
	v_bfe_u32 v6, v2, 16, 1
	v_add3_u32 v27, v2, v6, s27
; %bb.71:                               ;   in Loop: Header=BB136_52 Depth=1
	s_andn2_saveexec_b64 s[2:3], s[0:1]
; %bb.72:                               ;   in Loop: Header=BB136_52 Depth=1
	v_or_b32_e32 v6, 0x10000, v2
	v_cmp_eq_u32_sdwa s[0:1], v2, v17 src0_sel:WORD_0 src1_sel:DWORD
	s_nop 1
	v_cndmask_b32_e64 v27, v6, v2, s[0:1]
; %bb.73:                               ;   in Loop: Header=BB136_52 Depth=1
	s_or_b64 exec, exec, s[2:3]
	v_and_b32_e32 v2, 0x7f800000, v3
	v_cmp_ne_u32_e64 s[0:1], s26, v2
                                        ; implicit-def: $vgpr21
	s_and_saveexec_b64 s[2:3], s[0:1]
	s_xor_b64 s[0:1], exec, s[2:3]
; %bb.74:                               ;   in Loop: Header=BB136_52 Depth=1
	v_bfe_u32 v2, v3, 16, 1
	v_add3_u32 v21, v3, v2, s27
; %bb.75:                               ;   in Loop: Header=BB136_52 Depth=1
	s_andn2_saveexec_b64 s[2:3], s[0:1]
; %bb.76:                               ;   in Loop: Header=BB136_52 Depth=1
	v_or_b32_e32 v2, 0x10000, v3
	v_cmp_eq_u32_sdwa s[0:1], v3, v17 src0_sel:WORD_0 src1_sel:DWORD
	s_nop 1
	v_cndmask_b32_e64 v21, v2, v3, s[0:1]
; %bb.77:                               ;   in Loop: Header=BB136_52 Depth=1
	s_or_b64 exec, exec, s[2:3]
	v_and_b32_e32 v2, 0x7f800000, v4
	v_cmp_ne_u32_e64 s[0:1], s26, v2
                                        ; implicit-def: $vgpr9
	s_and_saveexec_b64 s[2:3], s[0:1]
	s_xor_b64 s[0:1], exec, s[2:3]
; %bb.78:                               ;   in Loop: Header=BB136_52 Depth=1
	v_bfe_u32 v2, v4, 16, 1
	v_add3_u32 v9, v4, v2, s27
; %bb.79:                               ;   in Loop: Header=BB136_52 Depth=1
	s_andn2_saveexec_b64 s[2:3], s[0:1]
; %bb.80:                               ;   in Loop: Header=BB136_52 Depth=1
	v_or_b32_e32 v2, 0x10000, v4
	v_cmp_eq_u32_sdwa s[0:1], v4, v17 src0_sel:WORD_0 src1_sel:DWORD
	s_nop 1
	v_cndmask_b32_e64 v9, v2, v4, s[0:1]
; %bb.81:                               ;   in Loop: Header=BB136_52 Depth=1
	s_or_b64 exec, exec, s[2:3]
	v_and_b32_e32 v2, 0x7f800000, v5
	v_cmp_ne_u32_e64 s[0:1], s26, v2
                                        ; implicit-def: $vgpr8
	s_and_saveexec_b64 s[2:3], s[0:1]
	s_xor_b64 s[0:1], exec, s[2:3]
; %bb.82:                               ;   in Loop: Header=BB136_52 Depth=1
	v_bfe_u32 v2, v5, 16, 1
	v_add3_u32 v8, v5, v2, s27
                                        ; implicit-def: $vgpr2_vgpr3_vgpr4_vgpr5
; %bb.83:                               ;   in Loop: Header=BB136_52 Depth=1
	s_andn2_saveexec_b64 s[2:3], s[0:1]
; %bb.84:                               ;   in Loop: Header=BB136_52 Depth=1
	v_or_b32_e32 v2, 0x10000, v5
	v_cmp_eq_u32_sdwa s[0:1], v5, v17 src0_sel:WORD_0 src1_sel:DWORD
	s_nop 1
	v_cndmask_b32_e64 v8, v2, v5, s[0:1]
; %bb.85:                               ;   in Loop: Header=BB136_52 Depth=1
	s_or_b64 exec, exec, s[2:3]
	s_waitcnt vmcnt(0)
	v_mad_i64_i32 v[2:3], s[0:1], v28, s24, 0
	v_lshl_add_u64 v[6:7], v[2:3], 1, s[6:7]
	v_lshl_add_u64 v[2:3], v[6:7], 0, v[16:17]
	global_load_dwordx4 v[2:5], v[2:3], off
	v_cmp_eq_u32_e64 s[2:3], s25, v12
	s_waitcnt vmcnt(0)
	v_lshrrev_b32_e32 v30, 16, v2
	v_lshrrev_b32_e32 v28, 16, v3
	;; [unrolled: 1-line block ×4, first 2 shown]
	s_and_saveexec_b64 s[20:21], s[2:3]
	s_cbranch_execz .LBB136_87
; %bb.86:                               ;   in Loop: Header=BB136_52 Depth=1
	v_cmp_gt_i32_e64 s[0:1], s31, v1
	v_add_u32_e32 v32, 1, v1
	s_nop 0
	v_cndmask_b32_e64 v2, 0, v2, s[0:1]
	v_cmp_gt_i32_e64 s[0:1], s31, v32
	v_add_u32_e32 v32, 2, v1
	s_nop 0
	v_cndmask_b32_e64 v30, 0, v30, s[0:1]
	;; [unrolled: 4-line block ×7, first 2 shown]
	v_cmp_gt_i32_e64 s[0:1], s31, v32
	s_nop 1
	v_cndmask_b32_e64 v31, 0, v31, s[0:1]
.LBB136_87:                             ;   in Loop: Header=BB136_52 Depth=1
	s_or_b64 exec, exec, s[20:21]
	v_and_b32_e32 v23, 0xffff0000, v23
	v_lshlrev_b32_e32 v2, 16, v2
	v_mul_f32_e32 v32, v23, v2
	v_and_b32_e32 v2, 0x7f800000, v32
	v_cmp_ne_u32_e64 s[0:1], s26, v2
                                        ; implicit-def: $vgpr2
	s_and_saveexec_b64 s[20:21], s[0:1]
	s_xor_b64 s[0:1], exec, s[20:21]
; %bb.88:                               ;   in Loop: Header=BB136_52 Depth=1
	v_bfe_u32 v2, v32, 16, 1
	v_add3_u32 v2, v32, v2, s27
                                        ; implicit-def: $vgpr32
; %bb.89:                               ;   in Loop: Header=BB136_52 Depth=1
	s_andn2_saveexec_b64 s[20:21], s[0:1]
; %bb.90:                               ;   in Loop: Header=BB136_52 Depth=1
	v_or_b32_e32 v2, 0x10000, v32
	v_cmp_eq_u32_sdwa s[0:1], v32, v17 src0_sel:WORD_0 src1_sel:DWORD
	s_nop 1
	v_cndmask_b32_e64 v2, v2, v32, s[0:1]
; %bb.91:                               ;   in Loop: Header=BB136_52 Depth=1
	s_or_b64 exec, exec, s[20:21]
	v_and_b32_e32 v24, 0xffff0000, v24
	v_lshlrev_b32_e32 v30, 16, v30
	v_mul_f32_e32 v30, v24, v30
	v_and_b32_e32 v32, 0x7f800000, v30
	v_cmp_ne_u32_e64 s[0:1], s26, v32
                                        ; implicit-def: $vgpr32
	s_and_saveexec_b64 s[20:21], s[0:1]
	s_xor_b64 s[0:1], exec, s[20:21]
; %bb.92:                               ;   in Loop: Header=BB136_52 Depth=1
	v_bfe_u32 v32, v30, 16, 1
	v_add3_u32 v32, v30, v32, s27
                                        ; implicit-def: $vgpr30
; %bb.93:                               ;   in Loop: Header=BB136_52 Depth=1
	s_andn2_saveexec_b64 s[20:21], s[0:1]
; %bb.94:                               ;   in Loop: Header=BB136_52 Depth=1
	v_or_b32_e32 v32, 0x10000, v30
	v_cmp_eq_u32_sdwa s[0:1], v30, v17 src0_sel:WORD_0 src1_sel:DWORD
	s_nop 1
	v_cndmask_b32_e64 v32, v32, v30, s[0:1]
; %bb.95:                               ;   in Loop: Header=BB136_52 Depth=1
	s_or_b64 exec, exec, s[20:21]
	v_and_b32_e32 v25, 0xffff0000, v25
	v_lshlrev_b32_e32 v3, 16, v3
	v_mul_f32_e32 v30, v25, v3
	v_and_b32_e32 v3, 0x7f800000, v30
	v_cmp_ne_u32_e64 s[0:1], s26, v3
                                        ; implicit-def: $vgpr3
	s_and_saveexec_b64 s[20:21], s[0:1]
	s_xor_b64 s[0:1], exec, s[20:21]
; %bb.96:                               ;   in Loop: Header=BB136_52 Depth=1
	v_bfe_u32 v3, v30, 16, 1
	v_add3_u32 v3, v30, v3, s27
                                        ; implicit-def: $vgpr30
; %bb.97:                               ;   in Loop: Header=BB136_52 Depth=1
	s_andn2_saveexec_b64 s[20:21], s[0:1]
; %bb.98:                               ;   in Loop: Header=BB136_52 Depth=1
	v_or_b32_e32 v3, 0x10000, v30
	v_cmp_eq_u32_sdwa s[0:1], v30, v17 src0_sel:WORD_0 src1_sel:DWORD
	s_nop 1
	v_cndmask_b32_e64 v3, v3, v30, s[0:1]
; %bb.99:                               ;   in Loop: Header=BB136_52 Depth=1
	s_or_b64 exec, exec, s[20:21]
	v_and_b32_e32 v26, 0xffff0000, v26
	v_lshlrev_b32_e32 v28, 16, v28
	v_mul_f32_e32 v28, v26, v28
	v_and_b32_e32 v30, 0x7f800000, v28
	v_cmp_ne_u32_e64 s[0:1], s26, v30
                                        ; implicit-def: $vgpr33
	s_and_saveexec_b64 s[20:21], s[0:1]
	s_xor_b64 s[0:1], exec, s[20:21]
; %bb.100:                              ;   in Loop: Header=BB136_52 Depth=1
	v_bfe_u32 v30, v28, 16, 1
	v_add3_u32 v33, v28, v30, s27
                                        ; implicit-def: $vgpr28
; %bb.101:                              ;   in Loop: Header=BB136_52 Depth=1
	s_andn2_saveexec_b64 s[20:21], s[0:1]
; %bb.102:                              ;   in Loop: Header=BB136_52 Depth=1
	v_or_b32_e32 v30, 0x10000, v28
	v_cmp_eq_u32_sdwa s[0:1], v28, v17 src0_sel:WORD_0 src1_sel:DWORD
	s_nop 1
	v_cndmask_b32_e64 v33, v30, v28, s[0:1]
; %bb.103:                              ;   in Loop: Header=BB136_52 Depth=1
	s_or_b64 exec, exec, s[20:21]
	v_and_b32_e32 v27, 0xffff0000, v27
	v_lshlrev_b32_e32 v4, 16, v4
	v_mul_f32_e32 v28, v27, v4
	v_and_b32_e32 v4, 0x7f800000, v28
	v_cmp_ne_u32_e64 s[0:1], s26, v4
                                        ; implicit-def: $vgpr4
	s_and_saveexec_b64 s[20:21], s[0:1]
	s_xor_b64 s[0:1], exec, s[20:21]
; %bb.104:                              ;   in Loop: Header=BB136_52 Depth=1
	v_bfe_u32 v4, v28, 16, 1
	v_add3_u32 v4, v28, v4, s27
                                        ; implicit-def: $vgpr28
; %bb.105:                              ;   in Loop: Header=BB136_52 Depth=1
	s_andn2_saveexec_b64 s[20:21], s[0:1]
; %bb.106:                              ;   in Loop: Header=BB136_52 Depth=1
	v_or_b32_e32 v4, 0x10000, v28
	v_cmp_eq_u32_sdwa s[0:1], v28, v17 src0_sel:WORD_0 src1_sel:DWORD
	s_nop 1
	v_cndmask_b32_e64 v4, v4, v28, s[0:1]
; %bb.107:                              ;   in Loop: Header=BB136_52 Depth=1
	s_or_b64 exec, exec, s[20:21]
	v_and_b32_e32 v28, 0xffff0000, v21
	v_lshlrev_b32_e32 v21, 16, v29
	v_mul_f32_e32 v29, v28, v21
	v_and_b32_e32 v21, 0x7f800000, v29
	v_cmp_ne_u32_e64 s[0:1], s26, v21
                                        ; implicit-def: $vgpr21
	s_and_saveexec_b64 s[20:21], s[0:1]
	s_xor_b64 s[0:1], exec, s[20:21]
; %bb.108:                              ;   in Loop: Header=BB136_52 Depth=1
	v_bfe_u32 v21, v29, 16, 1
	v_add3_u32 v21, v29, v21, s27
                                        ; implicit-def: $vgpr29
; %bb.109:                              ;   in Loop: Header=BB136_52 Depth=1
	s_andn2_saveexec_b64 s[20:21], s[0:1]
; %bb.110:                              ;   in Loop: Header=BB136_52 Depth=1
	v_or_b32_e32 v21, 0x10000, v29
	v_cmp_eq_u32_sdwa s[0:1], v29, v17 src0_sel:WORD_0 src1_sel:DWORD
	s_nop 1
	v_cndmask_b32_e64 v21, v21, v29, s[0:1]
; %bb.111:                              ;   in Loop: Header=BB136_52 Depth=1
	s_or_b64 exec, exec, s[20:21]
	v_and_b32_e32 v29, 0xffff0000, v9
	v_lshlrev_b32_e32 v5, 16, v5
	v_mul_f32_e32 v9, v29, v5
	v_and_b32_e32 v5, 0x7f800000, v9
	v_cmp_ne_u32_e64 s[0:1], s26, v5
                                        ; implicit-def: $vgpr5
	s_and_saveexec_b64 s[20:21], s[0:1]
	s_xor_b64 s[0:1], exec, s[20:21]
; %bb.112:                              ;   in Loop: Header=BB136_52 Depth=1
	v_bfe_u32 v5, v9, 16, 1
	v_add3_u32 v5, v9, v5, s27
                                        ; implicit-def: $vgpr9
; %bb.113:                              ;   in Loop: Header=BB136_52 Depth=1
	s_andn2_saveexec_b64 s[20:21], s[0:1]
; %bb.114:                              ;   in Loop: Header=BB136_52 Depth=1
	v_or_b32_e32 v5, 0x10000, v9
	v_cmp_eq_u32_sdwa s[0:1], v9, v17 src0_sel:WORD_0 src1_sel:DWORD
	s_nop 1
	v_cndmask_b32_e64 v5, v5, v9, s[0:1]
; %bb.115:                              ;   in Loop: Header=BB136_52 Depth=1
	s_or_b64 exec, exec, s[20:21]
	v_and_b32_e32 v30, 0xffff0000, v8
	v_lshlrev_b32_e32 v8, 16, v31
	v_mul_f32_e32 v8, v30, v8
	v_and_b32_e32 v9, 0x7f800000, v8
	v_cmp_ne_u32_e64 s[0:1], s26, v9
                                        ; implicit-def: $vgpr9
	s_and_saveexec_b64 s[20:21], s[0:1]
	s_xor_b64 s[0:1], exec, s[20:21]
; %bb.116:                              ;   in Loop: Header=BB136_52 Depth=1
	v_bfe_u32 v9, v8, 16, 1
	v_add3_u32 v9, v8, v9, s27
                                        ; implicit-def: $vgpr8
; %bb.117:                              ;   in Loop: Header=BB136_52 Depth=1
	s_andn2_saveexec_b64 s[20:21], s[0:1]
; %bb.118:                              ;   in Loop: Header=BB136_52 Depth=1
	v_or_b32_e32 v9, 0x10000, v8
	v_cmp_eq_u32_sdwa s[0:1], v8, v17 src0_sel:WORD_0 src1_sel:DWORD
	s_nop 1
	v_cndmask_b32_e64 v9, v9, v8, s[0:1]
; %bb.119:                              ;   in Loop: Header=BB136_52 Depth=1
	s_or_b64 exec, exec, s[20:21]
	v_and_b32_e32 v33, 0xffff0000, v33
	v_and_b32_e32 v32, 0xffff0000, v32
	;; [unrolled: 1-line block ×4, first 2 shown]
	v_pk_add_f32 v[2:3], v[2:3], v[32:33]
	v_and_b32_e32 v9, 0xffff0000, v9
	v_and_b32_e32 v8, 0xffff0000, v21
	;; [unrolled: 1-line block ×4, first 2 shown]
	v_mov_b32_e32 v32, v3
	v_pk_add_f32 v[2:3], v[2:3], v[32:33]
	v_pk_add_f32 v[4:5], v[4:5], v[8:9]
	s_nop 0
	v_pk_add_f32 v[2:3], v[2:3], v[4:5]
	v_mov_b32_e32 v4, v5
	v_pk_add_f32 v[2:3], v[2:3], v[4:5]
	s_nop 0
	v_pk_add_f32 v[8:9], v[14:15], v[2:3]
	s_and_saveexec_b64 s[20:21], vcc
	s_cbranch_execz .LBB136_50
; %bb.120:                              ;   in Loop: Header=BB136_52 Depth=1
	v_mov_b32_e32 v21, v17
	v_lshl_add_u64 v[2:3], v[6:7], 0, v[20:21]
	global_load_dwordx4 v[2:5], v[2:3], off
	s_waitcnt vmcnt(0)
	v_lshrrev_b32_e32 v7, 16, v2
	v_lshrrev_b32_e32 v21, 16, v3
	v_lshrrev_b32_e32 v9, 16, v4
	v_lshrrev_b32_e32 v6, 16, v5
	s_and_saveexec_b64 s[22:23], s[2:3]
	s_cbranch_execz .LBB136_122
; %bb.121:                              ;   in Loop: Header=BB136_52 Depth=1
	v_cmp_gt_i32_e64 s[0:1], s31, v1
	v_add_u32_e32 v31, 1, v1
	s_nop 0
	v_cndmask_b32_e64 v2, 0, v2, s[0:1]
	v_cmp_gt_i32_e64 s[0:1], s31, v31
	v_add_u32_e32 v31, 2, v1
	s_nop 0
	v_cndmask_b32_e64 v7, 0, v7, s[0:1]
	;; [unrolled: 4-line block ×7, first 2 shown]
	v_cmp_gt_i32_e64 s[0:1], s31, v31
	s_nop 1
	v_cndmask_b32_e64 v6, 0, v6, s[0:1]
.LBB136_122:                            ;   in Loop: Header=BB136_52 Depth=1
	s_or_b64 exec, exec, s[22:23]
	v_lshlrev_b32_e32 v2, 16, v2
	v_mul_f32_e32 v23, v23, v2
	v_and_b32_e32 v2, 0x7f800000, v23
	v_cmp_ne_u32_e64 s[0:1], s26, v2
                                        ; implicit-def: $vgpr2
	s_and_saveexec_b64 s[2:3], s[0:1]
	s_xor_b64 s[0:1], exec, s[2:3]
; %bb.123:                              ;   in Loop: Header=BB136_52 Depth=1
	v_bfe_u32 v2, v23, 16, 1
	v_add3_u32 v2, v23, v2, s27
                                        ; implicit-def: $vgpr23
; %bb.124:                              ;   in Loop: Header=BB136_52 Depth=1
	s_andn2_saveexec_b64 s[2:3], s[0:1]
; %bb.125:                              ;   in Loop: Header=BB136_52 Depth=1
	v_or_b32_e32 v2, 0x10000, v23
	v_cmp_eq_u32_sdwa s[0:1], v23, v17 src0_sel:WORD_0 src1_sel:DWORD
	s_nop 1
	v_cndmask_b32_e64 v2, v2, v23, s[0:1]
; %bb.126:                              ;   in Loop: Header=BB136_52 Depth=1
	s_or_b64 exec, exec, s[2:3]
	v_lshlrev_b32_e32 v7, 16, v7
	v_mul_f32_e32 v23, v24, v7
	v_and_b32_e32 v7, 0x7f800000, v23
	v_cmp_ne_u32_e64 s[0:1], s26, v7
                                        ; implicit-def: $vgpr7
	s_and_saveexec_b64 s[2:3], s[0:1]
	s_xor_b64 s[0:1], exec, s[2:3]
; %bb.127:                              ;   in Loop: Header=BB136_52 Depth=1
	v_bfe_u32 v7, v23, 16, 1
	v_add3_u32 v7, v23, v7, s27
                                        ; implicit-def: $vgpr23
; %bb.128:                              ;   in Loop: Header=BB136_52 Depth=1
	s_andn2_saveexec_b64 s[2:3], s[0:1]
; %bb.129:                              ;   in Loop: Header=BB136_52 Depth=1
	v_or_b32_e32 v7, 0x10000, v23
	v_cmp_eq_u32_sdwa s[0:1], v23, v17 src0_sel:WORD_0 src1_sel:DWORD
	s_nop 1
	v_cndmask_b32_e64 v7, v7, v23, s[0:1]
; %bb.130:                              ;   in Loop: Header=BB136_52 Depth=1
	s_or_b64 exec, exec, s[2:3]
	v_lshlrev_b32_e32 v3, 16, v3
	v_mul_f32_e32 v23, v25, v3
	v_and_b32_e32 v3, 0x7f800000, v23
	v_cmp_ne_u32_e64 s[0:1], s26, v3
                                        ; implicit-def: $vgpr3
	s_and_saveexec_b64 s[2:3], s[0:1]
	s_xor_b64 s[0:1], exec, s[2:3]
; %bb.131:                              ;   in Loop: Header=BB136_52 Depth=1
	v_bfe_u32 v3, v23, 16, 1
	v_add3_u32 v3, v23, v3, s27
                                        ; implicit-def: $vgpr23
; %bb.132:                              ;   in Loop: Header=BB136_52 Depth=1
	s_andn2_saveexec_b64 s[2:3], s[0:1]
; %bb.133:                              ;   in Loop: Header=BB136_52 Depth=1
	v_or_b32_e32 v3, 0x10000, v23
	v_cmp_eq_u32_sdwa s[0:1], v23, v17 src0_sel:WORD_0 src1_sel:DWORD
	s_nop 1
	v_cndmask_b32_e64 v3, v3, v23, s[0:1]
; %bb.134:                              ;   in Loop: Header=BB136_52 Depth=1
	s_or_b64 exec, exec, s[2:3]
	v_lshlrev_b32_e32 v21, 16, v21
	v_mul_f32_e32 v23, v26, v21
	v_and_b32_e32 v21, 0x7f800000, v23
	v_cmp_ne_u32_e64 s[0:1], s26, v21
                                        ; implicit-def: $vgpr21
	s_and_saveexec_b64 s[2:3], s[0:1]
	s_xor_b64 s[0:1], exec, s[2:3]
; %bb.135:                              ;   in Loop: Header=BB136_52 Depth=1
	v_bfe_u32 v21, v23, 16, 1
	v_add3_u32 v21, v23, v21, s27
                                        ; implicit-def: $vgpr23
; %bb.136:                              ;   in Loop: Header=BB136_52 Depth=1
	s_andn2_saveexec_b64 s[2:3], s[0:1]
; %bb.137:                              ;   in Loop: Header=BB136_52 Depth=1
	v_or_b32_e32 v21, 0x10000, v23
	v_cmp_eq_u32_sdwa s[0:1], v23, v17 src0_sel:WORD_0 src1_sel:DWORD
	s_nop 1
	v_cndmask_b32_e64 v21, v21, v23, s[0:1]
; %bb.138:                              ;   in Loop: Header=BB136_52 Depth=1
	s_or_b64 exec, exec, s[2:3]
	v_lshlrev_b32_e32 v4, 16, v4
	v_mul_f32_e32 v23, v27, v4
	v_and_b32_e32 v4, 0x7f800000, v23
	v_cmp_ne_u32_e64 s[0:1], s26, v4
                                        ; implicit-def: $vgpr4
	s_and_saveexec_b64 s[2:3], s[0:1]
	s_xor_b64 s[0:1], exec, s[2:3]
; %bb.139:                              ;   in Loop: Header=BB136_52 Depth=1
	v_bfe_u32 v4, v23, 16, 1
	v_add3_u32 v4, v23, v4, s27
                                        ; implicit-def: $vgpr23
; %bb.140:                              ;   in Loop: Header=BB136_52 Depth=1
	s_andn2_saveexec_b64 s[2:3], s[0:1]
; %bb.141:                              ;   in Loop: Header=BB136_52 Depth=1
	v_or_b32_e32 v4, 0x10000, v23
	v_cmp_eq_u32_sdwa s[0:1], v23, v17 src0_sel:WORD_0 src1_sel:DWORD
	s_nop 1
	v_cndmask_b32_e64 v4, v4, v23, s[0:1]
; %bb.142:                              ;   in Loop: Header=BB136_52 Depth=1
	s_or_b64 exec, exec, s[2:3]
	v_lshlrev_b32_e32 v9, 16, v9
	v_mul_f32_e32 v23, v28, v9
	v_and_b32_e32 v9, 0x7f800000, v23
	v_cmp_ne_u32_e64 s[0:1], s26, v9
                                        ; implicit-def: $vgpr9
	s_and_saveexec_b64 s[2:3], s[0:1]
	s_xor_b64 s[0:1], exec, s[2:3]
; %bb.143:                              ;   in Loop: Header=BB136_52 Depth=1
	v_bfe_u32 v9, v23, 16, 1
	v_add3_u32 v9, v23, v9, s27
                                        ; implicit-def: $vgpr23
; %bb.144:                              ;   in Loop: Header=BB136_52 Depth=1
	s_andn2_saveexec_b64 s[2:3], s[0:1]
; %bb.145:                              ;   in Loop: Header=BB136_52 Depth=1
	v_or_b32_e32 v9, 0x10000, v23
	v_cmp_eq_u32_sdwa s[0:1], v23, v17 src0_sel:WORD_0 src1_sel:DWORD
	s_nop 1
	v_cndmask_b32_e64 v9, v9, v23, s[0:1]
; %bb.146:                              ;   in Loop: Header=BB136_52 Depth=1
	s_or_b64 exec, exec, s[2:3]
	v_lshlrev_b32_e32 v5, 16, v5
	v_mul_f32_e32 v23, v29, v5
	v_and_b32_e32 v5, 0x7f800000, v23
	v_cmp_ne_u32_e64 s[0:1], s26, v5
                                        ; implicit-def: $vgpr5
	s_and_saveexec_b64 s[2:3], s[0:1]
	s_xor_b64 s[0:1], exec, s[2:3]
; %bb.147:                              ;   in Loop: Header=BB136_52 Depth=1
	v_bfe_u32 v5, v23, 16, 1
	v_add3_u32 v5, v23, v5, s27
                                        ; implicit-def: $vgpr23
; %bb.148:                              ;   in Loop: Header=BB136_52 Depth=1
	s_andn2_saveexec_b64 s[2:3], s[0:1]
; %bb.149:                              ;   in Loop: Header=BB136_52 Depth=1
	v_or_b32_e32 v5, 0x10000, v23
	v_cmp_eq_u32_sdwa s[0:1], v23, v17 src0_sel:WORD_0 src1_sel:DWORD
	s_nop 1
	v_cndmask_b32_e64 v5, v5, v23, s[0:1]
; %bb.150:                              ;   in Loop: Header=BB136_52 Depth=1
	s_or_b64 exec, exec, s[2:3]
	v_lshlrev_b32_e32 v6, 16, v6
	v_mul_f32_e32 v6, v30, v6
	v_and_b32_e32 v23, 0x7f800000, v6
	v_cmp_ne_u32_e64 s[0:1], s26, v23
                                        ; implicit-def: $vgpr23
	s_and_saveexec_b64 s[2:3], s[0:1]
	s_xor_b64 s[0:1], exec, s[2:3]
; %bb.151:                              ;   in Loop: Header=BB136_52 Depth=1
	v_bfe_u32 v23, v6, 16, 1
	v_add3_u32 v23, v6, v23, s27
                                        ; implicit-def: $vgpr6
; %bb.152:                              ;   in Loop: Header=BB136_52 Depth=1
	s_andn2_saveexec_b64 s[2:3], s[0:1]
	s_cbranch_execz .LBB136_49
; %bb.153:                              ;   in Loop: Header=BB136_52 Depth=1
	v_or_b32_e32 v23, 0x10000, v6
	v_cmp_eq_u32_sdwa s[0:1], v6, v17 src0_sel:WORD_0 src1_sel:DWORD
	s_nop 1
	v_cndmask_b32_e64 v23, v23, v6, s[0:1]
	s_branch .LBB136_49
.LBB136_154:
	s_or_b64 exec, exec, s[16:17]
.LBB136_155:
	s_or_b64 exec, exec, s[12:13]
	v_and_b32_e32 v1, 0x3c0, v0
	v_cmp_eq_u32_e32 vcc, 64, v1
	s_barrier
	s_and_saveexec_b64 s[0:1], vcc
	s_cbranch_execz .LBB136_158
; %bb.156:
	v_mov_b32_e32 v1, 0x100
	v_lshl_add_u32 v2, v11, 2, v1
	ds_write_b32 v2, v14
	s_and_b64 exec, exec, s[10:11]
	s_cbranch_execz .LBB136_158
; %bb.157:
	v_lshl_add_u32 v1, v0, 2, v1
	ds_write_b32 v1, v15
.LBB136_158:
	s_or_b64 exec, exec, s[0:1]
	v_cmp_gt_u32_e32 vcc, 64, v0
	v_or_b32_e32 v1, 64, v0
	s_waitcnt lgkmcnt(0)
	s_barrier
	s_and_saveexec_b64 s[2:3], vcc
	s_cbranch_execz .LBB136_162
; %bb.159:
	v_mov_b32_e32 v2, 0x100
	v_lshl_add_u32 v2, v0, 2, v2
	ds_read_b32 v0, v2
	s_movk_i32 s0, 0x78
	v_cmp_gt_u32_e64 s[0:1], s0, v1
	s_and_saveexec_b64 s[6:7], s[0:1]
	s_cbranch_execz .LBB136_161
; %bb.160:
	ds_read_b32 v2, v2 offset:256
	s_waitcnt lgkmcnt(0)
	v_add_f32_e32 v15, v15, v2
.LBB136_161:
	s_or_b64 exec, exec, s[6:7]
	s_waitcnt lgkmcnt(0)
	v_add_f32_e32 v14, v14, v0
.LBB136_162:
	s_or_b64 exec, exec, s[2:3]
	s_barrier
	s_and_saveexec_b64 s[0:1], vcc
	s_cbranch_execz .LBB136_173
; %bb.163:
	s_mov_b32 s0, 0x7f800000
	v_and_b32_e32 v0, 0x7f800000, v14
	v_cmp_ne_u32_e32 vcc, s0, v0
                                        ; implicit-def: $vgpr0
	s_and_saveexec_b64 s[0:1], vcc
	s_xor_b64 s[0:1], exec, s[0:1]
; %bb.164:
	v_bfe_u32 v0, v14, 16, 1
	s_movk_i32 s2, 0x7fff
	v_add3_u32 v0, v14, v0, s2
; %bb.165:
	s_andn2_saveexec_b64 s[0:1], s[0:1]
; %bb.166:
	v_mov_b32_e32 v0, 0
	v_or_b32_e32 v2, 0x10000, v14
	v_cmp_eq_u32_sdwa vcc, v14, v0 src0_sel:WORD_0 src1_sel:DWORD
	s_nop 1
	v_cndmask_b32_e32 v0, v2, v14, vcc
; %bb.167:
	s_or_b64 exec, exec, s[0:1]
	s_mul_i32 s0, s8, 0x78
	s_ashr_i32 s1, s0, 31
	s_lshl_b64 s[0:1], s[0:1], 1
	s_add_u32 s3, s28, s0
	s_mul_i32 s0, s15, s14
	s_addc_u32 s5, s29, s1
	s_ashr_i32 s1, s0, 31
	s_lshl_b64 s[0:1], s[0:1], 1
	s_add_u32 s3, s3, s0
	s_mul_i32 s0, s4, 0x78
	s_addc_u32 s5, s5, s1
	s_ashr_i32 s1, s0, 31
	s_lshl_b64 s[0:1], s[0:1], 1
	s_movk_i32 s2, 0x78
	s_add_u32 s0, s3, s0
	s_addc_u32 s1, s5, s1
	v_cmp_gt_u32_e32 vcc, s2, v1
	global_store_short_d16_hi v10, v0, s[0:1]
	s_and_b64 exec, exec, vcc
	s_cbranch_execz .LBB136_173
; %bb.168:
	s_mov_b32 s2, 0x7f800000
	v_and_b32_e32 v0, 0x7f800000, v15
	v_mov_b32_e32 v11, 0
	v_cmp_ne_u32_e32 vcc, s2, v0
                                        ; implicit-def: $vgpr2
	s_and_saveexec_b64 s[2:3], vcc
	s_xor_b64 s[2:3], exec, s[2:3]
; %bb.169:
	v_bfe_u32 v0, v15, 16, 1
	s_movk_i32 s4, 0x7fff
	v_add3_u32 v2, v15, v0, s4
                                        ; implicit-def: $vgpr15
; %bb.170:
	s_or_saveexec_b64 s[2:3], s[2:3]
	v_lshl_add_u64 v[0:1], s[0:1], 0, v[10:11]
	s_xor_b64 exec, exec, s[2:3]
; %bb.171:
	v_mov_b32_e32 v2, 0
	v_or_b32_e32 v3, 0x10000, v15
	v_cmp_eq_u32_sdwa vcc, v15, v2 src0_sel:WORD_0 src1_sel:DWORD
	s_nop 1
	v_cndmask_b32_e32 v2, v3, v15, vcc
; %bb.172:
	s_or_b64 exec, exec, s[2:3]
	global_store_short_d16_hi v[0:1], v2, off offset:128
.LBB136_173:
	s_endpgm
	.section	.rodata,"a",@progbits
	.p2align	6, 0x0
	.amdhsa_kernel _ZN4vllm25paged_attention_v2_kernelI14__hip_bfloat16S1_Li120ELi8ELi128ELNS_18Fp8KVCacheDataTypeE0ELb1ELi512EEEvPfS3_PT_PKS4_PKT0_SA_ifPKiSC_iPKfiiiSE_SE_iiiii
		.amdhsa_group_segment_fixed_size 256
		.amdhsa_private_segment_fixed_size 0
		.amdhsa_kernarg_size 400
		.amdhsa_user_sgpr_count 2
		.amdhsa_user_sgpr_dispatch_ptr 0
		.amdhsa_user_sgpr_queue_ptr 0
		.amdhsa_user_sgpr_kernarg_segment_ptr 1
		.amdhsa_user_sgpr_dispatch_id 0
		.amdhsa_user_sgpr_kernarg_preload_length 0
		.amdhsa_user_sgpr_kernarg_preload_offset 0
		.amdhsa_user_sgpr_private_segment_size 0
		.amdhsa_uses_dynamic_stack 0
		.amdhsa_enable_private_segment 0
		.amdhsa_system_sgpr_workgroup_id_x 1
		.amdhsa_system_sgpr_workgroup_id_y 1
		.amdhsa_system_sgpr_workgroup_id_z 1
		.amdhsa_system_sgpr_workgroup_info 0
		.amdhsa_system_vgpr_workitem_id 0
		.amdhsa_next_free_vgpr 56
		.amdhsa_next_free_sgpr 54
		.amdhsa_accum_offset 56
		.amdhsa_reserve_vcc 1
		.amdhsa_float_round_mode_32 0
		.amdhsa_float_round_mode_16_64 0
		.amdhsa_float_denorm_mode_32 3
		.amdhsa_float_denorm_mode_16_64 3
		.amdhsa_dx10_clamp 1
		.amdhsa_ieee_mode 1
		.amdhsa_fp16_overflow 0
		.amdhsa_tg_split 0
		.amdhsa_exception_fp_ieee_invalid_op 0
		.amdhsa_exception_fp_denorm_src 0
		.amdhsa_exception_fp_ieee_div_zero 0
		.amdhsa_exception_fp_ieee_overflow 0
		.amdhsa_exception_fp_ieee_underflow 0
		.amdhsa_exception_fp_ieee_inexact 0
		.amdhsa_exception_int_div_zero 0
	.end_amdhsa_kernel
	.section	.text._ZN4vllm25paged_attention_v2_kernelI14__hip_bfloat16S1_Li120ELi8ELi128ELNS_18Fp8KVCacheDataTypeE0ELb1ELi512EEEvPfS3_PT_PKS4_PKT0_SA_ifPKiSC_iPKfiiiSE_SE_iiiii,"axG",@progbits,_ZN4vllm25paged_attention_v2_kernelI14__hip_bfloat16S1_Li120ELi8ELi128ELNS_18Fp8KVCacheDataTypeE0ELb1ELi512EEEvPfS3_PT_PKS4_PKT0_SA_ifPKiSC_iPKfiiiSE_SE_iiiii,comdat
.Lfunc_end136:
	.size	_ZN4vllm25paged_attention_v2_kernelI14__hip_bfloat16S1_Li120ELi8ELi128ELNS_18Fp8KVCacheDataTypeE0ELb1ELi512EEEvPfS3_PT_PKS4_PKT0_SA_ifPKiSC_iPKfiiiSE_SE_iiiii, .Lfunc_end136-_ZN4vllm25paged_attention_v2_kernelI14__hip_bfloat16S1_Li120ELi8ELi128ELNS_18Fp8KVCacheDataTypeE0ELb1ELi512EEEvPfS3_PT_PKS4_PKT0_SA_ifPKiSC_iPKfiiiSE_SE_iiiii
                                        ; -- End function
	.section	.AMDGPU.csdata,"",@progbits
; Kernel info:
; codeLenInByte = 7280
; NumSgprs: 60
; NumVgprs: 56
; NumAgprs: 0
; TotalNumVgprs: 56
; ScratchSize: 0
; MemoryBound: 0
; FloatMode: 240
; IeeeMode: 1
; LDSByteSize: 256 bytes/workgroup (compile time only)
; SGPRBlocks: 7
; VGPRBlocks: 6
; NumSGPRsForWavesPerEU: 60
; NumVGPRsForWavesPerEU: 56
; AccumOffset: 56
; Occupancy: 8
; WaveLimiterHint : 1
; COMPUTE_PGM_RSRC2:SCRATCH_EN: 0
; COMPUTE_PGM_RSRC2:USER_SGPR: 2
; COMPUTE_PGM_RSRC2:TRAP_HANDLER: 0
; COMPUTE_PGM_RSRC2:TGID_X_EN: 1
; COMPUTE_PGM_RSRC2:TGID_Y_EN: 1
; COMPUTE_PGM_RSRC2:TGID_Z_EN: 1
; COMPUTE_PGM_RSRC2:TIDIG_COMP_CNT: 0
; COMPUTE_PGM_RSRC3_GFX90A:ACCUM_OFFSET: 13
; COMPUTE_PGM_RSRC3_GFX90A:TG_SPLIT: 0
	.section	.text._ZN4vllm32paged_attention_v2_reduce_kernelI14__hip_bfloat16Li120ELi128ELi512EEEvPT_PKfS5_PKS2_PKii,"axG",@progbits,_ZN4vllm32paged_attention_v2_reduce_kernelI14__hip_bfloat16Li120ELi128ELi512EEEvPT_PKfS5_PKS2_PKii,comdat
	.protected	_ZN4vllm32paged_attention_v2_reduce_kernelI14__hip_bfloat16Li120ELi128ELi512EEEvPT_PKfS5_PKS2_PKii ; -- Begin function _ZN4vllm32paged_attention_v2_reduce_kernelI14__hip_bfloat16Li120ELi128ELi512EEEvPT_PKfS5_PKS2_PKii
	.globl	_ZN4vllm32paged_attention_v2_reduce_kernelI14__hip_bfloat16Li120ELi128ELi512EEEvPT_PKfS5_PKS2_PKii
	.p2align	8
	.type	_ZN4vllm32paged_attention_v2_reduce_kernelI14__hip_bfloat16Li120ELi128ELi512EEEvPT_PKfS5_PKS2_PKii,@function
_ZN4vllm32paged_attention_v2_reduce_kernelI14__hip_bfloat16Li120ELi128ELi512EEEvPT_PKfS5_PKS2_PKii: ; @_ZN4vllm32paged_attention_v2_reduce_kernelI14__hip_bfloat16Li120ELi128ELi512EEEvPT_PKfS5_PKS2_PKii
; %bb.0:
	s_load_dwordx4 s[8:11], s[0:1], 0x18
	s_add_u32 s6, s0, 48
	s_mov_b32 s12, s3
	s_addc_u32 s7, s1, 0
	s_ashr_i32 s13, s3, 31
	s_lshl_b64 s[4:5], s[12:13], 2
	s_waitcnt lgkmcnt(0)
	s_add_u32 s4, s10, s4
	s_addc_u32 s5, s11, s5
	s_load_dword s26, s[4:5], 0x0
	s_load_dwordx2 s[10:11], s[0:1], 0x0
	s_load_dword s13, s[0:1], 0x28
	s_load_dword s3, s[0:1], 0x30
	s_waitcnt lgkmcnt(0)
	s_add_i32 s4, s26, -1
	s_cmpk_gt_u32 s4, 0x1ff
	s_mov_b64 s[4:5], -1
	s_cbranch_scc0 .LBB137_29
; %bb.1:
	s_add_i32 s4, s26, 0x1ff
	s_load_dwordx2 s[18:19], s[0:1], 0x8
	s_ashr_i32 s5, s4, 31
	s_lshr_b32 s5, s5, 23
	s_add_i32 s4, s4, s5
	s_mul_i32 s24, s3, s12
	s_ashr_i32 s25, s4, 9
	s_mul_i32 s14, s24, s13
	s_mul_i32 s16, s2, s13
	s_ashr_i32 s15, s14, 31
	s_ashr_i32 s17, s16, 31
	v_cmp_gt_i32_e32 vcc, s25, v0
	v_mov_b32_e32 v6, 0xff7fffff
	v_lshlrev_b32_e32 v2, 2, v0
	s_and_saveexec_b64 s[4:5], vcc
	s_cbranch_execz .LBB137_5
; %bb.2:
	s_load_dword s20, s[6:7], 0xc
	s_load_dwordx2 s[22:23], s[0:1], 0x10
	s_lshl_b64 s[0:1], s[14:15], 2
	s_lshl_b64 s[28:29], s[16:17], 2
	v_mov_b32_e32 v3, 0
	s_waitcnt lgkmcnt(0)
	s_and_b32 s27, s20, 0xffff
	s_add_u32 s0, s0, s28
	s_addc_u32 s1, s1, s29
	s_add_u32 s0, s22, s0
	s_addc_u32 s1, s23, s1
	s_mov_b32 s21, 0
	v_lshl_add_u64 v[4:5], s[0:1], 0, v[2:3]
	s_lshl_b32 s20, s27, 2
	v_add_u32_e32 v1, 16, v2
	s_mov_b64 s[22:23], 0
	v_mov_b32_e32 v6, 0xff7fffff
	v_mov_b32_e32 v3, v0
.LBB137_3:                              ; =>This Inner Loop Header: Depth=1
	global_load_dword v7, v[4:5], off
	v_add_u32_e32 v3, s27, v3
	v_max_f32_e32 v6, v6, v6
	v_cmp_le_i32_e64 s[0:1], s25, v3
	v_lshl_add_u64 v[4:5], v[4:5], 0, s[20:21]
	s_or_b64 s[22:23], s[0:1], s[22:23]
	s_waitcnt vmcnt(0)
	ds_write_b32 v1, v7
	v_max_f32_e32 v7, v7, v7
	v_add_u32_e32 v1, s20, v1
	v_max_f32_e32 v6, v6, v7
	s_andn2_b64 exec, exec, s[22:23]
	s_cbranch_execnz .LBB137_3
; %bb.4:
	s_or_b64 exec, exec, s[22:23]
.LBB137_5:
	s_or_b64 exec, exec, s[4:5]
	v_mbcnt_lo_u32_b32 v1, -1, 0
	v_mbcnt_hi_u32_b32 v3, -1, v1
	v_and_b32_e32 v1, 64, v3
	v_add_u32_e32 v7, 64, v1
	v_xor_b32_e32 v1, 32, v3
	v_cmp_lt_i32_e64 s[0:1], v1, v7
	v_max_f32_e32 v5, v6, v6
	v_xor_b32_e32 v8, 8, v3
	v_cndmask_b32_e64 v1, v3, v1, s[0:1]
	v_lshlrev_b32_e32 v1, 2, v1
	ds_bpermute_b32 v4, v1, v6
	v_xor_b32_e32 v6, 16, v3
	v_cmp_lt_i32_e64 s[0:1], v6, v7
	v_xor_b32_e32 v9, 4, v3
	v_xor_b32_e32 v10, 2, v3
	s_waitcnt lgkmcnt(0)
	v_max_f32_e32 v4, v4, v4
	v_max_f32_e32 v4, v5, v4
	v_cndmask_b32_e64 v5, v3, v6, s[0:1]
	v_lshlrev_b32_e32 v6, 2, v5
	ds_bpermute_b32 v5, v6, v4
	v_cmp_lt_i32_e64 s[0:1], v8, v7
	v_lshrrev_b32_e32 v13, 6, v0
	s_waitcnt lgkmcnt(0)
	s_barrier
	v_max_f32_e32 v5, v5, v5
	v_max_f32_e32 v4, v4, v5
	v_cndmask_b32_e64 v5, v3, v8, s[0:1]
	v_lshlrev_b32_e32 v8, 2, v5
	ds_bpermute_b32 v5, v8, v4
	v_cmp_lt_i32_e64 s[0:1], v9, v7
	s_waitcnt lgkmcnt(0)
	v_max_f32_e32 v5, v5, v5
	v_max_f32_e32 v4, v4, v5
	v_cndmask_b32_e64 v5, v3, v9, s[0:1]
	v_lshlrev_b32_e32 v9, 2, v5
	ds_bpermute_b32 v5, v9, v4
	v_cmp_lt_i32_e64 s[0:1], v10, v7
	s_waitcnt lgkmcnt(0)
	v_max_f32_e32 v5, v5, v5
	v_max_f32_e32 v5, v4, v5
	v_cndmask_b32_e64 v4, v3, v10, s[0:1]
	v_lshlrev_b32_e32 v10, 2, v4
	ds_bpermute_b32 v11, v10, v5
	v_and_b32_e32 v4, 63, v0
	s_waitcnt lgkmcnt(0)
	v_max_f32_e32 v11, v11, v11
	v_max_f32_e32 v5, v5, v11
	v_xor_b32_e32 v11, 1, v3
	v_cmp_lt_i32_e64 s[0:1], v11, v7
	s_nop 1
	v_cndmask_b32_e64 v7, v3, v11, s[0:1]
	v_lshlrev_b32_e32 v7, 2, v7
	ds_bpermute_b32 v12, v7, v5
	v_cmp_eq_u32_e64 s[0:1], 0, v4
	v_lshlrev_b32_e32 v11, 2, v13
	s_and_saveexec_b64 s[4:5], s[0:1]
	s_cbranch_execz .LBB137_7
; %bb.6:
	s_waitcnt lgkmcnt(0)
	v_max_f32_e32 v12, v12, v12
	v_max_f32_e32 v5, v5, v5
	;; [unrolled: 1-line block ×3, first 2 shown]
	ds_write_b32 v11, v5
.LBB137_7:
	s_or_b64 exec, exec, s[4:5]
	v_cmp_gt_u32_e64 s[4:5], 2, v4
	v_mov_b32_e32 v5, 0xff7fffff
	s_waitcnt lgkmcnt(0)
	v_lshlrev_b32_e32 v12, 2, v4
	s_barrier
	s_and_saveexec_b64 s[20:21], s[4:5]
	s_cbranch_execz .LBB137_9
; %bb.8:
	ds_read_b32 v5, v12
.LBB137_9:
	s_or_b64 exec, exec, s[20:21]
	s_waitcnt lgkmcnt(0)
	ds_bpermute_b32 v4, v7, v5
	v_max_f32_e32 v5, v5, v5
	v_lshlrev_b32_e32 v3, 2, v3
	v_and_b32_e32 v13, 0x100, v3
	s_lshl_b32 s27, s25, 2
	s_waitcnt lgkmcnt(0)
	v_max_f32_e32 v4, v4, v4
	v_max_f32_e32 v4, v5, v4
	ds_bpermute_b32 v14, v13, v4
	v_mov_b32_e32 v3, 0
	s_and_saveexec_b64 s[20:21], vcc
	s_cbranch_execz .LBB137_13
; %bb.10:
	s_load_dword s22, s[6:7], 0xc
	s_lshl_b64 s[28:29], s[14:15], 2
	s_lshl_b64 s[30:31], s[16:17], 2
	v_mov_b32_e32 v3, 0
	s_mov_b32 s23, 0
	s_waitcnt lgkmcnt(0)
	s_and_b32 s15, s22, 0xffff
	s_add_u32 s17, s28, s30
	s_addc_u32 s22, s29, s31
	s_add_u32 s18, s18, s17
	s_addc_u32 s19, s19, s22
	v_lshl_add_u64 v[4:5], s[18:19], 0, v[2:3]
	s_lshl_b32 s22, s15, 2
	v_add_u32_e32 v2, 16, v2
	s_mov_b64 s[18:19], 0
	s_mov_b32 s17, 0x3fb8aa3b
	s_mov_b32 s28, 0xc2ce8ed0
	;; [unrolled: 1-line block ×3, first 2 shown]
	v_mov_b32_e32 v15, 0x7f800000
	v_mov_b32_e32 v16, v0
.LBB137_11:                             ; =>This Inner Loop Header: Depth=1
	global_load_dword v17, v[4:5], off
	ds_read_b32 v18, v2
	v_add_u32_e32 v16, s15, v16
	v_cmp_le_i32_e32 vcc, s25, v16
	s_or_b64 s[18:19], vcc, s[18:19]
	v_add_u32_e32 v19, s27, v2
	s_waitcnt lgkmcnt(0)
	v_sub_f32_e32 v18, v18, v14
	v_mul_f32_e32 v20, 0x3fb8aa3b, v18
	v_fma_f32 v21, v18, s17, -v20
	v_rndne_f32_e32 v22, v20
	v_fmac_f32_e32 v21, 0x32a5705f, v18
	v_sub_f32_e32 v20, v20, v22
	v_add_f32_e32 v20, v20, v21
	v_cvt_i32_f32_e32 v22, v22
	v_exp_f32_e32 v20, v20
	v_cmp_ngt_f32_e32 vcc, s28, v18
	v_lshl_add_u64 v[4:5], v[4:5], 0, s[22:23]
	v_add_u32_e32 v2, s22, v2
	v_ldexp_f32 v20, v20, v22
	v_cndmask_b32_e32 v20, 0, v20, vcc
	v_cmp_nlt_f32_e32 vcc, s29, v18
	s_nop 1
	v_cndmask_b32_e32 v18, v15, v20, vcc
	s_waitcnt vmcnt(0)
	v_mul_f32_e32 v20, v17, v18
	v_fmac_f32_e32 v3, v17, v18
	ds_write_b32 v19, v20
	s_andn2_b64 exec, exec, s[18:19]
	s_cbranch_execnz .LBB137_11
; %bb.12:
	s_or_b64 exec, exec, s[18:19]
.LBB137_13:
	s_or_b64 exec, exec, s[20:21]
	ds_bpermute_b32 v1, v1, v3
	s_waitcnt lgkmcnt(0)
	s_barrier
	v_add_f32_e32 v1, v3, v1
	ds_bpermute_b32 v2, v6, v1
	s_waitcnt lgkmcnt(0)
	v_add_f32_e32 v1, v1, v2
	ds_bpermute_b32 v2, v8, v1
	s_waitcnt lgkmcnt(0)
	;; [unrolled: 3-line block ×5, first 2 shown]
	v_add_f32_e32 v1, v1, v2
	s_and_saveexec_b64 s[18:19], s[0:1]
	s_cbranch_execz .LBB137_15
; %bb.14:
	ds_write_b32 v11, v1 offset:8
.LBB137_15:
	s_or_b64 exec, exec, s[18:19]
	s_waitcnt lgkmcnt(0)
	s_barrier
	s_and_saveexec_b64 s[0:1], s[4:5]
	s_cbranch_execz .LBB137_17
; %bb.16:
	ds_read_b32 v1, v12 offset:8
.LBB137_17:
	s_or_b64 exec, exec, s[0:1]
	s_waitcnt lgkmcnt(0)
	ds_bpermute_b32 v2, v7, v1
	s_movk_i32 s0, 0x78
	v_cmp_gt_u32_e32 vcc, s0, v0
	s_waitcnt lgkmcnt(0)
	v_add_f32_e32 v1, v1, v2
	ds_bpermute_b32 v2, v13, v1
	s_and_saveexec_b64 s[0:1], vcc
	s_cbranch_execz .LBB137_28
; %bb.18:
	s_cmp_gt_i32 s26, 0
	s_mov_b32 s15, 0
	s_cbranch_scc1 .LBB137_20
; %bb.19:
	v_mov_b32_e32 v1, 0
	v_mov_b32_e32 v4, s15
	s_cbranch_execz .LBB137_21
	s_branch .LBB137_23
.LBB137_20:
                                        ; implicit-def: $sgpr15
	v_mov_b32_e32 v4, s15
.LBB137_21:
	s_waitcnt lgkmcnt(0)
	v_add_f32_e32 v1, 0x358637bd, v2
	v_div_scale_f32 v2, s[4:5], v1, v1, 1.0
	v_rcp_f32_e32 v3, v2
	s_mul_i32 s4, s14, 0x78
	s_mulk_i32 s16, 0x78
	s_ashr_i32 s5, s4, 31
	v_fma_f32 v4, -v2, v3, 1.0
	v_fmac_f32_e32 v3, v4, v3
	v_div_scale_f32 v4, vcc, 1.0, v1, 1.0
	v_mul_f32_e32 v5, v4, v3
	v_fma_f32 v6, -v2, v5, v4
	s_ashr_i32 s17, s16, 31
	s_max_i32 s15, s25, 1
	v_fmac_f32_e32 v5, v6, v3
	s_add_i32 s14, s27, 16
	s_lshl_b64 s[4:5], s[4:5], 1
	s_lshl_b64 s[16:17], s[16:17], 1
	v_fma_f32 v2, -v2, v5, v4
	s_add_u32 s4, s4, s16
	v_div_fmas_f32 v2, v2, v3, v5
	s_addc_u32 s5, s5, s17
	v_div_fixup_f32 v5, v2, v1, 1.0
	v_mov_b32_e32 v1, 0
	s_add_u32 s4, s8, s4
	v_lshlrev_b32_e32 v2, 1, v0
	v_mov_b32_e32 v3, v1
	s_addc_u32 s5, s9, s5
	v_lshl_add_u64 v[2:3], s[4:5], 0, v[2:3]
	s_mov_b64 s[4:5], 0xf0
	v_mov_b32_e32 v4, v1
.LBB137_22:                             ; =>This Inner Loop Header: Depth=1
	global_load_ushort v6, v[2:3], off
	v_mov_b32_e32 v7, s14
	ds_read_b32 v7, v7
	s_add_i32 s15, s15, -1
	s_add_i32 s14, s14, 4
	v_lshl_add_u64 v[2:3], v[2:3], 0, s[4:5]
	s_cmp_eq_u32 s15, 0
	s_waitcnt vmcnt(0)
	v_lshlrev_b32_e32 v6, 16, v6
	s_waitcnt lgkmcnt(0)
	v_mul_f32_e32 v6, v7, v6
	v_fmac_f32_e32 v4, v5, v6
	s_cbranch_scc0 .LBB137_22
.LBB137_23:
	s_mov_b32 s4, 0x7f800000
	s_waitcnt lgkmcnt(0)
	v_and_b32_e32 v2, 0x7f800000, v4
	v_cmp_ne_u32_e32 vcc, s4, v2
                                        ; implicit-def: $vgpr2
	s_and_saveexec_b64 s[4:5], vcc
	s_xor_b64 s[4:5], exec, s[4:5]
; %bb.24:
	v_bfe_u32 v2, v4, 16, 1
	s_movk_i32 s14, 0x7fff
	v_add3_u32 v2, v4, v2, s14
                                        ; implicit-def: $vgpr4
; %bb.25:
	s_andn2_saveexec_b64 s[4:5], s[4:5]
; %bb.26:
	v_mov_b32_e32 v2, 0
	v_or_b32_e32 v3, 0x10000, v4
	v_cmp_eq_u32_sdwa vcc, v4, v2 src0_sel:WORD_0 src1_sel:DWORD
	s_nop 1
	v_cndmask_b32_e32 v2, v3, v4, vcc
; %bb.27:
	s_or_b64 exec, exec, s[4:5]
	s_mul_i32 s4, s24, 0x78
	s_ashr_i32 s5, s4, 31
	s_lshl_b64 s[4:5], s[4:5], 1
	s_add_u32 s14, s10, s4
	s_mul_i32 s4, s2, 0x78
	s_addc_u32 s15, s11, s5
	s_ashr_i32 s5, s4, 31
	s_lshl_b64 s[4:5], s[4:5], 1
	s_add_u32 s4, s14, s4
	s_addc_u32 s5, s15, s5
	v_lshl_add_u64 v[4:5], v[0:1], 1, s[4:5]
	global_store_short_d16_hi v[4:5], v2, off
.LBB137_28:
	s_or_b64 exec, exec, s[0:1]
	s_mov_b64 s[4:5], 0
.LBB137_29:
	s_and_b64 vcc, exec, s[4:5]
	s_cbranch_vccz .LBB137_38
; %bb.30:
	s_movk_i32 s0, 0x78
	v_cmp_gt_u32_e32 vcc, s0, v0
	s_and_saveexec_b64 s[4:5], vcc
	s_cbranch_execz .LBB137_38
; %bb.31:
	s_mul_i32 s1, s3, s12
	s_mul_i32 s4, s1, 0x78
	s_ashr_i32 s5, s4, 31
	s_lshl_b64 s[14:15], s[4:5], 1
	s_add_u32 s1, s10, s14
	s_mul_i32 s10, s2, 0x78
	s_addc_u32 s5, s11, s15
	s_ashr_i32 s11, s10, 31
	s_lshl_b64 s[2:3], s[10:11], 1
	s_add_u32 s2, s1, s2
	s_mul_i32 s4, s4, s13
	s_addc_u32 s3, s5, s3
	s_ashr_i32 s5, s4, 31
	s_lshl_b64 s[4:5], s[4:5], 1
	s_load_dword s6, s[6:7], 0xc
	s_add_u32 s1, s8, s4
	s_mul_i32 s4, s10, s13
	s_addc_u32 s8, s9, s5
	s_ashr_i32 s5, s4, 31
	s_lshl_b64 s[4:5], s[4:5], 1
	s_add_u32 s4, s1, s4
	s_addc_u32 s5, s8, s5
	s_waitcnt lgkmcnt(0)
	s_and_b32 s8, s6, 0xffff
	v_cvt_f32_u32_e32 v1, s8
	v_add_u32_e32 v2, s8, v0
	v_mov_b32_e32 v4, s8
	v_cmp_gt_u32_e32 vcc, s0, v2
	v_rcp_iflag_f32_e32 v1, v1
	s_cmp_eq_u32 s8, 1
	v_max_u32_e32 v3, 0x78, v2
	v_addc_co_u32_e64 v2, s[0:1], v0, v4, vcc
	v_mul_f32_e32 v1, 0x4f7ffffe, v1
	v_cvt_u32_f32_e32 v1, v1
	s_cselect_b64 s[6:7], -1, 0
	s_sub_i32 s0, 0, s8
	v_sub_u32_e32 v2, v3, v2
	v_mul_lo_u32 v3, s0, v1
	v_mul_hi_u32 v3, v1, v3
	v_add_u32_e32 v1, v1, v3
	v_mul_hi_u32 v1, v2, v1
	v_mul_lo_u32 v3, v1, s8
	v_sub_u32_e32 v2, v2, v3
	v_add_u32_e32 v3, 1, v1
	v_cmp_le_u32_e64 s[0:1], s8, v2
	s_nop 1
	v_cndmask_b32_e64 v1, v1, v3, s[0:1]
	v_subrev_u32_e32 v3, s8, v2
	v_cndmask_b32_e64 v2, v2, v3, s[0:1]
	v_add_u32_e32 v3, 1, v1
	v_cmp_le_u32_e64 s[0:1], s8, v2
	s_nop 1
	v_cndmask_b32_e64 v1, v1, v3, s[0:1]
	v_addc_co_u32_e32 v1, vcc, 1, v1, vcc
	v_cmp_lt_u32_e32 vcc, 31, v1
	s_and_b64 s[10:11], vcc, s[6:7]
	s_mov_b64 s[6:7], -1
	s_and_saveexec_b64 s[0:1], s[10:11]
	s_cbranch_execz .LBB137_35
; %bb.32:
	v_and_b32_e32 v4, 0xffffffe0, v1
	s_mov_b64 s[6:7], 0
	v_mov_b32_e32 v3, 0
	v_mov_b32_e32 v2, v0
	;; [unrolled: 1-line block ×3, first 2 shown]
.LBB137_33:                             ; =>This Inner Loop Header: Depth=1
	v_lshlrev_b64 v[22:23], 1, v[2:3]
	v_lshl_add_u64 v[24:25], s[4:5], 0, v[22:23]
	global_load_dwordx4 v[6:9], v[24:25], off
	global_load_dwordx4 v[10:13], v[24:25], off offset:16
	global_load_dwordx4 v[14:17], v[24:25], off offset:32
	global_load_dwordx4 v[18:21], v[24:25], off offset:48
	v_subrev_u32_e32 v5, 32, v5
	v_cmp_eq_u32_e32 vcc, 0, v5
	v_add_u32_e32 v2, 32, v2
	v_lshl_add_u64 v[22:23], s[2:3], 0, v[22:23]
	s_or_b64 s[6:7], vcc, s[6:7]
	s_waitcnt vmcnt(3)
	global_store_dwordx4 v[22:23], v[6:9], off
	s_waitcnt vmcnt(3)
	global_store_dwordx4 v[22:23], v[10:13], off offset:16
	s_waitcnt vmcnt(3)
	global_store_dwordx4 v[22:23], v[14:17], off offset:32
	;; [unrolled: 2-line block ×3, first 2 shown]
	s_andn2_b64 exec, exec, s[6:7]
	s_cbranch_execnz .LBB137_33
; %bb.34:
	s_or_b64 exec, exec, s[6:7]
	v_cmp_ne_u32_e32 vcc, v1, v4
	v_add_u32_e32 v0, v0, v4
	s_orn2_b64 s[6:7], vcc, exec
.LBB137_35:
	s_or_b64 exec, exec, s[0:1]
	s_and_b64 exec, exec, s[6:7]
	s_cbranch_execz .LBB137_38
; %bb.36:
	v_mov_b32_e32 v1, 0
	s_mov_b32 s1, 0
	v_lshlrev_b64 v[2:3], 1, v[0:1]
	s_lshl_b32 s0, s8, 1
	s_mov_b64 s[6:7], 0
	s_movk_i32 s9, 0x77
.LBB137_37:                             ; =>This Inner Loop Header: Depth=1
	v_lshl_add_u64 v[4:5], s[4:5], 0, v[2:3]
	global_load_ushort v1, v[4:5], off
	v_add_u32_e32 v0, s8, v0
	v_cmp_lt_u32_e32 vcc, s9, v0
	v_lshl_add_u64 v[4:5], s[2:3], 0, v[2:3]
	v_lshl_add_u64 v[2:3], v[2:3], 0, s[0:1]
	s_or_b64 s[6:7], vcc, s[6:7]
	s_waitcnt vmcnt(0)
	global_store_short v[4:5], v1, off
	s_andn2_b64 exec, exec, s[6:7]
	s_cbranch_execnz .LBB137_37
.LBB137_38:
	s_endpgm
	.section	.rodata,"a",@progbits
	.p2align	6, 0x0
	.amdhsa_kernel _ZN4vllm32paged_attention_v2_reduce_kernelI14__hip_bfloat16Li120ELi128ELi512EEEvPT_PKfS5_PKS2_PKii
		.amdhsa_group_segment_fixed_size 16
		.amdhsa_private_segment_fixed_size 0
		.amdhsa_kernarg_size 304
		.amdhsa_user_sgpr_count 2
		.amdhsa_user_sgpr_dispatch_ptr 0
		.amdhsa_user_sgpr_queue_ptr 0
		.amdhsa_user_sgpr_kernarg_segment_ptr 1
		.amdhsa_user_sgpr_dispatch_id 0
		.amdhsa_user_sgpr_kernarg_preload_length 0
		.amdhsa_user_sgpr_kernarg_preload_offset 0
		.amdhsa_user_sgpr_private_segment_size 0
		.amdhsa_uses_dynamic_stack 0
		.amdhsa_enable_private_segment 0
		.amdhsa_system_sgpr_workgroup_id_x 1
		.amdhsa_system_sgpr_workgroup_id_y 1
		.amdhsa_system_sgpr_workgroup_id_z 0
		.amdhsa_system_sgpr_workgroup_info 0
		.amdhsa_system_vgpr_workitem_id 0
		.amdhsa_next_free_vgpr 26
		.amdhsa_next_free_sgpr 32
		.amdhsa_accum_offset 28
		.amdhsa_reserve_vcc 1
		.amdhsa_float_round_mode_32 0
		.amdhsa_float_round_mode_16_64 0
		.amdhsa_float_denorm_mode_32 3
		.amdhsa_float_denorm_mode_16_64 3
		.amdhsa_dx10_clamp 1
		.amdhsa_ieee_mode 1
		.amdhsa_fp16_overflow 0
		.amdhsa_tg_split 0
		.amdhsa_exception_fp_ieee_invalid_op 0
		.amdhsa_exception_fp_denorm_src 0
		.amdhsa_exception_fp_ieee_div_zero 0
		.amdhsa_exception_fp_ieee_overflow 0
		.amdhsa_exception_fp_ieee_underflow 0
		.amdhsa_exception_fp_ieee_inexact 0
		.amdhsa_exception_int_div_zero 0
	.end_amdhsa_kernel
	.section	.text._ZN4vllm32paged_attention_v2_reduce_kernelI14__hip_bfloat16Li120ELi128ELi512EEEvPT_PKfS5_PKS2_PKii,"axG",@progbits,_ZN4vllm32paged_attention_v2_reduce_kernelI14__hip_bfloat16Li120ELi128ELi512EEEvPT_PKfS5_PKS2_PKii,comdat
.Lfunc_end137:
	.size	_ZN4vllm32paged_attention_v2_reduce_kernelI14__hip_bfloat16Li120ELi128ELi512EEEvPT_PKfS5_PKS2_PKii, .Lfunc_end137-_ZN4vllm32paged_attention_v2_reduce_kernelI14__hip_bfloat16Li120ELi128ELi512EEEvPT_PKfS5_PKS2_PKii
                                        ; -- End function
	.section	.AMDGPU.csdata,"",@progbits
; Kernel info:
; codeLenInByte = 2276
; NumSgprs: 38
; NumVgprs: 26
; NumAgprs: 0
; TotalNumVgprs: 26
; ScratchSize: 0
; MemoryBound: 0
; FloatMode: 240
; IeeeMode: 1
; LDSByteSize: 16 bytes/workgroup (compile time only)
; SGPRBlocks: 4
; VGPRBlocks: 3
; NumSGPRsForWavesPerEU: 38
; NumVGPRsForWavesPerEU: 26
; AccumOffset: 28
; Occupancy: 8
; WaveLimiterHint : 0
; COMPUTE_PGM_RSRC2:SCRATCH_EN: 0
; COMPUTE_PGM_RSRC2:USER_SGPR: 2
; COMPUTE_PGM_RSRC2:TRAP_HANDLER: 0
; COMPUTE_PGM_RSRC2:TGID_X_EN: 1
; COMPUTE_PGM_RSRC2:TGID_Y_EN: 1
; COMPUTE_PGM_RSRC2:TGID_Z_EN: 0
; COMPUTE_PGM_RSRC2:TIDIG_COMP_CNT: 0
; COMPUTE_PGM_RSRC3_GFX90A:ACCUM_OFFSET: 6
; COMPUTE_PGM_RSRC3_GFX90A:TG_SPLIT: 0
	.section	.text._ZN4vllm25paged_attention_v2_kernelI14__hip_bfloat16S1_Li128ELi8ELi128ELNS_18Fp8KVCacheDataTypeE0ELb1ELi512EEEvPfS3_PT_PKS4_PKT0_SA_ifPKiSC_iPKfiiiSE_SE_iiiii,"axG",@progbits,_ZN4vllm25paged_attention_v2_kernelI14__hip_bfloat16S1_Li128ELi8ELi128ELNS_18Fp8KVCacheDataTypeE0ELb1ELi512EEEvPfS3_PT_PKS4_PKT0_SA_ifPKiSC_iPKfiiiSE_SE_iiiii,comdat
	.protected	_ZN4vllm25paged_attention_v2_kernelI14__hip_bfloat16S1_Li128ELi8ELi128ELNS_18Fp8KVCacheDataTypeE0ELb1ELi512EEEvPfS3_PT_PKS4_PKT0_SA_ifPKiSC_iPKfiiiSE_SE_iiiii ; -- Begin function _ZN4vllm25paged_attention_v2_kernelI14__hip_bfloat16S1_Li128ELi8ELi128ELNS_18Fp8KVCacheDataTypeE0ELb1ELi512EEEvPfS3_PT_PKS4_PKT0_SA_ifPKiSC_iPKfiiiSE_SE_iiiii
	.globl	_ZN4vllm25paged_attention_v2_kernelI14__hip_bfloat16S1_Li128ELi8ELi128ELNS_18Fp8KVCacheDataTypeE0ELb1ELi512EEEvPfS3_PT_PKS4_PKT0_SA_ifPKiSC_iPKfiiiSE_SE_iiiii
	.p2align	8
	.type	_ZN4vllm25paged_attention_v2_kernelI14__hip_bfloat16S1_Li128ELi8ELi128ELNS_18Fp8KVCacheDataTypeE0ELb1ELi512EEEvPfS3_PT_PKS4_PKT0_SA_ifPKiSC_iPKfiiiSE_SE_iiiii,@function
_ZN4vllm25paged_attention_v2_kernelI14__hip_bfloat16S1_Li128ELi8ELi128ELNS_18Fp8KVCacheDataTypeE0ELb1ELi512EEEvPfS3_PT_PKS4_PKT0_SA_ifPKiSC_iPKfiiiSE_SE_iiiii: ; @_ZN4vllm25paged_attention_v2_kernelI14__hip_bfloat16S1_Li128ELi8ELi128ELNS_18Fp8KVCacheDataTypeE0ELb1ELi512EEEvPfS3_PT_PKS4_PKT0_SA_ifPKiSC_iPKfiiiSE_SE_iiiii
; %bb.0:
	s_load_dwordx2 s[6:7], s[0:1], 0x40
	s_mov_b32 s28, s3
	s_ashr_i32 s29, s3, 31
	s_lshl_b64 s[8:9], s[28:29], 2
	s_waitcnt lgkmcnt(0)
	s_add_u32 s6, s6, s8
	s_addc_u32 s7, s7, s9
	s_load_dword s29, s[6:7], 0x0
	s_lshl_b32 s49, s4, 9
	s_waitcnt lgkmcnt(0)
	s_cmp_ge_i32 s49, s29
	s_cbranch_scc1 .LBB138_167
; %bb.1:
	s_load_dword s5, s[0:1], 0x90
	s_load_dwordx2 s[38:39], s[0:1], 0x30
	s_waitcnt lgkmcnt(0)
	s_abs_i32 s7, s5
	s_abs_i32 s3, s38
	v_cvt_f32_u32_e32 v1, s3
	s_sub_i32 s8, 0, s3
	s_xor_b32 s6, s5, s38
	s_ashr_i32 s6, s6, 31
	v_rcp_iflag_f32_e32 v1, v1
	s_nop 0
	v_mul_f32_e32 v1, 0x4f7ffffe, v1
	v_cvt_u32_f32_e32 v1, v1
	s_nop 0
	v_readfirstlane_b32 s9, v1
	s_mul_i32 s8, s8, s9
	s_mul_hi_u32 s8, s9, s8
	s_add_i32 s9, s9, s8
	s_mul_hi_u32 s8, s7, s9
	s_mul_i32 s9, s8, s3
	s_sub_i32 s7, s7, s9
	s_add_i32 s10, s8, 1
	s_sub_i32 s9, s7, s3
	s_cmp_ge_u32 s7, s3
	s_cselect_b32 s8, s10, s8
	s_cselect_b32 s7, s9, s7
	s_add_i32 s9, s8, 1
	s_cmp_ge_u32 s7, s3
	s_cselect_b32 s3, s9, s8
	s_xor_b32 s3, s3, s6
	s_sub_i32 s12, s3, s6
	s_abs_i32 s8, s12
	v_cvt_f32_u32_e32 v1, s8
	s_load_dwordx2 s[6:7], s[0:1], 0x50
	s_sub_i32 s10, 0, s8
	s_abs_i32 s9, s2
	v_rcp_iflag_f32_e32 v1, v1
	s_mov_b32 s3, 0
	v_mul_f32_e32 v1, 0x4f7ffffe, v1
	v_cvt_u32_f32_e32 v1, v1
	s_nop 0
	v_readfirstlane_b32 s11, v1
	s_mul_i32 s10, s10, s11
	s_mul_hi_u32 s10, s11, s10
	s_add_i32 s11, s11, s10
	s_waitcnt lgkmcnt(0)
	s_cmp_eq_u64 s[6:7], 0
	s_mul_hi_u32 s10, s9, s11
	s_cbranch_scc1 .LBB138_3
; %bb.2:
	s_ashr_i32 s3, s2, 31
	s_lshl_b64 s[14:15], s[2:3], 2
	s_add_u32 s6, s6, s14
	s_addc_u32 s7, s7, s15
	s_load_dword s3, s[6:7], 0x0
.LBB138_3:
	s_ashr_i32 s16, s12, 31
	s_load_dwordx4 s[12:15], s[0:1], 0x58
	s_movk_i32 s6, 0x80
	s_ashr_i32 s11, s2, 31
	v_and_b32_e32 v4, 7, v0
	s_lshl_b32 s24, s2, 7
	v_cmp_gt_u32_e32 vcc, s6, v0
	v_lshlrev_b32_e32 v10, 1, v0
	s_and_saveexec_b64 s[6:7], vcc
	s_cbranch_execz .LBB138_5
; %bb.4:
	s_load_dwordx2 s[18:19], s[0:1], 0x18
	s_waitcnt lgkmcnt(0)
	s_mul_i32 s20, s28, s12
	s_ashr_i32 s21, s20, 31
	s_lshl_b64 s[20:21], s[20:21], 1
	v_lshrrev_b32_e32 v2, 2, v0
	s_add_u32 s12, s18, s20
	s_addc_u32 s15, s19, s21
	s_ashr_i32 s25, s24, 31
	s_lshl_b64 s[18:19], s[24:25], 1
	s_add_u32 s18, s12, s18
	s_addc_u32 s19, s15, s19
	global_load_ushort v1, v10, s[18:19]
	v_and_b32_e32 v2, 0xfe, v2
	v_lshl_add_u32 v2, v4, 5, v2
	s_waitcnt vmcnt(0)
	ds_write_b16 v2, v1
.LBB138_5:
	s_or_b64 exec, exec, s[6:7]
	s_mul_i32 s7, s10, s8
	s_sub_i32 s7, s9, s7
	s_xor_b32 s6, s11, s16
	s_add_i32 s9, s10, 1
	s_sub_i32 s11, s7, s8
	s_load_dwordx4 s[16:19], s[0:1], 0x78
	s_cmp_ge_u32 s7, s8
	s_cselect_b32 s9, s9, s10
	s_cselect_b32 s7, s11, s7
	s_load_dword s11, s[0:1], 0x88
	s_add_i32 s10, s9, 1
	s_cmp_ge_u32 s7, s8
	s_cselect_b32 s7, s10, s9
	s_waitcnt lgkmcnt(0)
	s_abs_i32 s25, s19
	v_cvt_f32_u32_e32 v1, s25
	s_xor_b32 s7, s7, s6
	s_sub_i32 s10, s7, s6
	s_sub_i32 s6, 0, s25
	v_rcp_iflag_f32_e32 v1, v1
	s_add_i32 s12, s29, -1
	s_abs_i32 s8, s12
	v_mul_f32_e32 v1, 0x4f7ffffe, v1
	v_cvt_u32_f32_e32 v1, v1
	s_barrier
	v_readfirstlane_b32 s33, v1
	s_mul_i32 s6, s6, s33
	s_mul_hi_u32 s6, s33, s6
	s_add_i32 s33, s33, s6
	s_cmp_lt_i32 s11, 0
	s_mul_hi_u32 s9, s8, s33
	s_cbranch_scc0 .LBB138_7
; %bb.6:
	s_mul_i32 s6, s16, s38
	s_add_i32 s6, s10, s6
	s_mul_i32 s6, s6, s11
	s_sub_i32 s46, 1, s6
	s_mov_b64 s[6:7], 0
	s_branch .LBB138_8
.LBB138_7:
	s_mov_b64 s[6:7], -1
                                        ; implicit-def: $sgpr46
.LBB138_8:
	s_load_dwordx2 s[30:31], s[0:1], 0x38
	s_ashr_i32 s12, s12, 31
	s_andn2_b64 vcc, exec, s[6:7]
	s_ashr_i32 s19, s19, 31
	s_cbranch_vccnz .LBB138_10
; %bb.9:
	s_mul_i32 s6, s5, s16
	s_add_i32 s6, s6, s2
	s_mul_i32 s6, s6, s11
	s_add_i32 s46, s6, 1
.LBB138_10:
	s_load_dword s6, s[0:1], 0x48
	s_load_dwordx2 s[36:37], s[0:1], 0x28
	s_load_dword s16, s[0:1], 0x98
	s_load_dwordx4 s[20:23], s[0:1], 0x0
	s_load_dwordx2 s[26:27], s[0:1], 0x10
	s_mul_i32 s7, s9, s25
	s_waitcnt lgkmcnt(0)
	s_mul_i32 s34, s28, s6
	s_sub_i32 s7, s8, s7
	s_ashr_i32 s35, s34, 31
	s_xor_b32 s6, s12, s19
	s_add_i32 s8, s9, 1
	s_sub_i32 s11, s7, s25
	s_cmp_ge_u32 s7, s25
	s_cselect_b32 s8, s8, s9
	s_cselect_b32 s7, s11, s7
	s_add_i32 s9, s8, 1
	s_cmp_ge_u32 s7, s25
	s_cselect_b32 s7, s9, s8
	s_xor_b32 s7, s7, s6
	s_sub_i32 s48, s7, s6
	s_add_i32 s6, s29, 7
	s_ashr_i32 s7, s6, 31
	s_lshr_b32 s7, s7, 29
	s_add_i32 s6, s6, s7
	s_lshl_b32 s38, s4, 6
	s_ashr_i32 s12, s6, 3
	s_add_i32 s6, s38, 64
	v_lshrrev_b32_e32 v6, 6, v0
	s_min_i32 s47, s6, s12
	v_or_b32_e32 v12, s38, v6
	v_cmp_gt_i32_e64 s[8:9], s47, v12
	v_mov_b32_e32 v11, 0xff7fffff
	s_mul_i32 s14, s10, s14
	v_ashrrev_i32_e32 v13, 31, v12
	v_lshl_add_u32 v1, v6, 3, s49
	v_mbcnt_lo_u32_b32 v7, -1, 0
	s_and_saveexec_b64 s[40:41], s[8:9]
	s_cbranch_execz .LBB138_20
; %bb.11:
	s_load_dwordx2 s[0:1], s[0:1], 0x20
	s_ashr_i32 s15, s14, 31
	s_sub_i32 s50, s48, s17
	s_lshl_b64 s[6:7], s[14:15], 1
	v_bfe_u32 v8, v0, 3, 3
	s_waitcnt lgkmcnt(0)
	s_add_u32 s0, s0, s6
	s_addc_u32 s1, s1, s7
	s_abs_i32 s15, s18
	v_cvt_f32_u32_e32 v5, s15
	v_lshlrev_b32_e32 v2, 4, v8
	v_mov_b32_e32 v3, 0
	v_lshl_add_u64 v[14:15], s[0:1], 0, v[2:3]
	v_rcp_iflag_f32_e32 v5, v5
	s_sub_i32 s0, 0, s15
	v_lshlrev_b32_e32 v11, 2, v8
	v_cmp_eq_u32_e32 vcc, 0, v4
	v_mul_f32_e32 v5, 0x4f7ffffe, v5
	v_cvt_u32_f32_e32 v5, v5
	v_lshlrev_b32_e32 v2, 1, v4
	v_lshlrev_b32_e32 v9, 5, v4
	v_lshl_or_b32 v11, v6, 5, v11
	v_mul_lo_u32 v4, s0, v5
	s_lshl_b64 s[0:1], s[34:35], 2
	s_add_u32 s0, s30, s0
	v_add_u32_e32 v16, 0x110, v11
	v_subrev_u32_e32 v11, s29, v8
	v_mbcnt_hi_u32_b32 v19, -1, v7
	v_mul_hi_u32 v4, v5, v4
	s_addc_u32 s1, s31, s1
	v_add_u32_e32 v17, 1, v11
	v_and_b32_e32 v11, 64, v19
	s_mov_b32 s51, s13
	v_lshl_add_u64 v[2:3], v[14:15], 0, v[2:3]
	v_cmp_neq_f32_e64 s[6:7], s3, 0
	v_add_u32_e32 v14, v5, v4
	v_lshl_add_u64 v[4:5], v[12:13], 2, s[0:1]
	v_lshl_add_u32 v15, v6, 3, s49
	s_mov_b64 s[42:43], 0
	v_mov_b32_e32 v18, 0xff7fffff
	v_add_u32_e32 v20, 64, v11
	v_xor_b32_e32 v21, 4, v19
	v_xor_b32_e32 v22, 2, v19
	;; [unrolled: 1-line block ×3, first 2 shown]
	v_mov_b32_e32 v11, 0xff7fffff
	v_mov_b32_e32 v24, v12
	s_branch .LBB138_14
.LBB138_12:                             ;   in Loop: Header=BB138_14 Depth=1
	s_or_b64 exec, exec, s[44:45]
.LBB138_13:                             ;   in Loop: Header=BB138_14 Depth=1
	s_or_b64 exec, exec, s[10:11]
	v_add_u32_e32 v24, 2, v24
	v_cmp_le_i32_e64 s[0:1], s47, v24
	v_lshl_add_u64 v[4:5], v[4:5], 0, 8
	v_add_u32_e32 v15, 16, v15
	s_or_b64 s[42:43], s[0:1], s[42:43]
	v_add_u32_e32 v16, 64, v16
	s_andn2_b64 exec, exec, s[42:43]
	s_cbranch_execz .LBB138_19
.LBB138_14:                             ; =>This Inner Loop Header: Depth=1
	s_waitcnt lgkmcnt(0)
	v_sub_u32_e32 v26, 0, v15
	v_max_i32_e32 v26, v15, v26
	v_mul_hi_u32 v27, v26, s33
	v_mul_lo_u32 v28, v27, s25
	v_sub_u32_e32 v26, v26, v28
	v_add_u32_e32 v28, 1, v27
	v_cmp_le_u32_e64 s[0:1], s25, v26
	v_ashrrev_i32_e32 v25, 31, v15
	v_xor_b32_e32 v25, s19, v25
	v_cndmask_b32_e64 v27, v27, v28, s[0:1]
	v_subrev_u32_e32 v28, s25, v26
	v_cndmask_b32_e64 v26, v26, v28, s[0:1]
	v_add_u32_e32 v28, 1, v27
	v_cmp_le_u32_e64 s[0:1], s25, v26
	s_nop 1
	v_cndmask_b32_e64 v26, v27, v28, s[0:1]
	v_xor_b32_e32 v26, v26, v25
	v_sub_u32_e32 v25, v26, v25
	v_add_u32_e32 v26, s46, v25
	v_sub_u32_e32 v28, 0, v26
	v_ashrrev_i32_e32 v27, 31, v26
	v_max_i32_e32 v26, v26, v28
	v_mul_hi_u32 v28, v26, v14
	v_mul_lo_u32 v28, v28, s15
	v_sub_u32_e32 v26, v26, v28
	v_subrev_u32_e32 v28, s15, v26
	v_cmp_le_u32_e64 s[0:1], s15, v26
	v_cmp_ge_i32_e64 s[10:11], s50, v25
	s_nop 0
	v_cndmask_b32_e64 v26, v26, v28, s[0:1]
	v_subrev_u32_e32 v28, s15, v26
	v_cmp_le_u32_e64 s[0:1], s15, v26
	s_nop 1
	v_cndmask_b32_e64 v26, v26, v28, s[0:1]
	v_xor_b32_e32 v26, v26, v27
	v_sub_u32_e32 v26, v26, v27
	v_cmp_ne_u32_e64 s[0:1], 0, v26
	s_and_b64 s[0:1], s[0:1], s[10:11]
	s_and_b64 s[44:45], vcc, s[0:1]
	s_and_saveexec_b64 s[10:11], s[44:45]
	s_cbranch_execz .LBB138_16
; %bb.15:                               ;   in Loop: Header=BB138_14 Depth=1
	ds_write_b32 v16, v18
.LBB138_16:                             ;   in Loop: Header=BB138_14 Depth=1
	s_or_b64 exec, exec, s[10:11]
	s_xor_b64 s[0:1], s[0:1], -1
	s_and_saveexec_b64 s[10:11], s[0:1]
	s_cbranch_execz .LBB138_13
; %bb.17:                               ;   in Loop: Header=BB138_14 Depth=1
	global_load_dword v25, v[4:5], off
	s_waitcnt vmcnt(0)
	v_mad_i64_i32 v[26:27], s[0:1], v25, s51, 0
	v_lshl_add_u64 v[26:27], v[26:27], 1, v[2:3]
	global_load_ushort v25, v[26:27], off
	global_load_ushort v34, v[26:27], off offset:128
	global_load_ushort v35, v[26:27], off offset:256
	;; [unrolled: 1-line block ×15, first 2 shown]
	ds_read_b128 v[26:29], v9
	ds_read_b128 v[30:33], v9 offset:16
	v_cmp_lt_i32_e64 s[0:1], v21, v20
	s_waitcnt lgkmcnt(1)
	v_lshlrev_b32_e32 v50, 16, v26
	v_and_b32_e32 v26, 0xffff0000, v26
	v_lshlrev_b32_e32 v51, 16, v27
	v_and_b32_e32 v27, 0xffff0000, v27
	v_lshlrev_b32_e32 v52, 16, v28
	v_and_b32_e32 v28, 0xffff0000, v28
	v_lshlrev_b32_e32 v53, 16, v29
	v_and_b32_e32 v29, 0xffff0000, v29
	s_waitcnt lgkmcnt(0)
	v_lshlrev_b32_e32 v54, 16, v30
	v_and_b32_e32 v30, 0xffff0000, v30
	v_lshlrev_b32_e32 v55, 16, v31
	v_and_b32_e32 v31, 0xffff0000, v31
	;; [unrolled: 2-line block ×3, first 2 shown]
	v_lshlrev_b32_e32 v57, 16, v33
	v_cndmask_b32_e64 v49, v19, v21, s[0:1]
	v_and_b32_e32 v33, 0xffff0000, v33
	v_lshlrev_b32_e32 v49, 2, v49
	v_cmp_lt_i32_e64 s[0:1], v22, v20
	s_waitcnt vmcnt(15)
	v_lshlrev_b32_e32 v25, 16, v25
	s_waitcnt vmcnt(14)
	v_lshlrev_b32_e32 v34, 16, v34
	v_mul_f32_e32 v26, v26, v34
	s_waitcnt vmcnt(13)
	v_lshlrev_b32_e32 v35, 16, v35
	v_fmac_f32_e32 v26, v50, v25
	s_waitcnt vmcnt(12)
	v_lshlrev_b32_e32 v36, 16, v36
	v_fmac_f32_e32 v26, v51, v35
	s_waitcnt vmcnt(11)
	v_lshlrev_b32_e32 v37, 16, v37
	v_fmac_f32_e32 v26, v27, v36
	s_waitcnt vmcnt(10)
	v_lshlrev_b32_e32 v38, 16, v38
	v_fmac_f32_e32 v26, v52, v37
	s_waitcnt vmcnt(9)
	v_lshlrev_b32_e32 v39, 16, v39
	v_fmac_f32_e32 v26, v28, v38
	s_waitcnt vmcnt(8)
	v_lshlrev_b32_e32 v40, 16, v40
	v_fmac_f32_e32 v26, v53, v39
	s_waitcnt vmcnt(7)
	v_lshlrev_b32_e32 v41, 16, v41
	v_fmac_f32_e32 v26, v29, v40
	s_waitcnt vmcnt(6)
	v_lshlrev_b32_e32 v42, 16, v42
	v_fmac_f32_e32 v26, v54, v41
	s_waitcnt vmcnt(5)
	v_lshlrev_b32_e32 v43, 16, v43
	v_fmac_f32_e32 v26, v30, v42
	s_waitcnt vmcnt(4)
	v_lshlrev_b32_e32 v44, 16, v44
	v_fmac_f32_e32 v26, v55, v43
	s_waitcnt vmcnt(3)
	v_lshlrev_b32_e32 v45, 16, v45
	v_fmac_f32_e32 v26, v31, v44
	s_waitcnt vmcnt(2)
	v_lshlrev_b32_e32 v46, 16, v46
	v_fmac_f32_e32 v26, v56, v45
	s_waitcnt vmcnt(1)
	v_lshlrev_b32_e32 v47, 16, v47
	v_fmac_f32_e32 v26, v32, v46
	v_fmac_f32_e32 v26, v57, v47
	s_waitcnt vmcnt(0)
	v_lshlrev_b32_e32 v25, 16, v48
	v_fmac_f32_e32 v26, v33, v25
	ds_bpermute_b32 v25, v49, v26
	v_cndmask_b32_e64 v27, v19, v22, s[0:1]
	v_lshlrev_b32_e32 v27, 2, v27
	v_cmp_lt_i32_e64 s[0:1], v23, v20
	s_waitcnt lgkmcnt(0)
	v_add_f32_e32 v25, v26, v25
	ds_bpermute_b32 v26, v27, v25
	v_cndmask_b32_e64 v27, v19, v23, s[0:1]
	v_lshlrev_b32_e32 v27, 2, v27
	s_waitcnt lgkmcnt(0)
	v_add_f32_e32 v25, v25, v26
	ds_bpermute_b32 v26, v27, v25
	s_and_saveexec_b64 s[44:45], vcc
	s_cbranch_execz .LBB138_12
; %bb.18:                               ;   in Loop: Header=BB138_14 Depth=1
	v_add_u32_e32 v27, v17, v15
	v_cvt_f32_i32_e32 v27, v27
	s_waitcnt lgkmcnt(0)
	v_add_f32_e32 v25, v25, v26
	v_add_u32_e32 v28, v8, v15
	v_cmp_gt_i32_e64 s[0:1], s29, v28
	v_mul_f32_e32 v26, s3, v27
	v_cndmask_b32_e64 v26, 0, v26, s[6:7]
	v_fmac_f32_e32 v26, s39, v25
	v_cndmask_b32_e64 v25, 0, v26, s[0:1]
	ds_write_b32 v16, v25
	v_max_f32_e32 v25, v11, v11
	v_max_f32_e32 v25, v25, v26
	v_cndmask_b32_e64 v11, v11, v25, s[0:1]
	s_branch .LBB138_12
.LBB138_19:
	s_or_b64 exec, exec, s[42:43]
.LBB138_20:
	s_or_b64 exec, exec, s[40:41]
	v_mbcnt_hi_u32_b32 v2, -1, v7
	v_and_b32_e32 v3, 64, v2
	v_add_u32_e32 v3, 64, v3
	v_xor_b32_e32 v4, 32, v2
	v_cmp_lt_i32_e32 vcc, v4, v3
	v_xor_b32_e32 v8, 16, v2
	v_max_f32_e32 v5, v11, v11
	v_cndmask_b32_e32 v4, v2, v4, vcc
	v_lshlrev_b32_e32 v7, 2, v4
	ds_bpermute_b32 v4, v7, v11
	v_cmp_lt_i32_e32 vcc, v8, v3
	v_and_b32_e32 v11, 63, v0
	s_waitcnt lgkmcnt(0)
	v_max_f32_e32 v4, v4, v4
	v_max_f32_e32 v4, v5, v4
	v_cndmask_b32_e32 v5, v2, v8, vcc
	v_lshlrev_b32_e32 v9, 2, v5
	ds_bpermute_b32 v5, v9, v4
	v_xor_b32_e32 v8, 8, v2
	v_cmp_lt_i32_e32 vcc, v8, v3
	s_waitcnt lgkmcnt(0)
	v_max_f32_e32 v5, v5, v5
	v_max_f32_e32 v4, v4, v5
	v_cndmask_b32_e32 v5, v2, v8, vcc
	v_lshlrev_b32_e32 v14, 2, v5
	ds_bpermute_b32 v8, v14, v4
	v_cmp_eq_u32_e32 vcc, 0, v11
	v_lshlrev_b32_e32 v5, 2, v6
	s_and_saveexec_b64 s[0:1], vcc
	s_cbranch_execz .LBB138_22
; %bb.21:
	s_waitcnt lgkmcnt(0)
	v_max_f32_e32 v8, v8, v8
	v_max_f32_e32 v4, v4, v4
	;; [unrolled: 1-line block ×3, first 2 shown]
	ds_write_b32 v5, v4 offset:256
.LBB138_22:
	s_or_b64 exec, exec, s[0:1]
	v_cmp_gt_u32_e64 s[0:1], 2, v11
	v_mov_b32_e32 v4, 0xff7fffff
	s_waitcnt lgkmcnt(0)
	v_lshlrev_b32_e32 v8, 2, v11
	s_barrier
	s_and_saveexec_b64 s[6:7], s[0:1]
	s_cbranch_execz .LBB138_24
; %bb.23:
	ds_read_b32 v4, v8 offset:256
.LBB138_24:
	s_or_b64 exec, exec, s[6:7]
	v_xor_b32_e32 v15, 1, v2
	v_cmp_lt_i32_e64 s[6:7], v15, v3
	s_sub_i32 s3, s47, s38
	s_lshl_b32 s3, s3, 3
	v_cndmask_b32_e64 v15, v2, v15, s[6:7]
	v_lshlrev_b32_e32 v15, 2, v15
	s_waitcnt lgkmcnt(0)
	ds_bpermute_b32 v16, v15, v4
	v_max_f32_e32 v4, v4, v4
	s_add_i32 s3, s3, s49
	s_min_i32 s15, s3, s29
	s_sub_i32 s3, s15, s49
	s_waitcnt lgkmcnt(0)
	v_max_f32_e32 v16, v16, v16
	v_max_f32_e32 v4, v4, v16
	v_lshlrev_b32_e32 v16, 2, v2
	v_and_b32_e32 v16, 0x100, v16
	ds_bpermute_b32 v4, v16, v4
	v_cmp_gt_i32_e64 s[6:7], s3, v0
	v_mov_b32_e32 v17, 0
	s_and_saveexec_b64 s[38:39], s[6:7]
	s_cbranch_execz .LBB138_28
; %bb.25:
	v_mov_b32_e32 v17, 0x110
	v_lshl_add_u32 v18, v0, 2, v17
	s_mov_b64 s[40:41], 0
	v_mov_b32_e32 v17, 0
	v_mov_b32_e32 v19, v0
.LBB138_26:                             ; =>This Inner Loop Header: Depth=1
	ds_read_b32 v20, v18
	v_add_u32_e32 v19, 0x80, v19
	v_cmp_le_i32_e64 s[10:11], s3, v19
	s_or_b64 s[40:41], s[10:11], s[40:41]
	s_waitcnt lgkmcnt(0)
	v_sub_f32_e32 v20, v20, v4
	v_mul_f32_e32 v20, 0x3fb8aa3b, v20
	v_exp_f32_e32 v20, v20
	ds_write_b32 v18, v20
	v_add_f32_e32 v17, v17, v20
	v_add_u32_e32 v18, 0x200, v18
	s_andn2_b64 exec, exec, s[40:41]
	s_cbranch_execnz .LBB138_26
; %bb.27:
	s_or_b64 exec, exec, s[40:41]
.LBB138_28:
	s_or_b64 exec, exec, s[38:39]
	ds_bpermute_b32 v7, v7, v17
	s_waitcnt lgkmcnt(0)
	v_add_f32_e32 v7, v17, v7
	ds_bpermute_b32 v9, v9, v7
	s_waitcnt lgkmcnt(0)
	v_add_f32_e32 v7, v7, v9
	ds_bpermute_b32 v9, v14, v7
	v_xor_b32_e32 v14, 4, v2
	v_cmp_lt_i32_e64 s[10:11], v14, v3
	s_waitcnt lgkmcnt(0)
	v_add_f32_e32 v7, v7, v9
	v_cndmask_b32_e64 v14, v2, v14, s[10:11]
	v_lshlrev_b32_e32 v14, 2, v14
	ds_bpermute_b32 v9, v14, v7
	v_xor_b32_e32 v14, 2, v2
	v_cmp_lt_i32_e64 s[10:11], v14, v3
	s_waitcnt lgkmcnt(0)
	v_add_f32_e32 v3, v7, v9
	v_cndmask_b32_e64 v2, v2, v14, s[10:11]
	v_lshlrev_b32_e32 v2, 2, v2
	ds_bpermute_b32 v2, v2, v3
	s_waitcnt lgkmcnt(0)
	v_add_f32_e32 v2, v3, v2
	ds_bpermute_b32 v3, v15, v2
	s_waitcnt lgkmcnt(0)
	v_add_f32_e32 v2, v2, v3
	s_and_saveexec_b64 s[10:11], vcc
	s_cbranch_execz .LBB138_30
; %bb.29:
	ds_write_b32 v5, v2 offset:264
.LBB138_30:
	s_or_b64 exec, exec, s[10:11]
	s_waitcnt lgkmcnt(0)
	s_barrier
	s_and_saveexec_b64 s[10:11], s[0:1]
	s_cbranch_execz .LBB138_32
; %bb.31:
	ds_read_b32 v2, v8 offset:264
.LBB138_32:
	s_or_b64 exec, exec, s[10:11]
	s_waitcnt lgkmcnt(0)
	ds_bpermute_b32 v3, v15, v2
	s_waitcnt lgkmcnt(0)
	v_add_f32_e32 v2, v2, v3
	ds_bpermute_b32 v5, v16, v2
	s_and_saveexec_b64 s[0:1], s[6:7]
	s_cbranch_execz .LBB138_45
; %bb.33:
	s_waitcnt lgkmcnt(0)
	v_add_f32_e32 v2, 0x358637bd, v5
	v_div_scale_f32 v3, s[6:7], v2, v2, 1.0
	v_rcp_f32_e32 v7, v3
	v_div_scale_f32 v8, vcc, 1.0, v2, 1.0
	s_movk_i32 s6, 0x7f
	v_fma_f32 v9, -v3, v7, 1.0
	v_fmac_f32_e32 v7, v9, v7
	v_mul_f32_e32 v9, v8, v7
	v_fma_f32 v14, -v3, v9, v8
	v_fmac_f32_e32 v9, v14, v7
	v_fma_f32 v3, -v3, v9, v8
	v_div_fmas_f32 v3, v3, v7, v9
	v_div_fixup_f32 v2, v3, v2, 1.0
	v_xad_u32 v3, v0, -1, s15
	v_subrev_u32_e32 v7, s49, v3
	v_cmp_lt_u32_e32 vcc, s6, v7
	s_mov_b64 s[10:11], -1
	v_mov_b32_e32 v3, v0
	s_and_saveexec_b64 s[6:7], vcc
	s_cbranch_execz .LBB138_42
; %bb.34:
	v_lshrrev_b32_e32 v7, 7, v7
	v_add_u32_e32 v9, -1, v7
	v_lshrrev_b32_e32 v8, 1, v9
	v_mov_b32_e32 v3, v2
	v_add_u32_e32 v8, 1, v8
	v_cmp_lt_u32_e32 vcc, 13, v9
	v_mov_b32_e32 v15, 0
	s_and_saveexec_b64 s[10:11], vcc
	s_cbranch_execz .LBB138_38
; %bb.35:
	v_mov_b32_e32 v14, 0x110
	v_and_b32_e32 v9, -8, v8
	v_lshl_add_u32 v14, v0, 2, v14
	s_mov_b32 s15, 0
	s_mov_b64 s[38:39], 0
.LBB138_36:                             ; =>This Inner Loop Header: Depth=1
	ds_read2st64_b32 v[16:17], v14 offset1:2
	ds_read2st64_b32 v[18:19], v14 offset0:4 offset1:6
	ds_read2st64_b32 v[20:21], v14 offset0:8 offset1:10
	ds_read2st64_b32 v[22:23], v14 offset0:12 offset1:14
	v_add_u32_e32 v9, -8, v9
	s_waitcnt lgkmcnt(3)
	v_pk_mul_f32 v[16:17], v[2:3], v[16:17]
	s_waitcnt lgkmcnt(2)
	v_pk_mul_f32 v[18:19], v[2:3], v[18:19]
	ds_write2st64_b32 v14, v16, v17 offset1:2
	ds_write2st64_b32 v14, v18, v19 offset0:4 offset1:6
	ds_read2st64_b32 v[18:19], v14 offset0:16 offset1:18
	s_waitcnt lgkmcnt(4)
	v_pk_mul_f32 v[16:17], v[2:3], v[20:21]
	ds_write2st64_b32 v14, v16, v17 offset0:8 offset1:10
	s_waitcnt lgkmcnt(4)
	v_pk_mul_f32 v[16:17], v[2:3], v[22:23]
	ds_write2st64_b32 v14, v16, v17 offset0:12 offset1:14
	ds_read2st64_b32 v[16:17], v14 offset0:20 offset1:22
	s_waitcnt lgkmcnt(3)
	v_pk_mul_f32 v[18:19], v[2:3], v[18:19]
	ds_read2st64_b32 v[20:21], v14 offset0:24 offset1:26
	ds_write2st64_b32 v14, v18, v19 offset0:16 offset1:18
	ds_read2st64_b32 v[18:19], v14 offset0:28 offset1:30
	s_waitcnt lgkmcnt(3)
	v_pk_mul_f32 v[16:17], v[2:3], v[16:17]
	ds_write2st64_b32 v14, v16, v17 offset0:20 offset1:22
	s_waitcnt lgkmcnt(3)
	v_pk_mul_f32 v[16:17], v[2:3], v[20:21]
	ds_write2st64_b32 v14, v16, v17 offset0:24 offset1:26
	s_waitcnt lgkmcnt(2)
	v_pk_mul_f32 v[16:17], v[2:3], v[18:19]
	s_add_i32 s15, s15, 16
	v_cmp_eq_u32_e32 vcc, 0, v9
	ds_write2st64_b32 v14, v16, v17 offset0:28 offset1:30
	v_add_u32_e32 v14, 0x2000, v14
	s_or_b64 s[38:39], vcc, s[38:39]
	v_mov_b32_e32 v15, s15
	s_andn2_b64 exec, exec, s[38:39]
	s_cbranch_execnz .LBB138_36
; %bb.37:
	s_or_b64 exec, exec, s[38:39]
.LBB138_38:
	s_or_b64 exec, exec, s[10:11]
	v_and_b32_e32 v8, 7, v8
	v_cmp_ne_u32_e32 vcc, 0, v8
	s_and_saveexec_b64 s[10:11], vcc
	s_cbranch_execz .LBB138_41
; %bb.39:
	v_lshlrev_b32_e32 v9, 9, v15
	v_lshlrev_b32_e32 v14, 2, v0
	s_movk_i32 s15, 0x110
	v_add3_u32 v9, v9, v14, s15
	s_mov_b64 s[38:39], 0
.LBB138_40:                             ; =>This Inner Loop Header: Depth=1
	ds_read2st64_b32 v[14:15], v9 offset1:2
	v_add_u32_e32 v8, -1, v8
	v_cmp_eq_u32_e32 vcc, 0, v8
	s_or_b64 s[38:39], vcc, s[38:39]
	s_waitcnt lgkmcnt(0)
	v_pk_mul_f32 v[14:15], v[2:3], v[14:15]
	ds_write2st64_b32 v9, v14, v15 offset1:2
	v_add_u32_e32 v9, 0x400, v9
	s_andn2_b64 exec, exec, s[38:39]
	s_cbranch_execnz .LBB138_40
.LBB138_41:
	s_or_b64 exec, exec, s[10:11]
	v_add_u32_e32 v7, 1, v7
	v_and_b32_e32 v8, 0x3fffffe, v7
	v_cmp_ne_u32_e32 vcc, v7, v8
	v_lshl_add_u32 v3, v8, 7, v0
	s_orn2_b64 s[10:11], vcc, exec
.LBB138_42:
	s_or_b64 exec, exec, s[6:7]
	s_and_b64 exec, exec, s[10:11]
	s_cbranch_execz .LBB138_45
; %bb.43:
	v_mov_b32_e32 v7, 0x110
	v_lshl_add_u32 v7, v3, 2, v7
	s_mov_b64 s[6:7], 0
.LBB138_44:                             ; =>This Inner Loop Header: Depth=1
	ds_read_b32 v8, v7
	v_add_u32_e32 v3, 0x80, v3
	v_cmp_le_i32_e32 vcc, s3, v3
	s_or_b64 s[6:7], vcc, s[6:7]
	s_waitcnt lgkmcnt(0)
	v_mul_f32_e32 v8, v2, v8
	ds_write_b32 v7, v8
	v_add_u32_e32 v7, 0x200, v7
	s_andn2_b64 exec, exec, s[6:7]
	s_cbranch_execnz .LBB138_44
.LBB138_45:
	s_or_b64 exec, exec, s[0:1]
	s_mul_i32 s0, s16, s28
	v_cmp_eq_u32_e32 vcc, 0, v0
	s_mul_i32 s6, s0, s5
	s_waitcnt lgkmcnt(0)
	s_barrier
	s_and_saveexec_b64 s[0:1], vcc
	s_cbranch_execz .LBB138_47
; %bb.46:
	s_ashr_i32 s7, s6, 31
	s_lshl_b64 s[10:11], s[6:7], 2
	s_add_u32 s5, s22, s10
	s_mul_i32 s2, s16, s2
	s_addc_u32 s7, s23, s11
	s_ashr_i32 s3, s2, 31
	s_lshl_b64 s[2:3], s[2:3], 2
	s_add_u32 s15, s5, s2
	s_addc_u32 s7, s7, s3
	s_ashr_i32 s5, s4, 31
	s_lshl_b64 s[22:23], s[4:5], 2
	s_add_u32 s38, s15, s22
	s_addc_u32 s39, s7, s23
	s_add_u32 s5, s20, s10
	s_addc_u32 s7, s21, s11
	;; [unrolled: 2-line block ×3, first 2 shown]
	s_add_u32 s2, s2, s22
	v_mov_b32_e32 v2, 0
	s_addc_u32 s3, s3, s23
	global_store_dword v2, v4, s[38:39]
	global_store_dword v2, v5, s[2:3]
.LBB138_47:
	s_or_b64 exec, exec, s[0:1]
	v_mov_b32_e32 v15, 0
	v_mov_b32_e32 v14, v15
	s_and_saveexec_b64 s[2:3], s[8:9]
	s_cbranch_execz .LBB138_153
; %bb.48:
	s_ashr_i32 s15, s14, 31
	s_sub_i32 s5, s48, s17
	s_lshl_b64 s[0:1], s[14:15], 1
	s_add_u32 s0, s36, s0
	s_addc_u32 s1, s37, s1
	s_abs_i32 s7, s18
	v_cvt_f32_u32_e32 v2, s7
	s_sub_i32 s10, 0, s7
	v_mov_b32_e32 v17, 0
	v_lshlrev_b32_e32 v16, 4, v11
	v_rcp_iflag_f32_e32 v2, v2
	s_add_i32 s15, s12, -1
	s_lshl_b64 s[8:9], s[34:35], 2
	v_lshl_add_u64 v[18:19], s[0:1], 0, v[16:17]
	v_mul_f32_e32 v2, 0x4f7ffffe, v2
	v_cvt_u32_f32_e32 v2, v2
	s_add_u32 s0, s30, s8
	s_addc_u32 s1, s31, s9
	s_mov_b32 s14, s13
	v_mul_lo_u32 v3, s10, v2
	v_mul_hi_u32 v3, v2, v3
	v_add_u32_e32 v16, v2, v3
	v_mov_b32_e32 v2, 0x110
	v_lshl_add_u64 v[20:21], v[12:13], 2, s[0:1]
	v_lshl_add_u32 v13, v6, 5, v2
	s_mov_b64 s[8:9], 0
	s_mov_b32 s17, 0x7f800000
	s_movk_i32 s18, 0x7fff
	v_mov_b32_e32 v22, 0
	v_mov_b32_e32 v15, 0
	s_branch .LBB138_51
.LBB138_49:                             ;   in Loop: Header=BB138_51 Depth=1
	s_or_b64 exec, exec, s[0:1]
	v_and_b32_e32 v30, 0xffff0000, v25
	v_and_b32_e32 v25, 0xffff0000, v26
	;; [unrolled: 1-line block ×6, first 2 shown]
	v_pk_add_f32 v[2:3], v[2:3], v[26:27]
	v_and_b32_e32 v29, 0xffff0000, v6
	v_and_b32_e32 v28, 0xffff0000, v28
	;; [unrolled: 1-line block ×4, first 2 shown]
	v_mov_b32_e32 v6, v3
	v_pk_add_f32 v[2:3], v[2:3], v[6:7]
	v_pk_add_f32 v[4:5], v[4:5], v[28:29]
	v_and_b32_e32 v33, 0xffff0000, v23
	v_pk_add_f32 v[2:3], v[2:3], v[4:5]
	v_mov_b32_e32 v4, v5
	v_and_b32_e32 v32, 0xffff0000, v9
	v_and_b32_e32 v9, 0xffff0000, v14
	;; [unrolled: 1-line block ×3, first 2 shown]
	v_pk_add_f32 v[2:3], v[2:3], v[4:5]
	v_and_b32_e32 v31, 0xffff0000, v34
	v_and_b32_e32 v24, 0xffff0000, v24
	v_pk_add_f32 v[8:9], v[8:9], v[32:33]
	v_mov_b32_e32 v3, v2
	v_pk_add_f32 v[24:25], v[24:25], v[30:31]
	v_pk_add_f32 v[14:15], v[14:15], v[2:3]
	v_add_f32_e32 v2, v8, v9
	v_add_f32_e32 v2, v2, v24
	;; [unrolled: 1-line block ×4, first 2 shown]
.LBB138_50:                             ;   in Loop: Header=BB138_51 Depth=1
	s_or_b64 exec, exec, s[10:11]
	v_add_u32_e32 v12, 2, v12
	v_cmp_le_i32_e32 vcc, s47, v12
	v_lshl_add_u64 v[20:21], v[20:21], 0, 8
	v_add_u32_e32 v1, 16, v1
	s_or_b64 s[8:9], vcc, s[8:9]
	v_add_u32_e32 v13, 64, v13
	s_andn2_b64 exec, exec, s[8:9]
	s_cbranch_execz .LBB138_152
.LBB138_51:                             ; =>This Inner Loop Header: Depth=1
	v_sub_u32_e32 v3, 0, v1
	v_max_i32_e32 v3, v1, v3
	v_mul_hi_u32 v4, v3, s33
	v_mul_lo_u32 v5, v4, s25
	v_sub_u32_e32 v3, v3, v5
	v_add_u32_e32 v5, 1, v4
	v_cmp_le_u32_e32 vcc, s25, v3
	v_ashrrev_i32_e32 v2, 31, v1
	v_xor_b32_e32 v2, s19, v2
	v_cndmask_b32_e32 v4, v4, v5, vcc
	v_subrev_u32_e32 v5, s25, v3
	v_cndmask_b32_e32 v3, v3, v5, vcc
	v_add_u32_e32 v5, 1, v4
	v_cmp_le_u32_e32 vcc, s25, v3
	s_nop 1
	v_cndmask_b32_e32 v3, v4, v5, vcc
	v_xor_b32_e32 v3, v3, v2
	v_sub_u32_e32 v2, v3, v2
	v_add_u32_e32 v3, s46, v2
	v_sub_u32_e32 v5, 0, v3
	v_ashrrev_i32_e32 v4, 31, v3
	v_max_i32_e32 v3, v3, v5
	v_mul_hi_u32 v5, v3, v16
	v_mul_lo_u32 v5, v5, s7
	v_sub_u32_e32 v3, v3, v5
	v_subrev_u32_e32 v5, s7, v3
	v_cmp_le_u32_e32 vcc, s7, v3
	v_cmp_lt_i32_e64 s[0:1], s5, v2
	s_nop 0
	v_cndmask_b32_e32 v3, v3, v5, vcc
	v_subrev_u32_e32 v5, s7, v3
	v_cmp_le_u32_e32 vcc, s7, v3
	s_nop 1
	v_cndmask_b32_e32 v3, v3, v5, vcc
	v_xor_b32_e32 v3, v3, v4
	v_sub_u32_e32 v3, v3, v4
	v_cmp_eq_u32_e32 vcc, 0, v3
	s_or_b64 s[0:1], vcc, s[0:1]
	s_and_saveexec_b64 s[10:11], s[0:1]
	s_cbranch_execz .LBB138_50
; %bb.52:                               ;   in Loop: Header=BB138_51 Depth=1
	global_load_dword v27, v[20:21], off
	ds_read2_b64 v[6:9], v13 offset1:1
	ds_read2_b64 v[2:5], v13 offset0:2 offset1:3
                                        ; implicit-def: $vgpr35
	s_waitcnt lgkmcnt(1)
	v_and_b32_e32 v14, 0x7f800000, v6
	v_cmp_ne_u32_e32 vcc, s17, v14
	s_and_saveexec_b64 s[0:1], vcc
	s_xor_b64 s[0:1], exec, s[0:1]
; %bb.53:                               ;   in Loop: Header=BB138_51 Depth=1
	v_bfe_u32 v14, v6, 16, 1
	v_add3_u32 v35, v6, v14, s18
; %bb.54:                               ;   in Loop: Header=BB138_51 Depth=1
	s_andn2_saveexec_b64 s[0:1], s[0:1]
; %bb.55:                               ;   in Loop: Header=BB138_51 Depth=1
	v_or_b32_e32 v14, 0x10000, v6
	v_cmp_eq_u32_sdwa vcc, v6, v17 src0_sel:WORD_0 src1_sel:DWORD
	s_nop 1
	v_cndmask_b32_e32 v35, v14, v6, vcc
; %bb.56:                               ;   in Loop: Header=BB138_51 Depth=1
	s_or_b64 exec, exec, s[0:1]
	v_and_b32_e32 v6, 0x7f800000, v7
	v_cmp_ne_u32_e32 vcc, s17, v6
                                        ; implicit-def: $vgpr36
	s_and_saveexec_b64 s[0:1], vcc
	s_xor_b64 s[0:1], exec, s[0:1]
; %bb.57:                               ;   in Loop: Header=BB138_51 Depth=1
	v_bfe_u32 v6, v7, 16, 1
	v_add3_u32 v36, v7, v6, s18
; %bb.58:                               ;   in Loop: Header=BB138_51 Depth=1
	s_andn2_saveexec_b64 s[0:1], s[0:1]
; %bb.59:                               ;   in Loop: Header=BB138_51 Depth=1
	v_or_b32_e32 v6, 0x10000, v7
	v_cmp_eq_u32_sdwa vcc, v7, v17 src0_sel:WORD_0 src1_sel:DWORD
	s_nop 1
	v_cndmask_b32_e32 v36, v6, v7, vcc
; %bb.60:                               ;   in Loop: Header=BB138_51 Depth=1
	s_or_b64 exec, exec, s[0:1]
	v_and_b32_e32 v6, 0x7f800000, v8
	v_cmp_ne_u32_e32 vcc, s17, v6
                                        ; implicit-def: $vgpr14
	s_and_saveexec_b64 s[0:1], vcc
	s_xor_b64 s[0:1], exec, s[0:1]
; %bb.61:                               ;   in Loop: Header=BB138_51 Depth=1
	v_bfe_u32 v6, v8, 16, 1
	v_add3_u32 v14, v8, v6, s18
; %bb.62:                               ;   in Loop: Header=BB138_51 Depth=1
	s_andn2_saveexec_b64 s[0:1], s[0:1]
; %bb.63:                               ;   in Loop: Header=BB138_51 Depth=1
	v_or_b32_e32 v6, 0x10000, v8
	v_cmp_eq_u32_sdwa vcc, v8, v17 src0_sel:WORD_0 src1_sel:DWORD
	s_nop 1
	v_cndmask_b32_e32 v14, v6, v8, vcc
; %bb.64:                               ;   in Loop: Header=BB138_51 Depth=1
	s_or_b64 exec, exec, s[0:1]
	v_and_b32_e32 v6, 0x7f800000, v9
	v_cmp_ne_u32_e32 vcc, s17, v6
                                        ; implicit-def: $vgpr23
	s_and_saveexec_b64 s[0:1], vcc
	s_xor_b64 s[0:1], exec, s[0:1]
; %bb.65:                               ;   in Loop: Header=BB138_51 Depth=1
	v_bfe_u32 v6, v9, 16, 1
	v_add3_u32 v23, v9, v6, s18
                                        ; implicit-def: $vgpr6_vgpr7_vgpr8_vgpr9
; %bb.66:                               ;   in Loop: Header=BB138_51 Depth=1
	s_andn2_saveexec_b64 s[0:1], s[0:1]
; %bb.67:                               ;   in Loop: Header=BB138_51 Depth=1
	v_or_b32_e32 v6, 0x10000, v9
	v_cmp_eq_u32_sdwa vcc, v9, v17 src0_sel:WORD_0 src1_sel:DWORD
	s_nop 1
	v_cndmask_b32_e32 v23, v6, v9, vcc
; %bb.68:                               ;   in Loop: Header=BB138_51 Depth=1
	s_or_b64 exec, exec, s[0:1]
	s_waitcnt lgkmcnt(0)
	v_and_b32_e32 v6, 0x7f800000, v2
	v_cmp_ne_u32_e32 vcc, s17, v6
                                        ; implicit-def: $vgpr24
	s_and_saveexec_b64 s[0:1], vcc
	s_xor_b64 s[0:1], exec, s[0:1]
; %bb.69:                               ;   in Loop: Header=BB138_51 Depth=1
	v_bfe_u32 v6, v2, 16, 1
	v_add3_u32 v24, v2, v6, s18
; %bb.70:                               ;   in Loop: Header=BB138_51 Depth=1
	s_andn2_saveexec_b64 s[0:1], s[0:1]
; %bb.71:                               ;   in Loop: Header=BB138_51 Depth=1
	v_or_b32_e32 v6, 0x10000, v2
	v_cmp_eq_u32_sdwa vcc, v2, v17 src0_sel:WORD_0 src1_sel:DWORD
	s_nop 1
	v_cndmask_b32_e32 v24, v6, v2, vcc
; %bb.72:                               ;   in Loop: Header=BB138_51 Depth=1
	s_or_b64 exec, exec, s[0:1]
	v_and_b32_e32 v2, 0x7f800000, v3
	v_cmp_ne_u32_e32 vcc, s17, v2
                                        ; implicit-def: $vgpr25
	s_and_saveexec_b64 s[0:1], vcc
	s_xor_b64 s[0:1], exec, s[0:1]
; %bb.73:                               ;   in Loop: Header=BB138_51 Depth=1
	v_bfe_u32 v2, v3, 16, 1
	v_add3_u32 v25, v3, v2, s18
; %bb.74:                               ;   in Loop: Header=BB138_51 Depth=1
	s_andn2_saveexec_b64 s[0:1], s[0:1]
; %bb.75:                               ;   in Loop: Header=BB138_51 Depth=1
	v_or_b32_e32 v2, 0x10000, v3
	v_cmp_eq_u32_sdwa vcc, v3, v17 src0_sel:WORD_0 src1_sel:DWORD
	s_nop 1
	v_cndmask_b32_e32 v25, v2, v3, vcc
; %bb.76:                               ;   in Loop: Header=BB138_51 Depth=1
	s_or_b64 exec, exec, s[0:1]
	v_and_b32_e32 v2, 0x7f800000, v4
	v_cmp_ne_u32_e32 vcc, s17, v2
                                        ; implicit-def: $vgpr26
	s_and_saveexec_b64 s[0:1], vcc
	s_xor_b64 s[0:1], exec, s[0:1]
; %bb.77:                               ;   in Loop: Header=BB138_51 Depth=1
	v_bfe_u32 v2, v4, 16, 1
	v_add3_u32 v26, v4, v2, s18
; %bb.78:                               ;   in Loop: Header=BB138_51 Depth=1
	s_andn2_saveexec_b64 s[0:1], s[0:1]
; %bb.79:                               ;   in Loop: Header=BB138_51 Depth=1
	v_or_b32_e32 v2, 0x10000, v4
	v_cmp_eq_u32_sdwa vcc, v4, v17 src0_sel:WORD_0 src1_sel:DWORD
	s_nop 1
	v_cndmask_b32_e32 v26, v2, v4, vcc
; %bb.80:                               ;   in Loop: Header=BB138_51 Depth=1
	s_or_b64 exec, exec, s[0:1]
	v_and_b32_e32 v2, 0x7f800000, v5
	v_cmp_ne_u32_e32 vcc, s17, v2
                                        ; implicit-def: $vgpr34
	s_and_saveexec_b64 s[0:1], vcc
	s_xor_b64 s[0:1], exec, s[0:1]
; %bb.81:                               ;   in Loop: Header=BB138_51 Depth=1
	v_bfe_u32 v2, v5, 16, 1
	v_add3_u32 v34, v5, v2, s18
                                        ; implicit-def: $vgpr2_vgpr3_vgpr4_vgpr5
; %bb.82:                               ;   in Loop: Header=BB138_51 Depth=1
	s_andn2_saveexec_b64 s[0:1], s[0:1]
; %bb.83:                               ;   in Loop: Header=BB138_51 Depth=1
	v_or_b32_e32 v2, 0x10000, v5
	v_cmp_eq_u32_sdwa vcc, v5, v17 src0_sel:WORD_0 src1_sel:DWORD
	s_nop 1
	v_cndmask_b32_e32 v34, v2, v5, vcc
; %bb.84:                               ;   in Loop: Header=BB138_51 Depth=1
	s_or_b64 exec, exec, s[0:1]
	s_waitcnt vmcnt(0)
	v_mad_i64_i32 v[2:3], s[0:1], v27, s14, 0
	v_lshl_add_u64 v[6:7], v[2:3], 1, v[18:19]
	global_load_dwordx4 v[2:5], v[6:7], off
	v_cmp_eq_u32_e32 vcc, s15, v12
	v_add_u32_e32 v33, 1, v1
	v_add_u32_e32 v32, 2, v1
	v_add_u32_e32 v30, 3, v1
	v_add_u32_e32 v29, 4, v1
	v_add_u32_e32 v28, 5, v1
	v_add_u32_e32 v27, 6, v1
	v_add_u32_e32 v31, 7, v1
	s_waitcnt vmcnt(0)
	v_lshrrev_b32_e32 v9, 16, v2
	v_lshrrev_b32_e32 v39, 16, v3
	v_lshrrev_b32_e32 v41, 16, v4
	v_lshrrev_b32_e32 v43, 16, v5
	s_and_saveexec_b64 s[12:13], vcc
	s_cbranch_execz .LBB138_86
; %bb.85:                               ;   in Loop: Header=BB138_51 Depth=1
	v_cmp_gt_i32_e64 s[0:1], s29, v1
	s_nop 1
	v_cndmask_b32_e64 v2, 0, v2, s[0:1]
	v_cmp_gt_i32_e64 s[0:1], s29, v33
	s_nop 1
	v_cndmask_b32_e64 v9, 0, v9, s[0:1]
	;; [unrolled: 3-line block ×8, first 2 shown]
.LBB138_86:                             ;   in Loop: Header=BB138_51 Depth=1
	s_or_b64 exec, exec, s[12:13]
	v_and_b32_e32 v35, 0xffff0000, v35
	v_lshlrev_b32_e32 v2, 16, v2
	v_mul_f32_e32 v2, v35, v2
	v_and_b32_e32 v8, 0x7f800000, v2
	v_cmp_ne_u32_e64 s[0:1], s17, v8
                                        ; implicit-def: $vgpr8
	s_and_saveexec_b64 s[12:13], s[0:1]
	s_xor_b64 s[0:1], exec, s[12:13]
; %bb.87:                               ;   in Loop: Header=BB138_51 Depth=1
	v_bfe_u32 v8, v2, 16, 1
	v_add3_u32 v8, v2, v8, s18
                                        ; implicit-def: $vgpr2
; %bb.88:                               ;   in Loop: Header=BB138_51 Depth=1
	s_andn2_saveexec_b64 s[12:13], s[0:1]
; %bb.89:                               ;   in Loop: Header=BB138_51 Depth=1
	v_or_b32_e32 v8, 0x10000, v2
	v_cmp_eq_u32_sdwa s[0:1], v2, v17 src0_sel:WORD_0 src1_sel:DWORD
	s_nop 1
	v_cndmask_b32_e64 v8, v8, v2, s[0:1]
; %bb.90:                               ;   in Loop: Header=BB138_51 Depth=1
	s_or_b64 exec, exec, s[12:13]
	v_and_b32_e32 v36, 0xffff0000, v36
	v_lshlrev_b32_e32 v2, 16, v9
	v_mul_f32_e32 v2, v36, v2
	v_and_b32_e32 v9, 0x7f800000, v2
	v_cmp_ne_u32_e64 s[0:1], s17, v9
                                        ; implicit-def: $vgpr9
	s_and_saveexec_b64 s[12:13], s[0:1]
	s_xor_b64 s[0:1], exec, s[12:13]
; %bb.91:                               ;   in Loop: Header=BB138_51 Depth=1
	v_bfe_u32 v9, v2, 16, 1
	v_add3_u32 v9, v2, v9, s18
                                        ; implicit-def: $vgpr2
; %bb.92:                               ;   in Loop: Header=BB138_51 Depth=1
	s_andn2_saveexec_b64 s[12:13], s[0:1]
; %bb.93:                               ;   in Loop: Header=BB138_51 Depth=1
	v_or_b32_e32 v9, 0x10000, v2
	v_cmp_eq_u32_sdwa s[0:1], v2, v17 src0_sel:WORD_0 src1_sel:DWORD
	s_nop 1
	v_cndmask_b32_e64 v9, v9, v2, s[0:1]
; %bb.94:                               ;   in Loop: Header=BB138_51 Depth=1
	s_or_b64 exec, exec, s[12:13]
	v_and_b32_e32 v37, 0xffff0000, v14
	v_lshlrev_b32_e32 v2, 16, v3
	v_mul_f32_e32 v2, v37, v2
	v_and_b32_e32 v3, 0x7f800000, v2
	v_cmp_ne_u32_e64 s[0:1], s17, v3
                                        ; implicit-def: $vgpr14
	s_and_saveexec_b64 s[12:13], s[0:1]
	s_xor_b64 s[0:1], exec, s[12:13]
; %bb.95:                               ;   in Loop: Header=BB138_51 Depth=1
	v_bfe_u32 v3, v2, 16, 1
	v_add3_u32 v14, v2, v3, s18
                                        ; implicit-def: $vgpr2
; %bb.96:                               ;   in Loop: Header=BB138_51 Depth=1
	s_andn2_saveexec_b64 s[12:13], s[0:1]
; %bb.97:                               ;   in Loop: Header=BB138_51 Depth=1
	v_or_b32_e32 v3, 0x10000, v2
	v_cmp_eq_u32_sdwa s[0:1], v2, v17 src0_sel:WORD_0 src1_sel:DWORD
	s_nop 1
	v_cndmask_b32_e64 v14, v3, v2, s[0:1]
; %bb.98:                               ;   in Loop: Header=BB138_51 Depth=1
	s_or_b64 exec, exec, s[12:13]
	v_and_b32_e32 v38, 0xffff0000, v23
	v_lshlrev_b32_e32 v2, 16, v39
	v_mul_f32_e32 v2, v38, v2
	v_and_b32_e32 v3, 0x7f800000, v2
	v_cmp_ne_u32_e64 s[0:1], s17, v3
                                        ; implicit-def: $vgpr23
	s_and_saveexec_b64 s[12:13], s[0:1]
	s_xor_b64 s[0:1], exec, s[12:13]
; %bb.99:                               ;   in Loop: Header=BB138_51 Depth=1
	v_bfe_u32 v3, v2, 16, 1
	v_add3_u32 v23, v2, v3, s18
                                        ; implicit-def: $vgpr2
; %bb.100:                              ;   in Loop: Header=BB138_51 Depth=1
	s_andn2_saveexec_b64 s[12:13], s[0:1]
; %bb.101:                              ;   in Loop: Header=BB138_51 Depth=1
	v_or_b32_e32 v3, 0x10000, v2
	v_cmp_eq_u32_sdwa s[0:1], v2, v17 src0_sel:WORD_0 src1_sel:DWORD
	s_nop 1
	v_cndmask_b32_e64 v23, v3, v2, s[0:1]
; %bb.102:                              ;   in Loop: Header=BB138_51 Depth=1
	s_or_b64 exec, exec, s[12:13]
	v_and_b32_e32 v39, 0xffff0000, v24
	v_lshlrev_b32_e32 v2, 16, v4
	v_mul_f32_e32 v2, v39, v2
	v_and_b32_e32 v3, 0x7f800000, v2
	v_cmp_ne_u32_e64 s[0:1], s17, v3
                                        ; implicit-def: $vgpr24
	s_and_saveexec_b64 s[12:13], s[0:1]
	s_xor_b64 s[0:1], exec, s[12:13]
; %bb.103:                              ;   in Loop: Header=BB138_51 Depth=1
	v_bfe_u32 v3, v2, 16, 1
	v_add3_u32 v24, v2, v3, s18
                                        ; implicit-def: $vgpr2
; %bb.104:                              ;   in Loop: Header=BB138_51 Depth=1
	s_andn2_saveexec_b64 s[12:13], s[0:1]
; %bb.105:                              ;   in Loop: Header=BB138_51 Depth=1
	v_or_b32_e32 v3, 0x10000, v2
	v_cmp_eq_u32_sdwa s[0:1], v2, v17 src0_sel:WORD_0 src1_sel:DWORD
	s_nop 1
	v_cndmask_b32_e64 v24, v3, v2, s[0:1]
; %bb.106:                              ;   in Loop: Header=BB138_51 Depth=1
	s_or_b64 exec, exec, s[12:13]
	v_and_b32_e32 v40, 0xffff0000, v25
	v_lshlrev_b32_e32 v2, 16, v41
	v_mul_f32_e32 v2, v40, v2
	v_and_b32_e32 v3, 0x7f800000, v2
	v_cmp_ne_u32_e64 s[0:1], s17, v3
                                        ; implicit-def: $vgpr25
	s_and_saveexec_b64 s[12:13], s[0:1]
	s_xor_b64 s[0:1], exec, s[12:13]
; %bb.107:                              ;   in Loop: Header=BB138_51 Depth=1
	v_bfe_u32 v3, v2, 16, 1
	v_add3_u32 v25, v2, v3, s18
                                        ; implicit-def: $vgpr2
; %bb.108:                              ;   in Loop: Header=BB138_51 Depth=1
	s_andn2_saveexec_b64 s[12:13], s[0:1]
; %bb.109:                              ;   in Loop: Header=BB138_51 Depth=1
	v_or_b32_e32 v3, 0x10000, v2
	v_cmp_eq_u32_sdwa s[0:1], v2, v17 src0_sel:WORD_0 src1_sel:DWORD
	s_nop 1
	v_cndmask_b32_e64 v25, v3, v2, s[0:1]
; %bb.110:                              ;   in Loop: Header=BB138_51 Depth=1
	s_or_b64 exec, exec, s[12:13]
	v_and_b32_e32 v41, 0xffff0000, v26
	v_lshlrev_b32_e32 v2, 16, v5
	v_mul_f32_e32 v2, v41, v2
	v_and_b32_e32 v3, 0x7f800000, v2
	v_cmp_ne_u32_e64 s[0:1], s17, v3
                                        ; implicit-def: $vgpr26
	s_and_saveexec_b64 s[12:13], s[0:1]
	s_xor_b64 s[0:1], exec, s[12:13]
; %bb.111:                              ;   in Loop: Header=BB138_51 Depth=1
	v_bfe_u32 v3, v2, 16, 1
	v_add3_u32 v26, v2, v3, s18
                                        ; implicit-def: $vgpr2
; %bb.112:                              ;   in Loop: Header=BB138_51 Depth=1
	s_andn2_saveexec_b64 s[12:13], s[0:1]
; %bb.113:                              ;   in Loop: Header=BB138_51 Depth=1
	v_or_b32_e32 v3, 0x10000, v2
	v_cmp_eq_u32_sdwa s[0:1], v2, v17 src0_sel:WORD_0 src1_sel:DWORD
	s_nop 1
	v_cndmask_b32_e64 v26, v3, v2, s[0:1]
; %bb.114:                              ;   in Loop: Header=BB138_51 Depth=1
	s_or_b64 exec, exec, s[12:13]
	v_and_b32_e32 v42, 0xffff0000, v34
	v_lshlrev_b32_e32 v2, 16, v43
	v_mul_f32_e32 v2, v42, v2
	v_and_b32_e32 v3, 0x7f800000, v2
	v_cmp_ne_u32_e64 s[0:1], s17, v3
                                        ; implicit-def: $vgpr34
	s_and_saveexec_b64 s[12:13], s[0:1]
	s_xor_b64 s[0:1], exec, s[12:13]
; %bb.115:                              ;   in Loop: Header=BB138_51 Depth=1
	v_bfe_u32 v3, v2, 16, 1
	v_add3_u32 v34, v2, v3, s18
                                        ; implicit-def: $vgpr2
; %bb.116:                              ;   in Loop: Header=BB138_51 Depth=1
	s_andn2_saveexec_b64 s[12:13], s[0:1]
; %bb.117:                              ;   in Loop: Header=BB138_51 Depth=1
	v_or_b32_e32 v3, 0x10000, v2
	v_cmp_eq_u32_sdwa s[0:1], v2, v17 src0_sel:WORD_0 src1_sel:DWORD
	s_nop 1
	v_cndmask_b32_e64 v34, v3, v2, s[0:1]
; %bb.118:                              ;   in Loop: Header=BB138_51 Depth=1
	s_or_b64 exec, exec, s[12:13]
	global_load_dwordx4 v[2:5], v[6:7], off offset:1024
	s_waitcnt vmcnt(0)
	v_lshrrev_b32_e32 v7, 16, v2
	v_lshrrev_b32_e32 v44, 16, v3
	;; [unrolled: 1-line block ×4, first 2 shown]
	s_and_saveexec_b64 s[0:1], vcc
	s_cbranch_execz .LBB138_120
; %bb.119:                              ;   in Loop: Header=BB138_51 Depth=1
	v_cmp_gt_i32_e32 vcc, s29, v1
	s_nop 1
	v_cndmask_b32_e32 v2, 0, v2, vcc
	v_cmp_gt_i32_e32 vcc, s29, v33
	s_nop 1
	v_cndmask_b32_e32 v7, 0, v7, vcc
	v_cmp_gt_i32_e32 vcc, s29, v32
	s_nop 1
	v_cndmask_b32_e32 v3, 0, v3, vcc
	v_cmp_gt_i32_e32 vcc, s29, v30
	s_nop 1
	v_cndmask_b32_e32 v44, 0, v44, vcc
	v_cmp_gt_i32_e32 vcc, s29, v29
	s_nop 1
	v_cndmask_b32_e32 v4, 0, v4, vcc
	v_cmp_gt_i32_e32 vcc, s29, v28
	s_nop 1
	v_cndmask_b32_e32 v43, 0, v43, vcc
	v_cmp_gt_i32_e32 vcc, s29, v27
	s_nop 1
	v_cndmask_b32_e32 v5, 0, v5, vcc
	v_cmp_gt_i32_e32 vcc, s29, v31
	s_nop 1
	v_cndmask_b32_e32 v6, 0, v6, vcc
.LBB138_120:                            ;   in Loop: Header=BB138_51 Depth=1
	s_or_b64 exec, exec, s[0:1]
	v_lshlrev_b32_e32 v2, 16, v2
	v_mul_f32_e32 v27, v35, v2
	v_and_b32_e32 v2, 0x7f800000, v27
	v_cmp_ne_u32_e32 vcc, s17, v2
                                        ; implicit-def: $vgpr2
	s_and_saveexec_b64 s[0:1], vcc
	s_xor_b64 s[0:1], exec, s[0:1]
; %bb.121:                              ;   in Loop: Header=BB138_51 Depth=1
	v_bfe_u32 v2, v27, 16, 1
	v_add3_u32 v2, v27, v2, s18
                                        ; implicit-def: $vgpr27
; %bb.122:                              ;   in Loop: Header=BB138_51 Depth=1
	s_andn2_saveexec_b64 s[0:1], s[0:1]
; %bb.123:                              ;   in Loop: Header=BB138_51 Depth=1
	v_or_b32_e32 v2, 0x10000, v27
	v_cmp_eq_u32_sdwa vcc, v27, v17 src0_sel:WORD_0 src1_sel:DWORD
	s_nop 1
	v_cndmask_b32_e32 v2, v2, v27, vcc
; %bb.124:                              ;   in Loop: Header=BB138_51 Depth=1
	s_or_b64 exec, exec, s[0:1]
	v_lshlrev_b32_e32 v7, 16, v7
	v_mul_f32_e32 v27, v36, v7
	v_and_b32_e32 v7, 0x7f800000, v27
	v_cmp_ne_u32_e32 vcc, s17, v7
                                        ; implicit-def: $vgpr7
	s_and_saveexec_b64 s[0:1], vcc
	s_xor_b64 s[0:1], exec, s[0:1]
; %bb.125:                              ;   in Loop: Header=BB138_51 Depth=1
	v_bfe_u32 v7, v27, 16, 1
	v_add3_u32 v7, v27, v7, s18
                                        ; implicit-def: $vgpr27
; %bb.126:                              ;   in Loop: Header=BB138_51 Depth=1
	s_andn2_saveexec_b64 s[0:1], s[0:1]
; %bb.127:                              ;   in Loop: Header=BB138_51 Depth=1
	v_or_b32_e32 v7, 0x10000, v27
	v_cmp_eq_u32_sdwa vcc, v27, v17 src0_sel:WORD_0 src1_sel:DWORD
	s_nop 1
	v_cndmask_b32_e32 v7, v7, v27, vcc
; %bb.128:                              ;   in Loop: Header=BB138_51 Depth=1
	s_or_b64 exec, exec, s[0:1]
	v_lshlrev_b32_e32 v3, 16, v3
	v_mul_f32_e32 v27, v37, v3
	v_and_b32_e32 v3, 0x7f800000, v27
	v_cmp_ne_u32_e32 vcc, s17, v3
                                        ; implicit-def: $vgpr3
	s_and_saveexec_b64 s[0:1], vcc
	s_xor_b64 s[0:1], exec, s[0:1]
; %bb.129:                              ;   in Loop: Header=BB138_51 Depth=1
	v_bfe_u32 v3, v27, 16, 1
	v_add3_u32 v3, v27, v3, s18
                                        ; implicit-def: $vgpr27
; %bb.130:                              ;   in Loop: Header=BB138_51 Depth=1
	s_andn2_saveexec_b64 s[0:1], s[0:1]
; %bb.131:                              ;   in Loop: Header=BB138_51 Depth=1
	v_or_b32_e32 v3, 0x10000, v27
	v_cmp_eq_u32_sdwa vcc, v27, v17 src0_sel:WORD_0 src1_sel:DWORD
	s_nop 1
	v_cndmask_b32_e32 v3, v3, v27, vcc
; %bb.132:                              ;   in Loop: Header=BB138_51 Depth=1
	s_or_b64 exec, exec, s[0:1]
	v_lshlrev_b32_e32 v27, 16, v44
	v_mul_f32_e32 v28, v38, v27
	v_and_b32_e32 v27, 0x7f800000, v28
	v_cmp_ne_u32_e32 vcc, s17, v27
                                        ; implicit-def: $vgpr27
	s_and_saveexec_b64 s[0:1], vcc
	s_xor_b64 s[0:1], exec, s[0:1]
; %bb.133:                              ;   in Loop: Header=BB138_51 Depth=1
	v_bfe_u32 v27, v28, 16, 1
	v_add3_u32 v27, v28, v27, s18
                                        ; implicit-def: $vgpr28
; %bb.134:                              ;   in Loop: Header=BB138_51 Depth=1
	s_andn2_saveexec_b64 s[0:1], s[0:1]
; %bb.135:                              ;   in Loop: Header=BB138_51 Depth=1
	v_or_b32_e32 v27, 0x10000, v28
	v_cmp_eq_u32_sdwa vcc, v28, v17 src0_sel:WORD_0 src1_sel:DWORD
	s_nop 1
	v_cndmask_b32_e32 v27, v27, v28, vcc
; %bb.136:                              ;   in Loop: Header=BB138_51 Depth=1
	s_or_b64 exec, exec, s[0:1]
	v_lshlrev_b32_e32 v4, 16, v4
	v_mul_f32_e32 v28, v39, v4
	v_and_b32_e32 v4, 0x7f800000, v28
	v_cmp_ne_u32_e32 vcc, s17, v4
                                        ; implicit-def: $vgpr4
	s_and_saveexec_b64 s[0:1], vcc
	s_xor_b64 s[0:1], exec, s[0:1]
; %bb.137:                              ;   in Loop: Header=BB138_51 Depth=1
	v_bfe_u32 v4, v28, 16, 1
	v_add3_u32 v4, v28, v4, s18
                                        ; implicit-def: $vgpr28
; %bb.138:                              ;   in Loop: Header=BB138_51 Depth=1
	s_andn2_saveexec_b64 s[0:1], s[0:1]
; %bb.139:                              ;   in Loop: Header=BB138_51 Depth=1
	v_or_b32_e32 v4, 0x10000, v28
	v_cmp_eq_u32_sdwa vcc, v28, v17 src0_sel:WORD_0 src1_sel:DWORD
	s_nop 1
	v_cndmask_b32_e32 v4, v4, v28, vcc
; %bb.140:                              ;   in Loop: Header=BB138_51 Depth=1
	s_or_b64 exec, exec, s[0:1]
	v_lshlrev_b32_e32 v28, 16, v43
	v_mul_f32_e32 v29, v40, v28
	v_and_b32_e32 v28, 0x7f800000, v29
	v_cmp_ne_u32_e32 vcc, s17, v28
                                        ; implicit-def: $vgpr28
	s_and_saveexec_b64 s[0:1], vcc
	s_xor_b64 s[0:1], exec, s[0:1]
; %bb.141:                              ;   in Loop: Header=BB138_51 Depth=1
	v_bfe_u32 v28, v29, 16, 1
	v_add3_u32 v28, v29, v28, s18
                                        ; implicit-def: $vgpr29
; %bb.142:                              ;   in Loop: Header=BB138_51 Depth=1
	s_andn2_saveexec_b64 s[0:1], s[0:1]
; %bb.143:                              ;   in Loop: Header=BB138_51 Depth=1
	v_or_b32_e32 v28, 0x10000, v29
	v_cmp_eq_u32_sdwa vcc, v29, v17 src0_sel:WORD_0 src1_sel:DWORD
	s_nop 1
	v_cndmask_b32_e32 v28, v28, v29, vcc
; %bb.144:                              ;   in Loop: Header=BB138_51 Depth=1
	s_or_b64 exec, exec, s[0:1]
	v_lshlrev_b32_e32 v5, 16, v5
	v_mul_f32_e32 v29, v41, v5
	v_and_b32_e32 v5, 0x7f800000, v29
	v_cmp_ne_u32_e32 vcc, s17, v5
                                        ; implicit-def: $vgpr5
	s_and_saveexec_b64 s[0:1], vcc
	s_xor_b64 s[0:1], exec, s[0:1]
; %bb.145:                              ;   in Loop: Header=BB138_51 Depth=1
	v_bfe_u32 v5, v29, 16, 1
	v_add3_u32 v5, v29, v5, s18
                                        ; implicit-def: $vgpr29
; %bb.146:                              ;   in Loop: Header=BB138_51 Depth=1
	s_andn2_saveexec_b64 s[0:1], s[0:1]
; %bb.147:                              ;   in Loop: Header=BB138_51 Depth=1
	v_or_b32_e32 v5, 0x10000, v29
	v_cmp_eq_u32_sdwa vcc, v29, v17 src0_sel:WORD_0 src1_sel:DWORD
	s_nop 1
	v_cndmask_b32_e32 v5, v5, v29, vcc
; %bb.148:                              ;   in Loop: Header=BB138_51 Depth=1
	s_or_b64 exec, exec, s[0:1]
	v_lshlrev_b32_e32 v6, 16, v6
	v_mul_f32_e32 v29, v42, v6
	v_and_b32_e32 v6, 0x7f800000, v29
	v_cmp_ne_u32_e32 vcc, s17, v6
                                        ; implicit-def: $vgpr6
	s_and_saveexec_b64 s[0:1], vcc
	s_xor_b64 s[0:1], exec, s[0:1]
; %bb.149:                              ;   in Loop: Header=BB138_51 Depth=1
	v_bfe_u32 v6, v29, 16, 1
	v_add3_u32 v6, v29, v6, s18
                                        ; implicit-def: $vgpr29
; %bb.150:                              ;   in Loop: Header=BB138_51 Depth=1
	s_andn2_saveexec_b64 s[0:1], s[0:1]
	s_cbranch_execz .LBB138_49
; %bb.151:                              ;   in Loop: Header=BB138_51 Depth=1
	v_or_b32_e32 v6, 0x10000, v29
	v_cmp_eq_u32_sdwa vcc, v29, v17 src0_sel:WORD_0 src1_sel:DWORD
	s_nop 1
	v_cndmask_b32_e32 v6, v6, v29, vcc
	s_branch .LBB138_49
.LBB138_152:
	s_or_b64 exec, exec, s[8:9]
	v_mov_b32_e32 v14, v22
.LBB138_153:
	s_or_b64 exec, exec, s[2:3]
	v_and_b32_e32 v1, 0x3c0, v0
	v_cmp_eq_u32_e32 vcc, 64, v1
	s_barrier
	s_and_saveexec_b64 s[0:1], vcc
	s_cbranch_execz .LBB138_155
; %bb.154:
	v_mov_b32_e32 v1, 0x110
	v_lshl_add_u32 v2, v0, 2, v1
	v_lshl_add_u32 v1, v11, 2, v1
	ds_write_b32 v1, v14
	ds_write_b32 v2, v15
.LBB138_155:
	s_or_b64 exec, exec, s[0:1]
	v_cmp_gt_u32_e32 vcc, 64, v0
	s_waitcnt lgkmcnt(0)
	s_barrier
	s_and_saveexec_b64 s[0:1], vcc
	s_cbranch_execz .LBB138_157
; %bb.156:
	v_mov_b32_e32 v1, 0x110
	v_lshl_add_u32 v0, v0, 2, v1
	ds_read2st64_b32 v[0:1], v0 offset1:1
	s_waitcnt lgkmcnt(0)
	v_pk_add_f32 v[14:15], v[14:15], v[0:1]
.LBB138_157:
	s_or_b64 exec, exec, s[0:1]
	s_barrier
	s_and_saveexec_b64 s[0:1], vcc
	s_cbranch_execz .LBB138_167
; %bb.158:
	s_mov_b32 s0, 0x7f800000
	v_and_b32_e32 v0, 0x7f800000, v14
	v_cmp_ne_u32_e32 vcc, s0, v0
                                        ; implicit-def: $vgpr0
	s_and_saveexec_b64 s[0:1], vcc
	s_xor_b64 s[0:1], exec, s[0:1]
; %bb.159:
	v_bfe_u32 v0, v14, 16, 1
	s_movk_i32 s2, 0x7fff
	v_add3_u32 v0, v14, v0, s2
; %bb.160:
	s_andn2_saveexec_b64 s[0:1], s[0:1]
; %bb.161:
	v_mov_b32_e32 v0, 0
	v_or_b32_e32 v1, 0x10000, v14
	v_cmp_eq_u32_sdwa vcc, v14, v0 src0_sel:WORD_0 src1_sel:DWORD
	s_nop 1
	v_cndmask_b32_e32 v0, v1, v14, vcc
; %bb.162:
	s_or_b64 exec, exec, s[0:1]
	s_lshl_b32 s0, s6, 7
	s_ashr_i32 s1, s0, 31
	s_lshl_b64 s[0:1], s[0:1], 1
	s_add_u32 s2, s26, s0
	s_mul_i32 s0, s16, s24
	s_addc_u32 s3, s27, s1
	s_ashr_i32 s1, s0, 31
	s_lshl_b64 s[0:1], s[0:1], 1
	s_add_u32 s2, s2, s0
	s_addc_u32 s3, s3, s1
	s_lshl_b32 s0, s4, 7
	s_ashr_i32 s1, s0, 31
	s_lshl_b64 s[0:1], s[0:1], 1
	s_add_u32 s0, s2, s0
	s_addc_u32 s1, s3, s1
	global_store_short_d16_hi v10, v0, s[0:1]
	s_mov_b32 s2, 0x7f800000
	v_and_b32_e32 v0, 0x7f800000, v15
	v_mov_b32_e32 v11, 0
	v_cmp_ne_u32_e32 vcc, s2, v0
                                        ; implicit-def: $vgpr2
	s_and_saveexec_b64 s[2:3], vcc
	s_xor_b64 s[2:3], exec, s[2:3]
; %bb.163:
	v_bfe_u32 v0, v15, 16, 1
	s_movk_i32 s4, 0x7fff
	v_add3_u32 v2, v15, v0, s4
                                        ; implicit-def: $vgpr14_vgpr15
; %bb.164:
	s_or_saveexec_b64 s[2:3], s[2:3]
	v_lshl_add_u64 v[0:1], s[0:1], 0, v[10:11]
	s_xor_b64 exec, exec, s[2:3]
; %bb.165:
	v_mov_b32_e32 v2, 0
	v_or_b32_e32 v3, 0x10000, v15
	v_cmp_eq_u32_sdwa vcc, v15, v2 src0_sel:WORD_0 src1_sel:DWORD
	s_nop 1
	v_cndmask_b32_e32 v2, v3, v15, vcc
; %bb.166:
	s_or_b64 exec, exec, s[2:3]
	global_store_short_d16_hi v[0:1], v2, off offset:128
.LBB138_167:
	s_endpgm
	.section	.rodata,"a",@progbits
	.p2align	6, 0x0
	.amdhsa_kernel _ZN4vllm25paged_attention_v2_kernelI14__hip_bfloat16S1_Li128ELi8ELi128ELNS_18Fp8KVCacheDataTypeE0ELb1ELi512EEEvPfS3_PT_PKS4_PKT0_SA_ifPKiSC_iPKfiiiSE_SE_iiiii
		.amdhsa_group_segment_fixed_size 272
		.amdhsa_private_segment_fixed_size 0
		.amdhsa_kernarg_size 400
		.amdhsa_user_sgpr_count 2
		.amdhsa_user_sgpr_dispatch_ptr 0
		.amdhsa_user_sgpr_queue_ptr 0
		.amdhsa_user_sgpr_kernarg_segment_ptr 1
		.amdhsa_user_sgpr_dispatch_id 0
		.amdhsa_user_sgpr_kernarg_preload_length 0
		.amdhsa_user_sgpr_kernarg_preload_offset 0
		.amdhsa_user_sgpr_private_segment_size 0
		.amdhsa_uses_dynamic_stack 0
		.amdhsa_enable_private_segment 0
		.amdhsa_system_sgpr_workgroup_id_x 1
		.amdhsa_system_sgpr_workgroup_id_y 1
		.amdhsa_system_sgpr_workgroup_id_z 1
		.amdhsa_system_sgpr_workgroup_info 0
		.amdhsa_system_vgpr_workitem_id 0
		.amdhsa_next_free_vgpr 58
		.amdhsa_next_free_sgpr 52
		.amdhsa_accum_offset 60
		.amdhsa_reserve_vcc 1
		.amdhsa_float_round_mode_32 0
		.amdhsa_float_round_mode_16_64 0
		.amdhsa_float_denorm_mode_32 3
		.amdhsa_float_denorm_mode_16_64 3
		.amdhsa_dx10_clamp 1
		.amdhsa_ieee_mode 1
		.amdhsa_fp16_overflow 0
		.amdhsa_tg_split 0
		.amdhsa_exception_fp_ieee_invalid_op 0
		.amdhsa_exception_fp_denorm_src 0
		.amdhsa_exception_fp_ieee_div_zero 0
		.amdhsa_exception_fp_ieee_overflow 0
		.amdhsa_exception_fp_ieee_underflow 0
		.amdhsa_exception_fp_ieee_inexact 0
		.amdhsa_exception_int_div_zero 0
	.end_amdhsa_kernel
	.section	.text._ZN4vllm25paged_attention_v2_kernelI14__hip_bfloat16S1_Li128ELi8ELi128ELNS_18Fp8KVCacheDataTypeE0ELb1ELi512EEEvPfS3_PT_PKS4_PKT0_SA_ifPKiSC_iPKfiiiSE_SE_iiiii,"axG",@progbits,_ZN4vllm25paged_attention_v2_kernelI14__hip_bfloat16S1_Li128ELi8ELi128ELNS_18Fp8KVCacheDataTypeE0ELb1ELi512EEEvPfS3_PT_PKS4_PKT0_SA_ifPKiSC_iPKfiiiSE_SE_iiiii,comdat
.Lfunc_end138:
	.size	_ZN4vllm25paged_attention_v2_kernelI14__hip_bfloat16S1_Li128ELi8ELi128ELNS_18Fp8KVCacheDataTypeE0ELb1ELi512EEEvPfS3_PT_PKS4_PKT0_SA_ifPKiSC_iPKfiiiSE_SE_iiiii, .Lfunc_end138-_ZN4vllm25paged_attention_v2_kernelI14__hip_bfloat16S1_Li128ELi8ELi128ELNS_18Fp8KVCacheDataTypeE0ELb1ELi512EEEvPfS3_PT_PKS4_PKT0_SA_ifPKiSC_iPKfiiiSE_SE_iiiii
                                        ; -- End function
	.section	.AMDGPU.csdata,"",@progbits
; Kernel info:
; codeLenInByte = 6852
; NumSgprs: 58
; NumVgprs: 58
; NumAgprs: 0
; TotalNumVgprs: 58
; ScratchSize: 0
; MemoryBound: 0
; FloatMode: 240
; IeeeMode: 1
; LDSByteSize: 272 bytes/workgroup (compile time only)
; SGPRBlocks: 7
; VGPRBlocks: 7
; NumSGPRsForWavesPerEU: 58
; NumVGPRsForWavesPerEU: 58
; AccumOffset: 60
; Occupancy: 8
; WaveLimiterHint : 1
; COMPUTE_PGM_RSRC2:SCRATCH_EN: 0
; COMPUTE_PGM_RSRC2:USER_SGPR: 2
; COMPUTE_PGM_RSRC2:TRAP_HANDLER: 0
; COMPUTE_PGM_RSRC2:TGID_X_EN: 1
; COMPUTE_PGM_RSRC2:TGID_Y_EN: 1
; COMPUTE_PGM_RSRC2:TGID_Z_EN: 1
; COMPUTE_PGM_RSRC2:TIDIG_COMP_CNT: 0
; COMPUTE_PGM_RSRC3_GFX90A:ACCUM_OFFSET: 14
; COMPUTE_PGM_RSRC3_GFX90A:TG_SPLIT: 0
	.section	.text._ZN4vllm32paged_attention_v2_reduce_kernelI14__hip_bfloat16Li128ELi128ELi512EEEvPT_PKfS5_PKS2_PKii,"axG",@progbits,_ZN4vllm32paged_attention_v2_reduce_kernelI14__hip_bfloat16Li128ELi128ELi512EEEvPT_PKfS5_PKS2_PKii,comdat
	.protected	_ZN4vllm32paged_attention_v2_reduce_kernelI14__hip_bfloat16Li128ELi128ELi512EEEvPT_PKfS5_PKS2_PKii ; -- Begin function _ZN4vllm32paged_attention_v2_reduce_kernelI14__hip_bfloat16Li128ELi128ELi512EEEvPT_PKfS5_PKS2_PKii
	.globl	_ZN4vllm32paged_attention_v2_reduce_kernelI14__hip_bfloat16Li128ELi128ELi512EEEvPT_PKfS5_PKS2_PKii
	.p2align	8
	.type	_ZN4vllm32paged_attention_v2_reduce_kernelI14__hip_bfloat16Li128ELi128ELi512EEEvPT_PKfS5_PKS2_PKii,@function
_ZN4vllm32paged_attention_v2_reduce_kernelI14__hip_bfloat16Li128ELi128ELi512EEEvPT_PKfS5_PKS2_PKii: ; @_ZN4vllm32paged_attention_v2_reduce_kernelI14__hip_bfloat16Li128ELi128ELi512EEEvPT_PKfS5_PKS2_PKii
; %bb.0:
	s_load_dwordx4 s[8:11], s[0:1], 0x18
	s_add_u32 s6, s0, 48
	s_mov_b32 s12, s3
	s_addc_u32 s7, s1, 0
	s_ashr_i32 s13, s3, 31
	s_lshl_b64 s[4:5], s[12:13], 2
	s_waitcnt lgkmcnt(0)
	s_add_u32 s4, s10, s4
	s_addc_u32 s5, s11, s5
	s_load_dword s26, s[4:5], 0x0
	s_load_dwordx2 s[10:11], s[0:1], 0x0
	s_load_dword s3, s[0:1], 0x28
	s_load_dword s13, s[0:1], 0x30
	s_waitcnt lgkmcnt(0)
	s_add_i32 s4, s26, -1
	s_cmpk_gt_u32 s4, 0x1ff
	s_mov_b64 s[4:5], -1
	s_cbranch_scc0 .LBB139_29
; %bb.1:
	s_add_i32 s4, s26, 0x1ff
	s_load_dwordx2 s[18:19], s[0:1], 0x8
	s_ashr_i32 s5, s4, 31
	s_lshr_b32 s5, s5, 23
	s_add_i32 s4, s4, s5
	s_mul_i32 s24, s13, s12
	s_ashr_i32 s25, s4, 9
	s_mul_i32 s14, s24, s3
	s_mul_i32 s16, s2, s3
	s_ashr_i32 s15, s14, 31
	s_ashr_i32 s17, s16, 31
	v_cmp_gt_i32_e32 vcc, s25, v0
	v_mov_b32_e32 v6, 0xff7fffff
	v_lshlrev_b32_e32 v2, 2, v0
	s_and_saveexec_b64 s[4:5], vcc
	s_cbranch_execz .LBB139_5
; %bb.2:
	s_load_dword s20, s[6:7], 0xc
	s_load_dwordx2 s[22:23], s[0:1], 0x10
	s_lshl_b64 s[0:1], s[14:15], 2
	s_lshl_b64 s[28:29], s[16:17], 2
	v_mov_b32_e32 v3, 0
	s_waitcnt lgkmcnt(0)
	s_and_b32 s27, s20, 0xffff
	s_add_u32 s0, s0, s28
	s_addc_u32 s1, s1, s29
	s_add_u32 s0, s22, s0
	s_addc_u32 s1, s23, s1
	s_mov_b32 s21, 0
	v_lshl_add_u64 v[4:5], s[0:1], 0, v[2:3]
	s_lshl_b32 s20, s27, 2
	v_add_u32_e32 v1, 16, v2
	s_mov_b64 s[22:23], 0
	v_mov_b32_e32 v6, 0xff7fffff
	v_mov_b32_e32 v3, v0
.LBB139_3:                              ; =>This Inner Loop Header: Depth=1
	global_load_dword v7, v[4:5], off
	v_add_u32_e32 v3, s27, v3
	v_max_f32_e32 v6, v6, v6
	v_cmp_le_i32_e64 s[0:1], s25, v3
	v_lshl_add_u64 v[4:5], v[4:5], 0, s[20:21]
	s_or_b64 s[22:23], s[0:1], s[22:23]
	s_waitcnt vmcnt(0)
	ds_write_b32 v1, v7
	v_max_f32_e32 v7, v7, v7
	v_add_u32_e32 v1, s20, v1
	v_max_f32_e32 v6, v6, v7
	s_andn2_b64 exec, exec, s[22:23]
	s_cbranch_execnz .LBB139_3
; %bb.4:
	s_or_b64 exec, exec, s[22:23]
.LBB139_5:
	s_or_b64 exec, exec, s[4:5]
	v_mbcnt_lo_u32_b32 v1, -1, 0
	v_mbcnt_hi_u32_b32 v3, -1, v1
	v_and_b32_e32 v1, 64, v3
	v_add_u32_e32 v7, 64, v1
	v_xor_b32_e32 v1, 32, v3
	v_cmp_lt_i32_e64 s[0:1], v1, v7
	v_max_f32_e32 v5, v6, v6
	v_xor_b32_e32 v8, 8, v3
	v_cndmask_b32_e64 v1, v3, v1, s[0:1]
	v_lshlrev_b32_e32 v1, 2, v1
	ds_bpermute_b32 v4, v1, v6
	v_xor_b32_e32 v6, 16, v3
	v_cmp_lt_i32_e64 s[0:1], v6, v7
	v_xor_b32_e32 v9, 4, v3
	v_xor_b32_e32 v10, 2, v3
	s_waitcnt lgkmcnt(0)
	v_max_f32_e32 v4, v4, v4
	v_max_f32_e32 v4, v5, v4
	v_cndmask_b32_e64 v5, v3, v6, s[0:1]
	v_lshlrev_b32_e32 v6, 2, v5
	ds_bpermute_b32 v5, v6, v4
	v_cmp_lt_i32_e64 s[0:1], v8, v7
	v_lshrrev_b32_e32 v13, 6, v0
	s_waitcnt lgkmcnt(0)
	s_barrier
	v_max_f32_e32 v5, v5, v5
	v_max_f32_e32 v4, v4, v5
	v_cndmask_b32_e64 v5, v3, v8, s[0:1]
	v_lshlrev_b32_e32 v8, 2, v5
	ds_bpermute_b32 v5, v8, v4
	v_cmp_lt_i32_e64 s[0:1], v9, v7
	s_waitcnt lgkmcnt(0)
	v_max_f32_e32 v5, v5, v5
	v_max_f32_e32 v4, v4, v5
	v_cndmask_b32_e64 v5, v3, v9, s[0:1]
	v_lshlrev_b32_e32 v9, 2, v5
	ds_bpermute_b32 v5, v9, v4
	v_cmp_lt_i32_e64 s[0:1], v10, v7
	s_waitcnt lgkmcnt(0)
	v_max_f32_e32 v5, v5, v5
	v_max_f32_e32 v5, v4, v5
	v_cndmask_b32_e64 v4, v3, v10, s[0:1]
	v_lshlrev_b32_e32 v10, 2, v4
	ds_bpermute_b32 v11, v10, v5
	v_and_b32_e32 v4, 63, v0
	s_waitcnt lgkmcnt(0)
	v_max_f32_e32 v11, v11, v11
	v_max_f32_e32 v5, v5, v11
	v_xor_b32_e32 v11, 1, v3
	v_cmp_lt_i32_e64 s[0:1], v11, v7
	s_nop 1
	v_cndmask_b32_e64 v7, v3, v11, s[0:1]
	v_lshlrev_b32_e32 v7, 2, v7
	ds_bpermute_b32 v12, v7, v5
	v_cmp_eq_u32_e64 s[0:1], 0, v4
	v_lshlrev_b32_e32 v11, 2, v13
	s_and_saveexec_b64 s[4:5], s[0:1]
	s_cbranch_execz .LBB139_7
; %bb.6:
	s_waitcnt lgkmcnt(0)
	v_max_f32_e32 v12, v12, v12
	v_max_f32_e32 v5, v5, v5
	;; [unrolled: 1-line block ×3, first 2 shown]
	ds_write_b32 v11, v5
.LBB139_7:
	s_or_b64 exec, exec, s[4:5]
	v_cmp_gt_u32_e64 s[4:5], 2, v4
	v_mov_b32_e32 v5, 0xff7fffff
	s_waitcnt lgkmcnt(0)
	v_lshlrev_b32_e32 v12, 2, v4
	s_barrier
	s_and_saveexec_b64 s[20:21], s[4:5]
	s_cbranch_execz .LBB139_9
; %bb.8:
	ds_read_b32 v5, v12
.LBB139_9:
	s_or_b64 exec, exec, s[20:21]
	s_waitcnt lgkmcnt(0)
	ds_bpermute_b32 v4, v7, v5
	v_max_f32_e32 v5, v5, v5
	v_lshlrev_b32_e32 v3, 2, v3
	v_and_b32_e32 v13, 0x100, v3
	s_lshl_b32 s27, s25, 2
	s_waitcnt lgkmcnt(0)
	v_max_f32_e32 v4, v4, v4
	v_max_f32_e32 v4, v5, v4
	ds_bpermute_b32 v14, v13, v4
	v_mov_b32_e32 v3, 0
	s_and_saveexec_b64 s[20:21], vcc
	s_cbranch_execz .LBB139_13
; %bb.10:
	s_load_dword s22, s[6:7], 0xc
	s_lshl_b64 s[28:29], s[14:15], 2
	s_lshl_b64 s[30:31], s[16:17], 2
	v_mov_b32_e32 v3, 0
	s_mov_b32 s23, 0
	s_waitcnt lgkmcnt(0)
	s_and_b32 s15, s22, 0xffff
	s_add_u32 s17, s28, s30
	s_addc_u32 s22, s29, s31
	s_add_u32 s18, s18, s17
	s_addc_u32 s19, s19, s22
	v_lshl_add_u64 v[4:5], s[18:19], 0, v[2:3]
	s_lshl_b32 s22, s15, 2
	v_add_u32_e32 v2, 16, v2
	s_mov_b64 s[18:19], 0
	s_mov_b32 s17, 0x3fb8aa3b
	s_mov_b32 s28, 0xc2ce8ed0
	;; [unrolled: 1-line block ×3, first 2 shown]
	v_mov_b32_e32 v15, 0x7f800000
	v_mov_b32_e32 v16, v0
.LBB139_11:                             ; =>This Inner Loop Header: Depth=1
	global_load_dword v17, v[4:5], off
	ds_read_b32 v18, v2
	v_add_u32_e32 v16, s15, v16
	v_cmp_le_i32_e32 vcc, s25, v16
	s_or_b64 s[18:19], vcc, s[18:19]
	v_add_u32_e32 v19, s27, v2
	s_waitcnt lgkmcnt(0)
	v_sub_f32_e32 v18, v18, v14
	v_mul_f32_e32 v20, 0x3fb8aa3b, v18
	v_fma_f32 v21, v18, s17, -v20
	v_rndne_f32_e32 v22, v20
	v_fmac_f32_e32 v21, 0x32a5705f, v18
	v_sub_f32_e32 v20, v20, v22
	v_add_f32_e32 v20, v20, v21
	v_cvt_i32_f32_e32 v22, v22
	v_exp_f32_e32 v20, v20
	v_cmp_ngt_f32_e32 vcc, s28, v18
	v_lshl_add_u64 v[4:5], v[4:5], 0, s[22:23]
	v_add_u32_e32 v2, s22, v2
	v_ldexp_f32 v20, v20, v22
	v_cndmask_b32_e32 v20, 0, v20, vcc
	v_cmp_nlt_f32_e32 vcc, s29, v18
	s_nop 1
	v_cndmask_b32_e32 v18, v15, v20, vcc
	s_waitcnt vmcnt(0)
	v_mul_f32_e32 v20, v17, v18
	v_fmac_f32_e32 v3, v17, v18
	ds_write_b32 v19, v20
	s_andn2_b64 exec, exec, s[18:19]
	s_cbranch_execnz .LBB139_11
; %bb.12:
	s_or_b64 exec, exec, s[18:19]
.LBB139_13:
	s_or_b64 exec, exec, s[20:21]
	ds_bpermute_b32 v1, v1, v3
	s_waitcnt lgkmcnt(0)
	s_barrier
	v_add_f32_e32 v1, v3, v1
	ds_bpermute_b32 v2, v6, v1
	s_waitcnt lgkmcnt(0)
	v_add_f32_e32 v1, v1, v2
	ds_bpermute_b32 v2, v8, v1
	s_waitcnt lgkmcnt(0)
	;; [unrolled: 3-line block ×5, first 2 shown]
	v_add_f32_e32 v1, v1, v2
	s_and_saveexec_b64 s[18:19], s[0:1]
	s_cbranch_execz .LBB139_15
; %bb.14:
	ds_write_b32 v11, v1 offset:8
.LBB139_15:
	s_or_b64 exec, exec, s[18:19]
	s_waitcnt lgkmcnt(0)
	s_barrier
	s_and_saveexec_b64 s[0:1], s[4:5]
	s_cbranch_execz .LBB139_17
; %bb.16:
	ds_read_b32 v1, v12 offset:8
.LBB139_17:
	s_or_b64 exec, exec, s[0:1]
	s_waitcnt lgkmcnt(0)
	ds_bpermute_b32 v2, v7, v1
	s_movk_i32 s0, 0x80
	v_cmp_gt_u32_e32 vcc, s0, v0
	s_waitcnt lgkmcnt(0)
	v_add_f32_e32 v1, v1, v2
	ds_bpermute_b32 v2, v13, v1
	s_and_saveexec_b64 s[0:1], vcc
	s_cbranch_execz .LBB139_28
; %bb.18:
	s_cmp_gt_i32 s26, 0
	s_mov_b32 s15, 0
	s_cbranch_scc1 .LBB139_20
; %bb.19:
	v_mov_b32_e32 v1, 0
	v_mov_b32_e32 v4, s15
	s_cbranch_execz .LBB139_21
	s_branch .LBB139_23
.LBB139_20:
                                        ; implicit-def: $sgpr15
	v_mov_b32_e32 v4, s15
.LBB139_21:
	s_waitcnt lgkmcnt(0)
	v_add_f32_e32 v1, 0x358637bd, v2
	v_div_scale_f32 v2, s[4:5], v1, v1, 1.0
	v_rcp_f32_e32 v3, v2
	s_lshl_b32 s4, s14, 7
	s_lshl_b32 s16, s16, 7
	s_ashr_i32 s5, s4, 31
	v_fma_f32 v4, -v2, v3, 1.0
	v_fmac_f32_e32 v3, v4, v3
	v_div_scale_f32 v4, vcc, 1.0, v1, 1.0
	v_mul_f32_e32 v5, v4, v3
	v_fma_f32 v6, -v2, v5, v4
	s_ashr_i32 s17, s16, 31
	s_max_i32 s15, s25, 1
	v_fmac_f32_e32 v5, v6, v3
	s_add_i32 s14, s27, 16
	s_lshl_b64 s[4:5], s[4:5], 1
	s_lshl_b64 s[16:17], s[16:17], 1
	v_fma_f32 v2, -v2, v5, v4
	s_add_u32 s4, s4, s16
	v_div_fmas_f32 v2, v2, v3, v5
	s_addc_u32 s5, s5, s17
	v_div_fixup_f32 v5, v2, v1, 1.0
	v_mov_b32_e32 v1, 0
	s_add_u32 s4, s8, s4
	v_lshlrev_b32_e32 v2, 1, v0
	v_mov_b32_e32 v3, v1
	s_addc_u32 s5, s9, s5
	v_lshl_add_u64 v[2:3], s[4:5], 0, v[2:3]
	s_mov_b64 s[4:5], 0x100
	v_mov_b32_e32 v4, v1
.LBB139_22:                             ; =>This Inner Loop Header: Depth=1
	global_load_ushort v6, v[2:3], off
	v_mov_b32_e32 v7, s14
	ds_read_b32 v7, v7
	s_add_i32 s15, s15, -1
	s_add_i32 s14, s14, 4
	v_lshl_add_u64 v[2:3], v[2:3], 0, s[4:5]
	s_cmp_eq_u32 s15, 0
	s_waitcnt vmcnt(0)
	v_lshlrev_b32_e32 v6, 16, v6
	s_waitcnt lgkmcnt(0)
	v_mul_f32_e32 v6, v7, v6
	v_fmac_f32_e32 v4, v5, v6
	s_cbranch_scc0 .LBB139_22
.LBB139_23:
	s_mov_b32 s4, 0x7f800000
	s_waitcnt lgkmcnt(0)
	v_and_b32_e32 v2, 0x7f800000, v4
	v_cmp_ne_u32_e32 vcc, s4, v2
                                        ; implicit-def: $vgpr2
	s_and_saveexec_b64 s[4:5], vcc
	s_xor_b64 s[4:5], exec, s[4:5]
; %bb.24:
	v_bfe_u32 v2, v4, 16, 1
	s_movk_i32 s14, 0x7fff
	v_add3_u32 v2, v4, v2, s14
                                        ; implicit-def: $vgpr4
; %bb.25:
	s_andn2_saveexec_b64 s[4:5], s[4:5]
; %bb.26:
	v_mov_b32_e32 v2, 0
	v_or_b32_e32 v3, 0x10000, v4
	v_cmp_eq_u32_sdwa vcc, v4, v2 src0_sel:WORD_0 src1_sel:DWORD
	s_nop 1
	v_cndmask_b32_e32 v2, v3, v4, vcc
; %bb.27:
	s_or_b64 exec, exec, s[4:5]
	s_lshl_b32 s4, s24, 7
	s_ashr_i32 s5, s4, 31
	s_lshl_b64 s[4:5], s[4:5], 1
	s_add_u32 s14, s10, s4
	s_addc_u32 s15, s11, s5
	s_lshl_b32 s4, s2, 7
	s_ashr_i32 s5, s4, 31
	s_lshl_b64 s[4:5], s[4:5], 1
	s_add_u32 s4, s14, s4
	s_addc_u32 s5, s15, s5
	v_lshl_add_u64 v[4:5], v[0:1], 1, s[4:5]
	global_store_short_d16_hi v[4:5], v2, off
.LBB139_28:
	s_or_b64 exec, exec, s[0:1]
	s_mov_b64 s[4:5], 0
.LBB139_29:
	s_and_b64 vcc, exec, s[4:5]
	s_cbranch_vccz .LBB139_38
; %bb.30:
	s_movk_i32 s0, 0x80
	v_cmp_gt_u32_e32 vcc, s0, v0
	s_and_saveexec_b64 s[4:5], vcc
	s_cbranch_execz .LBB139_38
; %bb.31:
	s_mul_i32 s13, s13, s12
	s_lshl_b32 s4, s13, 7
	s_ashr_i32 s5, s4, 31
	s_lshl_b64 s[4:5], s[4:5], 1
	s_add_u32 s1, s10, s4
	s_addc_u32 s10, s11, s5
	s_lshl_b32 s4, s2, 7
	s_ashr_i32 s5, s4, 31
	s_lshl_b64 s[4:5], s[4:5], 1
	s_add_u32 s4, s1, s4
	s_mul_i32 s1, s3, s13
	s_addc_u32 s5, s10, s5
	s_lshl_b32 s10, s1, 7
	s_ashr_i32 s11, s10, 31
	s_lshl_b64 s[10:11], s[10:11], 1
	s_add_u32 s1, s8, s10
	s_mul_i32 s2, s2, s3
	s_load_dword s6, s[6:7], 0xc
	s_addc_u32 s8, s9, s11
	s_lshl_b32 s2, s2, 7
	s_ashr_i32 s3, s2, 31
	s_lshl_b64 s[2:3], s[2:3], 1
	s_add_u32 s2, s1, s2
	s_addc_u32 s3, s8, s3
	s_waitcnt lgkmcnt(0)
	s_and_b32 s8, s6, 0xffff
	v_cvt_f32_u32_e32 v1, s8
	v_add_u32_e32 v2, s8, v0
	v_mov_b32_e32 v4, s8
	v_cmp_gt_u32_e32 vcc, s0, v2
	v_rcp_iflag_f32_e32 v1, v1
	s_cmp_eq_u32 s8, 1
	v_max_u32_e32 v3, 0x80, v2
	v_addc_co_u32_e64 v2, s[0:1], v0, v4, vcc
	v_mul_f32_e32 v1, 0x4f7ffffe, v1
	v_cvt_u32_f32_e32 v1, v1
	s_cselect_b64 s[6:7], -1, 0
	s_sub_i32 s0, 0, s8
	v_sub_u32_e32 v2, v3, v2
	v_mul_lo_u32 v3, s0, v1
	v_mul_hi_u32 v3, v1, v3
	v_add_u32_e32 v1, v1, v3
	v_mul_hi_u32 v1, v2, v1
	v_mul_lo_u32 v3, v1, s8
	v_sub_u32_e32 v2, v2, v3
	v_add_u32_e32 v3, 1, v1
	v_cmp_le_u32_e64 s[0:1], s8, v2
	s_nop 1
	v_cndmask_b32_e64 v1, v1, v3, s[0:1]
	v_subrev_u32_e32 v3, s8, v2
	v_cndmask_b32_e64 v2, v2, v3, s[0:1]
	v_add_u32_e32 v3, 1, v1
	v_cmp_le_u32_e64 s[0:1], s8, v2
	s_nop 1
	v_cndmask_b32_e64 v1, v1, v3, s[0:1]
	v_addc_co_u32_e32 v1, vcc, 1, v1, vcc
	v_cmp_lt_u32_e32 vcc, 31, v1
	s_and_b64 s[10:11], vcc, s[6:7]
	s_mov_b64 s[6:7], -1
	s_and_saveexec_b64 s[0:1], s[10:11]
	s_cbranch_execz .LBB139_35
; %bb.32:
	v_and_b32_e32 v4, 0xffffffe0, v1
	s_mov_b64 s[6:7], 0
	v_mov_b32_e32 v3, 0
	v_mov_b32_e32 v2, v0
	;; [unrolled: 1-line block ×3, first 2 shown]
.LBB139_33:                             ; =>This Inner Loop Header: Depth=1
	v_lshlrev_b64 v[22:23], 1, v[2:3]
	v_lshl_add_u64 v[24:25], s[2:3], 0, v[22:23]
	global_load_dwordx4 v[6:9], v[24:25], off
	global_load_dwordx4 v[10:13], v[24:25], off offset:16
	global_load_dwordx4 v[14:17], v[24:25], off offset:32
	;; [unrolled: 1-line block ×3, first 2 shown]
	v_subrev_u32_e32 v5, 32, v5
	v_cmp_eq_u32_e32 vcc, 0, v5
	v_add_u32_e32 v2, 32, v2
	v_lshl_add_u64 v[22:23], s[4:5], 0, v[22:23]
	s_or_b64 s[6:7], vcc, s[6:7]
	s_waitcnt vmcnt(3)
	global_store_dwordx4 v[22:23], v[6:9], off
	s_waitcnt vmcnt(3)
	global_store_dwordx4 v[22:23], v[10:13], off offset:16
	s_waitcnt vmcnt(3)
	global_store_dwordx4 v[22:23], v[14:17], off offset:32
	;; [unrolled: 2-line block ×3, first 2 shown]
	s_andn2_b64 exec, exec, s[6:7]
	s_cbranch_execnz .LBB139_33
; %bb.34:
	s_or_b64 exec, exec, s[6:7]
	v_cmp_ne_u32_e32 vcc, v1, v4
	v_add_u32_e32 v0, v0, v4
	s_orn2_b64 s[6:7], vcc, exec
.LBB139_35:
	s_or_b64 exec, exec, s[0:1]
	s_and_b64 exec, exec, s[6:7]
	s_cbranch_execz .LBB139_38
; %bb.36:
	v_mov_b32_e32 v1, 0
	s_mov_b32 s1, 0
	v_lshlrev_b64 v[2:3], 1, v[0:1]
	s_lshl_b32 s0, s8, 1
	s_mov_b64 s[6:7], 0
	s_movk_i32 s9, 0x7f
.LBB139_37:                             ; =>This Inner Loop Header: Depth=1
	v_lshl_add_u64 v[4:5], s[2:3], 0, v[2:3]
	global_load_ushort v1, v[4:5], off
	v_add_u32_e32 v0, s8, v0
	v_cmp_lt_u32_e32 vcc, s9, v0
	v_lshl_add_u64 v[4:5], s[4:5], 0, v[2:3]
	v_lshl_add_u64 v[2:3], v[2:3], 0, s[0:1]
	s_or_b64 s[6:7], vcc, s[6:7]
	s_waitcnt vmcnt(0)
	global_store_short v[4:5], v1, off
	s_andn2_b64 exec, exec, s[6:7]
	s_cbranch_execnz .LBB139_37
.LBB139_38:
	s_endpgm
	.section	.rodata,"a",@progbits
	.p2align	6, 0x0
	.amdhsa_kernel _ZN4vllm32paged_attention_v2_reduce_kernelI14__hip_bfloat16Li128ELi128ELi512EEEvPT_PKfS5_PKS2_PKii
		.amdhsa_group_segment_fixed_size 16
		.amdhsa_private_segment_fixed_size 0
		.amdhsa_kernarg_size 304
		.amdhsa_user_sgpr_count 2
		.amdhsa_user_sgpr_dispatch_ptr 0
		.amdhsa_user_sgpr_queue_ptr 0
		.amdhsa_user_sgpr_kernarg_segment_ptr 1
		.amdhsa_user_sgpr_dispatch_id 0
		.amdhsa_user_sgpr_kernarg_preload_length 0
		.amdhsa_user_sgpr_kernarg_preload_offset 0
		.amdhsa_user_sgpr_private_segment_size 0
		.amdhsa_uses_dynamic_stack 0
		.amdhsa_enable_private_segment 0
		.amdhsa_system_sgpr_workgroup_id_x 1
		.amdhsa_system_sgpr_workgroup_id_y 1
		.amdhsa_system_sgpr_workgroup_id_z 0
		.amdhsa_system_sgpr_workgroup_info 0
		.amdhsa_system_vgpr_workitem_id 0
		.amdhsa_next_free_vgpr 26
		.amdhsa_next_free_sgpr 32
		.amdhsa_accum_offset 28
		.amdhsa_reserve_vcc 1
		.amdhsa_float_round_mode_32 0
		.amdhsa_float_round_mode_16_64 0
		.amdhsa_float_denorm_mode_32 3
		.amdhsa_float_denorm_mode_16_64 3
		.amdhsa_dx10_clamp 1
		.amdhsa_ieee_mode 1
		.amdhsa_fp16_overflow 0
		.amdhsa_tg_split 0
		.amdhsa_exception_fp_ieee_invalid_op 0
		.amdhsa_exception_fp_denorm_src 0
		.amdhsa_exception_fp_ieee_div_zero 0
		.amdhsa_exception_fp_ieee_overflow 0
		.amdhsa_exception_fp_ieee_underflow 0
		.amdhsa_exception_fp_ieee_inexact 0
		.amdhsa_exception_int_div_zero 0
	.end_amdhsa_kernel
	.section	.text._ZN4vllm32paged_attention_v2_reduce_kernelI14__hip_bfloat16Li128ELi128ELi512EEEvPT_PKfS5_PKS2_PKii,"axG",@progbits,_ZN4vllm32paged_attention_v2_reduce_kernelI14__hip_bfloat16Li128ELi128ELi512EEEvPT_PKfS5_PKS2_PKii,comdat
.Lfunc_end139:
	.size	_ZN4vllm32paged_attention_v2_reduce_kernelI14__hip_bfloat16Li128ELi128ELi512EEEvPT_PKfS5_PKS2_PKii, .Lfunc_end139-_ZN4vllm32paged_attention_v2_reduce_kernelI14__hip_bfloat16Li128ELi128ELi512EEEvPT_PKfS5_PKS2_PKii
                                        ; -- End function
	.section	.AMDGPU.csdata,"",@progbits
; Kernel info:
; codeLenInByte = 2264
; NumSgprs: 38
; NumVgprs: 26
; NumAgprs: 0
; TotalNumVgprs: 26
; ScratchSize: 0
; MemoryBound: 0
; FloatMode: 240
; IeeeMode: 1
; LDSByteSize: 16 bytes/workgroup (compile time only)
; SGPRBlocks: 4
; VGPRBlocks: 3
; NumSGPRsForWavesPerEU: 38
; NumVGPRsForWavesPerEU: 26
; AccumOffset: 28
; Occupancy: 8
; WaveLimiterHint : 0
; COMPUTE_PGM_RSRC2:SCRATCH_EN: 0
; COMPUTE_PGM_RSRC2:USER_SGPR: 2
; COMPUTE_PGM_RSRC2:TRAP_HANDLER: 0
; COMPUTE_PGM_RSRC2:TGID_X_EN: 1
; COMPUTE_PGM_RSRC2:TGID_Y_EN: 1
; COMPUTE_PGM_RSRC2:TGID_Z_EN: 0
; COMPUTE_PGM_RSRC2:TIDIG_COMP_CNT: 0
; COMPUTE_PGM_RSRC3_GFX90A:ACCUM_OFFSET: 6
; COMPUTE_PGM_RSRC3_GFX90A:TG_SPLIT: 0
	.section	.text._ZN4vllm25paged_attention_v2_kernelI14__hip_bfloat16S1_Li192ELi8ELi128ELNS_18Fp8KVCacheDataTypeE0ELb1ELi512EEEvPfS3_PT_PKS4_PKT0_SA_ifPKiSC_iPKfiiiSE_SE_iiiii,"axG",@progbits,_ZN4vllm25paged_attention_v2_kernelI14__hip_bfloat16S1_Li192ELi8ELi128ELNS_18Fp8KVCacheDataTypeE0ELb1ELi512EEEvPfS3_PT_PKS4_PKT0_SA_ifPKiSC_iPKfiiiSE_SE_iiiii,comdat
	.protected	_ZN4vllm25paged_attention_v2_kernelI14__hip_bfloat16S1_Li192ELi8ELi128ELNS_18Fp8KVCacheDataTypeE0ELb1ELi512EEEvPfS3_PT_PKS4_PKT0_SA_ifPKiSC_iPKfiiiSE_SE_iiiii ; -- Begin function _ZN4vllm25paged_attention_v2_kernelI14__hip_bfloat16S1_Li192ELi8ELi128ELNS_18Fp8KVCacheDataTypeE0ELb1ELi512EEEvPfS3_PT_PKS4_PKT0_SA_ifPKiSC_iPKfiiiSE_SE_iiiii
	.globl	_ZN4vllm25paged_attention_v2_kernelI14__hip_bfloat16S1_Li192ELi8ELi128ELNS_18Fp8KVCacheDataTypeE0ELb1ELi512EEEvPfS3_PT_PKS4_PKT0_SA_ifPKiSC_iPKfiiiSE_SE_iiiii
	.p2align	8
	.type	_ZN4vllm25paged_attention_v2_kernelI14__hip_bfloat16S1_Li192ELi8ELi128ELNS_18Fp8KVCacheDataTypeE0ELb1ELi512EEEvPfS3_PT_PKS4_PKT0_SA_ifPKiSC_iPKfiiiSE_SE_iiiii,@function
_ZN4vllm25paged_attention_v2_kernelI14__hip_bfloat16S1_Li192ELi8ELi128ELNS_18Fp8KVCacheDataTypeE0ELb1ELi512EEEvPfS3_PT_PKS4_PKT0_SA_ifPKiSC_iPKfiiiSE_SE_iiiii: ; @_ZN4vllm25paged_attention_v2_kernelI14__hip_bfloat16S1_Li192ELi8ELi128ELNS_18Fp8KVCacheDataTypeE0ELb1ELi512EEEvPfS3_PT_PKS4_PKT0_SA_ifPKiSC_iPKfiiiSE_SE_iiiii
; %bb.0:
	s_load_dwordx2 s[6:7], s[0:1], 0x40
	s_mov_b32 s34, s3
	s_ashr_i32 s35, s3, 31
	s_lshl_b64 s[8:9], s[34:35], 2
	s_waitcnt lgkmcnt(0)
	s_add_u32 s6, s6, s8
	s_addc_u32 s7, s7, s9
	s_load_dword s35, s[6:7], 0x0
	s_lshl_b32 s49, s4, 9
	s_waitcnt lgkmcnt(0)
	s_cmp_ge_i32 s49, s35
	s_cbranch_scc1 .LBB140_205
; %bb.1:
	s_load_dword s5, s[0:1], 0x90
	s_load_dwordx2 s[40:41], s[0:1], 0x30
	s_waitcnt lgkmcnt(0)
	s_abs_i32 s7, s5
	s_abs_i32 s3, s40
	v_cvt_f32_u32_e32 v1, s3
	s_sub_i32 s8, 0, s3
	s_xor_b32 s6, s5, s40
	s_ashr_i32 s6, s6, 31
	v_rcp_iflag_f32_e32 v1, v1
	s_nop 0
	v_mul_f32_e32 v1, 0x4f7ffffe, v1
	v_cvt_u32_f32_e32 v1, v1
	s_nop 0
	v_readfirstlane_b32 s9, v1
	s_mul_i32 s8, s8, s9
	s_mul_hi_u32 s8, s9, s8
	s_add_i32 s9, s9, s8
	s_mul_hi_u32 s8, s7, s9
	s_mul_i32 s9, s8, s3
	s_sub_i32 s7, s7, s9
	s_add_i32 s10, s8, 1
	s_sub_i32 s9, s7, s3
	s_cmp_ge_u32 s7, s3
	s_cselect_b32 s8, s10, s8
	s_cselect_b32 s7, s9, s7
	s_add_i32 s9, s8, 1
	s_cmp_ge_u32 s7, s3
	s_cselect_b32 s3, s9, s8
	s_xor_b32 s3, s3, s6
	s_sub_i32 s24, s3, s6
	s_abs_i32 s38, s24
	v_cvt_f32_u32_e32 v1, s38
	s_load_dwordx2 s[6:7], s[0:1], 0x50
	s_sub_i32 s3, 0, s38
	s_abs_i32 s25, s2
	v_rcp_iflag_f32_e32 v1, v1
	s_nop 0
	v_mul_f32_e32 v1, 0x4f7ffffe, v1
	v_cvt_u32_f32_e32 v1, v1
	s_nop 0
	v_readfirstlane_b32 s8, v1
	s_mul_i32 s3, s3, s8
	s_mul_hi_u32 s3, s8, s3
	s_add_i32 s8, s8, s3
	s_waitcnt lgkmcnt(0)
	s_cmp_eq_u64 s[6:7], 0
	s_mov_b32 s3, 0
	s_cbranch_scc1 .LBB140_3
; %bb.2:
	s_ashr_i32 s3, s2, 31
	s_lshl_b64 s[10:11], s[2:3], 2
	s_add_u32 s6, s6, s10
	s_addc_u32 s7, s7, s11
	s_load_dword s3, s[6:7], 0x0
.LBB140_3:
	s_load_dwordx4 s[20:23], s[0:1], 0x0
	s_load_dwordx2 s[28:29], s[0:1], 0x10
	s_load_dwordx4 s[16:19], s[0:1], 0x20
	s_load_dwordx2 s[36:37], s[0:1], 0x38
	s_load_dword s33, s[0:1], 0x98
	s_load_dwordx4 s[12:15], s[0:1], 0x58
	v_and_b32_e32 v9, 7, v0
	s_movk_i32 s6, 0xc0
	s_mul_i32 s30, s2, 0xc0
	s_mul_hi_u32 s26, s25, s8
	s_ashr_i32 s31, s30, 31
	v_cmp_gt_u32_e32 vcc, s6, v0
	v_lshlrev_b32_e32 v2, 1, v9
	s_and_saveexec_b64 s[6:7], vcc
	s_cbranch_execz .LBB140_6
; %bb.4:
	s_load_dwordx2 s[8:9], s[0:1], 0x18
	s_waitcnt lgkmcnt(0)
	s_mul_i32 s10, s34, s12
	s_ashr_i32 s11, s10, 31
	s_lshl_b64 s[10:11], s[10:11], 1
	s_lshl_b64 s[42:43], s[30:31], 1
	s_add_u32 s10, s10, s42
	s_addc_u32 s11, s11, s43
	v_lshrrev_b32_e32 v4, 3, v0
	s_add_u32 s8, s8, s10
	v_add_u32_e32 v1, -16, v4
	v_lshlrev_b32_e32 v3, 1, v4
	v_lshl_or_b32 v4, v4, 4, v2
	v_mov_b32_e32 v5, 0
	s_addc_u32 s9, s9, s11
	v_mad_u32_u24 v3, v9, 48, v3
	v_lshl_add_u64 v[4:5], s[8:9], 0, v[4:5]
	s_mov_b64 s[8:9], 0
	s_mov_b64 s[10:11], 0x100
.LBB140_5:                              ; =>This Inner Loop Header: Depth=1
	global_load_ushort v6, v[4:5], off
	v_add_u32_e32 v1, 16, v1
	v_cmp_lt_u32_e32 vcc, 7, v1
	v_lshl_add_u64 v[4:5], v[4:5], 0, s[10:11]
	s_or_b64 s[8:9], vcc, s[8:9]
	s_waitcnt vmcnt(0)
	ds_write_b16 v3, v6
	v_add_u32_e32 v3, 32, v3
	s_andn2_b64 exec, exec, s[8:9]
	s_cbranch_execnz .LBB140_5
.LBB140_6:
	s_or_b64 exec, exec, s[6:7]
	s_ashr_i32 s6, s2, 31
	s_ashr_i32 s7, s24, 31
	s_xor_b32 s6, s6, s7
	s_mul_i32 s7, s26, s38
	s_sub_i32 s7, s25, s7
	s_add_i32 s8, s26, 1
	s_sub_i32 s9, s7, s38
	s_cmp_ge_u32 s7, s38
	s_cselect_b32 s8, s8, s26
	s_load_dwordx4 s[24:27], s[0:1], 0x78
	s_cselect_b32 s7, s9, s7
	s_add_i32 s9, s8, 1
	s_cmp_ge_u32 s7, s38
	s_cselect_b32 s7, s9, s8
	s_load_dword s9, s[0:1], 0x88
	s_waitcnt lgkmcnt(0)
	s_abs_i32 s31, s27
	v_cvt_f32_u32_e32 v1, s31
	s_xor_b32 s7, s7, s6
	s_sub_i32 s8, s7, s6
	s_sub_i32 s6, 0, s31
	v_rcp_iflag_f32_e32 v1, v1
	s_add_i32 s12, s35, -1
	s_abs_i32 s10, s12
	v_mul_f32_e32 v1, 0x4f7ffffe, v1
	v_cvt_u32_f32_e32 v1, v1
	s_barrier
	v_readfirstlane_b32 s46, v1
	s_mul_i32 s6, s6, s46
	s_mul_hi_u32 s6, s46, s6
	s_add_i32 s46, s46, s6
	s_cmp_lt_i32 s9, 0
	s_mul_hi_u32 s11, s10, s46
	s_cbranch_scc0 .LBB140_8
; %bb.7:
	s_mul_i32 s6, s24, s40
	s_add_i32 s6, s8, s6
	s_mul_i32 s6, s6, s9
	s_sub_i32 s47, 1, s6
	s_ashr_i32 s12, s12, 31
	s_ashr_i32 s27, s27, 31
	s_cbranch_execz .LBB140_9
	s_branch .LBB140_10
.LBB140_8:
                                        ; implicit-def: $sgpr47
	s_ashr_i32 s12, s12, 31
	s_ashr_i32 s27, s27, 31
.LBB140_9:
	s_mul_i32 s6, s5, s24
	s_add_i32 s6, s6, s2
	s_mul_i32 s6, s6, s9
	s_add_i32 s47, s6, 1
.LBB140_10:
	s_load_dword s0, s[0:1], 0x48
	s_mul_i32 s6, s11, s31
	s_sub_i32 s6, s10, s6
	s_xor_b32 s1, s12, s27
	s_add_i32 s7, s11, 1
	s_waitcnt lgkmcnt(0)
	s_mul_i32 s38, s34, s0
	s_ashr_i32 s39, s38, 31
	s_sub_i32 s0, s6, s31
	s_cmp_ge_u32 s6, s31
	s_cselect_b32 s7, s7, s11
	s_cselect_b32 s0, s0, s6
	s_add_i32 s6, s7, 1
	s_cmp_ge_u32 s0, s31
	s_cselect_b32 s0, s6, s7
	s_xor_b32 s0, s0, s1
	s_sub_i32 s48, s0, s1
	s_add_i32 s0, s35, 7
	s_ashr_i32 s1, s0, 31
	s_lshr_b32 s1, s1, 29
	s_add_i32 s0, s0, s1
	s_lshl_b32 s40, s4, 6
	s_ashr_i32 s12, s0, 3
	s_add_i32 s0, s40, 64
	v_lshrrev_b32_e32 v6, 6, v0
	s_min_i32 s24, s0, s12
	v_or_b32_e32 v12, s40, v6
	v_cmp_gt_i32_e64 s[0:1], s24, v12
	v_mov_b32_e32 v10, 0xff7fffff
	s_mul_i32 s14, s8, s14
	v_ashrrev_i32_e32 v13, 31, v12
	v_lshl_add_u32 v1, v6, 3, s49
	v_mbcnt_lo_u32_b32 v7, -1, 0
	s_and_saveexec_b64 s[42:43], s[0:1]
	s_cbranch_execz .LBB140_20
; %bb.11:
	s_ashr_i32 s15, s14, 31
	s_sub_i32 s50, s48, s25
	s_lshl_b64 s[6:7], s[14:15], 1
	s_add_u32 s6, s16, s6
	s_addc_u32 s7, s17, s7
	s_abs_i32 s15, s26
	v_cvt_f32_u32_e32 v3, s15
	v_bfe_u32 v8, v0, 3, 3
	v_lshlrev_b32_e32 v4, 4, v8
	v_mov_b32_e32 v5, 0
	v_rcp_iflag_f32_e32 v14, v3
	v_lshl_add_u64 v[10:11], s[6:7], 0, v[4:5]
	v_mov_b32_e32 v3, v5
	v_lshl_add_u64 v[2:3], v[10:11], 0, v[2:3]
	v_mul_f32_e32 v4, 0x4f7ffffe, v14
	v_cvt_u32_f32_e32 v4, v4
	s_sub_i32 s8, 0, s15
	v_lshlrev_b32_e32 v10, 2, v8
	v_lshl_or_b32 v10, v6, 5, v10
	v_mul_lo_u32 v5, s8, v4
	s_lshl_b64 s[8:9], s[38:39], 2
	s_add_u32 s8, s36, s8
	v_add_u32_e32 v15, 0x190, v10
	v_subrev_u32_e32 v10, s35, v8
	v_mbcnt_hi_u32_b32 v18, -1, v7
	v_mul_hi_u32 v5, v4, v5
	s_addc_u32 s9, s37, s9
	v_add_u32_e32 v16, 1, v10
	v_and_b32_e32 v10, 64, v18
	v_cmp_eq_u32_e32 vcc, 0, v9
	s_mov_b32 s51, s13
	v_mul_u32_u24_e32 v9, 48, v9
	v_cmp_neq_f32_e64 s[6:7], s3, 0
	v_add_u32_e32 v11, v4, v5
	v_lshl_add_u64 v[4:5], v[12:13], 2, s[8:9]
	v_lshl_add_u32 v14, v6, 3, s49
	s_mov_b64 s[16:17], 0
	v_mov_b32_e32 v17, 0xff7fffff
	v_add_u32_e32 v19, 64, v10
	v_xor_b32_e32 v20, 4, v18
	v_xor_b32_e32 v21, 2, v18
	;; [unrolled: 1-line block ×3, first 2 shown]
	v_mov_b32_e32 v10, 0xff7fffff
	v_mov_b32_e32 v23, v12
	s_branch .LBB140_14
.LBB140_12:                             ;   in Loop: Header=BB140_14 Depth=1
	s_or_b64 exec, exec, s[44:45]
.LBB140_13:                             ;   in Loop: Header=BB140_14 Depth=1
	s_or_b64 exec, exec, s[10:11]
	v_add_u32_e32 v23, 2, v23
	v_cmp_le_i32_e64 s[8:9], s24, v23
	v_lshl_add_u64 v[4:5], v[4:5], 0, 8
	v_add_u32_e32 v14, 16, v14
	s_or_b64 s[16:17], s[8:9], s[16:17]
	v_add_u32_e32 v15, 64, v15
	s_andn2_b64 exec, exec, s[16:17]
	s_cbranch_execz .LBB140_19
.LBB140_14:                             ; =>This Inner Loop Header: Depth=1
	s_waitcnt lgkmcnt(0)
	v_sub_u32_e32 v25, 0, v14
	v_max_i32_e32 v25, v14, v25
	v_mul_hi_u32 v26, v25, s46
	v_mul_lo_u32 v27, v26, s31
	v_sub_u32_e32 v25, v25, v27
	v_add_u32_e32 v27, 1, v26
	v_cmp_le_u32_e64 s[8:9], s31, v25
	v_ashrrev_i32_e32 v24, 31, v14
	v_xor_b32_e32 v24, s27, v24
	v_cndmask_b32_e64 v26, v26, v27, s[8:9]
	v_subrev_u32_e32 v27, s31, v25
	v_cndmask_b32_e64 v25, v25, v27, s[8:9]
	v_add_u32_e32 v27, 1, v26
	v_cmp_le_u32_e64 s[8:9], s31, v25
	s_nop 1
	v_cndmask_b32_e64 v25, v26, v27, s[8:9]
	v_xor_b32_e32 v25, v25, v24
	v_sub_u32_e32 v24, v25, v24
	v_add_u32_e32 v25, s47, v24
	v_sub_u32_e32 v27, 0, v25
	v_ashrrev_i32_e32 v26, 31, v25
	v_max_i32_e32 v25, v25, v27
	v_mul_hi_u32 v27, v25, v11
	v_mul_lo_u32 v27, v27, s15
	v_sub_u32_e32 v25, v25, v27
	v_subrev_u32_e32 v27, s15, v25
	v_cmp_le_u32_e64 s[8:9], s15, v25
	v_cmp_ge_i32_e64 s[10:11], s50, v24
	s_nop 0
	v_cndmask_b32_e64 v25, v25, v27, s[8:9]
	v_subrev_u32_e32 v27, s15, v25
	v_cmp_le_u32_e64 s[8:9], s15, v25
	s_nop 1
	v_cndmask_b32_e64 v25, v25, v27, s[8:9]
	v_xor_b32_e32 v25, v25, v26
	v_sub_u32_e32 v25, v25, v26
	v_cmp_ne_u32_e64 s[8:9], 0, v25
	s_and_b64 s[8:9], s[8:9], s[10:11]
	s_and_b64 s[44:45], vcc, s[8:9]
	s_and_saveexec_b64 s[10:11], s[44:45]
	s_cbranch_execz .LBB140_16
; %bb.15:                               ;   in Loop: Header=BB140_14 Depth=1
	ds_write_b32 v15, v17
.LBB140_16:                             ;   in Loop: Header=BB140_14 Depth=1
	s_or_b64 exec, exec, s[10:11]
	s_xor_b64 s[8:9], s[8:9], -1
	s_and_saveexec_b64 s[10:11], s[8:9]
	s_cbranch_execz .LBB140_13
; %bb.17:                               ;   in Loop: Header=BB140_14 Depth=1
	global_load_dword v24, v[4:5], off
	s_waitcnt vmcnt(0)
	v_mad_i64_i32 v[24:25], s[8:9], v24, s51, 0
	v_lshl_add_u64 v[24:25], v[24:25], 1, v[2:3]
	global_load_ushort v36, v[24:25], off
	global_load_ushort v37, v[24:25], off offset:128
	global_load_ushort v38, v[24:25], off offset:256
	global_load_ushort v39, v[24:25], off offset:384
	global_load_ushort v40, v[24:25], off offset:512
	global_load_ushort v41, v[24:25], off offset:640
	global_load_ushort v42, v[24:25], off offset:768
	global_load_ushort v43, v[24:25], off offset:896
	global_load_ushort v44, v[24:25], off offset:1024
	global_load_ushort v45, v[24:25], off offset:1152
	global_load_ushort v46, v[24:25], off offset:1280
	global_load_ushort v47, v[24:25], off offset:1408
	global_load_ushort v48, v[24:25], off offset:1536
	global_load_ushort v49, v[24:25], off offset:1664
	global_load_ushort v50, v[24:25], off offset:1792
	global_load_ushort v51, v[24:25], off offset:1920
	global_load_ushort v52, v[24:25], off offset:2048
	global_load_ushort v53, v[24:25], off offset:2176
	global_load_ushort v54, v[24:25], off offset:2304
	global_load_ushort v55, v[24:25], off offset:2432
	global_load_ushort v56, v[24:25], off offset:2560
	global_load_ushort v57, v[24:25], off offset:2688
	global_load_ushort v58, v[24:25], off offset:2816
	global_load_ushort v59, v[24:25], off offset:2944
	ds_read_b128 v[24:27], v9
	ds_read_b128 v[28:31], v9 offset:16
	ds_read_b128 v[32:35], v9 offset:32
	v_cmp_lt_i32_e64 s[8:9], v20, v19
	s_waitcnt lgkmcnt(2)
	v_lshlrev_b32_e32 v61, 16, v24
	v_and_b32_e32 v24, 0xffff0000, v24
	v_lshlrev_b32_e32 v62, 16, v25
	v_and_b32_e32 v25, 0xffff0000, v25
	;; [unrolled: 2-line block ×4, first 2 shown]
	s_waitcnt lgkmcnt(1)
	v_lshlrev_b32_e32 v65, 16, v28
	v_and_b32_e32 v28, 0xffff0000, v28
	v_lshlrev_b32_e32 v66, 16, v29
	v_and_b32_e32 v29, 0xffff0000, v29
	;; [unrolled: 2-line block ×4, first 2 shown]
	s_waitcnt lgkmcnt(0)
	v_lshlrev_b32_e32 v69, 16, v32
	v_and_b32_e32 v32, 0xffff0000, v32
	v_lshlrev_b32_e32 v70, 16, v33
	v_and_b32_e32 v33, 0xffff0000, v33
	;; [unrolled: 2-line block ×3, first 2 shown]
	v_lshlrev_b32_e32 v72, 16, v35
	v_cndmask_b32_e64 v60, v18, v20, s[8:9]
	v_and_b32_e32 v35, 0xffff0000, v35
	v_lshlrev_b32_e32 v60, 2, v60
	v_cmp_lt_i32_e64 s[8:9], v21, v19
	s_waitcnt vmcnt(23)
	v_lshlrev_b32_e32 v36, 16, v36
	s_waitcnt vmcnt(22)
	v_lshlrev_b32_e32 v37, 16, v37
	v_mul_f32_e32 v24, v24, v37
	s_waitcnt vmcnt(21)
	v_lshlrev_b32_e32 v38, 16, v38
	v_fmac_f32_e32 v24, v61, v36
	s_waitcnt vmcnt(20)
	v_lshlrev_b32_e32 v39, 16, v39
	v_fmac_f32_e32 v24, v62, v38
	s_waitcnt vmcnt(19)
	v_lshlrev_b32_e32 v40, 16, v40
	v_fmac_f32_e32 v24, v25, v39
	s_waitcnt vmcnt(18)
	v_lshlrev_b32_e32 v41, 16, v41
	v_fmac_f32_e32 v24, v63, v40
	s_waitcnt vmcnt(17)
	v_lshlrev_b32_e32 v42, 16, v42
	v_fmac_f32_e32 v24, v26, v41
	s_waitcnt vmcnt(16)
	v_lshlrev_b32_e32 v43, 16, v43
	v_fmac_f32_e32 v24, v64, v42
	s_waitcnt vmcnt(15)
	v_lshlrev_b32_e32 v44, 16, v44
	v_fmac_f32_e32 v24, v27, v43
	s_waitcnt vmcnt(14)
	v_lshlrev_b32_e32 v45, 16, v45
	v_fmac_f32_e32 v24, v65, v44
	s_waitcnt vmcnt(13)
	v_lshlrev_b32_e32 v46, 16, v46
	v_fmac_f32_e32 v24, v28, v45
	s_waitcnt vmcnt(12)
	v_lshlrev_b32_e32 v47, 16, v47
	v_fmac_f32_e32 v24, v66, v46
	s_waitcnt vmcnt(11)
	v_lshlrev_b32_e32 v48, 16, v48
	v_fmac_f32_e32 v24, v29, v47
	s_waitcnt vmcnt(10)
	v_lshlrev_b32_e32 v49, 16, v49
	v_fmac_f32_e32 v24, v67, v48
	s_waitcnt vmcnt(9)
	v_lshlrev_b32_e32 v50, 16, v50
	v_fmac_f32_e32 v24, v30, v49
	s_waitcnt vmcnt(8)
	v_lshlrev_b32_e32 v51, 16, v51
	v_fmac_f32_e32 v24, v68, v50
	s_waitcnt vmcnt(7)
	v_lshlrev_b32_e32 v52, 16, v52
	v_fmac_f32_e32 v24, v31, v51
	s_waitcnt vmcnt(6)
	v_lshlrev_b32_e32 v53, 16, v53
	v_fmac_f32_e32 v24, v69, v52
	s_waitcnt vmcnt(5)
	v_lshlrev_b32_e32 v54, 16, v54
	v_fmac_f32_e32 v24, v32, v53
	s_waitcnt vmcnt(4)
	v_lshlrev_b32_e32 v55, 16, v55
	v_fmac_f32_e32 v24, v70, v54
	s_waitcnt vmcnt(3)
	v_lshlrev_b32_e32 v56, 16, v56
	v_fmac_f32_e32 v24, v33, v55
	s_waitcnt vmcnt(2)
	v_lshlrev_b32_e32 v57, 16, v57
	v_fmac_f32_e32 v24, v71, v56
	s_waitcnt vmcnt(1)
	v_lshlrev_b32_e32 v58, 16, v58
	v_fmac_f32_e32 v24, v34, v57
	v_fmac_f32_e32 v24, v72, v58
	s_waitcnt vmcnt(0)
	v_lshlrev_b32_e32 v25, 16, v59
	v_fmac_f32_e32 v24, v35, v25
	ds_bpermute_b32 v25, v60, v24
	v_cndmask_b32_e64 v26, v18, v21, s[8:9]
	v_lshlrev_b32_e32 v26, 2, v26
	v_cmp_lt_i32_e64 s[8:9], v22, v19
	s_waitcnt lgkmcnt(0)
	v_add_f32_e32 v24, v24, v25
	ds_bpermute_b32 v25, v26, v24
	v_cndmask_b32_e64 v26, v18, v22, s[8:9]
	v_lshlrev_b32_e32 v26, 2, v26
	s_waitcnt lgkmcnt(0)
	v_add_f32_e32 v24, v24, v25
	ds_bpermute_b32 v25, v26, v24
	s_and_saveexec_b64 s[44:45], vcc
	s_cbranch_execz .LBB140_12
; %bb.18:                               ;   in Loop: Header=BB140_14 Depth=1
	v_add_u32_e32 v26, v16, v14
	v_cvt_f32_i32_e32 v26, v26
	s_waitcnt lgkmcnt(0)
	v_add_f32_e32 v24, v24, v25
	v_add_u32_e32 v27, v8, v14
	v_cmp_gt_i32_e64 s[8:9], s35, v27
	v_mul_f32_e32 v25, s3, v26
	v_cndmask_b32_e64 v25, 0, v25, s[6:7]
	v_fmac_f32_e32 v25, s41, v24
	v_cndmask_b32_e64 v24, 0, v25, s[8:9]
	ds_write_b32 v15, v24
	v_max_f32_e32 v24, v10, v10
	v_max_f32_e32 v24, v24, v25
	v_cndmask_b32_e64 v10, v10, v24, s[8:9]
	s_branch .LBB140_12
.LBB140_19:
	s_or_b64 exec, exec, s[16:17]
.LBB140_20:
	s_or_b64 exec, exec, s[42:43]
	v_mbcnt_hi_u32_b32 v2, -1, v7
	v_and_b32_e32 v3, 64, v2
	v_add_u32_e32 v3, 64, v3
	v_xor_b32_e32 v4, 32, v2
	v_cmp_lt_i32_e32 vcc, v4, v3
	v_xor_b32_e32 v8, 16, v2
	v_max_f32_e32 v5, v10, v10
	v_cndmask_b32_e32 v4, v2, v4, vcc
	v_lshlrev_b32_e32 v7, 2, v4
	ds_bpermute_b32 v4, v7, v10
	v_cmp_lt_i32_e32 vcc, v8, v3
	v_and_b32_e32 v20, 63, v0
	s_waitcnt lgkmcnt(0)
	v_max_f32_e32 v4, v4, v4
	v_max_f32_e32 v4, v5, v4
	v_cndmask_b32_e32 v5, v2, v8, vcc
	v_lshlrev_b32_e32 v9, 2, v5
	ds_bpermute_b32 v5, v9, v4
	v_xor_b32_e32 v8, 8, v2
	v_cmp_lt_i32_e32 vcc, v8, v3
	s_waitcnt lgkmcnt(0)
	v_max_f32_e32 v5, v5, v5
	v_max_f32_e32 v4, v4, v5
	v_cndmask_b32_e32 v5, v2, v8, vcc
	v_lshlrev_b32_e32 v10, 2, v5
	ds_bpermute_b32 v8, v10, v4
	v_cmp_eq_u32_e32 vcc, 0, v20
	v_lshlrev_b32_e32 v5, 2, v6
	s_and_saveexec_b64 s[6:7], vcc
	s_cbranch_execz .LBB140_22
; %bb.21:
	s_waitcnt lgkmcnt(0)
	v_max_f32_e32 v8, v8, v8
	v_max_f32_e32 v4, v4, v4
	;; [unrolled: 1-line block ×3, first 2 shown]
	ds_write_b32 v5, v4 offset:384
.LBB140_22:
	s_or_b64 exec, exec, s[6:7]
	v_cmp_gt_u32_e64 s[6:7], 2, v20
	v_mov_b32_e32 v4, 0xff7fffff
	s_waitcnt lgkmcnt(0)
	v_lshlrev_b32_e32 v8, 2, v20
	s_barrier
	s_and_saveexec_b64 s[8:9], s[6:7]
	s_cbranch_execz .LBB140_24
; %bb.23:
	ds_read_b32 v4, v8 offset:384
.LBB140_24:
	s_or_b64 exec, exec, s[8:9]
	v_xor_b32_e32 v11, 1, v2
	v_cmp_lt_i32_e64 s[8:9], v11, v3
	s_sub_i32 s3, s24, s40
	s_lshl_b32 s3, s3, 3
	v_cndmask_b32_e64 v11, v2, v11, s[8:9]
	v_lshlrev_b32_e32 v11, 2, v11
	s_waitcnt lgkmcnt(0)
	ds_bpermute_b32 v14, v11, v4
	v_max_f32_e32 v4, v4, v4
	s_add_i32 s3, s3, s49
	s_min_i32 s15, s3, s35
	s_sub_i32 s3, s15, s49
	s_waitcnt lgkmcnt(0)
	v_max_f32_e32 v14, v14, v14
	v_max_f32_e32 v4, v4, v14
	v_lshlrev_b32_e32 v14, 2, v2
	v_and_b32_e32 v14, 0x100, v14
	ds_bpermute_b32 v4, v14, v4
	v_cmp_gt_i32_e64 s[8:9], s3, v0
	v_mov_b32_e32 v15, 0
	s_and_saveexec_b64 s[16:17], s[8:9]
	s_cbranch_execz .LBB140_28
; %bb.25:
	v_mov_b32_e32 v15, 0x190
	v_lshl_add_u32 v16, v0, 2, v15
	s_mov_b64 s[40:41], 0
	v_mov_b32_e32 v15, 0
	v_mov_b32_e32 v17, v0
.LBB140_26:                             ; =>This Inner Loop Header: Depth=1
	ds_read_b32 v18, v16
	v_add_u32_e32 v17, 0x80, v17
	v_cmp_le_i32_e64 s[10:11], s3, v17
	s_or_b64 s[40:41], s[10:11], s[40:41]
	s_waitcnt lgkmcnt(0)
	v_sub_f32_e32 v18, v18, v4
	v_mul_f32_e32 v18, 0x3fb8aa3b, v18
	v_exp_f32_e32 v18, v18
	ds_write_b32 v16, v18
	v_add_f32_e32 v15, v15, v18
	v_add_u32_e32 v16, 0x200, v16
	s_andn2_b64 exec, exec, s[40:41]
	s_cbranch_execnz .LBB140_26
; %bb.27:
	s_or_b64 exec, exec, s[40:41]
.LBB140_28:
	s_or_b64 exec, exec, s[16:17]
	ds_bpermute_b32 v7, v7, v15
	s_waitcnt lgkmcnt(0)
	v_add_f32_e32 v7, v15, v7
	ds_bpermute_b32 v9, v9, v7
	s_waitcnt lgkmcnt(0)
	v_add_f32_e32 v7, v7, v9
	ds_bpermute_b32 v9, v10, v7
	v_xor_b32_e32 v10, 4, v2
	v_cmp_lt_i32_e64 s[10:11], v10, v3
	s_waitcnt lgkmcnt(0)
	v_add_f32_e32 v7, v7, v9
	v_cndmask_b32_e64 v10, v2, v10, s[10:11]
	v_lshlrev_b32_e32 v10, 2, v10
	ds_bpermute_b32 v9, v10, v7
	v_xor_b32_e32 v10, 2, v2
	v_cmp_lt_i32_e64 s[10:11], v10, v3
	s_waitcnt lgkmcnt(0)
	v_add_f32_e32 v3, v7, v9
	v_cndmask_b32_e64 v2, v2, v10, s[10:11]
	v_lshlrev_b32_e32 v2, 2, v2
	ds_bpermute_b32 v2, v2, v3
	s_waitcnt lgkmcnt(0)
	v_add_f32_e32 v2, v3, v2
	ds_bpermute_b32 v3, v11, v2
	s_waitcnt lgkmcnt(0)
	v_add_f32_e32 v2, v2, v3
	s_and_saveexec_b64 s[10:11], vcc
	s_cbranch_execz .LBB140_30
; %bb.29:
	ds_write_b32 v5, v2 offset:392
.LBB140_30:
	s_or_b64 exec, exec, s[10:11]
	s_waitcnt lgkmcnt(0)
	s_barrier
	s_and_saveexec_b64 s[10:11], s[6:7]
	s_cbranch_execz .LBB140_32
; %bb.31:
	ds_read_b32 v2, v8 offset:392
.LBB140_32:
	s_or_b64 exec, exec, s[10:11]
	s_waitcnt lgkmcnt(0)
	ds_bpermute_b32 v3, v11, v2
	s_waitcnt lgkmcnt(0)
	v_add_f32_e32 v2, v2, v3
	ds_bpermute_b32 v5, v14, v2
	s_and_saveexec_b64 s[6:7], s[8:9]
	s_cbranch_execz .LBB140_45
; %bb.33:
	s_waitcnt lgkmcnt(0)
	v_add_f32_e32 v2, 0x358637bd, v5
	v_div_scale_f32 v3, s[8:9], v2, v2, 1.0
	v_rcp_f32_e32 v7, v3
	v_div_scale_f32 v8, vcc, 1.0, v2, 1.0
	s_movk_i32 s8, 0x7f
	v_fma_f32 v9, -v3, v7, 1.0
	v_fmac_f32_e32 v7, v9, v7
	v_mul_f32_e32 v9, v8, v7
	v_fma_f32 v10, -v3, v9, v8
	v_fmac_f32_e32 v9, v10, v7
	v_fma_f32 v3, -v3, v9, v8
	v_div_fmas_f32 v3, v3, v7, v9
	v_div_fixup_f32 v2, v3, v2, 1.0
	v_xad_u32 v3, v0, -1, s15
	v_subrev_u32_e32 v7, s49, v3
	v_cmp_lt_u32_e32 vcc, s8, v7
	s_mov_b64 s[10:11], -1
	v_mov_b32_e32 v3, v0
	s_and_saveexec_b64 s[8:9], vcc
	s_cbranch_execz .LBB140_42
; %bb.34:
	v_lshrrev_b32_e32 v7, 7, v7
	v_add_u32_e32 v9, -1, v7
	v_lshrrev_b32_e32 v8, 1, v9
	v_mov_b32_e32 v3, v2
	v_add_u32_e32 v8, 1, v8
	v_cmp_lt_u32_e32 vcc, 13, v9
	v_mov_b32_e32 v11, 0
	s_and_saveexec_b64 s[10:11], vcc
	s_cbranch_execz .LBB140_38
; %bb.35:
	v_mov_b32_e32 v10, 0x190
	v_and_b32_e32 v9, -8, v8
	v_lshl_add_u32 v10, v0, 2, v10
	s_mov_b32 s15, 0
	s_mov_b64 s[16:17], 0
.LBB140_36:                             ; =>This Inner Loop Header: Depth=1
	ds_read2st64_b32 v[14:15], v10 offset1:2
	ds_read2st64_b32 v[16:17], v10 offset0:4 offset1:6
	ds_read2st64_b32 v[18:19], v10 offset0:8 offset1:10
	;; [unrolled: 1-line block ×3, first 2 shown]
	v_add_u32_e32 v9, -8, v9
	s_waitcnt lgkmcnt(3)
	v_pk_mul_f32 v[14:15], v[2:3], v[14:15]
	s_waitcnt lgkmcnt(2)
	v_pk_mul_f32 v[16:17], v[2:3], v[16:17]
	ds_write2st64_b32 v10, v14, v15 offset1:2
	ds_write2st64_b32 v10, v16, v17 offset0:4 offset1:6
	ds_read2st64_b32 v[16:17], v10 offset0:16 offset1:18
	s_waitcnt lgkmcnt(4)
	v_pk_mul_f32 v[14:15], v[2:3], v[18:19]
	ds_write2st64_b32 v10, v14, v15 offset0:8 offset1:10
	s_waitcnt lgkmcnt(4)
	v_pk_mul_f32 v[14:15], v[2:3], v[22:23]
	ds_write2st64_b32 v10, v14, v15 offset0:12 offset1:14
	ds_read2st64_b32 v[14:15], v10 offset0:20 offset1:22
	s_waitcnt lgkmcnt(3)
	v_pk_mul_f32 v[16:17], v[2:3], v[16:17]
	ds_read2st64_b32 v[18:19], v10 offset0:24 offset1:26
	ds_write2st64_b32 v10, v16, v17 offset0:16 offset1:18
	ds_read2st64_b32 v[16:17], v10 offset0:28 offset1:30
	s_waitcnt lgkmcnt(3)
	v_pk_mul_f32 v[14:15], v[2:3], v[14:15]
	ds_write2st64_b32 v10, v14, v15 offset0:20 offset1:22
	s_waitcnt lgkmcnt(3)
	v_pk_mul_f32 v[14:15], v[2:3], v[18:19]
	ds_write2st64_b32 v10, v14, v15 offset0:24 offset1:26
	s_waitcnt lgkmcnt(2)
	v_pk_mul_f32 v[14:15], v[2:3], v[16:17]
	s_add_i32 s15, s15, 16
	v_cmp_eq_u32_e32 vcc, 0, v9
	ds_write2st64_b32 v10, v14, v15 offset0:28 offset1:30
	v_add_u32_e32 v10, 0x2000, v10
	s_or_b64 s[16:17], vcc, s[16:17]
	v_mov_b32_e32 v11, s15
	s_andn2_b64 exec, exec, s[16:17]
	s_cbranch_execnz .LBB140_36
; %bb.37:
	s_or_b64 exec, exec, s[16:17]
.LBB140_38:
	s_or_b64 exec, exec, s[10:11]
	v_and_b32_e32 v8, 7, v8
	v_cmp_ne_u32_e32 vcc, 0, v8
	s_and_saveexec_b64 s[10:11], vcc
	s_cbranch_execz .LBB140_41
; %bb.39:
	v_lshlrev_b32_e32 v9, 9, v11
	v_lshlrev_b32_e32 v10, 2, v0
	s_movk_i32 s15, 0x190
	v_add3_u32 v9, v9, v10, s15
	s_mov_b64 s[16:17], 0
.LBB140_40:                             ; =>This Inner Loop Header: Depth=1
	ds_read2st64_b32 v[10:11], v9 offset1:2
	v_add_u32_e32 v8, -1, v8
	v_cmp_eq_u32_e32 vcc, 0, v8
	s_or_b64 s[16:17], vcc, s[16:17]
	s_waitcnt lgkmcnt(0)
	v_pk_mul_f32 v[10:11], v[2:3], v[10:11]
	ds_write2st64_b32 v9, v10, v11 offset1:2
	v_add_u32_e32 v9, 0x400, v9
	s_andn2_b64 exec, exec, s[16:17]
	s_cbranch_execnz .LBB140_40
.LBB140_41:
	s_or_b64 exec, exec, s[10:11]
	v_add_u32_e32 v7, 1, v7
	v_and_b32_e32 v8, 0x3fffffe, v7
	v_cmp_ne_u32_e32 vcc, v7, v8
	v_lshl_add_u32 v3, v8, 7, v0
	s_orn2_b64 s[10:11], vcc, exec
.LBB140_42:
	s_or_b64 exec, exec, s[8:9]
	s_and_b64 exec, exec, s[10:11]
	s_cbranch_execz .LBB140_45
; %bb.43:
	v_mov_b32_e32 v7, 0x190
	v_lshl_add_u32 v7, v3, 2, v7
	s_mov_b64 s[8:9], 0
.LBB140_44:                             ; =>This Inner Loop Header: Depth=1
	ds_read_b32 v8, v7
	v_add_u32_e32 v3, 0x80, v3
	v_cmp_le_i32_e32 vcc, s3, v3
	s_or_b64 s[8:9], vcc, s[8:9]
	s_waitcnt lgkmcnt(0)
	v_mul_f32_e32 v8, v2, v8
	ds_write_b32 v7, v8
	v_add_u32_e32 v7, 0x200, v7
	s_andn2_b64 exec, exec, s[8:9]
	s_cbranch_execnz .LBB140_44
.LBB140_45:
	s_or_b64 exec, exec, s[6:7]
	s_mul_i32 s3, s33, s34
	v_cmp_eq_u32_e32 vcc, 0, v0
	s_mul_i32 s6, s3, s5
	s_waitcnt lgkmcnt(0)
	s_barrier
	s_and_saveexec_b64 s[8:9], vcc
	s_cbranch_execz .LBB140_47
; %bb.46:
	s_ashr_i32 s7, s6, 31
	s_lshl_b64 s[10:11], s[6:7], 2
	s_add_u32 s5, s22, s10
	s_mul_i32 s2, s33, s2
	s_addc_u32 s7, s23, s11
	s_ashr_i32 s3, s2, 31
	s_lshl_b64 s[2:3], s[2:3], 2
	s_add_u32 s15, s5, s2
	s_addc_u32 s7, s7, s3
	s_ashr_i32 s5, s4, 31
	s_lshl_b64 s[16:17], s[4:5], 2
	s_add_u32 s22, s15, s16
	s_addc_u32 s23, s7, s17
	s_add_u32 s5, s20, s10
	s_addc_u32 s7, s21, s11
	;; [unrolled: 2-line block ×3, first 2 shown]
	s_add_u32 s2, s2, s16
	v_mov_b32_e32 v2, 0
	s_addc_u32 s3, s3, s17
	global_store_dword v2, v4, s[22:23]
	global_store_dword v2, v5, s[2:3]
.LBB140_47:
	s_or_b64 exec, exec, s[8:9]
	v_mov_b32_e32 v10, 0
	v_mov_b32_e32 v15, v10
	;; [unrolled: 1-line block ×3, first 2 shown]
	s_and_saveexec_b64 s[2:3], s[0:1]
	s_cbranch_execz .LBB140_187
; %bb.48:
	s_ashr_i32 s15, s14, 31
	s_sub_i32 s5, s48, s25
	s_lshl_b64 s[0:1], s[14:15], 1
	s_add_u32 s0, s18, s0
	s_addc_u32 s1, s19, s1
	s_abs_i32 s7, s26
	v_cvt_f32_u32_e32 v2, s7
	s_sub_i32 s10, 0, s7
	v_mov_b32_e32 v11, 0
	v_lshlrev_b32_e32 v10, 4, v20
	v_rcp_iflag_f32_e32 v2, v2
	s_add_i32 s15, s12, -1
	s_lshl_b64 s[8:9], s[38:39], 2
	v_lshl_add_u64 v[16:17], s[0:1], 0, v[10:11]
	v_mul_f32_e32 v2, 0x4f7ffffe, v2
	v_cvt_u32_f32_e32 v2, v2
	s_add_u32 s0, s36, s8
	s_addc_u32 s1, s37, s9
	s_mov_b32 s14, s13
	v_mul_lo_u32 v3, s10, v2
	v_mul_hi_u32 v3, v2, v3
	v_add_u32_e32 v21, v2, v3
	v_mov_b32_e32 v2, 0x190
	v_lshl_add_u64 v[18:19], v[12:13], 2, s[0:1]
	v_lshl_add_u32 v13, v6, 5, v2
	s_mov_b64 s[8:9], 0
	s_mov_b32 s16, 0x7f800000
	s_movk_i32 s17, 0x7fff
	v_mov_b32_e32 v14, 0
	v_mov_b32_e32 v15, 0
	v_mov_b32_e32 v10, 0
	s_branch .LBB140_51
.LBB140_49:                             ;   in Loop: Header=BB140_51 Depth=1
	s_or_b64 exec, exec, s[0:1]
	v_and_b32_e32 v35, 0xffff0000, v46
	v_and_b32_e32 v34, 0xffff0000, v44
	;; [unrolled: 1-line block ×8, first 2 shown]
	v_pk_add_f32 v[34:35], v[36:37], v[34:35]
	v_pk_add_f32 v[30:31], v[32:33], v[30:31]
	v_add_f32_e32 v32, v34, v35
	v_add_f32_e32 v30, v32, v30
	;; [unrolled: 1-line block ×4, first 2 shown]
	v_and_b32_e32 v31, 0xffff0000, v27
	v_and_b32_e32 v30, 0xffff0000, v25
	;; [unrolled: 1-line block ×8, first 2 shown]
	v_pk_add_f32 v[8:9], v[8:9], v[26:27]
	v_pk_add_f32 v[22:23], v[24:25], v[30:31]
	v_add_f32_e32 v8, v8, v9
	v_add_f32_e32 v8, v8, v22
	;; [unrolled: 1-line block ×3, first 2 shown]
	v_and_b32_e32 v23, 0xffff0000, v28
	v_and_b32_e32 v22, 0xffff0000, v7
	v_and_b32_e32 v3, 0xffff0000, v3
	v_and_b32_e32 v2, 0xffff0000, v2
	v_add_f32_e32 v14, v14, v8
	v_and_b32_e32 v9, 0xffff0000, v6
	v_and_b32_e32 v8, 0xffff0000, v29
	;; [unrolled: 1-line block ×4, first 2 shown]
	v_pk_add_f32 v[2:3], v[2:3], v[22:23]
	v_pk_add_f32 v[4:5], v[4:5], v[8:9]
	v_add_f32_e32 v2, v2, v3
	v_add_f32_e32 v2, v2, v4
	;; [unrolled: 1-line block ×4, first 2 shown]
.LBB140_50:                             ;   in Loop: Header=BB140_51 Depth=1
	s_or_b64 exec, exec, s[10:11]
	v_add_u32_e32 v12, 2, v12
	v_cmp_le_i32_e32 vcc, s24, v12
	v_lshl_add_u64 v[18:19], v[18:19], 0, 8
	v_add_u32_e32 v1, 16, v1
	s_or_b64 s[8:9], vcc, s[8:9]
	v_add_u32_e32 v13, 64, v13
	s_andn2_b64 exec, exec, s[8:9]
	s_cbranch_execz .LBB140_186
.LBB140_51:                             ; =>This Inner Loop Header: Depth=1
	v_sub_u32_e32 v3, 0, v1
	v_max_i32_e32 v3, v1, v3
	v_mul_hi_u32 v4, v3, s46
	v_mul_lo_u32 v5, v4, s31
	v_sub_u32_e32 v3, v3, v5
	v_add_u32_e32 v5, 1, v4
	v_cmp_le_u32_e32 vcc, s31, v3
	v_ashrrev_i32_e32 v2, 31, v1
	v_xor_b32_e32 v2, s27, v2
	v_cndmask_b32_e32 v4, v4, v5, vcc
	v_subrev_u32_e32 v5, s31, v3
	v_cndmask_b32_e32 v3, v3, v5, vcc
	v_add_u32_e32 v5, 1, v4
	v_cmp_le_u32_e32 vcc, s31, v3
	s_nop 1
	v_cndmask_b32_e32 v3, v4, v5, vcc
	v_xor_b32_e32 v3, v3, v2
	v_sub_u32_e32 v2, v3, v2
	v_add_u32_e32 v3, s47, v2
	v_sub_u32_e32 v5, 0, v3
	v_ashrrev_i32_e32 v4, 31, v3
	v_max_i32_e32 v3, v3, v5
	v_mul_hi_u32 v5, v3, v21
	v_mul_lo_u32 v5, v5, s7
	v_sub_u32_e32 v3, v3, v5
	v_subrev_u32_e32 v5, s7, v3
	v_cmp_le_u32_e32 vcc, s7, v3
	v_cmp_lt_i32_e64 s[0:1], s5, v2
	s_nop 0
	v_cndmask_b32_e32 v3, v3, v5, vcc
	v_subrev_u32_e32 v5, s7, v3
	v_cmp_le_u32_e32 vcc, s7, v3
	s_nop 1
	v_cndmask_b32_e32 v3, v3, v5, vcc
	v_xor_b32_e32 v3, v3, v4
	v_sub_u32_e32 v3, v3, v4
	v_cmp_eq_u32_e32 vcc, 0, v3
	s_or_b64 s[0:1], vcc, s[0:1]
	s_and_saveexec_b64 s[10:11], s[0:1]
	s_cbranch_execz .LBB140_50
; %bb.52:                               ;   in Loop: Header=BB140_51 Depth=1
	global_load_dword v28, v[18:19], off
	ds_read2_b64 v[6:9], v13 offset1:1
	ds_read2_b64 v[2:5], v13 offset0:2 offset1:3
                                        ; implicit-def: $vgpr35
	s_waitcnt lgkmcnt(1)
	v_and_b32_e32 v22, 0x7f800000, v6
	v_cmp_ne_u32_e32 vcc, s16, v22
	s_and_saveexec_b64 s[0:1], vcc
	s_xor_b64 s[0:1], exec, s[0:1]
; %bb.53:                               ;   in Loop: Header=BB140_51 Depth=1
	v_bfe_u32 v22, v6, 16, 1
	v_add3_u32 v35, v6, v22, s17
; %bb.54:                               ;   in Loop: Header=BB140_51 Depth=1
	s_andn2_saveexec_b64 s[0:1], s[0:1]
; %bb.55:                               ;   in Loop: Header=BB140_51 Depth=1
	v_or_b32_e32 v22, 0x10000, v6
	v_cmp_eq_u32_sdwa vcc, v6, v11 src0_sel:WORD_0 src1_sel:DWORD
	s_nop 1
	v_cndmask_b32_e32 v35, v22, v6, vcc
; %bb.56:                               ;   in Loop: Header=BB140_51 Depth=1
	s_or_b64 exec, exec, s[0:1]
	v_and_b32_e32 v6, 0x7f800000, v7
	v_cmp_ne_u32_e32 vcc, s16, v6
                                        ; implicit-def: $vgpr36
	s_and_saveexec_b64 s[0:1], vcc
	s_xor_b64 s[0:1], exec, s[0:1]
; %bb.57:                               ;   in Loop: Header=BB140_51 Depth=1
	v_bfe_u32 v6, v7, 16, 1
	v_add3_u32 v36, v7, v6, s17
; %bb.58:                               ;   in Loop: Header=BB140_51 Depth=1
	s_andn2_saveexec_b64 s[0:1], s[0:1]
; %bb.59:                               ;   in Loop: Header=BB140_51 Depth=1
	v_or_b32_e32 v6, 0x10000, v7
	v_cmp_eq_u32_sdwa vcc, v7, v11 src0_sel:WORD_0 src1_sel:DWORD
	s_nop 1
	v_cndmask_b32_e32 v36, v6, v7, vcc
; %bb.60:                               ;   in Loop: Header=BB140_51 Depth=1
	s_or_b64 exec, exec, s[0:1]
	v_and_b32_e32 v6, 0x7f800000, v8
	v_cmp_ne_u32_e32 vcc, s16, v6
                                        ; implicit-def: $vgpr22
	s_and_saveexec_b64 s[0:1], vcc
	s_xor_b64 s[0:1], exec, s[0:1]
; %bb.61:                               ;   in Loop: Header=BB140_51 Depth=1
	v_bfe_u32 v6, v8, 16, 1
	v_add3_u32 v22, v8, v6, s17
; %bb.62:                               ;   in Loop: Header=BB140_51 Depth=1
	s_andn2_saveexec_b64 s[0:1], s[0:1]
; %bb.63:                               ;   in Loop: Header=BB140_51 Depth=1
	v_or_b32_e32 v6, 0x10000, v8
	v_cmp_eq_u32_sdwa vcc, v8, v11 src0_sel:WORD_0 src1_sel:DWORD
	s_nop 1
	v_cndmask_b32_e32 v22, v6, v8, vcc
; %bb.64:                               ;   in Loop: Header=BB140_51 Depth=1
	s_or_b64 exec, exec, s[0:1]
	v_and_b32_e32 v6, 0x7f800000, v9
	v_cmp_ne_u32_e32 vcc, s16, v6
                                        ; implicit-def: $vgpr23
	s_and_saveexec_b64 s[0:1], vcc
	s_xor_b64 s[0:1], exec, s[0:1]
; %bb.65:                               ;   in Loop: Header=BB140_51 Depth=1
	v_bfe_u32 v6, v9, 16, 1
	v_add3_u32 v23, v9, v6, s17
                                        ; implicit-def: $vgpr6_vgpr7_vgpr8_vgpr9
; %bb.66:                               ;   in Loop: Header=BB140_51 Depth=1
	s_andn2_saveexec_b64 s[0:1], s[0:1]
; %bb.67:                               ;   in Loop: Header=BB140_51 Depth=1
	v_or_b32_e32 v6, 0x10000, v9
	v_cmp_eq_u32_sdwa vcc, v9, v11 src0_sel:WORD_0 src1_sel:DWORD
	s_nop 1
	v_cndmask_b32_e32 v23, v6, v9, vcc
; %bb.68:                               ;   in Loop: Header=BB140_51 Depth=1
	s_or_b64 exec, exec, s[0:1]
	s_waitcnt lgkmcnt(0)
	v_and_b32_e32 v6, 0x7f800000, v2
	v_cmp_ne_u32_e32 vcc, s16, v6
                                        ; implicit-def: $vgpr24
	s_and_saveexec_b64 s[0:1], vcc
	s_xor_b64 s[0:1], exec, s[0:1]
; %bb.69:                               ;   in Loop: Header=BB140_51 Depth=1
	v_bfe_u32 v6, v2, 16, 1
	v_add3_u32 v24, v2, v6, s17
; %bb.70:                               ;   in Loop: Header=BB140_51 Depth=1
	s_andn2_saveexec_b64 s[0:1], s[0:1]
; %bb.71:                               ;   in Loop: Header=BB140_51 Depth=1
	v_or_b32_e32 v6, 0x10000, v2
	v_cmp_eq_u32_sdwa vcc, v2, v11 src0_sel:WORD_0 src1_sel:DWORD
	s_nop 1
	v_cndmask_b32_e32 v24, v6, v2, vcc
; %bb.72:                               ;   in Loop: Header=BB140_51 Depth=1
	s_or_b64 exec, exec, s[0:1]
	v_and_b32_e32 v2, 0x7f800000, v3
	v_cmp_ne_u32_e32 vcc, s16, v2
                                        ; implicit-def: $vgpr25
	s_and_saveexec_b64 s[0:1], vcc
	s_xor_b64 s[0:1], exec, s[0:1]
; %bb.73:                               ;   in Loop: Header=BB140_51 Depth=1
	v_bfe_u32 v2, v3, 16, 1
	v_add3_u32 v25, v3, v2, s17
; %bb.74:                               ;   in Loop: Header=BB140_51 Depth=1
	s_andn2_saveexec_b64 s[0:1], s[0:1]
; %bb.75:                               ;   in Loop: Header=BB140_51 Depth=1
	v_or_b32_e32 v2, 0x10000, v3
	v_cmp_eq_u32_sdwa vcc, v3, v11 src0_sel:WORD_0 src1_sel:DWORD
	s_nop 1
	v_cndmask_b32_e32 v25, v2, v3, vcc
; %bb.76:                               ;   in Loop: Header=BB140_51 Depth=1
	s_or_b64 exec, exec, s[0:1]
	v_and_b32_e32 v2, 0x7f800000, v4
	v_cmp_ne_u32_e32 vcc, s16, v2
                                        ; implicit-def: $vgpr26
	s_and_saveexec_b64 s[0:1], vcc
	s_xor_b64 s[0:1], exec, s[0:1]
; %bb.77:                               ;   in Loop: Header=BB140_51 Depth=1
	v_bfe_u32 v2, v4, 16, 1
	v_add3_u32 v26, v4, v2, s17
; %bb.78:                               ;   in Loop: Header=BB140_51 Depth=1
	s_andn2_saveexec_b64 s[0:1], s[0:1]
; %bb.79:                               ;   in Loop: Header=BB140_51 Depth=1
	v_or_b32_e32 v2, 0x10000, v4
	v_cmp_eq_u32_sdwa vcc, v4, v11 src0_sel:WORD_0 src1_sel:DWORD
	s_nop 1
	v_cndmask_b32_e32 v26, v2, v4, vcc
; %bb.80:                               ;   in Loop: Header=BB140_51 Depth=1
	s_or_b64 exec, exec, s[0:1]
	v_and_b32_e32 v2, 0x7f800000, v5
	v_cmp_ne_u32_e32 vcc, s16, v2
                                        ; implicit-def: $vgpr27
	s_and_saveexec_b64 s[0:1], vcc
	s_xor_b64 s[0:1], exec, s[0:1]
; %bb.81:                               ;   in Loop: Header=BB140_51 Depth=1
	v_bfe_u32 v2, v5, 16, 1
	v_add3_u32 v27, v5, v2, s17
                                        ; implicit-def: $vgpr2_vgpr3_vgpr4_vgpr5
; %bb.82:                               ;   in Loop: Header=BB140_51 Depth=1
	s_andn2_saveexec_b64 s[0:1], s[0:1]
; %bb.83:                               ;   in Loop: Header=BB140_51 Depth=1
	v_or_b32_e32 v2, 0x10000, v5
	v_cmp_eq_u32_sdwa vcc, v5, v11 src0_sel:WORD_0 src1_sel:DWORD
	s_nop 1
	v_cndmask_b32_e32 v27, v2, v5, vcc
; %bb.84:                               ;   in Loop: Header=BB140_51 Depth=1
	s_or_b64 exec, exec, s[0:1]
	s_waitcnt vmcnt(0)
	v_mad_i64_i32 v[2:3], s[0:1], v28, s14, 0
	v_lshl_add_u64 v[6:7], v[2:3], 1, v[16:17]
	global_load_dwordx4 v[2:5], v[6:7], off
	v_cmp_eq_u32_e32 vcc, s15, v12
	v_add_u32_e32 v34, 1, v1
	v_add_u32_e32 v33, 2, v1
	;; [unrolled: 1-line block ×7, first 2 shown]
	s_waitcnt vmcnt(0)
	v_lshrrev_b32_e32 v9, 16, v2
	v_lshrrev_b32_e32 v39, 16, v3
	;; [unrolled: 1-line block ×4, first 2 shown]
	s_and_saveexec_b64 s[12:13], vcc
	s_cbranch_execz .LBB140_86
; %bb.85:                               ;   in Loop: Header=BB140_51 Depth=1
	v_cmp_gt_i32_e64 s[0:1], s35, v1
	s_nop 1
	v_cndmask_b32_e64 v2, 0, v2, s[0:1]
	v_cmp_gt_i32_e64 s[0:1], s35, v34
	s_nop 1
	v_cndmask_b32_e64 v9, 0, v9, s[0:1]
	;; [unrolled: 3-line block ×8, first 2 shown]
.LBB140_86:                             ;   in Loop: Header=BB140_51 Depth=1
	s_or_b64 exec, exec, s[12:13]
	v_and_b32_e32 v35, 0xffff0000, v35
	v_lshlrev_b32_e32 v2, 16, v2
	v_mul_f32_e32 v2, v35, v2
	v_and_b32_e32 v8, 0x7f800000, v2
	v_cmp_ne_u32_e64 s[0:1], s16, v8
                                        ; implicit-def: $vgpr8
	s_and_saveexec_b64 s[12:13], s[0:1]
	s_xor_b64 s[0:1], exec, s[12:13]
; %bb.87:                               ;   in Loop: Header=BB140_51 Depth=1
	v_bfe_u32 v8, v2, 16, 1
	v_add3_u32 v8, v2, v8, s17
                                        ; implicit-def: $vgpr2
; %bb.88:                               ;   in Loop: Header=BB140_51 Depth=1
	s_andn2_saveexec_b64 s[12:13], s[0:1]
; %bb.89:                               ;   in Loop: Header=BB140_51 Depth=1
	v_or_b32_e32 v8, 0x10000, v2
	v_cmp_eq_u32_sdwa s[0:1], v2, v11 src0_sel:WORD_0 src1_sel:DWORD
	s_nop 1
	v_cndmask_b32_e64 v8, v8, v2, s[0:1]
; %bb.90:                               ;   in Loop: Header=BB140_51 Depth=1
	s_or_b64 exec, exec, s[12:13]
	v_and_b32_e32 v36, 0xffff0000, v36
	v_lshlrev_b32_e32 v2, 16, v9
	v_mul_f32_e32 v2, v36, v2
	v_and_b32_e32 v9, 0x7f800000, v2
	v_cmp_ne_u32_e64 s[0:1], s16, v9
                                        ; implicit-def: $vgpr9
	s_and_saveexec_b64 s[12:13], s[0:1]
	s_xor_b64 s[0:1], exec, s[12:13]
; %bb.91:                               ;   in Loop: Header=BB140_51 Depth=1
	v_bfe_u32 v9, v2, 16, 1
	v_add3_u32 v9, v2, v9, s17
                                        ; implicit-def: $vgpr2
; %bb.92:                               ;   in Loop: Header=BB140_51 Depth=1
	s_andn2_saveexec_b64 s[12:13], s[0:1]
; %bb.93:                               ;   in Loop: Header=BB140_51 Depth=1
	v_or_b32_e32 v9, 0x10000, v2
	v_cmp_eq_u32_sdwa s[0:1], v2, v11 src0_sel:WORD_0 src1_sel:DWORD
	s_nop 1
	v_cndmask_b32_e64 v9, v9, v2, s[0:1]
; %bb.94:                               ;   in Loop: Header=BB140_51 Depth=1
	s_or_b64 exec, exec, s[12:13]
	v_and_b32_e32 v37, 0xffff0000, v22
	v_lshlrev_b32_e32 v2, 16, v3
	v_mul_f32_e32 v2, v37, v2
	v_and_b32_e32 v3, 0x7f800000, v2
	v_cmp_ne_u32_e64 s[0:1], s16, v3
                                        ; implicit-def: $vgpr22
	s_and_saveexec_b64 s[12:13], s[0:1]
	s_xor_b64 s[0:1], exec, s[12:13]
; %bb.95:                               ;   in Loop: Header=BB140_51 Depth=1
	v_bfe_u32 v3, v2, 16, 1
	v_add3_u32 v22, v2, v3, s17
                                        ; implicit-def: $vgpr2
; %bb.96:                               ;   in Loop: Header=BB140_51 Depth=1
	s_andn2_saveexec_b64 s[12:13], s[0:1]
; %bb.97:                               ;   in Loop: Header=BB140_51 Depth=1
	v_or_b32_e32 v3, 0x10000, v2
	v_cmp_eq_u32_sdwa s[0:1], v2, v11 src0_sel:WORD_0 src1_sel:DWORD
	s_nop 1
	v_cndmask_b32_e64 v22, v3, v2, s[0:1]
; %bb.98:                               ;   in Loop: Header=BB140_51 Depth=1
	s_or_b64 exec, exec, s[12:13]
	v_and_b32_e32 v38, 0xffff0000, v23
	v_lshlrev_b32_e32 v2, 16, v39
	v_mul_f32_e32 v2, v38, v2
	v_and_b32_e32 v3, 0x7f800000, v2
	v_cmp_ne_u32_e64 s[0:1], s16, v3
                                        ; implicit-def: $vgpr23
	s_and_saveexec_b64 s[12:13], s[0:1]
	s_xor_b64 s[0:1], exec, s[12:13]
; %bb.99:                               ;   in Loop: Header=BB140_51 Depth=1
	v_bfe_u32 v3, v2, 16, 1
	v_add3_u32 v23, v2, v3, s17
                                        ; implicit-def: $vgpr2
; %bb.100:                              ;   in Loop: Header=BB140_51 Depth=1
	s_andn2_saveexec_b64 s[12:13], s[0:1]
; %bb.101:                              ;   in Loop: Header=BB140_51 Depth=1
	v_or_b32_e32 v3, 0x10000, v2
	v_cmp_eq_u32_sdwa s[0:1], v2, v11 src0_sel:WORD_0 src1_sel:DWORD
	s_nop 1
	v_cndmask_b32_e64 v23, v3, v2, s[0:1]
; %bb.102:                              ;   in Loop: Header=BB140_51 Depth=1
	s_or_b64 exec, exec, s[12:13]
	v_and_b32_e32 v39, 0xffff0000, v24
	v_lshlrev_b32_e32 v2, 16, v4
	v_mul_f32_e32 v2, v39, v2
	v_and_b32_e32 v3, 0x7f800000, v2
	v_cmp_ne_u32_e64 s[0:1], s16, v3
                                        ; implicit-def: $vgpr24
	s_and_saveexec_b64 s[12:13], s[0:1]
	s_xor_b64 s[0:1], exec, s[12:13]
; %bb.103:                              ;   in Loop: Header=BB140_51 Depth=1
	v_bfe_u32 v3, v2, 16, 1
	v_add3_u32 v24, v2, v3, s17
                                        ; implicit-def: $vgpr2
; %bb.104:                              ;   in Loop: Header=BB140_51 Depth=1
	s_andn2_saveexec_b64 s[12:13], s[0:1]
; %bb.105:                              ;   in Loop: Header=BB140_51 Depth=1
	v_or_b32_e32 v3, 0x10000, v2
	v_cmp_eq_u32_sdwa s[0:1], v2, v11 src0_sel:WORD_0 src1_sel:DWORD
	s_nop 1
	v_cndmask_b32_e64 v24, v3, v2, s[0:1]
; %bb.106:                              ;   in Loop: Header=BB140_51 Depth=1
	s_or_b64 exec, exec, s[12:13]
	v_and_b32_e32 v40, 0xffff0000, v25
	v_lshlrev_b32_e32 v2, 16, v41
	v_mul_f32_e32 v2, v40, v2
	v_and_b32_e32 v3, 0x7f800000, v2
	v_cmp_ne_u32_e64 s[0:1], s16, v3
                                        ; implicit-def: $vgpr25
	s_and_saveexec_b64 s[12:13], s[0:1]
	s_xor_b64 s[0:1], exec, s[12:13]
; %bb.107:                              ;   in Loop: Header=BB140_51 Depth=1
	v_bfe_u32 v3, v2, 16, 1
	v_add3_u32 v25, v2, v3, s17
                                        ; implicit-def: $vgpr2
; %bb.108:                              ;   in Loop: Header=BB140_51 Depth=1
	s_andn2_saveexec_b64 s[12:13], s[0:1]
; %bb.109:                              ;   in Loop: Header=BB140_51 Depth=1
	v_or_b32_e32 v3, 0x10000, v2
	v_cmp_eq_u32_sdwa s[0:1], v2, v11 src0_sel:WORD_0 src1_sel:DWORD
	s_nop 1
	v_cndmask_b32_e64 v25, v3, v2, s[0:1]
; %bb.110:                              ;   in Loop: Header=BB140_51 Depth=1
	s_or_b64 exec, exec, s[12:13]
	v_and_b32_e32 v41, 0xffff0000, v26
	v_lshlrev_b32_e32 v2, 16, v5
	v_mul_f32_e32 v2, v41, v2
	v_and_b32_e32 v3, 0x7f800000, v2
	v_cmp_ne_u32_e64 s[0:1], s16, v3
                                        ; implicit-def: $vgpr26
	s_and_saveexec_b64 s[12:13], s[0:1]
	s_xor_b64 s[0:1], exec, s[12:13]
; %bb.111:                              ;   in Loop: Header=BB140_51 Depth=1
	v_bfe_u32 v3, v2, 16, 1
	v_add3_u32 v26, v2, v3, s17
                                        ; implicit-def: $vgpr2
; %bb.112:                              ;   in Loop: Header=BB140_51 Depth=1
	s_andn2_saveexec_b64 s[12:13], s[0:1]
; %bb.113:                              ;   in Loop: Header=BB140_51 Depth=1
	v_or_b32_e32 v3, 0x10000, v2
	v_cmp_eq_u32_sdwa s[0:1], v2, v11 src0_sel:WORD_0 src1_sel:DWORD
	s_nop 1
	v_cndmask_b32_e64 v26, v3, v2, s[0:1]
; %bb.114:                              ;   in Loop: Header=BB140_51 Depth=1
	s_or_b64 exec, exec, s[12:13]
	v_and_b32_e32 v42, 0xffff0000, v27
	v_lshlrev_b32_e32 v2, 16, v43
	v_mul_f32_e32 v2, v42, v2
	v_and_b32_e32 v3, 0x7f800000, v2
	v_cmp_ne_u32_e64 s[0:1], s16, v3
                                        ; implicit-def: $vgpr27
	s_and_saveexec_b64 s[12:13], s[0:1]
	s_xor_b64 s[0:1], exec, s[12:13]
; %bb.115:                              ;   in Loop: Header=BB140_51 Depth=1
	v_bfe_u32 v3, v2, 16, 1
	v_add3_u32 v27, v2, v3, s17
                                        ; implicit-def: $vgpr2
; %bb.116:                              ;   in Loop: Header=BB140_51 Depth=1
	s_andn2_saveexec_b64 s[12:13], s[0:1]
; %bb.117:                              ;   in Loop: Header=BB140_51 Depth=1
	v_or_b32_e32 v3, 0x10000, v2
	v_cmp_eq_u32_sdwa s[0:1], v2, v11 src0_sel:WORD_0 src1_sel:DWORD
	s_nop 1
	v_cndmask_b32_e64 v27, v3, v2, s[0:1]
; %bb.118:                              ;   in Loop: Header=BB140_51 Depth=1
	s_or_b64 exec, exec, s[12:13]
	global_load_dwordx4 v[2:5], v[6:7], off offset:1024
	s_waitcnt vmcnt(0)
	v_lshrrev_b32_e32 v44, 16, v2
	v_lshrrev_b32_e32 v46, 16, v3
	;; [unrolled: 1-line block ×4, first 2 shown]
	s_and_saveexec_b64 s[12:13], vcc
	s_cbranch_execz .LBB140_120
; %bb.119:                              ;   in Loop: Header=BB140_51 Depth=1
	v_cmp_gt_i32_e64 s[0:1], s35, v1
	s_nop 1
	v_cndmask_b32_e64 v2, 0, v2, s[0:1]
	v_cmp_gt_i32_e64 s[0:1], s35, v34
	s_nop 1
	v_cndmask_b32_e64 v44, 0, v44, s[0:1]
	;; [unrolled: 3-line block ×8, first 2 shown]
.LBB140_120:                            ;   in Loop: Header=BB140_51 Depth=1
	s_or_b64 exec, exec, s[12:13]
	v_lshlrev_b32_e32 v2, 16, v2
	v_mul_f32_e32 v2, v35, v2
	v_and_b32_e32 v43, 0x7f800000, v2
	v_cmp_ne_u32_e64 s[0:1], s16, v43
                                        ; implicit-def: $vgpr43
	s_and_saveexec_b64 s[12:13], s[0:1]
	s_xor_b64 s[0:1], exec, s[12:13]
; %bb.121:                              ;   in Loop: Header=BB140_51 Depth=1
	v_bfe_u32 v43, v2, 16, 1
	v_add3_u32 v43, v2, v43, s17
                                        ; implicit-def: $vgpr2
; %bb.122:                              ;   in Loop: Header=BB140_51 Depth=1
	s_andn2_saveexec_b64 s[12:13], s[0:1]
; %bb.123:                              ;   in Loop: Header=BB140_51 Depth=1
	v_or_b32_e32 v43, 0x10000, v2
	v_cmp_eq_u32_sdwa s[0:1], v2, v11 src0_sel:WORD_0 src1_sel:DWORD
	s_nop 1
	v_cndmask_b32_e64 v43, v43, v2, s[0:1]
; %bb.124:                              ;   in Loop: Header=BB140_51 Depth=1
	s_or_b64 exec, exec, s[12:13]
	v_lshlrev_b32_e32 v2, 16, v44
	v_mul_f32_e32 v2, v36, v2
	v_and_b32_e32 v44, 0x7f800000, v2
	v_cmp_ne_u32_e64 s[0:1], s16, v44
                                        ; implicit-def: $vgpr44
	s_and_saveexec_b64 s[12:13], s[0:1]
	s_xor_b64 s[0:1], exec, s[12:13]
; %bb.125:                              ;   in Loop: Header=BB140_51 Depth=1
	v_bfe_u32 v44, v2, 16, 1
	v_add3_u32 v44, v2, v44, s17
                                        ; implicit-def: $vgpr2
; %bb.126:                              ;   in Loop: Header=BB140_51 Depth=1
	s_andn2_saveexec_b64 s[12:13], s[0:1]
; %bb.127:                              ;   in Loop: Header=BB140_51 Depth=1
	v_or_b32_e32 v44, 0x10000, v2
	v_cmp_eq_u32_sdwa s[0:1], v2, v11 src0_sel:WORD_0 src1_sel:DWORD
	s_nop 1
	v_cndmask_b32_e64 v44, v44, v2, s[0:1]
; %bb.128:                              ;   in Loop: Header=BB140_51 Depth=1
	s_or_b64 exec, exec, s[12:13]
	v_lshlrev_b32_e32 v2, 16, v3
	v_mul_f32_e32 v2, v37, v2
	v_and_b32_e32 v3, 0x7f800000, v2
	v_cmp_ne_u32_e64 s[0:1], s16, v3
                                        ; implicit-def: $vgpr45
	s_and_saveexec_b64 s[12:13], s[0:1]
	s_xor_b64 s[0:1], exec, s[12:13]
; %bb.129:                              ;   in Loop: Header=BB140_51 Depth=1
	v_bfe_u32 v3, v2, 16, 1
	v_add3_u32 v45, v2, v3, s17
                                        ; implicit-def: $vgpr2
; %bb.130:                              ;   in Loop: Header=BB140_51 Depth=1
	s_andn2_saveexec_b64 s[12:13], s[0:1]
; %bb.131:                              ;   in Loop: Header=BB140_51 Depth=1
	v_or_b32_e32 v3, 0x10000, v2
	v_cmp_eq_u32_sdwa s[0:1], v2, v11 src0_sel:WORD_0 src1_sel:DWORD
	s_nop 1
	v_cndmask_b32_e64 v45, v3, v2, s[0:1]
; %bb.132:                              ;   in Loop: Header=BB140_51 Depth=1
	s_or_b64 exec, exec, s[12:13]
	v_lshlrev_b32_e32 v2, 16, v46
	v_mul_f32_e32 v2, v38, v2
	v_and_b32_e32 v3, 0x7f800000, v2
	v_cmp_ne_u32_e64 s[0:1], s16, v3
                                        ; implicit-def: $vgpr46
	s_and_saveexec_b64 s[12:13], s[0:1]
	s_xor_b64 s[0:1], exec, s[12:13]
; %bb.133:                              ;   in Loop: Header=BB140_51 Depth=1
	v_bfe_u32 v3, v2, 16, 1
	v_add3_u32 v46, v2, v3, s17
                                        ; implicit-def: $vgpr2
; %bb.134:                              ;   in Loop: Header=BB140_51 Depth=1
	s_andn2_saveexec_b64 s[12:13], s[0:1]
; %bb.135:                              ;   in Loop: Header=BB140_51 Depth=1
	v_or_b32_e32 v3, 0x10000, v2
	v_cmp_eq_u32_sdwa s[0:1], v2, v11 src0_sel:WORD_0 src1_sel:DWORD
	s_nop 1
	v_cndmask_b32_e64 v46, v3, v2, s[0:1]
; %bb.136:                              ;   in Loop: Header=BB140_51 Depth=1
	s_or_b64 exec, exec, s[12:13]
	v_lshlrev_b32_e32 v2, 16, v4
	v_mul_f32_e32 v2, v39, v2
	v_and_b32_e32 v3, 0x7f800000, v2
	v_cmp_ne_u32_e64 s[0:1], s16, v3
                                        ; implicit-def: $vgpr47
	s_and_saveexec_b64 s[12:13], s[0:1]
	s_xor_b64 s[0:1], exec, s[12:13]
; %bb.137:                              ;   in Loop: Header=BB140_51 Depth=1
	v_bfe_u32 v3, v2, 16, 1
	v_add3_u32 v47, v2, v3, s17
                                        ; implicit-def: $vgpr2
; %bb.138:                              ;   in Loop: Header=BB140_51 Depth=1
	s_andn2_saveexec_b64 s[12:13], s[0:1]
; %bb.139:                              ;   in Loop: Header=BB140_51 Depth=1
	v_or_b32_e32 v3, 0x10000, v2
	v_cmp_eq_u32_sdwa s[0:1], v2, v11 src0_sel:WORD_0 src1_sel:DWORD
	s_nop 1
	v_cndmask_b32_e64 v47, v3, v2, s[0:1]
; %bb.140:                              ;   in Loop: Header=BB140_51 Depth=1
	s_or_b64 exec, exec, s[12:13]
	v_lshlrev_b32_e32 v2, 16, v48
	v_mul_f32_e32 v2, v40, v2
	v_and_b32_e32 v3, 0x7f800000, v2
	v_cmp_ne_u32_e64 s[0:1], s16, v3
                                        ; implicit-def: $vgpr48
	s_and_saveexec_b64 s[12:13], s[0:1]
	s_xor_b64 s[0:1], exec, s[12:13]
; %bb.141:                              ;   in Loop: Header=BB140_51 Depth=1
	v_bfe_u32 v3, v2, 16, 1
	v_add3_u32 v48, v2, v3, s17
                                        ; implicit-def: $vgpr2
; %bb.142:                              ;   in Loop: Header=BB140_51 Depth=1
	s_andn2_saveexec_b64 s[12:13], s[0:1]
; %bb.143:                              ;   in Loop: Header=BB140_51 Depth=1
	v_or_b32_e32 v3, 0x10000, v2
	v_cmp_eq_u32_sdwa s[0:1], v2, v11 src0_sel:WORD_0 src1_sel:DWORD
	s_nop 1
	v_cndmask_b32_e64 v48, v3, v2, s[0:1]
; %bb.144:                              ;   in Loop: Header=BB140_51 Depth=1
	s_or_b64 exec, exec, s[12:13]
	v_lshlrev_b32_e32 v2, 16, v5
	v_mul_f32_e32 v2, v41, v2
	v_and_b32_e32 v3, 0x7f800000, v2
	v_cmp_ne_u32_e64 s[0:1], s16, v3
                                        ; implicit-def: $vgpr49
	s_and_saveexec_b64 s[12:13], s[0:1]
	s_xor_b64 s[0:1], exec, s[12:13]
; %bb.145:                              ;   in Loop: Header=BB140_51 Depth=1
	v_bfe_u32 v3, v2, 16, 1
	v_add3_u32 v49, v2, v3, s17
                                        ; implicit-def: $vgpr2
; %bb.146:                              ;   in Loop: Header=BB140_51 Depth=1
	s_andn2_saveexec_b64 s[12:13], s[0:1]
; %bb.147:                              ;   in Loop: Header=BB140_51 Depth=1
	v_or_b32_e32 v3, 0x10000, v2
	v_cmp_eq_u32_sdwa s[0:1], v2, v11 src0_sel:WORD_0 src1_sel:DWORD
	s_nop 1
	v_cndmask_b32_e64 v49, v3, v2, s[0:1]
; %bb.148:                              ;   in Loop: Header=BB140_51 Depth=1
	s_or_b64 exec, exec, s[12:13]
	v_lshlrev_b32_e32 v2, 16, v50
	v_mul_f32_e32 v2, v42, v2
	v_and_b32_e32 v3, 0x7f800000, v2
	v_cmp_ne_u32_e64 s[0:1], s16, v3
                                        ; implicit-def: $vgpr50
	s_and_saveexec_b64 s[12:13], s[0:1]
	s_xor_b64 s[0:1], exec, s[12:13]
; %bb.149:                              ;   in Loop: Header=BB140_51 Depth=1
	v_bfe_u32 v3, v2, 16, 1
	v_add3_u32 v50, v2, v3, s17
                                        ; implicit-def: $vgpr2
; %bb.150:                              ;   in Loop: Header=BB140_51 Depth=1
	s_andn2_saveexec_b64 s[12:13], s[0:1]
; %bb.151:                              ;   in Loop: Header=BB140_51 Depth=1
	v_or_b32_e32 v3, 0x10000, v2
	v_cmp_eq_u32_sdwa s[0:1], v2, v11 src0_sel:WORD_0 src1_sel:DWORD
	s_nop 1
	v_cndmask_b32_e64 v50, v3, v2, s[0:1]
; %bb.152:                              ;   in Loop: Header=BB140_51 Depth=1
	s_or_b64 exec, exec, s[12:13]
	global_load_dwordx4 v[2:5], v[6:7], off offset:2048
	s_waitcnt vmcnt(0)
	v_lshrrev_b32_e32 v7, 16, v2
	v_lshrrev_b32_e32 v52, 16, v3
	;; [unrolled: 1-line block ×4, first 2 shown]
	s_and_saveexec_b64 s[0:1], vcc
	s_cbranch_execz .LBB140_154
; %bb.153:                              ;   in Loop: Header=BB140_51 Depth=1
	v_cmp_gt_i32_e32 vcc, s35, v1
	s_nop 1
	v_cndmask_b32_e32 v2, 0, v2, vcc
	v_cmp_gt_i32_e32 vcc, s35, v34
	s_nop 1
	v_cndmask_b32_e32 v7, 0, v7, vcc
	;; [unrolled: 3-line block ×8, first 2 shown]
.LBB140_154:                            ;   in Loop: Header=BB140_51 Depth=1
	s_or_b64 exec, exec, s[0:1]
	v_lshlrev_b32_e32 v2, 16, v2
	v_mul_f32_e32 v28, v35, v2
	v_and_b32_e32 v2, 0x7f800000, v28
	v_cmp_ne_u32_e32 vcc, s16, v2
                                        ; implicit-def: $vgpr2
	s_and_saveexec_b64 s[0:1], vcc
	s_xor_b64 s[0:1], exec, s[0:1]
; %bb.155:                              ;   in Loop: Header=BB140_51 Depth=1
	v_bfe_u32 v2, v28, 16, 1
	v_add3_u32 v2, v28, v2, s17
                                        ; implicit-def: $vgpr28
; %bb.156:                              ;   in Loop: Header=BB140_51 Depth=1
	s_andn2_saveexec_b64 s[0:1], s[0:1]
; %bb.157:                              ;   in Loop: Header=BB140_51 Depth=1
	v_or_b32_e32 v2, 0x10000, v28
	v_cmp_eq_u32_sdwa vcc, v28, v11 src0_sel:WORD_0 src1_sel:DWORD
	s_nop 1
	v_cndmask_b32_e32 v2, v2, v28, vcc
; %bb.158:                              ;   in Loop: Header=BB140_51 Depth=1
	s_or_b64 exec, exec, s[0:1]
	v_lshlrev_b32_e32 v7, 16, v7
	v_mul_f32_e32 v28, v36, v7
	v_and_b32_e32 v7, 0x7f800000, v28
	v_cmp_ne_u32_e32 vcc, s16, v7
                                        ; implicit-def: $vgpr7
	s_and_saveexec_b64 s[0:1], vcc
	s_xor_b64 s[0:1], exec, s[0:1]
; %bb.159:                              ;   in Loop: Header=BB140_51 Depth=1
	v_bfe_u32 v7, v28, 16, 1
	v_add3_u32 v7, v28, v7, s17
                                        ; implicit-def: $vgpr28
; %bb.160:                              ;   in Loop: Header=BB140_51 Depth=1
	s_andn2_saveexec_b64 s[0:1], s[0:1]
; %bb.161:                              ;   in Loop: Header=BB140_51 Depth=1
	v_or_b32_e32 v7, 0x10000, v28
	v_cmp_eq_u32_sdwa vcc, v28, v11 src0_sel:WORD_0 src1_sel:DWORD
	s_nop 1
	v_cndmask_b32_e32 v7, v7, v28, vcc
; %bb.162:                              ;   in Loop: Header=BB140_51 Depth=1
	s_or_b64 exec, exec, s[0:1]
	v_lshlrev_b32_e32 v3, 16, v3
	v_mul_f32_e32 v28, v37, v3
	v_and_b32_e32 v3, 0x7f800000, v28
	v_cmp_ne_u32_e32 vcc, s16, v3
                                        ; implicit-def: $vgpr3
	s_and_saveexec_b64 s[0:1], vcc
	s_xor_b64 s[0:1], exec, s[0:1]
; %bb.163:                              ;   in Loop: Header=BB140_51 Depth=1
	v_bfe_u32 v3, v28, 16, 1
	v_add3_u32 v3, v28, v3, s17
                                        ; implicit-def: $vgpr28
; %bb.164:                              ;   in Loop: Header=BB140_51 Depth=1
	s_andn2_saveexec_b64 s[0:1], s[0:1]
; %bb.165:                              ;   in Loop: Header=BB140_51 Depth=1
	v_or_b32_e32 v3, 0x10000, v28
	v_cmp_eq_u32_sdwa vcc, v28, v11 src0_sel:WORD_0 src1_sel:DWORD
	s_nop 1
	v_cndmask_b32_e32 v3, v3, v28, vcc
; %bb.166:                              ;   in Loop: Header=BB140_51 Depth=1
	s_or_b64 exec, exec, s[0:1]
	v_lshlrev_b32_e32 v28, 16, v52
	v_mul_f32_e32 v29, v38, v28
	v_and_b32_e32 v28, 0x7f800000, v29
	v_cmp_ne_u32_e32 vcc, s16, v28
                                        ; implicit-def: $vgpr28
	s_and_saveexec_b64 s[0:1], vcc
	s_xor_b64 s[0:1], exec, s[0:1]
; %bb.167:                              ;   in Loop: Header=BB140_51 Depth=1
	v_bfe_u32 v28, v29, 16, 1
	v_add3_u32 v28, v29, v28, s17
                                        ; implicit-def: $vgpr29
; %bb.168:                              ;   in Loop: Header=BB140_51 Depth=1
	s_andn2_saveexec_b64 s[0:1], s[0:1]
; %bb.169:                              ;   in Loop: Header=BB140_51 Depth=1
	v_or_b32_e32 v28, 0x10000, v29
	v_cmp_eq_u32_sdwa vcc, v29, v11 src0_sel:WORD_0 src1_sel:DWORD
	s_nop 1
	v_cndmask_b32_e32 v28, v28, v29, vcc
; %bb.170:                              ;   in Loop: Header=BB140_51 Depth=1
	s_or_b64 exec, exec, s[0:1]
	v_lshlrev_b32_e32 v4, 16, v4
	v_mul_f32_e32 v29, v39, v4
	v_and_b32_e32 v4, 0x7f800000, v29
	v_cmp_ne_u32_e32 vcc, s16, v4
                                        ; implicit-def: $vgpr4
	s_and_saveexec_b64 s[0:1], vcc
	s_xor_b64 s[0:1], exec, s[0:1]
; %bb.171:                              ;   in Loop: Header=BB140_51 Depth=1
	v_bfe_u32 v4, v29, 16, 1
	v_add3_u32 v4, v29, v4, s17
                                        ; implicit-def: $vgpr29
; %bb.172:                              ;   in Loop: Header=BB140_51 Depth=1
	s_andn2_saveexec_b64 s[0:1], s[0:1]
; %bb.173:                              ;   in Loop: Header=BB140_51 Depth=1
	v_or_b32_e32 v4, 0x10000, v29
	v_cmp_eq_u32_sdwa vcc, v29, v11 src0_sel:WORD_0 src1_sel:DWORD
	s_nop 1
	v_cndmask_b32_e32 v4, v4, v29, vcc
; %bb.174:                              ;   in Loop: Header=BB140_51 Depth=1
	s_or_b64 exec, exec, s[0:1]
	v_lshlrev_b32_e32 v29, 16, v51
	v_mul_f32_e32 v30, v40, v29
	v_and_b32_e32 v29, 0x7f800000, v30
	v_cmp_ne_u32_e32 vcc, s16, v29
                                        ; implicit-def: $vgpr29
	s_and_saveexec_b64 s[0:1], vcc
	s_xor_b64 s[0:1], exec, s[0:1]
; %bb.175:                              ;   in Loop: Header=BB140_51 Depth=1
	v_bfe_u32 v29, v30, 16, 1
	v_add3_u32 v29, v30, v29, s17
                                        ; implicit-def: $vgpr30
; %bb.176:                              ;   in Loop: Header=BB140_51 Depth=1
	s_andn2_saveexec_b64 s[0:1], s[0:1]
; %bb.177:                              ;   in Loop: Header=BB140_51 Depth=1
	v_or_b32_e32 v29, 0x10000, v30
	v_cmp_eq_u32_sdwa vcc, v30, v11 src0_sel:WORD_0 src1_sel:DWORD
	s_nop 1
	v_cndmask_b32_e32 v29, v29, v30, vcc
; %bb.178:                              ;   in Loop: Header=BB140_51 Depth=1
	s_or_b64 exec, exec, s[0:1]
	v_lshlrev_b32_e32 v5, 16, v5
	v_mul_f32_e32 v30, v41, v5
	v_and_b32_e32 v5, 0x7f800000, v30
	v_cmp_ne_u32_e32 vcc, s16, v5
                                        ; implicit-def: $vgpr5
	s_and_saveexec_b64 s[0:1], vcc
	s_xor_b64 s[0:1], exec, s[0:1]
; %bb.179:                              ;   in Loop: Header=BB140_51 Depth=1
	v_bfe_u32 v5, v30, 16, 1
	v_add3_u32 v5, v30, v5, s17
                                        ; implicit-def: $vgpr30
; %bb.180:                              ;   in Loop: Header=BB140_51 Depth=1
	s_andn2_saveexec_b64 s[0:1], s[0:1]
; %bb.181:                              ;   in Loop: Header=BB140_51 Depth=1
	v_or_b32_e32 v5, 0x10000, v30
	v_cmp_eq_u32_sdwa vcc, v30, v11 src0_sel:WORD_0 src1_sel:DWORD
	s_nop 1
	v_cndmask_b32_e32 v5, v5, v30, vcc
; %bb.182:                              ;   in Loop: Header=BB140_51 Depth=1
	s_or_b64 exec, exec, s[0:1]
	v_lshlrev_b32_e32 v6, 16, v6
	v_mul_f32_e32 v30, v42, v6
	v_and_b32_e32 v6, 0x7f800000, v30
	v_cmp_ne_u32_e32 vcc, s16, v6
                                        ; implicit-def: $vgpr6
	s_and_saveexec_b64 s[0:1], vcc
	s_xor_b64 s[0:1], exec, s[0:1]
; %bb.183:                              ;   in Loop: Header=BB140_51 Depth=1
	v_bfe_u32 v6, v30, 16, 1
	v_add3_u32 v6, v30, v6, s17
                                        ; implicit-def: $vgpr30
; %bb.184:                              ;   in Loop: Header=BB140_51 Depth=1
	s_andn2_saveexec_b64 s[0:1], s[0:1]
	s_cbranch_execz .LBB140_49
; %bb.185:                              ;   in Loop: Header=BB140_51 Depth=1
	v_or_b32_e32 v6, 0x10000, v30
	v_cmp_eq_u32_sdwa vcc, v30, v11 src0_sel:WORD_0 src1_sel:DWORD
	s_nop 1
	v_cndmask_b32_e32 v6, v6, v30, vcc
	s_branch .LBB140_49
.LBB140_186:
	s_or_b64 exec, exec, s[8:9]
.LBB140_187:
	s_or_b64 exec, exec, s[2:3]
	v_and_b32_e32 v1, 0x3c0, v0
	v_cmp_eq_u32_e32 vcc, 64, v1
	s_barrier
	s_and_saveexec_b64 s[0:1], vcc
	s_cbranch_execz .LBB140_189
; %bb.188:
	v_mov_b32_e32 v1, 0x190
	v_lshl_add_u32 v2, v20, 2, v1
	v_lshl_add_u32 v1, v0, 2, v1
	ds_write_b32 v2, v14
	ds_write_b32 v1, v15
	ds_write_b32 v2, v10 offset:512
.LBB140_189:
	s_or_b64 exec, exec, s[0:1]
	v_cmp_gt_u32_e32 vcc, 64, v0
	s_waitcnt lgkmcnt(0)
	s_barrier
	s_and_saveexec_b64 s[0:1], vcc
	s_cbranch_execz .LBB140_191
; %bb.190:
	v_mov_b32_e32 v1, 0x190
	v_lshl_add_u32 v1, v0, 2, v1
	ds_read2st64_b32 v[2:3], v1 offset1:1
	ds_read_b32 v1, v1 offset:512
	s_waitcnt lgkmcnt(1)
	v_pk_add_f32 v[14:15], v[14:15], v[2:3]
	s_waitcnt lgkmcnt(0)
	v_add_f32_e32 v10, v10, v1
.LBB140_191:
	s_or_b64 exec, exec, s[0:1]
	s_barrier
	s_and_saveexec_b64 s[0:1], vcc
	s_cbranch_execz .LBB140_205
; %bb.192:
	s_mov_b32 s0, 0x7f800000
	v_and_b32_e32 v1, 0x7f800000, v14
	v_cmp_ne_u32_e32 vcc, s0, v1
                                        ; implicit-def: $vgpr2
	s_and_saveexec_b64 s[0:1], vcc
	s_xor_b64 s[0:1], exec, s[0:1]
; %bb.193:
	v_bfe_u32 v1, v14, 16, 1
	s_movk_i32 s2, 0x7fff
	v_add3_u32 v2, v14, v1, s2
; %bb.194:
	s_andn2_saveexec_b64 s[0:1], s[0:1]
; %bb.195:
	v_mov_b32_e32 v1, 0
	v_or_b32_e32 v2, 0x10000, v14
	v_cmp_eq_u32_sdwa vcc, v14, v1 src0_sel:WORD_0 src1_sel:DWORD
	s_nop 1
	v_cndmask_b32_e32 v2, v2, v14, vcc
; %bb.196:
	s_or_b64 exec, exec, s[0:1]
	s_mul_i32 s0, s6, 0xc0
	s_ashr_i32 s1, s0, 31
	s_lshl_b64 s[0:1], s[0:1], 1
	s_add_u32 s2, s28, s0
	s_mul_i32 s0, s33, s30
	s_addc_u32 s3, s29, s1
	s_ashr_i32 s1, s0, 31
	s_lshl_b64 s[0:1], s[0:1], 1
	s_add_u32 s2, s2, s0
	s_mul_i32 s0, s4, 0xc0
	s_addc_u32 s3, s3, s1
	s_ashr_i32 s1, s0, 31
	s_lshl_b64 s[0:1], s[0:1], 1
	s_add_u32 s0, s2, s0
	s_addc_u32 s1, s3, s1
	v_lshlrev_b32_e32 v0, 1, v0
	global_store_short_d16_hi v0, v2, s[0:1]
	s_mov_b32 s2, 0x7f800000
	v_and_b32_e32 v2, 0x7f800000, v15
	v_mov_b32_e32 v1, 0
	v_cmp_ne_u32_e32 vcc, s2, v2
                                        ; implicit-def: $vgpr2
	s_and_saveexec_b64 s[2:3], vcc
	s_xor_b64 s[2:3], exec, s[2:3]
; %bb.197:
	v_bfe_u32 v2, v15, 16, 1
	s_movk_i32 s4, 0x7fff
	v_add3_u32 v2, v15, v2, s4
; %bb.198:
	s_or_saveexec_b64 s[2:3], s[2:3]
	v_lshl_add_u64 v[0:1], s[0:1], 0, v[0:1]
	s_xor_b64 exec, exec, s[2:3]
; %bb.199:
	v_mov_b32_e32 v2, 0
	v_or_b32_e32 v3, 0x10000, v15
	v_cmp_eq_u32_sdwa vcc, v15, v2 src0_sel:WORD_0 src1_sel:DWORD
	s_nop 1
	v_cndmask_b32_e32 v2, v3, v15, vcc
; %bb.200:
	s_or_b64 exec, exec, s[2:3]
	global_store_short_d16_hi v[0:1], v2, off offset:128
	s_mov_b32 s0, 0x7f800000
	v_and_b32_e32 v2, 0x7f800000, v10
	v_cmp_ne_u32_e32 vcc, s0, v2
                                        ; implicit-def: $vgpr2
	s_and_saveexec_b64 s[0:1], vcc
	s_xor_b64 s[0:1], exec, s[0:1]
; %bb.201:
	v_bfe_u32 v2, v10, 16, 1
	s_movk_i32 s2, 0x7fff
	v_add3_u32 v2, v10, v2, s2
                                        ; implicit-def: $vgpr8_vgpr9_vgpr10
; %bb.202:
	s_andn2_saveexec_b64 s[0:1], s[0:1]
; %bb.203:
	v_mov_b32_e32 v2, 0
	v_or_b32_e32 v3, 0x10000, v10
	v_cmp_eq_u32_sdwa vcc, v10, v2 src0_sel:WORD_0 src1_sel:DWORD
	s_nop 1
	v_cndmask_b32_e32 v2, v3, v10, vcc
; %bb.204:
	s_or_b64 exec, exec, s[0:1]
	global_store_short_d16_hi v[0:1], v2, off offset:256
.LBB140_205:
	s_endpgm
	.section	.rodata,"a",@progbits
	.p2align	6, 0x0
	.amdhsa_kernel _ZN4vllm25paged_attention_v2_kernelI14__hip_bfloat16S1_Li192ELi8ELi128ELNS_18Fp8KVCacheDataTypeE0ELb1ELi512EEEvPfS3_PT_PKS4_PKT0_SA_ifPKiSC_iPKfiiiSE_SE_iiiii
		.amdhsa_group_segment_fixed_size 400
		.amdhsa_private_segment_fixed_size 0
		.amdhsa_kernarg_size 400
		.amdhsa_user_sgpr_count 2
		.amdhsa_user_sgpr_dispatch_ptr 0
		.amdhsa_user_sgpr_queue_ptr 0
		.amdhsa_user_sgpr_kernarg_segment_ptr 1
		.amdhsa_user_sgpr_dispatch_id 0
		.amdhsa_user_sgpr_kernarg_preload_length 0
		.amdhsa_user_sgpr_kernarg_preload_offset 0
		.amdhsa_user_sgpr_private_segment_size 0
		.amdhsa_uses_dynamic_stack 0
		.amdhsa_enable_private_segment 0
		.amdhsa_system_sgpr_workgroup_id_x 1
		.amdhsa_system_sgpr_workgroup_id_y 1
		.amdhsa_system_sgpr_workgroup_id_z 1
		.amdhsa_system_sgpr_workgroup_info 0
		.amdhsa_system_vgpr_workitem_id 0
		.amdhsa_next_free_vgpr 73
		.amdhsa_next_free_sgpr 52
		.amdhsa_accum_offset 76
		.amdhsa_reserve_vcc 1
		.amdhsa_float_round_mode_32 0
		.amdhsa_float_round_mode_16_64 0
		.amdhsa_float_denorm_mode_32 3
		.amdhsa_float_denorm_mode_16_64 3
		.amdhsa_dx10_clamp 1
		.amdhsa_ieee_mode 1
		.amdhsa_fp16_overflow 0
		.amdhsa_tg_split 0
		.amdhsa_exception_fp_ieee_invalid_op 0
		.amdhsa_exception_fp_denorm_src 0
		.amdhsa_exception_fp_ieee_div_zero 0
		.amdhsa_exception_fp_ieee_overflow 0
		.amdhsa_exception_fp_ieee_underflow 0
		.amdhsa_exception_fp_ieee_inexact 0
		.amdhsa_exception_int_div_zero 0
	.end_amdhsa_kernel
	.section	.text._ZN4vllm25paged_attention_v2_kernelI14__hip_bfloat16S1_Li192ELi8ELi128ELNS_18Fp8KVCacheDataTypeE0ELb1ELi512EEEvPfS3_PT_PKS4_PKT0_SA_ifPKiSC_iPKfiiiSE_SE_iiiii,"axG",@progbits,_ZN4vllm25paged_attention_v2_kernelI14__hip_bfloat16S1_Li192ELi8ELi128ELNS_18Fp8KVCacheDataTypeE0ELb1ELi512EEEvPfS3_PT_PKS4_PKT0_SA_ifPKiSC_iPKfiiiSE_SE_iiiii,comdat
.Lfunc_end140:
	.size	_ZN4vllm25paged_attention_v2_kernelI14__hip_bfloat16S1_Li192ELi8ELi128ELNS_18Fp8KVCacheDataTypeE0ELb1ELi512EEEvPfS3_PT_PKS4_PKT0_SA_ifPKiSC_iPKfiiiSE_SE_iiiii, .Lfunc_end140-_ZN4vllm25paged_attention_v2_kernelI14__hip_bfloat16S1_Li192ELi8ELi128ELNS_18Fp8KVCacheDataTypeE0ELb1ELi512EEEvPfS3_PT_PKS4_PKT0_SA_ifPKiSC_iPKfiiiSE_SE_iiiii
                                        ; -- End function
	.section	.AMDGPU.csdata,"",@progbits
; Kernel info:
; codeLenInByte = 8200
; NumSgprs: 58
; NumVgprs: 73
; NumAgprs: 0
; TotalNumVgprs: 73
; ScratchSize: 0
; MemoryBound: 0
; FloatMode: 240
; IeeeMode: 1
; LDSByteSize: 400 bytes/workgroup (compile time only)
; SGPRBlocks: 7
; VGPRBlocks: 9
; NumSGPRsForWavesPerEU: 58
; NumVGPRsForWavesPerEU: 73
; AccumOffset: 76
; Occupancy: 6
; WaveLimiterHint : 1
; COMPUTE_PGM_RSRC2:SCRATCH_EN: 0
; COMPUTE_PGM_RSRC2:USER_SGPR: 2
; COMPUTE_PGM_RSRC2:TRAP_HANDLER: 0
; COMPUTE_PGM_RSRC2:TGID_X_EN: 1
; COMPUTE_PGM_RSRC2:TGID_Y_EN: 1
; COMPUTE_PGM_RSRC2:TGID_Z_EN: 1
; COMPUTE_PGM_RSRC2:TIDIG_COMP_CNT: 0
; COMPUTE_PGM_RSRC3_GFX90A:ACCUM_OFFSET: 18
; COMPUTE_PGM_RSRC3_GFX90A:TG_SPLIT: 0
	.section	.text._ZN4vllm32paged_attention_v2_reduce_kernelI14__hip_bfloat16Li192ELi128ELi512EEEvPT_PKfS5_PKS2_PKii,"axG",@progbits,_ZN4vllm32paged_attention_v2_reduce_kernelI14__hip_bfloat16Li192ELi128ELi512EEEvPT_PKfS5_PKS2_PKii,comdat
	.protected	_ZN4vllm32paged_attention_v2_reduce_kernelI14__hip_bfloat16Li192ELi128ELi512EEEvPT_PKfS5_PKS2_PKii ; -- Begin function _ZN4vllm32paged_attention_v2_reduce_kernelI14__hip_bfloat16Li192ELi128ELi512EEEvPT_PKfS5_PKS2_PKii
	.globl	_ZN4vllm32paged_attention_v2_reduce_kernelI14__hip_bfloat16Li192ELi128ELi512EEEvPT_PKfS5_PKS2_PKii
	.p2align	8
	.type	_ZN4vllm32paged_attention_v2_reduce_kernelI14__hip_bfloat16Li192ELi128ELi512EEEvPT_PKfS5_PKS2_PKii,@function
_ZN4vllm32paged_attention_v2_reduce_kernelI14__hip_bfloat16Li192ELi128ELi512EEEvPT_PKfS5_PKS2_PKii: ; @_ZN4vllm32paged_attention_v2_reduce_kernelI14__hip_bfloat16Li192ELi128ELi512EEEvPT_PKfS5_PKS2_PKii
; %bb.0:
	s_load_dwordx4 s[8:11], s[0:1], 0x18
	s_add_u32 s6, s0, 48
	s_mov_b32 s12, s3
	s_addc_u32 s7, s1, 0
	s_ashr_i32 s13, s3, 31
	s_lshl_b64 s[4:5], s[12:13], 2
	s_waitcnt lgkmcnt(0)
	s_add_u32 s4, s10, s4
	s_addc_u32 s5, s11, s5
	s_load_dword s24, s[4:5], 0x0
	s_load_dwordx2 s[10:11], s[0:1], 0x0
	s_load_dword s13, s[0:1], 0x28
	s_load_dword s3, s[0:1], 0x30
	s_waitcnt lgkmcnt(0)
	s_add_i32 s4, s24, -1
	s_cmpk_gt_u32 s4, 0x1ff
	s_mov_b64 s[4:5], -1
	s_cbranch_scc0 .LBB141_28
; %bb.1:
	s_add_i32 s4, s24, 0x1ff
	s_load_dwordx2 s[18:19], s[0:1], 0x8
	s_ashr_i32 s5, s4, 31
	s_lshr_b32 s5, s5, 23
	s_add_i32 s4, s4, s5
	s_mul_i32 s26, s3, s12
	s_ashr_i32 s25, s4, 9
	s_mul_i32 s14, s26, s13
	s_mul_i32 s16, s2, s13
	s_ashr_i32 s15, s14, 31
	s_ashr_i32 s17, s16, 31
	v_cmp_gt_i32_e32 vcc, s25, v0
	v_mov_b32_e32 v4, 0xff7fffff
	s_and_saveexec_b64 s[4:5], vcc
	s_cbranch_execz .LBB141_5
; %bb.2:
	s_load_dword s20, s[6:7], 0xc
	s_load_dwordx2 s[22:23], s[0:1], 0x10
	s_lshl_b64 s[0:1], s[14:15], 2
	s_lshl_b64 s[28:29], s[16:17], 2
	v_lshlrev_b32_e32 v4, 2, v0
	s_waitcnt lgkmcnt(0)
	s_and_b32 s27, s20, 0xffff
	s_add_u32 s0, s0, s28
	s_addc_u32 s1, s1, s29
	s_add_u32 s0, s22, s0
	v_mov_b32_e32 v5, 0
	s_addc_u32 s1, s23, s1
	s_mov_b32 s21, 0
	v_lshl_add_u64 v[2:3], s[0:1], 0, v[4:5]
	s_lshl_b32 s20, s27, 2
	v_add_u32_e32 v1, 16, v4
	s_mov_b64 s[22:23], 0
	v_mov_b32_e32 v4, 0xff7fffff
	v_mov_b32_e32 v5, v0
.LBB141_3:                              ; =>This Inner Loop Header: Depth=1
	global_load_dword v6, v[2:3], off
	v_add_u32_e32 v5, s27, v5
	v_max_f32_e32 v4, v4, v4
	v_cmp_le_i32_e64 s[0:1], s25, v5
	v_lshl_add_u64 v[2:3], v[2:3], 0, s[20:21]
	s_or_b64 s[22:23], s[0:1], s[22:23]
	s_waitcnt vmcnt(0)
	ds_write_b32 v1, v6
	v_max_f32_e32 v6, v6, v6
	v_add_u32_e32 v1, s20, v1
	v_max_f32_e32 v4, v4, v6
	s_andn2_b64 exec, exec, s[22:23]
	s_cbranch_execnz .LBB141_3
; %bb.4:
	s_or_b64 exec, exec, s[22:23]
.LBB141_5:
	s_or_b64 exec, exec, s[4:5]
	v_mbcnt_lo_u32_b32 v1, -1, 0
	v_mbcnt_hi_u32_b32 v2, -1, v1
	v_and_b32_e32 v1, 64, v2
	v_add_u32_e32 v5, 64, v1
	v_xor_b32_e32 v1, 32, v2
	v_cmp_lt_i32_e64 s[0:1], v1, v5
	v_xor_b32_e32 v6, 16, v2
	v_lshrrev_b32_e32 v10, 6, v0
	v_cndmask_b32_e64 v1, v2, v1, s[0:1]
	v_lshlrev_b32_e32 v1, 2, v1
	ds_bpermute_b32 v3, v1, v4
	v_max_f32_e32 v4, v4, v4
	v_cmp_lt_i32_e64 s[0:1], v6, v5
	s_waitcnt lgkmcnt(0)
	s_barrier
	v_max_f32_e32 v3, v3, v3
	v_max_f32_e32 v3, v4, v3
	v_cndmask_b32_e64 v4, v2, v6, s[0:1]
	v_lshlrev_b32_e32 v8, 2, v4
	ds_bpermute_b32 v4, v8, v3
	v_xor_b32_e32 v6, 8, v2
	v_cmp_lt_i32_e64 s[0:1], v6, v5
	s_waitcnt lgkmcnt(0)
	v_max_f32_e32 v4, v4, v4
	v_max_f32_e32 v3, v3, v4
	v_cndmask_b32_e64 v4, v2, v6, s[0:1]
	v_lshlrev_b32_e32 v9, 2, v4
	ds_bpermute_b32 v4, v9, v3
	v_xor_b32_e32 v6, 4, v2
	v_cmp_lt_i32_e64 s[0:1], v6, v5
	s_waitcnt lgkmcnt(0)
	;; [unrolled: 8-line block ×3, first 2 shown]
	v_max_f32_e32 v4, v4, v4
	v_max_f32_e32 v3, v3, v4
	v_cndmask_b32_e64 v4, v2, v6, s[0:1]
	v_lshlrev_b32_e32 v12, 2, v4
	ds_bpermute_b32 v4, v12, v3
	v_and_b32_e32 v6, 63, v0
	s_waitcnt lgkmcnt(0)
	v_max_f32_e32 v4, v4, v4
	v_max_f32_e32 v3, v3, v4
	v_xor_b32_e32 v4, 1, v2
	v_cmp_lt_i32_e64 s[0:1], v4, v5
	s_nop 1
	v_cndmask_b32_e64 v4, v2, v4, s[0:1]
	v_lshlrev_b32_e32 v7, 2, v4
	ds_bpermute_b32 v4, v7, v3
	v_cmp_eq_u32_e64 s[0:1], 0, v6
	s_and_saveexec_b64 s[4:5], s[0:1]
	s_cbranch_execz .LBB141_7
; %bb.6:
	s_waitcnt lgkmcnt(0)
	v_max_f32_e32 v4, v4, v4
	v_max_f32_e32 v3, v3, v3
	;; [unrolled: 1-line block ×3, first 2 shown]
	v_lshlrev_b32_e32 v4, 2, v10
	ds_write_b32 v4, v3
.LBB141_7:
	s_or_b64 exec, exec, s[4:5]
	v_cmp_gt_u32_e64 s[4:5], 2, v6
	v_mov_b32_e32 v3, 0xff7fffff
	s_waitcnt lgkmcnt(0)
	s_barrier
	s_and_saveexec_b64 s[20:21], s[4:5]
	s_cbranch_execz .LBB141_9
; %bb.8:
	v_lshlrev_b32_e32 v3, 2, v6
	ds_read_b32 v3, v3
.LBB141_9:
	s_or_b64 exec, exec, s[20:21]
	s_waitcnt lgkmcnt(0)
	ds_bpermute_b32 v4, v7, v3
	v_max_f32_e32 v3, v3, v3
	v_lshlrev_b32_e32 v2, 2, v2
	v_and_b32_e32 v13, 0x100, v2
	s_lshl_b32 s27, s25, 2
	s_waitcnt lgkmcnt(0)
	v_max_f32_e32 v4, v4, v4
	v_max_f32_e32 v3, v3, v4
	ds_bpermute_b32 v14, v13, v3
	v_mov_b32_e32 v3, 0
	s_and_saveexec_b64 s[20:21], vcc
	s_cbranch_execz .LBB141_13
; %bb.10:
	s_load_dword s22, s[6:7], 0xc
	s_lshl_b64 s[28:29], s[14:15], 2
	s_lshl_b64 s[30:31], s[16:17], 2
	v_lshlrev_b32_e32 v2, 2, v0
	v_mov_b32_e32 v3, 0
	s_waitcnt lgkmcnt(0)
	s_and_b32 s15, s22, 0xffff
	s_add_u32 s17, s28, s30
	s_addc_u32 s22, s29, s31
	s_add_u32 s18, s18, s17
	s_addc_u32 s19, s19, s22
	s_mov_b32 s23, 0
	v_lshl_add_u64 v[4:5], s[18:19], 0, v[2:3]
	s_lshl_b32 s22, s15, 2
	v_add_u32_e32 v2, 16, v2
	s_mov_b64 s[18:19], 0
	s_mov_b32 s17, 0x3fb8aa3b
	s_mov_b32 s28, 0xc2ce8ed0
	;; [unrolled: 1-line block ×3, first 2 shown]
	v_mov_b32_e32 v15, 0x7f800000
	v_mov_b32_e32 v16, v0
.LBB141_11:                             ; =>This Inner Loop Header: Depth=1
	global_load_dword v17, v[4:5], off
	ds_read_b32 v18, v2
	v_add_u32_e32 v16, s15, v16
	v_cmp_le_i32_e32 vcc, s25, v16
	s_or_b64 s[18:19], vcc, s[18:19]
	v_add_u32_e32 v19, s27, v2
	s_waitcnt lgkmcnt(0)
	v_sub_f32_e32 v18, v18, v14
	v_mul_f32_e32 v20, 0x3fb8aa3b, v18
	v_fma_f32 v21, v18, s17, -v20
	v_rndne_f32_e32 v22, v20
	v_fmac_f32_e32 v21, 0x32a5705f, v18
	v_sub_f32_e32 v20, v20, v22
	v_add_f32_e32 v20, v20, v21
	v_cvt_i32_f32_e32 v22, v22
	v_exp_f32_e32 v20, v20
	v_cmp_ngt_f32_e32 vcc, s28, v18
	v_lshl_add_u64 v[4:5], v[4:5], 0, s[22:23]
	v_add_u32_e32 v2, s22, v2
	v_ldexp_f32 v20, v20, v22
	v_cndmask_b32_e32 v20, 0, v20, vcc
	v_cmp_nlt_f32_e32 vcc, s29, v18
	s_nop 1
	v_cndmask_b32_e32 v18, v15, v20, vcc
	s_waitcnt vmcnt(0)
	v_mul_f32_e32 v20, v17, v18
	v_fmac_f32_e32 v3, v17, v18
	ds_write_b32 v19, v20
	s_andn2_b64 exec, exec, s[18:19]
	s_cbranch_execnz .LBB141_11
; %bb.12:
	s_or_b64 exec, exec, s[18:19]
.LBB141_13:
	s_or_b64 exec, exec, s[20:21]
	ds_bpermute_b32 v1, v1, v3
	s_waitcnt lgkmcnt(0)
	s_barrier
	v_add_f32_e32 v1, v3, v1
	ds_bpermute_b32 v2, v8, v1
	s_waitcnt lgkmcnt(0)
	v_add_f32_e32 v1, v1, v2
	ds_bpermute_b32 v2, v9, v1
	s_waitcnt lgkmcnt(0)
	;; [unrolled: 3-line block ×5, first 2 shown]
	v_add_f32_e32 v1, v1, v2
	s_and_saveexec_b64 s[18:19], s[0:1]
	s_cbranch_execz .LBB141_15
; %bb.14:
	v_lshlrev_b32_e32 v2, 2, v10
	ds_write_b32 v2, v1 offset:8
.LBB141_15:
	s_or_b64 exec, exec, s[18:19]
	s_waitcnt lgkmcnt(0)
	s_barrier
	s_and_saveexec_b64 s[0:1], s[4:5]
	s_cbranch_execz .LBB141_17
; %bb.16:
	v_lshlrev_b32_e32 v1, 2, v6
	ds_read_b32 v1, v1 offset:8
.LBB141_17:
	s_or_b64 exec, exec, s[0:1]
	s_waitcnt lgkmcnt(0)
	ds_bpermute_b32 v2, v7, v1
	s_movk_i32 s0, 0xc0
	v_cmp_gt_u32_e32 vcc, s0, v0
	s_waitcnt lgkmcnt(0)
	v_add_f32_e32 v1, v1, v2
	ds_bpermute_b32 v1, v13, v1
	s_and_saveexec_b64 s[4:5], vcc
	s_cbranch_execz .LBB141_27
; %bb.18:
	s_waitcnt lgkmcnt(0)
	v_add_f32_e32 v1, 0x358637bd, v1
	v_div_scale_f32 v2, s[0:1], v1, v1, 1.0
	s_mul_i32 s0, s14, 0xc0
	s_mul_i32 s14, s26, 0xc0
	s_mulk_i32 s16, 0xc0
	s_ashr_i32 s15, s14, 31
	v_rcp_f32_e32 v3, v2
	s_ashr_i32 s1, s0, 31
	s_ashr_i32 s17, s16, 31
	s_lshl_b64 s[14:15], s[14:15], 1
	s_add_u32 s18, s10, s14
	s_mul_i32 s14, s2, 0xc0
	s_addc_u32 s19, s11, s15
	s_ashr_i32 s15, s14, 31
	s_lshl_b64 s[14:15], s[14:15], 1
	v_fma_f32 v5, -v2, v3, 1.0
	s_add_u32 s14, s18, s14
	v_div_scale_f32 v4, vcc, 1.0, v1, 1.0
	v_fmac_f32_e32 v3, v5, v3
	s_addc_u32 s15, s19, s15
	s_add_i32 s26, s27, 16
	v_mul_f32_e32 v5, v4, v3
	s_cmp_gt_i32 s24, 0
	v_fma_f32 v6, -v2, v5, v4
	s_cselect_b64 s[18:19], -1, 0
	s_max_i32 s24, s25, 1
	s_lshl_b64 s[0:1], s[0:1], 1
	s_lshl_b64 s[16:17], s[16:17], 1
	v_fmac_f32_e32 v5, v6, v3
	s_add_u32 s0, s0, s16
	v_fma_f32 v2, -v2, v5, v4
	s_addc_u32 s1, s1, s17
	v_div_fmas_f32 v2, v2, v3, v5
	s_add_u32 s0, s8, s0
	v_div_fixup_f32 v1, v2, v1, 1.0
	v_lshlrev_b32_e32 v2, 1, v0
	v_mov_b32_e32 v3, 0
	s_addc_u32 s1, s9, s1
	v_lshl_add_u64 v[4:5], s[0:1], 0, v[2:3]
	v_cndmask_b32_e64 v2, 0, 1, s[18:19]
	s_mov_b64 s[16:17], 0
	v_cmp_ne_u32_e64 s[0:1], 1, v2
	s_mov_b64 s[18:19], 0x180
	s_mov_b32 s25, 0x7f800000
	s_movk_i32 s27, 0x7fff
	s_mov_b64 s[20:21], 0x100
	v_mov_b32_e32 v2, v0
	s_branch .LBB141_20
.LBB141_19:                             ;   in Loop: Header=BB141_20 Depth=1
	s_or_b64 exec, exec, s[22:23]
	v_lshl_add_u64 v[8:9], v[2:3], 1, s[14:15]
	global_store_short_d16_hi v[8:9], v6, off
	v_add_u32_e32 v6, 0x80, v2
	v_cmp_lt_u32_e32 vcc, 63, v2
	v_lshl_add_u64 v[4:5], v[4:5], 0, s[20:21]
	s_or_b64 s[16:17], vcc, s[16:17]
	v_mov_b32_e32 v2, v6
	s_andn2_b64 exec, exec, s[16:17]
	s_cbranch_execz .LBB141_27
.LBB141_20:                             ; =>This Loop Header: Depth=1
                                        ;     Child Loop BB141_22 Depth 2
	s_and_b64 vcc, exec, s[0:1]
	v_mov_b32_e32 v8, 0
	s_cbranch_vccnz .LBB141_23
; %bb.21:                               ;   in Loop: Header=BB141_20 Depth=1
	v_mov_b32_e32 v8, 0
	s_mov_b32 s22, s26
	v_mov_b64_e32 v[6:7], v[4:5]
	s_mov_b32 s23, s24
.LBB141_22:                             ;   Parent Loop BB141_20 Depth=1
                                        ; =>  This Inner Loop Header: Depth=2
	global_load_ushort v9, v[6:7], off
	v_mov_b32_e32 v10, s22
	ds_read_b32 v10, v10
	s_add_i32 s23, s23, -1
	s_add_i32 s22, s22, 4
	v_lshl_add_u64 v[6:7], v[6:7], 0, s[18:19]
	s_cmp_eq_u32 s23, 0
	s_waitcnt vmcnt(0)
	v_lshlrev_b32_e32 v9, 16, v9
	s_waitcnt lgkmcnt(0)
	v_mul_f32_e32 v9, v10, v9
	v_fmac_f32_e32 v8, v1, v9
	s_cbranch_scc0 .LBB141_22
.LBB141_23:                             ;   in Loop: Header=BB141_20 Depth=1
	v_and_b32_e32 v6, 0x7f800000, v8
	v_cmp_ne_u32_e32 vcc, s25, v6
                                        ; implicit-def: $vgpr6
	s_and_saveexec_b64 s[22:23], vcc
	s_xor_b64 s[22:23], exec, s[22:23]
; %bb.24:                               ;   in Loop: Header=BB141_20 Depth=1
	v_bfe_u32 v6, v8, 16, 1
	v_add3_u32 v6, v8, v6, s27
                                        ; implicit-def: $vgpr8
; %bb.25:                               ;   in Loop: Header=BB141_20 Depth=1
	s_andn2_saveexec_b64 s[22:23], s[22:23]
	s_cbranch_execz .LBB141_19
; %bb.26:                               ;   in Loop: Header=BB141_20 Depth=1
	v_or_b32_e32 v6, 0x10000, v8
	v_cmp_eq_u32_sdwa vcc, v8, v3 src0_sel:WORD_0 src1_sel:DWORD
	s_nop 1
	v_cndmask_b32_e32 v6, v6, v8, vcc
	s_branch .LBB141_19
.LBB141_27:
	s_or_b64 exec, exec, s[4:5]
	s_mov_b64 s[4:5], 0
.LBB141_28:
	s_and_b64 vcc, exec, s[4:5]
	s_cbranch_vccz .LBB141_37
; %bb.29:
	s_movk_i32 s0, 0xc0
	v_cmp_gt_u32_e32 vcc, s0, v0
	s_and_saveexec_b64 s[4:5], vcc
	s_cbranch_execz .LBB141_37
; %bb.30:
	s_mul_i32 s1, s3, s12
	s_mul_i32 s4, s1, 0xc0
	s_ashr_i32 s5, s4, 31
	s_lshl_b64 s[14:15], s[4:5], 1
	s_add_u32 s1, s10, s14
	s_mul_i32 s10, s2, 0xc0
	s_addc_u32 s5, s11, s15
	s_ashr_i32 s11, s10, 31
	s_lshl_b64 s[2:3], s[10:11], 1
	s_add_u32 s2, s1, s2
	s_mul_i32 s4, s4, s13
	s_addc_u32 s3, s5, s3
	s_ashr_i32 s5, s4, 31
	s_lshl_b64 s[4:5], s[4:5], 1
	s_load_dword s6, s[6:7], 0xc
	s_add_u32 s1, s8, s4
	s_mul_i32 s4, s10, s13
	s_addc_u32 s8, s9, s5
	s_ashr_i32 s5, s4, 31
	s_lshl_b64 s[4:5], s[4:5], 1
	s_add_u32 s4, s1, s4
	s_addc_u32 s5, s8, s5
	s_waitcnt lgkmcnt(0)
	s_and_b32 s8, s6, 0xffff
	v_cvt_f32_u32_e32 v1, s8
	v_add_u32_e32 v2, s8, v0
	v_mov_b32_e32 v4, s8
	v_cmp_gt_u32_e32 vcc, s0, v2
	v_rcp_iflag_f32_e32 v1, v1
	s_cmp_eq_u32 s8, 1
	v_max_u32_e32 v3, 0xc0, v2
	v_addc_co_u32_e64 v2, s[0:1], v0, v4, vcc
	v_mul_f32_e32 v1, 0x4f7ffffe, v1
	v_cvt_u32_f32_e32 v1, v1
	s_cselect_b64 s[6:7], -1, 0
	s_sub_i32 s0, 0, s8
	v_sub_u32_e32 v2, v3, v2
	v_mul_lo_u32 v3, s0, v1
	v_mul_hi_u32 v3, v1, v3
	v_add_u32_e32 v1, v1, v3
	v_mul_hi_u32 v1, v2, v1
	v_mul_lo_u32 v3, v1, s8
	v_sub_u32_e32 v2, v2, v3
	v_add_u32_e32 v3, 1, v1
	v_cmp_le_u32_e64 s[0:1], s8, v2
	s_nop 1
	v_cndmask_b32_e64 v1, v1, v3, s[0:1]
	v_subrev_u32_e32 v3, s8, v2
	v_cndmask_b32_e64 v2, v2, v3, s[0:1]
	v_add_u32_e32 v3, 1, v1
	v_cmp_le_u32_e64 s[0:1], s8, v2
	s_nop 1
	v_cndmask_b32_e64 v1, v1, v3, s[0:1]
	v_addc_co_u32_e32 v1, vcc, 1, v1, vcc
	v_cmp_lt_u32_e32 vcc, 31, v1
	s_and_b64 s[10:11], vcc, s[6:7]
	s_mov_b64 s[6:7], -1
	s_and_saveexec_b64 s[0:1], s[10:11]
	s_cbranch_execz .LBB141_34
; %bb.31:
	v_and_b32_e32 v4, 0xffffffe0, v1
	s_mov_b64 s[6:7], 0
	v_mov_b32_e32 v3, 0
	v_mov_b32_e32 v2, v0
	;; [unrolled: 1-line block ×3, first 2 shown]
.LBB141_32:                             ; =>This Inner Loop Header: Depth=1
	v_lshlrev_b64 v[22:23], 1, v[2:3]
	v_lshl_add_u64 v[24:25], s[4:5], 0, v[22:23]
	global_load_dwordx4 v[6:9], v[24:25], off
	global_load_dwordx4 v[10:13], v[24:25], off offset:16
	global_load_dwordx4 v[14:17], v[24:25], off offset:32
	;; [unrolled: 1-line block ×3, first 2 shown]
	v_subrev_u32_e32 v5, 32, v5
	v_cmp_eq_u32_e32 vcc, 0, v5
	v_add_u32_e32 v2, 32, v2
	v_lshl_add_u64 v[22:23], s[2:3], 0, v[22:23]
	s_or_b64 s[6:7], vcc, s[6:7]
	s_waitcnt vmcnt(3)
	global_store_dwordx4 v[22:23], v[6:9], off
	s_waitcnt vmcnt(3)
	global_store_dwordx4 v[22:23], v[10:13], off offset:16
	s_waitcnt vmcnt(3)
	global_store_dwordx4 v[22:23], v[14:17], off offset:32
	;; [unrolled: 2-line block ×3, first 2 shown]
	s_andn2_b64 exec, exec, s[6:7]
	s_cbranch_execnz .LBB141_32
; %bb.33:
	s_or_b64 exec, exec, s[6:7]
	v_cmp_ne_u32_e32 vcc, v1, v4
	v_add_u32_e32 v0, v0, v4
	s_orn2_b64 s[6:7], vcc, exec
.LBB141_34:
	s_or_b64 exec, exec, s[0:1]
	s_and_b64 exec, exec, s[6:7]
	s_cbranch_execz .LBB141_37
; %bb.35:
	v_mov_b32_e32 v1, 0
	s_mov_b32 s1, 0
	v_lshlrev_b64 v[2:3], 1, v[0:1]
	s_lshl_b32 s0, s8, 1
	s_mov_b64 s[6:7], 0
	s_movk_i32 s9, 0xbf
.LBB141_36:                             ; =>This Inner Loop Header: Depth=1
	v_lshl_add_u64 v[4:5], s[4:5], 0, v[2:3]
	global_load_ushort v1, v[4:5], off
	v_add_u32_e32 v0, s8, v0
	v_cmp_lt_u32_e32 vcc, s9, v0
	v_lshl_add_u64 v[4:5], s[2:3], 0, v[2:3]
	v_lshl_add_u64 v[2:3], v[2:3], 0, s[0:1]
	s_or_b64 s[6:7], vcc, s[6:7]
	s_waitcnt vmcnt(0)
	global_store_short v[4:5], v1, off
	s_andn2_b64 exec, exec, s[6:7]
	s_cbranch_execnz .LBB141_36
.LBB141_37:
	s_endpgm
	.section	.rodata,"a",@progbits
	.p2align	6, 0x0
	.amdhsa_kernel _ZN4vllm32paged_attention_v2_reduce_kernelI14__hip_bfloat16Li192ELi128ELi512EEEvPT_PKfS5_PKS2_PKii
		.amdhsa_group_segment_fixed_size 16
		.amdhsa_private_segment_fixed_size 0
		.amdhsa_kernarg_size 304
		.amdhsa_user_sgpr_count 2
		.amdhsa_user_sgpr_dispatch_ptr 0
		.amdhsa_user_sgpr_queue_ptr 0
		.amdhsa_user_sgpr_kernarg_segment_ptr 1
		.amdhsa_user_sgpr_dispatch_id 0
		.amdhsa_user_sgpr_kernarg_preload_length 0
		.amdhsa_user_sgpr_kernarg_preload_offset 0
		.amdhsa_user_sgpr_private_segment_size 0
		.amdhsa_uses_dynamic_stack 0
		.amdhsa_enable_private_segment 0
		.amdhsa_system_sgpr_workgroup_id_x 1
		.amdhsa_system_sgpr_workgroup_id_y 1
		.amdhsa_system_sgpr_workgroup_id_z 0
		.amdhsa_system_sgpr_workgroup_info 0
		.amdhsa_system_vgpr_workitem_id 0
		.amdhsa_next_free_vgpr 26
		.amdhsa_next_free_sgpr 32
		.amdhsa_accum_offset 28
		.amdhsa_reserve_vcc 1
		.amdhsa_float_round_mode_32 0
		.amdhsa_float_round_mode_16_64 0
		.amdhsa_float_denorm_mode_32 3
		.amdhsa_float_denorm_mode_16_64 3
		.amdhsa_dx10_clamp 1
		.amdhsa_ieee_mode 1
		.amdhsa_fp16_overflow 0
		.amdhsa_tg_split 0
		.amdhsa_exception_fp_ieee_invalid_op 0
		.amdhsa_exception_fp_denorm_src 0
		.amdhsa_exception_fp_ieee_div_zero 0
		.amdhsa_exception_fp_ieee_overflow 0
		.amdhsa_exception_fp_ieee_underflow 0
		.amdhsa_exception_fp_ieee_inexact 0
		.amdhsa_exception_int_div_zero 0
	.end_amdhsa_kernel
	.section	.text._ZN4vllm32paged_attention_v2_reduce_kernelI14__hip_bfloat16Li192ELi128ELi512EEEvPT_PKfS5_PKS2_PKii,"axG",@progbits,_ZN4vllm32paged_attention_v2_reduce_kernelI14__hip_bfloat16Li192ELi128ELi512EEEvPT_PKfS5_PKS2_PKii,comdat
.Lfunc_end141:
	.size	_ZN4vllm32paged_attention_v2_reduce_kernelI14__hip_bfloat16Li192ELi128ELi512EEEvPT_PKfS5_PKS2_PKii, .Lfunc_end141-_ZN4vllm32paged_attention_v2_reduce_kernelI14__hip_bfloat16Li192ELi128ELi512EEEvPT_PKfS5_PKS2_PKii
                                        ; -- End function
	.section	.AMDGPU.csdata,"",@progbits
; Kernel info:
; codeLenInByte = 2356
; NumSgprs: 38
; NumVgprs: 26
; NumAgprs: 0
; TotalNumVgprs: 26
; ScratchSize: 0
; MemoryBound: 0
; FloatMode: 240
; IeeeMode: 1
; LDSByteSize: 16 bytes/workgroup (compile time only)
; SGPRBlocks: 4
; VGPRBlocks: 3
; NumSGPRsForWavesPerEU: 38
; NumVGPRsForWavesPerEU: 26
; AccumOffset: 28
; Occupancy: 8
; WaveLimiterHint : 0
; COMPUTE_PGM_RSRC2:SCRATCH_EN: 0
; COMPUTE_PGM_RSRC2:USER_SGPR: 2
; COMPUTE_PGM_RSRC2:TRAP_HANDLER: 0
; COMPUTE_PGM_RSRC2:TGID_X_EN: 1
; COMPUTE_PGM_RSRC2:TGID_Y_EN: 1
; COMPUTE_PGM_RSRC2:TGID_Z_EN: 0
; COMPUTE_PGM_RSRC2:TIDIG_COMP_CNT: 0
; COMPUTE_PGM_RSRC3_GFX90A:ACCUM_OFFSET: 6
; COMPUTE_PGM_RSRC3_GFX90A:TG_SPLIT: 0
	.section	.text._ZN4vllm25paged_attention_v2_kernelI14__hip_bfloat16S1_Li256ELi8ELi128ELNS_18Fp8KVCacheDataTypeE0ELb1ELi512EEEvPfS3_PT_PKS4_PKT0_SA_ifPKiSC_iPKfiiiSE_SE_iiiii,"axG",@progbits,_ZN4vllm25paged_attention_v2_kernelI14__hip_bfloat16S1_Li256ELi8ELi128ELNS_18Fp8KVCacheDataTypeE0ELb1ELi512EEEvPfS3_PT_PKS4_PKT0_SA_ifPKiSC_iPKfiiiSE_SE_iiiii,comdat
	.protected	_ZN4vllm25paged_attention_v2_kernelI14__hip_bfloat16S1_Li256ELi8ELi128ELNS_18Fp8KVCacheDataTypeE0ELb1ELi512EEEvPfS3_PT_PKS4_PKT0_SA_ifPKiSC_iPKfiiiSE_SE_iiiii ; -- Begin function _ZN4vllm25paged_attention_v2_kernelI14__hip_bfloat16S1_Li256ELi8ELi128ELNS_18Fp8KVCacheDataTypeE0ELb1ELi512EEEvPfS3_PT_PKS4_PKT0_SA_ifPKiSC_iPKfiiiSE_SE_iiiii
	.globl	_ZN4vllm25paged_attention_v2_kernelI14__hip_bfloat16S1_Li256ELi8ELi128ELNS_18Fp8KVCacheDataTypeE0ELb1ELi512EEEvPfS3_PT_PKS4_PKT0_SA_ifPKiSC_iPKfiiiSE_SE_iiiii
	.p2align	8
	.type	_ZN4vllm25paged_attention_v2_kernelI14__hip_bfloat16S1_Li256ELi8ELi128ELNS_18Fp8KVCacheDataTypeE0ELb1ELi512EEEvPfS3_PT_PKS4_PKT0_SA_ifPKiSC_iPKfiiiSE_SE_iiiii,@function
_ZN4vllm25paged_attention_v2_kernelI14__hip_bfloat16S1_Li256ELi8ELi128ELNS_18Fp8KVCacheDataTypeE0ELb1ELi512EEEvPfS3_PT_PKS4_PKT0_SA_ifPKiSC_iPKfiiiSE_SE_iiiii: ; @_ZN4vllm25paged_attention_v2_kernelI14__hip_bfloat16S1_Li256ELi8ELi128ELNS_18Fp8KVCacheDataTypeE0ELb1ELi512EEEvPfS3_PT_PKS4_PKT0_SA_ifPKiSC_iPKfiiiSE_SE_iiiii
; %bb.0:
	s_load_dwordx2 s[6:7], s[0:1], 0x40
	s_mov_b32 s34, s3
	s_ashr_i32 s35, s3, 31
	s_lshl_b64 s[8:9], s[34:35], 2
	s_waitcnt lgkmcnt(0)
	s_add_u32 s6, s6, s8
	s_addc_u32 s7, s7, s9
	s_load_dword s35, s[6:7], 0x0
	s_lshl_b32 s49, s4, 9
	s_waitcnt lgkmcnt(0)
	s_cmp_ge_i32 s49, s35
	s_cbranch_scc1 .LBB142_243
; %bb.1:
	s_load_dword s5, s[0:1], 0x90
	s_load_dwordx2 s[40:41], s[0:1], 0x30
	s_waitcnt lgkmcnt(0)
	s_abs_i32 s7, s5
	s_abs_i32 s3, s40
	v_cvt_f32_u32_e32 v1, s3
	s_sub_i32 s8, 0, s3
	s_xor_b32 s6, s5, s40
	s_ashr_i32 s6, s6, 31
	v_rcp_iflag_f32_e32 v1, v1
	s_nop 0
	v_mul_f32_e32 v1, 0x4f7ffffe, v1
	v_cvt_u32_f32_e32 v1, v1
	s_nop 0
	v_readfirstlane_b32 s9, v1
	s_mul_i32 s8, s8, s9
	s_mul_hi_u32 s8, s9, s8
	s_add_i32 s9, s9, s8
	s_mul_hi_u32 s8, s7, s9
	s_mul_i32 s9, s8, s3
	s_sub_i32 s7, s7, s9
	s_add_i32 s10, s8, 1
	s_sub_i32 s9, s7, s3
	s_cmp_ge_u32 s7, s3
	s_cselect_b32 s8, s10, s8
	s_cselect_b32 s7, s9, s7
	s_add_i32 s9, s8, 1
	s_cmp_ge_u32 s7, s3
	s_cselect_b32 s3, s9, s8
	s_xor_b32 s3, s3, s6
	s_sub_i32 s24, s3, s6
	s_abs_i32 s38, s24
	v_cvt_f32_u32_e32 v1, s38
	s_load_dwordx2 s[6:7], s[0:1], 0x50
	s_sub_i32 s3, 0, s38
	s_abs_i32 s25, s2
	v_rcp_iflag_f32_e32 v1, v1
	s_nop 0
	v_mul_f32_e32 v1, 0x4f7ffffe, v1
	v_cvt_u32_f32_e32 v1, v1
	s_nop 0
	v_readfirstlane_b32 s8, v1
	s_mul_i32 s3, s3, s8
	s_mul_hi_u32 s3, s8, s3
	s_add_i32 s8, s8, s3
	s_waitcnt lgkmcnt(0)
	s_cmp_eq_u64 s[6:7], 0
	s_mov_b32 s3, 0
	s_cbranch_scc1 .LBB142_3
; %bb.2:
	s_ashr_i32 s3, s2, 31
	s_lshl_b64 s[10:11], s[2:3], 2
	s_add_u32 s6, s6, s10
	s_addc_u32 s7, s7, s11
	s_load_dword s3, s[6:7], 0x0
.LBB142_3:
	s_load_dwordx4 s[20:23], s[0:1], 0x0
	s_load_dwordx2 s[28:29], s[0:1], 0x10
	s_load_dwordx4 s[16:19], s[0:1], 0x20
	s_load_dwordx2 s[36:37], s[0:1], 0x38
	s_load_dword s33, s[0:1], 0x98
	s_load_dwordx4 s[12:15], s[0:1], 0x58
	v_and_b32_e32 v6, 7, v0
	s_lshl_b32 s30, s2, 8
	s_movk_i32 s6, 0x100
	s_mul_hi_u32 s26, s25, s8
	s_ashr_i32 s31, s30, 31
	v_cmp_gt_u32_e32 vcc, s6, v0
	v_lshlrev_b32_e32 v2, 1, v6
	s_and_saveexec_b64 s[6:7], vcc
	s_cbranch_execz .LBB142_6
; %bb.4:
	s_load_dwordx2 s[8:9], s[0:1], 0x18
	s_waitcnt lgkmcnt(0)
	s_mul_i32 s10, s34, s12
	s_ashr_i32 s11, s10, 31
	s_lshl_b64 s[10:11], s[10:11], 1
	s_lshl_b64 s[42:43], s[30:31], 1
	s_add_u32 s10, s10, s42
	s_addc_u32 s11, s11, s43
	v_lshrrev_b32_e32 v4, 3, v0
	s_add_u32 s8, s8, s10
	v_add_u32_e32 v1, -16, v4
	v_lshlrev_b32_e32 v3, 1, v4
	v_lshl_or_b32 v4, v4, 4, v2
	v_mov_b32_e32 v5, 0
	s_addc_u32 s9, s9, s11
	v_lshl_add_u32 v3, v6, 6, v3
	v_lshl_add_u64 v[4:5], s[8:9], 0, v[4:5]
	s_mov_b64 s[8:9], 0
	s_mov_b64 s[10:11], 0x100
.LBB142_5:                              ; =>This Inner Loop Header: Depth=1
	global_load_ushort v7, v[4:5], off
	v_add_co_u32_e32 v1, vcc, 16, v1
	s_xor_b64 s[42:43], vcc, -1
	s_and_b64 s[42:43], exec, s[42:43]
	v_lshl_add_u64 v[4:5], v[4:5], 0, s[10:11]
	s_or_b64 s[8:9], s[42:43], s[8:9]
	s_waitcnt vmcnt(0)
	ds_write_b16 v3, v7
	v_add_u32_e32 v3, 32, v3
	s_andn2_b64 exec, exec, s[8:9]
	s_cbranch_execnz .LBB142_5
.LBB142_6:
	s_or_b64 exec, exec, s[6:7]
	s_ashr_i32 s6, s2, 31
	s_ashr_i32 s7, s24, 31
	s_xor_b32 s6, s6, s7
	s_mul_i32 s7, s26, s38
	s_sub_i32 s7, s25, s7
	s_add_i32 s8, s26, 1
	s_sub_i32 s9, s7, s38
	s_cmp_ge_u32 s7, s38
	s_cselect_b32 s8, s8, s26
	s_load_dwordx4 s[24:27], s[0:1], 0x78
	s_cselect_b32 s7, s9, s7
	s_add_i32 s9, s8, 1
	s_cmp_ge_u32 s7, s38
	s_cselect_b32 s7, s9, s8
	s_load_dword s9, s[0:1], 0x88
	s_waitcnt lgkmcnt(0)
	s_abs_i32 s31, s27
	v_cvt_f32_u32_e32 v1, s31
	s_xor_b32 s7, s7, s6
	s_sub_i32 s8, s7, s6
	s_sub_i32 s6, 0, s31
	v_rcp_iflag_f32_e32 v1, v1
	s_add_i32 s12, s35, -1
	s_abs_i32 s10, s12
	v_mul_f32_e32 v1, 0x4f7ffffe, v1
	v_cvt_u32_f32_e32 v1, v1
	s_barrier
	v_readfirstlane_b32 s46, v1
	s_mul_i32 s6, s6, s46
	s_mul_hi_u32 s6, s46, s6
	s_add_i32 s46, s46, s6
	s_cmp_lt_i32 s9, 0
	s_mul_hi_u32 s11, s10, s46
	s_cbranch_scc0 .LBB142_8
; %bb.7:
	s_mul_i32 s6, s24, s40
	s_add_i32 s6, s8, s6
	s_mul_i32 s6, s6, s9
	s_sub_i32 s47, 1, s6
	s_ashr_i32 s12, s12, 31
	s_ashr_i32 s27, s27, 31
	s_cbranch_execz .LBB142_9
	s_branch .LBB142_10
.LBB142_8:
                                        ; implicit-def: $sgpr47
	s_ashr_i32 s12, s12, 31
	s_ashr_i32 s27, s27, 31
.LBB142_9:
	s_mul_i32 s6, s5, s24
	s_add_i32 s6, s6, s2
	s_mul_i32 s6, s6, s9
	s_add_i32 s47, s6, 1
.LBB142_10:
	s_load_dword s0, s[0:1], 0x48
	s_mul_i32 s6, s11, s31
	s_sub_i32 s6, s10, s6
	s_xor_b32 s1, s12, s27
	s_add_i32 s7, s11, 1
	s_waitcnt lgkmcnt(0)
	s_mul_i32 s38, s34, s0
	s_ashr_i32 s39, s38, 31
	s_sub_i32 s0, s6, s31
	s_cmp_ge_u32 s6, s31
	s_cselect_b32 s7, s7, s11
	s_cselect_b32 s0, s0, s6
	s_add_i32 s6, s7, 1
	s_cmp_ge_u32 s0, s31
	s_cselect_b32 s0, s6, s7
	s_xor_b32 s0, s0, s1
	s_sub_i32 s48, s0, s1
	s_add_i32 s0, s35, 7
	s_ashr_i32 s1, s0, 31
	s_lshr_b32 s1, s1, 29
	s_add_i32 s0, s0, s1
	s_lshl_b32 s40, s4, 6
	s_ashr_i32 s12, s0, 3
	s_add_i32 s0, s40, 64
	v_lshrrev_b32_e32 v8, 6, v0
	s_min_i32 s24, s0, s12
	v_or_b32_e32 v14, s40, v8
	v_cmp_gt_i32_e64 s[0:1], s24, v14
	v_mov_b32_e32 v12, 0xff7fffff
	s_mul_i32 s14, s8, s14
	v_ashrrev_i32_e32 v15, 31, v14
	v_lshl_add_u32 v1, v8, 3, s49
	v_mbcnt_lo_u32_b32 v9, -1, 0
	s_and_saveexec_b64 s[42:43], s[0:1]
	s_cbranch_execz .LBB142_20
; %bb.11:
	s_ashr_i32 s15, s14, 31
	s_sub_i32 s50, s48, s25
	s_lshl_b64 s[6:7], s[14:15], 1
	s_add_u32 s6, s16, s6
	s_addc_u32 s7, s17, s7
	s_abs_i32 s15, s26
	v_cvt_f32_u32_e32 v3, s15
	v_bfe_u32 v10, v0, 3, 3
	v_lshlrev_b32_e32 v4, 4, v10
	v_mov_b32_e32 v5, 0
	v_rcp_iflag_f32_e32 v7, v3
	v_lshl_add_u64 v[12:13], s[6:7], 0, v[4:5]
	v_cmp_eq_u32_e32 vcc, 0, v6
	v_lshlrev_b32_e32 v11, 6, v6
	v_mul_f32_e32 v4, 0x4f7ffffe, v7
	v_cvt_u32_f32_e32 v4, v4
	s_sub_i32 s8, 0, s15
	v_lshlrev_b32_e32 v6, 2, v10
	v_mov_b32_e32 v3, v5
	v_mul_lo_u32 v5, s8, v4
	s_lshl_b64 s[8:9], s[38:39], 2
	v_lshl_or_b32 v6, v8, 5, v6
	s_add_u32 s8, s36, s8
	v_add_u32_e32 v17, 0x210, v6
	v_subrev_u32_e32 v6, s35, v10
	v_mbcnt_hi_u32_b32 v20, -1, v9
	v_mul_hi_u32 v5, v4, v5
	s_addc_u32 s9, s37, s9
	v_add_u32_e32 v18, 1, v6
	v_and_b32_e32 v6, 64, v20
	s_mov_b32 s51, s13
	v_lshl_add_u64 v[2:3], v[12:13], 0, v[2:3]
	v_cmp_neq_f32_e64 s[6:7], s3, 0
	v_add_u32_e32 v13, v4, v5
	v_lshl_add_u64 v[4:5], v[14:15], 2, s[8:9]
	v_lshl_add_u32 v16, v8, 3, s49
	s_mov_b64 s[16:17], 0
	v_mov_b32_e32 v19, 0xff7fffff
	v_add_u32_e32 v21, 64, v6
	v_xor_b32_e32 v22, 4, v20
	v_xor_b32_e32 v23, 2, v20
	;; [unrolled: 1-line block ×3, first 2 shown]
	v_mov_b32_e32 v12, 0xff7fffff
	v_mov_b32_e32 v25, v14
	s_branch .LBB142_14
.LBB142_12:                             ;   in Loop: Header=BB142_14 Depth=1
	s_or_b64 exec, exec, s[44:45]
.LBB142_13:                             ;   in Loop: Header=BB142_14 Depth=1
	s_or_b64 exec, exec, s[10:11]
	v_add_u32_e32 v25, 2, v25
	v_cmp_le_i32_e64 s[8:9], s24, v25
	v_lshl_add_u64 v[4:5], v[4:5], 0, 8
	v_add_u32_e32 v16, 16, v16
	s_or_b64 s[16:17], s[8:9], s[16:17]
	v_add_u32_e32 v17, 64, v17
	s_andn2_b64 exec, exec, s[16:17]
	s_cbranch_execz .LBB142_19
.LBB142_14:                             ; =>This Inner Loop Header: Depth=1
	s_waitcnt lgkmcnt(0)
	v_sub_u32_e32 v7, 0, v16
	v_max_i32_e32 v7, v16, v7
	v_mul_hi_u32 v26, v7, s46
	v_mul_lo_u32 v27, v26, s31
	v_sub_u32_e32 v7, v7, v27
	v_add_u32_e32 v27, 1, v26
	v_cmp_le_u32_e64 s[8:9], s31, v7
	v_ashrrev_i32_e32 v6, 31, v16
	v_xor_b32_e32 v6, s27, v6
	v_cndmask_b32_e64 v26, v26, v27, s[8:9]
	v_subrev_u32_e32 v27, s31, v7
	v_cndmask_b32_e64 v7, v7, v27, s[8:9]
	v_add_u32_e32 v27, 1, v26
	v_cmp_le_u32_e64 s[8:9], s31, v7
	s_nop 1
	v_cndmask_b32_e64 v7, v26, v27, s[8:9]
	v_xor_b32_e32 v7, v7, v6
	v_sub_u32_e32 v6, v7, v6
	v_add_u32_e32 v7, s47, v6
	v_sub_u32_e32 v27, 0, v7
	v_ashrrev_i32_e32 v26, 31, v7
	v_max_i32_e32 v7, v7, v27
	v_mul_hi_u32 v27, v7, v13
	v_mul_lo_u32 v27, v27, s15
	v_sub_u32_e32 v7, v7, v27
	v_subrev_u32_e32 v27, s15, v7
	v_cmp_le_u32_e64 s[8:9], s15, v7
	v_cmp_ge_i32_e64 s[10:11], s50, v6
	s_nop 0
	v_cndmask_b32_e64 v7, v7, v27, s[8:9]
	v_subrev_u32_e32 v27, s15, v7
	v_cmp_le_u32_e64 s[8:9], s15, v7
	s_nop 1
	v_cndmask_b32_e64 v7, v7, v27, s[8:9]
	v_xor_b32_e32 v7, v7, v26
	v_sub_u32_e32 v7, v7, v26
	v_cmp_ne_u32_e64 s[8:9], 0, v7
	s_and_b64 s[8:9], s[8:9], s[10:11]
	s_and_b64 s[44:45], vcc, s[8:9]
	s_and_saveexec_b64 s[10:11], s[44:45]
	s_cbranch_execz .LBB142_16
; %bb.15:                               ;   in Loop: Header=BB142_14 Depth=1
	ds_write_b32 v17, v19
.LBB142_16:                             ;   in Loop: Header=BB142_14 Depth=1
	s_or_b64 exec, exec, s[10:11]
	s_xor_b64 s[8:9], s[8:9], -1
	s_and_saveexec_b64 s[10:11], s[8:9]
	s_cbranch_execz .LBB142_13
; %bb.17:                               ;   in Loop: Header=BB142_14 Depth=1
	global_load_dword v6, v[4:5], off
	ds_read_b128 v[26:29], v11
	ds_read_b128 v[30:33], v11 offset:16
	ds_read_b128 v[34:37], v11 offset:32
	;; [unrolled: 1-line block ×3, first 2 shown]
	s_waitcnt lgkmcnt(3)
	v_lshlrev_b32_e32 v42, 16, v26
	v_and_b32_e32 v26, 0xffff0000, v26
	v_lshlrev_b32_e32 v43, 16, v27
	v_and_b32_e32 v27, 0xffff0000, v27
	v_lshlrev_b32_e32 v44, 16, v28
	v_and_b32_e32 v28, 0xffff0000, v28
	v_lshlrev_b32_e32 v45, 16, v29
	v_and_b32_e32 v29, 0xffff0000, v29
	s_waitcnt lgkmcnt(2)
	v_lshlrev_b32_e32 v46, 16, v30
	v_and_b32_e32 v30, 0xffff0000, v30
	v_lshlrev_b32_e32 v47, 16, v31
	v_and_b32_e32 v31, 0xffff0000, v31
	v_lshlrev_b32_e32 v48, 16, v32
	v_and_b32_e32 v32, 0xffff0000, v32
	v_lshlrev_b32_e32 v49, 16, v33
	v_and_b32_e32 v33, 0xffff0000, v33
	;; [unrolled: 9-line block ×4, first 2 shown]
	s_waitcnt vmcnt(0)
	v_mad_i64_i32 v[6:7], s[8:9], v6, s51, 0
	v_lshl_add_u64 v[6:7], v[6:7], 1, v[2:3]
	global_load_ushort v55, v[6:7], off offset:256
	global_load_ushort v56, v[6:7], off offset:384
	global_load_ushort v57, v[6:7], off offset:512
	global_load_ushort v58, v[6:7], off offset:640
	global_load_ushort v59, v[6:7], off offset:768
	global_load_ushort v60, v[6:7], off offset:896
	global_load_ushort v61, v[6:7], off offset:128
	global_load_ushort v62, v[6:7], off
	global_load_ushort v66, v[6:7], off offset:1024
	global_load_ushort v67, v[6:7], off offset:1152
	;; [unrolled: 1-line block ×23, first 2 shown]
	s_nop 0
	global_load_ushort v6, v[6:7], off offset:3968
	v_cmp_lt_i32_e64 s[8:9], v22, v21
	s_waitcnt vmcnt(23)
	v_lshlrev_b32_e32 v66, 16, v66
	s_waitcnt vmcnt(22)
	v_lshlrev_b32_e32 v67, 16, v67
	;; [unrolled: 2-line block ×15, first 2 shown]
	v_lshlrev_b32_e32 v55, 16, v55
	v_lshlrev_b32_e32 v56, 16, v56
	;; [unrolled: 1-line block ×8, first 2 shown]
	v_mul_f32_e32 v26, v26, v61
	v_fmac_f32_e32 v26, v42, v62
	v_fmac_f32_e32 v26, v43, v55
	;; [unrolled: 1-line block ×21, first 2 shown]
	s_waitcnt vmcnt(8)
	v_lshlrev_b32_e32 v81, 16, v81
	v_fmac_f32_e32 v26, v53, v80
	s_waitcnt vmcnt(7)
	v_lshlrev_b32_e32 v82, 16, v82
	v_fmac_f32_e32 v26, v37, v81
	;; [unrolled: 3-line block ×8, first 2 shown]
	v_cndmask_b32_e64 v7, v20, v22, s[8:9]
	v_fmac_f32_e32 v26, v65, v88
	s_waitcnt vmcnt(0)
	v_lshlrev_b32_e32 v6, 16, v6
	v_lshlrev_b32_e32 v7, 2, v7
	v_fmac_f32_e32 v26, v41, v6
	ds_bpermute_b32 v6, v7, v26
	v_cmp_lt_i32_e64 s[8:9], v23, v21
	s_waitcnt lgkmcnt(0)
	v_add_f32_e32 v6, v26, v6
	v_cndmask_b32_e64 v7, v20, v23, s[8:9]
	v_lshlrev_b32_e32 v7, 2, v7
	ds_bpermute_b32 v7, v7, v6
	v_cmp_lt_i32_e64 s[8:9], v24, v21
	s_waitcnt lgkmcnt(0)
	v_add_f32_e32 v6, v6, v7
	v_cndmask_b32_e64 v26, v20, v24, s[8:9]
	v_lshlrev_b32_e32 v26, 2, v26
	ds_bpermute_b32 v7, v26, v6
	s_and_saveexec_b64 s[44:45], vcc
	s_cbranch_execz .LBB142_12
; %bb.18:                               ;   in Loop: Header=BB142_14 Depth=1
	v_add_u32_e32 v26, v18, v16
	v_cvt_f32_i32_e32 v26, v26
	s_waitcnt lgkmcnt(0)
	v_add_f32_e32 v6, v6, v7
	v_add_u32_e32 v27, v10, v16
	v_cmp_gt_i32_e64 s[8:9], s35, v27
	v_mul_f32_e32 v7, s3, v26
	v_cndmask_b32_e64 v7, 0, v7, s[6:7]
	v_fmac_f32_e32 v7, s41, v6
	v_cndmask_b32_e64 v6, 0, v7, s[8:9]
	ds_write_b32 v17, v6
	v_max_f32_e32 v6, v12, v12
	v_max_f32_e32 v6, v6, v7
	v_cndmask_b32_e64 v12, v12, v6, s[8:9]
	s_branch .LBB142_12
.LBB142_19:
	s_or_b64 exec, exec, s[16:17]
.LBB142_20:
	s_or_b64 exec, exec, s[42:43]
	v_mbcnt_hi_u32_b32 v2, -1, v9
	v_and_b32_e32 v3, 64, v2
	v_add_u32_e32 v3, 64, v3
	v_xor_b32_e32 v4, 32, v2
	v_cmp_lt_i32_e32 vcc, v4, v3
	s_waitcnt lgkmcnt(0)
	v_xor_b32_e32 v7, 16, v2
	v_max_f32_e32 v5, v12, v12
	v_cndmask_b32_e32 v4, v2, v4, vcc
	v_lshlrev_b32_e32 v6, 2, v4
	ds_bpermute_b32 v4, v6, v12
	v_cmp_lt_i32_e32 vcc, v7, v3
	v_and_b32_e32 v22, 63, v0
	s_waitcnt lgkmcnt(0)
	v_max_f32_e32 v4, v4, v4
	v_max_f32_e32 v4, v5, v4
	v_cndmask_b32_e32 v5, v2, v7, vcc
	v_lshlrev_b32_e32 v9, 2, v5
	ds_bpermute_b32 v5, v9, v4
	v_xor_b32_e32 v7, 8, v2
	v_cmp_lt_i32_e32 vcc, v7, v3
	s_waitcnt lgkmcnt(0)
	v_max_f32_e32 v5, v5, v5
	v_max_f32_e32 v4, v4, v5
	v_cndmask_b32_e32 v5, v2, v7, vcc
	v_lshlrev_b32_e32 v10, 2, v5
	ds_bpermute_b32 v7, v10, v4
	v_cmp_eq_u32_e32 vcc, 0, v22
	v_lshlrev_b32_e32 v5, 2, v8
	s_and_saveexec_b64 s[6:7], vcc
	s_cbranch_execz .LBB142_22
; %bb.21:
	s_waitcnt lgkmcnt(0)
	v_max_f32_e32 v7, v7, v7
	v_max_f32_e32 v4, v4, v4
	;; [unrolled: 1-line block ×3, first 2 shown]
	ds_write_b32 v5, v4 offset:512
.LBB142_22:
	s_or_b64 exec, exec, s[6:7]
	v_cmp_gt_u32_e64 s[6:7], 2, v22
	v_mov_b32_e32 v4, 0xff7fffff
	s_waitcnt lgkmcnt(0)
	v_lshlrev_b32_e32 v7, 2, v22
	s_barrier
	s_and_saveexec_b64 s[8:9], s[6:7]
	s_cbranch_execz .LBB142_24
; %bb.23:
	ds_read_b32 v4, v7 offset:512
.LBB142_24:
	s_or_b64 exec, exec, s[8:9]
	v_xor_b32_e32 v11, 1, v2
	v_cmp_lt_i32_e64 s[8:9], v11, v3
	s_sub_i32 s3, s24, s40
	s_lshl_b32 s3, s3, 3
	v_cndmask_b32_e64 v11, v2, v11, s[8:9]
	v_lshlrev_b32_e32 v11, 2, v11
	s_waitcnt lgkmcnt(0)
	ds_bpermute_b32 v12, v11, v4
	v_max_f32_e32 v4, v4, v4
	s_add_i32 s3, s3, s49
	s_min_i32 s15, s3, s35
	s_sub_i32 s3, s15, s49
	s_waitcnt lgkmcnt(0)
	v_max_f32_e32 v12, v12, v12
	v_max_f32_e32 v4, v4, v12
	v_lshlrev_b32_e32 v12, 2, v2
	v_and_b32_e32 v12, 0x100, v12
	ds_bpermute_b32 v4, v12, v4
	v_cmp_gt_i32_e64 s[8:9], s3, v0
	v_mov_b32_e32 v13, 0
	s_and_saveexec_b64 s[16:17], s[8:9]
	s_cbranch_execz .LBB142_28
; %bb.25:
	v_mov_b32_e32 v13, 0x210
	v_lshl_add_u32 v16, v0, 2, v13
	s_mov_b64 s[40:41], 0
	v_mov_b32_e32 v13, 0
	v_mov_b32_e32 v17, v0
.LBB142_26:                             ; =>This Inner Loop Header: Depth=1
	ds_read_b32 v18, v16
	v_add_u32_e32 v17, 0x80, v17
	v_cmp_le_i32_e64 s[10:11], s3, v17
	s_or_b64 s[40:41], s[10:11], s[40:41]
	s_waitcnt lgkmcnt(0)
	v_sub_f32_e32 v18, v18, v4
	v_mul_f32_e32 v18, 0x3fb8aa3b, v18
	v_exp_f32_e32 v18, v18
	ds_write_b32 v16, v18
	v_add_f32_e32 v13, v13, v18
	v_add_u32_e32 v16, 0x200, v16
	s_andn2_b64 exec, exec, s[40:41]
	s_cbranch_execnz .LBB142_26
; %bb.27:
	s_or_b64 exec, exec, s[40:41]
.LBB142_28:
	s_or_b64 exec, exec, s[16:17]
	ds_bpermute_b32 v6, v6, v13
	s_waitcnt lgkmcnt(0)
	v_add_f32_e32 v6, v13, v6
	ds_bpermute_b32 v9, v9, v6
	s_waitcnt lgkmcnt(0)
	v_add_f32_e32 v6, v6, v9
	ds_bpermute_b32 v9, v10, v6
	v_xor_b32_e32 v10, 4, v2
	v_cmp_lt_i32_e64 s[10:11], v10, v3
	s_waitcnt lgkmcnt(0)
	v_add_f32_e32 v6, v6, v9
	v_cndmask_b32_e64 v10, v2, v10, s[10:11]
	v_lshlrev_b32_e32 v10, 2, v10
	ds_bpermute_b32 v9, v10, v6
	v_xor_b32_e32 v10, 2, v2
	v_cmp_lt_i32_e64 s[10:11], v10, v3
	s_waitcnt lgkmcnt(0)
	v_add_f32_e32 v3, v6, v9
	v_cndmask_b32_e64 v2, v2, v10, s[10:11]
	v_lshlrev_b32_e32 v2, 2, v2
	ds_bpermute_b32 v2, v2, v3
	s_waitcnt lgkmcnt(0)
	v_add_f32_e32 v2, v3, v2
	ds_bpermute_b32 v3, v11, v2
	s_waitcnt lgkmcnt(0)
	v_add_f32_e32 v2, v2, v3
	s_and_saveexec_b64 s[10:11], vcc
	s_cbranch_execz .LBB142_30
; %bb.29:
	ds_write_b32 v5, v2 offset:520
.LBB142_30:
	s_or_b64 exec, exec, s[10:11]
	s_waitcnt lgkmcnt(0)
	s_barrier
	s_and_saveexec_b64 s[10:11], s[6:7]
	s_cbranch_execz .LBB142_32
; %bb.31:
	ds_read_b32 v2, v7 offset:520
.LBB142_32:
	s_or_b64 exec, exec, s[10:11]
	s_waitcnt lgkmcnt(0)
	ds_bpermute_b32 v3, v11, v2
	s_waitcnt lgkmcnt(0)
	v_add_f32_e32 v2, v2, v3
	ds_bpermute_b32 v5, v12, v2
	s_and_saveexec_b64 s[6:7], s[8:9]
	s_cbranch_execz .LBB142_45
; %bb.33:
	s_waitcnt lgkmcnt(0)
	v_add_f32_e32 v2, 0x358637bd, v5
	v_div_scale_f32 v3, s[8:9], v2, v2, 1.0
	v_rcp_f32_e32 v6, v3
	v_div_scale_f32 v7, vcc, 1.0, v2, 1.0
	s_movk_i32 s8, 0x7f
	v_fma_f32 v9, -v3, v6, 1.0
	v_fmac_f32_e32 v6, v9, v6
	v_mul_f32_e32 v9, v7, v6
	v_fma_f32 v10, -v3, v9, v7
	v_fmac_f32_e32 v9, v10, v6
	v_fma_f32 v3, -v3, v9, v7
	v_div_fmas_f32 v3, v3, v6, v9
	v_div_fixup_f32 v2, v3, v2, 1.0
	v_xad_u32 v3, v0, -1, s15
	v_subrev_u32_e32 v6, s49, v3
	v_cmp_lt_u32_e32 vcc, s8, v6
	s_mov_b64 s[10:11], -1
	v_mov_b32_e32 v3, v0
	s_and_saveexec_b64 s[8:9], vcc
	s_cbranch_execz .LBB142_42
; %bb.34:
	v_lshrrev_b32_e32 v6, 7, v6
	v_add_u32_e32 v9, -1, v6
	v_lshrrev_b32_e32 v7, 1, v9
	v_mov_b32_e32 v3, v2
	v_add_u32_e32 v7, 1, v7
	v_cmp_lt_u32_e32 vcc, 13, v9
	v_mov_b32_e32 v11, 0
	s_and_saveexec_b64 s[10:11], vcc
	s_cbranch_execz .LBB142_38
; %bb.35:
	v_mov_b32_e32 v10, 0x210
	v_and_b32_e32 v9, -8, v7
	v_lshl_add_u32 v10, v0, 2, v10
	s_mov_b32 s15, 0
	s_mov_b64 s[16:17], 0
.LBB142_36:                             ; =>This Inner Loop Header: Depth=1
	ds_read2st64_b32 v[12:13], v10 offset1:2
	ds_read2st64_b32 v[16:17], v10 offset0:4 offset1:6
	ds_read2st64_b32 v[18:19], v10 offset0:8 offset1:10
	ds_read2st64_b32 v[20:21], v10 offset0:12 offset1:14
	v_add_u32_e32 v9, -8, v9
	s_waitcnt lgkmcnt(3)
	v_pk_mul_f32 v[12:13], v[2:3], v[12:13]
	s_waitcnt lgkmcnt(2)
	v_pk_mul_f32 v[16:17], v[2:3], v[16:17]
	ds_write2st64_b32 v10, v12, v13 offset1:2
	ds_write2st64_b32 v10, v16, v17 offset0:4 offset1:6
	ds_read2st64_b32 v[16:17], v10 offset0:16 offset1:18
	s_waitcnt lgkmcnt(4)
	v_pk_mul_f32 v[12:13], v[2:3], v[18:19]
	ds_write2st64_b32 v10, v12, v13 offset0:8 offset1:10
	s_waitcnt lgkmcnt(4)
	v_pk_mul_f32 v[12:13], v[2:3], v[20:21]
	ds_write2st64_b32 v10, v12, v13 offset0:12 offset1:14
	ds_read2st64_b32 v[12:13], v10 offset0:20 offset1:22
	s_waitcnt lgkmcnt(3)
	v_pk_mul_f32 v[16:17], v[2:3], v[16:17]
	ds_read2st64_b32 v[18:19], v10 offset0:24 offset1:26
	ds_write2st64_b32 v10, v16, v17 offset0:16 offset1:18
	ds_read2st64_b32 v[16:17], v10 offset0:28 offset1:30
	s_waitcnt lgkmcnt(3)
	v_pk_mul_f32 v[12:13], v[2:3], v[12:13]
	ds_write2st64_b32 v10, v12, v13 offset0:20 offset1:22
	s_waitcnt lgkmcnt(3)
	v_pk_mul_f32 v[12:13], v[2:3], v[18:19]
	ds_write2st64_b32 v10, v12, v13 offset0:24 offset1:26
	s_waitcnt lgkmcnt(2)
	v_pk_mul_f32 v[12:13], v[2:3], v[16:17]
	s_add_i32 s15, s15, 16
	v_cmp_eq_u32_e32 vcc, 0, v9
	ds_write2st64_b32 v10, v12, v13 offset0:28 offset1:30
	v_add_u32_e32 v10, 0x2000, v10
	s_or_b64 s[16:17], vcc, s[16:17]
	v_mov_b32_e32 v11, s15
	s_andn2_b64 exec, exec, s[16:17]
	s_cbranch_execnz .LBB142_36
; %bb.37:
	s_or_b64 exec, exec, s[16:17]
.LBB142_38:
	s_or_b64 exec, exec, s[10:11]
	v_and_b32_e32 v7, 7, v7
	v_cmp_ne_u32_e32 vcc, 0, v7
	s_and_saveexec_b64 s[10:11], vcc
	s_cbranch_execz .LBB142_41
; %bb.39:
	v_lshlrev_b32_e32 v9, 9, v11
	v_lshlrev_b32_e32 v10, 2, v0
	s_movk_i32 s15, 0x210
	v_add3_u32 v9, v9, v10, s15
	s_mov_b64 s[16:17], 0
.LBB142_40:                             ; =>This Inner Loop Header: Depth=1
	ds_read2st64_b32 v[10:11], v9 offset1:2
	v_add_u32_e32 v7, -1, v7
	v_cmp_eq_u32_e32 vcc, 0, v7
	s_or_b64 s[16:17], vcc, s[16:17]
	s_waitcnt lgkmcnt(0)
	v_pk_mul_f32 v[10:11], v[2:3], v[10:11]
	ds_write2st64_b32 v9, v10, v11 offset1:2
	v_add_u32_e32 v9, 0x400, v9
	s_andn2_b64 exec, exec, s[16:17]
	s_cbranch_execnz .LBB142_40
.LBB142_41:
	s_or_b64 exec, exec, s[10:11]
	v_add_u32_e32 v6, 1, v6
	v_and_b32_e32 v7, 0x3fffffe, v6
	v_cmp_ne_u32_e32 vcc, v6, v7
	v_lshl_add_u32 v3, v7, 7, v0
	s_orn2_b64 s[10:11], vcc, exec
.LBB142_42:
	s_or_b64 exec, exec, s[8:9]
	s_and_b64 exec, exec, s[10:11]
	s_cbranch_execz .LBB142_45
; %bb.43:
	v_mov_b32_e32 v6, 0x210
	v_lshl_add_u32 v6, v3, 2, v6
	s_mov_b64 s[8:9], 0
.LBB142_44:                             ; =>This Inner Loop Header: Depth=1
	ds_read_b32 v7, v6
	v_add_u32_e32 v3, 0x80, v3
	v_cmp_le_i32_e32 vcc, s3, v3
	s_or_b64 s[8:9], vcc, s[8:9]
	s_waitcnt lgkmcnt(0)
	v_mul_f32_e32 v7, v2, v7
	ds_write_b32 v6, v7
	v_add_u32_e32 v6, 0x200, v6
	s_andn2_b64 exec, exec, s[8:9]
	s_cbranch_execnz .LBB142_44
.LBB142_45:
	s_or_b64 exec, exec, s[6:7]
	s_mul_i32 s3, s33, s34
	s_mov_b32 s8, 0
	v_cmp_eq_u32_e32 vcc, 0, v0
	s_mul_i32 s6, s3, s5
	s_waitcnt lgkmcnt(0)
	s_barrier
	s_and_saveexec_b64 s[10:11], vcc
	s_cbranch_execz .LBB142_47
; %bb.46:
	s_ashr_i32 s7, s6, 31
	s_lshl_b64 s[16:17], s[6:7], 2
	s_add_u32 s5, s22, s16
	s_mul_i32 s2, s33, s2
	s_addc_u32 s7, s23, s17
	s_ashr_i32 s3, s2, 31
	s_lshl_b64 s[2:3], s[2:3], 2
	s_add_u32 s9, s5, s2
	s_addc_u32 s7, s7, s3
	s_ashr_i32 s5, s4, 31
	s_lshl_b64 s[22:23], s[4:5], 2
	s_add_u32 s40, s9, s22
	s_addc_u32 s41, s7, s23
	s_add_u32 s5, s20, s16
	s_addc_u32 s7, s21, s17
	;; [unrolled: 2-line block ×3, first 2 shown]
	s_add_u32 s2, s2, s22
	v_mov_b32_e32 v2, 0
	s_addc_u32 s3, s3, s23
	global_store_dword v2, v4, s[40:41]
	global_store_dword v2, v5, s[2:3]
.LBB142_47:
	s_or_b64 exec, exec, s[10:11]
	s_mov_b32 s9, s8
	s_mov_b32 s10, s8
	;; [unrolled: 1-line block ×3, first 2 shown]
	v_mov_b64_e32 v[2:3], s[8:9]
	v_mov_b64_e32 v[4:5], s[10:11]
	s_and_saveexec_b64 s[2:3], s[0:1]
	s_cbranch_execz .LBB142_221
; %bb.48:
	s_ashr_i32 s15, s14, 31
	s_sub_i32 s5, s48, s25
	s_lshl_b64 s[0:1], s[14:15], 1
	s_add_u32 s0, s18, s0
	s_addc_u32 s1, s19, s1
	s_abs_i32 s7, s26
	v_cvt_f32_u32_e32 v2, s7
	v_mov_b32_e32 v17, 0
	v_lshlrev_b32_e32 v16, 4, v22
	s_sub_i32 s8, 0, s7
	v_rcp_iflag_f32_e32 v2, v2
	s_add_i32 s15, s12, -1
	v_lshl_add_u64 v[18:19], s[0:1], 0, v[16:17]
	s_lshl_b64 s[0:1], s[38:39], 2
	v_mul_f32_e32 v2, 0x4f7ffffe, v2
	v_cvt_u32_f32_e32 v2, v2
	s_mov_b32 s16, 0
	s_add_u32 s0, s36, s0
	s_addc_u32 s1, s37, s1
	v_mul_lo_u32 v3, s8, v2
	v_mul_hi_u32 v3, v2, v3
	v_add_u32_e32 v16, v2, v3
	v_mov_b32_e32 v2, 0x210
	s_mov_b32 s17, s16
	v_lshl_add_u64 v[20:21], v[14:15], 2, s[0:1]
	v_lshl_add_u32 v15, v8, 5, v2
	s_mov_b32 s18, s16
	s_mov_b32 s19, s16
	v_mov_b64_e32 v[2:3], s[16:17]
	s_mov_b32 s14, s13
	s_mov_b64 s[8:9], 0
	v_mov_b64_e32 v[4:5], s[18:19]
	s_mov_b32 s16, 0x7f800000
	s_movk_i32 s17, 0x7fff
	s_branch .LBB142_51
.LBB142_49:                             ;   in Loop: Header=BB142_51 Depth=1
	s_or_b64 exec, exec, s[0:1]
	v_and_b32_e32 v30, 0xffff0000, v26
	v_and_b32_e32 v26, 0xffff0000, v25
	v_and_b32_e32 v25, 0xffff0000, v24
	v_and_b32_e32 v24, 0xffff0000, v13
	v_and_b32_e32 v13, 0xffff0000, v23
	v_and_b32_e32 v12, 0xffff0000, v12
	v_and_b32_e32 v31, 0xffff0000, v35
	v_and_b32_e32 v27, 0xffff0000, v27
	v_pk_add_f32 v[12:13], v[12:13], v[24:25]
	v_pk_add_f32 v[24:25], v[26:27], v[30:31]
	v_add_f32_e32 v12, v12, v13
	v_add_f32_e32 v12, v12, v24
	;; [unrolled: 1-line block ×3, first 2 shown]
	v_and_b32_e32 v27, 0xffff0000, v47
	v_and_b32_e32 v26, 0xffff0000, v45
	v_and_b32_e32 v31, 0xffff0000, v46
	v_and_b32_e32 v30, 0xffff0000, v44
	v_add_f32_e32 v2, v2, v12
	v_and_b32_e32 v13, 0xffff0000, v51
	v_and_b32_e32 v12, 0xffff0000, v49
	;; [unrolled: 1-line block ×4, first 2 shown]
	v_pk_add_f32 v[26:27], v[30:31], v[26:27]
	v_pk_add_f32 v[12:13], v[24:25], v[12:13]
	v_add_f32_e32 v23, v26, v27
	v_add_f32_e32 v12, v23, v12
	;; [unrolled: 1-line block ×3, first 2 shown]
	v_and_b32_e32 v27, 0xffff0000, v55
	v_and_b32_e32 v26, 0xffff0000, v53
	;; [unrolled: 1-line block ×4, first 2 shown]
	v_add_f32_e32 v3, v3, v12
	v_and_b32_e32 v13, 0xffff0000, v59
	v_and_b32_e32 v12, 0xffff0000, v57
	;; [unrolled: 1-line block ×4, first 2 shown]
	v_pk_add_f32 v[26:27], v[30:31], v[26:27]
	v_pk_add_f32 v[12:13], v[24:25], v[12:13]
	v_add_f32_e32 v23, v26, v27
	v_add_f32_e32 v12, v23, v12
	;; [unrolled: 1-line block ×3, first 2 shown]
	v_and_b32_e32 v13, 0xffff0000, v11
	v_and_b32_e32 v11, 0xffff0000, v28
	;; [unrolled: 1-line block ×5, first 2 shown]
	v_add_f32_e32 v4, v4, v12
	v_and_b32_e32 v12, 0xffff0000, v29
	v_and_b32_e32 v9, 0xffff0000, v9
	;; [unrolled: 1-line block ×3, first 2 shown]
	v_pk_add_f32 v[6:7], v[6:7], v[10:11]
	v_pk_add_f32 v[8:9], v[8:9], v[12:13]
	v_add_f32_e32 v6, v6, v7
	v_add_f32_e32 v6, v6, v8
	v_add_f32_e32 v6, v6, v9
	v_add_f32_e32 v5, v5, v6
.LBB142_50:                             ;   in Loop: Header=BB142_51 Depth=1
	s_or_b64 exec, exec, s[10:11]
	v_add_u32_e32 v14, 2, v14
	v_cmp_le_i32_e32 vcc, s24, v14
	v_lshl_add_u64 v[20:21], v[20:21], 0, 8
	v_add_u32_e32 v1, 16, v1
	s_or_b64 s[8:9], vcc, s[8:9]
	v_add_u32_e32 v15, 64, v15
	s_andn2_b64 exec, exec, s[8:9]
	s_cbranch_execz .LBB142_220
.LBB142_51:                             ; =>This Inner Loop Header: Depth=1
	v_sub_u32_e32 v7, 0, v1
	v_max_i32_e32 v7, v1, v7
	v_mul_hi_u32 v8, v7, s46
	v_mul_lo_u32 v9, v8, s31
	v_sub_u32_e32 v7, v7, v9
	v_add_u32_e32 v9, 1, v8
	v_cmp_le_u32_e32 vcc, s31, v7
	v_ashrrev_i32_e32 v6, 31, v1
	v_xor_b32_e32 v6, s27, v6
	v_cndmask_b32_e32 v8, v8, v9, vcc
	v_subrev_u32_e32 v9, s31, v7
	v_cndmask_b32_e32 v7, v7, v9, vcc
	v_add_u32_e32 v9, 1, v8
	v_cmp_le_u32_e32 vcc, s31, v7
	s_nop 1
	v_cndmask_b32_e32 v7, v8, v9, vcc
	v_xor_b32_e32 v7, v7, v6
	v_sub_u32_e32 v6, v7, v6
	v_add_u32_e32 v7, s47, v6
	v_sub_u32_e32 v9, 0, v7
	v_ashrrev_i32_e32 v8, 31, v7
	v_max_i32_e32 v7, v7, v9
	v_mul_hi_u32 v9, v7, v16
	v_mul_lo_u32 v9, v9, s7
	v_sub_u32_e32 v7, v7, v9
	v_subrev_u32_e32 v9, s7, v7
	v_cmp_le_u32_e32 vcc, s7, v7
	v_cmp_lt_i32_e64 s[0:1], s5, v6
	s_nop 0
	v_cndmask_b32_e32 v7, v7, v9, vcc
	v_subrev_u32_e32 v9, s7, v7
	v_cmp_le_u32_e32 vcc, s7, v7
	s_nop 1
	v_cndmask_b32_e32 v7, v7, v9, vcc
	v_xor_b32_e32 v7, v7, v8
	v_sub_u32_e32 v7, v7, v8
	v_cmp_eq_u32_e32 vcc, 0, v7
	s_or_b64 s[0:1], vcc, s[0:1]
	s_and_saveexec_b64 s[10:11], s[0:1]
	s_cbranch_execz .LBB142_50
; %bb.52:                               ;   in Loop: Header=BB142_51 Depth=1
	global_load_dword v28, v[20:21], off
	ds_read2_b64 v[10:13], v15 offset1:1
	ds_read2_b64 v[6:9], v15 offset0:2 offset1:3
                                        ; implicit-def: $vgpr36
	s_waitcnt lgkmcnt(1)
	v_and_b32_e32 v23, 0x7f800000, v10
	v_cmp_ne_u32_e32 vcc, s16, v23
	s_and_saveexec_b64 s[0:1], vcc
	s_xor_b64 s[0:1], exec, s[0:1]
; %bb.53:                               ;   in Loop: Header=BB142_51 Depth=1
	v_bfe_u32 v23, v10, 16, 1
	v_add3_u32 v36, v10, v23, s17
; %bb.54:                               ;   in Loop: Header=BB142_51 Depth=1
	s_andn2_saveexec_b64 s[0:1], s[0:1]
; %bb.55:                               ;   in Loop: Header=BB142_51 Depth=1
	v_or_b32_e32 v23, 0x10000, v10
	v_cmp_eq_u32_sdwa vcc, v10, v17 src0_sel:WORD_0 src1_sel:DWORD
	s_nop 1
	v_cndmask_b32_e32 v36, v23, v10, vcc
; %bb.56:                               ;   in Loop: Header=BB142_51 Depth=1
	s_or_b64 exec, exec, s[0:1]
	v_and_b32_e32 v10, 0x7f800000, v11
	v_cmp_ne_u32_e32 vcc, s16, v10
                                        ; implicit-def: $vgpr37
	s_and_saveexec_b64 s[0:1], vcc
	s_xor_b64 s[0:1], exec, s[0:1]
; %bb.57:                               ;   in Loop: Header=BB142_51 Depth=1
	v_bfe_u32 v10, v11, 16, 1
	v_add3_u32 v37, v11, v10, s17
; %bb.58:                               ;   in Loop: Header=BB142_51 Depth=1
	s_andn2_saveexec_b64 s[0:1], s[0:1]
; %bb.59:                               ;   in Loop: Header=BB142_51 Depth=1
	v_or_b32_e32 v10, 0x10000, v11
	v_cmp_eq_u32_sdwa vcc, v11, v17 src0_sel:WORD_0 src1_sel:DWORD
	s_nop 1
	v_cndmask_b32_e32 v37, v10, v11, vcc
; %bb.60:                               ;   in Loop: Header=BB142_51 Depth=1
	s_or_b64 exec, exec, s[0:1]
	v_and_b32_e32 v10, 0x7f800000, v12
	v_cmp_ne_u32_e32 vcc, s16, v10
                                        ; implicit-def: $vgpr23
	s_and_saveexec_b64 s[0:1], vcc
	s_xor_b64 s[0:1], exec, s[0:1]
; %bb.61:                               ;   in Loop: Header=BB142_51 Depth=1
	v_bfe_u32 v10, v12, 16, 1
	v_add3_u32 v23, v12, v10, s17
; %bb.62:                               ;   in Loop: Header=BB142_51 Depth=1
	s_andn2_saveexec_b64 s[0:1], s[0:1]
; %bb.63:                               ;   in Loop: Header=BB142_51 Depth=1
	v_or_b32_e32 v10, 0x10000, v12
	v_cmp_eq_u32_sdwa vcc, v12, v17 src0_sel:WORD_0 src1_sel:DWORD
	s_nop 1
	v_cndmask_b32_e32 v23, v10, v12, vcc
; %bb.64:                               ;   in Loop: Header=BB142_51 Depth=1
	s_or_b64 exec, exec, s[0:1]
	v_and_b32_e32 v10, 0x7f800000, v13
	v_cmp_ne_u32_e32 vcc, s16, v10
                                        ; implicit-def: $vgpr24
	s_and_saveexec_b64 s[0:1], vcc
	s_xor_b64 s[0:1], exec, s[0:1]
; %bb.65:                               ;   in Loop: Header=BB142_51 Depth=1
	v_bfe_u32 v10, v13, 16, 1
	v_add3_u32 v24, v13, v10, s17
                                        ; implicit-def: $vgpr10_vgpr11_vgpr12_vgpr13
; %bb.66:                               ;   in Loop: Header=BB142_51 Depth=1
	s_andn2_saveexec_b64 s[0:1], s[0:1]
; %bb.67:                               ;   in Loop: Header=BB142_51 Depth=1
	v_or_b32_e32 v10, 0x10000, v13
	v_cmp_eq_u32_sdwa vcc, v13, v17 src0_sel:WORD_0 src1_sel:DWORD
	s_nop 1
	v_cndmask_b32_e32 v24, v10, v13, vcc
; %bb.68:                               ;   in Loop: Header=BB142_51 Depth=1
	s_or_b64 exec, exec, s[0:1]
	s_waitcnt lgkmcnt(0)
	v_and_b32_e32 v10, 0x7f800000, v6
	v_cmp_ne_u32_e32 vcc, s16, v10
                                        ; implicit-def: $vgpr25
	s_and_saveexec_b64 s[0:1], vcc
	s_xor_b64 s[0:1], exec, s[0:1]
; %bb.69:                               ;   in Loop: Header=BB142_51 Depth=1
	v_bfe_u32 v10, v6, 16, 1
	v_add3_u32 v25, v6, v10, s17
; %bb.70:                               ;   in Loop: Header=BB142_51 Depth=1
	s_andn2_saveexec_b64 s[0:1], s[0:1]
; %bb.71:                               ;   in Loop: Header=BB142_51 Depth=1
	v_or_b32_e32 v10, 0x10000, v6
	v_cmp_eq_u32_sdwa vcc, v6, v17 src0_sel:WORD_0 src1_sel:DWORD
	s_nop 1
	v_cndmask_b32_e32 v25, v10, v6, vcc
; %bb.72:                               ;   in Loop: Header=BB142_51 Depth=1
	s_or_b64 exec, exec, s[0:1]
	v_and_b32_e32 v6, 0x7f800000, v7
	v_cmp_ne_u32_e32 vcc, s16, v6
                                        ; implicit-def: $vgpr26
	s_and_saveexec_b64 s[0:1], vcc
	s_xor_b64 s[0:1], exec, s[0:1]
; %bb.73:                               ;   in Loop: Header=BB142_51 Depth=1
	v_bfe_u32 v6, v7, 16, 1
	v_add3_u32 v26, v7, v6, s17
; %bb.74:                               ;   in Loop: Header=BB142_51 Depth=1
	s_andn2_saveexec_b64 s[0:1], s[0:1]
; %bb.75:                               ;   in Loop: Header=BB142_51 Depth=1
	v_or_b32_e32 v6, 0x10000, v7
	v_cmp_eq_u32_sdwa vcc, v7, v17 src0_sel:WORD_0 src1_sel:DWORD
	s_nop 1
	v_cndmask_b32_e32 v26, v6, v7, vcc
; %bb.76:                               ;   in Loop: Header=BB142_51 Depth=1
	s_or_b64 exec, exec, s[0:1]
	v_and_b32_e32 v6, 0x7f800000, v8
	v_cmp_ne_u32_e32 vcc, s16, v6
                                        ; implicit-def: $vgpr27
	s_and_saveexec_b64 s[0:1], vcc
	s_xor_b64 s[0:1], exec, s[0:1]
; %bb.77:                               ;   in Loop: Header=BB142_51 Depth=1
	v_bfe_u32 v6, v8, 16, 1
	v_add3_u32 v27, v8, v6, s17
; %bb.78:                               ;   in Loop: Header=BB142_51 Depth=1
	s_andn2_saveexec_b64 s[0:1], s[0:1]
; %bb.79:                               ;   in Loop: Header=BB142_51 Depth=1
	v_or_b32_e32 v6, 0x10000, v8
	v_cmp_eq_u32_sdwa vcc, v8, v17 src0_sel:WORD_0 src1_sel:DWORD
	s_nop 1
	v_cndmask_b32_e32 v27, v6, v8, vcc
; %bb.80:                               ;   in Loop: Header=BB142_51 Depth=1
	s_or_b64 exec, exec, s[0:1]
	v_and_b32_e32 v6, 0x7f800000, v9
	v_cmp_ne_u32_e32 vcc, s16, v6
                                        ; implicit-def: $vgpr35
	s_and_saveexec_b64 s[0:1], vcc
	s_xor_b64 s[0:1], exec, s[0:1]
; %bb.81:                               ;   in Loop: Header=BB142_51 Depth=1
	v_bfe_u32 v6, v9, 16, 1
	v_add3_u32 v35, v9, v6, s17
                                        ; implicit-def: $vgpr6_vgpr7_vgpr8_vgpr9
; %bb.82:                               ;   in Loop: Header=BB142_51 Depth=1
	s_andn2_saveexec_b64 s[0:1], s[0:1]
; %bb.83:                               ;   in Loop: Header=BB142_51 Depth=1
	v_or_b32_e32 v6, 0x10000, v9
	v_cmp_eq_u32_sdwa vcc, v9, v17 src0_sel:WORD_0 src1_sel:DWORD
	s_nop 1
	v_cndmask_b32_e32 v35, v6, v9, vcc
; %bb.84:                               ;   in Loop: Header=BB142_51 Depth=1
	s_or_b64 exec, exec, s[0:1]
	s_waitcnt vmcnt(0)
	v_mad_i64_i32 v[6:7], s[0:1], v28, s14, 0
	v_lshl_add_u64 v[10:11], v[6:7], 1, v[18:19]
	global_load_dwordx4 v[6:9], v[10:11], off
	v_cmp_eq_u32_e32 vcc, s15, v14
	v_add_u32_e32 v34, 1, v1
	v_add_u32_e32 v33, 2, v1
	;; [unrolled: 1-line block ×7, first 2 shown]
	s_waitcnt vmcnt(0)
	v_lshrrev_b32_e32 v13, 16, v6
	v_lshrrev_b32_e32 v40, 16, v7
	;; [unrolled: 1-line block ×4, first 2 shown]
	s_and_saveexec_b64 s[12:13], vcc
	s_cbranch_execz .LBB142_86
; %bb.85:                               ;   in Loop: Header=BB142_51 Depth=1
	v_cmp_gt_i32_e64 s[0:1], s35, v1
	s_nop 1
	v_cndmask_b32_e64 v6, 0, v6, s[0:1]
	v_cmp_gt_i32_e64 s[0:1], s35, v34
	s_nop 1
	v_cndmask_b32_e64 v13, 0, v13, s[0:1]
	;; [unrolled: 3-line block ×8, first 2 shown]
.LBB142_86:                             ;   in Loop: Header=BB142_51 Depth=1
	s_or_b64 exec, exec, s[12:13]
	v_and_b32_e32 v36, 0xffff0000, v36
	v_lshlrev_b32_e32 v6, 16, v6
	v_mul_f32_e32 v6, v36, v6
	v_and_b32_e32 v12, 0x7f800000, v6
	v_cmp_ne_u32_e64 s[0:1], s16, v12
                                        ; implicit-def: $vgpr12
	s_and_saveexec_b64 s[12:13], s[0:1]
	s_xor_b64 s[0:1], exec, s[12:13]
; %bb.87:                               ;   in Loop: Header=BB142_51 Depth=1
	v_bfe_u32 v12, v6, 16, 1
	v_add3_u32 v12, v6, v12, s17
                                        ; implicit-def: $vgpr6
; %bb.88:                               ;   in Loop: Header=BB142_51 Depth=1
	s_andn2_saveexec_b64 s[12:13], s[0:1]
; %bb.89:                               ;   in Loop: Header=BB142_51 Depth=1
	v_or_b32_e32 v12, 0x10000, v6
	v_cmp_eq_u32_sdwa s[0:1], v6, v17 src0_sel:WORD_0 src1_sel:DWORD
	s_nop 1
	v_cndmask_b32_e64 v12, v12, v6, s[0:1]
; %bb.90:                               ;   in Loop: Header=BB142_51 Depth=1
	s_or_b64 exec, exec, s[12:13]
	v_and_b32_e32 v37, 0xffff0000, v37
	v_lshlrev_b32_e32 v6, 16, v13
	v_mul_f32_e32 v6, v37, v6
	v_and_b32_e32 v13, 0x7f800000, v6
	v_cmp_ne_u32_e64 s[0:1], s16, v13
                                        ; implicit-def: $vgpr13
	s_and_saveexec_b64 s[12:13], s[0:1]
	s_xor_b64 s[0:1], exec, s[12:13]
; %bb.91:                               ;   in Loop: Header=BB142_51 Depth=1
	v_bfe_u32 v13, v6, 16, 1
	v_add3_u32 v13, v6, v13, s17
                                        ; implicit-def: $vgpr6
; %bb.92:                               ;   in Loop: Header=BB142_51 Depth=1
	s_andn2_saveexec_b64 s[12:13], s[0:1]
; %bb.93:                               ;   in Loop: Header=BB142_51 Depth=1
	v_or_b32_e32 v13, 0x10000, v6
	v_cmp_eq_u32_sdwa s[0:1], v6, v17 src0_sel:WORD_0 src1_sel:DWORD
	s_nop 1
	v_cndmask_b32_e64 v13, v13, v6, s[0:1]
; %bb.94:                               ;   in Loop: Header=BB142_51 Depth=1
	s_or_b64 exec, exec, s[12:13]
	v_and_b32_e32 v38, 0xffff0000, v23
	v_lshlrev_b32_e32 v6, 16, v7
	v_mul_f32_e32 v6, v38, v6
	v_and_b32_e32 v7, 0x7f800000, v6
	v_cmp_ne_u32_e64 s[0:1], s16, v7
                                        ; implicit-def: $vgpr23
	s_and_saveexec_b64 s[12:13], s[0:1]
	s_xor_b64 s[0:1], exec, s[12:13]
; %bb.95:                               ;   in Loop: Header=BB142_51 Depth=1
	v_bfe_u32 v7, v6, 16, 1
	v_add3_u32 v23, v6, v7, s17
                                        ; implicit-def: $vgpr6
; %bb.96:                               ;   in Loop: Header=BB142_51 Depth=1
	s_andn2_saveexec_b64 s[12:13], s[0:1]
; %bb.97:                               ;   in Loop: Header=BB142_51 Depth=1
	v_or_b32_e32 v7, 0x10000, v6
	v_cmp_eq_u32_sdwa s[0:1], v6, v17 src0_sel:WORD_0 src1_sel:DWORD
	s_nop 1
	v_cndmask_b32_e64 v23, v7, v6, s[0:1]
; %bb.98:                               ;   in Loop: Header=BB142_51 Depth=1
	s_or_b64 exec, exec, s[12:13]
	v_and_b32_e32 v39, 0xffff0000, v24
	v_lshlrev_b32_e32 v6, 16, v40
	v_mul_f32_e32 v6, v39, v6
	v_and_b32_e32 v7, 0x7f800000, v6
	v_cmp_ne_u32_e64 s[0:1], s16, v7
                                        ; implicit-def: $vgpr24
	s_and_saveexec_b64 s[12:13], s[0:1]
	s_xor_b64 s[0:1], exec, s[12:13]
; %bb.99:                               ;   in Loop: Header=BB142_51 Depth=1
	v_bfe_u32 v7, v6, 16, 1
	v_add3_u32 v24, v6, v7, s17
                                        ; implicit-def: $vgpr6
; %bb.100:                              ;   in Loop: Header=BB142_51 Depth=1
	s_andn2_saveexec_b64 s[12:13], s[0:1]
; %bb.101:                              ;   in Loop: Header=BB142_51 Depth=1
	v_or_b32_e32 v7, 0x10000, v6
	v_cmp_eq_u32_sdwa s[0:1], v6, v17 src0_sel:WORD_0 src1_sel:DWORD
	s_nop 1
	v_cndmask_b32_e64 v24, v7, v6, s[0:1]
; %bb.102:                              ;   in Loop: Header=BB142_51 Depth=1
	s_or_b64 exec, exec, s[12:13]
	v_and_b32_e32 v40, 0xffff0000, v25
	v_lshlrev_b32_e32 v6, 16, v8
	v_mul_f32_e32 v6, v40, v6
	v_and_b32_e32 v7, 0x7f800000, v6
	v_cmp_ne_u32_e64 s[0:1], s16, v7
                                        ; implicit-def: $vgpr25
	s_and_saveexec_b64 s[12:13], s[0:1]
	s_xor_b64 s[0:1], exec, s[12:13]
; %bb.103:                              ;   in Loop: Header=BB142_51 Depth=1
	v_bfe_u32 v7, v6, 16, 1
	v_add3_u32 v25, v6, v7, s17
                                        ; implicit-def: $vgpr6
; %bb.104:                              ;   in Loop: Header=BB142_51 Depth=1
	s_andn2_saveexec_b64 s[12:13], s[0:1]
; %bb.105:                              ;   in Loop: Header=BB142_51 Depth=1
	v_or_b32_e32 v7, 0x10000, v6
	v_cmp_eq_u32_sdwa s[0:1], v6, v17 src0_sel:WORD_0 src1_sel:DWORD
	s_nop 1
	v_cndmask_b32_e64 v25, v7, v6, s[0:1]
; %bb.106:                              ;   in Loop: Header=BB142_51 Depth=1
	s_or_b64 exec, exec, s[12:13]
	v_and_b32_e32 v41, 0xffff0000, v26
	v_lshlrev_b32_e32 v6, 16, v42
	v_mul_f32_e32 v6, v41, v6
	v_and_b32_e32 v7, 0x7f800000, v6
	v_cmp_ne_u32_e64 s[0:1], s16, v7
                                        ; implicit-def: $vgpr26
	s_and_saveexec_b64 s[12:13], s[0:1]
	s_xor_b64 s[0:1], exec, s[12:13]
; %bb.107:                              ;   in Loop: Header=BB142_51 Depth=1
	v_bfe_u32 v7, v6, 16, 1
	v_add3_u32 v26, v6, v7, s17
                                        ; implicit-def: $vgpr6
; %bb.108:                              ;   in Loop: Header=BB142_51 Depth=1
	s_andn2_saveexec_b64 s[12:13], s[0:1]
; %bb.109:                              ;   in Loop: Header=BB142_51 Depth=1
	v_or_b32_e32 v7, 0x10000, v6
	v_cmp_eq_u32_sdwa s[0:1], v6, v17 src0_sel:WORD_0 src1_sel:DWORD
	s_nop 1
	v_cndmask_b32_e64 v26, v7, v6, s[0:1]
; %bb.110:                              ;   in Loop: Header=BB142_51 Depth=1
	s_or_b64 exec, exec, s[12:13]
	v_and_b32_e32 v42, 0xffff0000, v27
	v_lshlrev_b32_e32 v6, 16, v9
	v_mul_f32_e32 v6, v42, v6
	v_and_b32_e32 v7, 0x7f800000, v6
	v_cmp_ne_u32_e64 s[0:1], s16, v7
                                        ; implicit-def: $vgpr27
	s_and_saveexec_b64 s[12:13], s[0:1]
	s_xor_b64 s[0:1], exec, s[12:13]
; %bb.111:                              ;   in Loop: Header=BB142_51 Depth=1
	v_bfe_u32 v7, v6, 16, 1
	v_add3_u32 v27, v6, v7, s17
                                        ; implicit-def: $vgpr6
; %bb.112:                              ;   in Loop: Header=BB142_51 Depth=1
	s_andn2_saveexec_b64 s[12:13], s[0:1]
; %bb.113:                              ;   in Loop: Header=BB142_51 Depth=1
	v_or_b32_e32 v7, 0x10000, v6
	v_cmp_eq_u32_sdwa s[0:1], v6, v17 src0_sel:WORD_0 src1_sel:DWORD
	s_nop 1
	v_cndmask_b32_e64 v27, v7, v6, s[0:1]
; %bb.114:                              ;   in Loop: Header=BB142_51 Depth=1
	s_or_b64 exec, exec, s[12:13]
	v_and_b32_e32 v43, 0xffff0000, v35
	v_lshlrev_b32_e32 v6, 16, v44
	v_mul_f32_e32 v6, v43, v6
	v_and_b32_e32 v7, 0x7f800000, v6
	v_cmp_ne_u32_e64 s[0:1], s16, v7
                                        ; implicit-def: $vgpr35
	s_and_saveexec_b64 s[12:13], s[0:1]
	s_xor_b64 s[0:1], exec, s[12:13]
; %bb.115:                              ;   in Loop: Header=BB142_51 Depth=1
	v_bfe_u32 v7, v6, 16, 1
	v_add3_u32 v35, v6, v7, s17
                                        ; implicit-def: $vgpr6
; %bb.116:                              ;   in Loop: Header=BB142_51 Depth=1
	s_andn2_saveexec_b64 s[12:13], s[0:1]
; %bb.117:                              ;   in Loop: Header=BB142_51 Depth=1
	v_or_b32_e32 v7, 0x10000, v6
	v_cmp_eq_u32_sdwa s[0:1], v6, v17 src0_sel:WORD_0 src1_sel:DWORD
	s_nop 1
	v_cndmask_b32_e64 v35, v7, v6, s[0:1]
; %bb.118:                              ;   in Loop: Header=BB142_51 Depth=1
	s_or_b64 exec, exec, s[12:13]
	global_load_dwordx4 v[6:9], v[10:11], off offset:1024
	s_waitcnt vmcnt(0)
	v_lshrrev_b32_e32 v45, 16, v6
	v_lshrrev_b32_e32 v47, 16, v7
	;; [unrolled: 1-line block ×4, first 2 shown]
	s_and_saveexec_b64 s[12:13], vcc
	s_cbranch_execz .LBB142_120
; %bb.119:                              ;   in Loop: Header=BB142_51 Depth=1
	v_cmp_gt_i32_e64 s[0:1], s35, v1
	s_nop 1
	v_cndmask_b32_e64 v6, 0, v6, s[0:1]
	v_cmp_gt_i32_e64 s[0:1], s35, v34
	s_nop 1
	v_cndmask_b32_e64 v45, 0, v45, s[0:1]
	;; [unrolled: 3-line block ×8, first 2 shown]
.LBB142_120:                            ;   in Loop: Header=BB142_51 Depth=1
	s_or_b64 exec, exec, s[12:13]
	v_lshlrev_b32_e32 v6, 16, v6
	v_mul_f32_e32 v6, v36, v6
	v_and_b32_e32 v44, 0x7f800000, v6
	v_cmp_ne_u32_e64 s[0:1], s16, v44
                                        ; implicit-def: $vgpr44
	s_and_saveexec_b64 s[12:13], s[0:1]
	s_xor_b64 s[0:1], exec, s[12:13]
; %bb.121:                              ;   in Loop: Header=BB142_51 Depth=1
	v_bfe_u32 v44, v6, 16, 1
	v_add3_u32 v44, v6, v44, s17
                                        ; implicit-def: $vgpr6
; %bb.122:                              ;   in Loop: Header=BB142_51 Depth=1
	s_andn2_saveexec_b64 s[12:13], s[0:1]
; %bb.123:                              ;   in Loop: Header=BB142_51 Depth=1
	v_or_b32_e32 v44, 0x10000, v6
	v_cmp_eq_u32_sdwa s[0:1], v6, v17 src0_sel:WORD_0 src1_sel:DWORD
	s_nop 1
	v_cndmask_b32_e64 v44, v44, v6, s[0:1]
; %bb.124:                              ;   in Loop: Header=BB142_51 Depth=1
	s_or_b64 exec, exec, s[12:13]
	v_lshlrev_b32_e32 v6, 16, v45
	v_mul_f32_e32 v6, v37, v6
	v_and_b32_e32 v45, 0x7f800000, v6
	v_cmp_ne_u32_e64 s[0:1], s16, v45
                                        ; implicit-def: $vgpr45
	s_and_saveexec_b64 s[12:13], s[0:1]
	s_xor_b64 s[0:1], exec, s[12:13]
; %bb.125:                              ;   in Loop: Header=BB142_51 Depth=1
	v_bfe_u32 v45, v6, 16, 1
	v_add3_u32 v45, v6, v45, s17
                                        ; implicit-def: $vgpr6
; %bb.126:                              ;   in Loop: Header=BB142_51 Depth=1
	s_andn2_saveexec_b64 s[12:13], s[0:1]
; %bb.127:                              ;   in Loop: Header=BB142_51 Depth=1
	v_or_b32_e32 v45, 0x10000, v6
	v_cmp_eq_u32_sdwa s[0:1], v6, v17 src0_sel:WORD_0 src1_sel:DWORD
	s_nop 1
	v_cndmask_b32_e64 v45, v45, v6, s[0:1]
; %bb.128:                              ;   in Loop: Header=BB142_51 Depth=1
	s_or_b64 exec, exec, s[12:13]
	v_lshlrev_b32_e32 v6, 16, v7
	v_mul_f32_e32 v6, v38, v6
	v_and_b32_e32 v7, 0x7f800000, v6
	v_cmp_ne_u32_e64 s[0:1], s16, v7
                                        ; implicit-def: $vgpr46
	s_and_saveexec_b64 s[12:13], s[0:1]
	s_xor_b64 s[0:1], exec, s[12:13]
; %bb.129:                              ;   in Loop: Header=BB142_51 Depth=1
	v_bfe_u32 v7, v6, 16, 1
	v_add3_u32 v46, v6, v7, s17
                                        ; implicit-def: $vgpr6
; %bb.130:                              ;   in Loop: Header=BB142_51 Depth=1
	s_andn2_saveexec_b64 s[12:13], s[0:1]
; %bb.131:                              ;   in Loop: Header=BB142_51 Depth=1
	v_or_b32_e32 v7, 0x10000, v6
	v_cmp_eq_u32_sdwa s[0:1], v6, v17 src0_sel:WORD_0 src1_sel:DWORD
	s_nop 1
	v_cndmask_b32_e64 v46, v7, v6, s[0:1]
; %bb.132:                              ;   in Loop: Header=BB142_51 Depth=1
	s_or_b64 exec, exec, s[12:13]
	v_lshlrev_b32_e32 v6, 16, v47
	v_mul_f32_e32 v6, v39, v6
	v_and_b32_e32 v7, 0x7f800000, v6
	v_cmp_ne_u32_e64 s[0:1], s16, v7
                                        ; implicit-def: $vgpr47
	s_and_saveexec_b64 s[12:13], s[0:1]
	s_xor_b64 s[0:1], exec, s[12:13]
; %bb.133:                              ;   in Loop: Header=BB142_51 Depth=1
	v_bfe_u32 v7, v6, 16, 1
	v_add3_u32 v47, v6, v7, s17
                                        ; implicit-def: $vgpr6
; %bb.134:                              ;   in Loop: Header=BB142_51 Depth=1
	s_andn2_saveexec_b64 s[12:13], s[0:1]
; %bb.135:                              ;   in Loop: Header=BB142_51 Depth=1
	v_or_b32_e32 v7, 0x10000, v6
	v_cmp_eq_u32_sdwa s[0:1], v6, v17 src0_sel:WORD_0 src1_sel:DWORD
	s_nop 1
	v_cndmask_b32_e64 v47, v7, v6, s[0:1]
; %bb.136:                              ;   in Loop: Header=BB142_51 Depth=1
	s_or_b64 exec, exec, s[12:13]
	v_lshlrev_b32_e32 v6, 16, v8
	v_mul_f32_e32 v6, v40, v6
	v_and_b32_e32 v7, 0x7f800000, v6
	v_cmp_ne_u32_e64 s[0:1], s16, v7
                                        ; implicit-def: $vgpr48
	s_and_saveexec_b64 s[12:13], s[0:1]
	s_xor_b64 s[0:1], exec, s[12:13]
; %bb.137:                              ;   in Loop: Header=BB142_51 Depth=1
	v_bfe_u32 v7, v6, 16, 1
	v_add3_u32 v48, v6, v7, s17
                                        ; implicit-def: $vgpr6
; %bb.138:                              ;   in Loop: Header=BB142_51 Depth=1
	s_andn2_saveexec_b64 s[12:13], s[0:1]
; %bb.139:                              ;   in Loop: Header=BB142_51 Depth=1
	v_or_b32_e32 v7, 0x10000, v6
	v_cmp_eq_u32_sdwa s[0:1], v6, v17 src0_sel:WORD_0 src1_sel:DWORD
	s_nop 1
	v_cndmask_b32_e64 v48, v7, v6, s[0:1]
; %bb.140:                              ;   in Loop: Header=BB142_51 Depth=1
	s_or_b64 exec, exec, s[12:13]
	v_lshlrev_b32_e32 v6, 16, v49
	v_mul_f32_e32 v6, v41, v6
	v_and_b32_e32 v7, 0x7f800000, v6
	v_cmp_ne_u32_e64 s[0:1], s16, v7
                                        ; implicit-def: $vgpr49
	s_and_saveexec_b64 s[12:13], s[0:1]
	s_xor_b64 s[0:1], exec, s[12:13]
; %bb.141:                              ;   in Loop: Header=BB142_51 Depth=1
	v_bfe_u32 v7, v6, 16, 1
	v_add3_u32 v49, v6, v7, s17
                                        ; implicit-def: $vgpr6
; %bb.142:                              ;   in Loop: Header=BB142_51 Depth=1
	s_andn2_saveexec_b64 s[12:13], s[0:1]
; %bb.143:                              ;   in Loop: Header=BB142_51 Depth=1
	v_or_b32_e32 v7, 0x10000, v6
	v_cmp_eq_u32_sdwa s[0:1], v6, v17 src0_sel:WORD_0 src1_sel:DWORD
	s_nop 1
	v_cndmask_b32_e64 v49, v7, v6, s[0:1]
; %bb.144:                              ;   in Loop: Header=BB142_51 Depth=1
	s_or_b64 exec, exec, s[12:13]
	v_lshlrev_b32_e32 v6, 16, v9
	v_mul_f32_e32 v6, v42, v6
	v_and_b32_e32 v7, 0x7f800000, v6
	v_cmp_ne_u32_e64 s[0:1], s16, v7
                                        ; implicit-def: $vgpr50
	s_and_saveexec_b64 s[12:13], s[0:1]
	s_xor_b64 s[0:1], exec, s[12:13]
; %bb.145:                              ;   in Loop: Header=BB142_51 Depth=1
	v_bfe_u32 v7, v6, 16, 1
	v_add3_u32 v50, v6, v7, s17
                                        ; implicit-def: $vgpr6
; %bb.146:                              ;   in Loop: Header=BB142_51 Depth=1
	s_andn2_saveexec_b64 s[12:13], s[0:1]
; %bb.147:                              ;   in Loop: Header=BB142_51 Depth=1
	v_or_b32_e32 v7, 0x10000, v6
	v_cmp_eq_u32_sdwa s[0:1], v6, v17 src0_sel:WORD_0 src1_sel:DWORD
	s_nop 1
	v_cndmask_b32_e64 v50, v7, v6, s[0:1]
; %bb.148:                              ;   in Loop: Header=BB142_51 Depth=1
	s_or_b64 exec, exec, s[12:13]
	v_lshlrev_b32_e32 v6, 16, v51
	v_mul_f32_e32 v6, v43, v6
	v_and_b32_e32 v7, 0x7f800000, v6
	v_cmp_ne_u32_e64 s[0:1], s16, v7
                                        ; implicit-def: $vgpr51
	s_and_saveexec_b64 s[12:13], s[0:1]
	s_xor_b64 s[0:1], exec, s[12:13]
; %bb.149:                              ;   in Loop: Header=BB142_51 Depth=1
	v_bfe_u32 v7, v6, 16, 1
	v_add3_u32 v51, v6, v7, s17
                                        ; implicit-def: $vgpr6
; %bb.150:                              ;   in Loop: Header=BB142_51 Depth=1
	s_andn2_saveexec_b64 s[12:13], s[0:1]
; %bb.151:                              ;   in Loop: Header=BB142_51 Depth=1
	v_or_b32_e32 v7, 0x10000, v6
	v_cmp_eq_u32_sdwa s[0:1], v6, v17 src0_sel:WORD_0 src1_sel:DWORD
	s_nop 1
	v_cndmask_b32_e64 v51, v7, v6, s[0:1]
; %bb.152:                              ;   in Loop: Header=BB142_51 Depth=1
	s_or_b64 exec, exec, s[12:13]
	global_load_dwordx4 v[6:9], v[10:11], off offset:2048
	s_waitcnt vmcnt(0)
	v_lshrrev_b32_e32 v53, 16, v6
	v_lshrrev_b32_e32 v55, 16, v7
	;; [unrolled: 1-line block ×4, first 2 shown]
	s_and_saveexec_b64 s[12:13], vcc
	s_cbranch_execz .LBB142_154
; %bb.153:                              ;   in Loop: Header=BB142_51 Depth=1
	v_cmp_gt_i32_e64 s[0:1], s35, v1
	s_nop 1
	v_cndmask_b32_e64 v6, 0, v6, s[0:1]
	v_cmp_gt_i32_e64 s[0:1], s35, v34
	s_nop 1
	v_cndmask_b32_e64 v53, 0, v53, s[0:1]
	;; [unrolled: 3-line block ×8, first 2 shown]
.LBB142_154:                            ;   in Loop: Header=BB142_51 Depth=1
	s_or_b64 exec, exec, s[12:13]
	v_lshlrev_b32_e32 v6, 16, v6
	v_mul_f32_e32 v6, v36, v6
	v_and_b32_e32 v52, 0x7f800000, v6
	v_cmp_ne_u32_e64 s[0:1], s16, v52
                                        ; implicit-def: $vgpr52
	s_and_saveexec_b64 s[12:13], s[0:1]
	s_xor_b64 s[0:1], exec, s[12:13]
; %bb.155:                              ;   in Loop: Header=BB142_51 Depth=1
	v_bfe_u32 v52, v6, 16, 1
	v_add3_u32 v52, v6, v52, s17
                                        ; implicit-def: $vgpr6
; %bb.156:                              ;   in Loop: Header=BB142_51 Depth=1
	s_andn2_saveexec_b64 s[12:13], s[0:1]
; %bb.157:                              ;   in Loop: Header=BB142_51 Depth=1
	v_or_b32_e32 v52, 0x10000, v6
	v_cmp_eq_u32_sdwa s[0:1], v6, v17 src0_sel:WORD_0 src1_sel:DWORD
	s_nop 1
	v_cndmask_b32_e64 v52, v52, v6, s[0:1]
; %bb.158:                              ;   in Loop: Header=BB142_51 Depth=1
	s_or_b64 exec, exec, s[12:13]
	v_lshlrev_b32_e32 v6, 16, v53
	v_mul_f32_e32 v6, v37, v6
	v_and_b32_e32 v53, 0x7f800000, v6
	v_cmp_ne_u32_e64 s[0:1], s16, v53
                                        ; implicit-def: $vgpr53
	s_and_saveexec_b64 s[12:13], s[0:1]
	s_xor_b64 s[0:1], exec, s[12:13]
; %bb.159:                              ;   in Loop: Header=BB142_51 Depth=1
	v_bfe_u32 v53, v6, 16, 1
	v_add3_u32 v53, v6, v53, s17
                                        ; implicit-def: $vgpr6
; %bb.160:                              ;   in Loop: Header=BB142_51 Depth=1
	s_andn2_saveexec_b64 s[12:13], s[0:1]
; %bb.161:                              ;   in Loop: Header=BB142_51 Depth=1
	v_or_b32_e32 v53, 0x10000, v6
	v_cmp_eq_u32_sdwa s[0:1], v6, v17 src0_sel:WORD_0 src1_sel:DWORD
	s_nop 1
	v_cndmask_b32_e64 v53, v53, v6, s[0:1]
; %bb.162:                              ;   in Loop: Header=BB142_51 Depth=1
	s_or_b64 exec, exec, s[12:13]
	v_lshlrev_b32_e32 v6, 16, v7
	v_mul_f32_e32 v6, v38, v6
	v_and_b32_e32 v7, 0x7f800000, v6
	v_cmp_ne_u32_e64 s[0:1], s16, v7
                                        ; implicit-def: $vgpr54
	s_and_saveexec_b64 s[12:13], s[0:1]
	s_xor_b64 s[0:1], exec, s[12:13]
; %bb.163:                              ;   in Loop: Header=BB142_51 Depth=1
	v_bfe_u32 v7, v6, 16, 1
	v_add3_u32 v54, v6, v7, s17
                                        ; implicit-def: $vgpr6
; %bb.164:                              ;   in Loop: Header=BB142_51 Depth=1
	s_andn2_saveexec_b64 s[12:13], s[0:1]
; %bb.165:                              ;   in Loop: Header=BB142_51 Depth=1
	v_or_b32_e32 v7, 0x10000, v6
	v_cmp_eq_u32_sdwa s[0:1], v6, v17 src0_sel:WORD_0 src1_sel:DWORD
	s_nop 1
	v_cndmask_b32_e64 v54, v7, v6, s[0:1]
; %bb.166:                              ;   in Loop: Header=BB142_51 Depth=1
	s_or_b64 exec, exec, s[12:13]
	v_lshlrev_b32_e32 v6, 16, v55
	v_mul_f32_e32 v6, v39, v6
	v_and_b32_e32 v7, 0x7f800000, v6
	v_cmp_ne_u32_e64 s[0:1], s16, v7
                                        ; implicit-def: $vgpr55
	s_and_saveexec_b64 s[12:13], s[0:1]
	s_xor_b64 s[0:1], exec, s[12:13]
; %bb.167:                              ;   in Loop: Header=BB142_51 Depth=1
	v_bfe_u32 v7, v6, 16, 1
	v_add3_u32 v55, v6, v7, s17
                                        ; implicit-def: $vgpr6
; %bb.168:                              ;   in Loop: Header=BB142_51 Depth=1
	s_andn2_saveexec_b64 s[12:13], s[0:1]
; %bb.169:                              ;   in Loop: Header=BB142_51 Depth=1
	v_or_b32_e32 v7, 0x10000, v6
	v_cmp_eq_u32_sdwa s[0:1], v6, v17 src0_sel:WORD_0 src1_sel:DWORD
	s_nop 1
	v_cndmask_b32_e64 v55, v7, v6, s[0:1]
; %bb.170:                              ;   in Loop: Header=BB142_51 Depth=1
	s_or_b64 exec, exec, s[12:13]
	v_lshlrev_b32_e32 v6, 16, v8
	v_mul_f32_e32 v6, v40, v6
	v_and_b32_e32 v7, 0x7f800000, v6
	v_cmp_ne_u32_e64 s[0:1], s16, v7
                                        ; implicit-def: $vgpr56
	s_and_saveexec_b64 s[12:13], s[0:1]
	s_xor_b64 s[0:1], exec, s[12:13]
; %bb.171:                              ;   in Loop: Header=BB142_51 Depth=1
	v_bfe_u32 v7, v6, 16, 1
	v_add3_u32 v56, v6, v7, s17
                                        ; implicit-def: $vgpr6
; %bb.172:                              ;   in Loop: Header=BB142_51 Depth=1
	s_andn2_saveexec_b64 s[12:13], s[0:1]
; %bb.173:                              ;   in Loop: Header=BB142_51 Depth=1
	v_or_b32_e32 v7, 0x10000, v6
	v_cmp_eq_u32_sdwa s[0:1], v6, v17 src0_sel:WORD_0 src1_sel:DWORD
	s_nop 1
	v_cndmask_b32_e64 v56, v7, v6, s[0:1]
; %bb.174:                              ;   in Loop: Header=BB142_51 Depth=1
	s_or_b64 exec, exec, s[12:13]
	v_lshlrev_b32_e32 v6, 16, v57
	v_mul_f32_e32 v6, v41, v6
	v_and_b32_e32 v7, 0x7f800000, v6
	v_cmp_ne_u32_e64 s[0:1], s16, v7
                                        ; implicit-def: $vgpr57
	s_and_saveexec_b64 s[12:13], s[0:1]
	s_xor_b64 s[0:1], exec, s[12:13]
; %bb.175:                              ;   in Loop: Header=BB142_51 Depth=1
	v_bfe_u32 v7, v6, 16, 1
	v_add3_u32 v57, v6, v7, s17
                                        ; implicit-def: $vgpr6
; %bb.176:                              ;   in Loop: Header=BB142_51 Depth=1
	s_andn2_saveexec_b64 s[12:13], s[0:1]
; %bb.177:                              ;   in Loop: Header=BB142_51 Depth=1
	v_or_b32_e32 v7, 0x10000, v6
	v_cmp_eq_u32_sdwa s[0:1], v6, v17 src0_sel:WORD_0 src1_sel:DWORD
	s_nop 1
	v_cndmask_b32_e64 v57, v7, v6, s[0:1]
; %bb.178:                              ;   in Loop: Header=BB142_51 Depth=1
	s_or_b64 exec, exec, s[12:13]
	v_lshlrev_b32_e32 v6, 16, v9
	v_mul_f32_e32 v6, v42, v6
	v_and_b32_e32 v7, 0x7f800000, v6
	v_cmp_ne_u32_e64 s[0:1], s16, v7
                                        ; implicit-def: $vgpr58
	s_and_saveexec_b64 s[12:13], s[0:1]
	s_xor_b64 s[0:1], exec, s[12:13]
; %bb.179:                              ;   in Loop: Header=BB142_51 Depth=1
	v_bfe_u32 v7, v6, 16, 1
	v_add3_u32 v58, v6, v7, s17
                                        ; implicit-def: $vgpr6
; %bb.180:                              ;   in Loop: Header=BB142_51 Depth=1
	s_andn2_saveexec_b64 s[12:13], s[0:1]
; %bb.181:                              ;   in Loop: Header=BB142_51 Depth=1
	v_or_b32_e32 v7, 0x10000, v6
	v_cmp_eq_u32_sdwa s[0:1], v6, v17 src0_sel:WORD_0 src1_sel:DWORD
	s_nop 1
	v_cndmask_b32_e64 v58, v7, v6, s[0:1]
; %bb.182:                              ;   in Loop: Header=BB142_51 Depth=1
	s_or_b64 exec, exec, s[12:13]
	v_lshlrev_b32_e32 v6, 16, v59
	v_mul_f32_e32 v6, v43, v6
	v_and_b32_e32 v7, 0x7f800000, v6
	v_cmp_ne_u32_e64 s[0:1], s16, v7
                                        ; implicit-def: $vgpr59
	s_and_saveexec_b64 s[12:13], s[0:1]
	s_xor_b64 s[0:1], exec, s[12:13]
; %bb.183:                              ;   in Loop: Header=BB142_51 Depth=1
	v_bfe_u32 v7, v6, 16, 1
	v_add3_u32 v59, v6, v7, s17
                                        ; implicit-def: $vgpr6
; %bb.184:                              ;   in Loop: Header=BB142_51 Depth=1
	s_andn2_saveexec_b64 s[12:13], s[0:1]
; %bb.185:                              ;   in Loop: Header=BB142_51 Depth=1
	v_or_b32_e32 v7, 0x10000, v6
	v_cmp_eq_u32_sdwa s[0:1], v6, v17 src0_sel:WORD_0 src1_sel:DWORD
	s_nop 1
	v_cndmask_b32_e64 v59, v7, v6, s[0:1]
; %bb.186:                              ;   in Loop: Header=BB142_51 Depth=1
	s_or_b64 exec, exec, s[12:13]
	global_load_dwordx4 v[6:9], v[10:11], off offset:3072
	s_waitcnt vmcnt(0)
	v_lshrrev_b32_e32 v10, 16, v6
	v_lshrrev_b32_e32 v61, 16, v7
	;; [unrolled: 1-line block ×4, first 2 shown]
	s_and_saveexec_b64 s[0:1], vcc
	s_cbranch_execz .LBB142_188
; %bb.187:                              ;   in Loop: Header=BB142_51 Depth=1
	v_cmp_gt_i32_e32 vcc, s35, v1
	s_nop 1
	v_cndmask_b32_e32 v6, 0, v6, vcc
	v_cmp_gt_i32_e32 vcc, s35, v34
	s_nop 1
	v_cndmask_b32_e32 v10, 0, v10, vcc
	;; [unrolled: 3-line block ×8, first 2 shown]
.LBB142_188:                            ;   in Loop: Header=BB142_51 Depth=1
	s_or_b64 exec, exec, s[0:1]
	v_lshlrev_b32_e32 v6, 16, v6
	v_mul_f32_e32 v28, v36, v6
	v_and_b32_e32 v6, 0x7f800000, v28
	v_cmp_ne_u32_e32 vcc, s16, v6
                                        ; implicit-def: $vgpr6
	s_and_saveexec_b64 s[0:1], vcc
	s_xor_b64 s[0:1], exec, s[0:1]
; %bb.189:                              ;   in Loop: Header=BB142_51 Depth=1
	v_bfe_u32 v6, v28, 16, 1
	v_add3_u32 v6, v28, v6, s17
                                        ; implicit-def: $vgpr28
; %bb.190:                              ;   in Loop: Header=BB142_51 Depth=1
	s_andn2_saveexec_b64 s[0:1], s[0:1]
; %bb.191:                              ;   in Loop: Header=BB142_51 Depth=1
	v_or_b32_e32 v6, 0x10000, v28
	v_cmp_eq_u32_sdwa vcc, v28, v17 src0_sel:WORD_0 src1_sel:DWORD
	s_nop 1
	v_cndmask_b32_e32 v6, v6, v28, vcc
; %bb.192:                              ;   in Loop: Header=BB142_51 Depth=1
	s_or_b64 exec, exec, s[0:1]
	v_lshlrev_b32_e32 v10, 16, v10
	v_mul_f32_e32 v28, v37, v10
	v_and_b32_e32 v10, 0x7f800000, v28
	v_cmp_ne_u32_e32 vcc, s16, v10
                                        ; implicit-def: $vgpr10
	s_and_saveexec_b64 s[0:1], vcc
	s_xor_b64 s[0:1], exec, s[0:1]
; %bb.193:                              ;   in Loop: Header=BB142_51 Depth=1
	v_bfe_u32 v10, v28, 16, 1
	v_add3_u32 v10, v28, v10, s17
                                        ; implicit-def: $vgpr28
; %bb.194:                              ;   in Loop: Header=BB142_51 Depth=1
	s_andn2_saveexec_b64 s[0:1], s[0:1]
; %bb.195:                              ;   in Loop: Header=BB142_51 Depth=1
	v_or_b32_e32 v10, 0x10000, v28
	v_cmp_eq_u32_sdwa vcc, v28, v17 src0_sel:WORD_0 src1_sel:DWORD
	s_nop 1
	v_cndmask_b32_e32 v10, v10, v28, vcc
; %bb.196:                              ;   in Loop: Header=BB142_51 Depth=1
	s_or_b64 exec, exec, s[0:1]
	v_lshlrev_b32_e32 v7, 16, v7
	v_mul_f32_e32 v28, v38, v7
	v_and_b32_e32 v7, 0x7f800000, v28
	v_cmp_ne_u32_e32 vcc, s16, v7
                                        ; implicit-def: $vgpr7
	s_and_saveexec_b64 s[0:1], vcc
	s_xor_b64 s[0:1], exec, s[0:1]
; %bb.197:                              ;   in Loop: Header=BB142_51 Depth=1
	v_bfe_u32 v7, v28, 16, 1
	v_add3_u32 v7, v28, v7, s17
                                        ; implicit-def: $vgpr28
; %bb.198:                              ;   in Loop: Header=BB142_51 Depth=1
	s_andn2_saveexec_b64 s[0:1], s[0:1]
; %bb.199:                              ;   in Loop: Header=BB142_51 Depth=1
	v_or_b32_e32 v7, 0x10000, v28
	v_cmp_eq_u32_sdwa vcc, v28, v17 src0_sel:WORD_0 src1_sel:DWORD
	s_nop 1
	v_cndmask_b32_e32 v7, v7, v28, vcc
; %bb.200:                              ;   in Loop: Header=BB142_51 Depth=1
	s_or_b64 exec, exec, s[0:1]
	v_lshlrev_b32_e32 v28, 16, v61
	v_mul_f32_e32 v29, v39, v28
	v_and_b32_e32 v28, 0x7f800000, v29
	v_cmp_ne_u32_e32 vcc, s16, v28
                                        ; implicit-def: $vgpr28
	s_and_saveexec_b64 s[0:1], vcc
	s_xor_b64 s[0:1], exec, s[0:1]
; %bb.201:                              ;   in Loop: Header=BB142_51 Depth=1
	v_bfe_u32 v28, v29, 16, 1
	v_add3_u32 v28, v29, v28, s17
                                        ; implicit-def: $vgpr29
; %bb.202:                              ;   in Loop: Header=BB142_51 Depth=1
	s_andn2_saveexec_b64 s[0:1], s[0:1]
; %bb.203:                              ;   in Loop: Header=BB142_51 Depth=1
	v_or_b32_e32 v28, 0x10000, v29
	v_cmp_eq_u32_sdwa vcc, v29, v17 src0_sel:WORD_0 src1_sel:DWORD
	s_nop 1
	v_cndmask_b32_e32 v28, v28, v29, vcc
; %bb.204:                              ;   in Loop: Header=BB142_51 Depth=1
	s_or_b64 exec, exec, s[0:1]
	v_lshlrev_b32_e32 v8, 16, v8
	v_mul_f32_e32 v29, v40, v8
	v_and_b32_e32 v8, 0x7f800000, v29
	v_cmp_ne_u32_e32 vcc, s16, v8
                                        ; implicit-def: $vgpr8
	s_and_saveexec_b64 s[0:1], vcc
	s_xor_b64 s[0:1], exec, s[0:1]
; %bb.205:                              ;   in Loop: Header=BB142_51 Depth=1
	v_bfe_u32 v8, v29, 16, 1
	v_add3_u32 v8, v29, v8, s17
                                        ; implicit-def: $vgpr29
; %bb.206:                              ;   in Loop: Header=BB142_51 Depth=1
	s_andn2_saveexec_b64 s[0:1], s[0:1]
; %bb.207:                              ;   in Loop: Header=BB142_51 Depth=1
	v_or_b32_e32 v8, 0x10000, v29
	v_cmp_eq_u32_sdwa vcc, v29, v17 src0_sel:WORD_0 src1_sel:DWORD
	s_nop 1
	v_cndmask_b32_e32 v8, v8, v29, vcc
; %bb.208:                              ;   in Loop: Header=BB142_51 Depth=1
	s_or_b64 exec, exec, s[0:1]
	v_lshlrev_b32_e32 v29, 16, v60
	v_mul_f32_e32 v30, v41, v29
	v_and_b32_e32 v29, 0x7f800000, v30
	v_cmp_ne_u32_e32 vcc, s16, v29
                                        ; implicit-def: $vgpr29
	s_and_saveexec_b64 s[0:1], vcc
	s_xor_b64 s[0:1], exec, s[0:1]
; %bb.209:                              ;   in Loop: Header=BB142_51 Depth=1
	v_bfe_u32 v29, v30, 16, 1
	v_add3_u32 v29, v30, v29, s17
                                        ; implicit-def: $vgpr30
; %bb.210:                              ;   in Loop: Header=BB142_51 Depth=1
	s_andn2_saveexec_b64 s[0:1], s[0:1]
; %bb.211:                              ;   in Loop: Header=BB142_51 Depth=1
	v_or_b32_e32 v29, 0x10000, v30
	v_cmp_eq_u32_sdwa vcc, v30, v17 src0_sel:WORD_0 src1_sel:DWORD
	s_nop 1
	v_cndmask_b32_e32 v29, v29, v30, vcc
; %bb.212:                              ;   in Loop: Header=BB142_51 Depth=1
	s_or_b64 exec, exec, s[0:1]
	v_lshlrev_b32_e32 v9, 16, v9
	v_mul_f32_e32 v30, v42, v9
	v_and_b32_e32 v9, 0x7f800000, v30
	v_cmp_ne_u32_e32 vcc, s16, v9
                                        ; implicit-def: $vgpr9
	s_and_saveexec_b64 s[0:1], vcc
	s_xor_b64 s[0:1], exec, s[0:1]
; %bb.213:                              ;   in Loop: Header=BB142_51 Depth=1
	v_bfe_u32 v9, v30, 16, 1
	v_add3_u32 v9, v30, v9, s17
                                        ; implicit-def: $vgpr30
; %bb.214:                              ;   in Loop: Header=BB142_51 Depth=1
	s_andn2_saveexec_b64 s[0:1], s[0:1]
; %bb.215:                              ;   in Loop: Header=BB142_51 Depth=1
	v_or_b32_e32 v9, 0x10000, v30
	v_cmp_eq_u32_sdwa vcc, v30, v17 src0_sel:WORD_0 src1_sel:DWORD
	s_nop 1
	v_cndmask_b32_e32 v9, v9, v30, vcc
; %bb.216:                              ;   in Loop: Header=BB142_51 Depth=1
	s_or_b64 exec, exec, s[0:1]
	v_lshlrev_b32_e32 v11, 16, v11
	v_mul_f32_e32 v30, v43, v11
	v_and_b32_e32 v11, 0x7f800000, v30
	v_cmp_ne_u32_e32 vcc, s16, v11
                                        ; implicit-def: $vgpr11
	s_and_saveexec_b64 s[0:1], vcc
	s_xor_b64 s[0:1], exec, s[0:1]
; %bb.217:                              ;   in Loop: Header=BB142_51 Depth=1
	v_bfe_u32 v11, v30, 16, 1
	v_add3_u32 v11, v30, v11, s17
                                        ; implicit-def: $vgpr30
; %bb.218:                              ;   in Loop: Header=BB142_51 Depth=1
	s_andn2_saveexec_b64 s[0:1], s[0:1]
	s_cbranch_execz .LBB142_49
; %bb.219:                              ;   in Loop: Header=BB142_51 Depth=1
	v_or_b32_e32 v11, 0x10000, v30
	v_cmp_eq_u32_sdwa vcc, v30, v17 src0_sel:WORD_0 src1_sel:DWORD
	s_nop 1
	v_cndmask_b32_e32 v11, v11, v30, vcc
	s_branch .LBB142_49
.LBB142_220:
	s_or_b64 exec, exec, s[8:9]
.LBB142_221:
	s_or_b64 exec, exec, s[2:3]
	v_and_b32_e32 v1, 0x3c0, v0
	v_cmp_eq_u32_e32 vcc, 64, v1
	s_barrier
	s_and_saveexec_b64 s[0:1], vcc
	s_cbranch_execz .LBB142_223
; %bb.222:
	v_lshlrev_b32_e32 v1, 2, v0
	v_mov_b32_e32 v7, 0x210
	v_or_b32_e32 v6, 0x300, v1
	v_lshl_add_u32 v7, v22, 2, v7
	v_add_u32_e32 v6, 0x210, v6
	v_add_u32_e32 v1, 0x210, v1
	ds_write_b32 v7, v2
	ds_write_b32 v1, v3
	ds_write_b32 v7, v4 offset:512
	ds_write_b32 v6, v5
.LBB142_223:
	s_or_b64 exec, exec, s[0:1]
	v_cmp_gt_u32_e32 vcc, 64, v0
	s_waitcnt lgkmcnt(0)
	s_barrier
	s_and_saveexec_b64 s[0:1], vcc
	s_cbranch_execz .LBB142_225
; %bb.224:
	v_mov_b32_e32 v1, 0x210
	v_lshl_add_u32 v1, v0, 2, v1
	ds_read2st64_b32 v[6:7], v1 offset0:2 offset1:3
	ds_read2st64_b32 v[8:9], v1 offset1:1
	s_waitcnt lgkmcnt(1)
	v_pk_add_f32 v[4:5], v[4:5], v[6:7]
	s_waitcnt lgkmcnt(0)
	v_pk_add_f32 v[2:3], v[2:3], v[8:9]
.LBB142_225:
	s_or_b64 exec, exec, s[0:1]
	s_barrier
	s_and_saveexec_b64 s[0:1], vcc
	s_cbranch_execz .LBB142_243
; %bb.226:
	s_mov_b32 s0, 0x7f800000
	v_and_b32_e32 v1, 0x7f800000, v2
	v_cmp_ne_u32_e32 vcc, s0, v1
                                        ; implicit-def: $vgpr6
	s_and_saveexec_b64 s[0:1], vcc
	s_xor_b64 s[0:1], exec, s[0:1]
; %bb.227:
	v_bfe_u32 v1, v2, 16, 1
	s_movk_i32 s2, 0x7fff
	v_add3_u32 v6, v2, v1, s2
; %bb.228:
	s_andn2_saveexec_b64 s[0:1], s[0:1]
; %bb.229:
	v_mov_b32_e32 v1, 0
	v_or_b32_e32 v6, 0x10000, v2
	v_cmp_eq_u32_sdwa vcc, v2, v1 src0_sel:WORD_0 src1_sel:DWORD
	s_nop 1
	v_cndmask_b32_e32 v6, v6, v2, vcc
; %bb.230:
	s_or_b64 exec, exec, s[0:1]
	s_lshl_b32 s0, s6, 8
	s_ashr_i32 s1, s0, 31
	s_lshl_b64 s[0:1], s[0:1], 1
	s_add_u32 s2, s28, s0
	s_mul_i32 s0, s33, s30
	s_addc_u32 s3, s29, s1
	s_ashr_i32 s1, s0, 31
	s_lshl_b64 s[0:1], s[0:1], 1
	s_add_u32 s2, s2, s0
	s_addc_u32 s3, s3, s1
	s_lshl_b32 s0, s4, 8
	s_ashr_i32 s1, s0, 31
	s_lshl_b64 s[0:1], s[0:1], 1
	s_add_u32 s0, s2, s0
	s_mov_b32 s2, 0x7f800000
	v_and_b32_e32 v2, 0x7f800000, v3
	s_addc_u32 s1, s3, s1
	v_lshlrev_b32_e32 v0, 1, v0
	v_mov_b32_e32 v1, 0
	v_cmp_ne_u32_e32 vcc, s2, v2
	global_store_short_d16_hi v0, v6, s[0:1]
                                        ; implicit-def: $vgpr2
	s_and_saveexec_b64 s[2:3], vcc
	s_xor_b64 s[2:3], exec, s[2:3]
; %bb.231:
	v_bfe_u32 v2, v3, 16, 1
	s_movk_i32 s4, 0x7fff
	v_add3_u32 v2, v3, v2, s4
; %bb.232:
	s_or_saveexec_b64 s[2:3], s[2:3]
	v_lshl_add_u64 v[0:1], s[0:1], 0, v[0:1]
	s_xor_b64 exec, exec, s[2:3]
; %bb.233:
	v_mov_b32_e32 v2, 0
	v_or_b32_e32 v6, 0x10000, v3
	v_cmp_eq_u32_sdwa vcc, v3, v2 src0_sel:WORD_0 src1_sel:DWORD
	s_nop 1
	v_cndmask_b32_e32 v2, v6, v3, vcc
; %bb.234:
	s_or_b64 exec, exec, s[2:3]
	global_store_short_d16_hi v[0:1], v2, off offset:128
	s_mov_b32 s0, 0x7f800000
	v_and_b32_e32 v2, 0x7f800000, v4
	v_cmp_ne_u32_e32 vcc, s0, v2
                                        ; implicit-def: $vgpr2
	s_and_saveexec_b64 s[0:1], vcc
	s_xor_b64 s[0:1], exec, s[0:1]
; %bb.235:
	v_bfe_u32 v2, v4, 16, 1
	s_movk_i32 s2, 0x7fff
	v_add3_u32 v2, v4, v2, s2
; %bb.236:
	s_andn2_saveexec_b64 s[0:1], s[0:1]
; %bb.237:
	v_mov_b32_e32 v2, 0
	v_or_b32_e32 v3, 0x10000, v4
	v_cmp_eq_u32_sdwa vcc, v4, v2 src0_sel:WORD_0 src1_sel:DWORD
	s_nop 1
	v_cndmask_b32_e32 v2, v3, v4, vcc
; %bb.238:
	s_or_b64 exec, exec, s[0:1]
	global_store_short_d16_hi v[0:1], v2, off offset:256
	s_mov_b32 s0, 0x7f800000
	v_and_b32_e32 v2, 0x7f800000, v5
	v_cmp_ne_u32_e32 vcc, s0, v2
                                        ; implicit-def: $vgpr6
	s_and_saveexec_b64 s[0:1], vcc
	s_xor_b64 s[0:1], exec, s[0:1]
; %bb.239:
	v_bfe_u32 v2, v5, 16, 1
	s_movk_i32 s2, 0x7fff
	v_add3_u32 v6, v5, v2, s2
                                        ; implicit-def: $vgpr2_vgpr3_vgpr4_vgpr5
; %bb.240:
	s_andn2_saveexec_b64 s[0:1], s[0:1]
; %bb.241:
	v_mov_b32_e32 v2, 0
	v_or_b32_e32 v3, 0x10000, v5
	v_cmp_eq_u32_sdwa vcc, v5, v2 src0_sel:WORD_0 src1_sel:DWORD
	s_nop 1
	v_cndmask_b32_e32 v6, v3, v5, vcc
; %bb.242:
	s_or_b64 exec, exec, s[0:1]
	global_store_short_d16_hi v[0:1], v6, off offset:384
.LBB142_243:
	s_endpgm
	.section	.rodata,"a",@progbits
	.p2align	6, 0x0
	.amdhsa_kernel _ZN4vllm25paged_attention_v2_kernelI14__hip_bfloat16S1_Li256ELi8ELi128ELNS_18Fp8KVCacheDataTypeE0ELb1ELi512EEEvPfS3_PT_PKS4_PKT0_SA_ifPKiSC_iPKfiiiSE_SE_iiiii
		.amdhsa_group_segment_fixed_size 528
		.amdhsa_private_segment_fixed_size 0
		.amdhsa_kernarg_size 400
		.amdhsa_user_sgpr_count 2
		.amdhsa_user_sgpr_dispatch_ptr 0
		.amdhsa_user_sgpr_queue_ptr 0
		.amdhsa_user_sgpr_kernarg_segment_ptr 1
		.amdhsa_user_sgpr_dispatch_id 0
		.amdhsa_user_sgpr_kernarg_preload_length 0
		.amdhsa_user_sgpr_kernarg_preload_offset 0
		.amdhsa_user_sgpr_private_segment_size 0
		.amdhsa_uses_dynamic_stack 0
		.amdhsa_enable_private_segment 0
		.amdhsa_system_sgpr_workgroup_id_x 1
		.amdhsa_system_sgpr_workgroup_id_y 1
		.amdhsa_system_sgpr_workgroup_id_z 1
		.amdhsa_system_sgpr_workgroup_info 0
		.amdhsa_system_vgpr_workitem_id 0
		.amdhsa_next_free_vgpr 89
		.amdhsa_next_free_sgpr 52
		.amdhsa_accum_offset 92
		.amdhsa_reserve_vcc 1
		.amdhsa_float_round_mode_32 0
		.amdhsa_float_round_mode_16_64 0
		.amdhsa_float_denorm_mode_32 3
		.amdhsa_float_denorm_mode_16_64 3
		.amdhsa_dx10_clamp 1
		.amdhsa_ieee_mode 1
		.amdhsa_fp16_overflow 0
		.amdhsa_tg_split 0
		.amdhsa_exception_fp_ieee_invalid_op 0
		.amdhsa_exception_fp_denorm_src 0
		.amdhsa_exception_fp_ieee_div_zero 0
		.amdhsa_exception_fp_ieee_overflow 0
		.amdhsa_exception_fp_ieee_underflow 0
		.amdhsa_exception_fp_ieee_inexact 0
		.amdhsa_exception_int_div_zero 0
	.end_amdhsa_kernel
	.section	.text._ZN4vllm25paged_attention_v2_kernelI14__hip_bfloat16S1_Li256ELi8ELi128ELNS_18Fp8KVCacheDataTypeE0ELb1ELi512EEEvPfS3_PT_PKS4_PKT0_SA_ifPKiSC_iPKfiiiSE_SE_iiiii,"axG",@progbits,_ZN4vllm25paged_attention_v2_kernelI14__hip_bfloat16S1_Li256ELi8ELi128ELNS_18Fp8KVCacheDataTypeE0ELb1ELi512EEEvPfS3_PT_PKS4_PKT0_SA_ifPKiSC_iPKfiiiSE_SE_iiiii,comdat
.Lfunc_end142:
	.size	_ZN4vllm25paged_attention_v2_kernelI14__hip_bfloat16S1_Li256ELi8ELi128ELNS_18Fp8KVCacheDataTypeE0ELb1ELi512EEEvPfS3_PT_PKS4_PKT0_SA_ifPKiSC_iPKfiiiSE_SE_iiiii, .Lfunc_end142-_ZN4vllm25paged_attention_v2_kernelI14__hip_bfloat16S1_Li256ELi8ELi128ELNS_18Fp8KVCacheDataTypeE0ELb1ELi512EEEvPfS3_PT_PKS4_PKT0_SA_ifPKiSC_iPKfiiiSE_SE_iiiii
                                        ; -- End function
	.section	.AMDGPU.csdata,"",@progbits
; Kernel info:
; codeLenInByte = 9504
; NumSgprs: 58
; NumVgprs: 89
; NumAgprs: 0
; TotalNumVgprs: 89
; ScratchSize: 0
; MemoryBound: 0
; FloatMode: 240
; IeeeMode: 1
; LDSByteSize: 528 bytes/workgroup (compile time only)
; SGPRBlocks: 7
; VGPRBlocks: 11
; NumSGPRsForWavesPerEU: 58
; NumVGPRsForWavesPerEU: 89
; AccumOffset: 92
; Occupancy: 5
; WaveLimiterHint : 1
; COMPUTE_PGM_RSRC2:SCRATCH_EN: 0
; COMPUTE_PGM_RSRC2:USER_SGPR: 2
; COMPUTE_PGM_RSRC2:TRAP_HANDLER: 0
; COMPUTE_PGM_RSRC2:TGID_X_EN: 1
; COMPUTE_PGM_RSRC2:TGID_Y_EN: 1
; COMPUTE_PGM_RSRC2:TGID_Z_EN: 1
; COMPUTE_PGM_RSRC2:TIDIG_COMP_CNT: 0
; COMPUTE_PGM_RSRC3_GFX90A:ACCUM_OFFSET: 22
; COMPUTE_PGM_RSRC3_GFX90A:TG_SPLIT: 0
	.section	.text._ZN4vllm32paged_attention_v2_reduce_kernelI14__hip_bfloat16Li256ELi128ELi512EEEvPT_PKfS5_PKS2_PKii,"axG",@progbits,_ZN4vllm32paged_attention_v2_reduce_kernelI14__hip_bfloat16Li256ELi128ELi512EEEvPT_PKfS5_PKS2_PKii,comdat
	.protected	_ZN4vllm32paged_attention_v2_reduce_kernelI14__hip_bfloat16Li256ELi128ELi512EEEvPT_PKfS5_PKS2_PKii ; -- Begin function _ZN4vllm32paged_attention_v2_reduce_kernelI14__hip_bfloat16Li256ELi128ELi512EEEvPT_PKfS5_PKS2_PKii
	.globl	_ZN4vllm32paged_attention_v2_reduce_kernelI14__hip_bfloat16Li256ELi128ELi512EEEvPT_PKfS5_PKS2_PKii
	.p2align	8
	.type	_ZN4vllm32paged_attention_v2_reduce_kernelI14__hip_bfloat16Li256ELi128ELi512EEEvPT_PKfS5_PKS2_PKii,@function
_ZN4vllm32paged_attention_v2_reduce_kernelI14__hip_bfloat16Li256ELi128ELi512EEEvPT_PKfS5_PKS2_PKii: ; @_ZN4vllm32paged_attention_v2_reduce_kernelI14__hip_bfloat16Li256ELi128ELi512EEEvPT_PKfS5_PKS2_PKii
; %bb.0:
	s_load_dwordx4 s[8:11], s[0:1], 0x18
	s_add_u32 s6, s0, 48
	s_mov_b32 s12, s3
	s_addc_u32 s7, s1, 0
	s_ashr_i32 s13, s3, 31
	s_lshl_b64 s[4:5], s[12:13], 2
	s_waitcnt lgkmcnt(0)
	s_add_u32 s4, s10, s4
	s_addc_u32 s5, s11, s5
	s_load_dword s24, s[4:5], 0x0
	s_load_dwordx2 s[10:11], s[0:1], 0x0
	s_load_dword s3, s[0:1], 0x28
	s_load_dword s13, s[0:1], 0x30
	s_waitcnt lgkmcnt(0)
	s_add_i32 s4, s24, -1
	s_cmpk_gt_u32 s4, 0x1ff
	s_mov_b64 s[4:5], -1
	s_cbranch_scc0 .LBB143_28
; %bb.1:
	s_add_i32 s4, s24, 0x1ff
	s_load_dwordx2 s[18:19], s[0:1], 0x8
	s_ashr_i32 s5, s4, 31
	s_lshr_b32 s5, s5, 23
	s_add_i32 s4, s4, s5
	s_mul_i32 s26, s13, s12
	s_ashr_i32 s25, s4, 9
	s_mul_i32 s14, s26, s3
	s_mul_i32 s16, s2, s3
	s_ashr_i32 s15, s14, 31
	s_ashr_i32 s17, s16, 31
	v_cmp_gt_i32_e32 vcc, s25, v0
	v_mov_b32_e32 v4, 0xff7fffff
	s_and_saveexec_b64 s[4:5], vcc
	s_cbranch_execz .LBB143_5
; %bb.2:
	s_load_dword s20, s[6:7], 0xc
	s_load_dwordx2 s[22:23], s[0:1], 0x10
	s_lshl_b64 s[0:1], s[14:15], 2
	s_lshl_b64 s[28:29], s[16:17], 2
	v_lshlrev_b32_e32 v4, 2, v0
	s_waitcnt lgkmcnt(0)
	s_and_b32 s27, s20, 0xffff
	s_add_u32 s0, s0, s28
	s_addc_u32 s1, s1, s29
	s_add_u32 s0, s22, s0
	v_mov_b32_e32 v5, 0
	s_addc_u32 s1, s23, s1
	s_mov_b32 s21, 0
	v_lshl_add_u64 v[2:3], s[0:1], 0, v[4:5]
	s_lshl_b32 s20, s27, 2
	v_add_u32_e32 v1, 16, v4
	s_mov_b64 s[22:23], 0
	v_mov_b32_e32 v4, 0xff7fffff
	v_mov_b32_e32 v5, v0
.LBB143_3:                              ; =>This Inner Loop Header: Depth=1
	global_load_dword v6, v[2:3], off
	v_add_u32_e32 v5, s27, v5
	v_max_f32_e32 v4, v4, v4
	v_cmp_le_i32_e64 s[0:1], s25, v5
	v_lshl_add_u64 v[2:3], v[2:3], 0, s[20:21]
	s_or_b64 s[22:23], s[0:1], s[22:23]
	s_waitcnt vmcnt(0)
	ds_write_b32 v1, v6
	v_max_f32_e32 v6, v6, v6
	v_add_u32_e32 v1, s20, v1
	v_max_f32_e32 v4, v4, v6
	s_andn2_b64 exec, exec, s[22:23]
	s_cbranch_execnz .LBB143_3
; %bb.4:
	s_or_b64 exec, exec, s[22:23]
.LBB143_5:
	s_or_b64 exec, exec, s[4:5]
	v_mbcnt_lo_u32_b32 v1, -1, 0
	v_mbcnt_hi_u32_b32 v2, -1, v1
	v_and_b32_e32 v1, 64, v2
	v_add_u32_e32 v5, 64, v1
	v_xor_b32_e32 v1, 32, v2
	v_cmp_lt_i32_e64 s[0:1], v1, v5
	v_xor_b32_e32 v6, 16, v2
	v_lshrrev_b32_e32 v10, 6, v0
	v_cndmask_b32_e64 v1, v2, v1, s[0:1]
	v_lshlrev_b32_e32 v1, 2, v1
	ds_bpermute_b32 v3, v1, v4
	v_max_f32_e32 v4, v4, v4
	v_cmp_lt_i32_e64 s[0:1], v6, v5
	s_waitcnt lgkmcnt(0)
	s_barrier
	v_max_f32_e32 v3, v3, v3
	v_max_f32_e32 v3, v4, v3
	v_cndmask_b32_e64 v4, v2, v6, s[0:1]
	v_lshlrev_b32_e32 v8, 2, v4
	ds_bpermute_b32 v4, v8, v3
	v_xor_b32_e32 v6, 8, v2
	v_cmp_lt_i32_e64 s[0:1], v6, v5
	s_waitcnt lgkmcnt(0)
	v_max_f32_e32 v4, v4, v4
	v_max_f32_e32 v3, v3, v4
	v_cndmask_b32_e64 v4, v2, v6, s[0:1]
	v_lshlrev_b32_e32 v9, 2, v4
	ds_bpermute_b32 v4, v9, v3
	v_xor_b32_e32 v6, 4, v2
	v_cmp_lt_i32_e64 s[0:1], v6, v5
	s_waitcnt lgkmcnt(0)
	;; [unrolled: 8-line block ×3, first 2 shown]
	v_max_f32_e32 v4, v4, v4
	v_max_f32_e32 v3, v3, v4
	v_cndmask_b32_e64 v4, v2, v6, s[0:1]
	v_lshlrev_b32_e32 v12, 2, v4
	ds_bpermute_b32 v4, v12, v3
	v_and_b32_e32 v6, 63, v0
	s_waitcnt lgkmcnt(0)
	v_max_f32_e32 v4, v4, v4
	v_max_f32_e32 v3, v3, v4
	v_xor_b32_e32 v4, 1, v2
	v_cmp_lt_i32_e64 s[0:1], v4, v5
	s_nop 1
	v_cndmask_b32_e64 v4, v2, v4, s[0:1]
	v_lshlrev_b32_e32 v7, 2, v4
	ds_bpermute_b32 v4, v7, v3
	v_cmp_eq_u32_e64 s[0:1], 0, v6
	s_and_saveexec_b64 s[4:5], s[0:1]
	s_cbranch_execz .LBB143_7
; %bb.6:
	s_waitcnt lgkmcnt(0)
	v_max_f32_e32 v4, v4, v4
	v_max_f32_e32 v3, v3, v3
	;; [unrolled: 1-line block ×3, first 2 shown]
	v_lshlrev_b32_e32 v4, 2, v10
	ds_write_b32 v4, v3
.LBB143_7:
	s_or_b64 exec, exec, s[4:5]
	v_cmp_gt_u32_e64 s[4:5], 2, v6
	v_mov_b32_e32 v3, 0xff7fffff
	s_waitcnt lgkmcnt(0)
	s_barrier
	s_and_saveexec_b64 s[20:21], s[4:5]
	s_cbranch_execz .LBB143_9
; %bb.8:
	v_lshlrev_b32_e32 v3, 2, v6
	ds_read_b32 v3, v3
.LBB143_9:
	s_or_b64 exec, exec, s[20:21]
	s_waitcnt lgkmcnt(0)
	ds_bpermute_b32 v4, v7, v3
	v_max_f32_e32 v3, v3, v3
	v_lshlrev_b32_e32 v2, 2, v2
	v_and_b32_e32 v13, 0x100, v2
	s_lshl_b32 s27, s25, 2
	s_waitcnt lgkmcnt(0)
	v_max_f32_e32 v4, v4, v4
	v_max_f32_e32 v3, v3, v4
	ds_bpermute_b32 v14, v13, v3
	v_mov_b32_e32 v3, 0
	s_and_saveexec_b64 s[20:21], vcc
	s_cbranch_execz .LBB143_13
; %bb.10:
	s_load_dword s22, s[6:7], 0xc
	s_lshl_b64 s[28:29], s[14:15], 2
	s_lshl_b64 s[30:31], s[16:17], 2
	v_lshlrev_b32_e32 v2, 2, v0
	v_mov_b32_e32 v3, 0
	s_waitcnt lgkmcnt(0)
	s_and_b32 s15, s22, 0xffff
	s_add_u32 s17, s28, s30
	s_addc_u32 s22, s29, s31
	s_add_u32 s18, s18, s17
	s_addc_u32 s19, s19, s22
	s_mov_b32 s23, 0
	v_lshl_add_u64 v[4:5], s[18:19], 0, v[2:3]
	s_lshl_b32 s22, s15, 2
	v_add_u32_e32 v2, 16, v2
	s_mov_b64 s[18:19], 0
	s_mov_b32 s17, 0x3fb8aa3b
	s_mov_b32 s28, 0xc2ce8ed0
	;; [unrolled: 1-line block ×3, first 2 shown]
	v_mov_b32_e32 v15, 0x7f800000
	v_mov_b32_e32 v16, v0
.LBB143_11:                             ; =>This Inner Loop Header: Depth=1
	global_load_dword v17, v[4:5], off
	ds_read_b32 v18, v2
	v_add_u32_e32 v16, s15, v16
	v_cmp_le_i32_e32 vcc, s25, v16
	s_or_b64 s[18:19], vcc, s[18:19]
	v_add_u32_e32 v19, s27, v2
	s_waitcnt lgkmcnt(0)
	v_sub_f32_e32 v18, v18, v14
	v_mul_f32_e32 v20, 0x3fb8aa3b, v18
	v_fma_f32 v21, v18, s17, -v20
	v_rndne_f32_e32 v22, v20
	v_fmac_f32_e32 v21, 0x32a5705f, v18
	v_sub_f32_e32 v20, v20, v22
	v_add_f32_e32 v20, v20, v21
	v_cvt_i32_f32_e32 v22, v22
	v_exp_f32_e32 v20, v20
	v_cmp_ngt_f32_e32 vcc, s28, v18
	v_lshl_add_u64 v[4:5], v[4:5], 0, s[22:23]
	v_add_u32_e32 v2, s22, v2
	v_ldexp_f32 v20, v20, v22
	v_cndmask_b32_e32 v20, 0, v20, vcc
	v_cmp_nlt_f32_e32 vcc, s29, v18
	s_nop 1
	v_cndmask_b32_e32 v18, v15, v20, vcc
	s_waitcnt vmcnt(0)
	v_mul_f32_e32 v20, v17, v18
	v_fmac_f32_e32 v3, v17, v18
	ds_write_b32 v19, v20
	s_andn2_b64 exec, exec, s[18:19]
	s_cbranch_execnz .LBB143_11
; %bb.12:
	s_or_b64 exec, exec, s[18:19]
.LBB143_13:
	s_or_b64 exec, exec, s[20:21]
	ds_bpermute_b32 v1, v1, v3
	s_waitcnt lgkmcnt(0)
	s_barrier
	v_add_f32_e32 v1, v3, v1
	ds_bpermute_b32 v2, v8, v1
	s_waitcnt lgkmcnt(0)
	v_add_f32_e32 v1, v1, v2
	ds_bpermute_b32 v2, v9, v1
	s_waitcnt lgkmcnt(0)
	;; [unrolled: 3-line block ×5, first 2 shown]
	v_add_f32_e32 v1, v1, v2
	s_and_saveexec_b64 s[18:19], s[0:1]
	s_cbranch_execz .LBB143_15
; %bb.14:
	v_lshlrev_b32_e32 v2, 2, v10
	ds_write_b32 v2, v1 offset:8
.LBB143_15:
	s_or_b64 exec, exec, s[18:19]
	s_waitcnt lgkmcnt(0)
	s_barrier
	s_and_saveexec_b64 s[0:1], s[4:5]
	s_cbranch_execz .LBB143_17
; %bb.16:
	v_lshlrev_b32_e32 v1, 2, v6
	ds_read_b32 v1, v1 offset:8
.LBB143_17:
	s_or_b64 exec, exec, s[0:1]
	s_waitcnt lgkmcnt(0)
	ds_bpermute_b32 v2, v7, v1
	s_movk_i32 s0, 0x100
	v_cmp_gt_u32_e32 vcc, s0, v0
	s_waitcnt lgkmcnt(0)
	v_add_f32_e32 v1, v1, v2
	ds_bpermute_b32 v1, v13, v1
	s_and_saveexec_b64 s[4:5], vcc
	s_cbranch_execz .LBB143_27
; %bb.18:
	s_waitcnt lgkmcnt(0)
	v_add_f32_e32 v1, 0x358637bd, v1
	v_div_scale_f32 v2, s[0:1], v1, v1, 1.0
	s_lshl_b32 s0, s14, 8
	s_lshl_b32 s14, s26, 8
	;; [unrolled: 1-line block ×3, first 2 shown]
	s_ashr_i32 s15, s14, 31
	s_ashr_i32 s1, s0, 31
	;; [unrolled: 1-line block ×3, first 2 shown]
	s_lshl_b64 s[14:15], s[14:15], 1
	v_rcp_f32_e32 v3, v2
	s_add_u32 s18, s10, s14
	s_addc_u32 s19, s11, s15
	s_lshl_b32 s14, s2, 8
	s_ashr_i32 s15, s14, 31
	s_lshl_b64 s[14:15], s[14:15], 1
	v_fma_f32 v5, -v2, v3, 1.0
	s_add_u32 s14, s18, s14
	v_div_scale_f32 v4, vcc, 1.0, v1, 1.0
	v_fmac_f32_e32 v3, v5, v3
	s_addc_u32 s15, s19, s15
	s_add_i32 s26, s27, 16
	v_mul_f32_e32 v5, v4, v3
	s_cmp_gt_i32 s24, 0
	v_fma_f32 v6, -v2, v5, v4
	s_cselect_b64 s[18:19], -1, 0
	s_max_i32 s24, s25, 1
	s_lshl_b64 s[0:1], s[0:1], 1
	s_lshl_b64 s[16:17], s[16:17], 1
	v_fmac_f32_e32 v5, v6, v3
	s_add_u32 s0, s0, s16
	v_fma_f32 v2, -v2, v5, v4
	s_addc_u32 s1, s1, s17
	v_div_fmas_f32 v2, v2, v3, v5
	s_add_u32 s0, s8, s0
	v_div_fixup_f32 v1, v2, v1, 1.0
	v_lshlrev_b32_e32 v2, 1, v0
	v_mov_b32_e32 v3, 0
	s_addc_u32 s1, s9, s1
	v_lshl_add_u64 v[4:5], s[0:1], 0, v[2:3]
	v_cndmask_b32_e64 v2, 0, 1, s[18:19]
	s_mov_b64 s[16:17], 0
	v_cmp_ne_u32_e64 s[0:1], 1, v2
	s_mov_b64 s[18:19], 0x200
	s_mov_b32 s25, 0x7f800000
	s_movk_i32 s27, 0x7fff
	s_mov_b64 s[20:21], 0x100
	s_movk_i32 s28, 0x7f
	v_mov_b32_e32 v2, v0
	s_branch .LBB143_20
.LBB143_19:                             ;   in Loop: Header=BB143_20 Depth=1
	s_or_b64 exec, exec, s[22:23]
	v_lshl_add_u64 v[8:9], v[2:3], 1, s[14:15]
	global_store_short_d16_hi v[8:9], v6, off
	v_add_u32_e32 v6, 0x80, v2
	v_cmp_lt_u32_e32 vcc, s28, v2
	v_lshl_add_u64 v[4:5], v[4:5], 0, s[20:21]
	s_or_b64 s[16:17], vcc, s[16:17]
	v_mov_b32_e32 v2, v6
	s_andn2_b64 exec, exec, s[16:17]
	s_cbranch_execz .LBB143_27
.LBB143_20:                             ; =>This Loop Header: Depth=1
                                        ;     Child Loop BB143_22 Depth 2
	s_and_b64 vcc, exec, s[0:1]
	v_mov_b32_e32 v8, 0
	s_cbranch_vccnz .LBB143_23
; %bb.21:                               ;   in Loop: Header=BB143_20 Depth=1
	v_mov_b32_e32 v8, 0
	s_mov_b32 s22, s26
	v_mov_b64_e32 v[6:7], v[4:5]
	s_mov_b32 s23, s24
.LBB143_22:                             ;   Parent Loop BB143_20 Depth=1
                                        ; =>  This Inner Loop Header: Depth=2
	global_load_ushort v9, v[6:7], off
	v_mov_b32_e32 v10, s22
	ds_read_b32 v10, v10
	s_add_i32 s23, s23, -1
	s_add_i32 s22, s22, 4
	v_lshl_add_u64 v[6:7], v[6:7], 0, s[18:19]
	s_cmp_eq_u32 s23, 0
	s_waitcnt vmcnt(0)
	v_lshlrev_b32_e32 v9, 16, v9
	s_waitcnt lgkmcnt(0)
	v_mul_f32_e32 v9, v10, v9
	v_fmac_f32_e32 v8, v1, v9
	s_cbranch_scc0 .LBB143_22
.LBB143_23:                             ;   in Loop: Header=BB143_20 Depth=1
	v_and_b32_e32 v6, 0x7f800000, v8
	v_cmp_ne_u32_e32 vcc, s25, v6
                                        ; implicit-def: $vgpr6
	s_and_saveexec_b64 s[22:23], vcc
	s_xor_b64 s[22:23], exec, s[22:23]
; %bb.24:                               ;   in Loop: Header=BB143_20 Depth=1
	v_bfe_u32 v6, v8, 16, 1
	v_add3_u32 v6, v8, v6, s27
                                        ; implicit-def: $vgpr8
; %bb.25:                               ;   in Loop: Header=BB143_20 Depth=1
	s_andn2_saveexec_b64 s[22:23], s[22:23]
	s_cbranch_execz .LBB143_19
; %bb.26:                               ;   in Loop: Header=BB143_20 Depth=1
	v_or_b32_e32 v6, 0x10000, v8
	v_cmp_eq_u32_sdwa vcc, v8, v3 src0_sel:WORD_0 src1_sel:DWORD
	s_nop 1
	v_cndmask_b32_e32 v6, v6, v8, vcc
	s_branch .LBB143_19
.LBB143_27:
	s_or_b64 exec, exec, s[4:5]
	s_mov_b64 s[4:5], 0
.LBB143_28:
	s_and_b64 vcc, exec, s[4:5]
	s_cbranch_vccz .LBB143_37
; %bb.29:
	s_movk_i32 s0, 0x100
	v_cmp_gt_u32_e32 vcc, s0, v0
	s_and_saveexec_b64 s[4:5], vcc
	s_cbranch_execz .LBB143_37
; %bb.30:
	s_mul_i32 s13, s13, s12
	s_lshl_b32 s4, s13, 8
	s_ashr_i32 s5, s4, 31
	s_lshl_b64 s[4:5], s[4:5], 1
	s_add_u32 s1, s10, s4
	s_addc_u32 s10, s11, s5
	s_lshl_b32 s4, s2, 8
	s_ashr_i32 s5, s4, 31
	s_lshl_b64 s[4:5], s[4:5], 1
	s_add_u32 s4, s1, s4
	s_mul_i32 s1, s3, s13
	s_addc_u32 s5, s10, s5
	s_lshl_b32 s10, s1, 8
	s_ashr_i32 s11, s10, 31
	s_lshl_b64 s[10:11], s[10:11], 1
	s_add_u32 s1, s8, s10
	s_mul_i32 s2, s2, s3
	s_load_dword s6, s[6:7], 0xc
	s_addc_u32 s8, s9, s11
	s_lshl_b32 s2, s2, 8
	s_ashr_i32 s3, s2, 31
	s_lshl_b64 s[2:3], s[2:3], 1
	s_add_u32 s2, s1, s2
	s_addc_u32 s3, s8, s3
	s_waitcnt lgkmcnt(0)
	s_and_b32 s8, s6, 0xffff
	v_cvt_f32_u32_e32 v1, s8
	v_add_u32_e32 v2, s8, v0
	v_mov_b32_e32 v4, s8
	v_cmp_gt_u32_e32 vcc, s0, v2
	v_rcp_iflag_f32_e32 v1, v1
	s_cmp_eq_u32 s8, 1
	v_max_u32_e32 v3, 0x100, v2
	v_addc_co_u32_e64 v2, s[0:1], v0, v4, vcc
	v_mul_f32_e32 v1, 0x4f7ffffe, v1
	v_cvt_u32_f32_e32 v1, v1
	s_cselect_b64 s[6:7], -1, 0
	s_sub_i32 s0, 0, s8
	v_sub_u32_e32 v2, v3, v2
	v_mul_lo_u32 v3, s0, v1
	v_mul_hi_u32 v3, v1, v3
	v_add_u32_e32 v1, v1, v3
	v_mul_hi_u32 v1, v2, v1
	v_mul_lo_u32 v3, v1, s8
	v_sub_u32_e32 v2, v2, v3
	v_add_u32_e32 v3, 1, v1
	v_cmp_le_u32_e64 s[0:1], s8, v2
	s_nop 1
	v_cndmask_b32_e64 v1, v1, v3, s[0:1]
	v_subrev_u32_e32 v3, s8, v2
	v_cndmask_b32_e64 v2, v2, v3, s[0:1]
	v_add_u32_e32 v3, 1, v1
	v_cmp_le_u32_e64 s[0:1], s8, v2
	s_nop 1
	v_cndmask_b32_e64 v1, v1, v3, s[0:1]
	v_addc_co_u32_e32 v1, vcc, 1, v1, vcc
	v_cmp_lt_u32_e32 vcc, 31, v1
	s_and_b64 s[10:11], vcc, s[6:7]
	s_mov_b64 s[6:7], -1
	s_and_saveexec_b64 s[0:1], s[10:11]
	s_cbranch_execz .LBB143_34
; %bb.31:
	v_and_b32_e32 v4, 0xffffffe0, v1
	s_mov_b64 s[6:7], 0
	v_mov_b32_e32 v3, 0
	v_mov_b32_e32 v2, v0
	;; [unrolled: 1-line block ×3, first 2 shown]
.LBB143_32:                             ; =>This Inner Loop Header: Depth=1
	v_lshlrev_b64 v[22:23], 1, v[2:3]
	v_lshl_add_u64 v[24:25], s[2:3], 0, v[22:23]
	global_load_dwordx4 v[6:9], v[24:25], off
	global_load_dwordx4 v[10:13], v[24:25], off offset:16
	global_load_dwordx4 v[14:17], v[24:25], off offset:32
	;; [unrolled: 1-line block ×3, first 2 shown]
	v_subrev_u32_e32 v5, 32, v5
	v_cmp_eq_u32_e32 vcc, 0, v5
	v_add_u32_e32 v2, 32, v2
	v_lshl_add_u64 v[22:23], s[4:5], 0, v[22:23]
	s_or_b64 s[6:7], vcc, s[6:7]
	s_waitcnt vmcnt(3)
	global_store_dwordx4 v[22:23], v[6:9], off
	s_waitcnt vmcnt(3)
	global_store_dwordx4 v[22:23], v[10:13], off offset:16
	s_waitcnt vmcnt(3)
	global_store_dwordx4 v[22:23], v[14:17], off offset:32
	;; [unrolled: 2-line block ×3, first 2 shown]
	s_andn2_b64 exec, exec, s[6:7]
	s_cbranch_execnz .LBB143_32
; %bb.33:
	s_or_b64 exec, exec, s[6:7]
	v_cmp_ne_u32_e32 vcc, v1, v4
	v_add_u32_e32 v0, v0, v4
	s_orn2_b64 s[6:7], vcc, exec
.LBB143_34:
	s_or_b64 exec, exec, s[0:1]
	s_and_b64 exec, exec, s[6:7]
	s_cbranch_execz .LBB143_37
; %bb.35:
	v_mov_b32_e32 v1, 0
	s_mov_b32 s1, 0
	v_lshlrev_b64 v[2:3], 1, v[0:1]
	s_lshl_b32 s0, s8, 1
	s_mov_b64 s[6:7], 0
	s_movk_i32 s9, 0xff
.LBB143_36:                             ; =>This Inner Loop Header: Depth=1
	v_lshl_add_u64 v[4:5], s[2:3], 0, v[2:3]
	global_load_ushort v1, v[4:5], off
	v_add_u32_e32 v0, s8, v0
	v_cmp_lt_u32_e32 vcc, s9, v0
	v_lshl_add_u64 v[4:5], s[4:5], 0, v[2:3]
	v_lshl_add_u64 v[2:3], v[2:3], 0, s[0:1]
	s_or_b64 s[6:7], vcc, s[6:7]
	s_waitcnt vmcnt(0)
	global_store_short v[4:5], v1, off
	s_andn2_b64 exec, exec, s[6:7]
	s_cbranch_execnz .LBB143_36
.LBB143_37:
	s_endpgm
	.section	.rodata,"a",@progbits
	.p2align	6, 0x0
	.amdhsa_kernel _ZN4vllm32paged_attention_v2_reduce_kernelI14__hip_bfloat16Li256ELi128ELi512EEEvPT_PKfS5_PKS2_PKii
		.amdhsa_group_segment_fixed_size 16
		.amdhsa_private_segment_fixed_size 0
		.amdhsa_kernarg_size 304
		.amdhsa_user_sgpr_count 2
		.amdhsa_user_sgpr_dispatch_ptr 0
		.amdhsa_user_sgpr_queue_ptr 0
		.amdhsa_user_sgpr_kernarg_segment_ptr 1
		.amdhsa_user_sgpr_dispatch_id 0
		.amdhsa_user_sgpr_kernarg_preload_length 0
		.amdhsa_user_sgpr_kernarg_preload_offset 0
		.amdhsa_user_sgpr_private_segment_size 0
		.amdhsa_uses_dynamic_stack 0
		.amdhsa_enable_private_segment 0
		.amdhsa_system_sgpr_workgroup_id_x 1
		.amdhsa_system_sgpr_workgroup_id_y 1
		.amdhsa_system_sgpr_workgroup_id_z 0
		.amdhsa_system_sgpr_workgroup_info 0
		.amdhsa_system_vgpr_workitem_id 0
		.amdhsa_next_free_vgpr 26
		.amdhsa_next_free_sgpr 32
		.amdhsa_accum_offset 28
		.amdhsa_reserve_vcc 1
		.amdhsa_float_round_mode_32 0
		.amdhsa_float_round_mode_16_64 0
		.amdhsa_float_denorm_mode_32 3
		.amdhsa_float_denorm_mode_16_64 3
		.amdhsa_dx10_clamp 1
		.amdhsa_ieee_mode 1
		.amdhsa_fp16_overflow 0
		.amdhsa_tg_split 0
		.amdhsa_exception_fp_ieee_invalid_op 0
		.amdhsa_exception_fp_denorm_src 0
		.amdhsa_exception_fp_ieee_div_zero 0
		.amdhsa_exception_fp_ieee_overflow 0
		.amdhsa_exception_fp_ieee_underflow 0
		.amdhsa_exception_fp_ieee_inexact 0
		.amdhsa_exception_int_div_zero 0
	.end_amdhsa_kernel
	.section	.text._ZN4vllm32paged_attention_v2_reduce_kernelI14__hip_bfloat16Li256ELi128ELi512EEEvPT_PKfS5_PKS2_PKii,"axG",@progbits,_ZN4vllm32paged_attention_v2_reduce_kernelI14__hip_bfloat16Li256ELi128ELi512EEEvPT_PKfS5_PKS2_PKii,comdat
.Lfunc_end143:
	.size	_ZN4vllm32paged_attention_v2_reduce_kernelI14__hip_bfloat16Li256ELi128ELi512EEEvPT_PKfS5_PKS2_PKii, .Lfunc_end143-_ZN4vllm32paged_attention_v2_reduce_kernelI14__hip_bfloat16Li256ELi128ELi512EEEvPT_PKfS5_PKS2_PKii
                                        ; -- End function
	.section	.AMDGPU.csdata,"",@progbits
; Kernel info:
; codeLenInByte = 2348
; NumSgprs: 38
; NumVgprs: 26
; NumAgprs: 0
; TotalNumVgprs: 26
; ScratchSize: 0
; MemoryBound: 0
; FloatMode: 240
; IeeeMode: 1
; LDSByteSize: 16 bytes/workgroup (compile time only)
; SGPRBlocks: 4
; VGPRBlocks: 3
; NumSGPRsForWavesPerEU: 38
; NumVGPRsForWavesPerEU: 26
; AccumOffset: 28
; Occupancy: 8
; WaveLimiterHint : 0
; COMPUTE_PGM_RSRC2:SCRATCH_EN: 0
; COMPUTE_PGM_RSRC2:USER_SGPR: 2
; COMPUTE_PGM_RSRC2:TRAP_HANDLER: 0
; COMPUTE_PGM_RSRC2:TGID_X_EN: 1
; COMPUTE_PGM_RSRC2:TGID_Y_EN: 1
; COMPUTE_PGM_RSRC2:TGID_Z_EN: 0
; COMPUTE_PGM_RSRC2:TIDIG_COMP_CNT: 0
; COMPUTE_PGM_RSRC3_GFX90A:ACCUM_OFFSET: 6
; COMPUTE_PGM_RSRC3_GFX90A:TG_SPLIT: 0
	.section	.text._ZN4vllm25paged_attention_v2_kernelI14__hip_bfloat16S1_Li32ELi8ELi128ELNS_18Fp8KVCacheDataTypeE0ELb0ELi512EEEvPfS3_PT_PKS4_PKT0_SA_ifPKiSC_iPKfiiiSE_SE_iiiii,"axG",@progbits,_ZN4vllm25paged_attention_v2_kernelI14__hip_bfloat16S1_Li32ELi8ELi128ELNS_18Fp8KVCacheDataTypeE0ELb0ELi512EEEvPfS3_PT_PKS4_PKT0_SA_ifPKiSC_iPKfiiiSE_SE_iiiii,comdat
	.protected	_ZN4vllm25paged_attention_v2_kernelI14__hip_bfloat16S1_Li32ELi8ELi128ELNS_18Fp8KVCacheDataTypeE0ELb0ELi512EEEvPfS3_PT_PKS4_PKT0_SA_ifPKiSC_iPKfiiiSE_SE_iiiii ; -- Begin function _ZN4vllm25paged_attention_v2_kernelI14__hip_bfloat16S1_Li32ELi8ELi128ELNS_18Fp8KVCacheDataTypeE0ELb0ELi512EEEvPfS3_PT_PKS4_PKT0_SA_ifPKiSC_iPKfiiiSE_SE_iiiii
	.globl	_ZN4vllm25paged_attention_v2_kernelI14__hip_bfloat16S1_Li32ELi8ELi128ELNS_18Fp8KVCacheDataTypeE0ELb0ELi512EEEvPfS3_PT_PKS4_PKT0_SA_ifPKiSC_iPKfiiiSE_SE_iiiii
	.p2align	8
	.type	_ZN4vllm25paged_attention_v2_kernelI14__hip_bfloat16S1_Li32ELi8ELi128ELNS_18Fp8KVCacheDataTypeE0ELb0ELi512EEEvPfS3_PT_PKS4_PKT0_SA_ifPKiSC_iPKfiiiSE_SE_iiiii,@function
_ZN4vllm25paged_attention_v2_kernelI14__hip_bfloat16S1_Li32ELi8ELi128ELNS_18Fp8KVCacheDataTypeE0ELb0ELi512EEEvPfS3_PT_PKS4_PKT0_SA_ifPKiSC_iPKfiiiSE_SE_iiiii: ; @_ZN4vllm25paged_attention_v2_kernelI14__hip_bfloat16S1_Li32ELi8ELi128ELNS_18Fp8KVCacheDataTypeE0ELb0ELi512EEEvPfS3_PT_PKS4_PKT0_SA_ifPKiSC_iPKfiiiSE_SE_iiiii
; %bb.0:
	s_load_dwordx2 s[6:7], s[0:1], 0x40
	s_mov_b32 s24, s3
	s_ashr_i32 s25, s3, 31
	s_lshl_b64 s[8:9], s[24:25], 2
	s_waitcnt lgkmcnt(0)
	s_add_u32 s6, s6, s8
	s_addc_u32 s7, s7, s9
	s_load_dword s25, s[6:7], 0x0
	s_lshl_b32 s40, s4, 9
	s_waitcnt lgkmcnt(0)
	s_cmp_ge_i32 s40, s25
	s_cbranch_scc1 .LBB144_122
; %bb.1:
	s_load_dword s5, s[0:1], 0x90
	s_load_dwordx2 s[10:11], s[0:1], 0x30
	s_waitcnt lgkmcnt(0)
	s_abs_i32 s7, s5
	s_abs_i32 s3, s10
	v_cvt_f32_u32_e32 v1, s3
	s_sub_i32 s8, 0, s3
	s_xor_b32 s6, s5, s10
	s_ashr_i32 s6, s6, 31
	v_rcp_iflag_f32_e32 v1, v1
	s_nop 0
	v_mul_f32_e32 v1, 0x4f7ffffe, v1
	v_cvt_u32_f32_e32 v1, v1
	s_nop 0
	v_readfirstlane_b32 s9, v1
	s_mul_i32 s8, s8, s9
	s_mul_hi_u32 s8, s9, s8
	s_add_i32 s9, s9, s8
	s_mul_hi_u32 s8, s7, s9
	s_mul_i32 s9, s8, s3
	s_sub_i32 s7, s7, s9
	s_add_i32 s10, s8, 1
	s_sub_i32 s9, s7, s3
	s_cmp_ge_u32 s7, s3
	s_cselect_b32 s8, s10, s8
	s_cselect_b32 s7, s9, s7
	s_add_i32 s9, s8, 1
	s_cmp_ge_u32 s7, s3
	s_cselect_b32 s3, s9, s8
	s_xor_b32 s3, s3, s6
	s_sub_i32 s18, s3, s6
	s_abs_i32 s8, s18
	v_cvt_f32_u32_e32 v1, s8
	s_load_dwordx2 s[6:7], s[0:1], 0x50
	s_sub_i32 s3, 0, s8
	s_abs_i32 s9, s2
	v_rcp_iflag_f32_e32 v1, v1
	s_mov_b32 s10, 0
	v_mul_f32_e32 v1, 0x4f7ffffe, v1
	v_cvt_u32_f32_e32 v1, v1
	s_nop 0
	v_readfirstlane_b32 s12, v1
	s_mul_i32 s3, s3, s12
	s_mul_hi_u32 s3, s12, s3
	s_add_i32 s12, s12, s3
	s_waitcnt lgkmcnt(0)
	s_cmp_eq_u64 s[6:7], 0
	s_mul_hi_u32 s16, s9, s12
	s_cbranch_scc1 .LBB144_3
; %bb.2:
	s_ashr_i32 s3, s2, 31
	s_lshl_b64 s[12:13], s[2:3], 2
	s_add_u32 s6, s6, s12
	s_addc_u32 s7, s7, s13
	s_load_dword s10, s[6:7], 0x0
.LBB144_3:
	s_load_dwordx4 s[12:15], s[0:1], 0x58
	s_ashr_i32 s17, s2, 31
	s_waitcnt lgkmcnt(0)
	s_ashr_i32 s15, s18, 31
	v_and_b32_e32 v1, 7, v0
	s_lshl_b32 s20, s2, 5
	v_cmp_gt_u32_e32 vcc, 32, v0
	s_and_saveexec_b64 s[6:7], vcc
	s_cbranch_execz .LBB144_5
; %bb.4:
	s_load_dwordx2 s[18:19], s[0:1], 0x18
	s_mul_i32 s22, s24, s12
	s_ashr_i32 s23, s22, 31
	s_lshl_b64 s[22:23], s[22:23], 1
	v_lshlrev_b32_e32 v2, 1, v0
	s_waitcnt lgkmcnt(0)
	s_add_u32 s3, s18, s22
	s_addc_u32 s12, s19, s23
	s_ashr_i32 s21, s20, 31
	s_lshl_b64 s[18:19], s[20:21], 1
	s_add_u32 s18, s3, s18
	s_addc_u32 s19, s12, s19
	global_load_ushort v2, v2, s[18:19]
	v_lshrrev_b32_e32 v3, 2, v0
	v_and_b32_e32 v3, 0xfe, v3
	v_lshl_add_u32 v3, v1, 3, v3
	s_waitcnt vmcnt(0)
	ds_write_b16 v3, v2
.LBB144_5:
	s_or_b64 exec, exec, s[6:7]
	s_add_i32 s3, s25, 7
	s_ashr_i32 s6, s3, 31
	s_lshr_b32 s6, s6, 29
	s_add_i32 s3, s3, s6
	s_ashr_i32 s12, s3, 3
	s_lshl_b32 s3, s4, 6
	s_mul_i32 s7, s16, s8
	s_add_i32 s6, s3, 64
	s_sub_i32 s7, s9, s7
	s_min_i32 s33, s6, s12
	s_xor_b32 s6, s17, s15
	s_add_i32 s9, s16, 1
	s_sub_i32 s15, s7, s8
	s_cmp_ge_u32 s7, s8
	s_cselect_b32 s9, s9, s16
	s_cselect_b32 s7, s15, s7
	s_add_i32 s15, s9, 1
	s_cmp_ge_u32 s7, s8
	s_load_dwordx2 s[26:27], s[0:1], 0x38
	s_load_dword s8, s[0:1], 0x48
	v_lshrrev_b32_e32 v6, 6, v0
	s_cselect_b32 s7, s15, s9
	s_xor_b32 s7, s7, s6
	v_or_b32_e32 v10, s3, v6
	s_waitcnt lgkmcnt(0)
	s_mul_i32 s28, s24, s8
	s_sub_i32 s15, s7, s6
	s_ashr_i32 s29, s28, 31
	v_cmp_gt_i32_e64 s[6:7], s33, v10
	v_cmp_le_i32_e32 vcc, s33, v10
	v_mbcnt_lo_u32_b32 v4, -1, 0
	s_barrier
	s_waitcnt lgkmcnt(0)
                                        ; implicit-def: $sgpr36
                                        ; implicit-def: $vgpr8
                                        ; implicit-def: $vgpr9
	s_and_saveexec_b64 s[8:9], vcc
	s_xor_b64 s[8:9], exec, s[8:9]
; %bb.6:
	v_mbcnt_hi_u32_b32 v8, -1, v4
	v_and_b32_e32 v1, 64, v8
	v_add_u32_e32 v9, 64, v1
	s_mov_b32 s36, 0xff7fffff
                                        ; implicit-def: $vgpr1
                                        ; implicit-def: $vgpr4
; %bb.7:
	s_or_saveexec_b64 s[34:35], s[8:9]
	s_load_dwordx4 s[16:19], s[0:1], 0x0
	s_load_dwordx2 s[22:23], s[0:1], 0x10
	s_load_dwordx2 s[30:31], s[0:1], 0x28
	s_load_dword s21, s[0:1], 0x98
	v_mov_b32_e32 v15, s36
	s_mul_i32 s14, s15, s14
	v_ashrrev_i32_e32 v11, 31, v10
	v_lshlrev_b32_e32 v7, 3, v6
	s_xor_b64 exec, exec, s[34:35]
	s_cbranch_execz .LBB144_13
; %bb.8:
	s_load_dwordx2 s[0:1], s[0:1], 0x20
	v_lshlrev_b32_e32 v3, 3, v1
	s_ashr_i32 s15, s14, 31
	ds_read_b64 v[8:9], v3
	s_lshl_b64 s[8:9], s[14:15], 1
	v_bfe_u32 v5, v0, 3, 3
	s_waitcnt lgkmcnt(0)
	s_add_u32 s0, s0, s8
	s_addc_u32 s1, s1, s9
	v_lshlrev_b32_e32 v2, 4, v5
	v_mov_b32_e32 v3, 0
	v_lshl_add_u64 v[12:13], s[0:1], 0, v[2:3]
	v_lshlrev_b32_e32 v2, 1, v1
	v_lshl_add_u64 v[2:3], v[12:13], 0, v[2:3]
	v_lshlrev_b32_e32 v12, 16, v8
	v_and_b32_e32 v13, 0xffff0000, v8
	v_mbcnt_hi_u32_b32 v8, -1, v4
	v_and_b32_e32 v4, 64, v8
	v_lshlrev_b32_e32 v14, 16, v9
	v_and_b32_e32 v16, 0xffff0000, v9
	v_add_u32_e32 v9, 64, v4
	v_xor_b32_e32 v4, 4, v8
	v_cmp_lt_i32_e32 vcc, v4, v9
	s_sub_i32 s15, 1, s25
	s_lshl_b64 s[8:9], s[28:29], 2
	v_cndmask_b32_e32 v4, v8, v4, vcc
	v_lshlrev_b32_e32 v17, 2, v4
	v_xor_b32_e32 v4, 2, v8
	v_cmp_lt_i32_e32 vcc, v4, v9
	s_add_u32 s8, s26, s8
	s_addc_u32 s9, s27, s9
	v_cndmask_b32_e32 v4, v8, v4, vcc
	v_lshlrev_b32_e32 v18, 2, v4
	v_xor_b32_e32 v4, 1, v8
	v_cmp_lt_i32_e32 vcc, v4, v9
	s_mov_b32 s41, s13
	v_cmp_neq_f32_e64 s[0:1], s10, 0
	v_cndmask_b32_e32 v4, v8, v4, vcc
	v_lshlrev_b32_e32 v19, 2, v4
	v_lshlrev_b32_e32 v4, 2, v5
	v_lshl_or_b32 v4, v6, 5, v4
	v_cmp_eq_u32_e32 vcc, 0, v1
	v_add3_u32 v1, s40, v7, v5
	v_add_u32_e32 v20, 0x50, v4
	v_lshl_add_u64 v[4:5], v[10:11], 2, s[8:9]
	s_mov_b64 s[36:37], 0
	v_mov_b32_e32 v15, 0xff7fffff
	v_mov_b32_e32 v21, v10
	s_branch .LBB144_10
.LBB144_9:                              ;   in Loop: Header=BB144_10 Depth=1
	s_or_b64 exec, exec, s[38:39]
	v_add_u32_e32 v21, 2, v21
	v_cmp_le_i32_e64 s[8:9], s33, v21
	v_add_u32_e32 v1, 16, v1
	v_add_u32_e32 v20, 64, v20
	s_or_b64 s[36:37], s[8:9], s[36:37]
	v_lshl_add_u64 v[4:5], v[4:5], 0, 8
	s_andn2_b64 exec, exec, s[36:37]
	s_cbranch_execz .LBB144_12
.LBB144_10:                             ; =>This Inner Loop Header: Depth=1
	global_load_dword v22, v[4:5], off
	s_waitcnt vmcnt(0) lgkmcnt(0)
	v_mad_i64_i32 v[22:23], s[8:9], v22, s41, 0
	v_lshl_add_u64 v[22:23], v[22:23], 1, v[2:3]
	global_load_ushort v24, v[22:23], off
	global_load_ushort v25, v[22:23], off offset:128
	global_load_ushort v26, v[22:23], off offset:256
	;; [unrolled: 1-line block ×3, first 2 shown]
	s_waitcnt vmcnt(3)
	v_lshlrev_b32_e32 v22, 16, v24
	s_waitcnt vmcnt(2)
	v_lshlrev_b32_e32 v23, 16, v25
	v_mul_f32_e32 v23, v13, v23
	s_waitcnt vmcnt(1)
	v_lshlrev_b32_e32 v24, 16, v26
	v_fmac_f32_e32 v23, v12, v22
	v_fmac_f32_e32 v23, v14, v24
	s_waitcnt vmcnt(0)
	v_lshlrev_b32_e32 v22, 16, v27
	v_fmac_f32_e32 v23, v16, v22
	ds_bpermute_b32 v22, v17, v23
	s_waitcnt lgkmcnt(0)
	v_add_f32_e32 v22, v23, v22
	ds_bpermute_b32 v23, v18, v22
	s_waitcnt lgkmcnt(0)
	v_add_f32_e32 v22, v22, v23
	ds_bpermute_b32 v23, v19, v22
	s_and_saveexec_b64 s[38:39], vcc
	s_cbranch_execz .LBB144_9
; %bb.11:                               ;   in Loop: Header=BB144_10 Depth=1
	v_add_u32_e32 v24, s15, v1
	v_cvt_f32_i32_e32 v24, v24
	s_waitcnt lgkmcnt(0)
	v_add_f32_e32 v22, v22, v23
	v_cmp_gt_i32_e64 s[8:9], s25, v1
	v_max_f32_e32 v23, v15, v15
	v_mul_f32_e32 v24, s10, v24
	v_cndmask_b32_e64 v24, 0, v24, s[0:1]
	v_fmac_f32_e32 v24, s11, v22
	v_cndmask_b32_e64 v22, 0, v24, s[8:9]
	ds_write_b32 v20, v22
	v_max_f32_e32 v22, v23, v24
	v_cndmask_b32_e64 v15, v15, v22, s[8:9]
	s_branch .LBB144_9
.LBB144_12:
	s_or_b64 exec, exec, s[36:37]
.LBB144_13:
	s_or_b64 exec, exec, s[34:35]
	v_xor_b32_e32 v1, 32, v8
	v_cmp_lt_i32_e32 vcc, v1, v9
	v_xor_b32_e32 v4, 16, v8
	v_max_f32_e32 v2, v15, v15
	v_cndmask_b32_e32 v1, v8, v1, vcc
	v_lshlrev_b32_e32 v3, 2, v1
	ds_bpermute_b32 v1, v3, v15
	v_cmp_lt_i32_e32 vcc, v4, v9
	v_xor_b32_e32 v5, 8, v8
	s_waitcnt lgkmcnt(0)
	v_max_f32_e32 v1, v1, v1
	v_max_f32_e32 v1, v2, v1
	v_cndmask_b32_e32 v2, v8, v4, vcc
	v_lshlrev_b32_e32 v12, 2, v2
	ds_bpermute_b32 v2, v12, v1
	v_cmp_lt_i32_e32 vcc, v5, v9
	s_waitcnt lgkmcnt(0)
	v_max_f32_e32 v2, v2, v2
	v_max_f32_e32 v4, v1, v2
	v_cndmask_b32_e32 v1, v8, v5, vcc
	v_lshlrev_b32_e32 v13, 2, v1
	ds_bpermute_b32 v5, v13, v4
	v_and_b32_e32 v1, 63, v0
	v_cmp_eq_u32_e32 vcc, 0, v1
	v_lshlrev_b32_e32 v2, 2, v6
	s_and_saveexec_b64 s[0:1], vcc
	s_cbranch_execz .LBB144_15
; %bb.14:
	s_waitcnt lgkmcnt(0)
	v_max_f32_e32 v5, v5, v5
	v_max_f32_e32 v4, v4, v4
	;; [unrolled: 1-line block ×3, first 2 shown]
	ds_write_b32 v2, v4 offset:64
.LBB144_15:
	s_or_b64 exec, exec, s[0:1]
	v_cmp_gt_u32_e64 s[0:1], 2, v1
	v_mov_b32_e32 v4, 0xff7fffff
	s_waitcnt lgkmcnt(0)
	v_lshlrev_b32_e32 v5, 2, v1
	s_barrier
	s_and_saveexec_b64 s[8:9], s[0:1]
	s_cbranch_execz .LBB144_17
; %bb.16:
	ds_read_b32 v4, v5 offset:64
.LBB144_17:
	s_or_b64 exec, exec, s[8:9]
	v_xor_b32_e32 v14, 1, v8
	v_cmp_lt_i32_e64 s[8:9], v14, v9
	s_sub_i32 s3, s33, s3
	s_lshl_b32 s3, s3, 3
	v_cndmask_b32_e64 v14, v8, v14, s[8:9]
	v_lshlrev_b32_e32 v14, 2, v14
	s_waitcnt lgkmcnt(0)
	ds_bpermute_b32 v15, v14, v4
	v_max_f32_e32 v4, v4, v4
	s_add_i32 s3, s3, s40
	s_min_i32 s15, s3, s25
	s_sub_i32 s3, s15, s40
	s_waitcnt lgkmcnt(0)
	v_max_f32_e32 v15, v15, v15
	v_max_f32_e32 v4, v4, v15
	v_lshlrev_b32_e32 v15, 2, v8
	v_and_b32_e32 v15, 0xffffff00, v15
	ds_bpermute_b32 v4, v15, v4
	v_cmp_gt_i32_e64 s[8:9], s3, v0
	v_mov_b32_e32 v16, 0
	s_and_saveexec_b64 s[34:35], s[8:9]
	s_cbranch_execz .LBB144_21
; %bb.18:
	v_mov_b32_e32 v16, 0x50
	v_lshl_add_u32 v17, v0, 2, v16
	s_mov_b64 s[36:37], 0
	v_mov_b32_e32 v16, 0
	v_mov_b32_e32 v18, v0
.LBB144_19:                             ; =>This Inner Loop Header: Depth=1
	ds_read_b32 v19, v17
	v_add_u32_e32 v18, 0x80, v18
	v_cmp_le_i32_e64 s[10:11], s3, v18
	s_or_b64 s[36:37], s[10:11], s[36:37]
	s_waitcnt lgkmcnt(0)
	v_sub_f32_e32 v19, v19, v4
	v_mul_f32_e32 v19, 0x3fb8aa3b, v19
	v_exp_f32_e32 v19, v19
	ds_write_b32 v17, v19
	v_add_f32_e32 v16, v16, v19
	v_add_u32_e32 v17, 0x200, v17
	s_andn2_b64 exec, exec, s[36:37]
	s_cbranch_execnz .LBB144_19
; %bb.20:
	s_or_b64 exec, exec, s[36:37]
.LBB144_21:
	s_or_b64 exec, exec, s[34:35]
	ds_bpermute_b32 v3, v3, v16
	s_waitcnt lgkmcnt(0)
	v_add_f32_e32 v3, v16, v3
	ds_bpermute_b32 v12, v12, v3
	s_waitcnt lgkmcnt(0)
	v_add_f32_e32 v3, v3, v12
	ds_bpermute_b32 v12, v13, v3
	v_xor_b32_e32 v13, 4, v8
	v_cmp_lt_i32_e64 s[10:11], v13, v9
	s_waitcnt lgkmcnt(0)
	v_add_f32_e32 v3, v3, v12
	v_cndmask_b32_e64 v13, v8, v13, s[10:11]
	v_lshlrev_b32_e32 v13, 2, v13
	ds_bpermute_b32 v12, v13, v3
	v_xor_b32_e32 v13, 2, v8
	v_cmp_lt_i32_e64 s[10:11], v13, v9
	s_waitcnt lgkmcnt(0)
	v_add_f32_e32 v3, v3, v12
	v_cndmask_b32_e64 v8, v8, v13, s[10:11]
	v_lshlrev_b32_e32 v8, 2, v8
	ds_bpermute_b32 v8, v8, v3
	s_waitcnt lgkmcnt(0)
	v_add_f32_e32 v3, v3, v8
	ds_bpermute_b32 v8, v14, v3
	s_waitcnt lgkmcnt(0)
	v_add_f32_e32 v3, v3, v8
	s_and_saveexec_b64 s[10:11], vcc
	s_cbranch_execz .LBB144_23
; %bb.22:
	ds_write_b32 v2, v3 offset:72
.LBB144_23:
	s_or_b64 exec, exec, s[10:11]
	s_waitcnt lgkmcnt(0)
	s_barrier
	s_and_saveexec_b64 s[10:11], s[0:1]
	s_cbranch_execz .LBB144_25
; %bb.24:
	ds_read_b32 v3, v5 offset:72
.LBB144_25:
	s_or_b64 exec, exec, s[10:11]
	s_waitcnt lgkmcnt(0)
	ds_bpermute_b32 v2, v14, v3
	s_waitcnt lgkmcnt(0)
	v_add_f32_e32 v2, v3, v2
	ds_bpermute_b32 v5, v15, v2
	s_and_saveexec_b64 s[0:1], s[8:9]
	s_cbranch_execz .LBB144_38
; %bb.26:
	s_waitcnt lgkmcnt(0)
	v_add_f32_e32 v2, 0x358637bd, v5
	v_div_scale_f32 v3, s[8:9], v2, v2, 1.0
	v_rcp_f32_e32 v8, v3
	v_div_scale_f32 v9, vcc, 1.0, v2, 1.0
	s_movk_i32 s8, 0x7f
	v_fma_f32 v12, -v3, v8, 1.0
	v_fmac_f32_e32 v8, v12, v8
	v_mul_f32_e32 v12, v9, v8
	v_fma_f32 v13, -v3, v12, v9
	v_fmac_f32_e32 v12, v13, v8
	v_fma_f32 v3, -v3, v12, v9
	v_div_fmas_f32 v3, v3, v8, v12
	v_div_fixup_f32 v2, v3, v2, 1.0
	v_xad_u32 v3, v0, -1, s15
	v_subrev_u32_e32 v8, s40, v3
	v_cmp_lt_u32_e32 vcc, s8, v8
	s_mov_b64 s[10:11], -1
	v_mov_b32_e32 v3, v0
	s_and_saveexec_b64 s[8:9], vcc
	s_cbranch_execz .LBB144_35
; %bb.27:
	v_lshrrev_b32_e32 v8, 7, v8
	v_add_u32_e32 v12, -1, v8
	v_lshrrev_b32_e32 v9, 1, v12
	v_mov_b32_e32 v3, v2
	v_add_u32_e32 v9, 1, v9
	v_cmp_lt_u32_e32 vcc, 13, v12
	v_mov_b32_e32 v14, 0
	s_and_saveexec_b64 s[10:11], vcc
	s_cbranch_execz .LBB144_31
; %bb.28:
	v_mov_b32_e32 v13, 0x50
	v_and_b32_e32 v12, -8, v9
	v_lshl_add_u32 v13, v0, 2, v13
	s_mov_b32 s15, 0
	s_mov_b64 s[34:35], 0
.LBB144_29:                             ; =>This Inner Loop Header: Depth=1
	ds_read2st64_b32 v[14:15], v13 offset1:2
	ds_read2st64_b32 v[16:17], v13 offset0:4 offset1:6
	ds_read2st64_b32 v[18:19], v13 offset0:8 offset1:10
	;; [unrolled: 1-line block ×3, first 2 shown]
	v_add_u32_e32 v12, -8, v12
	s_waitcnt lgkmcnt(3)
	v_pk_mul_f32 v[14:15], v[2:3], v[14:15]
	s_waitcnt lgkmcnt(2)
	v_pk_mul_f32 v[16:17], v[2:3], v[16:17]
	ds_write2st64_b32 v13, v14, v15 offset1:2
	ds_write2st64_b32 v13, v16, v17 offset0:4 offset1:6
	ds_read2st64_b32 v[16:17], v13 offset0:16 offset1:18
	s_waitcnt lgkmcnt(4)
	v_pk_mul_f32 v[14:15], v[2:3], v[18:19]
	ds_write2st64_b32 v13, v14, v15 offset0:8 offset1:10
	s_waitcnt lgkmcnt(4)
	v_pk_mul_f32 v[14:15], v[2:3], v[20:21]
	ds_write2st64_b32 v13, v14, v15 offset0:12 offset1:14
	ds_read2st64_b32 v[14:15], v13 offset0:20 offset1:22
	s_waitcnt lgkmcnt(3)
	v_pk_mul_f32 v[16:17], v[2:3], v[16:17]
	ds_read2st64_b32 v[18:19], v13 offset0:24 offset1:26
	ds_write2st64_b32 v13, v16, v17 offset0:16 offset1:18
	ds_read2st64_b32 v[16:17], v13 offset0:28 offset1:30
	s_waitcnt lgkmcnt(3)
	v_pk_mul_f32 v[14:15], v[2:3], v[14:15]
	ds_write2st64_b32 v13, v14, v15 offset0:20 offset1:22
	s_waitcnt lgkmcnt(3)
	v_pk_mul_f32 v[14:15], v[2:3], v[18:19]
	ds_write2st64_b32 v13, v14, v15 offset0:24 offset1:26
	s_waitcnt lgkmcnt(2)
	v_pk_mul_f32 v[14:15], v[2:3], v[16:17]
	s_add_i32 s15, s15, 16
	v_cmp_eq_u32_e32 vcc, 0, v12
	ds_write2st64_b32 v13, v14, v15 offset0:28 offset1:30
	v_add_u32_e32 v13, 0x2000, v13
	s_or_b64 s[34:35], vcc, s[34:35]
	v_mov_b32_e32 v14, s15
	s_andn2_b64 exec, exec, s[34:35]
	s_cbranch_execnz .LBB144_29
; %bb.30:
	s_or_b64 exec, exec, s[34:35]
.LBB144_31:
	s_or_b64 exec, exec, s[10:11]
	v_and_b32_e32 v9, 7, v9
	v_cmp_ne_u32_e32 vcc, 0, v9
	s_and_saveexec_b64 s[10:11], vcc
	s_cbranch_execz .LBB144_34
; %bb.32:
	v_lshlrev_b32_e32 v12, 9, v14
	v_lshlrev_b32_e32 v13, 2, v0
	s_movk_i32 s15, 0x50
	v_add3_u32 v12, v12, v13, s15
	s_mov_b64 s[34:35], 0
.LBB144_33:                             ; =>This Inner Loop Header: Depth=1
	ds_read2st64_b32 v[14:15], v12 offset1:2
	v_add_u32_e32 v9, -1, v9
	v_cmp_eq_u32_e32 vcc, 0, v9
	s_or_b64 s[34:35], vcc, s[34:35]
	s_waitcnt lgkmcnt(0)
	v_pk_mul_f32 v[14:15], v[2:3], v[14:15]
	ds_write2st64_b32 v12, v14, v15 offset1:2
	v_add_u32_e32 v12, 0x400, v12
	s_andn2_b64 exec, exec, s[34:35]
	s_cbranch_execnz .LBB144_33
.LBB144_34:
	s_or_b64 exec, exec, s[10:11]
	v_add_u32_e32 v8, 1, v8
	v_and_b32_e32 v9, 0x3fffffe, v8
	v_cmp_ne_u32_e32 vcc, v8, v9
	v_lshl_add_u32 v3, v9, 7, v0
	s_orn2_b64 s[10:11], vcc, exec
.LBB144_35:
	s_or_b64 exec, exec, s[8:9]
	s_and_b64 exec, exec, s[10:11]
	s_cbranch_execz .LBB144_38
; %bb.36:
	v_mov_b32_e32 v8, 0x50
	v_lshl_add_u32 v8, v3, 2, v8
	s_mov_b64 s[8:9], 0
.LBB144_37:                             ; =>This Inner Loop Header: Depth=1
	ds_read_b32 v9, v8
	v_add_u32_e32 v3, 0x80, v3
	v_cmp_le_i32_e32 vcc, s3, v3
	s_or_b64 s[8:9], vcc, s[8:9]
	s_waitcnt lgkmcnt(0)
	v_mul_f32_e32 v9, v2, v9
	ds_write_b32 v8, v9
	v_add_u32_e32 v8, 0x200, v8
	s_andn2_b64 exec, exec, s[8:9]
	s_cbranch_execnz .LBB144_37
.LBB144_38:
	s_or_b64 exec, exec, s[0:1]
	s_mul_i32 s0, s21, s24
	v_cmp_eq_u32_e32 vcc, 0, v0
	s_mul_i32 s8, s0, s5
	s_waitcnt lgkmcnt(0)
	s_barrier
	s_and_saveexec_b64 s[0:1], vcc
	s_cbranch_execz .LBB144_40
; %bb.39:
	s_ashr_i32 s9, s8, 31
	s_lshl_b64 s[10:11], s[8:9], 2
	s_add_u32 s5, s18, s10
	s_mul_i32 s2, s21, s2
	s_addc_u32 s9, s19, s11
	s_ashr_i32 s3, s2, 31
	s_lshl_b64 s[2:3], s[2:3], 2
	s_add_u32 s15, s5, s2
	s_addc_u32 s9, s9, s3
	s_ashr_i32 s5, s4, 31
	s_lshl_b64 s[18:19], s[4:5], 2
	s_add_u32 s34, s15, s18
	s_addc_u32 s35, s9, s19
	s_add_u32 s5, s16, s10
	s_addc_u32 s9, s17, s11
	;; [unrolled: 2-line block ×3, first 2 shown]
	s_add_u32 s2, s2, s18
	v_mov_b32_e32 v2, 0
	s_addc_u32 s3, s3, s19
	global_store_dword v2, v4, s[34:35]
	global_store_dword v2, v5, s[2:3]
.LBB144_40:
	s_or_b64 exec, exec, s[0:1]
	v_mov_b32_e32 v12, 0
	s_and_saveexec_b64 s[2:3], s[6:7]
	s_cbranch_execz .LBB144_112
; %bb.41:
	s_ashr_i32 s15, s14, 31
	s_lshl_b64 s[0:1], s[14:15], 1
	s_add_u32 s0, s30, s0
	s_addc_u32 s1, s31, s1
	v_lshlrev_b32_e32 v12, 4, v1
	v_mov_b32_e32 v13, 0
	v_lshl_add_u64 v[14:15], s[0:1], 0, v[12:13]
	s_add_i32 s9, s12, -1
	s_lshl_b64 s[0:1], s[28:29], 2
	s_add_u32 s0, s26, s0
	v_mov_b32_e32 v2, 0x50
	s_addc_u32 s1, s27, s1
	v_cmp_gt_u32_e32 vcc, 32, v1
	s_mov_b32 s5, s13
	v_add3_u32 v18, s40, v7, 7
	v_lshl_add_u32 v19, v6, 5, v2
	v_lshl_add_u64 v[16:17], v[10:11], 2, s[0:1]
	s_mov_b64 s[6:7], 0
	s_mov_b32 s14, 0x7f800000
	s_movk_i32 s15, 0x7fff
	v_mov_b32_e32 v12, 0
	s_branch .LBB144_44
.LBB144_42:                             ;   in Loop: Header=BB144_44 Depth=1
	s_or_b64 exec, exec, s[12:13]
	v_and_b32_e32 v6, 0xffff0000, v8
	v_and_b32_e32 v9, 0xffff0000, v11
	;; [unrolled: 1-line block ×8, first 2 shown]
	v_pk_add_f32 v[2:3], v[2:3], v[8:9]
	v_pk_add_f32 v[4:5], v[4:5], v[6:7]
	v_add_f32_e32 v2, v2, v3
	v_add_f32_e32 v2, v2, v4
	;; [unrolled: 1-line block ×4, first 2 shown]
.LBB144_43:                             ;   in Loop: Header=BB144_44 Depth=1
	s_or_b64 exec, exec, s[10:11]
	v_add_u32_e32 v10, 2, v10
	v_cmp_le_i32_e64 s[0:1], s33, v10
	v_add_u32_e32 v18, 16, v18
	v_add_u32_e32 v19, 64, v19
	s_or_b64 s[6:7], s[0:1], s[6:7]
	v_lshl_add_u64 v[16:17], v[16:17], 0, 8
	s_andn2_b64 exec, exec, s[6:7]
	s_cbranch_execz .LBB144_111
.LBB144_44:                             ; =>This Inner Loop Header: Depth=1
	global_load_dword v23, v[16:17], off
	ds_read2_b64 v[6:9], v19 offset1:1
	ds_read2_b64 v[2:5], v19 offset0:2 offset1:3
                                        ; implicit-def: $vgpr22
	s_waitcnt lgkmcnt(1)
	v_and_b32_e32 v11, 0x7f800000, v6
	v_cmp_ne_u32_e64 s[0:1], s14, v11
	s_and_saveexec_b64 s[10:11], s[0:1]
	s_xor_b64 s[0:1], exec, s[10:11]
; %bb.45:                               ;   in Loop: Header=BB144_44 Depth=1
	v_bfe_u32 v11, v6, 16, 1
	v_add3_u32 v22, v6, v11, s15
; %bb.46:                               ;   in Loop: Header=BB144_44 Depth=1
	s_andn2_saveexec_b64 s[10:11], s[0:1]
; %bb.47:                               ;   in Loop: Header=BB144_44 Depth=1
	v_or_b32_e32 v11, 0x10000, v6
	v_cmp_eq_u32_sdwa s[0:1], v6, v13 src0_sel:WORD_0 src1_sel:DWORD
	s_nop 1
	v_cndmask_b32_e64 v22, v11, v6, s[0:1]
; %bb.48:                               ;   in Loop: Header=BB144_44 Depth=1
	s_or_b64 exec, exec, s[10:11]
	v_and_b32_e32 v6, 0x7f800000, v7
	v_cmp_ne_u32_e64 s[0:1], s14, v6
                                        ; implicit-def: $vgpr21
	s_and_saveexec_b64 s[10:11], s[0:1]
	s_xor_b64 s[0:1], exec, s[10:11]
; %bb.49:                               ;   in Loop: Header=BB144_44 Depth=1
	v_bfe_u32 v6, v7, 16, 1
	v_add3_u32 v21, v7, v6, s15
; %bb.50:                               ;   in Loop: Header=BB144_44 Depth=1
	s_andn2_saveexec_b64 s[10:11], s[0:1]
; %bb.51:                               ;   in Loop: Header=BB144_44 Depth=1
	v_or_b32_e32 v6, 0x10000, v7
	v_cmp_eq_u32_sdwa s[0:1], v7, v13 src0_sel:WORD_0 src1_sel:DWORD
	s_nop 1
	v_cndmask_b32_e64 v21, v6, v7, s[0:1]
; %bb.52:                               ;   in Loop: Header=BB144_44 Depth=1
	s_or_b64 exec, exec, s[10:11]
	v_and_b32_e32 v6, 0x7f800000, v8
	v_cmp_ne_u32_e64 s[0:1], s14, v6
                                        ; implicit-def: $vgpr20
	s_and_saveexec_b64 s[10:11], s[0:1]
	s_xor_b64 s[0:1], exec, s[10:11]
; %bb.53:                               ;   in Loop: Header=BB144_44 Depth=1
	v_bfe_u32 v6, v8, 16, 1
	v_add3_u32 v20, v8, v6, s15
; %bb.54:                               ;   in Loop: Header=BB144_44 Depth=1
	s_andn2_saveexec_b64 s[10:11], s[0:1]
; %bb.55:                               ;   in Loop: Header=BB144_44 Depth=1
	v_or_b32_e32 v6, 0x10000, v8
	v_cmp_eq_u32_sdwa s[0:1], v8, v13 src0_sel:WORD_0 src1_sel:DWORD
	s_nop 1
	v_cndmask_b32_e64 v20, v6, v8, s[0:1]
; %bb.56:                               ;   in Loop: Header=BB144_44 Depth=1
	s_or_b64 exec, exec, s[10:11]
	v_and_b32_e32 v6, 0x7f800000, v9
	v_cmp_ne_u32_e64 s[0:1], s14, v6
                                        ; implicit-def: $vgpr11
	s_and_saveexec_b64 s[10:11], s[0:1]
	s_xor_b64 s[0:1], exec, s[10:11]
; %bb.57:                               ;   in Loop: Header=BB144_44 Depth=1
	v_bfe_u32 v6, v9, 16, 1
	v_add3_u32 v11, v9, v6, s15
                                        ; implicit-def: $vgpr6_vgpr7_vgpr8_vgpr9
; %bb.58:                               ;   in Loop: Header=BB144_44 Depth=1
	s_andn2_saveexec_b64 s[10:11], s[0:1]
; %bb.59:                               ;   in Loop: Header=BB144_44 Depth=1
	v_or_b32_e32 v6, 0x10000, v9
	v_cmp_eq_u32_sdwa s[0:1], v9, v13 src0_sel:WORD_0 src1_sel:DWORD
	s_nop 1
	v_cndmask_b32_e64 v11, v6, v9, s[0:1]
; %bb.60:                               ;   in Loop: Header=BB144_44 Depth=1
	s_or_b64 exec, exec, s[10:11]
	s_waitcnt lgkmcnt(0)
	v_and_b32_e32 v6, 0x7f800000, v2
	v_cmp_ne_u32_e64 s[0:1], s14, v6
                                        ; implicit-def: $vgpr9
	s_and_saveexec_b64 s[10:11], s[0:1]
	s_xor_b64 s[0:1], exec, s[10:11]
; %bb.61:                               ;   in Loop: Header=BB144_44 Depth=1
	v_bfe_u32 v6, v2, 16, 1
	v_add3_u32 v9, v2, v6, s15
; %bb.62:                               ;   in Loop: Header=BB144_44 Depth=1
	s_andn2_saveexec_b64 s[10:11], s[0:1]
; %bb.63:                               ;   in Loop: Header=BB144_44 Depth=1
	v_or_b32_e32 v6, 0x10000, v2
	v_cmp_eq_u32_sdwa s[0:1], v2, v13 src0_sel:WORD_0 src1_sel:DWORD
	s_nop 1
	v_cndmask_b32_e64 v9, v6, v2, s[0:1]
; %bb.64:                               ;   in Loop: Header=BB144_44 Depth=1
	s_or_b64 exec, exec, s[10:11]
	v_and_b32_e32 v2, 0x7f800000, v3
	v_cmp_ne_u32_e64 s[0:1], s14, v2
                                        ; implicit-def: $vgpr8
	s_and_saveexec_b64 s[10:11], s[0:1]
	s_xor_b64 s[0:1], exec, s[10:11]
; %bb.65:                               ;   in Loop: Header=BB144_44 Depth=1
	v_bfe_u32 v2, v3, 16, 1
	v_add3_u32 v8, v3, v2, s15
; %bb.66:                               ;   in Loop: Header=BB144_44 Depth=1
	s_andn2_saveexec_b64 s[10:11], s[0:1]
; %bb.67:                               ;   in Loop: Header=BB144_44 Depth=1
	v_or_b32_e32 v2, 0x10000, v3
	v_cmp_eq_u32_sdwa s[0:1], v3, v13 src0_sel:WORD_0 src1_sel:DWORD
	s_nop 1
	v_cndmask_b32_e64 v8, v2, v3, s[0:1]
; %bb.68:                               ;   in Loop: Header=BB144_44 Depth=1
	s_or_b64 exec, exec, s[10:11]
	v_and_b32_e32 v2, 0x7f800000, v4
	v_cmp_ne_u32_e64 s[0:1], s14, v2
                                        ; implicit-def: $vgpr7
	s_and_saveexec_b64 s[10:11], s[0:1]
	s_xor_b64 s[0:1], exec, s[10:11]
; %bb.69:                               ;   in Loop: Header=BB144_44 Depth=1
	v_bfe_u32 v2, v4, 16, 1
	v_add3_u32 v7, v4, v2, s15
; %bb.70:                               ;   in Loop: Header=BB144_44 Depth=1
	s_andn2_saveexec_b64 s[10:11], s[0:1]
; %bb.71:                               ;   in Loop: Header=BB144_44 Depth=1
	v_or_b32_e32 v2, 0x10000, v4
	v_cmp_eq_u32_sdwa s[0:1], v4, v13 src0_sel:WORD_0 src1_sel:DWORD
	s_nop 1
	v_cndmask_b32_e64 v7, v2, v4, s[0:1]
; %bb.72:                               ;   in Loop: Header=BB144_44 Depth=1
	s_or_b64 exec, exec, s[10:11]
	v_and_b32_e32 v2, 0x7f800000, v5
	v_cmp_ne_u32_e64 s[0:1], s14, v2
                                        ; implicit-def: $vgpr6
	s_and_saveexec_b64 s[10:11], s[0:1]
	s_xor_b64 s[0:1], exec, s[10:11]
	s_cbranch_execnz .LBB144_75
; %bb.73:                               ;   in Loop: Header=BB144_44 Depth=1
	s_andn2_saveexec_b64 s[10:11], s[0:1]
	s_cbranch_execnz .LBB144_76
.LBB144_74:                             ;   in Loop: Header=BB144_44 Depth=1
	s_or_b64 exec, exec, s[10:11]
	s_and_saveexec_b64 s[10:11], vcc
	s_cbranch_execz .LBB144_43
	s_branch .LBB144_77
.LBB144_75:                             ;   in Loop: Header=BB144_44 Depth=1
	v_bfe_u32 v2, v5, 16, 1
	v_add3_u32 v6, v5, v2, s15
                                        ; implicit-def: $vgpr2_vgpr3_vgpr4_vgpr5
	s_andn2_saveexec_b64 s[10:11], s[0:1]
	s_cbranch_execz .LBB144_74
.LBB144_76:                             ;   in Loop: Header=BB144_44 Depth=1
	v_or_b32_e32 v2, 0x10000, v5
	v_cmp_eq_u32_sdwa s[0:1], v5, v13 src0_sel:WORD_0 src1_sel:DWORD
	s_nop 1
	v_cndmask_b32_e64 v6, v2, v5, s[0:1]
	s_or_b64 exec, exec, s[10:11]
	s_and_saveexec_b64 s[10:11], vcc
	s_cbranch_execz .LBB144_43
.LBB144_77:                             ;   in Loop: Header=BB144_44 Depth=1
	s_waitcnt vmcnt(0)
	v_mad_i64_i32 v[2:3], s[0:1], v23, s5, 0
	v_lshl_add_u64 v[2:3], v[2:3], 1, v[14:15]
	global_load_dwordx4 v[2:5], v[2:3], off
	v_cmp_eq_u32_e64 s[0:1], s9, v10
	s_waitcnt vmcnt(0)
	v_lshrrev_b32_e32 v26, 16, v2
	v_lshrrev_b32_e32 v25, 16, v3
	v_lshrrev_b32_e32 v24, 16, v4
	v_lshrrev_b32_e32 v23, 16, v5
	s_and_saveexec_b64 s[12:13], s[0:1]
	s_cbranch_execz .LBB144_79
; %bb.78:                               ;   in Loop: Header=BB144_44 Depth=1
	v_add_u32_e32 v27, -7, v18
	v_cmp_gt_i32_e64 s[0:1], s25, v27
	v_add_u32_e32 v27, -6, v18
	s_nop 0
	v_cndmask_b32_e64 v2, 0, v2, s[0:1]
	v_cmp_gt_i32_e64 s[0:1], s25, v27
	v_add_u32_e32 v27, -5, v18
	s_nop 0
	v_cndmask_b32_e64 v26, 0, v26, s[0:1]
	;; [unrolled: 4-line block ×6, first 2 shown]
	v_cmp_gt_i32_e64 s[0:1], s25, v27
	s_nop 1
	v_cndmask_b32_e64 v5, 0, v5, s[0:1]
	v_cmp_gt_i32_e64 s[0:1], s25, v18
	s_nop 1
	v_cndmask_b32_e64 v23, 0, v23, s[0:1]
.LBB144_79:                             ;   in Loop: Header=BB144_44 Depth=1
	s_or_b64 exec, exec, s[12:13]
	v_and_b32_e32 v22, 0xffff0000, v22
	v_lshlrev_b32_e32 v2, 16, v2
	v_mul_f32_e32 v22, v22, v2
	v_and_b32_e32 v2, 0x7f800000, v22
	v_cmp_ne_u32_e64 s[0:1], s14, v2
                                        ; implicit-def: $vgpr2
	s_and_saveexec_b64 s[12:13], s[0:1]
	s_xor_b64 s[0:1], exec, s[12:13]
; %bb.80:                               ;   in Loop: Header=BB144_44 Depth=1
	v_bfe_u32 v2, v22, 16, 1
	v_add3_u32 v2, v22, v2, s15
                                        ; implicit-def: $vgpr22
; %bb.81:                               ;   in Loop: Header=BB144_44 Depth=1
	s_andn2_saveexec_b64 s[12:13], s[0:1]
; %bb.82:                               ;   in Loop: Header=BB144_44 Depth=1
	v_or_b32_e32 v2, 0x10000, v22
	v_cmp_eq_u32_sdwa s[0:1], v22, v13 src0_sel:WORD_0 src1_sel:DWORD
	s_nop 1
	v_cndmask_b32_e64 v2, v2, v22, s[0:1]
; %bb.83:                               ;   in Loop: Header=BB144_44 Depth=1
	s_or_b64 exec, exec, s[12:13]
	v_and_b32_e32 v21, 0xffff0000, v21
	v_lshlrev_b32_e32 v22, 16, v26
	v_mul_f32_e32 v22, v21, v22
	v_and_b32_e32 v21, 0x7f800000, v22
	v_cmp_ne_u32_e64 s[0:1], s14, v21
                                        ; implicit-def: $vgpr21
	s_and_saveexec_b64 s[12:13], s[0:1]
	s_xor_b64 s[0:1], exec, s[12:13]
; %bb.84:                               ;   in Loop: Header=BB144_44 Depth=1
	v_bfe_u32 v21, v22, 16, 1
	v_add3_u32 v21, v22, v21, s15
                                        ; implicit-def: $vgpr22
; %bb.85:                               ;   in Loop: Header=BB144_44 Depth=1
	s_andn2_saveexec_b64 s[12:13], s[0:1]
; %bb.86:                               ;   in Loop: Header=BB144_44 Depth=1
	v_or_b32_e32 v21, 0x10000, v22
	v_cmp_eq_u32_sdwa s[0:1], v22, v13 src0_sel:WORD_0 src1_sel:DWORD
	s_nop 1
	v_cndmask_b32_e64 v21, v21, v22, s[0:1]
; %bb.87:                               ;   in Loop: Header=BB144_44 Depth=1
	s_or_b64 exec, exec, s[12:13]
	v_and_b32_e32 v20, 0xffff0000, v20
	v_lshlrev_b32_e32 v3, 16, v3
	v_mul_f32_e32 v20, v20, v3
	v_and_b32_e32 v3, 0x7f800000, v20
	v_cmp_ne_u32_e64 s[0:1], s14, v3
                                        ; implicit-def: $vgpr3
	s_and_saveexec_b64 s[12:13], s[0:1]
	s_xor_b64 s[0:1], exec, s[12:13]
; %bb.88:                               ;   in Loop: Header=BB144_44 Depth=1
	v_bfe_u32 v3, v20, 16, 1
	v_add3_u32 v3, v20, v3, s15
                                        ; implicit-def: $vgpr20
; %bb.89:                               ;   in Loop: Header=BB144_44 Depth=1
	s_andn2_saveexec_b64 s[12:13], s[0:1]
; %bb.90:                               ;   in Loop: Header=BB144_44 Depth=1
	v_or_b32_e32 v3, 0x10000, v20
	v_cmp_eq_u32_sdwa s[0:1], v20, v13 src0_sel:WORD_0 src1_sel:DWORD
	s_nop 1
	v_cndmask_b32_e64 v3, v3, v20, s[0:1]
; %bb.91:                               ;   in Loop: Header=BB144_44 Depth=1
	s_or_b64 exec, exec, s[12:13]
	v_and_b32_e32 v11, 0xffff0000, v11
	v_lshlrev_b32_e32 v20, 16, v25
	v_mul_f32_e32 v20, v11, v20
	v_and_b32_e32 v11, 0x7f800000, v20
	v_cmp_ne_u32_e64 s[0:1], s14, v11
                                        ; implicit-def: $vgpr11
	s_and_saveexec_b64 s[12:13], s[0:1]
	s_xor_b64 s[0:1], exec, s[12:13]
; %bb.92:                               ;   in Loop: Header=BB144_44 Depth=1
	v_bfe_u32 v11, v20, 16, 1
	v_add3_u32 v11, v20, v11, s15
                                        ; implicit-def: $vgpr20
; %bb.93:                               ;   in Loop: Header=BB144_44 Depth=1
	s_andn2_saveexec_b64 s[12:13], s[0:1]
; %bb.94:                               ;   in Loop: Header=BB144_44 Depth=1
	v_or_b32_e32 v11, 0x10000, v20
	v_cmp_eq_u32_sdwa s[0:1], v20, v13 src0_sel:WORD_0 src1_sel:DWORD
	s_nop 1
	v_cndmask_b32_e64 v11, v11, v20, s[0:1]
; %bb.95:                               ;   in Loop: Header=BB144_44 Depth=1
	s_or_b64 exec, exec, s[12:13]
	v_and_b32_e32 v9, 0xffff0000, v9
	v_lshlrev_b32_e32 v4, 16, v4
	v_mul_f32_e32 v9, v9, v4
	v_and_b32_e32 v4, 0x7f800000, v9
	v_cmp_ne_u32_e64 s[0:1], s14, v4
                                        ; implicit-def: $vgpr4
	s_and_saveexec_b64 s[12:13], s[0:1]
	s_xor_b64 s[0:1], exec, s[12:13]
; %bb.96:                               ;   in Loop: Header=BB144_44 Depth=1
	v_bfe_u32 v4, v9, 16, 1
	v_add3_u32 v4, v9, v4, s15
                                        ; implicit-def: $vgpr9
; %bb.97:                               ;   in Loop: Header=BB144_44 Depth=1
	s_andn2_saveexec_b64 s[12:13], s[0:1]
; %bb.98:                               ;   in Loop: Header=BB144_44 Depth=1
	v_or_b32_e32 v4, 0x10000, v9
	v_cmp_eq_u32_sdwa s[0:1], v9, v13 src0_sel:WORD_0 src1_sel:DWORD
	s_nop 1
	v_cndmask_b32_e64 v4, v4, v9, s[0:1]
; %bb.99:                               ;   in Loop: Header=BB144_44 Depth=1
	s_or_b64 exec, exec, s[12:13]
	v_and_b32_e32 v8, 0xffff0000, v8
	v_lshlrev_b32_e32 v9, 16, v24
	v_mul_f32_e32 v9, v8, v9
	v_and_b32_e32 v8, 0x7f800000, v9
	v_cmp_ne_u32_e64 s[0:1], s14, v8
                                        ; implicit-def: $vgpr8
	s_and_saveexec_b64 s[12:13], s[0:1]
	s_xor_b64 s[0:1], exec, s[12:13]
; %bb.100:                              ;   in Loop: Header=BB144_44 Depth=1
	v_bfe_u32 v8, v9, 16, 1
	v_add3_u32 v8, v9, v8, s15
                                        ; implicit-def: $vgpr9
; %bb.101:                              ;   in Loop: Header=BB144_44 Depth=1
	s_andn2_saveexec_b64 s[12:13], s[0:1]
; %bb.102:                              ;   in Loop: Header=BB144_44 Depth=1
	v_or_b32_e32 v8, 0x10000, v9
	v_cmp_eq_u32_sdwa s[0:1], v9, v13 src0_sel:WORD_0 src1_sel:DWORD
	s_nop 1
	v_cndmask_b32_e64 v8, v8, v9, s[0:1]
; %bb.103:                              ;   in Loop: Header=BB144_44 Depth=1
	s_or_b64 exec, exec, s[12:13]
	v_and_b32_e32 v7, 0xffff0000, v7
	v_lshlrev_b32_e32 v5, 16, v5
	v_mul_f32_e32 v7, v7, v5
	v_and_b32_e32 v5, 0x7f800000, v7
	v_cmp_ne_u32_e64 s[0:1], s14, v5
                                        ; implicit-def: $vgpr5
	s_and_saveexec_b64 s[12:13], s[0:1]
	s_xor_b64 s[0:1], exec, s[12:13]
; %bb.104:                              ;   in Loop: Header=BB144_44 Depth=1
	v_bfe_u32 v5, v7, 16, 1
	v_add3_u32 v5, v7, v5, s15
                                        ; implicit-def: $vgpr7
; %bb.105:                              ;   in Loop: Header=BB144_44 Depth=1
	s_andn2_saveexec_b64 s[12:13], s[0:1]
; %bb.106:                              ;   in Loop: Header=BB144_44 Depth=1
	v_or_b32_e32 v5, 0x10000, v7
	v_cmp_eq_u32_sdwa s[0:1], v7, v13 src0_sel:WORD_0 src1_sel:DWORD
	s_nop 1
	v_cndmask_b32_e64 v5, v5, v7, s[0:1]
; %bb.107:                              ;   in Loop: Header=BB144_44 Depth=1
	s_or_b64 exec, exec, s[12:13]
	v_and_b32_e32 v6, 0xffff0000, v6
	v_lshlrev_b32_e32 v7, 16, v23
	v_mul_f32_e32 v6, v6, v7
	v_and_b32_e32 v7, 0x7f800000, v6
	v_cmp_ne_u32_e64 s[0:1], s14, v7
                                        ; implicit-def: $vgpr7
	s_and_saveexec_b64 s[12:13], s[0:1]
	s_xor_b64 s[0:1], exec, s[12:13]
; %bb.108:                              ;   in Loop: Header=BB144_44 Depth=1
	v_bfe_u32 v7, v6, 16, 1
	v_add3_u32 v7, v6, v7, s15
                                        ; implicit-def: $vgpr6
; %bb.109:                              ;   in Loop: Header=BB144_44 Depth=1
	s_andn2_saveexec_b64 s[12:13], s[0:1]
	s_cbranch_execz .LBB144_42
; %bb.110:                              ;   in Loop: Header=BB144_44 Depth=1
	v_or_b32_e32 v7, 0x10000, v6
	v_cmp_eq_u32_sdwa s[0:1], v6, v13 src0_sel:WORD_0 src1_sel:DWORD
	s_nop 1
	v_cndmask_b32_e64 v7, v7, v6, s[0:1]
	s_branch .LBB144_42
.LBB144_111:
	s_or_b64 exec, exec, s[6:7]
.LBB144_112:
	s_or_b64 exec, exec, s[2:3]
	v_and_b32_e32 v2, 0x3c0, v0
	v_cmp_eq_u32_e64 s[0:1], 64, v2
	v_cmp_gt_u32_e32 vcc, 32, v1
	s_and_b64 s[2:3], s[0:1], vcc
	s_barrier
	s_and_saveexec_b64 s[0:1], s[2:3]
	s_cbranch_execz .LBB144_114
; %bb.113:
	v_mov_b32_e32 v2, 0x50
	v_lshl_add_u32 v2, v1, 2, v2
	ds_write_b32 v2, v12
.LBB144_114:
	s_or_b64 exec, exec, s[0:1]
	v_cmp_gt_u32_e64 s[0:1], 64, v0
	s_and_b64 s[0:1], s[0:1], vcc
	s_waitcnt lgkmcnt(0)
	s_barrier
	s_and_saveexec_b64 s[2:3], s[0:1]
	s_cbranch_execz .LBB144_116
; %bb.115:
	v_mov_b32_e32 v0, 0x50
	v_lshl_add_u32 v0, v1, 2, v0
	ds_read_b32 v0, v0
	s_waitcnt lgkmcnt(0)
	v_add_f32_e32 v12, v12, v0
.LBB144_116:
	s_or_b64 exec, exec, s[2:3]
	s_barrier
	s_and_saveexec_b64 s[2:3], s[0:1]
	s_cbranch_execz .LBB144_122
; %bb.117:
	s_mov_b32 s0, 0x7f800000
	v_and_b32_e32 v0, 0x7f800000, v12
	v_cmp_ne_u32_e32 vcc, s0, v0
                                        ; implicit-def: $vgpr0
	s_and_saveexec_b64 s[0:1], vcc
	s_xor_b64 s[0:1], exec, s[0:1]
; %bb.118:
	v_bfe_u32 v0, v12, 16, 1
	s_movk_i32 s2, 0x7fff
	v_add3_u32 v0, v12, v0, s2
                                        ; implicit-def: $vgpr12
; %bb.119:
	s_andn2_saveexec_b64 s[0:1], s[0:1]
; %bb.120:
	v_mov_b32_e32 v0, 0
	v_or_b32_e32 v2, 0x10000, v12
	v_cmp_eq_u32_sdwa vcc, v12, v0 src0_sel:WORD_0 src1_sel:DWORD
	s_nop 1
	v_cndmask_b32_e32 v0, v2, v12, vcc
; %bb.121:
	s_or_b64 exec, exec, s[0:1]
	s_lshl_b32 s0, s8, 5
	s_ashr_i32 s1, s0, 31
	s_lshl_b64 s[0:1], s[0:1], 1
	s_add_u32 s2, s22, s0
	s_mul_i32 s0, s21, s20
	s_addc_u32 s3, s23, s1
	s_ashr_i32 s1, s0, 31
	s_lshl_b64 s[0:1], s[0:1], 1
	s_add_u32 s2, s2, s0
	s_addc_u32 s3, s3, s1
	s_lshl_b32 s0, s4, 5
	s_ashr_i32 s1, s0, 31
	s_lshl_b64 s[0:1], s[0:1], 1
	s_add_u32 s0, s2, s0
	s_addc_u32 s1, s3, s1
	v_lshlrev_b32_e32 v1, 1, v1
	global_store_short_d16_hi v1, v0, s[0:1]
.LBB144_122:
	s_endpgm
	.section	.rodata,"a",@progbits
	.p2align	6, 0x0
	.amdhsa_kernel _ZN4vllm25paged_attention_v2_kernelI14__hip_bfloat16S1_Li32ELi8ELi128ELNS_18Fp8KVCacheDataTypeE0ELb0ELi512EEEvPfS3_PT_PKS4_PKT0_SA_ifPKiSC_iPKfiiiSE_SE_iiiii
		.amdhsa_group_segment_fixed_size 80
		.amdhsa_private_segment_fixed_size 0
		.amdhsa_kernarg_size 400
		.amdhsa_user_sgpr_count 2
		.amdhsa_user_sgpr_dispatch_ptr 0
		.amdhsa_user_sgpr_queue_ptr 0
		.amdhsa_user_sgpr_kernarg_segment_ptr 1
		.amdhsa_user_sgpr_dispatch_id 0
		.amdhsa_user_sgpr_kernarg_preload_length 0
		.amdhsa_user_sgpr_kernarg_preload_offset 0
		.amdhsa_user_sgpr_private_segment_size 0
		.amdhsa_uses_dynamic_stack 0
		.amdhsa_enable_private_segment 0
		.amdhsa_system_sgpr_workgroup_id_x 1
		.amdhsa_system_sgpr_workgroup_id_y 1
		.amdhsa_system_sgpr_workgroup_id_z 1
		.amdhsa_system_sgpr_workgroup_info 0
		.amdhsa_system_vgpr_workitem_id 0
		.amdhsa_next_free_vgpr 28
		.amdhsa_next_free_sgpr 42
		.amdhsa_accum_offset 28
		.amdhsa_reserve_vcc 1
		.amdhsa_float_round_mode_32 0
		.amdhsa_float_round_mode_16_64 0
		.amdhsa_float_denorm_mode_32 3
		.amdhsa_float_denorm_mode_16_64 3
		.amdhsa_dx10_clamp 1
		.amdhsa_ieee_mode 1
		.amdhsa_fp16_overflow 0
		.amdhsa_tg_split 0
		.amdhsa_exception_fp_ieee_invalid_op 0
		.amdhsa_exception_fp_denorm_src 0
		.amdhsa_exception_fp_ieee_div_zero 0
		.amdhsa_exception_fp_ieee_overflow 0
		.amdhsa_exception_fp_ieee_underflow 0
		.amdhsa_exception_fp_ieee_inexact 0
		.amdhsa_exception_int_div_zero 0
	.end_amdhsa_kernel
	.section	.text._ZN4vllm25paged_attention_v2_kernelI14__hip_bfloat16S1_Li32ELi8ELi128ELNS_18Fp8KVCacheDataTypeE0ELb0ELi512EEEvPfS3_PT_PKS4_PKT0_SA_ifPKiSC_iPKfiiiSE_SE_iiiii,"axG",@progbits,_ZN4vllm25paged_attention_v2_kernelI14__hip_bfloat16S1_Li32ELi8ELi128ELNS_18Fp8KVCacheDataTypeE0ELb0ELi512EEEvPfS3_PT_PKS4_PKT0_SA_ifPKiSC_iPKfiiiSE_SE_iiiii,comdat
.Lfunc_end144:
	.size	_ZN4vllm25paged_attention_v2_kernelI14__hip_bfloat16S1_Li32ELi8ELi128ELNS_18Fp8KVCacheDataTypeE0ELb0ELi512EEEvPfS3_PT_PKS4_PKT0_SA_ifPKiSC_iPKfiiiSE_SE_iiiii, .Lfunc_end144-_ZN4vllm25paged_attention_v2_kernelI14__hip_bfloat16S1_Li32ELi8ELi128ELNS_18Fp8KVCacheDataTypeE0ELb0ELi512EEEvPfS3_PT_PKS4_PKT0_SA_ifPKiSC_iPKfiiiSE_SE_iiiii
                                        ; -- End function
	.section	.AMDGPU.csdata,"",@progbits
; Kernel info:
; codeLenInByte = 4908
; NumSgprs: 48
; NumVgprs: 28
; NumAgprs: 0
; TotalNumVgprs: 28
; ScratchSize: 0
; MemoryBound: 0
; FloatMode: 240
; IeeeMode: 1
; LDSByteSize: 80 bytes/workgroup (compile time only)
; SGPRBlocks: 5
; VGPRBlocks: 3
; NumSGPRsForWavesPerEU: 48
; NumVGPRsForWavesPerEU: 28
; AccumOffset: 28
; Occupancy: 8
; WaveLimiterHint : 1
; COMPUTE_PGM_RSRC2:SCRATCH_EN: 0
; COMPUTE_PGM_RSRC2:USER_SGPR: 2
; COMPUTE_PGM_RSRC2:TRAP_HANDLER: 0
; COMPUTE_PGM_RSRC2:TGID_X_EN: 1
; COMPUTE_PGM_RSRC2:TGID_Y_EN: 1
; COMPUTE_PGM_RSRC2:TGID_Z_EN: 1
; COMPUTE_PGM_RSRC2:TIDIG_COMP_CNT: 0
; COMPUTE_PGM_RSRC3_GFX90A:ACCUM_OFFSET: 6
; COMPUTE_PGM_RSRC3_GFX90A:TG_SPLIT: 0
	.section	.text._ZN4vllm25paged_attention_v2_kernelI14__hip_bfloat16S1_Li64ELi8ELi128ELNS_18Fp8KVCacheDataTypeE0ELb0ELi512EEEvPfS3_PT_PKS4_PKT0_SA_ifPKiSC_iPKfiiiSE_SE_iiiii,"axG",@progbits,_ZN4vllm25paged_attention_v2_kernelI14__hip_bfloat16S1_Li64ELi8ELi128ELNS_18Fp8KVCacheDataTypeE0ELb0ELi512EEEvPfS3_PT_PKS4_PKT0_SA_ifPKiSC_iPKfiiiSE_SE_iiiii,comdat
	.protected	_ZN4vllm25paged_attention_v2_kernelI14__hip_bfloat16S1_Li64ELi8ELi128ELNS_18Fp8KVCacheDataTypeE0ELb0ELi512EEEvPfS3_PT_PKS4_PKT0_SA_ifPKiSC_iPKfiiiSE_SE_iiiii ; -- Begin function _ZN4vllm25paged_attention_v2_kernelI14__hip_bfloat16S1_Li64ELi8ELi128ELNS_18Fp8KVCacheDataTypeE0ELb0ELi512EEEvPfS3_PT_PKS4_PKT0_SA_ifPKiSC_iPKfiiiSE_SE_iiiii
	.globl	_ZN4vllm25paged_attention_v2_kernelI14__hip_bfloat16S1_Li64ELi8ELi128ELNS_18Fp8KVCacheDataTypeE0ELb0ELi512EEEvPfS3_PT_PKS4_PKT0_SA_ifPKiSC_iPKfiiiSE_SE_iiiii
	.p2align	8
	.type	_ZN4vllm25paged_attention_v2_kernelI14__hip_bfloat16S1_Li64ELi8ELi128ELNS_18Fp8KVCacheDataTypeE0ELb0ELi512EEEvPfS3_PT_PKS4_PKT0_SA_ifPKiSC_iPKfiiiSE_SE_iiiii,@function
_ZN4vllm25paged_attention_v2_kernelI14__hip_bfloat16S1_Li64ELi8ELi128ELNS_18Fp8KVCacheDataTypeE0ELb0ELi512EEEvPfS3_PT_PKS4_PKT0_SA_ifPKiSC_iPKfiiiSE_SE_iiiii: ; @_ZN4vllm25paged_attention_v2_kernelI14__hip_bfloat16S1_Li64ELi8ELi128ELNS_18Fp8KVCacheDataTypeE0ELb0ELi512EEEvPfS3_PT_PKS4_PKT0_SA_ifPKiSC_iPKfiiiSE_SE_iiiii
; %bb.0:
	s_load_dwordx2 s[6:7], s[0:1], 0x40
	s_mov_b32 s26, s3
	s_ashr_i32 s27, s3, 31
	s_lshl_b64 s[8:9], s[26:27], 2
	s_waitcnt lgkmcnt(0)
	s_add_u32 s6, s6, s8
	s_addc_u32 s7, s7, s9
	s_load_dword s27, s[6:7], 0x0
	s_lshl_b32 s42, s4, 9
	s_waitcnt lgkmcnt(0)
	s_cmp_ge_i32 s42, s27
	s_cbranch_scc1 .LBB145_120
; %bb.1:
	s_load_dword s5, s[0:1], 0x90
	s_load_dwordx2 s[12:13], s[0:1], 0x30
	s_waitcnt lgkmcnt(0)
	s_abs_i32 s7, s5
	s_abs_i32 s3, s12
	v_cvt_f32_u32_e32 v1, s3
	s_sub_i32 s8, 0, s3
	s_xor_b32 s6, s5, s12
	s_ashr_i32 s6, s6, 31
	v_rcp_iflag_f32_e32 v1, v1
	s_nop 0
	v_mul_f32_e32 v1, 0x4f7ffffe, v1
	v_cvt_u32_f32_e32 v1, v1
	s_nop 0
	v_readfirstlane_b32 s9, v1
	s_mul_i32 s8, s8, s9
	s_mul_hi_u32 s8, s9, s8
	s_add_i32 s9, s9, s8
	s_mul_hi_u32 s8, s7, s9
	s_mul_i32 s9, s8, s3
	s_sub_i32 s7, s7, s9
	s_add_i32 s10, s8, 1
	s_sub_i32 s9, s7, s3
	s_cmp_ge_u32 s7, s3
	s_cselect_b32 s8, s10, s8
	s_cselect_b32 s7, s9, s7
	s_add_i32 s9, s8, 1
	s_cmp_ge_u32 s7, s3
	s_cselect_b32 s3, s9, s8
	s_xor_b32 s3, s3, s6
	s_sub_i32 s8, s3, s6
	s_abs_i32 s10, s8
	v_cvt_f32_u32_e32 v1, s10
	s_load_dwordx2 s[6:7], s[0:1], 0x50
	s_sub_i32 s9, 0, s10
	s_abs_i32 s11, s2
	v_rcp_iflag_f32_e32 v1, v1
	s_mov_b32 s3, 0
	v_mul_f32_e32 v1, 0x4f7ffffe, v1
	v_cvt_u32_f32_e32 v1, v1
	s_nop 0
	v_readfirstlane_b32 s12, v1
	s_mul_i32 s9, s9, s12
	s_mul_hi_u32 s9, s12, s9
	s_add_i32 s12, s12, s9
	s_waitcnt lgkmcnt(0)
	s_cmp_eq_u64 s[6:7], 0
	s_mul_hi_u32 s12, s11, s12
	s_cbranch_scc1 .LBB145_3
; %bb.2:
	s_ashr_i32 s3, s2, 31
	s_lshl_b64 s[14:15], s[2:3], 2
	s_add_u32 s6, s6, s14
	s_addc_u32 s7, s7, s15
	s_load_dword s3, s[6:7], 0x0
.LBB145_3:
	s_load_dwordx4 s[16:19], s[0:1], 0x58
	s_ashr_i32 s20, s2, 31
	s_waitcnt lgkmcnt(0)
	s_ashr_i32 s19, s8, 31
	v_and_b32_e32 v1, 7, v0
	s_lshl_b32 s14, s2, 6
	v_cmp_gt_u32_e64 s[8:9], 64, v0
	s_and_saveexec_b64 s[6:7], s[8:9]
	s_cbranch_execz .LBB145_5
; %bb.4:
	s_load_dwordx2 s[22:23], s[0:1], 0x18
	s_mul_i32 s24, s26, s16
	s_ashr_i32 s25, s24, 31
	s_lshl_b64 s[24:25], s[24:25], 1
	v_lshlrev_b32_e32 v2, 1, v0
	s_waitcnt lgkmcnt(0)
	s_add_u32 s16, s22, s24
	s_addc_u32 s21, s23, s25
	s_ashr_i32 s15, s14, 31
	s_lshl_b64 s[22:23], s[14:15], 1
	s_add_u32 s22, s16, s22
	s_addc_u32 s23, s21, s23
	global_load_ushort v2, v2, s[22:23]
	v_lshrrev_b32_e32 v3, 2, v0
	v_and_b32_e32 v3, 0xfe, v3
	v_lshl_add_u32 v3, v1, 4, v3
	s_waitcnt vmcnt(0)
	ds_write_b16 v3, v2
.LBB145_5:
	s_or_b64 exec, exec, s[6:7]
	s_add_i32 s6, s27, 7
	s_ashr_i32 s7, s6, 31
	s_lshr_b32 s7, s7, 29
	s_add_i32 s6, s6, s7
	s_lshl_b32 s16, s4, 6
	s_mul_i32 s7, s12, s10
	s_ashr_i32 s43, s6, 3
	s_add_i32 s6, s16, 64
	s_sub_i32 s7, s11, s7
	s_min_i32 s33, s6, s43
	s_xor_b32 s6, s20, s19
	s_add_i32 s11, s12, 1
	s_sub_i32 s15, s7, s10
	s_cmp_ge_u32 s7, s10
	s_cselect_b32 s11, s11, s12
	s_cselect_b32 s7, s15, s7
	s_add_i32 s12, s11, 1
	s_cmp_ge_u32 s7, s10
	s_load_dwordx2 s[28:29], s[0:1], 0x38
	s_load_dword s10, s[0:1], 0x48
	v_lshrrev_b32_e32 v6, 6, v0
	s_cselect_b32 s7, s12, s11
	s_xor_b32 s7, s7, s6
	v_or_b32_e32 v10, s16, v6
	s_waitcnt lgkmcnt(0)
	s_mul_i32 s30, s26, s10
	s_sub_i32 s12, s7, s6
	s_ashr_i32 s31, s30, 31
	v_cmp_gt_i32_e64 s[6:7], s33, v10
	v_cmp_le_i32_e32 vcc, s33, v10
	v_mbcnt_lo_u32_b32 v4, -1, 0
	s_barrier
	s_waitcnt lgkmcnt(0)
                                        ; implicit-def: $sgpr19
                                        ; implicit-def: $vgpr8
                                        ; implicit-def: $vgpr9
	s_and_saveexec_b64 s[10:11], vcc
	s_xor_b64 s[10:11], exec, s[10:11]
; %bb.6:
	v_mbcnt_hi_u32_b32 v8, -1, v4
	v_and_b32_e32 v1, 64, v8
	v_add_u32_e32 v9, 64, v1
	s_mov_b32 s19, 0xff7fffff
                                        ; implicit-def: $vgpr1
                                        ; implicit-def: $vgpr4
; %bb.7:
	s_or_saveexec_b64 s[36:37], s[10:11]
	s_load_dwordx4 s[20:23], s[0:1], 0x0
	s_load_dwordx2 s[24:25], s[0:1], 0x10
	s_load_dwordx2 s[34:35], s[0:1], 0x28
	s_load_dword s15, s[0:1], 0x98
	v_mov_b32_e32 v19, s19
	s_mul_i32 s18, s12, s18
	v_ashrrev_i32_e32 v11, 31, v10
	v_lshlrev_b32_e32 v7, 3, v6
	s_xor_b64 exec, exec, s[36:37]
	s_cbranch_execz .LBB145_13
; %bb.8:
	s_load_dwordx2 s[0:1], s[0:1], 0x20
	s_ashr_i32 s19, s18, 31
	s_lshl_b64 s[10:11], s[18:19], 1
	v_bfe_u32 v5, v0, 3, 3
	v_lshlrev_b32_e32 v3, 4, v1
	s_waitcnt lgkmcnt(0)
	s_add_u32 s0, s0, s10
	s_addc_u32 s1, s1, s11
	v_lshlrev_b32_e32 v2, 4, v5
	ds_read_b128 v[16:19], v3
	v_mov_b32_e32 v3, 0
	v_lshl_add_u64 v[8:9], s[0:1], 0, v[2:3]
	v_lshlrev_b32_e32 v2, 1, v1
	v_lshl_add_u64 v[2:3], v[8:9], 0, v[2:3]
	v_mbcnt_hi_u32_b32 v8, -1, v4
	v_and_b32_e32 v4, 64, v8
	v_add_u32_e32 v9, 64, v4
	v_xor_b32_e32 v4, 4, v8
	v_cmp_lt_i32_e32 vcc, v4, v9
	s_sub_i32 s19, 1, s27
	s_lshl_b64 s[10:11], s[30:31], 2
	v_cndmask_b32_e32 v4, v8, v4, vcc
	v_lshlrev_b32_e32 v21, 2, v4
	v_xor_b32_e32 v4, 2, v8
	v_cmp_lt_i32_e32 vcc, v4, v9
	s_add_u32 s10, s28, s10
	s_addc_u32 s11, s29, s11
	v_cndmask_b32_e32 v4, v8, v4, vcc
	v_lshlrev_b32_e32 v22, 2, v4
	v_xor_b32_e32 v4, 1, v8
	v_cmp_lt_i32_e32 vcc, v4, v9
	s_mov_b32 s12, s17
	s_waitcnt lgkmcnt(0)
	v_lshlrev_b32_e32 v12, 16, v16
	v_cndmask_b32_e32 v4, v8, v4, vcc
	v_lshlrev_b32_e32 v23, 2, v4
	v_lshlrev_b32_e32 v4, 2, v5
	v_lshl_or_b32 v4, v6, 5, v4
	v_and_b32_e32 v13, 0xffff0000, v16
	v_lshlrev_b32_e32 v14, 16, v17
	v_and_b32_e32 v15, 0xffff0000, v17
	v_lshlrev_b32_e32 v16, 16, v18
	;; [unrolled: 2-line block ×3, first 2 shown]
	v_and_b32_e32 v20, 0xffff0000, v19
	v_cmp_eq_u32_e32 vcc, 0, v1
	v_cmp_neq_f32_e64 s[0:1], s3, 0
	v_add3_u32 v1, s42, v7, v5
	v_add_u32_e32 v24, 0x90, v4
	v_lshl_add_u64 v[4:5], v[10:11], 2, s[10:11]
	s_mov_b64 s[38:39], 0
	v_mov_b32_e32 v19, 0xff7fffff
	v_mov_b32_e32 v25, v10
	s_branch .LBB145_10
.LBB145_9:                              ;   in Loop: Header=BB145_10 Depth=1
	s_or_b64 exec, exec, s[40:41]
	v_add_u32_e32 v25, 2, v25
	v_cmp_le_i32_e64 s[10:11], s33, v25
	v_add_u32_e32 v1, 16, v1
	v_add_u32_e32 v24, 64, v24
	s_or_b64 s[38:39], s[10:11], s[38:39]
	v_lshl_add_u64 v[4:5], v[4:5], 0, 8
	s_andn2_b64 exec, exec, s[38:39]
	s_cbranch_execz .LBB145_12
.LBB145_10:                             ; =>This Inner Loop Header: Depth=1
	global_load_dword v26, v[4:5], off
	s_waitcnt vmcnt(0) lgkmcnt(0)
	v_mad_i64_i32 v[26:27], s[10:11], v26, s12, 0
	v_lshl_add_u64 v[26:27], v[26:27], 1, v[2:3]
	global_load_ushort v28, v[26:27], off
	global_load_ushort v29, v[26:27], off offset:128
	global_load_ushort v30, v[26:27], off offset:256
	;; [unrolled: 1-line block ×7, first 2 shown]
	s_waitcnt vmcnt(7)
	v_lshlrev_b32_e32 v26, 16, v28
	s_waitcnt vmcnt(6)
	v_lshlrev_b32_e32 v27, 16, v29
	v_mul_f32_e32 v27, v13, v27
	s_waitcnt vmcnt(5)
	v_lshlrev_b32_e32 v28, 16, v30
	v_fmac_f32_e32 v27, v12, v26
	s_waitcnt vmcnt(4)
	v_lshlrev_b32_e32 v29, 16, v31
	v_fmac_f32_e32 v27, v14, v28
	s_waitcnt vmcnt(3)
	v_lshlrev_b32_e32 v30, 16, v32
	v_fmac_f32_e32 v27, v15, v29
	s_waitcnt vmcnt(2)
	v_lshlrev_b32_e32 v31, 16, v33
	v_fmac_f32_e32 v27, v16, v30
	s_waitcnt vmcnt(1)
	v_lshlrev_b32_e32 v32, 16, v34
	v_fmac_f32_e32 v27, v17, v31
	v_fmac_f32_e32 v27, v18, v32
	s_waitcnt vmcnt(0)
	v_lshlrev_b32_e32 v26, 16, v35
	v_fmac_f32_e32 v27, v20, v26
	ds_bpermute_b32 v26, v21, v27
	s_waitcnt lgkmcnt(0)
	v_add_f32_e32 v26, v27, v26
	ds_bpermute_b32 v27, v22, v26
	s_waitcnt lgkmcnt(0)
	v_add_f32_e32 v26, v26, v27
	ds_bpermute_b32 v27, v23, v26
	s_and_saveexec_b64 s[40:41], vcc
	s_cbranch_execz .LBB145_9
; %bb.11:                               ;   in Loop: Header=BB145_10 Depth=1
	v_add_u32_e32 v28, s19, v1
	v_cvt_f32_i32_e32 v28, v28
	s_waitcnt lgkmcnt(0)
	v_add_f32_e32 v26, v26, v27
	v_cmp_gt_i32_e64 s[10:11], s27, v1
	v_max_f32_e32 v27, v19, v19
	v_mul_f32_e32 v28, s3, v28
	v_cndmask_b32_e64 v28, 0, v28, s[0:1]
	v_fmac_f32_e32 v28, s13, v26
	v_cndmask_b32_e64 v26, 0, v28, s[10:11]
	ds_write_b32 v24, v26
	v_max_f32_e32 v26, v27, v28
	v_cndmask_b32_e64 v19, v19, v26, s[10:11]
	s_branch .LBB145_9
.LBB145_12:
	s_or_b64 exec, exec, s[38:39]
.LBB145_13:
	s_or_b64 exec, exec, s[36:37]
	v_xor_b32_e32 v1, 32, v8
	v_cmp_lt_i32_e32 vcc, v1, v9
	v_xor_b32_e32 v4, 16, v8
	v_max_f32_e32 v2, v19, v19
	v_cndmask_b32_e32 v1, v8, v1, vcc
	v_lshlrev_b32_e32 v3, 2, v1
	ds_bpermute_b32 v1, v3, v19
	v_cmp_lt_i32_e32 vcc, v4, v9
	v_xor_b32_e32 v5, 8, v8
	s_waitcnt lgkmcnt(0)
	v_max_f32_e32 v1, v1, v1
	v_max_f32_e32 v1, v2, v1
	v_cndmask_b32_e32 v2, v8, v4, vcc
	v_lshlrev_b32_e32 v12, 2, v2
	ds_bpermute_b32 v2, v12, v1
	v_cmp_lt_i32_e32 vcc, v5, v9
	s_waitcnt lgkmcnt(0)
	v_max_f32_e32 v2, v2, v2
	v_max_f32_e32 v4, v1, v2
	v_cndmask_b32_e32 v1, v8, v5, vcc
	v_lshlrev_b32_e32 v13, 2, v1
	ds_bpermute_b32 v5, v13, v4
	v_and_b32_e32 v1, 63, v0
	v_cmp_eq_u32_e32 vcc, 0, v1
	v_lshlrev_b32_e32 v2, 2, v6
	s_and_saveexec_b64 s[0:1], vcc
	s_cbranch_execz .LBB145_15
; %bb.14:
	s_waitcnt lgkmcnt(0)
	v_max_f32_e32 v5, v5, v5
	v_max_f32_e32 v4, v4, v4
	;; [unrolled: 1-line block ×3, first 2 shown]
	ds_write_b32 v2, v4 offset:128
.LBB145_15:
	s_or_b64 exec, exec, s[0:1]
	v_cmp_gt_u32_e64 s[0:1], 2, v1
	v_mov_b32_e32 v4, 0xff7fffff
	s_waitcnt lgkmcnt(0)
	v_lshlrev_b32_e32 v5, 2, v1
	s_barrier
	s_and_saveexec_b64 s[10:11], s[0:1]
	s_cbranch_execz .LBB145_17
; %bb.16:
	ds_read_b32 v4, v5 offset:128
.LBB145_17:
	s_or_b64 exec, exec, s[10:11]
	v_xor_b32_e32 v14, 1, v8
	v_cmp_lt_i32_e64 s[10:11], v14, v9
	s_sub_i32 s3, s33, s16
	s_lshl_b32 s3, s3, 3
	v_cndmask_b32_e64 v14, v8, v14, s[10:11]
	v_lshlrev_b32_e32 v14, 2, v14
	s_waitcnt lgkmcnt(0)
	ds_bpermute_b32 v15, v14, v4
	v_max_f32_e32 v4, v4, v4
	s_add_i32 s3, s3, s42
	s_min_i32 s19, s3, s27
	s_sub_i32 s3, s19, s42
	s_waitcnt lgkmcnt(0)
	v_max_f32_e32 v15, v15, v15
	v_max_f32_e32 v4, v4, v15
	v_lshlrev_b32_e32 v15, 2, v8
	v_and_b32_e32 v15, 0xffffff00, v15
	ds_bpermute_b32 v4, v15, v4
	v_cmp_gt_i32_e64 s[10:11], s3, v0
	v_mov_b32_e32 v16, 0
	s_and_saveexec_b64 s[36:37], s[10:11]
	s_cbranch_execz .LBB145_21
; %bb.18:
	v_mov_b32_e32 v16, 0x90
	v_lshl_add_u32 v17, v0, 2, v16
	s_mov_b64 s[38:39], 0
	v_mov_b32_e32 v16, 0
	v_mov_b32_e32 v18, v0
.LBB145_19:                             ; =>This Inner Loop Header: Depth=1
	ds_read_b32 v19, v17
	v_add_u32_e32 v18, 0x80, v18
	v_cmp_le_i32_e64 s[12:13], s3, v18
	s_or_b64 s[38:39], s[12:13], s[38:39]
	s_waitcnt lgkmcnt(0)
	v_sub_f32_e32 v19, v19, v4
	v_mul_f32_e32 v19, 0x3fb8aa3b, v19
	v_exp_f32_e32 v19, v19
	ds_write_b32 v17, v19
	v_add_f32_e32 v16, v16, v19
	v_add_u32_e32 v17, 0x200, v17
	s_andn2_b64 exec, exec, s[38:39]
	s_cbranch_execnz .LBB145_19
; %bb.20:
	s_or_b64 exec, exec, s[38:39]
.LBB145_21:
	s_or_b64 exec, exec, s[36:37]
	ds_bpermute_b32 v3, v3, v16
	s_waitcnt lgkmcnt(0)
	v_add_f32_e32 v3, v16, v3
	ds_bpermute_b32 v12, v12, v3
	s_waitcnt lgkmcnt(0)
	v_add_f32_e32 v3, v3, v12
	ds_bpermute_b32 v12, v13, v3
	v_xor_b32_e32 v13, 4, v8
	v_cmp_lt_i32_e64 s[12:13], v13, v9
	s_waitcnt lgkmcnt(0)
	v_add_f32_e32 v3, v3, v12
	v_cndmask_b32_e64 v13, v8, v13, s[12:13]
	v_lshlrev_b32_e32 v13, 2, v13
	ds_bpermute_b32 v12, v13, v3
	v_xor_b32_e32 v13, 2, v8
	v_cmp_lt_i32_e64 s[12:13], v13, v9
	s_waitcnt lgkmcnt(0)
	v_add_f32_e32 v3, v3, v12
	v_cndmask_b32_e64 v8, v8, v13, s[12:13]
	v_lshlrev_b32_e32 v8, 2, v8
	ds_bpermute_b32 v8, v8, v3
	s_waitcnt lgkmcnt(0)
	v_add_f32_e32 v3, v3, v8
	ds_bpermute_b32 v8, v14, v3
	s_waitcnt lgkmcnt(0)
	v_add_f32_e32 v3, v3, v8
	s_and_saveexec_b64 s[12:13], vcc
	s_cbranch_execz .LBB145_23
; %bb.22:
	ds_write_b32 v2, v3 offset:136
.LBB145_23:
	s_or_b64 exec, exec, s[12:13]
	s_waitcnt lgkmcnt(0)
	s_barrier
	s_and_saveexec_b64 s[12:13], s[0:1]
	s_cbranch_execz .LBB145_25
; %bb.24:
	ds_read_b32 v3, v5 offset:136
.LBB145_25:
	s_or_b64 exec, exec, s[12:13]
	s_waitcnt lgkmcnt(0)
	ds_bpermute_b32 v2, v14, v3
	s_waitcnt lgkmcnt(0)
	v_add_f32_e32 v2, v3, v2
	ds_bpermute_b32 v5, v15, v2
	s_and_saveexec_b64 s[0:1], s[10:11]
	s_cbranch_execz .LBB145_38
; %bb.26:
	s_waitcnt lgkmcnt(0)
	v_add_f32_e32 v2, 0x358637bd, v5
	v_div_scale_f32 v3, s[10:11], v2, v2, 1.0
	v_rcp_f32_e32 v8, v3
	v_div_scale_f32 v9, vcc, 1.0, v2, 1.0
	s_movk_i32 s10, 0x7f
	v_fma_f32 v12, -v3, v8, 1.0
	v_fmac_f32_e32 v8, v12, v8
	v_mul_f32_e32 v12, v9, v8
	v_fma_f32 v13, -v3, v12, v9
	v_fmac_f32_e32 v12, v13, v8
	v_fma_f32 v3, -v3, v12, v9
	v_div_fmas_f32 v3, v3, v8, v12
	v_div_fixup_f32 v2, v3, v2, 1.0
	v_xad_u32 v3, v0, -1, s19
	v_subrev_u32_e32 v8, s42, v3
	v_cmp_lt_u32_e32 vcc, s10, v8
	s_mov_b64 s[12:13], -1
	v_mov_b32_e32 v3, v0
	s_and_saveexec_b64 s[10:11], vcc
	s_cbranch_execz .LBB145_35
; %bb.27:
	v_lshrrev_b32_e32 v8, 7, v8
	v_add_u32_e32 v12, -1, v8
	v_lshrrev_b32_e32 v9, 1, v12
	v_mov_b32_e32 v3, v2
	v_add_u32_e32 v9, 1, v9
	v_cmp_lt_u32_e32 vcc, 13, v12
	v_mov_b32_e32 v14, 0
	s_and_saveexec_b64 s[12:13], vcc
	s_cbranch_execz .LBB145_31
; %bb.28:
	v_mov_b32_e32 v13, 0x90
	v_and_b32_e32 v12, -8, v9
	v_lshl_add_u32 v13, v0, 2, v13
	s_mov_b32 s19, 0
	s_mov_b64 s[36:37], 0
.LBB145_29:                             ; =>This Inner Loop Header: Depth=1
	ds_read2st64_b32 v[14:15], v13 offset1:2
	ds_read2st64_b32 v[16:17], v13 offset0:4 offset1:6
	ds_read2st64_b32 v[18:19], v13 offset0:8 offset1:10
	;; [unrolled: 1-line block ×3, first 2 shown]
	v_add_u32_e32 v12, -8, v12
	s_waitcnt lgkmcnt(3)
	v_pk_mul_f32 v[14:15], v[2:3], v[14:15]
	s_waitcnt lgkmcnt(2)
	v_pk_mul_f32 v[16:17], v[2:3], v[16:17]
	ds_write2st64_b32 v13, v14, v15 offset1:2
	ds_write2st64_b32 v13, v16, v17 offset0:4 offset1:6
	ds_read2st64_b32 v[16:17], v13 offset0:16 offset1:18
	s_waitcnt lgkmcnt(4)
	v_pk_mul_f32 v[14:15], v[2:3], v[18:19]
	ds_write2st64_b32 v13, v14, v15 offset0:8 offset1:10
	s_waitcnt lgkmcnt(4)
	v_pk_mul_f32 v[14:15], v[2:3], v[20:21]
	ds_write2st64_b32 v13, v14, v15 offset0:12 offset1:14
	ds_read2st64_b32 v[14:15], v13 offset0:20 offset1:22
	s_waitcnt lgkmcnt(3)
	v_pk_mul_f32 v[16:17], v[2:3], v[16:17]
	ds_read2st64_b32 v[18:19], v13 offset0:24 offset1:26
	ds_write2st64_b32 v13, v16, v17 offset0:16 offset1:18
	ds_read2st64_b32 v[16:17], v13 offset0:28 offset1:30
	s_waitcnt lgkmcnt(3)
	v_pk_mul_f32 v[14:15], v[2:3], v[14:15]
	ds_write2st64_b32 v13, v14, v15 offset0:20 offset1:22
	s_waitcnt lgkmcnt(3)
	v_pk_mul_f32 v[14:15], v[2:3], v[18:19]
	ds_write2st64_b32 v13, v14, v15 offset0:24 offset1:26
	s_waitcnt lgkmcnt(2)
	v_pk_mul_f32 v[14:15], v[2:3], v[16:17]
	s_add_i32 s19, s19, 16
	v_cmp_eq_u32_e32 vcc, 0, v12
	ds_write2st64_b32 v13, v14, v15 offset0:28 offset1:30
	v_add_u32_e32 v13, 0x2000, v13
	s_or_b64 s[36:37], vcc, s[36:37]
	v_mov_b32_e32 v14, s19
	s_andn2_b64 exec, exec, s[36:37]
	s_cbranch_execnz .LBB145_29
; %bb.30:
	s_or_b64 exec, exec, s[36:37]
.LBB145_31:
	s_or_b64 exec, exec, s[12:13]
	v_and_b32_e32 v9, 7, v9
	v_cmp_ne_u32_e32 vcc, 0, v9
	s_and_saveexec_b64 s[12:13], vcc
	s_cbranch_execz .LBB145_34
; %bb.32:
	v_lshlrev_b32_e32 v12, 9, v14
	v_lshlrev_b32_e32 v13, 2, v0
	s_movk_i32 s19, 0x90
	v_add3_u32 v12, v12, v13, s19
	s_mov_b64 s[36:37], 0
.LBB145_33:                             ; =>This Inner Loop Header: Depth=1
	ds_read2st64_b32 v[14:15], v12 offset1:2
	v_add_u32_e32 v9, -1, v9
	v_cmp_eq_u32_e32 vcc, 0, v9
	s_or_b64 s[36:37], vcc, s[36:37]
	s_waitcnt lgkmcnt(0)
	v_pk_mul_f32 v[14:15], v[2:3], v[14:15]
	ds_write2st64_b32 v12, v14, v15 offset1:2
	v_add_u32_e32 v12, 0x400, v12
	s_andn2_b64 exec, exec, s[36:37]
	s_cbranch_execnz .LBB145_33
.LBB145_34:
	s_or_b64 exec, exec, s[12:13]
	v_add_u32_e32 v8, 1, v8
	v_and_b32_e32 v9, 0x3fffffe, v8
	v_cmp_ne_u32_e32 vcc, v8, v9
	v_lshl_add_u32 v3, v9, 7, v0
	s_orn2_b64 s[12:13], vcc, exec
.LBB145_35:
	s_or_b64 exec, exec, s[10:11]
	s_and_b64 exec, exec, s[12:13]
	s_cbranch_execz .LBB145_38
; %bb.36:
	v_mov_b32_e32 v8, 0x90
	v_lshl_add_u32 v8, v3, 2, v8
	s_mov_b64 s[10:11], 0
.LBB145_37:                             ; =>This Inner Loop Header: Depth=1
	ds_read_b32 v9, v8
	v_add_u32_e32 v3, 0x80, v3
	v_cmp_le_i32_e32 vcc, s3, v3
	s_or_b64 s[10:11], vcc, s[10:11]
	s_waitcnt lgkmcnt(0)
	v_mul_f32_e32 v9, v2, v9
	ds_write_b32 v8, v9
	v_add_u32_e32 v8, 0x200, v8
	s_andn2_b64 exec, exec, s[10:11]
	s_cbranch_execnz .LBB145_37
.LBB145_38:
	s_or_b64 exec, exec, s[0:1]
	s_mul_i32 s0, s15, s26
	v_cmp_eq_u32_e32 vcc, 0, v0
	s_mul_i32 s0, s0, s5
	s_waitcnt lgkmcnt(0)
	s_barrier
	s_and_saveexec_b64 s[10:11], vcc
	s_cbranch_execz .LBB145_40
; %bb.39:
	s_ashr_i32 s1, s0, 31
	s_lshl_b64 s[12:13], s[0:1], 2
	s_add_u32 s1, s22, s12
	s_mul_i32 s2, s15, s2
	s_addc_u32 s5, s23, s13
	s_ashr_i32 s3, s2, 31
	s_lshl_b64 s[2:3], s[2:3], 2
	s_add_u32 s1, s1, s2
	s_addc_u32 s19, s5, s3
	s_ashr_i32 s5, s4, 31
	s_lshl_b64 s[4:5], s[4:5], 2
	s_add_u32 s22, s1, s4
	s_addc_u32 s23, s19, s5
	s_add_u32 s1, s20, s12
	s_addc_u32 s12, s21, s13
	;; [unrolled: 2-line block ×3, first 2 shown]
	s_add_u32 s2, s1, s4
	v_mov_b32_e32 v2, 0
	s_addc_u32 s3, s3, s5
	global_store_dword v2, v4, s[22:23]
	global_store_dword v2, v5, s[2:3]
.LBB145_40:
	s_or_b64 exec, exec, s[10:11]
	v_mov_b32_e32 v12, 0
	s_and_saveexec_b64 s[2:3], s[6:7]
	s_cbranch_execz .LBB145_110
; %bb.41:
	s_ashr_i32 s19, s18, 31
	s_lshl_b64 s[4:5], s[18:19], 1
	s_add_u32 s4, s34, s4
	s_addc_u32 s5, s35, s5
	v_lshlrev_b32_e32 v12, 4, v1
	v_mov_b32_e32 v13, 0
	v_lshl_add_u64 v[14:15], s[4:5], 0, v[12:13]
	s_add_i32 s43, s43, -1
	s_lshl_b64 s[4:5], s[30:31], 2
	s_add_u32 s4, s28, s4
	v_mov_b32_e32 v2, 0x90
	s_addc_u32 s5, s29, s5
	s_mov_b32 s1, s17
	v_add3_u32 v18, s42, v7, 7
	v_lshl_add_u32 v19, v6, 5, v2
	v_lshl_add_u64 v[16:17], v[10:11], 2, s[4:5]
	s_mov_b64 s[4:5], 0
	s_mov_b32 s10, 0x7f800000
	s_movk_i32 s11, 0x7fff
	v_mov_b32_e32 v12, 0
	s_branch .LBB145_43
.LBB145_42:                             ;   in Loop: Header=BB145_43 Depth=1
	s_or_b64 exec, exec, s[6:7]
	v_and_b32_e32 v6, 0xffff0000, v8
	v_and_b32_e32 v9, 0xffff0000, v11
	;; [unrolled: 1-line block ×8, first 2 shown]
	v_pk_add_f32 v[2:3], v[2:3], v[8:9]
	v_pk_add_f32 v[4:5], v[4:5], v[6:7]
	v_add_f32_e32 v2, v2, v3
	v_add_f32_e32 v2, v2, v4
	v_add_u32_e32 v10, 2, v10
	v_add_f32_e32 v2, v2, v5
	v_cmp_le_i32_e32 vcc, s33, v10
	v_add_f32_e32 v12, v12, v2
	v_add_u32_e32 v18, 16, v18
	v_add_u32_e32 v19, 64, v19
	s_or_b64 s[4:5], vcc, s[4:5]
	v_lshl_add_u64 v[16:17], v[16:17], 0, 8
	s_andn2_b64 exec, exec, s[4:5]
	s_cbranch_execz .LBB145_109
.LBB145_43:                             ; =>This Inner Loop Header: Depth=1
	global_load_dword v22, v[16:17], off
	ds_read2_b64 v[6:9], v19 offset1:1
	ds_read2_b64 v[2:5], v19 offset0:2 offset1:3
                                        ; implicit-def: $vgpr23
	s_waitcnt lgkmcnt(1)
	v_and_b32_e32 v11, 0x7f800000, v6
	v_cmp_ne_u32_e32 vcc, s10, v11
	s_and_saveexec_b64 s[6:7], vcc
	s_xor_b64 s[6:7], exec, s[6:7]
; %bb.44:                               ;   in Loop: Header=BB145_43 Depth=1
	v_bfe_u32 v11, v6, 16, 1
	v_add3_u32 v23, v6, v11, s11
; %bb.45:                               ;   in Loop: Header=BB145_43 Depth=1
	s_andn2_saveexec_b64 s[6:7], s[6:7]
; %bb.46:                               ;   in Loop: Header=BB145_43 Depth=1
	v_or_b32_e32 v11, 0x10000, v6
	v_cmp_eq_u32_sdwa vcc, v6, v13 src0_sel:WORD_0 src1_sel:DWORD
	s_nop 1
	v_cndmask_b32_e32 v23, v11, v6, vcc
; %bb.47:                               ;   in Loop: Header=BB145_43 Depth=1
	s_or_b64 exec, exec, s[6:7]
	v_and_b32_e32 v6, 0x7f800000, v7
	v_cmp_ne_u32_e32 vcc, s10, v6
                                        ; implicit-def: $vgpr21
	s_and_saveexec_b64 s[6:7], vcc
	s_xor_b64 s[6:7], exec, s[6:7]
; %bb.48:                               ;   in Loop: Header=BB145_43 Depth=1
	v_bfe_u32 v6, v7, 16, 1
	v_add3_u32 v21, v7, v6, s11
; %bb.49:                               ;   in Loop: Header=BB145_43 Depth=1
	s_andn2_saveexec_b64 s[6:7], s[6:7]
; %bb.50:                               ;   in Loop: Header=BB145_43 Depth=1
	v_or_b32_e32 v6, 0x10000, v7
	v_cmp_eq_u32_sdwa vcc, v7, v13 src0_sel:WORD_0 src1_sel:DWORD
	s_nop 1
	v_cndmask_b32_e32 v21, v6, v7, vcc
; %bb.51:                               ;   in Loop: Header=BB145_43 Depth=1
	s_or_b64 exec, exec, s[6:7]
	v_and_b32_e32 v6, 0x7f800000, v8
	v_cmp_ne_u32_e32 vcc, s10, v6
                                        ; implicit-def: $vgpr20
	s_and_saveexec_b64 s[6:7], vcc
	s_xor_b64 s[6:7], exec, s[6:7]
; %bb.52:                               ;   in Loop: Header=BB145_43 Depth=1
	v_bfe_u32 v6, v8, 16, 1
	v_add3_u32 v20, v8, v6, s11
; %bb.53:                               ;   in Loop: Header=BB145_43 Depth=1
	s_andn2_saveexec_b64 s[6:7], s[6:7]
; %bb.54:                               ;   in Loop: Header=BB145_43 Depth=1
	v_or_b32_e32 v6, 0x10000, v8
	v_cmp_eq_u32_sdwa vcc, v8, v13 src0_sel:WORD_0 src1_sel:DWORD
	s_nop 1
	v_cndmask_b32_e32 v20, v6, v8, vcc
; %bb.55:                               ;   in Loop: Header=BB145_43 Depth=1
	s_or_b64 exec, exec, s[6:7]
	v_and_b32_e32 v6, 0x7f800000, v9
	v_cmp_ne_u32_e32 vcc, s10, v6
                                        ; implicit-def: $vgpr11
	s_and_saveexec_b64 s[6:7], vcc
	s_xor_b64 s[6:7], exec, s[6:7]
; %bb.56:                               ;   in Loop: Header=BB145_43 Depth=1
	v_bfe_u32 v6, v9, 16, 1
	v_add3_u32 v11, v9, v6, s11
                                        ; implicit-def: $vgpr6_vgpr7_vgpr8_vgpr9
; %bb.57:                               ;   in Loop: Header=BB145_43 Depth=1
	s_andn2_saveexec_b64 s[6:7], s[6:7]
; %bb.58:                               ;   in Loop: Header=BB145_43 Depth=1
	v_or_b32_e32 v6, 0x10000, v9
	v_cmp_eq_u32_sdwa vcc, v9, v13 src0_sel:WORD_0 src1_sel:DWORD
	s_nop 1
	v_cndmask_b32_e32 v11, v6, v9, vcc
; %bb.59:                               ;   in Loop: Header=BB145_43 Depth=1
	s_or_b64 exec, exec, s[6:7]
	s_waitcnt lgkmcnt(0)
	v_and_b32_e32 v6, 0x7f800000, v2
	v_cmp_ne_u32_e32 vcc, s10, v6
                                        ; implicit-def: $vgpr9
	s_and_saveexec_b64 s[6:7], vcc
	s_xor_b64 s[6:7], exec, s[6:7]
; %bb.60:                               ;   in Loop: Header=BB145_43 Depth=1
	v_bfe_u32 v6, v2, 16, 1
	v_add3_u32 v9, v2, v6, s11
; %bb.61:                               ;   in Loop: Header=BB145_43 Depth=1
	s_andn2_saveexec_b64 s[6:7], s[6:7]
; %bb.62:                               ;   in Loop: Header=BB145_43 Depth=1
	v_or_b32_e32 v6, 0x10000, v2
	v_cmp_eq_u32_sdwa vcc, v2, v13 src0_sel:WORD_0 src1_sel:DWORD
	s_nop 1
	v_cndmask_b32_e32 v9, v6, v2, vcc
; %bb.63:                               ;   in Loop: Header=BB145_43 Depth=1
	s_or_b64 exec, exec, s[6:7]
	v_and_b32_e32 v2, 0x7f800000, v3
	v_cmp_ne_u32_e32 vcc, s10, v2
                                        ; implicit-def: $vgpr8
	s_and_saveexec_b64 s[6:7], vcc
	s_xor_b64 s[6:7], exec, s[6:7]
; %bb.64:                               ;   in Loop: Header=BB145_43 Depth=1
	v_bfe_u32 v2, v3, 16, 1
	v_add3_u32 v8, v3, v2, s11
; %bb.65:                               ;   in Loop: Header=BB145_43 Depth=1
	s_andn2_saveexec_b64 s[6:7], s[6:7]
; %bb.66:                               ;   in Loop: Header=BB145_43 Depth=1
	v_or_b32_e32 v2, 0x10000, v3
	v_cmp_eq_u32_sdwa vcc, v3, v13 src0_sel:WORD_0 src1_sel:DWORD
	s_nop 1
	v_cndmask_b32_e32 v8, v2, v3, vcc
; %bb.67:                               ;   in Loop: Header=BB145_43 Depth=1
	s_or_b64 exec, exec, s[6:7]
	v_and_b32_e32 v2, 0x7f800000, v4
	v_cmp_ne_u32_e32 vcc, s10, v2
                                        ; implicit-def: $vgpr7
	s_and_saveexec_b64 s[6:7], vcc
	s_xor_b64 s[6:7], exec, s[6:7]
; %bb.68:                               ;   in Loop: Header=BB145_43 Depth=1
	v_bfe_u32 v2, v4, 16, 1
	v_add3_u32 v7, v4, v2, s11
; %bb.69:                               ;   in Loop: Header=BB145_43 Depth=1
	s_andn2_saveexec_b64 s[6:7], s[6:7]
; %bb.70:                               ;   in Loop: Header=BB145_43 Depth=1
	v_or_b32_e32 v2, 0x10000, v4
	v_cmp_eq_u32_sdwa vcc, v4, v13 src0_sel:WORD_0 src1_sel:DWORD
	s_nop 1
	v_cndmask_b32_e32 v7, v2, v4, vcc
; %bb.71:                               ;   in Loop: Header=BB145_43 Depth=1
	s_or_b64 exec, exec, s[6:7]
	v_and_b32_e32 v2, 0x7f800000, v5
	v_cmp_ne_u32_e32 vcc, s10, v2
                                        ; implicit-def: $vgpr6
	s_and_saveexec_b64 s[6:7], vcc
	s_xor_b64 s[6:7], exec, s[6:7]
; %bb.72:                               ;   in Loop: Header=BB145_43 Depth=1
	v_bfe_u32 v2, v5, 16, 1
	v_add3_u32 v6, v5, v2, s11
                                        ; implicit-def: $vgpr2_vgpr3_vgpr4_vgpr5
; %bb.73:                               ;   in Loop: Header=BB145_43 Depth=1
	s_andn2_saveexec_b64 s[6:7], s[6:7]
; %bb.74:                               ;   in Loop: Header=BB145_43 Depth=1
	v_or_b32_e32 v2, 0x10000, v5
	v_cmp_eq_u32_sdwa vcc, v5, v13 src0_sel:WORD_0 src1_sel:DWORD
	s_nop 1
	v_cndmask_b32_e32 v6, v2, v5, vcc
; %bb.75:                               ;   in Loop: Header=BB145_43 Depth=1
	s_or_b64 exec, exec, s[6:7]
	s_waitcnt vmcnt(0)
	v_mad_i64_i32 v[2:3], s[6:7], v22, s1, 0
	v_lshl_add_u64 v[2:3], v[2:3], 1, v[14:15]
	global_load_dwordx4 v[2:5], v[2:3], off
	v_cmp_eq_u32_e32 vcc, s43, v10
	s_waitcnt vmcnt(0)
	v_lshrrev_b32_e32 v26, 16, v2
	v_lshrrev_b32_e32 v25, 16, v3
	;; [unrolled: 1-line block ×4, first 2 shown]
	s_and_saveexec_b64 s[6:7], vcc
	s_cbranch_execz .LBB145_77
; %bb.76:                               ;   in Loop: Header=BB145_43 Depth=1
	v_add_u32_e32 v27, -7, v18
	v_cmp_gt_i32_e32 vcc, s27, v27
	v_add_u32_e32 v27, -6, v18
	s_nop 0
	v_cndmask_b32_e32 v2, 0, v2, vcc
	v_cmp_gt_i32_e32 vcc, s27, v27
	v_add_u32_e32 v27, -5, v18
	s_nop 0
	v_cndmask_b32_e32 v26, 0, v26, vcc
	;; [unrolled: 4-line block ×6, first 2 shown]
	v_cmp_gt_i32_e32 vcc, s27, v27
	s_nop 1
	v_cndmask_b32_e32 v5, 0, v5, vcc
	v_cmp_gt_i32_e32 vcc, s27, v18
	s_nop 1
	v_cndmask_b32_e32 v22, 0, v22, vcc
.LBB145_77:                             ;   in Loop: Header=BB145_43 Depth=1
	s_or_b64 exec, exec, s[6:7]
	v_and_b32_e32 v23, 0xffff0000, v23
	v_lshlrev_b32_e32 v2, 16, v2
	v_mul_f32_e32 v23, v23, v2
	v_and_b32_e32 v2, 0x7f800000, v23
	v_cmp_ne_u32_e32 vcc, s10, v2
                                        ; implicit-def: $vgpr2
	s_and_saveexec_b64 s[6:7], vcc
	s_xor_b64 s[6:7], exec, s[6:7]
; %bb.78:                               ;   in Loop: Header=BB145_43 Depth=1
	v_bfe_u32 v2, v23, 16, 1
	v_add3_u32 v2, v23, v2, s11
                                        ; implicit-def: $vgpr23
; %bb.79:                               ;   in Loop: Header=BB145_43 Depth=1
	s_andn2_saveexec_b64 s[6:7], s[6:7]
; %bb.80:                               ;   in Loop: Header=BB145_43 Depth=1
	v_or_b32_e32 v2, 0x10000, v23
	v_cmp_eq_u32_sdwa vcc, v23, v13 src0_sel:WORD_0 src1_sel:DWORD
	s_nop 1
	v_cndmask_b32_e32 v2, v2, v23, vcc
; %bb.81:                               ;   in Loop: Header=BB145_43 Depth=1
	s_or_b64 exec, exec, s[6:7]
	v_and_b32_e32 v21, 0xffff0000, v21
	v_lshlrev_b32_e32 v23, 16, v26
	v_mul_f32_e32 v23, v21, v23
	v_and_b32_e32 v21, 0x7f800000, v23
	v_cmp_ne_u32_e32 vcc, s10, v21
                                        ; implicit-def: $vgpr21
	s_and_saveexec_b64 s[6:7], vcc
	s_xor_b64 s[6:7], exec, s[6:7]
; %bb.82:                               ;   in Loop: Header=BB145_43 Depth=1
	v_bfe_u32 v21, v23, 16, 1
	v_add3_u32 v21, v23, v21, s11
                                        ; implicit-def: $vgpr23
; %bb.83:                               ;   in Loop: Header=BB145_43 Depth=1
	s_andn2_saveexec_b64 s[6:7], s[6:7]
; %bb.84:                               ;   in Loop: Header=BB145_43 Depth=1
	v_or_b32_e32 v21, 0x10000, v23
	v_cmp_eq_u32_sdwa vcc, v23, v13 src0_sel:WORD_0 src1_sel:DWORD
	s_nop 1
	v_cndmask_b32_e32 v21, v21, v23, vcc
; %bb.85:                               ;   in Loop: Header=BB145_43 Depth=1
	s_or_b64 exec, exec, s[6:7]
	v_and_b32_e32 v20, 0xffff0000, v20
	v_lshlrev_b32_e32 v3, 16, v3
	v_mul_f32_e32 v20, v20, v3
	v_and_b32_e32 v3, 0x7f800000, v20
	v_cmp_ne_u32_e32 vcc, s10, v3
                                        ; implicit-def: $vgpr3
	s_and_saveexec_b64 s[6:7], vcc
	s_xor_b64 s[6:7], exec, s[6:7]
; %bb.86:                               ;   in Loop: Header=BB145_43 Depth=1
	v_bfe_u32 v3, v20, 16, 1
	v_add3_u32 v3, v20, v3, s11
                                        ; implicit-def: $vgpr20
; %bb.87:                               ;   in Loop: Header=BB145_43 Depth=1
	s_andn2_saveexec_b64 s[6:7], s[6:7]
; %bb.88:                               ;   in Loop: Header=BB145_43 Depth=1
	v_or_b32_e32 v3, 0x10000, v20
	v_cmp_eq_u32_sdwa vcc, v20, v13 src0_sel:WORD_0 src1_sel:DWORD
	s_nop 1
	v_cndmask_b32_e32 v3, v3, v20, vcc
; %bb.89:                               ;   in Loop: Header=BB145_43 Depth=1
	s_or_b64 exec, exec, s[6:7]
	v_and_b32_e32 v11, 0xffff0000, v11
	v_lshlrev_b32_e32 v20, 16, v25
	v_mul_f32_e32 v20, v11, v20
	v_and_b32_e32 v11, 0x7f800000, v20
	v_cmp_ne_u32_e32 vcc, s10, v11
                                        ; implicit-def: $vgpr11
	s_and_saveexec_b64 s[6:7], vcc
	s_xor_b64 s[6:7], exec, s[6:7]
; %bb.90:                               ;   in Loop: Header=BB145_43 Depth=1
	v_bfe_u32 v11, v20, 16, 1
	v_add3_u32 v11, v20, v11, s11
                                        ; implicit-def: $vgpr20
; %bb.91:                               ;   in Loop: Header=BB145_43 Depth=1
	s_andn2_saveexec_b64 s[6:7], s[6:7]
; %bb.92:                               ;   in Loop: Header=BB145_43 Depth=1
	v_or_b32_e32 v11, 0x10000, v20
	v_cmp_eq_u32_sdwa vcc, v20, v13 src0_sel:WORD_0 src1_sel:DWORD
	s_nop 1
	v_cndmask_b32_e32 v11, v11, v20, vcc
; %bb.93:                               ;   in Loop: Header=BB145_43 Depth=1
	s_or_b64 exec, exec, s[6:7]
	v_and_b32_e32 v9, 0xffff0000, v9
	v_lshlrev_b32_e32 v4, 16, v4
	v_mul_f32_e32 v9, v9, v4
	v_and_b32_e32 v4, 0x7f800000, v9
	v_cmp_ne_u32_e32 vcc, s10, v4
                                        ; implicit-def: $vgpr4
	s_and_saveexec_b64 s[6:7], vcc
	s_xor_b64 s[6:7], exec, s[6:7]
; %bb.94:                               ;   in Loop: Header=BB145_43 Depth=1
	v_bfe_u32 v4, v9, 16, 1
	v_add3_u32 v4, v9, v4, s11
                                        ; implicit-def: $vgpr9
; %bb.95:                               ;   in Loop: Header=BB145_43 Depth=1
	s_andn2_saveexec_b64 s[6:7], s[6:7]
; %bb.96:                               ;   in Loop: Header=BB145_43 Depth=1
	v_or_b32_e32 v4, 0x10000, v9
	v_cmp_eq_u32_sdwa vcc, v9, v13 src0_sel:WORD_0 src1_sel:DWORD
	s_nop 1
	v_cndmask_b32_e32 v4, v4, v9, vcc
; %bb.97:                               ;   in Loop: Header=BB145_43 Depth=1
	s_or_b64 exec, exec, s[6:7]
	v_and_b32_e32 v8, 0xffff0000, v8
	v_lshlrev_b32_e32 v9, 16, v24
	v_mul_f32_e32 v9, v8, v9
	v_and_b32_e32 v8, 0x7f800000, v9
	v_cmp_ne_u32_e32 vcc, s10, v8
                                        ; implicit-def: $vgpr8
	s_and_saveexec_b64 s[6:7], vcc
	s_xor_b64 s[6:7], exec, s[6:7]
; %bb.98:                               ;   in Loop: Header=BB145_43 Depth=1
	v_bfe_u32 v8, v9, 16, 1
	v_add3_u32 v8, v9, v8, s11
                                        ; implicit-def: $vgpr9
; %bb.99:                               ;   in Loop: Header=BB145_43 Depth=1
	s_andn2_saveexec_b64 s[6:7], s[6:7]
; %bb.100:                              ;   in Loop: Header=BB145_43 Depth=1
	v_or_b32_e32 v8, 0x10000, v9
	v_cmp_eq_u32_sdwa vcc, v9, v13 src0_sel:WORD_0 src1_sel:DWORD
	s_nop 1
	v_cndmask_b32_e32 v8, v8, v9, vcc
; %bb.101:                              ;   in Loop: Header=BB145_43 Depth=1
	s_or_b64 exec, exec, s[6:7]
	v_and_b32_e32 v7, 0xffff0000, v7
	v_lshlrev_b32_e32 v5, 16, v5
	v_mul_f32_e32 v7, v7, v5
	v_and_b32_e32 v5, 0x7f800000, v7
	v_cmp_ne_u32_e32 vcc, s10, v5
                                        ; implicit-def: $vgpr5
	s_and_saveexec_b64 s[6:7], vcc
	s_xor_b64 s[6:7], exec, s[6:7]
; %bb.102:                              ;   in Loop: Header=BB145_43 Depth=1
	v_bfe_u32 v5, v7, 16, 1
	v_add3_u32 v5, v7, v5, s11
                                        ; implicit-def: $vgpr7
; %bb.103:                              ;   in Loop: Header=BB145_43 Depth=1
	s_andn2_saveexec_b64 s[6:7], s[6:7]
; %bb.104:                              ;   in Loop: Header=BB145_43 Depth=1
	v_or_b32_e32 v5, 0x10000, v7
	v_cmp_eq_u32_sdwa vcc, v7, v13 src0_sel:WORD_0 src1_sel:DWORD
	s_nop 1
	v_cndmask_b32_e32 v5, v5, v7, vcc
; %bb.105:                              ;   in Loop: Header=BB145_43 Depth=1
	s_or_b64 exec, exec, s[6:7]
	v_and_b32_e32 v6, 0xffff0000, v6
	v_lshlrev_b32_e32 v7, 16, v22
	v_mul_f32_e32 v6, v6, v7
	v_and_b32_e32 v7, 0x7f800000, v6
	v_cmp_ne_u32_e32 vcc, s10, v7
                                        ; implicit-def: $vgpr7
	s_and_saveexec_b64 s[6:7], vcc
	s_xor_b64 s[6:7], exec, s[6:7]
; %bb.106:                              ;   in Loop: Header=BB145_43 Depth=1
	v_bfe_u32 v7, v6, 16, 1
	v_add3_u32 v7, v6, v7, s11
                                        ; implicit-def: $vgpr6
; %bb.107:                              ;   in Loop: Header=BB145_43 Depth=1
	s_andn2_saveexec_b64 s[6:7], s[6:7]
	s_cbranch_execz .LBB145_42
; %bb.108:                              ;   in Loop: Header=BB145_43 Depth=1
	v_or_b32_e32 v7, 0x10000, v6
	v_cmp_eq_u32_sdwa vcc, v6, v13 src0_sel:WORD_0 src1_sel:DWORD
	s_nop 1
	v_cndmask_b32_e32 v7, v7, v6, vcc
	s_branch .LBB145_42
.LBB145_109:
	s_or_b64 exec, exec, s[4:5]
.LBB145_110:
	s_or_b64 exec, exec, s[2:3]
	v_and_b32_e32 v0, 0x3c0, v0
	v_cmp_eq_u32_e32 vcc, 64, v0
	s_barrier
	s_and_saveexec_b64 s[2:3], vcc
	s_cbranch_execz .LBB145_112
; %bb.111:
	v_mov_b32_e32 v0, 0x90
	v_lshl_add_u32 v0, v1, 2, v0
	ds_write_b32 v0, v12
.LBB145_112:
	s_or_b64 exec, exec, s[2:3]
	s_waitcnt lgkmcnt(0)
	s_barrier
	s_and_saveexec_b64 s[2:3], s[8:9]
	s_cbranch_execz .LBB145_114
; %bb.113:
	v_mov_b32_e32 v0, 0x90
	v_lshl_add_u32 v0, v1, 2, v0
	ds_read_b32 v0, v0
	s_waitcnt lgkmcnt(0)
	v_add_f32_e32 v12, v12, v0
.LBB145_114:
	s_or_b64 exec, exec, s[2:3]
	s_barrier
	s_and_saveexec_b64 s[2:3], s[8:9]
	s_cbranch_execz .LBB145_120
; %bb.115:
	s_mov_b32 s1, 0x7f800000
	v_and_b32_e32 v0, 0x7f800000, v12
	v_cmp_ne_u32_e32 vcc, s1, v0
                                        ; implicit-def: $vgpr0
	s_and_saveexec_b64 s[2:3], vcc
	s_xor_b64 s[2:3], exec, s[2:3]
; %bb.116:
	v_bfe_u32 v0, v12, 16, 1
	s_movk_i32 s1, 0x7fff
	v_add3_u32 v0, v12, v0, s1
                                        ; implicit-def: $vgpr12
; %bb.117:
	s_andn2_saveexec_b64 s[2:3], s[2:3]
; %bb.118:
	v_mov_b32_e32 v0, 0
	v_or_b32_e32 v2, 0x10000, v12
	v_cmp_eq_u32_sdwa vcc, v12, v0 src0_sel:WORD_0 src1_sel:DWORD
	s_nop 1
	v_cndmask_b32_e32 v0, v2, v12, vcc
; %bb.119:
	s_or_b64 exec, exec, s[2:3]
	s_lshl_b32 s0, s0, 6
	s_ashr_i32 s1, s0, 31
	s_lshl_b64 s[0:1], s[0:1], 1
	s_add_u32 s2, s24, s0
	s_mul_i32 s0, s15, s14
	s_addc_u32 s3, s25, s1
	s_ashr_i32 s1, s0, 31
	s_lshl_b64 s[0:1], s[0:1], 1
	s_add_u32 s2, s2, s0
	s_addc_u32 s3, s3, s1
	s_ashr_i32 s17, s16, 31
	s_lshl_b64 s[0:1], s[16:17], 1
	s_add_u32 s0, s2, s0
	s_addc_u32 s1, s3, s1
	v_lshlrev_b32_e32 v1, 1, v1
	global_store_short_d16_hi v1, v0, s[0:1]
.LBB145_120:
	s_endpgm
	.section	.rodata,"a",@progbits
	.p2align	6, 0x0
	.amdhsa_kernel _ZN4vllm25paged_attention_v2_kernelI14__hip_bfloat16S1_Li64ELi8ELi128ELNS_18Fp8KVCacheDataTypeE0ELb0ELi512EEEvPfS3_PT_PKS4_PKT0_SA_ifPKiSC_iPKfiiiSE_SE_iiiii
		.amdhsa_group_segment_fixed_size 144
		.amdhsa_private_segment_fixed_size 0
		.amdhsa_kernarg_size 400
		.amdhsa_user_sgpr_count 2
		.amdhsa_user_sgpr_dispatch_ptr 0
		.amdhsa_user_sgpr_queue_ptr 0
		.amdhsa_user_sgpr_kernarg_segment_ptr 1
		.amdhsa_user_sgpr_dispatch_id 0
		.amdhsa_user_sgpr_kernarg_preload_length 0
		.amdhsa_user_sgpr_kernarg_preload_offset 0
		.amdhsa_user_sgpr_private_segment_size 0
		.amdhsa_uses_dynamic_stack 0
		.amdhsa_enable_private_segment 0
		.amdhsa_system_sgpr_workgroup_id_x 1
		.amdhsa_system_sgpr_workgroup_id_y 1
		.amdhsa_system_sgpr_workgroup_id_z 1
		.amdhsa_system_sgpr_workgroup_info 0
		.amdhsa_system_vgpr_workitem_id 0
		.amdhsa_next_free_vgpr 36
		.amdhsa_next_free_sgpr 44
		.amdhsa_accum_offset 36
		.amdhsa_reserve_vcc 1
		.amdhsa_float_round_mode_32 0
		.amdhsa_float_round_mode_16_64 0
		.amdhsa_float_denorm_mode_32 3
		.amdhsa_float_denorm_mode_16_64 3
		.amdhsa_dx10_clamp 1
		.amdhsa_ieee_mode 1
		.amdhsa_fp16_overflow 0
		.amdhsa_tg_split 0
		.amdhsa_exception_fp_ieee_invalid_op 0
		.amdhsa_exception_fp_denorm_src 0
		.amdhsa_exception_fp_ieee_div_zero 0
		.amdhsa_exception_fp_ieee_overflow 0
		.amdhsa_exception_fp_ieee_underflow 0
		.amdhsa_exception_fp_ieee_inexact 0
		.amdhsa_exception_int_div_zero 0
	.end_amdhsa_kernel
	.section	.text._ZN4vllm25paged_attention_v2_kernelI14__hip_bfloat16S1_Li64ELi8ELi128ELNS_18Fp8KVCacheDataTypeE0ELb0ELi512EEEvPfS3_PT_PKS4_PKT0_SA_ifPKiSC_iPKfiiiSE_SE_iiiii,"axG",@progbits,_ZN4vllm25paged_attention_v2_kernelI14__hip_bfloat16S1_Li64ELi8ELi128ELNS_18Fp8KVCacheDataTypeE0ELb0ELi512EEEvPfS3_PT_PKS4_PKT0_SA_ifPKiSC_iPKfiiiSE_SE_iiiii,comdat
.Lfunc_end145:
	.size	_ZN4vllm25paged_attention_v2_kernelI14__hip_bfloat16S1_Li64ELi8ELi128ELNS_18Fp8KVCacheDataTypeE0ELb0ELi512EEEvPfS3_PT_PKS4_PKT0_SA_ifPKiSC_iPKfiiiSE_SE_iiiii, .Lfunc_end145-_ZN4vllm25paged_attention_v2_kernelI14__hip_bfloat16S1_Li64ELi8ELi128ELNS_18Fp8KVCacheDataTypeE0ELb0ELi512EEEvPfS3_PT_PKS4_PKT0_SA_ifPKiSC_iPKfiiiSE_SE_iiiii
                                        ; -- End function
	.section	.AMDGPU.csdata,"",@progbits
; Kernel info:
; codeLenInByte = 4744
; NumSgprs: 50
; NumVgprs: 36
; NumAgprs: 0
; TotalNumVgprs: 36
; ScratchSize: 0
; MemoryBound: 0
; FloatMode: 240
; IeeeMode: 1
; LDSByteSize: 144 bytes/workgroup (compile time only)
; SGPRBlocks: 6
; VGPRBlocks: 4
; NumSGPRsForWavesPerEU: 50
; NumVGPRsForWavesPerEU: 36
; AccumOffset: 36
; Occupancy: 8
; WaveLimiterHint : 1
; COMPUTE_PGM_RSRC2:SCRATCH_EN: 0
; COMPUTE_PGM_RSRC2:USER_SGPR: 2
; COMPUTE_PGM_RSRC2:TRAP_HANDLER: 0
; COMPUTE_PGM_RSRC2:TGID_X_EN: 1
; COMPUTE_PGM_RSRC2:TGID_Y_EN: 1
; COMPUTE_PGM_RSRC2:TGID_Z_EN: 1
; COMPUTE_PGM_RSRC2:TIDIG_COMP_CNT: 0
; COMPUTE_PGM_RSRC3_GFX90A:ACCUM_OFFSET: 8
; COMPUTE_PGM_RSRC3_GFX90A:TG_SPLIT: 0
	.section	.text._ZN4vllm25paged_attention_v2_kernelI14__hip_bfloat16S1_Li80ELi8ELi128ELNS_18Fp8KVCacheDataTypeE0ELb0ELi512EEEvPfS3_PT_PKS4_PKT0_SA_ifPKiSC_iPKfiiiSE_SE_iiiii,"axG",@progbits,_ZN4vllm25paged_attention_v2_kernelI14__hip_bfloat16S1_Li80ELi8ELi128ELNS_18Fp8KVCacheDataTypeE0ELb0ELi512EEEvPfS3_PT_PKS4_PKT0_SA_ifPKiSC_iPKfiiiSE_SE_iiiii,comdat
	.protected	_ZN4vllm25paged_attention_v2_kernelI14__hip_bfloat16S1_Li80ELi8ELi128ELNS_18Fp8KVCacheDataTypeE0ELb0ELi512EEEvPfS3_PT_PKS4_PKT0_SA_ifPKiSC_iPKfiiiSE_SE_iiiii ; -- Begin function _ZN4vllm25paged_attention_v2_kernelI14__hip_bfloat16S1_Li80ELi8ELi128ELNS_18Fp8KVCacheDataTypeE0ELb0ELi512EEEvPfS3_PT_PKS4_PKT0_SA_ifPKiSC_iPKfiiiSE_SE_iiiii
	.globl	_ZN4vllm25paged_attention_v2_kernelI14__hip_bfloat16S1_Li80ELi8ELi128ELNS_18Fp8KVCacheDataTypeE0ELb0ELi512EEEvPfS3_PT_PKS4_PKT0_SA_ifPKiSC_iPKfiiiSE_SE_iiiii
	.p2align	8
	.type	_ZN4vllm25paged_attention_v2_kernelI14__hip_bfloat16S1_Li80ELi8ELi128ELNS_18Fp8KVCacheDataTypeE0ELb0ELi512EEEvPfS3_PT_PKS4_PKT0_SA_ifPKiSC_iPKfiiiSE_SE_iiiii,@function
_ZN4vllm25paged_attention_v2_kernelI14__hip_bfloat16S1_Li80ELi8ELi128ELNS_18Fp8KVCacheDataTypeE0ELb0ELi512EEEvPfS3_PT_PKS4_PKT0_SA_ifPKiSC_iPKfiiiSE_SE_iiiii: ; @_ZN4vllm25paged_attention_v2_kernelI14__hip_bfloat16S1_Li80ELi8ELi128ELNS_18Fp8KVCacheDataTypeE0ELb0ELi512EEEvPfS3_PT_PKS4_PKT0_SA_ifPKiSC_iPKfiiiSE_SE_iiiii
; %bb.0:
	s_load_dwordx2 s[6:7], s[0:1], 0x40
	s_mov_b32 s26, s3
	s_ashr_i32 s27, s3, 31
	s_lshl_b64 s[8:9], s[26:27], 2
	s_waitcnt lgkmcnt(0)
	s_add_u32 s6, s6, s8
	s_addc_u32 s7, s7, s9
	s_load_dword s27, s[6:7], 0x0
	s_lshl_b32 s42, s4, 9
	s_waitcnt lgkmcnt(0)
	s_cmp_ge_i32 s42, s27
	s_cbranch_scc1 .LBB146_164
; %bb.1:
	s_load_dword s5, s[0:1], 0x90
	s_load_dwordx2 s[12:13], s[0:1], 0x30
	s_mov_b32 s43, 0
	s_waitcnt lgkmcnt(0)
	s_abs_i32 s7, s5
	s_abs_i32 s3, s12
	v_cvt_f32_u32_e32 v1, s3
	s_sub_i32 s8, 0, s3
	s_xor_b32 s6, s5, s12
	s_ashr_i32 s6, s6, 31
	v_rcp_iflag_f32_e32 v1, v1
	s_nop 0
	v_mul_f32_e32 v1, 0x4f7ffffe, v1
	v_cvt_u32_f32_e32 v1, v1
	s_nop 0
	v_readfirstlane_b32 s9, v1
	s_mul_i32 s8, s8, s9
	s_mul_hi_u32 s8, s9, s8
	s_add_i32 s9, s9, s8
	s_mul_hi_u32 s8, s7, s9
	s_mul_i32 s9, s8, s3
	s_sub_i32 s7, s7, s9
	s_add_i32 s10, s8, 1
	s_sub_i32 s9, s7, s3
	s_cmp_ge_u32 s7, s3
	s_cselect_b32 s8, s10, s8
	s_cselect_b32 s7, s9, s7
	s_add_i32 s9, s8, 1
	s_cmp_ge_u32 s7, s3
	s_cselect_b32 s3, s9, s8
	s_xor_b32 s3, s3, s6
	s_sub_i32 s8, s3, s6
	s_abs_i32 s10, s8
	v_cvt_f32_u32_e32 v1, s10
	s_load_dwordx2 s[6:7], s[0:1], 0x50
	s_sub_i32 s3, 0, s10
	s_abs_i32 s11, s2
	v_rcp_iflag_f32_e32 v1, v1
	s_nop 0
	v_mul_f32_e32 v1, 0x4f7ffffe, v1
	v_cvt_u32_f32_e32 v1, v1
	s_nop 0
	v_readfirstlane_b32 s9, v1
	s_mul_i32 s3, s3, s9
	s_mul_hi_u32 s3, s9, s3
	s_add_i32 s9, s9, s3
	s_waitcnt lgkmcnt(0)
	s_cmp_eq_u64 s[6:7], 0
	s_mul_hi_u32 s20, s11, s9
	s_cbranch_scc1 .LBB146_3
; %bb.2:
	s_ashr_i32 s3, s2, 31
	s_lshl_b64 s[14:15], s[2:3], 2
	s_add_u32 s6, s6, s14
	s_addc_u32 s7, s7, s15
	s_load_dword s43, s[6:7], 0x0
.LBB146_3:
	s_load_dwordx4 s[16:19], s[0:1], 0x58
	s_movk_i32 s3, 0x50
	s_ashr_i32 s21, s2, 31
	s_ashr_i32 s22, s8, 31
	v_and_b32_e32 v1, 7, v0
	s_mul_i32 s14, s2, 0x50
	v_cmp_gt_u32_e64 s[8:9], s3, v0
	v_lshlrev_b32_e32 v10, 1, v0
	s_and_saveexec_b64 s[6:7], s[8:9]
	s_cbranch_execz .LBB146_5
; %bb.4:
	s_load_dwordx2 s[24:25], s[0:1], 0x18
	s_waitcnt lgkmcnt(0)
	s_mul_i32 s28, s26, s16
	s_ashr_i32 s29, s28, 31
	s_lshl_b64 s[28:29], s[28:29], 1
	v_lshrrev_b32_e32 v3, 2, v0
	s_add_u32 s3, s24, s28
	s_addc_u32 s12, s25, s29
	s_ashr_i32 s15, s14, 31
	s_lshl_b64 s[24:25], s[14:15], 1
	s_add_u32 s24, s3, s24
	s_addc_u32 s25, s12, s25
	global_load_ushort v2, v10, s[24:25]
	v_and_b32_e32 v3, 0xfe, v3
	v_mad_u32_u24 v3, v1, 20, v3
	s_waitcnt vmcnt(0)
	ds_write_b16 v3, v2
.LBB146_5:
	s_or_b64 exec, exec, s[6:7]
	s_add_i32 s3, s27, 7
	s_ashr_i32 s6, s3, 31
	s_lshr_b32 s6, s6, 29
	s_add_i32 s3, s3, s6
	s_lshl_b32 s12, s4, 6
	s_mul_i32 s7, s20, s10
	s_ashr_i32 s3, s3, 3
	s_add_i32 s6, s12, 64
	s_sub_i32 s7, s11, s7
	s_min_i32 s33, s6, s3
	s_xor_b32 s6, s21, s22
	s_add_i32 s11, s20, 1
	s_sub_i32 s15, s7, s10
	s_cmp_ge_u32 s7, s10
	s_cselect_b32 s11, s11, s20
	s_cselect_b32 s7, s15, s7
	s_add_i32 s15, s11, 1
	s_cmp_ge_u32 s7, s10
	s_load_dwordx2 s[28:29], s[0:1], 0x38
	s_load_dword s10, s[0:1], 0x48
	v_lshrrev_b32_e32 v7, 6, v0
	s_cselect_b32 s7, s15, s11
	s_xor_b32 s7, s7, s6
	v_or_b32_e32 v12, s12, v7
	s_waitcnt lgkmcnt(0)
	s_mul_i32 s30, s26, s10
	s_sub_i32 s16, s7, s6
	s_ashr_i32 s31, s30, 31
	v_cmp_gt_i32_e64 s[6:7], s33, v12
	v_cmp_le_i32_e32 vcc, s33, v12
	v_mbcnt_lo_u32_b32 v4, -1, 0
	s_barrier
	s_waitcnt lgkmcnt(0)
                                        ; implicit-def: $sgpr19
                                        ; implicit-def: $vgpr6
                                        ; implicit-def: $vgpr9
	s_and_saveexec_b64 s[10:11], vcc
	s_xor_b64 s[10:11], exec, s[10:11]
; %bb.6:
	v_mbcnt_hi_u32_b32 v6, -1, v4
	v_and_b32_e32 v1, 64, v6
	v_add_u32_e32 v9, 64, v1
	s_mov_b32 s19, 0xff7fffff
                                        ; implicit-def: $vgpr1
                                        ; implicit-def: $vgpr4
; %bb.7:
	s_or_saveexec_b64 s[36:37], s[10:11]
	s_load_dwordx4 s[20:23], s[0:1], 0x0
	s_load_dwordx2 s[24:25], s[0:1], 0x10
	s_load_dwordx2 s[34:35], s[0:1], 0x28
	s_load_dword s15, s[0:1], 0x98
	v_mov_b32_e32 v22, s19
	s_mul_i32 s18, s16, s18
	v_ashrrev_i32_e32 v13, 31, v12
	v_lshlrev_b32_e32 v8, 3, v7
	s_xor_b64 exec, exec, s[36:37]
	s_cbranch_execz .LBB146_13
; %bb.8:
	s_load_dwordx2 s[0:1], s[0:1], 0x20
	v_mul_u32_u24_e32 v6, 20, v1
	s_ashr_i32 s19, s18, 31
	ds_read2_b32 v[16:17], v6 offset1:1
	ds_read2_b32 v[20:21], v6 offset0:2 offset1:3
	ds_read_b32 v6, v6 offset:16
	s_lshl_b64 s[10:11], s[18:19], 1
	v_bfe_u32 v5, v0, 3, 3
	s_waitcnt lgkmcnt(0)
	s_add_u32 s0, s0, s10
	s_addc_u32 s1, s1, s11
	v_lshlrev_b32_e32 v2, 4, v5
	v_mov_b32_e32 v3, 0
	v_lshl_add_u64 v[14:15], s[0:1], 0, v[2:3]
	v_lshlrev_b32_e32 v2, 1, v1
	v_lshl_add_u64 v[2:3], v[14:15], 0, v[2:3]
	v_lshlrev_b32_e32 v11, 16, v16
	v_and_b32_e32 v14, 0xffff0000, v16
	v_lshlrev_b32_e32 v15, 16, v17
	v_and_b32_e32 v16, 0xffff0000, v17
	;; [unrolled: 2-line block ×5, first 2 shown]
	v_mbcnt_hi_u32_b32 v6, -1, v4
	v_and_b32_e32 v4, 64, v6
	v_add_u32_e32 v9, 64, v4
	v_xor_b32_e32 v4, 4, v6
	v_cmp_lt_i32_e32 vcc, v4, v9
	s_sub_i32 s19, 1, s27
	s_lshl_b64 s[10:11], s[30:31], 2
	v_cndmask_b32_e32 v4, v6, v4, vcc
	v_lshlrev_b32_e32 v24, 2, v4
	v_xor_b32_e32 v4, 2, v6
	v_cmp_lt_i32_e32 vcc, v4, v9
	s_add_u32 s10, s28, s10
	s_addc_u32 s11, s29, s11
	v_cndmask_b32_e32 v4, v6, v4, vcc
	v_lshlrev_b32_e32 v25, 2, v4
	v_xor_b32_e32 v4, 1, v6
	v_cmp_lt_i32_e32 vcc, v4, v9
	s_mov_b32 s16, s17
	v_cmp_neq_f32_e64 s[0:1], s43, 0
	v_cndmask_b32_e32 v4, v6, v4, vcc
	v_lshlrev_b32_e32 v26, 2, v4
	v_lshlrev_b32_e32 v4, 2, v5
	v_lshl_or_b32 v4, v7, 5, v4
	v_cmp_eq_u32_e32 vcc, 0, v1
	v_add3_u32 v1, s42, v8, v5
	v_add_u32_e32 v27, 0xb0, v4
	v_lshl_add_u64 v[4:5], v[12:13], 2, s[10:11]
	s_mov_b64 s[38:39], 0
	v_mov_b32_e32 v22, 0xff7fffff
	v_mov_b32_e32 v28, v12
	s_branch .LBB146_10
.LBB146_9:                              ;   in Loop: Header=BB146_10 Depth=1
	s_or_b64 exec, exec, s[40:41]
	v_add_u32_e32 v28, 2, v28
	v_cmp_le_i32_e64 s[10:11], s33, v28
	v_add_u32_e32 v1, 16, v1
	v_add_u32_e32 v27, 64, v27
	s_or_b64 s[38:39], s[10:11], s[38:39]
	v_lshl_add_u64 v[4:5], v[4:5], 0, 8
	s_andn2_b64 exec, exec, s[38:39]
	s_cbranch_execz .LBB146_12
.LBB146_10:                             ; =>This Inner Loop Header: Depth=1
	global_load_dword v29, v[4:5], off
	s_waitcnt vmcnt(0) lgkmcnt(0)
	v_mad_i64_i32 v[30:31], s[10:11], v29, s16, 0
	v_lshl_add_u64 v[30:31], v[30:31], 1, v[2:3]
	global_load_ushort v29, v[30:31], off
	global_load_ushort v32, v[30:31], off offset:128
	global_load_ushort v33, v[30:31], off offset:256
	;; [unrolled: 1-line block ×9, first 2 shown]
	s_waitcnt vmcnt(9)
	v_lshlrev_b32_e32 v29, 16, v29
	s_waitcnt vmcnt(8)
	v_lshlrev_b32_e32 v30, 16, v32
	v_mul_f32_e32 v30, v14, v30
	s_waitcnt vmcnt(7)
	v_lshlrev_b32_e32 v31, 16, v33
	v_fmac_f32_e32 v30, v11, v29
	s_waitcnt vmcnt(6)
	v_lshlrev_b32_e32 v32, 16, v34
	v_fmac_f32_e32 v30, v15, v31
	s_waitcnt vmcnt(5)
	v_lshlrev_b32_e32 v33, 16, v35
	v_fmac_f32_e32 v30, v16, v32
	s_waitcnt vmcnt(4)
	v_lshlrev_b32_e32 v34, 16, v36
	v_fmac_f32_e32 v30, v17, v33
	s_waitcnt vmcnt(3)
	v_lshlrev_b32_e32 v35, 16, v37
	v_fmac_f32_e32 v30, v18, v34
	s_waitcnt vmcnt(2)
	v_lshlrev_b32_e32 v36, 16, v38
	v_fmac_f32_e32 v30, v19, v35
	s_waitcnt vmcnt(1)
	v_lshlrev_b32_e32 v37, 16, v39
	v_fmac_f32_e32 v30, v20, v36
	v_fmac_f32_e32 v30, v21, v37
	s_waitcnt vmcnt(0)
	v_lshlrev_b32_e32 v29, 16, v40
	v_fmac_f32_e32 v30, v23, v29
	ds_bpermute_b32 v29, v24, v30
	s_waitcnt lgkmcnt(0)
	v_add_f32_e32 v29, v30, v29
	ds_bpermute_b32 v30, v25, v29
	s_waitcnt lgkmcnt(0)
	v_add_f32_e32 v29, v29, v30
	ds_bpermute_b32 v30, v26, v29
	s_and_saveexec_b64 s[40:41], vcc
	s_cbranch_execz .LBB146_9
; %bb.11:                               ;   in Loop: Header=BB146_10 Depth=1
	v_add_u32_e32 v31, s19, v1
	v_cvt_f32_i32_e32 v31, v31
	s_waitcnt lgkmcnt(0)
	v_add_f32_e32 v29, v29, v30
	v_cmp_gt_i32_e64 s[10:11], s27, v1
	v_max_f32_e32 v30, v22, v22
	v_mul_f32_e32 v31, s43, v31
	v_cndmask_b32_e64 v31, 0, v31, s[0:1]
	v_fmac_f32_e32 v31, s13, v29
	v_cndmask_b32_e64 v29, 0, v31, s[10:11]
	ds_write_b32 v27, v29
	v_max_f32_e32 v29, v30, v31
	v_cndmask_b32_e64 v22, v22, v29, s[10:11]
	s_branch .LBB146_9
.LBB146_12:
	s_or_b64 exec, exec, s[38:39]
.LBB146_13:
	s_or_b64 exec, exec, s[36:37]
	v_xor_b32_e32 v1, 32, v6
	v_cmp_lt_i32_e32 vcc, v1, v9
	v_xor_b32_e32 v4, 16, v6
	v_max_f32_e32 v2, v22, v22
	v_cndmask_b32_e32 v1, v6, v1, vcc
	v_lshlrev_b32_e32 v3, 2, v1
	ds_bpermute_b32 v1, v3, v22
	v_cmp_lt_i32_e32 vcc, v4, v9
	v_xor_b32_e32 v5, 8, v6
	s_waitcnt lgkmcnt(0)
	v_max_f32_e32 v1, v1, v1
	v_max_f32_e32 v1, v2, v1
	v_cndmask_b32_e32 v2, v6, v4, vcc
	v_lshlrev_b32_e32 v11, 2, v2
	ds_bpermute_b32 v2, v11, v1
	v_cmp_lt_i32_e32 vcc, v5, v9
	s_waitcnt lgkmcnt(0)
	v_max_f32_e32 v2, v2, v2
	v_max_f32_e32 v4, v1, v2
	v_cndmask_b32_e32 v1, v6, v5, vcc
	v_lshlrev_b32_e32 v14, 2, v1
	ds_bpermute_b32 v5, v14, v4
	v_and_b32_e32 v1, 63, v0
	v_cmp_eq_u32_e32 vcc, 0, v1
	v_lshlrev_b32_e32 v2, 2, v7
	s_and_saveexec_b64 s[0:1], vcc
	s_cbranch_execz .LBB146_15
; %bb.14:
	s_waitcnt lgkmcnt(0)
	v_max_f32_e32 v5, v5, v5
	v_max_f32_e32 v4, v4, v4
	;; [unrolled: 1-line block ×3, first 2 shown]
	ds_write_b32 v2, v4 offset:160
.LBB146_15:
	s_or_b64 exec, exec, s[0:1]
	v_cmp_gt_u32_e64 s[0:1], 2, v1
	v_mov_b32_e32 v4, 0xff7fffff
	s_waitcnt lgkmcnt(0)
	v_lshlrev_b32_e32 v5, 2, v1
	s_barrier
	s_and_saveexec_b64 s[10:11], s[0:1]
	s_cbranch_execz .LBB146_17
; %bb.16:
	ds_read_b32 v4, v5 offset:160
.LBB146_17:
	s_or_b64 exec, exec, s[10:11]
	v_xor_b32_e32 v15, 1, v6
	v_cmp_lt_i32_e64 s[10:11], v15, v9
	v_mov_b32_e32 v17, 0
	s_nop 0
	v_cndmask_b32_e64 v15, v6, v15, s[10:11]
	v_lshlrev_b32_e32 v15, 2, v15
	s_waitcnt lgkmcnt(0)
	ds_bpermute_b32 v16, v15, v4
	v_max_f32_e32 v4, v4, v4
	s_sub_i32 s10, s33, s12
	s_lshl_b32 s10, s10, 3
	s_add_i32 s10, s10, s42
	s_waitcnt lgkmcnt(0)
	v_max_f32_e32 v16, v16, v16
	v_max_f32_e32 v4, v4, v16
	v_lshlrev_b32_e32 v16, 2, v6
	v_and_b32_e32 v16, 0xffffff00, v16
	ds_bpermute_b32 v4, v16, v4
	s_min_i32 s19, s10, s27
	s_sub_i32 s16, s19, s42
	v_cmp_gt_i32_e64 s[10:11], s16, v0
	s_and_saveexec_b64 s[36:37], s[10:11]
	s_cbranch_execz .LBB146_21
; %bb.18:
	v_mov_b32_e32 v17, 0xb0
	v_lshl_add_u32 v18, v0, 2, v17
	s_mov_b64 s[38:39], 0
	v_mov_b32_e32 v17, 0
	v_mov_b32_e32 v19, v0
.LBB146_19:                             ; =>This Inner Loop Header: Depth=1
	ds_read_b32 v20, v18
	v_add_u32_e32 v19, 0x80, v19
	v_cmp_le_i32_e64 s[12:13], s16, v19
	s_or_b64 s[38:39], s[12:13], s[38:39]
	s_waitcnt lgkmcnt(0)
	v_sub_f32_e32 v20, v20, v4
	v_mul_f32_e32 v20, 0x3fb8aa3b, v20
	v_exp_f32_e32 v20, v20
	ds_write_b32 v18, v20
	v_add_f32_e32 v17, v17, v20
	v_add_u32_e32 v18, 0x200, v18
	s_andn2_b64 exec, exec, s[38:39]
	s_cbranch_execnz .LBB146_19
; %bb.20:
	s_or_b64 exec, exec, s[38:39]
.LBB146_21:
	s_or_b64 exec, exec, s[36:37]
	ds_bpermute_b32 v3, v3, v17
	s_waitcnt lgkmcnt(0)
	v_add_f32_e32 v3, v17, v3
	ds_bpermute_b32 v11, v11, v3
	s_waitcnt lgkmcnt(0)
	v_add_f32_e32 v3, v3, v11
	ds_bpermute_b32 v11, v14, v3
	v_xor_b32_e32 v14, 4, v6
	v_cmp_lt_i32_e64 s[12:13], v14, v9
	s_waitcnt lgkmcnt(0)
	v_add_f32_e32 v3, v3, v11
	v_cndmask_b32_e64 v14, v6, v14, s[12:13]
	v_lshlrev_b32_e32 v14, 2, v14
	ds_bpermute_b32 v11, v14, v3
	v_xor_b32_e32 v14, 2, v6
	v_cmp_lt_i32_e64 s[12:13], v14, v9
	s_waitcnt lgkmcnt(0)
	v_add_f32_e32 v3, v3, v11
	v_cndmask_b32_e64 v6, v6, v14, s[12:13]
	v_lshlrev_b32_e32 v6, 2, v6
	ds_bpermute_b32 v6, v6, v3
	s_waitcnt lgkmcnt(0)
	v_add_f32_e32 v3, v3, v6
	ds_bpermute_b32 v6, v15, v3
	s_waitcnt lgkmcnt(0)
	v_add_f32_e32 v3, v3, v6
	s_and_saveexec_b64 s[12:13], vcc
	s_cbranch_execz .LBB146_23
; %bb.22:
	ds_write_b32 v2, v3 offset:168
.LBB146_23:
	s_or_b64 exec, exec, s[12:13]
	s_waitcnt lgkmcnt(0)
	s_barrier
	s_and_saveexec_b64 s[12:13], s[0:1]
	s_cbranch_execz .LBB146_25
; %bb.24:
	ds_read_b32 v3, v5 offset:168
.LBB146_25:
	s_or_b64 exec, exec, s[12:13]
	s_waitcnt lgkmcnt(0)
	ds_bpermute_b32 v2, v15, v3
	s_waitcnt lgkmcnt(0)
	v_add_f32_e32 v2, v3, v2
	ds_bpermute_b32 v5, v16, v2
	s_and_saveexec_b64 s[0:1], s[10:11]
	s_cbranch_execz .LBB146_38
; %bb.26:
	s_waitcnt lgkmcnt(0)
	v_add_f32_e32 v2, 0x358637bd, v5
	v_div_scale_f32 v3, s[10:11], v2, v2, 1.0
	v_rcp_f32_e32 v6, v3
	v_div_scale_f32 v9, vcc, 1.0, v2, 1.0
	s_movk_i32 s10, 0x7f
	v_fma_f32 v11, -v3, v6, 1.0
	v_fmac_f32_e32 v6, v11, v6
	v_mul_f32_e32 v11, v9, v6
	v_fma_f32 v14, -v3, v11, v9
	v_fmac_f32_e32 v11, v14, v6
	v_fma_f32 v3, -v3, v11, v9
	v_div_fmas_f32 v3, v3, v6, v11
	v_div_fixup_f32 v2, v3, v2, 1.0
	v_xad_u32 v3, v0, -1, s19
	v_subrev_u32_e32 v6, s42, v3
	v_cmp_lt_u32_e32 vcc, s10, v6
	s_mov_b64 s[12:13], -1
	v_mov_b32_e32 v3, v0
	s_and_saveexec_b64 s[10:11], vcc
	s_cbranch_execz .LBB146_35
; %bb.27:
	v_lshrrev_b32_e32 v6, 7, v6
	v_add_u32_e32 v11, -1, v6
	v_lshrrev_b32_e32 v9, 1, v11
	v_mov_b32_e32 v3, v2
	v_add_u32_e32 v9, 1, v9
	v_cmp_lt_u32_e32 vcc, 13, v11
	v_mov_b32_e32 v15, 0
	s_and_saveexec_b64 s[12:13], vcc
	s_cbranch_execz .LBB146_31
; %bb.28:
	v_mov_b32_e32 v14, 0xb0
	v_and_b32_e32 v11, -8, v9
	v_lshl_add_u32 v14, v0, 2, v14
	s_mov_b32 s19, 0
	s_mov_b64 s[36:37], 0
.LBB146_29:                             ; =>This Inner Loop Header: Depth=1
	ds_read2st64_b32 v[16:17], v14 offset1:2
	ds_read2st64_b32 v[18:19], v14 offset0:4 offset1:6
	ds_read2st64_b32 v[20:21], v14 offset0:8 offset1:10
	;; [unrolled: 1-line block ×3, first 2 shown]
	v_add_u32_e32 v11, -8, v11
	s_waitcnt lgkmcnt(3)
	v_pk_mul_f32 v[16:17], v[2:3], v[16:17]
	s_waitcnt lgkmcnt(2)
	v_pk_mul_f32 v[18:19], v[2:3], v[18:19]
	ds_write2st64_b32 v14, v16, v17 offset1:2
	ds_write2st64_b32 v14, v18, v19 offset0:4 offset1:6
	ds_read2st64_b32 v[18:19], v14 offset0:16 offset1:18
	s_waitcnt lgkmcnt(4)
	v_pk_mul_f32 v[16:17], v[2:3], v[20:21]
	ds_write2st64_b32 v14, v16, v17 offset0:8 offset1:10
	s_waitcnt lgkmcnt(4)
	v_pk_mul_f32 v[16:17], v[2:3], v[22:23]
	ds_write2st64_b32 v14, v16, v17 offset0:12 offset1:14
	ds_read2st64_b32 v[16:17], v14 offset0:20 offset1:22
	s_waitcnt lgkmcnt(3)
	v_pk_mul_f32 v[18:19], v[2:3], v[18:19]
	ds_read2st64_b32 v[20:21], v14 offset0:24 offset1:26
	ds_write2st64_b32 v14, v18, v19 offset0:16 offset1:18
	ds_read2st64_b32 v[18:19], v14 offset0:28 offset1:30
	s_waitcnt lgkmcnt(3)
	v_pk_mul_f32 v[16:17], v[2:3], v[16:17]
	ds_write2st64_b32 v14, v16, v17 offset0:20 offset1:22
	s_waitcnt lgkmcnt(3)
	v_pk_mul_f32 v[16:17], v[2:3], v[20:21]
	ds_write2st64_b32 v14, v16, v17 offset0:24 offset1:26
	s_waitcnt lgkmcnt(2)
	v_pk_mul_f32 v[16:17], v[2:3], v[18:19]
	s_add_i32 s19, s19, 16
	v_cmp_eq_u32_e32 vcc, 0, v11
	ds_write2st64_b32 v14, v16, v17 offset0:28 offset1:30
	v_add_u32_e32 v14, 0x2000, v14
	s_or_b64 s[36:37], vcc, s[36:37]
	v_mov_b32_e32 v15, s19
	s_andn2_b64 exec, exec, s[36:37]
	s_cbranch_execnz .LBB146_29
; %bb.30:
	s_or_b64 exec, exec, s[36:37]
.LBB146_31:
	s_or_b64 exec, exec, s[12:13]
	v_and_b32_e32 v9, 7, v9
	v_cmp_ne_u32_e32 vcc, 0, v9
	s_and_saveexec_b64 s[12:13], vcc
	s_cbranch_execz .LBB146_34
; %bb.32:
	v_lshlrev_b32_e32 v11, 9, v15
	v_lshlrev_b32_e32 v14, 2, v0
	s_movk_i32 s19, 0xb0
	v_add3_u32 v11, v11, v14, s19
	s_mov_b64 s[36:37], 0
.LBB146_33:                             ; =>This Inner Loop Header: Depth=1
	ds_read2st64_b32 v[14:15], v11 offset1:2
	v_add_u32_e32 v9, -1, v9
	v_cmp_eq_u32_e32 vcc, 0, v9
	s_or_b64 s[36:37], vcc, s[36:37]
	s_waitcnt lgkmcnt(0)
	v_pk_mul_f32 v[14:15], v[2:3], v[14:15]
	ds_write2st64_b32 v11, v14, v15 offset1:2
	v_add_u32_e32 v11, 0x400, v11
	s_andn2_b64 exec, exec, s[36:37]
	s_cbranch_execnz .LBB146_33
.LBB146_34:
	s_or_b64 exec, exec, s[12:13]
	v_add_u32_e32 v6, 1, v6
	v_and_b32_e32 v9, 0x3fffffe, v6
	v_cmp_ne_u32_e32 vcc, v6, v9
	v_lshl_add_u32 v3, v9, 7, v0
	s_orn2_b64 s[12:13], vcc, exec
.LBB146_35:
	s_or_b64 exec, exec, s[10:11]
	s_and_b64 exec, exec, s[12:13]
	s_cbranch_execz .LBB146_38
; %bb.36:
	v_mov_b32_e32 v6, 0xb0
	v_lshl_add_u32 v6, v3, 2, v6
	s_mov_b64 s[10:11], 0
.LBB146_37:                             ; =>This Inner Loop Header: Depth=1
	ds_read_b32 v9, v6
	v_add_u32_e32 v3, 0x80, v3
	v_cmp_le_i32_e32 vcc, s16, v3
	s_or_b64 s[10:11], vcc, s[10:11]
	s_waitcnt lgkmcnt(0)
	v_mul_f32_e32 v9, v2, v9
	ds_write_b32 v6, v9
	v_add_u32_e32 v6, 0x200, v6
	s_andn2_b64 exec, exec, s[10:11]
	s_cbranch_execnz .LBB146_37
.LBB146_38:
	s_or_b64 exec, exec, s[0:1]
	s_mul_i32 s0, s15, s26
	v_cmp_eq_u32_e32 vcc, 0, v0
	s_mul_i32 s10, s0, s5
	s_waitcnt lgkmcnt(0)
	s_barrier
	s_and_saveexec_b64 s[0:1], vcc
	s_cbranch_execz .LBB146_40
; %bb.39:
	s_ashr_i32 s11, s10, 31
	s_lshl_b64 s[12:13], s[10:11], 2
	s_add_u32 s5, s22, s12
	s_mul_i32 s22, s15, s2
	s_addc_u32 s11, s23, s13
	s_ashr_i32 s23, s22, 31
	s_lshl_b64 s[22:23], s[22:23], 2
	s_add_u32 s2, s5, s22
	s_addc_u32 s11, s11, s23
	s_ashr_i32 s5, s4, 31
	s_lshl_b64 s[36:37], s[4:5], 2
	s_add_u32 s38, s2, s36
	s_addc_u32 s39, s11, s37
	s_add_u32 s2, s20, s12
	s_addc_u32 s5, s21, s13
	;; [unrolled: 2-line block ×3, first 2 shown]
	s_add_u32 s12, s2, s36
	v_mov_b32_e32 v2, 0
	s_addc_u32 s13, s5, s37
	global_store_dword v2, v4, s[38:39]
	global_store_dword v2, v5, s[12:13]
.LBB146_40:
	s_or_b64 exec, exec, s[0:1]
	v_mov_b32_e32 v15, 0
	v_mov_b32_e32 v6, v15
	s_and_saveexec_b64 s[12:13], s[6:7]
	s_cbranch_execz .LBB146_146
; %bb.41:
	s_ashr_i32 s19, s18, 31
	s_lshl_b64 s[0:1], s[18:19], 1
	s_add_u32 s6, s34, s0
	v_or_b32_e32 v3, 64, v1
	s_movk_i32 s0, 0x50
	s_addc_u32 s7, s35, s1
	s_add_i32 s11, s3, -1
	v_cmp_gt_u32_e32 vcc, s0, v3
	s_lshl_b64 s[0:1], s[30:31], 2
	s_add_u32 s0, s28, s0
	v_lshlrev_b32_e32 v2, 3, v1
	v_mov_b32_e32 v17, 0
	v_lshlrev_b32_e32 v4, 3, v3
	v_mov_b32_e32 v3, 0xb0
	s_addc_u32 s1, s29, s1
	s_mov_b32 s5, s17
	v_add3_u32 v11, s42, v8, 7
	v_lshl_add_u32 v22, v7, 5, v3
	v_lshl_add_u64 v[18:19], v[12:13], 2, s[0:1]
	s_mov_b64 s[16:17], 0
	s_mov_b32 s22, 0x7f800000
	s_movk_i32 s23, 0x7fff
	v_lshlrev_b32_e32 v16, 1, v2
	v_lshlrev_b32_e32 v20, 1, v4
	v_mov_b32_e32 v14, v17
	v_mov_b32_e32 v15, v17
	s_branch .LBB146_44
.LBB146_42:                             ;   in Loop: Header=BB146_44 Depth=1
	s_or_b64 exec, exec, s[2:3]
	v_and_b32_e32 v24, 0xffff0000, v9
	v_and_b32_e32 v9, 0xffff0000, v13
	;; [unrolled: 1-line block ×5, first 2 shown]
	v_pk_add_f32 v[2:3], v[2:3], v[8:9]
	v_and_b32_e32 v25, 0xffff0000, v21
	v_and_b32_e32 v5, 0xffff0000, v5
	;; [unrolled: 1-line block ×3, first 2 shown]
	v_mov_b32_e32 v8, v3
	v_pk_add_f32 v[2:3], v[2:3], v[8:9]
	v_pk_add_f32 v[4:5], v[4:5], v[24:25]
	s_nop 0
	v_pk_add_f32 v[2:3], v[2:3], v[4:5]
	v_mov_b32_e32 v4, v5
	v_pk_add_f32 v[2:3], v[2:3], v[4:5]
	s_nop 0
	v_mov_b32_e32 v3, v2
	v_pk_add_f32 v[14:15], v[14:15], v[2:3]
.LBB146_43:                             ;   in Loop: Header=BB146_44 Depth=1
	s_or_b64 exec, exec, s[18:19]
	v_add_u32_e32 v12, 2, v12
	v_cmp_le_i32_e64 s[0:1], s33, v12
	v_add_u32_e32 v11, 16, v11
	v_add_u32_e32 v22, 64, v22
	v_lshl_add_u64 v[18:19], v[18:19], 0, 8
	s_or_b64 s[16:17], s[0:1], s[16:17]
	v_mov_b32_e32 v14, v6
	s_andn2_b64 exec, exec, s[16:17]
	s_cbranch_execz .LBB146_145
.LBB146_44:                             ; =>This Inner Loop Header: Depth=1
	global_load_dword v13, v[18:19], off
	ds_read2_b64 v[6:9], v22 offset1:1
	ds_read2_b64 v[2:5], v22 offset0:2 offset1:3
                                        ; implicit-def: $vgpr23
	s_waitcnt lgkmcnt(1)
	v_and_b32_e32 v21, 0x7f800000, v6
	v_cmp_ne_u32_e64 s[0:1], s22, v21
	s_and_saveexec_b64 s[2:3], s[0:1]
	s_xor_b64 s[0:1], exec, s[2:3]
; %bb.45:                               ;   in Loop: Header=BB146_44 Depth=1
	v_bfe_u32 v21, v6, 16, 1
	v_add3_u32 v23, v6, v21, s23
; %bb.46:                               ;   in Loop: Header=BB146_44 Depth=1
	s_andn2_saveexec_b64 s[2:3], s[0:1]
; %bb.47:                               ;   in Loop: Header=BB146_44 Depth=1
	v_or_b32_e32 v21, 0x10000, v6
	v_cmp_eq_u32_sdwa s[0:1], v6, v17 src0_sel:WORD_0 src1_sel:DWORD
	s_nop 1
	v_cndmask_b32_e64 v23, v21, v6, s[0:1]
; %bb.48:                               ;   in Loop: Header=BB146_44 Depth=1
	s_or_b64 exec, exec, s[2:3]
	v_and_b32_e32 v6, 0x7f800000, v7
	v_cmp_ne_u32_e64 s[0:1], s22, v6
                                        ; implicit-def: $vgpr24
	s_and_saveexec_b64 s[2:3], s[0:1]
	s_xor_b64 s[0:1], exec, s[2:3]
; %bb.49:                               ;   in Loop: Header=BB146_44 Depth=1
	v_bfe_u32 v6, v7, 16, 1
	v_add3_u32 v24, v7, v6, s23
; %bb.50:                               ;   in Loop: Header=BB146_44 Depth=1
	s_andn2_saveexec_b64 s[2:3], s[0:1]
; %bb.51:                               ;   in Loop: Header=BB146_44 Depth=1
	v_or_b32_e32 v6, 0x10000, v7
	v_cmp_eq_u32_sdwa s[0:1], v7, v17 src0_sel:WORD_0 src1_sel:DWORD
	s_nop 1
	v_cndmask_b32_e64 v24, v6, v7, s[0:1]
; %bb.52:                               ;   in Loop: Header=BB146_44 Depth=1
	s_or_b64 exec, exec, s[2:3]
	v_and_b32_e32 v6, 0x7f800000, v8
	v_cmp_ne_u32_e64 s[0:1], s22, v6
                                        ; implicit-def: $vgpr25
	s_and_saveexec_b64 s[2:3], s[0:1]
	s_xor_b64 s[0:1], exec, s[2:3]
; %bb.53:                               ;   in Loop: Header=BB146_44 Depth=1
	v_bfe_u32 v6, v8, 16, 1
	v_add3_u32 v25, v8, v6, s23
; %bb.54:                               ;   in Loop: Header=BB146_44 Depth=1
	s_andn2_saveexec_b64 s[2:3], s[0:1]
; %bb.55:                               ;   in Loop: Header=BB146_44 Depth=1
	v_or_b32_e32 v6, 0x10000, v8
	v_cmp_eq_u32_sdwa s[0:1], v8, v17 src0_sel:WORD_0 src1_sel:DWORD
	s_nop 1
	v_cndmask_b32_e64 v25, v6, v8, s[0:1]
; %bb.56:                               ;   in Loop: Header=BB146_44 Depth=1
	s_or_b64 exec, exec, s[2:3]
	v_and_b32_e32 v6, 0x7f800000, v9
	v_cmp_ne_u32_e64 s[0:1], s22, v6
                                        ; implicit-def: $vgpr26
	s_and_saveexec_b64 s[2:3], s[0:1]
	s_xor_b64 s[0:1], exec, s[2:3]
; %bb.57:                               ;   in Loop: Header=BB146_44 Depth=1
	v_bfe_u32 v6, v9, 16, 1
	v_add3_u32 v26, v9, v6, s23
                                        ; implicit-def: $vgpr6_vgpr7_vgpr8_vgpr9
; %bb.58:                               ;   in Loop: Header=BB146_44 Depth=1
	s_andn2_saveexec_b64 s[2:3], s[0:1]
; %bb.59:                               ;   in Loop: Header=BB146_44 Depth=1
	v_or_b32_e32 v6, 0x10000, v9
	v_cmp_eq_u32_sdwa s[0:1], v9, v17 src0_sel:WORD_0 src1_sel:DWORD
	s_nop 1
	v_cndmask_b32_e64 v26, v6, v9, s[0:1]
; %bb.60:                               ;   in Loop: Header=BB146_44 Depth=1
	s_or_b64 exec, exec, s[2:3]
	s_waitcnt lgkmcnt(0)
	v_and_b32_e32 v6, 0x7f800000, v2
	v_cmp_ne_u32_e64 s[0:1], s22, v6
                                        ; implicit-def: $vgpr27
	s_and_saveexec_b64 s[2:3], s[0:1]
	s_xor_b64 s[0:1], exec, s[2:3]
; %bb.61:                               ;   in Loop: Header=BB146_44 Depth=1
	v_bfe_u32 v6, v2, 16, 1
	v_add3_u32 v27, v2, v6, s23
; %bb.62:                               ;   in Loop: Header=BB146_44 Depth=1
	s_andn2_saveexec_b64 s[2:3], s[0:1]
; %bb.63:                               ;   in Loop: Header=BB146_44 Depth=1
	v_or_b32_e32 v6, 0x10000, v2
	v_cmp_eq_u32_sdwa s[0:1], v2, v17 src0_sel:WORD_0 src1_sel:DWORD
	s_nop 1
	v_cndmask_b32_e64 v27, v6, v2, s[0:1]
; %bb.64:                               ;   in Loop: Header=BB146_44 Depth=1
	s_or_b64 exec, exec, s[2:3]
	v_and_b32_e32 v2, 0x7f800000, v3
	v_cmp_ne_u32_e64 s[0:1], s22, v2
                                        ; implicit-def: $vgpr21
	s_and_saveexec_b64 s[2:3], s[0:1]
	s_xor_b64 s[0:1], exec, s[2:3]
; %bb.65:                               ;   in Loop: Header=BB146_44 Depth=1
	v_bfe_u32 v2, v3, 16, 1
	v_add3_u32 v21, v3, v2, s23
; %bb.66:                               ;   in Loop: Header=BB146_44 Depth=1
	s_andn2_saveexec_b64 s[2:3], s[0:1]
; %bb.67:                               ;   in Loop: Header=BB146_44 Depth=1
	v_or_b32_e32 v2, 0x10000, v3
	v_cmp_eq_u32_sdwa s[0:1], v3, v17 src0_sel:WORD_0 src1_sel:DWORD
	s_nop 1
	v_cndmask_b32_e64 v21, v2, v3, s[0:1]
; %bb.68:                               ;   in Loop: Header=BB146_44 Depth=1
	s_or_b64 exec, exec, s[2:3]
	v_and_b32_e32 v2, 0x7f800000, v4
	v_cmp_ne_u32_e64 s[0:1], s22, v2
                                        ; implicit-def: $vgpr7
	s_and_saveexec_b64 s[2:3], s[0:1]
	s_xor_b64 s[0:1], exec, s[2:3]
; %bb.69:                               ;   in Loop: Header=BB146_44 Depth=1
	v_bfe_u32 v2, v4, 16, 1
	v_add3_u32 v7, v4, v2, s23
; %bb.70:                               ;   in Loop: Header=BB146_44 Depth=1
	s_andn2_saveexec_b64 s[2:3], s[0:1]
; %bb.71:                               ;   in Loop: Header=BB146_44 Depth=1
	v_or_b32_e32 v2, 0x10000, v4
	v_cmp_eq_u32_sdwa s[0:1], v4, v17 src0_sel:WORD_0 src1_sel:DWORD
	s_nop 1
	v_cndmask_b32_e64 v7, v2, v4, s[0:1]
; %bb.72:                               ;   in Loop: Header=BB146_44 Depth=1
	s_or_b64 exec, exec, s[2:3]
	v_and_b32_e32 v2, 0x7f800000, v5
	v_cmp_ne_u32_e64 s[0:1], s22, v2
                                        ; implicit-def: $vgpr6
	s_and_saveexec_b64 s[2:3], s[0:1]
	s_xor_b64 s[0:1], exec, s[2:3]
; %bb.73:                               ;   in Loop: Header=BB146_44 Depth=1
	v_bfe_u32 v2, v5, 16, 1
	v_add3_u32 v6, v5, v2, s23
                                        ; implicit-def: $vgpr2_vgpr3_vgpr4_vgpr5
; %bb.74:                               ;   in Loop: Header=BB146_44 Depth=1
	s_andn2_saveexec_b64 s[2:3], s[0:1]
; %bb.75:                               ;   in Loop: Header=BB146_44 Depth=1
	v_or_b32_e32 v2, 0x10000, v5
	v_cmp_eq_u32_sdwa s[0:1], v5, v17 src0_sel:WORD_0 src1_sel:DWORD
	s_nop 1
	v_cndmask_b32_e64 v6, v2, v5, s[0:1]
; %bb.76:                               ;   in Loop: Header=BB146_44 Depth=1
	s_or_b64 exec, exec, s[2:3]
	s_waitcnt vmcnt(0)
	v_mad_i64_i32 v[2:3], s[0:1], v13, s5, 0
	v_lshl_add_u64 v[8:9], v[2:3], 1, s[6:7]
	v_lshl_add_u64 v[2:3], v[8:9], 0, v[16:17]
	global_load_dwordx4 v[2:5], v[2:3], off
	v_add_u32_e32 v13, -7, v11
	v_cmp_eq_u32_e64 s[2:3], s11, v12
	s_waitcnt vmcnt(0)
	v_lshrrev_b32_e32 v30, 16, v2
	v_lshrrev_b32_e32 v28, 16, v3
	;; [unrolled: 1-line block ×4, first 2 shown]
	s_and_saveexec_b64 s[18:19], s[2:3]
	s_cbranch_execz .LBB146_78
; %bb.77:                               ;   in Loop: Header=BB146_44 Depth=1
	v_cmp_gt_i32_e64 s[0:1], s27, v13
	v_add_u32_e32 v32, -6, v11
	s_nop 0
	v_cndmask_b32_e64 v2, 0, v2, s[0:1]
	v_cmp_gt_i32_e64 s[0:1], s27, v32
	v_add_u32_e32 v32, -5, v11
	s_nop 0
	v_cndmask_b32_e64 v30, 0, v30, s[0:1]
	;; [unrolled: 4-line block ×6, first 2 shown]
	v_cmp_gt_i32_e64 s[0:1], s27, v32
	s_nop 1
	v_cndmask_b32_e64 v5, 0, v5, s[0:1]
	v_cmp_gt_i32_e64 s[0:1], s27, v11
	s_nop 1
	v_cndmask_b32_e64 v31, 0, v31, s[0:1]
.LBB146_78:                             ;   in Loop: Header=BB146_44 Depth=1
	s_or_b64 exec, exec, s[18:19]
	v_and_b32_e32 v23, 0xffff0000, v23
	v_lshlrev_b32_e32 v2, 16, v2
	v_mul_f32_e32 v32, v23, v2
	v_and_b32_e32 v2, 0x7f800000, v32
	v_cmp_ne_u32_e64 s[0:1], s22, v2
                                        ; implicit-def: $vgpr2
	s_and_saveexec_b64 s[18:19], s[0:1]
	s_xor_b64 s[0:1], exec, s[18:19]
; %bb.79:                               ;   in Loop: Header=BB146_44 Depth=1
	v_bfe_u32 v2, v32, 16, 1
	v_add3_u32 v2, v32, v2, s23
                                        ; implicit-def: $vgpr32
; %bb.80:                               ;   in Loop: Header=BB146_44 Depth=1
	s_andn2_saveexec_b64 s[18:19], s[0:1]
; %bb.81:                               ;   in Loop: Header=BB146_44 Depth=1
	v_or_b32_e32 v2, 0x10000, v32
	v_cmp_eq_u32_sdwa s[0:1], v32, v17 src0_sel:WORD_0 src1_sel:DWORD
	s_nop 1
	v_cndmask_b32_e64 v2, v2, v32, s[0:1]
; %bb.82:                               ;   in Loop: Header=BB146_44 Depth=1
	s_or_b64 exec, exec, s[18:19]
	v_and_b32_e32 v24, 0xffff0000, v24
	v_lshlrev_b32_e32 v30, 16, v30
	v_mul_f32_e32 v30, v24, v30
	v_and_b32_e32 v32, 0x7f800000, v30
	v_cmp_ne_u32_e64 s[0:1], s22, v32
                                        ; implicit-def: $vgpr32
	s_and_saveexec_b64 s[18:19], s[0:1]
	s_xor_b64 s[0:1], exec, s[18:19]
; %bb.83:                               ;   in Loop: Header=BB146_44 Depth=1
	v_bfe_u32 v32, v30, 16, 1
	v_add3_u32 v32, v30, v32, s23
                                        ; implicit-def: $vgpr30
; %bb.84:                               ;   in Loop: Header=BB146_44 Depth=1
	s_andn2_saveexec_b64 s[18:19], s[0:1]
; %bb.85:                               ;   in Loop: Header=BB146_44 Depth=1
	v_or_b32_e32 v32, 0x10000, v30
	v_cmp_eq_u32_sdwa s[0:1], v30, v17 src0_sel:WORD_0 src1_sel:DWORD
	s_nop 1
	v_cndmask_b32_e64 v32, v32, v30, s[0:1]
; %bb.86:                               ;   in Loop: Header=BB146_44 Depth=1
	s_or_b64 exec, exec, s[18:19]
	v_and_b32_e32 v25, 0xffff0000, v25
	v_lshlrev_b32_e32 v3, 16, v3
	v_mul_f32_e32 v30, v25, v3
	v_and_b32_e32 v3, 0x7f800000, v30
	v_cmp_ne_u32_e64 s[0:1], s22, v3
                                        ; implicit-def: $vgpr3
	s_and_saveexec_b64 s[18:19], s[0:1]
	s_xor_b64 s[0:1], exec, s[18:19]
; %bb.87:                               ;   in Loop: Header=BB146_44 Depth=1
	v_bfe_u32 v3, v30, 16, 1
	v_add3_u32 v3, v30, v3, s23
                                        ; implicit-def: $vgpr30
; %bb.88:                               ;   in Loop: Header=BB146_44 Depth=1
	s_andn2_saveexec_b64 s[18:19], s[0:1]
; %bb.89:                               ;   in Loop: Header=BB146_44 Depth=1
	v_or_b32_e32 v3, 0x10000, v30
	v_cmp_eq_u32_sdwa s[0:1], v30, v17 src0_sel:WORD_0 src1_sel:DWORD
	s_nop 1
	v_cndmask_b32_e64 v3, v3, v30, s[0:1]
; %bb.90:                               ;   in Loop: Header=BB146_44 Depth=1
	s_or_b64 exec, exec, s[18:19]
	v_and_b32_e32 v26, 0xffff0000, v26
	v_lshlrev_b32_e32 v28, 16, v28
	v_mul_f32_e32 v28, v26, v28
	v_and_b32_e32 v30, 0x7f800000, v28
	v_cmp_ne_u32_e64 s[0:1], s22, v30
                                        ; implicit-def: $vgpr33
	s_and_saveexec_b64 s[18:19], s[0:1]
	s_xor_b64 s[0:1], exec, s[18:19]
; %bb.91:                               ;   in Loop: Header=BB146_44 Depth=1
	v_bfe_u32 v30, v28, 16, 1
	v_add3_u32 v33, v28, v30, s23
                                        ; implicit-def: $vgpr28
; %bb.92:                               ;   in Loop: Header=BB146_44 Depth=1
	s_andn2_saveexec_b64 s[18:19], s[0:1]
; %bb.93:                               ;   in Loop: Header=BB146_44 Depth=1
	v_or_b32_e32 v30, 0x10000, v28
	v_cmp_eq_u32_sdwa s[0:1], v28, v17 src0_sel:WORD_0 src1_sel:DWORD
	s_nop 1
	v_cndmask_b32_e64 v33, v30, v28, s[0:1]
; %bb.94:                               ;   in Loop: Header=BB146_44 Depth=1
	s_or_b64 exec, exec, s[18:19]
	v_and_b32_e32 v27, 0xffff0000, v27
	v_lshlrev_b32_e32 v4, 16, v4
	v_mul_f32_e32 v28, v27, v4
	v_and_b32_e32 v4, 0x7f800000, v28
	v_cmp_ne_u32_e64 s[0:1], s22, v4
                                        ; implicit-def: $vgpr4
	s_and_saveexec_b64 s[18:19], s[0:1]
	s_xor_b64 s[0:1], exec, s[18:19]
; %bb.95:                               ;   in Loop: Header=BB146_44 Depth=1
	v_bfe_u32 v4, v28, 16, 1
	v_add3_u32 v4, v28, v4, s23
                                        ; implicit-def: $vgpr28
; %bb.96:                               ;   in Loop: Header=BB146_44 Depth=1
	s_andn2_saveexec_b64 s[18:19], s[0:1]
; %bb.97:                               ;   in Loop: Header=BB146_44 Depth=1
	v_or_b32_e32 v4, 0x10000, v28
	v_cmp_eq_u32_sdwa s[0:1], v28, v17 src0_sel:WORD_0 src1_sel:DWORD
	s_nop 1
	v_cndmask_b32_e64 v4, v4, v28, s[0:1]
; %bb.98:                               ;   in Loop: Header=BB146_44 Depth=1
	s_or_b64 exec, exec, s[18:19]
	v_and_b32_e32 v28, 0xffff0000, v21
	v_lshlrev_b32_e32 v21, 16, v29
	v_mul_f32_e32 v29, v28, v21
	v_and_b32_e32 v21, 0x7f800000, v29
	v_cmp_ne_u32_e64 s[0:1], s22, v21
                                        ; implicit-def: $vgpr21
	s_and_saveexec_b64 s[18:19], s[0:1]
	s_xor_b64 s[0:1], exec, s[18:19]
; %bb.99:                               ;   in Loop: Header=BB146_44 Depth=1
	v_bfe_u32 v21, v29, 16, 1
	v_add3_u32 v21, v29, v21, s23
                                        ; implicit-def: $vgpr29
; %bb.100:                              ;   in Loop: Header=BB146_44 Depth=1
	s_andn2_saveexec_b64 s[18:19], s[0:1]
; %bb.101:                              ;   in Loop: Header=BB146_44 Depth=1
	v_or_b32_e32 v21, 0x10000, v29
	v_cmp_eq_u32_sdwa s[0:1], v29, v17 src0_sel:WORD_0 src1_sel:DWORD
	s_nop 1
	v_cndmask_b32_e64 v21, v21, v29, s[0:1]
; %bb.102:                              ;   in Loop: Header=BB146_44 Depth=1
	s_or_b64 exec, exec, s[18:19]
	v_and_b32_e32 v29, 0xffff0000, v7
	v_lshlrev_b32_e32 v5, 16, v5
	v_mul_f32_e32 v7, v29, v5
	v_and_b32_e32 v5, 0x7f800000, v7
	v_cmp_ne_u32_e64 s[0:1], s22, v5
                                        ; implicit-def: $vgpr5
	s_and_saveexec_b64 s[18:19], s[0:1]
	s_xor_b64 s[0:1], exec, s[18:19]
; %bb.103:                              ;   in Loop: Header=BB146_44 Depth=1
	v_bfe_u32 v5, v7, 16, 1
	v_add3_u32 v5, v7, v5, s23
                                        ; implicit-def: $vgpr7
; %bb.104:                              ;   in Loop: Header=BB146_44 Depth=1
	s_andn2_saveexec_b64 s[18:19], s[0:1]
; %bb.105:                              ;   in Loop: Header=BB146_44 Depth=1
	v_or_b32_e32 v5, 0x10000, v7
	v_cmp_eq_u32_sdwa s[0:1], v7, v17 src0_sel:WORD_0 src1_sel:DWORD
	s_nop 1
	v_cndmask_b32_e64 v5, v5, v7, s[0:1]
; %bb.106:                              ;   in Loop: Header=BB146_44 Depth=1
	s_or_b64 exec, exec, s[18:19]
	v_and_b32_e32 v30, 0xffff0000, v6
	v_lshlrev_b32_e32 v6, 16, v31
	v_mul_f32_e32 v6, v30, v6
	v_and_b32_e32 v7, 0x7f800000, v6
	v_cmp_ne_u32_e64 s[0:1], s22, v7
                                        ; implicit-def: $vgpr7
	s_and_saveexec_b64 s[18:19], s[0:1]
	s_xor_b64 s[0:1], exec, s[18:19]
; %bb.107:                              ;   in Loop: Header=BB146_44 Depth=1
	v_bfe_u32 v7, v6, 16, 1
	v_add3_u32 v7, v6, v7, s23
                                        ; implicit-def: $vgpr6
; %bb.108:                              ;   in Loop: Header=BB146_44 Depth=1
	s_andn2_saveexec_b64 s[18:19], s[0:1]
; %bb.109:                              ;   in Loop: Header=BB146_44 Depth=1
	v_or_b32_e32 v7, 0x10000, v6
	v_cmp_eq_u32_sdwa s[0:1], v6, v17 src0_sel:WORD_0 src1_sel:DWORD
	s_nop 1
	v_cndmask_b32_e64 v7, v7, v6, s[0:1]
; %bb.110:                              ;   in Loop: Header=BB146_44 Depth=1
	s_or_b64 exec, exec, s[18:19]
	v_and_b32_e32 v33, 0xffff0000, v33
	v_and_b32_e32 v32, 0xffff0000, v32
	;; [unrolled: 1-line block ×4, first 2 shown]
	v_pk_add_f32 v[2:3], v[2:3], v[32:33]
	v_and_b32_e32 v7, 0xffff0000, v7
	v_and_b32_e32 v6, 0xffff0000, v21
	;; [unrolled: 1-line block ×4, first 2 shown]
	v_mov_b32_e32 v32, v3
	v_pk_add_f32 v[2:3], v[2:3], v[32:33]
	v_pk_add_f32 v[4:5], v[4:5], v[6:7]
	s_nop 0
	v_pk_add_f32 v[2:3], v[2:3], v[4:5]
	v_mov_b32_e32 v4, v5
	v_pk_add_f32 v[2:3], v[2:3], v[4:5]
	s_nop 0
	v_pk_add_f32 v[6:7], v[14:15], v[2:3]
	s_and_saveexec_b64 s[18:19], vcc
	s_cbranch_execz .LBB146_43
; %bb.111:                              ;   in Loop: Header=BB146_44 Depth=1
	v_mov_b32_e32 v21, v17
	v_lshl_add_u64 v[2:3], v[8:9], 0, v[20:21]
	global_load_dwordx4 v[2:5], v[2:3], off
	s_waitcnt vmcnt(0)
	v_lshrrev_b32_e32 v8, 16, v2
	v_lshrrev_b32_e32 v21, 16, v3
	;; [unrolled: 1-line block ×4, first 2 shown]
	s_and_saveexec_b64 s[20:21], s[2:3]
	s_cbranch_execz .LBB146_113
; %bb.112:                              ;   in Loop: Header=BB146_44 Depth=1
	v_cmp_gt_i32_e64 s[0:1], s27, v13
	v_add_u32_e32 v13, -6, v11
	s_nop 0
	v_cndmask_b32_e64 v2, 0, v2, s[0:1]
	v_cmp_gt_i32_e64 s[0:1], s27, v13
	v_add_u32_e32 v13, -5, v11
	s_nop 0
	v_cndmask_b32_e64 v8, 0, v8, s[0:1]
	;; [unrolled: 4-line block ×6, first 2 shown]
	v_cmp_gt_i32_e64 s[0:1], s27, v13
	s_nop 1
	v_cndmask_b32_e64 v5, 0, v5, s[0:1]
	v_cmp_gt_i32_e64 s[0:1], s27, v11
	s_nop 1
	v_cndmask_b32_e64 v7, 0, v7, s[0:1]
.LBB146_113:                            ;   in Loop: Header=BB146_44 Depth=1
	s_or_b64 exec, exec, s[20:21]
	v_lshlrev_b32_e32 v2, 16, v2
	v_mul_f32_e32 v13, v23, v2
	v_and_b32_e32 v2, 0x7f800000, v13
	v_cmp_ne_u32_e64 s[0:1], s22, v2
                                        ; implicit-def: $vgpr2
	s_and_saveexec_b64 s[2:3], s[0:1]
	s_xor_b64 s[0:1], exec, s[2:3]
; %bb.114:                              ;   in Loop: Header=BB146_44 Depth=1
	v_bfe_u32 v2, v13, 16, 1
	v_add3_u32 v2, v13, v2, s23
                                        ; implicit-def: $vgpr13
; %bb.115:                              ;   in Loop: Header=BB146_44 Depth=1
	s_andn2_saveexec_b64 s[2:3], s[0:1]
; %bb.116:                              ;   in Loop: Header=BB146_44 Depth=1
	v_or_b32_e32 v2, 0x10000, v13
	v_cmp_eq_u32_sdwa s[0:1], v13, v17 src0_sel:WORD_0 src1_sel:DWORD
	s_nop 1
	v_cndmask_b32_e64 v2, v2, v13, s[0:1]
; %bb.117:                              ;   in Loop: Header=BB146_44 Depth=1
	s_or_b64 exec, exec, s[2:3]
	v_lshlrev_b32_e32 v8, 16, v8
	v_mul_f32_e32 v13, v24, v8
	v_and_b32_e32 v8, 0x7f800000, v13
	v_cmp_ne_u32_e64 s[0:1], s22, v8
                                        ; implicit-def: $vgpr8
	s_and_saveexec_b64 s[2:3], s[0:1]
	s_xor_b64 s[0:1], exec, s[2:3]
; %bb.118:                              ;   in Loop: Header=BB146_44 Depth=1
	v_bfe_u32 v8, v13, 16, 1
	v_add3_u32 v8, v13, v8, s23
                                        ; implicit-def: $vgpr13
; %bb.119:                              ;   in Loop: Header=BB146_44 Depth=1
	s_andn2_saveexec_b64 s[2:3], s[0:1]
; %bb.120:                              ;   in Loop: Header=BB146_44 Depth=1
	v_or_b32_e32 v8, 0x10000, v13
	v_cmp_eq_u32_sdwa s[0:1], v13, v17 src0_sel:WORD_0 src1_sel:DWORD
	s_nop 1
	v_cndmask_b32_e64 v8, v8, v13, s[0:1]
; %bb.121:                              ;   in Loop: Header=BB146_44 Depth=1
	s_or_b64 exec, exec, s[2:3]
	v_lshlrev_b32_e32 v3, 16, v3
	v_mul_f32_e32 v13, v25, v3
	v_and_b32_e32 v3, 0x7f800000, v13
	v_cmp_ne_u32_e64 s[0:1], s22, v3
                                        ; implicit-def: $vgpr3
	s_and_saveexec_b64 s[2:3], s[0:1]
	s_xor_b64 s[0:1], exec, s[2:3]
; %bb.122:                              ;   in Loop: Header=BB146_44 Depth=1
	v_bfe_u32 v3, v13, 16, 1
	v_add3_u32 v3, v13, v3, s23
                                        ; implicit-def: $vgpr13
; %bb.123:                              ;   in Loop: Header=BB146_44 Depth=1
	s_andn2_saveexec_b64 s[2:3], s[0:1]
; %bb.124:                              ;   in Loop: Header=BB146_44 Depth=1
	v_or_b32_e32 v3, 0x10000, v13
	v_cmp_eq_u32_sdwa s[0:1], v13, v17 src0_sel:WORD_0 src1_sel:DWORD
	s_nop 1
	v_cndmask_b32_e64 v3, v3, v13, s[0:1]
; %bb.125:                              ;   in Loop: Header=BB146_44 Depth=1
	s_or_b64 exec, exec, s[2:3]
	v_lshlrev_b32_e32 v13, 16, v21
	v_mul_f32_e32 v21, v26, v13
	v_and_b32_e32 v13, 0x7f800000, v21
	v_cmp_ne_u32_e64 s[0:1], s22, v13
                                        ; implicit-def: $vgpr13
	s_and_saveexec_b64 s[2:3], s[0:1]
	s_xor_b64 s[0:1], exec, s[2:3]
; %bb.126:                              ;   in Loop: Header=BB146_44 Depth=1
	v_bfe_u32 v13, v21, 16, 1
	v_add3_u32 v13, v21, v13, s23
                                        ; implicit-def: $vgpr21
; %bb.127:                              ;   in Loop: Header=BB146_44 Depth=1
	s_andn2_saveexec_b64 s[2:3], s[0:1]
; %bb.128:                              ;   in Loop: Header=BB146_44 Depth=1
	v_or_b32_e32 v13, 0x10000, v21
	v_cmp_eq_u32_sdwa s[0:1], v21, v17 src0_sel:WORD_0 src1_sel:DWORD
	s_nop 1
	v_cndmask_b32_e64 v13, v13, v21, s[0:1]
; %bb.129:                              ;   in Loop: Header=BB146_44 Depth=1
	s_or_b64 exec, exec, s[2:3]
	v_lshlrev_b32_e32 v4, 16, v4
	v_mul_f32_e32 v21, v27, v4
	v_and_b32_e32 v4, 0x7f800000, v21
	v_cmp_ne_u32_e64 s[0:1], s22, v4
                                        ; implicit-def: $vgpr4
	s_and_saveexec_b64 s[2:3], s[0:1]
	s_xor_b64 s[0:1], exec, s[2:3]
; %bb.130:                              ;   in Loop: Header=BB146_44 Depth=1
	v_bfe_u32 v4, v21, 16, 1
	v_add3_u32 v4, v21, v4, s23
                                        ; implicit-def: $vgpr21
; %bb.131:                              ;   in Loop: Header=BB146_44 Depth=1
	s_andn2_saveexec_b64 s[2:3], s[0:1]
; %bb.132:                              ;   in Loop: Header=BB146_44 Depth=1
	v_or_b32_e32 v4, 0x10000, v21
	v_cmp_eq_u32_sdwa s[0:1], v21, v17 src0_sel:WORD_0 src1_sel:DWORD
	s_nop 1
	v_cndmask_b32_e64 v4, v4, v21, s[0:1]
; %bb.133:                              ;   in Loop: Header=BB146_44 Depth=1
	s_or_b64 exec, exec, s[2:3]
	v_lshlrev_b32_e32 v9, 16, v9
	v_mul_f32_e32 v21, v28, v9
	v_and_b32_e32 v9, 0x7f800000, v21
	v_cmp_ne_u32_e64 s[0:1], s22, v9
                                        ; implicit-def: $vgpr9
	s_and_saveexec_b64 s[2:3], s[0:1]
	s_xor_b64 s[0:1], exec, s[2:3]
; %bb.134:                              ;   in Loop: Header=BB146_44 Depth=1
	v_bfe_u32 v9, v21, 16, 1
	v_add3_u32 v9, v21, v9, s23
                                        ; implicit-def: $vgpr21
; %bb.135:                              ;   in Loop: Header=BB146_44 Depth=1
	s_andn2_saveexec_b64 s[2:3], s[0:1]
; %bb.136:                              ;   in Loop: Header=BB146_44 Depth=1
	v_or_b32_e32 v9, 0x10000, v21
	v_cmp_eq_u32_sdwa s[0:1], v21, v17 src0_sel:WORD_0 src1_sel:DWORD
	s_nop 1
	v_cndmask_b32_e64 v9, v9, v21, s[0:1]
; %bb.137:                              ;   in Loop: Header=BB146_44 Depth=1
	s_or_b64 exec, exec, s[2:3]
	v_lshlrev_b32_e32 v5, 16, v5
	v_mul_f32_e32 v21, v29, v5
	v_and_b32_e32 v5, 0x7f800000, v21
	v_cmp_ne_u32_e64 s[0:1], s22, v5
                                        ; implicit-def: $vgpr5
	s_and_saveexec_b64 s[2:3], s[0:1]
	s_xor_b64 s[0:1], exec, s[2:3]
; %bb.138:                              ;   in Loop: Header=BB146_44 Depth=1
	v_bfe_u32 v5, v21, 16, 1
	v_add3_u32 v5, v21, v5, s23
                                        ; implicit-def: $vgpr21
; %bb.139:                              ;   in Loop: Header=BB146_44 Depth=1
	s_andn2_saveexec_b64 s[2:3], s[0:1]
; %bb.140:                              ;   in Loop: Header=BB146_44 Depth=1
	v_or_b32_e32 v5, 0x10000, v21
	v_cmp_eq_u32_sdwa s[0:1], v21, v17 src0_sel:WORD_0 src1_sel:DWORD
	s_nop 1
	v_cndmask_b32_e64 v5, v5, v21, s[0:1]
; %bb.141:                              ;   in Loop: Header=BB146_44 Depth=1
	s_or_b64 exec, exec, s[2:3]
	v_lshlrev_b32_e32 v7, 16, v7
	v_mul_f32_e32 v7, v30, v7
	v_and_b32_e32 v21, 0x7f800000, v7
	v_cmp_ne_u32_e64 s[0:1], s22, v21
                                        ; implicit-def: $vgpr21
	s_and_saveexec_b64 s[2:3], s[0:1]
	s_xor_b64 s[0:1], exec, s[2:3]
; %bb.142:                              ;   in Loop: Header=BB146_44 Depth=1
	v_bfe_u32 v21, v7, 16, 1
	v_add3_u32 v21, v7, v21, s23
                                        ; implicit-def: $vgpr7
; %bb.143:                              ;   in Loop: Header=BB146_44 Depth=1
	s_andn2_saveexec_b64 s[2:3], s[0:1]
	s_cbranch_execz .LBB146_42
; %bb.144:                              ;   in Loop: Header=BB146_44 Depth=1
	v_or_b32_e32 v21, 0x10000, v7
	v_cmp_eq_u32_sdwa s[0:1], v7, v17 src0_sel:WORD_0 src1_sel:DWORD
	s_nop 1
	v_cndmask_b32_e64 v21, v21, v7, s[0:1]
	s_branch .LBB146_42
.LBB146_145:
	s_or_b64 exec, exec, s[16:17]
.LBB146_146:
	s_or_b64 exec, exec, s[12:13]
	v_and_b32_e32 v2, 0x3c0, v0
	v_cmp_eq_u32_e32 vcc, 64, v2
	s_barrier
	s_and_saveexec_b64 s[0:1], vcc
	s_cbranch_execz .LBB146_149
; %bb.147:
	v_mov_b32_e32 v2, 0xb0
	v_lshl_add_u32 v1, v1, 2, v2
	ds_write_b32 v1, v6
	s_and_b64 exec, exec, s[8:9]
	s_cbranch_execz .LBB146_149
; %bb.148:
	v_lshl_add_u32 v1, v0, 2, v2
	ds_write_b32 v1, v15
.LBB146_149:
	s_or_b64 exec, exec, s[0:1]
	v_cmp_gt_u32_e32 vcc, 64, v0
	v_or_b32_e32 v1, 64, v0
	s_waitcnt lgkmcnt(0)
	s_barrier
	s_and_saveexec_b64 s[2:3], vcc
	s_cbranch_execz .LBB146_153
; %bb.150:
	v_mov_b32_e32 v2, 0xb0
	v_lshl_add_u32 v2, v0, 2, v2
	ds_read_b32 v0, v2
	s_movk_i32 s0, 0x50
	v_cmp_gt_u32_e64 s[0:1], s0, v1
	s_and_saveexec_b64 s[6:7], s[0:1]
	s_cbranch_execz .LBB146_152
; %bb.151:
	ds_read_b32 v2, v2 offset:256
	s_waitcnt lgkmcnt(0)
	v_add_f32_e32 v15, v15, v2
.LBB146_152:
	s_or_b64 exec, exec, s[6:7]
	s_waitcnt lgkmcnt(0)
	v_add_f32_e32 v6, v6, v0
.LBB146_153:
	s_or_b64 exec, exec, s[2:3]
	s_barrier
	s_and_saveexec_b64 s[0:1], vcc
	s_cbranch_execz .LBB146_164
; %bb.154:
	s_mov_b32 s0, 0x7f800000
	v_and_b32_e32 v0, 0x7f800000, v6
	v_cmp_ne_u32_e32 vcc, s0, v0
                                        ; implicit-def: $vgpr0
	s_and_saveexec_b64 s[0:1], vcc
	s_xor_b64 s[0:1], exec, s[0:1]
; %bb.155:
	v_bfe_u32 v0, v6, 16, 1
	s_movk_i32 s2, 0x7fff
	v_add3_u32 v0, v6, v0, s2
                                        ; implicit-def: $vgpr6
; %bb.156:
	s_andn2_saveexec_b64 s[0:1], s[0:1]
; %bb.157:
	v_mov_b32_e32 v0, 0
	v_or_b32_e32 v2, 0x10000, v6
	v_cmp_eq_u32_sdwa vcc, v6, v0 src0_sel:WORD_0 src1_sel:DWORD
	s_nop 1
	v_cndmask_b32_e32 v0, v2, v6, vcc
; %bb.158:
	s_or_b64 exec, exec, s[0:1]
	s_mul_i32 s0, s10, 0x50
	s_ashr_i32 s1, s0, 31
	s_lshl_b64 s[0:1], s[0:1], 1
	s_add_u32 s3, s24, s0
	s_mul_i32 s0, s15, s14
	s_addc_u32 s5, s25, s1
	s_ashr_i32 s1, s0, 31
	s_lshl_b64 s[0:1], s[0:1], 1
	s_add_u32 s3, s3, s0
	s_mul_i32 s0, s4, 0x50
	s_addc_u32 s5, s5, s1
	s_ashr_i32 s1, s0, 31
	s_lshl_b64 s[0:1], s[0:1], 1
	s_movk_i32 s2, 0x50
	s_add_u32 s0, s3, s0
	s_addc_u32 s1, s5, s1
	v_cmp_gt_u32_e32 vcc, s2, v1
	global_store_short_d16_hi v10, v0, s[0:1]
	s_and_b64 exec, exec, vcc
	s_cbranch_execz .LBB146_164
; %bb.159:
	s_mov_b32 s2, 0x7f800000
	v_and_b32_e32 v0, 0x7f800000, v15
	v_mov_b32_e32 v11, 0
	v_cmp_ne_u32_e32 vcc, s2, v0
                                        ; implicit-def: $vgpr2
	s_and_saveexec_b64 s[2:3], vcc
	s_xor_b64 s[2:3], exec, s[2:3]
; %bb.160:
	v_bfe_u32 v0, v15, 16, 1
	s_movk_i32 s4, 0x7fff
	v_add3_u32 v2, v15, v0, s4
                                        ; implicit-def: $vgpr15
; %bb.161:
	s_or_saveexec_b64 s[2:3], s[2:3]
	v_lshl_add_u64 v[0:1], s[0:1], 0, v[10:11]
	s_xor_b64 exec, exec, s[2:3]
; %bb.162:
	v_mov_b32_e32 v2, 0
	v_or_b32_e32 v3, 0x10000, v15
	v_cmp_eq_u32_sdwa vcc, v15, v2 src0_sel:WORD_0 src1_sel:DWORD
	s_nop 1
	v_cndmask_b32_e32 v2, v3, v15, vcc
; %bb.163:
	s_or_b64 exec, exec, s[2:3]
	global_store_short_d16_hi v[0:1], v2, off offset:128
.LBB146_164:
	s_endpgm
	.section	.rodata,"a",@progbits
	.p2align	6, 0x0
	.amdhsa_kernel _ZN4vllm25paged_attention_v2_kernelI14__hip_bfloat16S1_Li80ELi8ELi128ELNS_18Fp8KVCacheDataTypeE0ELb0ELi512EEEvPfS3_PT_PKS4_PKT0_SA_ifPKiSC_iPKfiiiSE_SE_iiiii
		.amdhsa_group_segment_fixed_size 176
		.amdhsa_private_segment_fixed_size 0
		.amdhsa_kernarg_size 400
		.amdhsa_user_sgpr_count 2
		.amdhsa_user_sgpr_dispatch_ptr 0
		.amdhsa_user_sgpr_queue_ptr 0
		.amdhsa_user_sgpr_kernarg_segment_ptr 1
		.amdhsa_user_sgpr_dispatch_id 0
		.amdhsa_user_sgpr_kernarg_preload_length 0
		.amdhsa_user_sgpr_kernarg_preload_offset 0
		.amdhsa_user_sgpr_private_segment_size 0
		.amdhsa_uses_dynamic_stack 0
		.amdhsa_enable_private_segment 0
		.amdhsa_system_sgpr_workgroup_id_x 1
		.amdhsa_system_sgpr_workgroup_id_y 1
		.amdhsa_system_sgpr_workgroup_id_z 1
		.amdhsa_system_sgpr_workgroup_info 0
		.amdhsa_system_vgpr_workitem_id 0
		.amdhsa_next_free_vgpr 41
		.amdhsa_next_free_sgpr 44
		.amdhsa_accum_offset 44
		.amdhsa_reserve_vcc 1
		.amdhsa_float_round_mode_32 0
		.amdhsa_float_round_mode_16_64 0
		.amdhsa_float_denorm_mode_32 3
		.amdhsa_float_denorm_mode_16_64 3
		.amdhsa_dx10_clamp 1
		.amdhsa_ieee_mode 1
		.amdhsa_fp16_overflow 0
		.amdhsa_tg_split 0
		.amdhsa_exception_fp_ieee_invalid_op 0
		.amdhsa_exception_fp_denorm_src 0
		.amdhsa_exception_fp_ieee_div_zero 0
		.amdhsa_exception_fp_ieee_overflow 0
		.amdhsa_exception_fp_ieee_underflow 0
		.amdhsa_exception_fp_ieee_inexact 0
		.amdhsa_exception_int_div_zero 0
	.end_amdhsa_kernel
	.section	.text._ZN4vllm25paged_attention_v2_kernelI14__hip_bfloat16S1_Li80ELi8ELi128ELNS_18Fp8KVCacheDataTypeE0ELb0ELi512EEEvPfS3_PT_PKS4_PKT0_SA_ifPKiSC_iPKfiiiSE_SE_iiiii,"axG",@progbits,_ZN4vllm25paged_attention_v2_kernelI14__hip_bfloat16S1_Li80ELi8ELi128ELNS_18Fp8KVCacheDataTypeE0ELb0ELi512EEEvPfS3_PT_PKS4_PKT0_SA_ifPKiSC_iPKfiiiSE_SE_iiiii,comdat
.Lfunc_end146:
	.size	_ZN4vllm25paged_attention_v2_kernelI14__hip_bfloat16S1_Li80ELi8ELi128ELNS_18Fp8KVCacheDataTypeE0ELb0ELi512EEEvPfS3_PT_PKS4_PKT0_SA_ifPKiSC_iPKfiiiSE_SE_iiiii, .Lfunc_end146-_ZN4vllm25paged_attention_v2_kernelI14__hip_bfloat16S1_Li80ELi8ELi128ELNS_18Fp8KVCacheDataTypeE0ELb0ELi512EEEvPfS3_PT_PKS4_PKT0_SA_ifPKiSC_iPKfiiiSE_SE_iiiii
                                        ; -- End function
	.section	.AMDGPU.csdata,"",@progbits
; Kernel info:
; codeLenInByte = 6344
; NumSgprs: 50
; NumVgprs: 41
; NumAgprs: 0
; TotalNumVgprs: 41
; ScratchSize: 0
; MemoryBound: 0
; FloatMode: 240
; IeeeMode: 1
; LDSByteSize: 176 bytes/workgroup (compile time only)
; SGPRBlocks: 6
; VGPRBlocks: 5
; NumSGPRsForWavesPerEU: 50
; NumVGPRsForWavesPerEU: 41
; AccumOffset: 44
; Occupancy: 8
; WaveLimiterHint : 1
; COMPUTE_PGM_RSRC2:SCRATCH_EN: 0
; COMPUTE_PGM_RSRC2:USER_SGPR: 2
; COMPUTE_PGM_RSRC2:TRAP_HANDLER: 0
; COMPUTE_PGM_RSRC2:TGID_X_EN: 1
; COMPUTE_PGM_RSRC2:TGID_Y_EN: 1
; COMPUTE_PGM_RSRC2:TGID_Z_EN: 1
; COMPUTE_PGM_RSRC2:TIDIG_COMP_CNT: 0
; COMPUTE_PGM_RSRC3_GFX90A:ACCUM_OFFSET: 10
; COMPUTE_PGM_RSRC3_GFX90A:TG_SPLIT: 0
	.section	.text._ZN4vllm25paged_attention_v2_kernelI14__hip_bfloat16S1_Li96ELi8ELi128ELNS_18Fp8KVCacheDataTypeE0ELb0ELi512EEEvPfS3_PT_PKS4_PKT0_SA_ifPKiSC_iPKfiiiSE_SE_iiiii,"axG",@progbits,_ZN4vllm25paged_attention_v2_kernelI14__hip_bfloat16S1_Li96ELi8ELi128ELNS_18Fp8KVCacheDataTypeE0ELb0ELi512EEEvPfS3_PT_PKS4_PKT0_SA_ifPKiSC_iPKfiiiSE_SE_iiiii,comdat
	.protected	_ZN4vllm25paged_attention_v2_kernelI14__hip_bfloat16S1_Li96ELi8ELi128ELNS_18Fp8KVCacheDataTypeE0ELb0ELi512EEEvPfS3_PT_PKS4_PKT0_SA_ifPKiSC_iPKfiiiSE_SE_iiiii ; -- Begin function _ZN4vllm25paged_attention_v2_kernelI14__hip_bfloat16S1_Li96ELi8ELi128ELNS_18Fp8KVCacheDataTypeE0ELb0ELi512EEEvPfS3_PT_PKS4_PKT0_SA_ifPKiSC_iPKfiiiSE_SE_iiiii
	.globl	_ZN4vllm25paged_attention_v2_kernelI14__hip_bfloat16S1_Li96ELi8ELi128ELNS_18Fp8KVCacheDataTypeE0ELb0ELi512EEEvPfS3_PT_PKS4_PKT0_SA_ifPKiSC_iPKfiiiSE_SE_iiiii
	.p2align	8
	.type	_ZN4vllm25paged_attention_v2_kernelI14__hip_bfloat16S1_Li96ELi8ELi128ELNS_18Fp8KVCacheDataTypeE0ELb0ELi512EEEvPfS3_PT_PKS4_PKT0_SA_ifPKiSC_iPKfiiiSE_SE_iiiii,@function
_ZN4vllm25paged_attention_v2_kernelI14__hip_bfloat16S1_Li96ELi8ELi128ELNS_18Fp8KVCacheDataTypeE0ELb0ELi512EEEvPfS3_PT_PKS4_PKT0_SA_ifPKiSC_iPKfiiiSE_SE_iiiii: ; @_ZN4vllm25paged_attention_v2_kernelI14__hip_bfloat16S1_Li96ELi8ELi128ELNS_18Fp8KVCacheDataTypeE0ELb0ELi512EEEvPfS3_PT_PKS4_PKT0_SA_ifPKiSC_iPKfiiiSE_SE_iiiii
; %bb.0:
	s_load_dwordx2 s[6:7], s[0:1], 0x40
	s_mov_b32 s26, s3
	s_ashr_i32 s27, s3, 31
	s_lshl_b64 s[8:9], s[26:27], 2
	s_waitcnt lgkmcnt(0)
	s_add_u32 s6, s6, s8
	s_addc_u32 s7, s7, s9
	s_load_dword s27, s[6:7], 0x0
	s_lshl_b32 s42, s4, 9
	s_waitcnt lgkmcnt(0)
	s_cmp_ge_i32 s42, s27
	s_cbranch_scc1 .LBB147_164
; %bb.1:
	s_load_dword s5, s[0:1], 0x90
	s_load_dwordx2 s[12:13], s[0:1], 0x30
	s_mov_b32 s43, 0
	s_waitcnt lgkmcnt(0)
	s_abs_i32 s7, s5
	s_abs_i32 s3, s12
	v_cvt_f32_u32_e32 v1, s3
	s_sub_i32 s8, 0, s3
	s_xor_b32 s6, s5, s12
	s_ashr_i32 s6, s6, 31
	v_rcp_iflag_f32_e32 v1, v1
	s_nop 0
	v_mul_f32_e32 v1, 0x4f7ffffe, v1
	v_cvt_u32_f32_e32 v1, v1
	s_nop 0
	v_readfirstlane_b32 s9, v1
	s_mul_i32 s8, s8, s9
	s_mul_hi_u32 s8, s9, s8
	s_add_i32 s9, s9, s8
	s_mul_hi_u32 s8, s7, s9
	s_mul_i32 s9, s8, s3
	s_sub_i32 s7, s7, s9
	s_add_i32 s10, s8, 1
	s_sub_i32 s9, s7, s3
	s_cmp_ge_u32 s7, s3
	s_cselect_b32 s8, s10, s8
	s_cselect_b32 s7, s9, s7
	s_add_i32 s9, s8, 1
	s_cmp_ge_u32 s7, s3
	s_cselect_b32 s3, s9, s8
	s_xor_b32 s3, s3, s6
	s_sub_i32 s8, s3, s6
	s_abs_i32 s10, s8
	v_cvt_f32_u32_e32 v1, s10
	s_load_dwordx2 s[6:7], s[0:1], 0x50
	s_sub_i32 s3, 0, s10
	s_abs_i32 s11, s2
	v_rcp_iflag_f32_e32 v1, v1
	s_nop 0
	v_mul_f32_e32 v1, 0x4f7ffffe, v1
	v_cvt_u32_f32_e32 v1, v1
	s_nop 0
	v_readfirstlane_b32 s9, v1
	s_mul_i32 s3, s3, s9
	s_mul_hi_u32 s3, s9, s3
	s_add_i32 s9, s9, s3
	s_waitcnt lgkmcnt(0)
	s_cmp_eq_u64 s[6:7], 0
	s_mul_hi_u32 s20, s11, s9
	s_cbranch_scc1 .LBB147_3
; %bb.2:
	s_ashr_i32 s3, s2, 31
	s_lshl_b64 s[14:15], s[2:3], 2
	s_add_u32 s6, s6, s14
	s_addc_u32 s7, s7, s15
	s_load_dword s43, s[6:7], 0x0
.LBB147_3:
	s_load_dwordx4 s[16:19], s[0:1], 0x58
	s_movk_i32 s3, 0x60
	s_ashr_i32 s21, s2, 31
	s_ashr_i32 s22, s8, 31
	v_and_b32_e32 v4, 7, v0
	s_mul_i32 s14, s2, 0x60
	v_cmp_gt_u32_e64 s[8:9], s3, v0
	v_lshlrev_b32_e32 v10, 1, v0
	s_and_saveexec_b64 s[6:7], s[8:9]
	s_cbranch_execz .LBB147_5
; %bb.4:
	s_load_dwordx2 s[24:25], s[0:1], 0x18
	s_waitcnt lgkmcnt(0)
	s_mul_i32 s28, s26, s16
	s_ashr_i32 s29, s28, 31
	s_lshl_b64 s[28:29], s[28:29], 1
	v_lshrrev_b32_e32 v2, 2, v0
	s_add_u32 s3, s24, s28
	s_addc_u32 s12, s25, s29
	s_ashr_i32 s15, s14, 31
	s_lshl_b64 s[24:25], s[14:15], 1
	s_add_u32 s24, s3, s24
	s_addc_u32 s25, s12, s25
	global_load_ushort v1, v10, s[24:25]
	v_and_b32_e32 v2, 0xfe, v2
	v_mad_u32_u24 v2, v4, 24, v2
	s_waitcnt vmcnt(0)
	ds_write_b16 v2, v1
.LBB147_5:
	s_or_b64 exec, exec, s[6:7]
	s_add_i32 s3, s27, 7
	s_ashr_i32 s6, s3, 31
	s_lshr_b32 s6, s6, 29
	s_add_i32 s3, s3, s6
	s_lshl_b32 s12, s4, 6
	s_mul_i32 s7, s20, s10
	s_ashr_i32 s3, s3, 3
	s_add_i32 s6, s12, 64
	s_sub_i32 s7, s11, s7
	s_min_i32 s33, s6, s3
	s_xor_b32 s6, s21, s22
	s_add_i32 s11, s20, 1
	s_sub_i32 s15, s7, s10
	s_cmp_ge_u32 s7, s10
	s_cselect_b32 s11, s11, s20
	s_cselect_b32 s7, s15, s7
	s_add_i32 s15, s11, 1
	s_cmp_ge_u32 s7, s10
	s_load_dwordx2 s[28:29], s[0:1], 0x38
	s_load_dword s10, s[0:1], 0x48
	v_lshrrev_b32_e32 v7, 6, v0
	s_cselect_b32 s7, s15, s11
	s_xor_b32 s7, s7, s6
	v_or_b32_e32 v12, s12, v7
	s_waitcnt lgkmcnt(0)
	s_mul_i32 s30, s26, s10
	s_sub_i32 s16, s7, s6
	s_ashr_i32 s31, s30, 31
	v_cmp_gt_i32_e64 s[6:7], s33, v12
	v_cmp_le_i32_e32 vcc, s33, v12
	v_mbcnt_lo_u32_b32 v5, -1, 0
	s_barrier
	s_waitcnt lgkmcnt(0)
                                        ; implicit-def: $sgpr19
                                        ; implicit-def: $vgpr6
                                        ; implicit-def: $vgpr9
	s_and_saveexec_b64 s[10:11], vcc
	s_xor_b64 s[10:11], exec, s[10:11]
; %bb.6:
	v_mbcnt_hi_u32_b32 v6, -1, v5
	v_and_b32_e32 v1, 64, v6
	v_add_u32_e32 v9, 64, v1
	s_mov_b32 s19, 0xff7fffff
                                        ; implicit-def: $vgpr4
                                        ; implicit-def: $vgpr5
; %bb.7:
	s_or_saveexec_b64 s[36:37], s[10:11]
	s_load_dwordx4 s[20:23], s[0:1], 0x0
	s_load_dwordx2 s[24:25], s[0:1], 0x10
	s_load_dwordx2 s[34:35], s[0:1], 0x28
	s_load_dword s15, s[0:1], 0x98
	v_mov_b32_e32 v23, s19
	s_mul_i32 s18, s16, s18
	v_ashrrev_i32_e32 v13, 31, v12
	v_lshlrev_b32_e32 v8, 3, v7
	s_xor_b64 exec, exec, s[36:37]
	s_cbranch_execz .LBB147_13
; %bb.8:
	v_mbcnt_hi_u32_b32 v6, -1, v5
	v_and_b32_e32 v5, 64, v6
	v_add_u32_e32 v9, 64, v5
	v_xor_b32_e32 v5, 4, v6
	s_load_dwordx2 s[0:1], s[0:1], 0x20
	v_cmp_lt_i32_e32 vcc, v5, v9
	s_ashr_i32 s19, s18, 31
	v_mul_u32_u24_e32 v1, 24, v4
	v_cndmask_b32_e32 v5, v6, v5, vcc
	v_lshlrev_b32_e32 v25, 2, v5
	v_xor_b32_e32 v5, 2, v6
	v_cmp_lt_i32_e32 vcc, v5, v9
	s_lshl_b64 s[10:11], s[18:19], 1
	ds_read2_b64 v[16:19], v1 offset1:1
	ds_read_b64 v[22:23], v1 offset:16
	v_cndmask_b32_e32 v5, v6, v5, vcc
	v_bfe_u32 v29, v0, 3, 3
	s_waitcnt lgkmcnt(0)
	s_add_u32 s0, s0, s10
	v_lshlrev_b32_e32 v26, 2, v5
	v_xor_b32_e32 v5, 1, v6
	s_addc_u32 s1, s1, s11
	v_lshlrev_b32_e32 v2, 4, v29
	v_mov_b32_e32 v3, 0
	v_cmp_lt_i32_e32 vcc, v5, v9
	s_sub_i32 s19, 1, s27
	s_lshl_b64 s[10:11], s[30:31], 2
	v_lshl_add_u64 v[14:15], s[0:1], 0, v[2:3]
	v_lshlrev_b32_e32 v2, 1, v4
	v_cndmask_b32_e32 v5, v6, v5, vcc
	v_cmp_eq_u32_e32 vcc, 0, v4
	v_lshlrev_b32_e32 v4, 2, v29
	s_add_u32 s10, s28, s10
	v_lshl_or_b32 v4, v7, 5, v4
	s_addc_u32 s11, s29, s11
	s_mov_b32 s16, s17
	v_lshl_add_u64 v[2:3], v[14:15], 0, v[2:3]
	v_lshlrev_b32_e32 v1, 16, v16
	v_and_b32_e32 v11, 0xffff0000, v16
	v_lshlrev_b32_e32 v14, 16, v17
	v_and_b32_e32 v15, 0xffff0000, v17
	;; [unrolled: 2-line block ×6, first 2 shown]
	v_lshlrev_b32_e32 v27, 2, v5
	v_cmp_neq_f32_e64 s[0:1], s43, 0
	v_add3_u32 v28, s42, v8, v29
	v_add_u32_e32 v29, 0xd0, v4
	v_lshl_add_u64 v[4:5], v[12:13], 2, s[10:11]
	s_mov_b64 s[38:39], 0
	v_mov_b32_e32 v23, 0xff7fffff
	v_mov_b32_e32 v30, v12
	s_branch .LBB147_10
.LBB147_9:                              ;   in Loop: Header=BB147_10 Depth=1
	s_or_b64 exec, exec, s[40:41]
	v_add_u32_e32 v30, 2, v30
	v_cmp_le_i32_e64 s[10:11], s33, v30
	v_add_u32_e32 v28, 16, v28
	v_add_u32_e32 v29, 64, v29
	s_or_b64 s[38:39], s[10:11], s[38:39]
	v_lshl_add_u64 v[4:5], v[4:5], 0, 8
	s_andn2_b64 exec, exec, s[38:39]
	s_cbranch_execz .LBB147_12
.LBB147_10:                             ; =>This Inner Loop Header: Depth=1
	global_load_dword v31, v[4:5], off
	s_waitcnt vmcnt(0) lgkmcnt(0)
	v_mad_i64_i32 v[32:33], s[10:11], v31, s16, 0
	v_lshl_add_u64 v[32:33], v[32:33], 1, v[2:3]
	global_load_ushort v31, v[32:33], off
	global_load_ushort v34, v[32:33], off offset:128
	global_load_ushort v35, v[32:33], off offset:256
	;; [unrolled: 1-line block ×11, first 2 shown]
	s_waitcnt vmcnt(11)
	v_lshlrev_b32_e32 v31, 16, v31
	s_waitcnt vmcnt(10)
	v_lshlrev_b32_e32 v32, 16, v34
	v_mul_f32_e32 v32, v11, v32
	s_waitcnt vmcnt(9)
	v_lshlrev_b32_e32 v33, 16, v35
	v_fmac_f32_e32 v32, v1, v31
	s_waitcnt vmcnt(8)
	v_lshlrev_b32_e32 v34, 16, v36
	v_fmac_f32_e32 v32, v14, v33
	;; [unrolled: 3-line block ×9, first 2 shown]
	v_fmac_f32_e32 v32, v22, v41
	s_waitcnt vmcnt(0)
	v_lshlrev_b32_e32 v31, 16, v44
	v_fmac_f32_e32 v32, v24, v31
	ds_bpermute_b32 v31, v25, v32
	s_waitcnt lgkmcnt(0)
	v_add_f32_e32 v31, v32, v31
	ds_bpermute_b32 v32, v26, v31
	s_waitcnt lgkmcnt(0)
	v_add_f32_e32 v31, v31, v32
	ds_bpermute_b32 v32, v27, v31
	s_and_saveexec_b64 s[40:41], vcc
	s_cbranch_execz .LBB147_9
; %bb.11:                               ;   in Loop: Header=BB147_10 Depth=1
	v_add_u32_e32 v33, s19, v28
	v_cvt_f32_i32_e32 v33, v33
	s_waitcnt lgkmcnt(0)
	v_add_f32_e32 v31, v31, v32
	v_cmp_gt_i32_e64 s[10:11], s27, v28
	v_max_f32_e32 v32, v23, v23
	v_mul_f32_e32 v33, s43, v33
	v_cndmask_b32_e64 v33, 0, v33, s[0:1]
	v_fmac_f32_e32 v33, s13, v31
	v_cndmask_b32_e64 v31, 0, v33, s[10:11]
	ds_write_b32 v29, v31
	v_max_f32_e32 v31, v32, v33
	v_cndmask_b32_e64 v23, v23, v31, s[10:11]
	s_branch .LBB147_9
.LBB147_12:
	s_or_b64 exec, exec, s[38:39]
.LBB147_13:
	s_or_b64 exec, exec, s[36:37]
	v_xor_b32_e32 v1, 32, v6
	v_cmp_lt_i32_e32 vcc, v1, v9
	v_xor_b32_e32 v4, 16, v6
	v_max_f32_e32 v2, v23, v23
	v_cndmask_b32_e32 v1, v6, v1, vcc
	v_lshlrev_b32_e32 v3, 2, v1
	ds_bpermute_b32 v1, v3, v23
	v_cmp_lt_i32_e32 vcc, v4, v9
	v_xor_b32_e32 v5, 8, v6
	s_waitcnt lgkmcnt(0)
	v_max_f32_e32 v1, v1, v1
	v_max_f32_e32 v1, v2, v1
	v_cndmask_b32_e32 v2, v6, v4, vcc
	v_lshlrev_b32_e32 v11, 2, v2
	ds_bpermute_b32 v2, v11, v1
	v_cmp_lt_i32_e32 vcc, v5, v9
	s_waitcnt lgkmcnt(0)
	v_max_f32_e32 v2, v2, v2
	v_max_f32_e32 v4, v1, v2
	v_cndmask_b32_e32 v1, v6, v5, vcc
	v_lshlrev_b32_e32 v14, 2, v1
	ds_bpermute_b32 v5, v14, v4
	v_and_b32_e32 v1, 63, v0
	v_cmp_eq_u32_e32 vcc, 0, v1
	v_lshlrev_b32_e32 v2, 2, v7
	s_and_saveexec_b64 s[0:1], vcc
	s_cbranch_execz .LBB147_15
; %bb.14:
	s_waitcnt lgkmcnt(0)
	v_max_f32_e32 v5, v5, v5
	v_max_f32_e32 v4, v4, v4
	v_max_f32_e32 v4, v4, v5
	ds_write_b32 v2, v4 offset:192
.LBB147_15:
	s_or_b64 exec, exec, s[0:1]
	v_cmp_gt_u32_e64 s[0:1], 2, v1
	v_mov_b32_e32 v4, 0xff7fffff
	s_waitcnt lgkmcnt(0)
	v_lshlrev_b32_e32 v5, 2, v1
	s_barrier
	s_and_saveexec_b64 s[10:11], s[0:1]
	s_cbranch_execz .LBB147_17
; %bb.16:
	ds_read_b32 v4, v5 offset:192
.LBB147_17:
	s_or_b64 exec, exec, s[10:11]
	v_xor_b32_e32 v15, 1, v6
	v_cmp_lt_i32_e64 s[10:11], v15, v9
	v_mov_b32_e32 v17, 0
	s_nop 0
	v_cndmask_b32_e64 v15, v6, v15, s[10:11]
	v_lshlrev_b32_e32 v15, 2, v15
	s_waitcnt lgkmcnt(0)
	ds_bpermute_b32 v16, v15, v4
	v_max_f32_e32 v4, v4, v4
	s_sub_i32 s10, s33, s12
	s_lshl_b32 s10, s10, 3
	s_add_i32 s10, s10, s42
	s_waitcnt lgkmcnt(0)
	v_max_f32_e32 v16, v16, v16
	v_max_f32_e32 v4, v4, v16
	v_lshlrev_b32_e32 v16, 2, v6
	v_and_b32_e32 v16, 0xffffff00, v16
	ds_bpermute_b32 v4, v16, v4
	s_min_i32 s19, s10, s27
	s_sub_i32 s16, s19, s42
	v_cmp_gt_i32_e64 s[10:11], s16, v0
	s_and_saveexec_b64 s[36:37], s[10:11]
	s_cbranch_execz .LBB147_21
; %bb.18:
	v_mov_b32_e32 v17, 0xd0
	v_lshl_add_u32 v18, v0, 2, v17
	s_mov_b64 s[38:39], 0
	v_mov_b32_e32 v17, 0
	v_mov_b32_e32 v19, v0
.LBB147_19:                             ; =>This Inner Loop Header: Depth=1
	ds_read_b32 v20, v18
	v_add_u32_e32 v19, 0x80, v19
	v_cmp_le_i32_e64 s[12:13], s16, v19
	s_or_b64 s[38:39], s[12:13], s[38:39]
	s_waitcnt lgkmcnt(0)
	v_sub_f32_e32 v20, v20, v4
	v_mul_f32_e32 v20, 0x3fb8aa3b, v20
	v_exp_f32_e32 v20, v20
	ds_write_b32 v18, v20
	v_add_f32_e32 v17, v17, v20
	v_add_u32_e32 v18, 0x200, v18
	s_andn2_b64 exec, exec, s[38:39]
	s_cbranch_execnz .LBB147_19
; %bb.20:
	s_or_b64 exec, exec, s[38:39]
.LBB147_21:
	s_or_b64 exec, exec, s[36:37]
	ds_bpermute_b32 v3, v3, v17
	s_waitcnt lgkmcnt(0)
	v_add_f32_e32 v3, v17, v3
	ds_bpermute_b32 v11, v11, v3
	s_waitcnt lgkmcnt(0)
	v_add_f32_e32 v3, v3, v11
	ds_bpermute_b32 v11, v14, v3
	v_xor_b32_e32 v14, 4, v6
	v_cmp_lt_i32_e64 s[12:13], v14, v9
	s_waitcnt lgkmcnt(0)
	v_add_f32_e32 v3, v3, v11
	v_cndmask_b32_e64 v14, v6, v14, s[12:13]
	v_lshlrev_b32_e32 v14, 2, v14
	ds_bpermute_b32 v11, v14, v3
	v_xor_b32_e32 v14, 2, v6
	v_cmp_lt_i32_e64 s[12:13], v14, v9
	s_waitcnt lgkmcnt(0)
	v_add_f32_e32 v3, v3, v11
	v_cndmask_b32_e64 v6, v6, v14, s[12:13]
	v_lshlrev_b32_e32 v6, 2, v6
	ds_bpermute_b32 v6, v6, v3
	s_waitcnt lgkmcnt(0)
	v_add_f32_e32 v3, v3, v6
	ds_bpermute_b32 v6, v15, v3
	s_waitcnt lgkmcnt(0)
	v_add_f32_e32 v3, v3, v6
	s_and_saveexec_b64 s[12:13], vcc
	s_cbranch_execz .LBB147_23
; %bb.22:
	ds_write_b32 v2, v3 offset:200
.LBB147_23:
	s_or_b64 exec, exec, s[12:13]
	s_waitcnt lgkmcnt(0)
	s_barrier
	s_and_saveexec_b64 s[12:13], s[0:1]
	s_cbranch_execz .LBB147_25
; %bb.24:
	ds_read_b32 v3, v5 offset:200
.LBB147_25:
	s_or_b64 exec, exec, s[12:13]
	s_waitcnt lgkmcnt(0)
	ds_bpermute_b32 v2, v15, v3
	s_waitcnt lgkmcnt(0)
	v_add_f32_e32 v2, v3, v2
	ds_bpermute_b32 v5, v16, v2
	s_and_saveexec_b64 s[0:1], s[10:11]
	s_cbranch_execz .LBB147_38
; %bb.26:
	s_waitcnt lgkmcnt(0)
	v_add_f32_e32 v2, 0x358637bd, v5
	v_div_scale_f32 v3, s[10:11], v2, v2, 1.0
	v_rcp_f32_e32 v6, v3
	v_div_scale_f32 v9, vcc, 1.0, v2, 1.0
	s_movk_i32 s10, 0x7f
	v_fma_f32 v11, -v3, v6, 1.0
	v_fmac_f32_e32 v6, v11, v6
	v_mul_f32_e32 v11, v9, v6
	v_fma_f32 v14, -v3, v11, v9
	v_fmac_f32_e32 v11, v14, v6
	v_fma_f32 v3, -v3, v11, v9
	v_div_fmas_f32 v3, v3, v6, v11
	v_div_fixup_f32 v2, v3, v2, 1.0
	v_xad_u32 v3, v0, -1, s19
	v_subrev_u32_e32 v6, s42, v3
	v_cmp_lt_u32_e32 vcc, s10, v6
	s_mov_b64 s[12:13], -1
	v_mov_b32_e32 v3, v0
	s_and_saveexec_b64 s[10:11], vcc
	s_cbranch_execz .LBB147_35
; %bb.27:
	v_lshrrev_b32_e32 v6, 7, v6
	v_add_u32_e32 v11, -1, v6
	v_lshrrev_b32_e32 v9, 1, v11
	v_mov_b32_e32 v3, v2
	v_add_u32_e32 v9, 1, v9
	v_cmp_lt_u32_e32 vcc, 13, v11
	v_mov_b32_e32 v15, 0
	s_and_saveexec_b64 s[12:13], vcc
	s_cbranch_execz .LBB147_31
; %bb.28:
	v_mov_b32_e32 v14, 0xd0
	v_and_b32_e32 v11, -8, v9
	v_lshl_add_u32 v14, v0, 2, v14
	s_mov_b32 s19, 0
	s_mov_b64 s[36:37], 0
.LBB147_29:                             ; =>This Inner Loop Header: Depth=1
	ds_read2st64_b32 v[16:17], v14 offset1:2
	ds_read2st64_b32 v[18:19], v14 offset0:4 offset1:6
	ds_read2st64_b32 v[20:21], v14 offset0:8 offset1:10
	;; [unrolled: 1-line block ×3, first 2 shown]
	v_add_u32_e32 v11, -8, v11
	s_waitcnt lgkmcnt(3)
	v_pk_mul_f32 v[16:17], v[2:3], v[16:17]
	s_waitcnt lgkmcnt(2)
	v_pk_mul_f32 v[18:19], v[2:3], v[18:19]
	ds_write2st64_b32 v14, v16, v17 offset1:2
	ds_write2st64_b32 v14, v18, v19 offset0:4 offset1:6
	ds_read2st64_b32 v[18:19], v14 offset0:16 offset1:18
	s_waitcnt lgkmcnt(4)
	v_pk_mul_f32 v[16:17], v[2:3], v[20:21]
	ds_write2st64_b32 v14, v16, v17 offset0:8 offset1:10
	s_waitcnt lgkmcnt(4)
	v_pk_mul_f32 v[16:17], v[2:3], v[22:23]
	ds_write2st64_b32 v14, v16, v17 offset0:12 offset1:14
	ds_read2st64_b32 v[16:17], v14 offset0:20 offset1:22
	s_waitcnt lgkmcnt(3)
	v_pk_mul_f32 v[18:19], v[2:3], v[18:19]
	ds_read2st64_b32 v[20:21], v14 offset0:24 offset1:26
	ds_write2st64_b32 v14, v18, v19 offset0:16 offset1:18
	ds_read2st64_b32 v[18:19], v14 offset0:28 offset1:30
	s_waitcnt lgkmcnt(3)
	v_pk_mul_f32 v[16:17], v[2:3], v[16:17]
	ds_write2st64_b32 v14, v16, v17 offset0:20 offset1:22
	s_waitcnt lgkmcnt(3)
	v_pk_mul_f32 v[16:17], v[2:3], v[20:21]
	ds_write2st64_b32 v14, v16, v17 offset0:24 offset1:26
	s_waitcnt lgkmcnt(2)
	v_pk_mul_f32 v[16:17], v[2:3], v[18:19]
	s_add_i32 s19, s19, 16
	v_cmp_eq_u32_e32 vcc, 0, v11
	ds_write2st64_b32 v14, v16, v17 offset0:28 offset1:30
	v_add_u32_e32 v14, 0x2000, v14
	s_or_b64 s[36:37], vcc, s[36:37]
	v_mov_b32_e32 v15, s19
	s_andn2_b64 exec, exec, s[36:37]
	s_cbranch_execnz .LBB147_29
; %bb.30:
	s_or_b64 exec, exec, s[36:37]
.LBB147_31:
	s_or_b64 exec, exec, s[12:13]
	v_and_b32_e32 v9, 7, v9
	v_cmp_ne_u32_e32 vcc, 0, v9
	s_and_saveexec_b64 s[12:13], vcc
	s_cbranch_execz .LBB147_34
; %bb.32:
	v_lshlrev_b32_e32 v11, 9, v15
	v_lshlrev_b32_e32 v14, 2, v0
	s_movk_i32 s19, 0xd0
	v_add3_u32 v11, v11, v14, s19
	s_mov_b64 s[36:37], 0
.LBB147_33:                             ; =>This Inner Loop Header: Depth=1
	ds_read2st64_b32 v[14:15], v11 offset1:2
	v_add_u32_e32 v9, -1, v9
	v_cmp_eq_u32_e32 vcc, 0, v9
	s_or_b64 s[36:37], vcc, s[36:37]
	s_waitcnt lgkmcnt(0)
	v_pk_mul_f32 v[14:15], v[2:3], v[14:15]
	ds_write2st64_b32 v11, v14, v15 offset1:2
	v_add_u32_e32 v11, 0x400, v11
	s_andn2_b64 exec, exec, s[36:37]
	s_cbranch_execnz .LBB147_33
.LBB147_34:
	s_or_b64 exec, exec, s[12:13]
	v_add_u32_e32 v6, 1, v6
	v_and_b32_e32 v9, 0x3fffffe, v6
	v_cmp_ne_u32_e32 vcc, v6, v9
	v_lshl_add_u32 v3, v9, 7, v0
	s_orn2_b64 s[12:13], vcc, exec
.LBB147_35:
	s_or_b64 exec, exec, s[10:11]
	s_and_b64 exec, exec, s[12:13]
	s_cbranch_execz .LBB147_38
; %bb.36:
	v_mov_b32_e32 v6, 0xd0
	v_lshl_add_u32 v6, v3, 2, v6
	s_mov_b64 s[10:11], 0
.LBB147_37:                             ; =>This Inner Loop Header: Depth=1
	ds_read_b32 v9, v6
	v_add_u32_e32 v3, 0x80, v3
	v_cmp_le_i32_e32 vcc, s16, v3
	s_or_b64 s[10:11], vcc, s[10:11]
	s_waitcnt lgkmcnt(0)
	v_mul_f32_e32 v9, v2, v9
	ds_write_b32 v6, v9
	v_add_u32_e32 v6, 0x200, v6
	s_andn2_b64 exec, exec, s[10:11]
	s_cbranch_execnz .LBB147_37
.LBB147_38:
	s_or_b64 exec, exec, s[0:1]
	s_mul_i32 s0, s15, s26
	v_cmp_eq_u32_e32 vcc, 0, v0
	s_mul_i32 s10, s0, s5
	s_waitcnt lgkmcnt(0)
	s_barrier
	s_and_saveexec_b64 s[0:1], vcc
	s_cbranch_execz .LBB147_40
; %bb.39:
	s_ashr_i32 s11, s10, 31
	s_lshl_b64 s[12:13], s[10:11], 2
	s_add_u32 s5, s22, s12
	s_mul_i32 s22, s15, s2
	s_addc_u32 s11, s23, s13
	s_ashr_i32 s23, s22, 31
	s_lshl_b64 s[22:23], s[22:23], 2
	s_add_u32 s2, s5, s22
	s_addc_u32 s11, s11, s23
	s_ashr_i32 s5, s4, 31
	s_lshl_b64 s[36:37], s[4:5], 2
	s_add_u32 s38, s2, s36
	s_addc_u32 s39, s11, s37
	s_add_u32 s2, s20, s12
	s_addc_u32 s5, s21, s13
	;; [unrolled: 2-line block ×3, first 2 shown]
	s_add_u32 s12, s2, s36
	v_mov_b32_e32 v2, 0
	s_addc_u32 s13, s5, s37
	global_store_dword v2, v4, s[38:39]
	global_store_dword v2, v5, s[12:13]
.LBB147_40:
	s_or_b64 exec, exec, s[0:1]
	v_mov_b32_e32 v15, 0
	v_mov_b32_e32 v6, v15
	s_and_saveexec_b64 s[12:13], s[6:7]
	s_cbranch_execz .LBB147_146
; %bb.41:
	s_ashr_i32 s19, s18, 31
	s_lshl_b64 s[0:1], s[18:19], 1
	s_add_u32 s6, s34, s0
	v_or_b32_e32 v3, 64, v1
	s_movk_i32 s0, 0x60
	s_addc_u32 s7, s35, s1
	s_add_i32 s11, s3, -1
	v_cmp_gt_u32_e32 vcc, s0, v3
	s_lshl_b64 s[0:1], s[30:31], 2
	s_add_u32 s0, s28, s0
	v_lshlrev_b32_e32 v2, 3, v1
	v_mov_b32_e32 v17, 0
	v_lshlrev_b32_e32 v4, 3, v3
	v_mov_b32_e32 v3, 0xd0
	s_addc_u32 s1, s29, s1
	s_mov_b32 s5, s17
	v_add3_u32 v11, s42, v8, 7
	v_lshl_add_u32 v22, v7, 5, v3
	v_lshl_add_u64 v[18:19], v[12:13], 2, s[0:1]
	s_mov_b64 s[16:17], 0
	s_mov_b32 s22, 0x7f800000
	s_movk_i32 s23, 0x7fff
	v_lshlrev_b32_e32 v16, 1, v2
	v_lshlrev_b32_e32 v20, 1, v4
	v_mov_b32_e32 v14, v17
	v_mov_b32_e32 v15, v17
	s_branch .LBB147_44
.LBB147_42:                             ;   in Loop: Header=BB147_44 Depth=1
	s_or_b64 exec, exec, s[2:3]
	v_and_b32_e32 v24, 0xffff0000, v9
	v_and_b32_e32 v9, 0xffff0000, v13
	;; [unrolled: 1-line block ×5, first 2 shown]
	v_pk_add_f32 v[2:3], v[2:3], v[8:9]
	v_and_b32_e32 v25, 0xffff0000, v21
	v_and_b32_e32 v5, 0xffff0000, v5
	;; [unrolled: 1-line block ×3, first 2 shown]
	v_mov_b32_e32 v8, v3
	v_pk_add_f32 v[2:3], v[2:3], v[8:9]
	v_pk_add_f32 v[4:5], v[4:5], v[24:25]
	s_nop 0
	v_pk_add_f32 v[2:3], v[2:3], v[4:5]
	v_mov_b32_e32 v4, v5
	v_pk_add_f32 v[2:3], v[2:3], v[4:5]
	s_nop 0
	v_mov_b32_e32 v3, v2
	v_pk_add_f32 v[14:15], v[14:15], v[2:3]
.LBB147_43:                             ;   in Loop: Header=BB147_44 Depth=1
	s_or_b64 exec, exec, s[18:19]
	v_add_u32_e32 v12, 2, v12
	v_cmp_le_i32_e64 s[0:1], s33, v12
	v_add_u32_e32 v11, 16, v11
	v_add_u32_e32 v22, 64, v22
	v_lshl_add_u64 v[18:19], v[18:19], 0, 8
	s_or_b64 s[16:17], s[0:1], s[16:17]
	v_mov_b32_e32 v14, v6
	s_andn2_b64 exec, exec, s[16:17]
	s_cbranch_execz .LBB147_145
.LBB147_44:                             ; =>This Inner Loop Header: Depth=1
	global_load_dword v13, v[18:19], off
	ds_read2_b64 v[6:9], v22 offset1:1
	ds_read2_b64 v[2:5], v22 offset0:2 offset1:3
                                        ; implicit-def: $vgpr23
	s_waitcnt lgkmcnt(1)
	v_and_b32_e32 v21, 0x7f800000, v6
	v_cmp_ne_u32_e64 s[0:1], s22, v21
	s_and_saveexec_b64 s[2:3], s[0:1]
	s_xor_b64 s[0:1], exec, s[2:3]
; %bb.45:                               ;   in Loop: Header=BB147_44 Depth=1
	v_bfe_u32 v21, v6, 16, 1
	v_add3_u32 v23, v6, v21, s23
; %bb.46:                               ;   in Loop: Header=BB147_44 Depth=1
	s_andn2_saveexec_b64 s[2:3], s[0:1]
; %bb.47:                               ;   in Loop: Header=BB147_44 Depth=1
	v_or_b32_e32 v21, 0x10000, v6
	v_cmp_eq_u32_sdwa s[0:1], v6, v17 src0_sel:WORD_0 src1_sel:DWORD
	s_nop 1
	v_cndmask_b32_e64 v23, v21, v6, s[0:1]
; %bb.48:                               ;   in Loop: Header=BB147_44 Depth=1
	s_or_b64 exec, exec, s[2:3]
	v_and_b32_e32 v6, 0x7f800000, v7
	v_cmp_ne_u32_e64 s[0:1], s22, v6
                                        ; implicit-def: $vgpr24
	s_and_saveexec_b64 s[2:3], s[0:1]
	s_xor_b64 s[0:1], exec, s[2:3]
; %bb.49:                               ;   in Loop: Header=BB147_44 Depth=1
	v_bfe_u32 v6, v7, 16, 1
	v_add3_u32 v24, v7, v6, s23
; %bb.50:                               ;   in Loop: Header=BB147_44 Depth=1
	s_andn2_saveexec_b64 s[2:3], s[0:1]
; %bb.51:                               ;   in Loop: Header=BB147_44 Depth=1
	v_or_b32_e32 v6, 0x10000, v7
	v_cmp_eq_u32_sdwa s[0:1], v7, v17 src0_sel:WORD_0 src1_sel:DWORD
	s_nop 1
	v_cndmask_b32_e64 v24, v6, v7, s[0:1]
; %bb.52:                               ;   in Loop: Header=BB147_44 Depth=1
	s_or_b64 exec, exec, s[2:3]
	v_and_b32_e32 v6, 0x7f800000, v8
	v_cmp_ne_u32_e64 s[0:1], s22, v6
                                        ; implicit-def: $vgpr25
	s_and_saveexec_b64 s[2:3], s[0:1]
	s_xor_b64 s[0:1], exec, s[2:3]
; %bb.53:                               ;   in Loop: Header=BB147_44 Depth=1
	v_bfe_u32 v6, v8, 16, 1
	v_add3_u32 v25, v8, v6, s23
; %bb.54:                               ;   in Loop: Header=BB147_44 Depth=1
	s_andn2_saveexec_b64 s[2:3], s[0:1]
; %bb.55:                               ;   in Loop: Header=BB147_44 Depth=1
	v_or_b32_e32 v6, 0x10000, v8
	v_cmp_eq_u32_sdwa s[0:1], v8, v17 src0_sel:WORD_0 src1_sel:DWORD
	s_nop 1
	v_cndmask_b32_e64 v25, v6, v8, s[0:1]
; %bb.56:                               ;   in Loop: Header=BB147_44 Depth=1
	s_or_b64 exec, exec, s[2:3]
	v_and_b32_e32 v6, 0x7f800000, v9
	v_cmp_ne_u32_e64 s[0:1], s22, v6
                                        ; implicit-def: $vgpr26
	s_and_saveexec_b64 s[2:3], s[0:1]
	s_xor_b64 s[0:1], exec, s[2:3]
; %bb.57:                               ;   in Loop: Header=BB147_44 Depth=1
	v_bfe_u32 v6, v9, 16, 1
	v_add3_u32 v26, v9, v6, s23
                                        ; implicit-def: $vgpr6_vgpr7_vgpr8_vgpr9
; %bb.58:                               ;   in Loop: Header=BB147_44 Depth=1
	s_andn2_saveexec_b64 s[2:3], s[0:1]
; %bb.59:                               ;   in Loop: Header=BB147_44 Depth=1
	v_or_b32_e32 v6, 0x10000, v9
	v_cmp_eq_u32_sdwa s[0:1], v9, v17 src0_sel:WORD_0 src1_sel:DWORD
	s_nop 1
	v_cndmask_b32_e64 v26, v6, v9, s[0:1]
; %bb.60:                               ;   in Loop: Header=BB147_44 Depth=1
	s_or_b64 exec, exec, s[2:3]
	s_waitcnt lgkmcnt(0)
	v_and_b32_e32 v6, 0x7f800000, v2
	v_cmp_ne_u32_e64 s[0:1], s22, v6
                                        ; implicit-def: $vgpr27
	s_and_saveexec_b64 s[2:3], s[0:1]
	s_xor_b64 s[0:1], exec, s[2:3]
; %bb.61:                               ;   in Loop: Header=BB147_44 Depth=1
	v_bfe_u32 v6, v2, 16, 1
	v_add3_u32 v27, v2, v6, s23
; %bb.62:                               ;   in Loop: Header=BB147_44 Depth=1
	s_andn2_saveexec_b64 s[2:3], s[0:1]
; %bb.63:                               ;   in Loop: Header=BB147_44 Depth=1
	v_or_b32_e32 v6, 0x10000, v2
	v_cmp_eq_u32_sdwa s[0:1], v2, v17 src0_sel:WORD_0 src1_sel:DWORD
	s_nop 1
	v_cndmask_b32_e64 v27, v6, v2, s[0:1]
; %bb.64:                               ;   in Loop: Header=BB147_44 Depth=1
	s_or_b64 exec, exec, s[2:3]
	v_and_b32_e32 v2, 0x7f800000, v3
	v_cmp_ne_u32_e64 s[0:1], s22, v2
                                        ; implicit-def: $vgpr21
	s_and_saveexec_b64 s[2:3], s[0:1]
	s_xor_b64 s[0:1], exec, s[2:3]
; %bb.65:                               ;   in Loop: Header=BB147_44 Depth=1
	v_bfe_u32 v2, v3, 16, 1
	v_add3_u32 v21, v3, v2, s23
; %bb.66:                               ;   in Loop: Header=BB147_44 Depth=1
	s_andn2_saveexec_b64 s[2:3], s[0:1]
; %bb.67:                               ;   in Loop: Header=BB147_44 Depth=1
	v_or_b32_e32 v2, 0x10000, v3
	v_cmp_eq_u32_sdwa s[0:1], v3, v17 src0_sel:WORD_0 src1_sel:DWORD
	s_nop 1
	v_cndmask_b32_e64 v21, v2, v3, s[0:1]
; %bb.68:                               ;   in Loop: Header=BB147_44 Depth=1
	s_or_b64 exec, exec, s[2:3]
	v_and_b32_e32 v2, 0x7f800000, v4
	v_cmp_ne_u32_e64 s[0:1], s22, v2
                                        ; implicit-def: $vgpr7
	s_and_saveexec_b64 s[2:3], s[0:1]
	s_xor_b64 s[0:1], exec, s[2:3]
; %bb.69:                               ;   in Loop: Header=BB147_44 Depth=1
	v_bfe_u32 v2, v4, 16, 1
	v_add3_u32 v7, v4, v2, s23
; %bb.70:                               ;   in Loop: Header=BB147_44 Depth=1
	s_andn2_saveexec_b64 s[2:3], s[0:1]
; %bb.71:                               ;   in Loop: Header=BB147_44 Depth=1
	v_or_b32_e32 v2, 0x10000, v4
	v_cmp_eq_u32_sdwa s[0:1], v4, v17 src0_sel:WORD_0 src1_sel:DWORD
	s_nop 1
	v_cndmask_b32_e64 v7, v2, v4, s[0:1]
; %bb.72:                               ;   in Loop: Header=BB147_44 Depth=1
	s_or_b64 exec, exec, s[2:3]
	v_and_b32_e32 v2, 0x7f800000, v5
	v_cmp_ne_u32_e64 s[0:1], s22, v2
                                        ; implicit-def: $vgpr6
	s_and_saveexec_b64 s[2:3], s[0:1]
	s_xor_b64 s[0:1], exec, s[2:3]
; %bb.73:                               ;   in Loop: Header=BB147_44 Depth=1
	v_bfe_u32 v2, v5, 16, 1
	v_add3_u32 v6, v5, v2, s23
                                        ; implicit-def: $vgpr2_vgpr3_vgpr4_vgpr5
; %bb.74:                               ;   in Loop: Header=BB147_44 Depth=1
	s_andn2_saveexec_b64 s[2:3], s[0:1]
; %bb.75:                               ;   in Loop: Header=BB147_44 Depth=1
	v_or_b32_e32 v2, 0x10000, v5
	v_cmp_eq_u32_sdwa s[0:1], v5, v17 src0_sel:WORD_0 src1_sel:DWORD
	s_nop 1
	v_cndmask_b32_e64 v6, v2, v5, s[0:1]
; %bb.76:                               ;   in Loop: Header=BB147_44 Depth=1
	s_or_b64 exec, exec, s[2:3]
	s_waitcnt vmcnt(0)
	v_mad_i64_i32 v[2:3], s[0:1], v13, s5, 0
	v_lshl_add_u64 v[8:9], v[2:3], 1, s[6:7]
	v_lshl_add_u64 v[2:3], v[8:9], 0, v[16:17]
	global_load_dwordx4 v[2:5], v[2:3], off
	v_add_u32_e32 v13, -7, v11
	v_cmp_eq_u32_e64 s[2:3], s11, v12
	s_waitcnt vmcnt(0)
	v_lshrrev_b32_e32 v30, 16, v2
	v_lshrrev_b32_e32 v28, 16, v3
	;; [unrolled: 1-line block ×4, first 2 shown]
	s_and_saveexec_b64 s[18:19], s[2:3]
	s_cbranch_execz .LBB147_78
; %bb.77:                               ;   in Loop: Header=BB147_44 Depth=1
	v_cmp_gt_i32_e64 s[0:1], s27, v13
	v_add_u32_e32 v32, -6, v11
	s_nop 0
	v_cndmask_b32_e64 v2, 0, v2, s[0:1]
	v_cmp_gt_i32_e64 s[0:1], s27, v32
	v_add_u32_e32 v32, -5, v11
	s_nop 0
	v_cndmask_b32_e64 v30, 0, v30, s[0:1]
	;; [unrolled: 4-line block ×6, first 2 shown]
	v_cmp_gt_i32_e64 s[0:1], s27, v32
	s_nop 1
	v_cndmask_b32_e64 v5, 0, v5, s[0:1]
	v_cmp_gt_i32_e64 s[0:1], s27, v11
	s_nop 1
	v_cndmask_b32_e64 v31, 0, v31, s[0:1]
.LBB147_78:                             ;   in Loop: Header=BB147_44 Depth=1
	s_or_b64 exec, exec, s[18:19]
	v_and_b32_e32 v23, 0xffff0000, v23
	v_lshlrev_b32_e32 v2, 16, v2
	v_mul_f32_e32 v32, v23, v2
	v_and_b32_e32 v2, 0x7f800000, v32
	v_cmp_ne_u32_e64 s[0:1], s22, v2
                                        ; implicit-def: $vgpr2
	s_and_saveexec_b64 s[18:19], s[0:1]
	s_xor_b64 s[0:1], exec, s[18:19]
; %bb.79:                               ;   in Loop: Header=BB147_44 Depth=1
	v_bfe_u32 v2, v32, 16, 1
	v_add3_u32 v2, v32, v2, s23
                                        ; implicit-def: $vgpr32
; %bb.80:                               ;   in Loop: Header=BB147_44 Depth=1
	s_andn2_saveexec_b64 s[18:19], s[0:1]
; %bb.81:                               ;   in Loop: Header=BB147_44 Depth=1
	v_or_b32_e32 v2, 0x10000, v32
	v_cmp_eq_u32_sdwa s[0:1], v32, v17 src0_sel:WORD_0 src1_sel:DWORD
	s_nop 1
	v_cndmask_b32_e64 v2, v2, v32, s[0:1]
; %bb.82:                               ;   in Loop: Header=BB147_44 Depth=1
	s_or_b64 exec, exec, s[18:19]
	v_and_b32_e32 v24, 0xffff0000, v24
	v_lshlrev_b32_e32 v30, 16, v30
	v_mul_f32_e32 v30, v24, v30
	v_and_b32_e32 v32, 0x7f800000, v30
	v_cmp_ne_u32_e64 s[0:1], s22, v32
                                        ; implicit-def: $vgpr32
	s_and_saveexec_b64 s[18:19], s[0:1]
	s_xor_b64 s[0:1], exec, s[18:19]
; %bb.83:                               ;   in Loop: Header=BB147_44 Depth=1
	v_bfe_u32 v32, v30, 16, 1
	v_add3_u32 v32, v30, v32, s23
                                        ; implicit-def: $vgpr30
; %bb.84:                               ;   in Loop: Header=BB147_44 Depth=1
	s_andn2_saveexec_b64 s[18:19], s[0:1]
; %bb.85:                               ;   in Loop: Header=BB147_44 Depth=1
	v_or_b32_e32 v32, 0x10000, v30
	v_cmp_eq_u32_sdwa s[0:1], v30, v17 src0_sel:WORD_0 src1_sel:DWORD
	s_nop 1
	v_cndmask_b32_e64 v32, v32, v30, s[0:1]
; %bb.86:                               ;   in Loop: Header=BB147_44 Depth=1
	s_or_b64 exec, exec, s[18:19]
	v_and_b32_e32 v25, 0xffff0000, v25
	v_lshlrev_b32_e32 v3, 16, v3
	v_mul_f32_e32 v30, v25, v3
	v_and_b32_e32 v3, 0x7f800000, v30
	v_cmp_ne_u32_e64 s[0:1], s22, v3
                                        ; implicit-def: $vgpr3
	s_and_saveexec_b64 s[18:19], s[0:1]
	s_xor_b64 s[0:1], exec, s[18:19]
; %bb.87:                               ;   in Loop: Header=BB147_44 Depth=1
	v_bfe_u32 v3, v30, 16, 1
	v_add3_u32 v3, v30, v3, s23
                                        ; implicit-def: $vgpr30
; %bb.88:                               ;   in Loop: Header=BB147_44 Depth=1
	s_andn2_saveexec_b64 s[18:19], s[0:1]
; %bb.89:                               ;   in Loop: Header=BB147_44 Depth=1
	v_or_b32_e32 v3, 0x10000, v30
	v_cmp_eq_u32_sdwa s[0:1], v30, v17 src0_sel:WORD_0 src1_sel:DWORD
	s_nop 1
	v_cndmask_b32_e64 v3, v3, v30, s[0:1]
; %bb.90:                               ;   in Loop: Header=BB147_44 Depth=1
	s_or_b64 exec, exec, s[18:19]
	v_and_b32_e32 v26, 0xffff0000, v26
	v_lshlrev_b32_e32 v28, 16, v28
	v_mul_f32_e32 v28, v26, v28
	v_and_b32_e32 v30, 0x7f800000, v28
	v_cmp_ne_u32_e64 s[0:1], s22, v30
                                        ; implicit-def: $vgpr33
	s_and_saveexec_b64 s[18:19], s[0:1]
	s_xor_b64 s[0:1], exec, s[18:19]
; %bb.91:                               ;   in Loop: Header=BB147_44 Depth=1
	v_bfe_u32 v30, v28, 16, 1
	v_add3_u32 v33, v28, v30, s23
                                        ; implicit-def: $vgpr28
; %bb.92:                               ;   in Loop: Header=BB147_44 Depth=1
	s_andn2_saveexec_b64 s[18:19], s[0:1]
; %bb.93:                               ;   in Loop: Header=BB147_44 Depth=1
	v_or_b32_e32 v30, 0x10000, v28
	v_cmp_eq_u32_sdwa s[0:1], v28, v17 src0_sel:WORD_0 src1_sel:DWORD
	s_nop 1
	v_cndmask_b32_e64 v33, v30, v28, s[0:1]
; %bb.94:                               ;   in Loop: Header=BB147_44 Depth=1
	s_or_b64 exec, exec, s[18:19]
	v_and_b32_e32 v27, 0xffff0000, v27
	v_lshlrev_b32_e32 v4, 16, v4
	v_mul_f32_e32 v28, v27, v4
	v_and_b32_e32 v4, 0x7f800000, v28
	v_cmp_ne_u32_e64 s[0:1], s22, v4
                                        ; implicit-def: $vgpr4
	s_and_saveexec_b64 s[18:19], s[0:1]
	s_xor_b64 s[0:1], exec, s[18:19]
; %bb.95:                               ;   in Loop: Header=BB147_44 Depth=1
	v_bfe_u32 v4, v28, 16, 1
	v_add3_u32 v4, v28, v4, s23
                                        ; implicit-def: $vgpr28
; %bb.96:                               ;   in Loop: Header=BB147_44 Depth=1
	s_andn2_saveexec_b64 s[18:19], s[0:1]
; %bb.97:                               ;   in Loop: Header=BB147_44 Depth=1
	v_or_b32_e32 v4, 0x10000, v28
	v_cmp_eq_u32_sdwa s[0:1], v28, v17 src0_sel:WORD_0 src1_sel:DWORD
	s_nop 1
	v_cndmask_b32_e64 v4, v4, v28, s[0:1]
; %bb.98:                               ;   in Loop: Header=BB147_44 Depth=1
	s_or_b64 exec, exec, s[18:19]
	v_and_b32_e32 v28, 0xffff0000, v21
	v_lshlrev_b32_e32 v21, 16, v29
	v_mul_f32_e32 v29, v28, v21
	v_and_b32_e32 v21, 0x7f800000, v29
	v_cmp_ne_u32_e64 s[0:1], s22, v21
                                        ; implicit-def: $vgpr21
	s_and_saveexec_b64 s[18:19], s[0:1]
	s_xor_b64 s[0:1], exec, s[18:19]
; %bb.99:                               ;   in Loop: Header=BB147_44 Depth=1
	v_bfe_u32 v21, v29, 16, 1
	v_add3_u32 v21, v29, v21, s23
                                        ; implicit-def: $vgpr29
; %bb.100:                              ;   in Loop: Header=BB147_44 Depth=1
	s_andn2_saveexec_b64 s[18:19], s[0:1]
; %bb.101:                              ;   in Loop: Header=BB147_44 Depth=1
	v_or_b32_e32 v21, 0x10000, v29
	v_cmp_eq_u32_sdwa s[0:1], v29, v17 src0_sel:WORD_0 src1_sel:DWORD
	s_nop 1
	v_cndmask_b32_e64 v21, v21, v29, s[0:1]
; %bb.102:                              ;   in Loop: Header=BB147_44 Depth=1
	s_or_b64 exec, exec, s[18:19]
	v_and_b32_e32 v29, 0xffff0000, v7
	v_lshlrev_b32_e32 v5, 16, v5
	v_mul_f32_e32 v7, v29, v5
	v_and_b32_e32 v5, 0x7f800000, v7
	v_cmp_ne_u32_e64 s[0:1], s22, v5
                                        ; implicit-def: $vgpr5
	s_and_saveexec_b64 s[18:19], s[0:1]
	s_xor_b64 s[0:1], exec, s[18:19]
; %bb.103:                              ;   in Loop: Header=BB147_44 Depth=1
	v_bfe_u32 v5, v7, 16, 1
	v_add3_u32 v5, v7, v5, s23
                                        ; implicit-def: $vgpr7
; %bb.104:                              ;   in Loop: Header=BB147_44 Depth=1
	s_andn2_saveexec_b64 s[18:19], s[0:1]
; %bb.105:                              ;   in Loop: Header=BB147_44 Depth=1
	v_or_b32_e32 v5, 0x10000, v7
	v_cmp_eq_u32_sdwa s[0:1], v7, v17 src0_sel:WORD_0 src1_sel:DWORD
	s_nop 1
	v_cndmask_b32_e64 v5, v5, v7, s[0:1]
; %bb.106:                              ;   in Loop: Header=BB147_44 Depth=1
	s_or_b64 exec, exec, s[18:19]
	v_and_b32_e32 v30, 0xffff0000, v6
	v_lshlrev_b32_e32 v6, 16, v31
	v_mul_f32_e32 v6, v30, v6
	v_and_b32_e32 v7, 0x7f800000, v6
	v_cmp_ne_u32_e64 s[0:1], s22, v7
                                        ; implicit-def: $vgpr7
	s_and_saveexec_b64 s[18:19], s[0:1]
	s_xor_b64 s[0:1], exec, s[18:19]
; %bb.107:                              ;   in Loop: Header=BB147_44 Depth=1
	v_bfe_u32 v7, v6, 16, 1
	v_add3_u32 v7, v6, v7, s23
                                        ; implicit-def: $vgpr6
; %bb.108:                              ;   in Loop: Header=BB147_44 Depth=1
	s_andn2_saveexec_b64 s[18:19], s[0:1]
; %bb.109:                              ;   in Loop: Header=BB147_44 Depth=1
	v_or_b32_e32 v7, 0x10000, v6
	v_cmp_eq_u32_sdwa s[0:1], v6, v17 src0_sel:WORD_0 src1_sel:DWORD
	s_nop 1
	v_cndmask_b32_e64 v7, v7, v6, s[0:1]
; %bb.110:                              ;   in Loop: Header=BB147_44 Depth=1
	s_or_b64 exec, exec, s[18:19]
	v_and_b32_e32 v33, 0xffff0000, v33
	v_and_b32_e32 v32, 0xffff0000, v32
	;; [unrolled: 1-line block ×4, first 2 shown]
	v_pk_add_f32 v[2:3], v[2:3], v[32:33]
	v_and_b32_e32 v7, 0xffff0000, v7
	v_and_b32_e32 v6, 0xffff0000, v21
	;; [unrolled: 1-line block ×4, first 2 shown]
	v_mov_b32_e32 v32, v3
	v_pk_add_f32 v[2:3], v[2:3], v[32:33]
	v_pk_add_f32 v[4:5], v[4:5], v[6:7]
	s_nop 0
	v_pk_add_f32 v[2:3], v[2:3], v[4:5]
	v_mov_b32_e32 v4, v5
	v_pk_add_f32 v[2:3], v[2:3], v[4:5]
	s_nop 0
	v_pk_add_f32 v[6:7], v[14:15], v[2:3]
	s_and_saveexec_b64 s[18:19], vcc
	s_cbranch_execz .LBB147_43
; %bb.111:                              ;   in Loop: Header=BB147_44 Depth=1
	v_mov_b32_e32 v21, v17
	v_lshl_add_u64 v[2:3], v[8:9], 0, v[20:21]
	global_load_dwordx4 v[2:5], v[2:3], off
	s_waitcnt vmcnt(0)
	v_lshrrev_b32_e32 v8, 16, v2
	v_lshrrev_b32_e32 v21, 16, v3
	;; [unrolled: 1-line block ×4, first 2 shown]
	s_and_saveexec_b64 s[20:21], s[2:3]
	s_cbranch_execz .LBB147_113
; %bb.112:                              ;   in Loop: Header=BB147_44 Depth=1
	v_cmp_gt_i32_e64 s[0:1], s27, v13
	v_add_u32_e32 v13, -6, v11
	s_nop 0
	v_cndmask_b32_e64 v2, 0, v2, s[0:1]
	v_cmp_gt_i32_e64 s[0:1], s27, v13
	v_add_u32_e32 v13, -5, v11
	s_nop 0
	v_cndmask_b32_e64 v8, 0, v8, s[0:1]
	v_cmp_gt_i32_e64 s[0:1], s27, v13
	v_add_u32_e32 v13, -4, v11
	s_nop 0
	v_cndmask_b32_e64 v3, 0, v3, s[0:1]
	v_cmp_gt_i32_e64 s[0:1], s27, v13
	v_add_u32_e32 v13, -3, v11
	s_nop 0
	v_cndmask_b32_e64 v21, 0, v21, s[0:1]
	v_cmp_gt_i32_e64 s[0:1], s27, v13
	v_add_u32_e32 v13, -2, v11
	s_nop 0
	v_cndmask_b32_e64 v4, 0, v4, s[0:1]
	v_cmp_gt_i32_e64 s[0:1], s27, v13
	v_add_u32_e32 v13, -1, v11
	s_nop 0
	v_cndmask_b32_e64 v9, 0, v9, s[0:1]
	v_cmp_gt_i32_e64 s[0:1], s27, v13
	s_nop 1
	v_cndmask_b32_e64 v5, 0, v5, s[0:1]
	v_cmp_gt_i32_e64 s[0:1], s27, v11
	s_nop 1
	v_cndmask_b32_e64 v7, 0, v7, s[0:1]
.LBB147_113:                            ;   in Loop: Header=BB147_44 Depth=1
	s_or_b64 exec, exec, s[20:21]
	v_lshlrev_b32_e32 v2, 16, v2
	v_mul_f32_e32 v13, v23, v2
	v_and_b32_e32 v2, 0x7f800000, v13
	v_cmp_ne_u32_e64 s[0:1], s22, v2
                                        ; implicit-def: $vgpr2
	s_and_saveexec_b64 s[2:3], s[0:1]
	s_xor_b64 s[0:1], exec, s[2:3]
; %bb.114:                              ;   in Loop: Header=BB147_44 Depth=1
	v_bfe_u32 v2, v13, 16, 1
	v_add3_u32 v2, v13, v2, s23
                                        ; implicit-def: $vgpr13
; %bb.115:                              ;   in Loop: Header=BB147_44 Depth=1
	s_andn2_saveexec_b64 s[2:3], s[0:1]
; %bb.116:                              ;   in Loop: Header=BB147_44 Depth=1
	v_or_b32_e32 v2, 0x10000, v13
	v_cmp_eq_u32_sdwa s[0:1], v13, v17 src0_sel:WORD_0 src1_sel:DWORD
	s_nop 1
	v_cndmask_b32_e64 v2, v2, v13, s[0:1]
; %bb.117:                              ;   in Loop: Header=BB147_44 Depth=1
	s_or_b64 exec, exec, s[2:3]
	v_lshlrev_b32_e32 v8, 16, v8
	v_mul_f32_e32 v13, v24, v8
	v_and_b32_e32 v8, 0x7f800000, v13
	v_cmp_ne_u32_e64 s[0:1], s22, v8
                                        ; implicit-def: $vgpr8
	s_and_saveexec_b64 s[2:3], s[0:1]
	s_xor_b64 s[0:1], exec, s[2:3]
; %bb.118:                              ;   in Loop: Header=BB147_44 Depth=1
	v_bfe_u32 v8, v13, 16, 1
	v_add3_u32 v8, v13, v8, s23
                                        ; implicit-def: $vgpr13
; %bb.119:                              ;   in Loop: Header=BB147_44 Depth=1
	s_andn2_saveexec_b64 s[2:3], s[0:1]
; %bb.120:                              ;   in Loop: Header=BB147_44 Depth=1
	v_or_b32_e32 v8, 0x10000, v13
	v_cmp_eq_u32_sdwa s[0:1], v13, v17 src0_sel:WORD_0 src1_sel:DWORD
	s_nop 1
	v_cndmask_b32_e64 v8, v8, v13, s[0:1]
; %bb.121:                              ;   in Loop: Header=BB147_44 Depth=1
	s_or_b64 exec, exec, s[2:3]
	v_lshlrev_b32_e32 v3, 16, v3
	v_mul_f32_e32 v13, v25, v3
	v_and_b32_e32 v3, 0x7f800000, v13
	v_cmp_ne_u32_e64 s[0:1], s22, v3
                                        ; implicit-def: $vgpr3
	s_and_saveexec_b64 s[2:3], s[0:1]
	s_xor_b64 s[0:1], exec, s[2:3]
; %bb.122:                              ;   in Loop: Header=BB147_44 Depth=1
	v_bfe_u32 v3, v13, 16, 1
	v_add3_u32 v3, v13, v3, s23
                                        ; implicit-def: $vgpr13
; %bb.123:                              ;   in Loop: Header=BB147_44 Depth=1
	s_andn2_saveexec_b64 s[2:3], s[0:1]
; %bb.124:                              ;   in Loop: Header=BB147_44 Depth=1
	v_or_b32_e32 v3, 0x10000, v13
	v_cmp_eq_u32_sdwa s[0:1], v13, v17 src0_sel:WORD_0 src1_sel:DWORD
	s_nop 1
	v_cndmask_b32_e64 v3, v3, v13, s[0:1]
; %bb.125:                              ;   in Loop: Header=BB147_44 Depth=1
	s_or_b64 exec, exec, s[2:3]
	v_lshlrev_b32_e32 v13, 16, v21
	v_mul_f32_e32 v21, v26, v13
	v_and_b32_e32 v13, 0x7f800000, v21
	v_cmp_ne_u32_e64 s[0:1], s22, v13
                                        ; implicit-def: $vgpr13
	s_and_saveexec_b64 s[2:3], s[0:1]
	s_xor_b64 s[0:1], exec, s[2:3]
; %bb.126:                              ;   in Loop: Header=BB147_44 Depth=1
	v_bfe_u32 v13, v21, 16, 1
	v_add3_u32 v13, v21, v13, s23
                                        ; implicit-def: $vgpr21
; %bb.127:                              ;   in Loop: Header=BB147_44 Depth=1
	s_andn2_saveexec_b64 s[2:3], s[0:1]
; %bb.128:                              ;   in Loop: Header=BB147_44 Depth=1
	v_or_b32_e32 v13, 0x10000, v21
	v_cmp_eq_u32_sdwa s[0:1], v21, v17 src0_sel:WORD_0 src1_sel:DWORD
	s_nop 1
	v_cndmask_b32_e64 v13, v13, v21, s[0:1]
; %bb.129:                              ;   in Loop: Header=BB147_44 Depth=1
	s_or_b64 exec, exec, s[2:3]
	v_lshlrev_b32_e32 v4, 16, v4
	v_mul_f32_e32 v21, v27, v4
	v_and_b32_e32 v4, 0x7f800000, v21
	v_cmp_ne_u32_e64 s[0:1], s22, v4
                                        ; implicit-def: $vgpr4
	s_and_saveexec_b64 s[2:3], s[0:1]
	s_xor_b64 s[0:1], exec, s[2:3]
; %bb.130:                              ;   in Loop: Header=BB147_44 Depth=1
	v_bfe_u32 v4, v21, 16, 1
	v_add3_u32 v4, v21, v4, s23
                                        ; implicit-def: $vgpr21
; %bb.131:                              ;   in Loop: Header=BB147_44 Depth=1
	s_andn2_saveexec_b64 s[2:3], s[0:1]
; %bb.132:                              ;   in Loop: Header=BB147_44 Depth=1
	v_or_b32_e32 v4, 0x10000, v21
	v_cmp_eq_u32_sdwa s[0:1], v21, v17 src0_sel:WORD_0 src1_sel:DWORD
	s_nop 1
	v_cndmask_b32_e64 v4, v4, v21, s[0:1]
; %bb.133:                              ;   in Loop: Header=BB147_44 Depth=1
	s_or_b64 exec, exec, s[2:3]
	v_lshlrev_b32_e32 v9, 16, v9
	v_mul_f32_e32 v21, v28, v9
	v_and_b32_e32 v9, 0x7f800000, v21
	v_cmp_ne_u32_e64 s[0:1], s22, v9
                                        ; implicit-def: $vgpr9
	s_and_saveexec_b64 s[2:3], s[0:1]
	s_xor_b64 s[0:1], exec, s[2:3]
; %bb.134:                              ;   in Loop: Header=BB147_44 Depth=1
	v_bfe_u32 v9, v21, 16, 1
	v_add3_u32 v9, v21, v9, s23
                                        ; implicit-def: $vgpr21
; %bb.135:                              ;   in Loop: Header=BB147_44 Depth=1
	s_andn2_saveexec_b64 s[2:3], s[0:1]
; %bb.136:                              ;   in Loop: Header=BB147_44 Depth=1
	v_or_b32_e32 v9, 0x10000, v21
	v_cmp_eq_u32_sdwa s[0:1], v21, v17 src0_sel:WORD_0 src1_sel:DWORD
	s_nop 1
	v_cndmask_b32_e64 v9, v9, v21, s[0:1]
; %bb.137:                              ;   in Loop: Header=BB147_44 Depth=1
	s_or_b64 exec, exec, s[2:3]
	v_lshlrev_b32_e32 v5, 16, v5
	v_mul_f32_e32 v21, v29, v5
	v_and_b32_e32 v5, 0x7f800000, v21
	v_cmp_ne_u32_e64 s[0:1], s22, v5
                                        ; implicit-def: $vgpr5
	s_and_saveexec_b64 s[2:3], s[0:1]
	s_xor_b64 s[0:1], exec, s[2:3]
; %bb.138:                              ;   in Loop: Header=BB147_44 Depth=1
	v_bfe_u32 v5, v21, 16, 1
	v_add3_u32 v5, v21, v5, s23
                                        ; implicit-def: $vgpr21
; %bb.139:                              ;   in Loop: Header=BB147_44 Depth=1
	s_andn2_saveexec_b64 s[2:3], s[0:1]
; %bb.140:                              ;   in Loop: Header=BB147_44 Depth=1
	v_or_b32_e32 v5, 0x10000, v21
	v_cmp_eq_u32_sdwa s[0:1], v21, v17 src0_sel:WORD_0 src1_sel:DWORD
	s_nop 1
	v_cndmask_b32_e64 v5, v5, v21, s[0:1]
; %bb.141:                              ;   in Loop: Header=BB147_44 Depth=1
	s_or_b64 exec, exec, s[2:3]
	v_lshlrev_b32_e32 v7, 16, v7
	v_mul_f32_e32 v7, v30, v7
	v_and_b32_e32 v21, 0x7f800000, v7
	v_cmp_ne_u32_e64 s[0:1], s22, v21
                                        ; implicit-def: $vgpr21
	s_and_saveexec_b64 s[2:3], s[0:1]
	s_xor_b64 s[0:1], exec, s[2:3]
; %bb.142:                              ;   in Loop: Header=BB147_44 Depth=1
	v_bfe_u32 v21, v7, 16, 1
	v_add3_u32 v21, v7, v21, s23
                                        ; implicit-def: $vgpr7
; %bb.143:                              ;   in Loop: Header=BB147_44 Depth=1
	s_andn2_saveexec_b64 s[2:3], s[0:1]
	s_cbranch_execz .LBB147_42
; %bb.144:                              ;   in Loop: Header=BB147_44 Depth=1
	v_or_b32_e32 v21, 0x10000, v7
	v_cmp_eq_u32_sdwa s[0:1], v7, v17 src0_sel:WORD_0 src1_sel:DWORD
	s_nop 1
	v_cndmask_b32_e64 v21, v21, v7, s[0:1]
	s_branch .LBB147_42
.LBB147_145:
	s_or_b64 exec, exec, s[16:17]
.LBB147_146:
	s_or_b64 exec, exec, s[12:13]
	v_and_b32_e32 v2, 0x3c0, v0
	v_cmp_eq_u32_e32 vcc, 64, v2
	s_barrier
	s_and_saveexec_b64 s[0:1], vcc
	s_cbranch_execz .LBB147_149
; %bb.147:
	v_mov_b32_e32 v2, 0xd0
	v_lshl_add_u32 v1, v1, 2, v2
	ds_write_b32 v1, v6
	s_and_b64 exec, exec, s[8:9]
	s_cbranch_execz .LBB147_149
; %bb.148:
	v_lshl_add_u32 v1, v0, 2, v2
	ds_write_b32 v1, v15
.LBB147_149:
	s_or_b64 exec, exec, s[0:1]
	v_cmp_gt_u32_e32 vcc, 64, v0
	v_or_b32_e32 v1, 64, v0
	s_waitcnt lgkmcnt(0)
	s_barrier
	s_and_saveexec_b64 s[2:3], vcc
	s_cbranch_execz .LBB147_153
; %bb.150:
	v_mov_b32_e32 v2, 0xd0
	v_lshl_add_u32 v2, v0, 2, v2
	ds_read_b32 v0, v2
	s_movk_i32 s0, 0x60
	v_cmp_gt_u32_e64 s[0:1], s0, v1
	s_and_saveexec_b64 s[6:7], s[0:1]
	s_cbranch_execz .LBB147_152
; %bb.151:
	ds_read_b32 v2, v2 offset:256
	s_waitcnt lgkmcnt(0)
	v_add_f32_e32 v15, v15, v2
.LBB147_152:
	s_or_b64 exec, exec, s[6:7]
	s_waitcnt lgkmcnt(0)
	v_add_f32_e32 v6, v6, v0
.LBB147_153:
	s_or_b64 exec, exec, s[2:3]
	s_barrier
	s_and_saveexec_b64 s[0:1], vcc
	s_cbranch_execz .LBB147_164
; %bb.154:
	s_mov_b32 s0, 0x7f800000
	v_and_b32_e32 v0, 0x7f800000, v6
	v_cmp_ne_u32_e32 vcc, s0, v0
                                        ; implicit-def: $vgpr0
	s_and_saveexec_b64 s[0:1], vcc
	s_xor_b64 s[0:1], exec, s[0:1]
; %bb.155:
	v_bfe_u32 v0, v6, 16, 1
	s_movk_i32 s2, 0x7fff
	v_add3_u32 v0, v6, v0, s2
                                        ; implicit-def: $vgpr6
; %bb.156:
	s_andn2_saveexec_b64 s[0:1], s[0:1]
; %bb.157:
	v_mov_b32_e32 v0, 0
	v_or_b32_e32 v2, 0x10000, v6
	v_cmp_eq_u32_sdwa vcc, v6, v0 src0_sel:WORD_0 src1_sel:DWORD
	s_nop 1
	v_cndmask_b32_e32 v0, v2, v6, vcc
; %bb.158:
	s_or_b64 exec, exec, s[0:1]
	s_mul_i32 s0, s10, 0x60
	s_ashr_i32 s1, s0, 31
	s_lshl_b64 s[0:1], s[0:1], 1
	s_add_u32 s3, s24, s0
	s_mul_i32 s0, s15, s14
	s_addc_u32 s5, s25, s1
	s_ashr_i32 s1, s0, 31
	s_lshl_b64 s[0:1], s[0:1], 1
	s_add_u32 s3, s3, s0
	s_mul_i32 s0, s4, 0x60
	s_addc_u32 s5, s5, s1
	s_ashr_i32 s1, s0, 31
	s_lshl_b64 s[0:1], s[0:1], 1
	s_movk_i32 s2, 0x60
	s_add_u32 s0, s3, s0
	s_addc_u32 s1, s5, s1
	v_cmp_gt_u32_e32 vcc, s2, v1
	global_store_short_d16_hi v10, v0, s[0:1]
	s_and_b64 exec, exec, vcc
	s_cbranch_execz .LBB147_164
; %bb.159:
	s_mov_b32 s2, 0x7f800000
	v_and_b32_e32 v0, 0x7f800000, v15
	v_mov_b32_e32 v11, 0
	v_cmp_ne_u32_e32 vcc, s2, v0
                                        ; implicit-def: $vgpr2
	s_and_saveexec_b64 s[2:3], vcc
	s_xor_b64 s[2:3], exec, s[2:3]
; %bb.160:
	v_bfe_u32 v0, v15, 16, 1
	s_movk_i32 s4, 0x7fff
	v_add3_u32 v2, v15, v0, s4
                                        ; implicit-def: $vgpr15
; %bb.161:
	s_or_saveexec_b64 s[2:3], s[2:3]
	v_lshl_add_u64 v[0:1], s[0:1], 0, v[10:11]
	s_xor_b64 exec, exec, s[2:3]
; %bb.162:
	v_mov_b32_e32 v2, 0
	v_or_b32_e32 v3, 0x10000, v15
	v_cmp_eq_u32_sdwa vcc, v15, v2 src0_sel:WORD_0 src1_sel:DWORD
	s_nop 1
	v_cndmask_b32_e32 v2, v3, v15, vcc
; %bb.163:
	s_or_b64 exec, exec, s[2:3]
	global_store_short_d16_hi v[0:1], v2, off offset:128
.LBB147_164:
	s_endpgm
	.section	.rodata,"a",@progbits
	.p2align	6, 0x0
	.amdhsa_kernel _ZN4vllm25paged_attention_v2_kernelI14__hip_bfloat16S1_Li96ELi8ELi128ELNS_18Fp8KVCacheDataTypeE0ELb0ELi512EEEvPfS3_PT_PKS4_PKT0_SA_ifPKiSC_iPKfiiiSE_SE_iiiii
		.amdhsa_group_segment_fixed_size 208
		.amdhsa_private_segment_fixed_size 0
		.amdhsa_kernarg_size 400
		.amdhsa_user_sgpr_count 2
		.amdhsa_user_sgpr_dispatch_ptr 0
		.amdhsa_user_sgpr_queue_ptr 0
		.amdhsa_user_sgpr_kernarg_segment_ptr 1
		.amdhsa_user_sgpr_dispatch_id 0
		.amdhsa_user_sgpr_kernarg_preload_length 0
		.amdhsa_user_sgpr_kernarg_preload_offset 0
		.amdhsa_user_sgpr_private_segment_size 0
		.amdhsa_uses_dynamic_stack 0
		.amdhsa_enable_private_segment 0
		.amdhsa_system_sgpr_workgroup_id_x 1
		.amdhsa_system_sgpr_workgroup_id_y 1
		.amdhsa_system_sgpr_workgroup_id_z 1
		.amdhsa_system_sgpr_workgroup_info 0
		.amdhsa_system_vgpr_workitem_id 0
		.amdhsa_next_free_vgpr 45
		.amdhsa_next_free_sgpr 44
		.amdhsa_accum_offset 48
		.amdhsa_reserve_vcc 1
		.amdhsa_float_round_mode_32 0
		.amdhsa_float_round_mode_16_64 0
		.amdhsa_float_denorm_mode_32 3
		.amdhsa_float_denorm_mode_16_64 3
		.amdhsa_dx10_clamp 1
		.amdhsa_ieee_mode 1
		.amdhsa_fp16_overflow 0
		.amdhsa_tg_split 0
		.amdhsa_exception_fp_ieee_invalid_op 0
		.amdhsa_exception_fp_denorm_src 0
		.amdhsa_exception_fp_ieee_div_zero 0
		.amdhsa_exception_fp_ieee_overflow 0
		.amdhsa_exception_fp_ieee_underflow 0
		.amdhsa_exception_fp_ieee_inexact 0
		.amdhsa_exception_int_div_zero 0
	.end_amdhsa_kernel
	.section	.text._ZN4vllm25paged_attention_v2_kernelI14__hip_bfloat16S1_Li96ELi8ELi128ELNS_18Fp8KVCacheDataTypeE0ELb0ELi512EEEvPfS3_PT_PKS4_PKT0_SA_ifPKiSC_iPKfiiiSE_SE_iiiii,"axG",@progbits,_ZN4vllm25paged_attention_v2_kernelI14__hip_bfloat16S1_Li96ELi8ELi128ELNS_18Fp8KVCacheDataTypeE0ELb0ELi512EEEvPfS3_PT_PKS4_PKT0_SA_ifPKiSC_iPKfiiiSE_SE_iiiii,comdat
.Lfunc_end147:
	.size	_ZN4vllm25paged_attention_v2_kernelI14__hip_bfloat16S1_Li96ELi8ELi128ELNS_18Fp8KVCacheDataTypeE0ELb0ELi512EEEvPfS3_PT_PKS4_PKT0_SA_ifPKiSC_iPKfiiiSE_SE_iiiii, .Lfunc_end147-_ZN4vllm25paged_attention_v2_kernelI14__hip_bfloat16S1_Li96ELi8ELi128ELNS_18Fp8KVCacheDataTypeE0ELb0ELi512EEEvPfS3_PT_PKS4_PKT0_SA_ifPKiSC_iPKfiiiSE_SE_iiiii
                                        ; -- End function
	.section	.AMDGPU.csdata,"",@progbits
; Kernel info:
; codeLenInByte = 6388
; NumSgprs: 50
; NumVgprs: 45
; NumAgprs: 0
; TotalNumVgprs: 45
; ScratchSize: 0
; MemoryBound: 0
; FloatMode: 240
; IeeeMode: 1
; LDSByteSize: 208 bytes/workgroup (compile time only)
; SGPRBlocks: 6
; VGPRBlocks: 5
; NumSGPRsForWavesPerEU: 50
; NumVGPRsForWavesPerEU: 45
; AccumOffset: 48
; Occupancy: 8
; WaveLimiterHint : 1
; COMPUTE_PGM_RSRC2:SCRATCH_EN: 0
; COMPUTE_PGM_RSRC2:USER_SGPR: 2
; COMPUTE_PGM_RSRC2:TRAP_HANDLER: 0
; COMPUTE_PGM_RSRC2:TGID_X_EN: 1
; COMPUTE_PGM_RSRC2:TGID_Y_EN: 1
; COMPUTE_PGM_RSRC2:TGID_Z_EN: 1
; COMPUTE_PGM_RSRC2:TIDIG_COMP_CNT: 0
; COMPUTE_PGM_RSRC3_GFX90A:ACCUM_OFFSET: 11
; COMPUTE_PGM_RSRC3_GFX90A:TG_SPLIT: 0
	.section	.text._ZN4vllm25paged_attention_v2_kernelI14__hip_bfloat16S1_Li112ELi8ELi128ELNS_18Fp8KVCacheDataTypeE0ELb0ELi512EEEvPfS3_PT_PKS4_PKT0_SA_ifPKiSC_iPKfiiiSE_SE_iiiii,"axG",@progbits,_ZN4vllm25paged_attention_v2_kernelI14__hip_bfloat16S1_Li112ELi8ELi128ELNS_18Fp8KVCacheDataTypeE0ELb0ELi512EEEvPfS3_PT_PKS4_PKT0_SA_ifPKiSC_iPKfiiiSE_SE_iiiii,comdat
	.protected	_ZN4vllm25paged_attention_v2_kernelI14__hip_bfloat16S1_Li112ELi8ELi128ELNS_18Fp8KVCacheDataTypeE0ELb0ELi512EEEvPfS3_PT_PKS4_PKT0_SA_ifPKiSC_iPKfiiiSE_SE_iiiii ; -- Begin function _ZN4vllm25paged_attention_v2_kernelI14__hip_bfloat16S1_Li112ELi8ELi128ELNS_18Fp8KVCacheDataTypeE0ELb0ELi512EEEvPfS3_PT_PKS4_PKT0_SA_ifPKiSC_iPKfiiiSE_SE_iiiii
	.globl	_ZN4vllm25paged_attention_v2_kernelI14__hip_bfloat16S1_Li112ELi8ELi128ELNS_18Fp8KVCacheDataTypeE0ELb0ELi512EEEvPfS3_PT_PKS4_PKT0_SA_ifPKiSC_iPKfiiiSE_SE_iiiii
	.p2align	8
	.type	_ZN4vllm25paged_attention_v2_kernelI14__hip_bfloat16S1_Li112ELi8ELi128ELNS_18Fp8KVCacheDataTypeE0ELb0ELi512EEEvPfS3_PT_PKS4_PKT0_SA_ifPKiSC_iPKfiiiSE_SE_iiiii,@function
_ZN4vllm25paged_attention_v2_kernelI14__hip_bfloat16S1_Li112ELi8ELi128ELNS_18Fp8KVCacheDataTypeE0ELb0ELi512EEEvPfS3_PT_PKS4_PKT0_SA_ifPKiSC_iPKfiiiSE_SE_iiiii: ; @_ZN4vllm25paged_attention_v2_kernelI14__hip_bfloat16S1_Li112ELi8ELi128ELNS_18Fp8KVCacheDataTypeE0ELb0ELi512EEEvPfS3_PT_PKS4_PKT0_SA_ifPKiSC_iPKfiiiSE_SE_iiiii
; %bb.0:
	s_load_dwordx2 s[6:7], s[0:1], 0x40
	s_mov_b32 s26, s3
	s_ashr_i32 s27, s3, 31
	s_lshl_b64 s[8:9], s[26:27], 2
	s_waitcnt lgkmcnt(0)
	s_add_u32 s6, s6, s8
	s_addc_u32 s7, s7, s9
	s_load_dword s27, s[6:7], 0x0
	s_lshl_b32 s42, s4, 9
	s_waitcnt lgkmcnt(0)
	s_cmp_ge_i32 s42, s27
	s_cbranch_scc1 .LBB148_164
; %bb.1:
	s_load_dword s5, s[0:1], 0x90
	s_load_dwordx2 s[12:13], s[0:1], 0x30
	s_mov_b32 s43, 0
	s_waitcnt lgkmcnt(0)
	s_abs_i32 s7, s5
	s_abs_i32 s3, s12
	v_cvt_f32_u32_e32 v1, s3
	s_sub_i32 s8, 0, s3
	s_xor_b32 s6, s5, s12
	s_ashr_i32 s6, s6, 31
	v_rcp_iflag_f32_e32 v1, v1
	s_nop 0
	v_mul_f32_e32 v1, 0x4f7ffffe, v1
	v_cvt_u32_f32_e32 v1, v1
	s_nop 0
	v_readfirstlane_b32 s9, v1
	s_mul_i32 s8, s8, s9
	s_mul_hi_u32 s8, s9, s8
	s_add_i32 s9, s9, s8
	s_mul_hi_u32 s8, s7, s9
	s_mul_i32 s9, s8, s3
	s_sub_i32 s7, s7, s9
	s_add_i32 s10, s8, 1
	s_sub_i32 s9, s7, s3
	s_cmp_ge_u32 s7, s3
	s_cselect_b32 s8, s10, s8
	s_cselect_b32 s7, s9, s7
	s_add_i32 s9, s8, 1
	s_cmp_ge_u32 s7, s3
	s_cselect_b32 s3, s9, s8
	s_xor_b32 s3, s3, s6
	s_sub_i32 s8, s3, s6
	s_abs_i32 s10, s8
	v_cvt_f32_u32_e32 v1, s10
	s_load_dwordx2 s[6:7], s[0:1], 0x50
	s_sub_i32 s3, 0, s10
	s_abs_i32 s11, s2
	v_rcp_iflag_f32_e32 v1, v1
	s_nop 0
	v_mul_f32_e32 v1, 0x4f7ffffe, v1
	v_cvt_u32_f32_e32 v1, v1
	s_nop 0
	v_readfirstlane_b32 s9, v1
	s_mul_i32 s3, s3, s9
	s_mul_hi_u32 s3, s9, s3
	s_add_i32 s9, s9, s3
	s_waitcnt lgkmcnt(0)
	s_cmp_eq_u64 s[6:7], 0
	s_mul_hi_u32 s20, s11, s9
	s_cbranch_scc1 .LBB148_3
; %bb.2:
	s_ashr_i32 s3, s2, 31
	s_lshl_b64 s[14:15], s[2:3], 2
	s_add_u32 s6, s6, s14
	s_addc_u32 s7, s7, s15
	s_load_dword s43, s[6:7], 0x0
.LBB148_3:
	s_load_dwordx4 s[16:19], s[0:1], 0x58
	s_movk_i32 s3, 0x70
	s_ashr_i32 s21, s2, 31
	s_ashr_i32 s22, s8, 31
	v_and_b32_e32 v4, 7, v0
	s_mul_i32 s14, s2, 0x70
	v_cmp_gt_u32_e64 s[8:9], s3, v0
	v_lshlrev_b32_e32 v10, 1, v0
	s_and_saveexec_b64 s[6:7], s[8:9]
	s_cbranch_execz .LBB148_5
; %bb.4:
	s_load_dwordx2 s[24:25], s[0:1], 0x18
	s_waitcnt lgkmcnt(0)
	s_mul_i32 s28, s26, s16
	s_ashr_i32 s29, s28, 31
	s_lshl_b64 s[28:29], s[28:29], 1
	v_lshrrev_b32_e32 v2, 2, v0
	s_add_u32 s3, s24, s28
	s_addc_u32 s12, s25, s29
	s_ashr_i32 s15, s14, 31
	s_lshl_b64 s[24:25], s[14:15], 1
	s_add_u32 s24, s3, s24
	s_addc_u32 s25, s12, s25
	global_load_ushort v1, v10, s[24:25]
	v_and_b32_e32 v2, 0xfe, v2
	v_mad_u32_u24 v2, v4, 28, v2
	s_waitcnt vmcnt(0)
	ds_write_b16 v2, v1
.LBB148_5:
	s_or_b64 exec, exec, s[6:7]
	s_add_i32 s3, s27, 7
	s_ashr_i32 s6, s3, 31
	s_lshr_b32 s6, s6, 29
	s_add_i32 s3, s3, s6
	s_lshl_b32 s12, s4, 6
	s_mul_i32 s7, s20, s10
	s_ashr_i32 s3, s3, 3
	s_add_i32 s6, s12, 64
	s_sub_i32 s7, s11, s7
	s_min_i32 s33, s6, s3
	s_xor_b32 s6, s21, s22
	s_add_i32 s11, s20, 1
	s_sub_i32 s15, s7, s10
	s_cmp_ge_u32 s7, s10
	s_cselect_b32 s11, s11, s20
	s_cselect_b32 s7, s15, s7
	s_add_i32 s15, s11, 1
	s_cmp_ge_u32 s7, s10
	s_load_dwordx2 s[28:29], s[0:1], 0x38
	s_load_dword s10, s[0:1], 0x48
	v_lshrrev_b32_e32 v7, 6, v0
	s_cselect_b32 s7, s15, s11
	s_xor_b32 s7, s7, s6
	v_or_b32_e32 v12, s12, v7
	s_waitcnt lgkmcnt(0)
	s_mul_i32 s30, s26, s10
	s_sub_i32 s16, s7, s6
	s_ashr_i32 s31, s30, 31
	v_cmp_gt_i32_e64 s[6:7], s33, v12
	v_cmp_le_i32_e32 vcc, s33, v12
	v_mbcnt_lo_u32_b32 v5, -1, 0
	s_barrier
	s_waitcnt lgkmcnt(0)
                                        ; implicit-def: $sgpr19
                                        ; implicit-def: $vgpr6
                                        ; implicit-def: $vgpr9
	s_and_saveexec_b64 s[10:11], vcc
	s_xor_b64 s[10:11], exec, s[10:11]
; %bb.6:
	v_mbcnt_hi_u32_b32 v6, -1, v5
	v_and_b32_e32 v1, 64, v6
	v_add_u32_e32 v9, 64, v1
	s_mov_b32 s19, 0xff7fffff
                                        ; implicit-def: $vgpr4
                                        ; implicit-def: $vgpr5
; %bb.7:
	s_or_saveexec_b64 s[36:37], s[10:11]
	s_load_dwordx4 s[20:23], s[0:1], 0x0
	s_load_dwordx2 s[24:25], s[0:1], 0x10
	s_load_dwordx2 s[34:35], s[0:1], 0x28
	s_load_dword s15, s[0:1], 0x98
	v_mov_b32_e32 v25, s19
	s_mul_i32 s18, s16, s18
	v_ashrrev_i32_e32 v13, 31, v12
	v_lshlrev_b32_e32 v8, 3, v7
	s_xor_b64 exec, exec, s[36:37]
	s_cbranch_execz .LBB148_13
; %bb.8:
	v_mul_u32_u24_e32 v1, 28, v4
	ds_read2_b32 v[16:17], v1 offset1:1
	ds_read2_b32 v[18:19], v1 offset0:2 offset1:3
	ds_read2_b32 v[22:23], v1 offset0:4 offset1:5
	ds_read_b32 v6, v1 offset:24
	s_load_dwordx2 s[0:1], s[0:1], 0x20
	s_ashr_i32 s19, s18, 31
	s_lshl_b64 s[10:11], s[18:19], 1
	v_bfe_u32 v25, v0, 3, 3
	s_waitcnt lgkmcnt(0)
	v_lshlrev_b32_e32 v24, 16, v6
	v_and_b32_e32 v26, 0xffff0000, v6
	v_mbcnt_hi_u32_b32 v6, -1, v5
	v_and_b32_e32 v5, 64, v6
	v_add_u32_e32 v9, 64, v5
	v_xor_b32_e32 v5, 4, v6
	v_cmp_lt_i32_e32 vcc, v5, v9
	s_add_u32 s0, s0, s10
	s_addc_u32 s1, s1, s11
	v_cndmask_b32_e32 v5, v6, v5, vcc
	v_lshlrev_b32_e32 v27, 2, v5
	v_xor_b32_e32 v5, 2, v6
	v_cmp_lt_i32_e32 vcc, v5, v9
	v_lshlrev_b32_e32 v2, 4, v25
	v_mov_b32_e32 v3, 0
	v_cndmask_b32_e32 v5, v6, v5, vcc
	v_lshlrev_b32_e32 v28, 2, v5
	v_xor_b32_e32 v5, 1, v6
	v_cmp_lt_i32_e32 vcc, v5, v9
	s_sub_i32 s19, 1, s27
	s_lshl_b64 s[10:11], s[30:31], 2
	v_lshl_add_u64 v[14:15], s[0:1], 0, v[2:3]
	v_lshlrev_b32_e32 v2, 1, v4
	v_cndmask_b32_e32 v5, v6, v5, vcc
	v_cmp_eq_u32_e32 vcc, 0, v4
	v_lshlrev_b32_e32 v4, 2, v25
	s_add_u32 s10, s28, s10
	v_lshl_or_b32 v4, v7, 5, v4
	s_addc_u32 s11, s29, s11
	s_mov_b32 s16, s17
	v_lshl_add_u64 v[2:3], v[14:15], 0, v[2:3]
	v_lshlrev_b32_e32 v1, 16, v16
	v_and_b32_e32 v11, 0xffff0000, v16
	v_lshlrev_b32_e32 v14, 16, v17
	v_and_b32_e32 v15, 0xffff0000, v17
	;; [unrolled: 2-line block ×6, first 2 shown]
	v_lshlrev_b32_e32 v29, 2, v5
	v_cmp_neq_f32_e64 s[0:1], s43, 0
	v_add3_u32 v30, s42, v8, v25
	v_add_u32_e32 v31, 0xf0, v4
	v_lshl_add_u64 v[4:5], v[12:13], 2, s[10:11]
	s_mov_b64 s[38:39], 0
	v_mov_b32_e32 v25, 0xff7fffff
	v_mov_b32_e32 v32, v12
	s_branch .LBB148_10
.LBB148_9:                              ;   in Loop: Header=BB148_10 Depth=1
	s_or_b64 exec, exec, s[40:41]
	v_add_u32_e32 v32, 2, v32
	v_cmp_le_i32_e64 s[10:11], s33, v32
	v_add_u32_e32 v30, 16, v30
	v_add_u32_e32 v31, 64, v31
	s_or_b64 s[38:39], s[10:11], s[38:39]
	v_lshl_add_u64 v[4:5], v[4:5], 0, 8
	s_andn2_b64 exec, exec, s[38:39]
	s_cbranch_execz .LBB148_12
.LBB148_10:                             ; =>This Inner Loop Header: Depth=1
	global_load_dword v33, v[4:5], off
	s_waitcnt vmcnt(0) lgkmcnt(0)
	v_mad_i64_i32 v[34:35], s[10:11], v33, s16, 0
	v_lshl_add_u64 v[34:35], v[34:35], 1, v[2:3]
	global_load_ushort v33, v[34:35], off
	global_load_ushort v36, v[34:35], off offset:128
	global_load_ushort v37, v[34:35], off offset:256
	;; [unrolled: 1-line block ×13, first 2 shown]
	s_waitcnt vmcnt(13)
	v_lshlrev_b32_e32 v33, 16, v33
	s_waitcnt vmcnt(12)
	v_lshlrev_b32_e32 v34, 16, v36
	v_mul_f32_e32 v34, v11, v34
	s_waitcnt vmcnt(11)
	v_lshlrev_b32_e32 v35, 16, v37
	v_fmac_f32_e32 v34, v1, v33
	s_waitcnt vmcnt(10)
	v_lshlrev_b32_e32 v36, 16, v38
	v_fmac_f32_e32 v34, v14, v35
	;; [unrolled: 3-line block ×11, first 2 shown]
	v_fmac_f32_e32 v34, v24, v45
	s_waitcnt vmcnt(0)
	v_lshlrev_b32_e32 v33, 16, v48
	v_fmac_f32_e32 v34, v26, v33
	ds_bpermute_b32 v33, v27, v34
	s_waitcnt lgkmcnt(0)
	v_add_f32_e32 v33, v34, v33
	ds_bpermute_b32 v34, v28, v33
	s_waitcnt lgkmcnt(0)
	v_add_f32_e32 v33, v33, v34
	ds_bpermute_b32 v34, v29, v33
	s_and_saveexec_b64 s[40:41], vcc
	s_cbranch_execz .LBB148_9
; %bb.11:                               ;   in Loop: Header=BB148_10 Depth=1
	v_add_u32_e32 v35, s19, v30
	v_cvt_f32_i32_e32 v35, v35
	s_waitcnt lgkmcnt(0)
	v_add_f32_e32 v33, v33, v34
	v_cmp_gt_i32_e64 s[10:11], s27, v30
	v_max_f32_e32 v34, v25, v25
	v_mul_f32_e32 v35, s43, v35
	v_cndmask_b32_e64 v35, 0, v35, s[0:1]
	v_fmac_f32_e32 v35, s13, v33
	v_cndmask_b32_e64 v33, 0, v35, s[10:11]
	ds_write_b32 v31, v33
	v_max_f32_e32 v33, v34, v35
	v_cndmask_b32_e64 v25, v25, v33, s[10:11]
	s_branch .LBB148_9
.LBB148_12:
	s_or_b64 exec, exec, s[38:39]
.LBB148_13:
	s_or_b64 exec, exec, s[36:37]
	v_xor_b32_e32 v1, 32, v6
	v_cmp_lt_i32_e32 vcc, v1, v9
	v_xor_b32_e32 v4, 16, v6
	v_max_f32_e32 v2, v25, v25
	v_cndmask_b32_e32 v1, v6, v1, vcc
	v_lshlrev_b32_e32 v3, 2, v1
	ds_bpermute_b32 v1, v3, v25
	v_cmp_lt_i32_e32 vcc, v4, v9
	v_xor_b32_e32 v5, 8, v6
	s_waitcnt lgkmcnt(0)
	v_max_f32_e32 v1, v1, v1
	v_max_f32_e32 v1, v2, v1
	v_cndmask_b32_e32 v2, v6, v4, vcc
	v_lshlrev_b32_e32 v11, 2, v2
	ds_bpermute_b32 v2, v11, v1
	v_cmp_lt_i32_e32 vcc, v5, v9
	s_waitcnt lgkmcnt(0)
	v_max_f32_e32 v2, v2, v2
	v_max_f32_e32 v4, v1, v2
	v_cndmask_b32_e32 v1, v6, v5, vcc
	v_lshlrev_b32_e32 v14, 2, v1
	ds_bpermute_b32 v5, v14, v4
	v_and_b32_e32 v1, 63, v0
	v_cmp_eq_u32_e32 vcc, 0, v1
	v_lshlrev_b32_e32 v2, 2, v7
	s_and_saveexec_b64 s[0:1], vcc
	s_cbranch_execz .LBB148_15
; %bb.14:
	s_waitcnt lgkmcnt(0)
	v_max_f32_e32 v5, v5, v5
	v_max_f32_e32 v4, v4, v4
	;; [unrolled: 1-line block ×3, first 2 shown]
	ds_write_b32 v2, v4 offset:224
.LBB148_15:
	s_or_b64 exec, exec, s[0:1]
	v_cmp_gt_u32_e64 s[0:1], 2, v1
	v_mov_b32_e32 v4, 0xff7fffff
	s_waitcnt lgkmcnt(0)
	v_lshlrev_b32_e32 v5, 2, v1
	s_barrier
	s_and_saveexec_b64 s[10:11], s[0:1]
	s_cbranch_execz .LBB148_17
; %bb.16:
	ds_read_b32 v4, v5 offset:224
.LBB148_17:
	s_or_b64 exec, exec, s[10:11]
	v_xor_b32_e32 v15, 1, v6
	v_cmp_lt_i32_e64 s[10:11], v15, v9
	v_mov_b32_e32 v17, 0
	s_nop 0
	v_cndmask_b32_e64 v15, v6, v15, s[10:11]
	v_lshlrev_b32_e32 v15, 2, v15
	s_waitcnt lgkmcnt(0)
	ds_bpermute_b32 v16, v15, v4
	v_max_f32_e32 v4, v4, v4
	s_sub_i32 s10, s33, s12
	s_lshl_b32 s10, s10, 3
	s_add_i32 s10, s10, s42
	s_waitcnt lgkmcnt(0)
	v_max_f32_e32 v16, v16, v16
	v_max_f32_e32 v4, v4, v16
	v_lshlrev_b32_e32 v16, 2, v6
	v_and_b32_e32 v16, 0xffffff00, v16
	ds_bpermute_b32 v4, v16, v4
	s_min_i32 s19, s10, s27
	s_sub_i32 s16, s19, s42
	v_cmp_gt_i32_e64 s[10:11], s16, v0
	s_and_saveexec_b64 s[36:37], s[10:11]
	s_cbranch_execz .LBB148_21
; %bb.18:
	v_mov_b32_e32 v17, 0xf0
	v_lshl_add_u32 v18, v0, 2, v17
	s_mov_b64 s[38:39], 0
	v_mov_b32_e32 v17, 0
	v_mov_b32_e32 v19, v0
.LBB148_19:                             ; =>This Inner Loop Header: Depth=1
	ds_read_b32 v20, v18
	v_add_u32_e32 v19, 0x80, v19
	v_cmp_le_i32_e64 s[12:13], s16, v19
	s_or_b64 s[38:39], s[12:13], s[38:39]
	s_waitcnt lgkmcnt(0)
	v_sub_f32_e32 v20, v20, v4
	v_mul_f32_e32 v20, 0x3fb8aa3b, v20
	v_exp_f32_e32 v20, v20
	ds_write_b32 v18, v20
	v_add_f32_e32 v17, v17, v20
	v_add_u32_e32 v18, 0x200, v18
	s_andn2_b64 exec, exec, s[38:39]
	s_cbranch_execnz .LBB148_19
; %bb.20:
	s_or_b64 exec, exec, s[38:39]
.LBB148_21:
	s_or_b64 exec, exec, s[36:37]
	ds_bpermute_b32 v3, v3, v17
	s_waitcnt lgkmcnt(0)
	v_add_f32_e32 v3, v17, v3
	ds_bpermute_b32 v11, v11, v3
	s_waitcnt lgkmcnt(0)
	v_add_f32_e32 v3, v3, v11
	ds_bpermute_b32 v11, v14, v3
	v_xor_b32_e32 v14, 4, v6
	v_cmp_lt_i32_e64 s[12:13], v14, v9
	s_waitcnt lgkmcnt(0)
	v_add_f32_e32 v3, v3, v11
	v_cndmask_b32_e64 v14, v6, v14, s[12:13]
	v_lshlrev_b32_e32 v14, 2, v14
	ds_bpermute_b32 v11, v14, v3
	v_xor_b32_e32 v14, 2, v6
	v_cmp_lt_i32_e64 s[12:13], v14, v9
	s_waitcnt lgkmcnt(0)
	v_add_f32_e32 v3, v3, v11
	v_cndmask_b32_e64 v6, v6, v14, s[12:13]
	v_lshlrev_b32_e32 v6, 2, v6
	ds_bpermute_b32 v6, v6, v3
	s_waitcnt lgkmcnt(0)
	v_add_f32_e32 v3, v3, v6
	ds_bpermute_b32 v6, v15, v3
	s_waitcnt lgkmcnt(0)
	v_add_f32_e32 v3, v3, v6
	s_and_saveexec_b64 s[12:13], vcc
	s_cbranch_execz .LBB148_23
; %bb.22:
	ds_write_b32 v2, v3 offset:232
.LBB148_23:
	s_or_b64 exec, exec, s[12:13]
	s_waitcnt lgkmcnt(0)
	s_barrier
	s_and_saveexec_b64 s[12:13], s[0:1]
	s_cbranch_execz .LBB148_25
; %bb.24:
	ds_read_b32 v3, v5 offset:232
.LBB148_25:
	s_or_b64 exec, exec, s[12:13]
	s_waitcnt lgkmcnt(0)
	ds_bpermute_b32 v2, v15, v3
	s_waitcnt lgkmcnt(0)
	v_add_f32_e32 v2, v3, v2
	ds_bpermute_b32 v5, v16, v2
	s_and_saveexec_b64 s[0:1], s[10:11]
	s_cbranch_execz .LBB148_38
; %bb.26:
	s_waitcnt lgkmcnt(0)
	v_add_f32_e32 v2, 0x358637bd, v5
	v_div_scale_f32 v3, s[10:11], v2, v2, 1.0
	v_rcp_f32_e32 v6, v3
	v_div_scale_f32 v9, vcc, 1.0, v2, 1.0
	s_movk_i32 s10, 0x7f
	v_fma_f32 v11, -v3, v6, 1.0
	v_fmac_f32_e32 v6, v11, v6
	v_mul_f32_e32 v11, v9, v6
	v_fma_f32 v14, -v3, v11, v9
	v_fmac_f32_e32 v11, v14, v6
	v_fma_f32 v3, -v3, v11, v9
	v_div_fmas_f32 v3, v3, v6, v11
	v_div_fixup_f32 v2, v3, v2, 1.0
	v_xad_u32 v3, v0, -1, s19
	v_subrev_u32_e32 v6, s42, v3
	v_cmp_lt_u32_e32 vcc, s10, v6
	s_mov_b64 s[12:13], -1
	v_mov_b32_e32 v3, v0
	s_and_saveexec_b64 s[10:11], vcc
	s_cbranch_execz .LBB148_35
; %bb.27:
	v_lshrrev_b32_e32 v6, 7, v6
	v_add_u32_e32 v11, -1, v6
	v_lshrrev_b32_e32 v9, 1, v11
	v_mov_b32_e32 v3, v2
	v_add_u32_e32 v9, 1, v9
	v_cmp_lt_u32_e32 vcc, 13, v11
	v_mov_b32_e32 v15, 0
	s_and_saveexec_b64 s[12:13], vcc
	s_cbranch_execz .LBB148_31
; %bb.28:
	v_mov_b32_e32 v14, 0xf0
	v_and_b32_e32 v11, -8, v9
	v_lshl_add_u32 v14, v0, 2, v14
	s_mov_b32 s19, 0
	s_mov_b64 s[36:37], 0
.LBB148_29:                             ; =>This Inner Loop Header: Depth=1
	ds_read2st64_b32 v[16:17], v14 offset1:2
	ds_read2st64_b32 v[18:19], v14 offset0:4 offset1:6
	ds_read2st64_b32 v[20:21], v14 offset0:8 offset1:10
	;; [unrolled: 1-line block ×3, first 2 shown]
	v_add_u32_e32 v11, -8, v11
	s_waitcnt lgkmcnt(3)
	v_pk_mul_f32 v[16:17], v[2:3], v[16:17]
	s_waitcnt lgkmcnt(2)
	v_pk_mul_f32 v[18:19], v[2:3], v[18:19]
	ds_write2st64_b32 v14, v16, v17 offset1:2
	ds_write2st64_b32 v14, v18, v19 offset0:4 offset1:6
	ds_read2st64_b32 v[18:19], v14 offset0:16 offset1:18
	s_waitcnt lgkmcnt(4)
	v_pk_mul_f32 v[16:17], v[2:3], v[20:21]
	ds_write2st64_b32 v14, v16, v17 offset0:8 offset1:10
	s_waitcnt lgkmcnt(4)
	v_pk_mul_f32 v[16:17], v[2:3], v[22:23]
	ds_write2st64_b32 v14, v16, v17 offset0:12 offset1:14
	ds_read2st64_b32 v[16:17], v14 offset0:20 offset1:22
	s_waitcnt lgkmcnt(3)
	v_pk_mul_f32 v[18:19], v[2:3], v[18:19]
	ds_read2st64_b32 v[20:21], v14 offset0:24 offset1:26
	ds_write2st64_b32 v14, v18, v19 offset0:16 offset1:18
	ds_read2st64_b32 v[18:19], v14 offset0:28 offset1:30
	s_waitcnt lgkmcnt(3)
	v_pk_mul_f32 v[16:17], v[2:3], v[16:17]
	ds_write2st64_b32 v14, v16, v17 offset0:20 offset1:22
	s_waitcnt lgkmcnt(3)
	v_pk_mul_f32 v[16:17], v[2:3], v[20:21]
	ds_write2st64_b32 v14, v16, v17 offset0:24 offset1:26
	s_waitcnt lgkmcnt(2)
	v_pk_mul_f32 v[16:17], v[2:3], v[18:19]
	s_add_i32 s19, s19, 16
	v_cmp_eq_u32_e32 vcc, 0, v11
	ds_write2st64_b32 v14, v16, v17 offset0:28 offset1:30
	v_add_u32_e32 v14, 0x2000, v14
	s_or_b64 s[36:37], vcc, s[36:37]
	v_mov_b32_e32 v15, s19
	s_andn2_b64 exec, exec, s[36:37]
	s_cbranch_execnz .LBB148_29
; %bb.30:
	s_or_b64 exec, exec, s[36:37]
.LBB148_31:
	s_or_b64 exec, exec, s[12:13]
	v_and_b32_e32 v9, 7, v9
	v_cmp_ne_u32_e32 vcc, 0, v9
	s_and_saveexec_b64 s[12:13], vcc
	s_cbranch_execz .LBB148_34
; %bb.32:
	v_lshlrev_b32_e32 v11, 9, v15
	v_lshlrev_b32_e32 v14, 2, v0
	s_movk_i32 s19, 0xf0
	v_add3_u32 v11, v11, v14, s19
	s_mov_b64 s[36:37], 0
.LBB148_33:                             ; =>This Inner Loop Header: Depth=1
	ds_read2st64_b32 v[14:15], v11 offset1:2
	v_add_u32_e32 v9, -1, v9
	v_cmp_eq_u32_e32 vcc, 0, v9
	s_or_b64 s[36:37], vcc, s[36:37]
	s_waitcnt lgkmcnt(0)
	v_pk_mul_f32 v[14:15], v[2:3], v[14:15]
	ds_write2st64_b32 v11, v14, v15 offset1:2
	v_add_u32_e32 v11, 0x400, v11
	s_andn2_b64 exec, exec, s[36:37]
	s_cbranch_execnz .LBB148_33
.LBB148_34:
	s_or_b64 exec, exec, s[12:13]
	v_add_u32_e32 v6, 1, v6
	v_and_b32_e32 v9, 0x3fffffe, v6
	v_cmp_ne_u32_e32 vcc, v6, v9
	v_lshl_add_u32 v3, v9, 7, v0
	s_orn2_b64 s[12:13], vcc, exec
.LBB148_35:
	s_or_b64 exec, exec, s[10:11]
	s_and_b64 exec, exec, s[12:13]
	s_cbranch_execz .LBB148_38
; %bb.36:
	v_mov_b32_e32 v6, 0xf0
	v_lshl_add_u32 v6, v3, 2, v6
	s_mov_b64 s[10:11], 0
.LBB148_37:                             ; =>This Inner Loop Header: Depth=1
	ds_read_b32 v9, v6
	v_add_u32_e32 v3, 0x80, v3
	v_cmp_le_i32_e32 vcc, s16, v3
	s_or_b64 s[10:11], vcc, s[10:11]
	s_waitcnt lgkmcnt(0)
	v_mul_f32_e32 v9, v2, v9
	ds_write_b32 v6, v9
	v_add_u32_e32 v6, 0x200, v6
	s_andn2_b64 exec, exec, s[10:11]
	s_cbranch_execnz .LBB148_37
.LBB148_38:
	s_or_b64 exec, exec, s[0:1]
	s_mul_i32 s0, s15, s26
	v_cmp_eq_u32_e32 vcc, 0, v0
	s_mul_i32 s10, s0, s5
	s_waitcnt lgkmcnt(0)
	s_barrier
	s_and_saveexec_b64 s[0:1], vcc
	s_cbranch_execz .LBB148_40
; %bb.39:
	s_ashr_i32 s11, s10, 31
	s_lshl_b64 s[12:13], s[10:11], 2
	s_add_u32 s5, s22, s12
	s_mul_i32 s22, s15, s2
	s_addc_u32 s11, s23, s13
	s_ashr_i32 s23, s22, 31
	s_lshl_b64 s[22:23], s[22:23], 2
	s_add_u32 s2, s5, s22
	s_addc_u32 s11, s11, s23
	s_ashr_i32 s5, s4, 31
	s_lshl_b64 s[36:37], s[4:5], 2
	s_add_u32 s38, s2, s36
	s_addc_u32 s39, s11, s37
	s_add_u32 s2, s20, s12
	s_addc_u32 s5, s21, s13
	;; [unrolled: 2-line block ×3, first 2 shown]
	s_add_u32 s12, s2, s36
	v_mov_b32_e32 v2, 0
	s_addc_u32 s13, s5, s37
	global_store_dword v2, v4, s[38:39]
	global_store_dword v2, v5, s[12:13]
.LBB148_40:
	s_or_b64 exec, exec, s[0:1]
	v_mov_b32_e32 v15, 0
	v_mov_b32_e32 v6, v15
	s_and_saveexec_b64 s[12:13], s[6:7]
	s_cbranch_execz .LBB148_146
; %bb.41:
	s_ashr_i32 s19, s18, 31
	s_lshl_b64 s[0:1], s[18:19], 1
	s_add_u32 s6, s34, s0
	v_or_b32_e32 v3, 64, v1
	s_movk_i32 s0, 0x70
	s_addc_u32 s7, s35, s1
	s_add_i32 s11, s3, -1
	v_cmp_gt_u32_e32 vcc, s0, v3
	s_lshl_b64 s[0:1], s[30:31], 2
	s_add_u32 s0, s28, s0
	v_lshlrev_b32_e32 v2, 3, v1
	v_mov_b32_e32 v17, 0
	v_lshlrev_b32_e32 v4, 3, v3
	v_mov_b32_e32 v3, 0xf0
	s_addc_u32 s1, s29, s1
	s_mov_b32 s5, s17
	v_add3_u32 v11, s42, v8, 7
	v_lshl_add_u32 v22, v7, 5, v3
	v_lshl_add_u64 v[18:19], v[12:13], 2, s[0:1]
	s_mov_b64 s[16:17], 0
	s_mov_b32 s22, 0x7f800000
	s_movk_i32 s23, 0x7fff
	v_lshlrev_b32_e32 v16, 1, v2
	v_lshlrev_b32_e32 v20, 1, v4
	v_mov_b32_e32 v14, v17
	v_mov_b32_e32 v15, v17
	s_branch .LBB148_44
.LBB148_42:                             ;   in Loop: Header=BB148_44 Depth=1
	s_or_b64 exec, exec, s[2:3]
	v_and_b32_e32 v24, 0xffff0000, v9
	v_and_b32_e32 v9, 0xffff0000, v13
	;; [unrolled: 1-line block ×5, first 2 shown]
	v_pk_add_f32 v[2:3], v[2:3], v[8:9]
	v_and_b32_e32 v25, 0xffff0000, v21
	v_and_b32_e32 v5, 0xffff0000, v5
	;; [unrolled: 1-line block ×3, first 2 shown]
	v_mov_b32_e32 v8, v3
	v_pk_add_f32 v[2:3], v[2:3], v[8:9]
	v_pk_add_f32 v[4:5], v[4:5], v[24:25]
	s_nop 0
	v_pk_add_f32 v[2:3], v[2:3], v[4:5]
	v_mov_b32_e32 v4, v5
	v_pk_add_f32 v[2:3], v[2:3], v[4:5]
	s_nop 0
	v_mov_b32_e32 v3, v2
	v_pk_add_f32 v[14:15], v[14:15], v[2:3]
.LBB148_43:                             ;   in Loop: Header=BB148_44 Depth=1
	s_or_b64 exec, exec, s[18:19]
	v_add_u32_e32 v12, 2, v12
	v_cmp_le_i32_e64 s[0:1], s33, v12
	v_add_u32_e32 v11, 16, v11
	v_add_u32_e32 v22, 64, v22
	v_lshl_add_u64 v[18:19], v[18:19], 0, 8
	s_or_b64 s[16:17], s[0:1], s[16:17]
	v_mov_b32_e32 v14, v6
	s_andn2_b64 exec, exec, s[16:17]
	s_cbranch_execz .LBB148_145
.LBB148_44:                             ; =>This Inner Loop Header: Depth=1
	global_load_dword v13, v[18:19], off
	ds_read2_b64 v[6:9], v22 offset1:1
	ds_read2_b64 v[2:5], v22 offset0:2 offset1:3
                                        ; implicit-def: $vgpr23
	s_waitcnt lgkmcnt(1)
	v_and_b32_e32 v21, 0x7f800000, v6
	v_cmp_ne_u32_e64 s[0:1], s22, v21
	s_and_saveexec_b64 s[2:3], s[0:1]
	s_xor_b64 s[0:1], exec, s[2:3]
; %bb.45:                               ;   in Loop: Header=BB148_44 Depth=1
	v_bfe_u32 v21, v6, 16, 1
	v_add3_u32 v23, v6, v21, s23
; %bb.46:                               ;   in Loop: Header=BB148_44 Depth=1
	s_andn2_saveexec_b64 s[2:3], s[0:1]
; %bb.47:                               ;   in Loop: Header=BB148_44 Depth=1
	v_or_b32_e32 v21, 0x10000, v6
	v_cmp_eq_u32_sdwa s[0:1], v6, v17 src0_sel:WORD_0 src1_sel:DWORD
	s_nop 1
	v_cndmask_b32_e64 v23, v21, v6, s[0:1]
; %bb.48:                               ;   in Loop: Header=BB148_44 Depth=1
	s_or_b64 exec, exec, s[2:3]
	v_and_b32_e32 v6, 0x7f800000, v7
	v_cmp_ne_u32_e64 s[0:1], s22, v6
                                        ; implicit-def: $vgpr24
	s_and_saveexec_b64 s[2:3], s[0:1]
	s_xor_b64 s[0:1], exec, s[2:3]
; %bb.49:                               ;   in Loop: Header=BB148_44 Depth=1
	v_bfe_u32 v6, v7, 16, 1
	v_add3_u32 v24, v7, v6, s23
; %bb.50:                               ;   in Loop: Header=BB148_44 Depth=1
	s_andn2_saveexec_b64 s[2:3], s[0:1]
; %bb.51:                               ;   in Loop: Header=BB148_44 Depth=1
	v_or_b32_e32 v6, 0x10000, v7
	v_cmp_eq_u32_sdwa s[0:1], v7, v17 src0_sel:WORD_0 src1_sel:DWORD
	s_nop 1
	v_cndmask_b32_e64 v24, v6, v7, s[0:1]
; %bb.52:                               ;   in Loop: Header=BB148_44 Depth=1
	s_or_b64 exec, exec, s[2:3]
	v_and_b32_e32 v6, 0x7f800000, v8
	v_cmp_ne_u32_e64 s[0:1], s22, v6
                                        ; implicit-def: $vgpr25
	s_and_saveexec_b64 s[2:3], s[0:1]
	s_xor_b64 s[0:1], exec, s[2:3]
; %bb.53:                               ;   in Loop: Header=BB148_44 Depth=1
	v_bfe_u32 v6, v8, 16, 1
	v_add3_u32 v25, v8, v6, s23
; %bb.54:                               ;   in Loop: Header=BB148_44 Depth=1
	s_andn2_saveexec_b64 s[2:3], s[0:1]
; %bb.55:                               ;   in Loop: Header=BB148_44 Depth=1
	v_or_b32_e32 v6, 0x10000, v8
	v_cmp_eq_u32_sdwa s[0:1], v8, v17 src0_sel:WORD_0 src1_sel:DWORD
	s_nop 1
	v_cndmask_b32_e64 v25, v6, v8, s[0:1]
; %bb.56:                               ;   in Loop: Header=BB148_44 Depth=1
	s_or_b64 exec, exec, s[2:3]
	v_and_b32_e32 v6, 0x7f800000, v9
	v_cmp_ne_u32_e64 s[0:1], s22, v6
                                        ; implicit-def: $vgpr26
	s_and_saveexec_b64 s[2:3], s[0:1]
	s_xor_b64 s[0:1], exec, s[2:3]
; %bb.57:                               ;   in Loop: Header=BB148_44 Depth=1
	v_bfe_u32 v6, v9, 16, 1
	v_add3_u32 v26, v9, v6, s23
                                        ; implicit-def: $vgpr6_vgpr7_vgpr8_vgpr9
; %bb.58:                               ;   in Loop: Header=BB148_44 Depth=1
	s_andn2_saveexec_b64 s[2:3], s[0:1]
; %bb.59:                               ;   in Loop: Header=BB148_44 Depth=1
	v_or_b32_e32 v6, 0x10000, v9
	v_cmp_eq_u32_sdwa s[0:1], v9, v17 src0_sel:WORD_0 src1_sel:DWORD
	s_nop 1
	v_cndmask_b32_e64 v26, v6, v9, s[0:1]
; %bb.60:                               ;   in Loop: Header=BB148_44 Depth=1
	s_or_b64 exec, exec, s[2:3]
	s_waitcnt lgkmcnt(0)
	v_and_b32_e32 v6, 0x7f800000, v2
	v_cmp_ne_u32_e64 s[0:1], s22, v6
                                        ; implicit-def: $vgpr27
	s_and_saveexec_b64 s[2:3], s[0:1]
	s_xor_b64 s[0:1], exec, s[2:3]
; %bb.61:                               ;   in Loop: Header=BB148_44 Depth=1
	v_bfe_u32 v6, v2, 16, 1
	v_add3_u32 v27, v2, v6, s23
; %bb.62:                               ;   in Loop: Header=BB148_44 Depth=1
	s_andn2_saveexec_b64 s[2:3], s[0:1]
; %bb.63:                               ;   in Loop: Header=BB148_44 Depth=1
	v_or_b32_e32 v6, 0x10000, v2
	v_cmp_eq_u32_sdwa s[0:1], v2, v17 src0_sel:WORD_0 src1_sel:DWORD
	s_nop 1
	v_cndmask_b32_e64 v27, v6, v2, s[0:1]
; %bb.64:                               ;   in Loop: Header=BB148_44 Depth=1
	s_or_b64 exec, exec, s[2:3]
	v_and_b32_e32 v2, 0x7f800000, v3
	v_cmp_ne_u32_e64 s[0:1], s22, v2
                                        ; implicit-def: $vgpr21
	s_and_saveexec_b64 s[2:3], s[0:1]
	s_xor_b64 s[0:1], exec, s[2:3]
; %bb.65:                               ;   in Loop: Header=BB148_44 Depth=1
	v_bfe_u32 v2, v3, 16, 1
	v_add3_u32 v21, v3, v2, s23
; %bb.66:                               ;   in Loop: Header=BB148_44 Depth=1
	s_andn2_saveexec_b64 s[2:3], s[0:1]
; %bb.67:                               ;   in Loop: Header=BB148_44 Depth=1
	v_or_b32_e32 v2, 0x10000, v3
	v_cmp_eq_u32_sdwa s[0:1], v3, v17 src0_sel:WORD_0 src1_sel:DWORD
	s_nop 1
	v_cndmask_b32_e64 v21, v2, v3, s[0:1]
; %bb.68:                               ;   in Loop: Header=BB148_44 Depth=1
	s_or_b64 exec, exec, s[2:3]
	v_and_b32_e32 v2, 0x7f800000, v4
	v_cmp_ne_u32_e64 s[0:1], s22, v2
                                        ; implicit-def: $vgpr7
	s_and_saveexec_b64 s[2:3], s[0:1]
	s_xor_b64 s[0:1], exec, s[2:3]
; %bb.69:                               ;   in Loop: Header=BB148_44 Depth=1
	v_bfe_u32 v2, v4, 16, 1
	v_add3_u32 v7, v4, v2, s23
; %bb.70:                               ;   in Loop: Header=BB148_44 Depth=1
	s_andn2_saveexec_b64 s[2:3], s[0:1]
; %bb.71:                               ;   in Loop: Header=BB148_44 Depth=1
	v_or_b32_e32 v2, 0x10000, v4
	v_cmp_eq_u32_sdwa s[0:1], v4, v17 src0_sel:WORD_0 src1_sel:DWORD
	s_nop 1
	v_cndmask_b32_e64 v7, v2, v4, s[0:1]
; %bb.72:                               ;   in Loop: Header=BB148_44 Depth=1
	s_or_b64 exec, exec, s[2:3]
	v_and_b32_e32 v2, 0x7f800000, v5
	v_cmp_ne_u32_e64 s[0:1], s22, v2
                                        ; implicit-def: $vgpr6
	s_and_saveexec_b64 s[2:3], s[0:1]
	s_xor_b64 s[0:1], exec, s[2:3]
; %bb.73:                               ;   in Loop: Header=BB148_44 Depth=1
	v_bfe_u32 v2, v5, 16, 1
	v_add3_u32 v6, v5, v2, s23
                                        ; implicit-def: $vgpr2_vgpr3_vgpr4_vgpr5
; %bb.74:                               ;   in Loop: Header=BB148_44 Depth=1
	s_andn2_saveexec_b64 s[2:3], s[0:1]
; %bb.75:                               ;   in Loop: Header=BB148_44 Depth=1
	v_or_b32_e32 v2, 0x10000, v5
	v_cmp_eq_u32_sdwa s[0:1], v5, v17 src0_sel:WORD_0 src1_sel:DWORD
	s_nop 1
	v_cndmask_b32_e64 v6, v2, v5, s[0:1]
; %bb.76:                               ;   in Loop: Header=BB148_44 Depth=1
	s_or_b64 exec, exec, s[2:3]
	s_waitcnt vmcnt(0)
	v_mad_i64_i32 v[2:3], s[0:1], v13, s5, 0
	v_lshl_add_u64 v[8:9], v[2:3], 1, s[6:7]
	v_lshl_add_u64 v[2:3], v[8:9], 0, v[16:17]
	global_load_dwordx4 v[2:5], v[2:3], off
	v_add_u32_e32 v13, -7, v11
	v_cmp_eq_u32_e64 s[2:3], s11, v12
	s_waitcnt vmcnt(0)
	v_lshrrev_b32_e32 v30, 16, v2
	v_lshrrev_b32_e32 v28, 16, v3
	;; [unrolled: 1-line block ×4, first 2 shown]
	s_and_saveexec_b64 s[18:19], s[2:3]
	s_cbranch_execz .LBB148_78
; %bb.77:                               ;   in Loop: Header=BB148_44 Depth=1
	v_cmp_gt_i32_e64 s[0:1], s27, v13
	v_add_u32_e32 v32, -6, v11
	s_nop 0
	v_cndmask_b32_e64 v2, 0, v2, s[0:1]
	v_cmp_gt_i32_e64 s[0:1], s27, v32
	v_add_u32_e32 v32, -5, v11
	s_nop 0
	v_cndmask_b32_e64 v30, 0, v30, s[0:1]
	;; [unrolled: 4-line block ×6, first 2 shown]
	v_cmp_gt_i32_e64 s[0:1], s27, v32
	s_nop 1
	v_cndmask_b32_e64 v5, 0, v5, s[0:1]
	v_cmp_gt_i32_e64 s[0:1], s27, v11
	s_nop 1
	v_cndmask_b32_e64 v31, 0, v31, s[0:1]
.LBB148_78:                             ;   in Loop: Header=BB148_44 Depth=1
	s_or_b64 exec, exec, s[18:19]
	v_and_b32_e32 v23, 0xffff0000, v23
	v_lshlrev_b32_e32 v2, 16, v2
	v_mul_f32_e32 v32, v23, v2
	v_and_b32_e32 v2, 0x7f800000, v32
	v_cmp_ne_u32_e64 s[0:1], s22, v2
                                        ; implicit-def: $vgpr2
	s_and_saveexec_b64 s[18:19], s[0:1]
	s_xor_b64 s[0:1], exec, s[18:19]
; %bb.79:                               ;   in Loop: Header=BB148_44 Depth=1
	v_bfe_u32 v2, v32, 16, 1
	v_add3_u32 v2, v32, v2, s23
                                        ; implicit-def: $vgpr32
; %bb.80:                               ;   in Loop: Header=BB148_44 Depth=1
	s_andn2_saveexec_b64 s[18:19], s[0:1]
; %bb.81:                               ;   in Loop: Header=BB148_44 Depth=1
	v_or_b32_e32 v2, 0x10000, v32
	v_cmp_eq_u32_sdwa s[0:1], v32, v17 src0_sel:WORD_0 src1_sel:DWORD
	s_nop 1
	v_cndmask_b32_e64 v2, v2, v32, s[0:1]
; %bb.82:                               ;   in Loop: Header=BB148_44 Depth=1
	s_or_b64 exec, exec, s[18:19]
	v_and_b32_e32 v24, 0xffff0000, v24
	v_lshlrev_b32_e32 v30, 16, v30
	v_mul_f32_e32 v30, v24, v30
	v_and_b32_e32 v32, 0x7f800000, v30
	v_cmp_ne_u32_e64 s[0:1], s22, v32
                                        ; implicit-def: $vgpr32
	s_and_saveexec_b64 s[18:19], s[0:1]
	s_xor_b64 s[0:1], exec, s[18:19]
; %bb.83:                               ;   in Loop: Header=BB148_44 Depth=1
	v_bfe_u32 v32, v30, 16, 1
	v_add3_u32 v32, v30, v32, s23
                                        ; implicit-def: $vgpr30
; %bb.84:                               ;   in Loop: Header=BB148_44 Depth=1
	s_andn2_saveexec_b64 s[18:19], s[0:1]
; %bb.85:                               ;   in Loop: Header=BB148_44 Depth=1
	v_or_b32_e32 v32, 0x10000, v30
	v_cmp_eq_u32_sdwa s[0:1], v30, v17 src0_sel:WORD_0 src1_sel:DWORD
	s_nop 1
	v_cndmask_b32_e64 v32, v32, v30, s[0:1]
; %bb.86:                               ;   in Loop: Header=BB148_44 Depth=1
	s_or_b64 exec, exec, s[18:19]
	v_and_b32_e32 v25, 0xffff0000, v25
	v_lshlrev_b32_e32 v3, 16, v3
	v_mul_f32_e32 v30, v25, v3
	v_and_b32_e32 v3, 0x7f800000, v30
	v_cmp_ne_u32_e64 s[0:1], s22, v3
                                        ; implicit-def: $vgpr3
	s_and_saveexec_b64 s[18:19], s[0:1]
	s_xor_b64 s[0:1], exec, s[18:19]
; %bb.87:                               ;   in Loop: Header=BB148_44 Depth=1
	v_bfe_u32 v3, v30, 16, 1
	v_add3_u32 v3, v30, v3, s23
                                        ; implicit-def: $vgpr30
; %bb.88:                               ;   in Loop: Header=BB148_44 Depth=1
	s_andn2_saveexec_b64 s[18:19], s[0:1]
; %bb.89:                               ;   in Loop: Header=BB148_44 Depth=1
	v_or_b32_e32 v3, 0x10000, v30
	v_cmp_eq_u32_sdwa s[0:1], v30, v17 src0_sel:WORD_0 src1_sel:DWORD
	s_nop 1
	v_cndmask_b32_e64 v3, v3, v30, s[0:1]
; %bb.90:                               ;   in Loop: Header=BB148_44 Depth=1
	s_or_b64 exec, exec, s[18:19]
	v_and_b32_e32 v26, 0xffff0000, v26
	v_lshlrev_b32_e32 v28, 16, v28
	v_mul_f32_e32 v28, v26, v28
	v_and_b32_e32 v30, 0x7f800000, v28
	v_cmp_ne_u32_e64 s[0:1], s22, v30
                                        ; implicit-def: $vgpr33
	s_and_saveexec_b64 s[18:19], s[0:1]
	s_xor_b64 s[0:1], exec, s[18:19]
; %bb.91:                               ;   in Loop: Header=BB148_44 Depth=1
	v_bfe_u32 v30, v28, 16, 1
	v_add3_u32 v33, v28, v30, s23
                                        ; implicit-def: $vgpr28
; %bb.92:                               ;   in Loop: Header=BB148_44 Depth=1
	s_andn2_saveexec_b64 s[18:19], s[0:1]
; %bb.93:                               ;   in Loop: Header=BB148_44 Depth=1
	v_or_b32_e32 v30, 0x10000, v28
	v_cmp_eq_u32_sdwa s[0:1], v28, v17 src0_sel:WORD_0 src1_sel:DWORD
	s_nop 1
	v_cndmask_b32_e64 v33, v30, v28, s[0:1]
; %bb.94:                               ;   in Loop: Header=BB148_44 Depth=1
	s_or_b64 exec, exec, s[18:19]
	v_and_b32_e32 v27, 0xffff0000, v27
	v_lshlrev_b32_e32 v4, 16, v4
	v_mul_f32_e32 v28, v27, v4
	v_and_b32_e32 v4, 0x7f800000, v28
	v_cmp_ne_u32_e64 s[0:1], s22, v4
                                        ; implicit-def: $vgpr4
	s_and_saveexec_b64 s[18:19], s[0:1]
	s_xor_b64 s[0:1], exec, s[18:19]
; %bb.95:                               ;   in Loop: Header=BB148_44 Depth=1
	v_bfe_u32 v4, v28, 16, 1
	v_add3_u32 v4, v28, v4, s23
                                        ; implicit-def: $vgpr28
; %bb.96:                               ;   in Loop: Header=BB148_44 Depth=1
	s_andn2_saveexec_b64 s[18:19], s[0:1]
; %bb.97:                               ;   in Loop: Header=BB148_44 Depth=1
	v_or_b32_e32 v4, 0x10000, v28
	v_cmp_eq_u32_sdwa s[0:1], v28, v17 src0_sel:WORD_0 src1_sel:DWORD
	s_nop 1
	v_cndmask_b32_e64 v4, v4, v28, s[0:1]
; %bb.98:                               ;   in Loop: Header=BB148_44 Depth=1
	s_or_b64 exec, exec, s[18:19]
	v_and_b32_e32 v28, 0xffff0000, v21
	v_lshlrev_b32_e32 v21, 16, v29
	v_mul_f32_e32 v29, v28, v21
	v_and_b32_e32 v21, 0x7f800000, v29
	v_cmp_ne_u32_e64 s[0:1], s22, v21
                                        ; implicit-def: $vgpr21
	s_and_saveexec_b64 s[18:19], s[0:1]
	s_xor_b64 s[0:1], exec, s[18:19]
; %bb.99:                               ;   in Loop: Header=BB148_44 Depth=1
	v_bfe_u32 v21, v29, 16, 1
	v_add3_u32 v21, v29, v21, s23
                                        ; implicit-def: $vgpr29
; %bb.100:                              ;   in Loop: Header=BB148_44 Depth=1
	s_andn2_saveexec_b64 s[18:19], s[0:1]
; %bb.101:                              ;   in Loop: Header=BB148_44 Depth=1
	v_or_b32_e32 v21, 0x10000, v29
	v_cmp_eq_u32_sdwa s[0:1], v29, v17 src0_sel:WORD_0 src1_sel:DWORD
	s_nop 1
	v_cndmask_b32_e64 v21, v21, v29, s[0:1]
; %bb.102:                              ;   in Loop: Header=BB148_44 Depth=1
	s_or_b64 exec, exec, s[18:19]
	v_and_b32_e32 v29, 0xffff0000, v7
	v_lshlrev_b32_e32 v5, 16, v5
	v_mul_f32_e32 v7, v29, v5
	v_and_b32_e32 v5, 0x7f800000, v7
	v_cmp_ne_u32_e64 s[0:1], s22, v5
                                        ; implicit-def: $vgpr5
	s_and_saveexec_b64 s[18:19], s[0:1]
	s_xor_b64 s[0:1], exec, s[18:19]
; %bb.103:                              ;   in Loop: Header=BB148_44 Depth=1
	v_bfe_u32 v5, v7, 16, 1
	v_add3_u32 v5, v7, v5, s23
                                        ; implicit-def: $vgpr7
; %bb.104:                              ;   in Loop: Header=BB148_44 Depth=1
	s_andn2_saveexec_b64 s[18:19], s[0:1]
; %bb.105:                              ;   in Loop: Header=BB148_44 Depth=1
	v_or_b32_e32 v5, 0x10000, v7
	v_cmp_eq_u32_sdwa s[0:1], v7, v17 src0_sel:WORD_0 src1_sel:DWORD
	s_nop 1
	v_cndmask_b32_e64 v5, v5, v7, s[0:1]
; %bb.106:                              ;   in Loop: Header=BB148_44 Depth=1
	s_or_b64 exec, exec, s[18:19]
	v_and_b32_e32 v30, 0xffff0000, v6
	v_lshlrev_b32_e32 v6, 16, v31
	v_mul_f32_e32 v6, v30, v6
	v_and_b32_e32 v7, 0x7f800000, v6
	v_cmp_ne_u32_e64 s[0:1], s22, v7
                                        ; implicit-def: $vgpr7
	s_and_saveexec_b64 s[18:19], s[0:1]
	s_xor_b64 s[0:1], exec, s[18:19]
; %bb.107:                              ;   in Loop: Header=BB148_44 Depth=1
	v_bfe_u32 v7, v6, 16, 1
	v_add3_u32 v7, v6, v7, s23
                                        ; implicit-def: $vgpr6
; %bb.108:                              ;   in Loop: Header=BB148_44 Depth=1
	s_andn2_saveexec_b64 s[18:19], s[0:1]
; %bb.109:                              ;   in Loop: Header=BB148_44 Depth=1
	v_or_b32_e32 v7, 0x10000, v6
	v_cmp_eq_u32_sdwa s[0:1], v6, v17 src0_sel:WORD_0 src1_sel:DWORD
	s_nop 1
	v_cndmask_b32_e64 v7, v7, v6, s[0:1]
; %bb.110:                              ;   in Loop: Header=BB148_44 Depth=1
	s_or_b64 exec, exec, s[18:19]
	v_and_b32_e32 v33, 0xffff0000, v33
	v_and_b32_e32 v32, 0xffff0000, v32
	;; [unrolled: 1-line block ×4, first 2 shown]
	v_pk_add_f32 v[2:3], v[2:3], v[32:33]
	v_and_b32_e32 v7, 0xffff0000, v7
	v_and_b32_e32 v6, 0xffff0000, v21
	;; [unrolled: 1-line block ×4, first 2 shown]
	v_mov_b32_e32 v32, v3
	v_pk_add_f32 v[2:3], v[2:3], v[32:33]
	v_pk_add_f32 v[4:5], v[4:5], v[6:7]
	s_nop 0
	v_pk_add_f32 v[2:3], v[2:3], v[4:5]
	v_mov_b32_e32 v4, v5
	v_pk_add_f32 v[2:3], v[2:3], v[4:5]
	s_nop 0
	v_pk_add_f32 v[6:7], v[14:15], v[2:3]
	s_and_saveexec_b64 s[18:19], vcc
	s_cbranch_execz .LBB148_43
; %bb.111:                              ;   in Loop: Header=BB148_44 Depth=1
	v_mov_b32_e32 v21, v17
	v_lshl_add_u64 v[2:3], v[8:9], 0, v[20:21]
	global_load_dwordx4 v[2:5], v[2:3], off
	s_waitcnt vmcnt(0)
	v_lshrrev_b32_e32 v8, 16, v2
	v_lshrrev_b32_e32 v21, 16, v3
	;; [unrolled: 1-line block ×4, first 2 shown]
	s_and_saveexec_b64 s[20:21], s[2:3]
	s_cbranch_execz .LBB148_113
; %bb.112:                              ;   in Loop: Header=BB148_44 Depth=1
	v_cmp_gt_i32_e64 s[0:1], s27, v13
	v_add_u32_e32 v13, -6, v11
	s_nop 0
	v_cndmask_b32_e64 v2, 0, v2, s[0:1]
	v_cmp_gt_i32_e64 s[0:1], s27, v13
	v_add_u32_e32 v13, -5, v11
	s_nop 0
	v_cndmask_b32_e64 v8, 0, v8, s[0:1]
	;; [unrolled: 4-line block ×6, first 2 shown]
	v_cmp_gt_i32_e64 s[0:1], s27, v13
	s_nop 1
	v_cndmask_b32_e64 v5, 0, v5, s[0:1]
	v_cmp_gt_i32_e64 s[0:1], s27, v11
	s_nop 1
	v_cndmask_b32_e64 v7, 0, v7, s[0:1]
.LBB148_113:                            ;   in Loop: Header=BB148_44 Depth=1
	s_or_b64 exec, exec, s[20:21]
	v_lshlrev_b32_e32 v2, 16, v2
	v_mul_f32_e32 v13, v23, v2
	v_and_b32_e32 v2, 0x7f800000, v13
	v_cmp_ne_u32_e64 s[0:1], s22, v2
                                        ; implicit-def: $vgpr2
	s_and_saveexec_b64 s[2:3], s[0:1]
	s_xor_b64 s[0:1], exec, s[2:3]
; %bb.114:                              ;   in Loop: Header=BB148_44 Depth=1
	v_bfe_u32 v2, v13, 16, 1
	v_add3_u32 v2, v13, v2, s23
                                        ; implicit-def: $vgpr13
; %bb.115:                              ;   in Loop: Header=BB148_44 Depth=1
	s_andn2_saveexec_b64 s[2:3], s[0:1]
; %bb.116:                              ;   in Loop: Header=BB148_44 Depth=1
	v_or_b32_e32 v2, 0x10000, v13
	v_cmp_eq_u32_sdwa s[0:1], v13, v17 src0_sel:WORD_0 src1_sel:DWORD
	s_nop 1
	v_cndmask_b32_e64 v2, v2, v13, s[0:1]
; %bb.117:                              ;   in Loop: Header=BB148_44 Depth=1
	s_or_b64 exec, exec, s[2:3]
	v_lshlrev_b32_e32 v8, 16, v8
	v_mul_f32_e32 v13, v24, v8
	v_and_b32_e32 v8, 0x7f800000, v13
	v_cmp_ne_u32_e64 s[0:1], s22, v8
                                        ; implicit-def: $vgpr8
	s_and_saveexec_b64 s[2:3], s[0:1]
	s_xor_b64 s[0:1], exec, s[2:3]
; %bb.118:                              ;   in Loop: Header=BB148_44 Depth=1
	v_bfe_u32 v8, v13, 16, 1
	v_add3_u32 v8, v13, v8, s23
                                        ; implicit-def: $vgpr13
; %bb.119:                              ;   in Loop: Header=BB148_44 Depth=1
	s_andn2_saveexec_b64 s[2:3], s[0:1]
; %bb.120:                              ;   in Loop: Header=BB148_44 Depth=1
	v_or_b32_e32 v8, 0x10000, v13
	v_cmp_eq_u32_sdwa s[0:1], v13, v17 src0_sel:WORD_0 src1_sel:DWORD
	s_nop 1
	v_cndmask_b32_e64 v8, v8, v13, s[0:1]
; %bb.121:                              ;   in Loop: Header=BB148_44 Depth=1
	s_or_b64 exec, exec, s[2:3]
	v_lshlrev_b32_e32 v3, 16, v3
	v_mul_f32_e32 v13, v25, v3
	v_and_b32_e32 v3, 0x7f800000, v13
	v_cmp_ne_u32_e64 s[0:1], s22, v3
                                        ; implicit-def: $vgpr3
	s_and_saveexec_b64 s[2:3], s[0:1]
	s_xor_b64 s[0:1], exec, s[2:3]
; %bb.122:                              ;   in Loop: Header=BB148_44 Depth=1
	v_bfe_u32 v3, v13, 16, 1
	v_add3_u32 v3, v13, v3, s23
                                        ; implicit-def: $vgpr13
; %bb.123:                              ;   in Loop: Header=BB148_44 Depth=1
	s_andn2_saveexec_b64 s[2:3], s[0:1]
; %bb.124:                              ;   in Loop: Header=BB148_44 Depth=1
	v_or_b32_e32 v3, 0x10000, v13
	v_cmp_eq_u32_sdwa s[0:1], v13, v17 src0_sel:WORD_0 src1_sel:DWORD
	s_nop 1
	v_cndmask_b32_e64 v3, v3, v13, s[0:1]
; %bb.125:                              ;   in Loop: Header=BB148_44 Depth=1
	s_or_b64 exec, exec, s[2:3]
	v_lshlrev_b32_e32 v13, 16, v21
	v_mul_f32_e32 v21, v26, v13
	v_and_b32_e32 v13, 0x7f800000, v21
	v_cmp_ne_u32_e64 s[0:1], s22, v13
                                        ; implicit-def: $vgpr13
	s_and_saveexec_b64 s[2:3], s[0:1]
	s_xor_b64 s[0:1], exec, s[2:3]
; %bb.126:                              ;   in Loop: Header=BB148_44 Depth=1
	v_bfe_u32 v13, v21, 16, 1
	v_add3_u32 v13, v21, v13, s23
                                        ; implicit-def: $vgpr21
; %bb.127:                              ;   in Loop: Header=BB148_44 Depth=1
	s_andn2_saveexec_b64 s[2:3], s[0:1]
; %bb.128:                              ;   in Loop: Header=BB148_44 Depth=1
	v_or_b32_e32 v13, 0x10000, v21
	v_cmp_eq_u32_sdwa s[0:1], v21, v17 src0_sel:WORD_0 src1_sel:DWORD
	s_nop 1
	v_cndmask_b32_e64 v13, v13, v21, s[0:1]
; %bb.129:                              ;   in Loop: Header=BB148_44 Depth=1
	s_or_b64 exec, exec, s[2:3]
	v_lshlrev_b32_e32 v4, 16, v4
	v_mul_f32_e32 v21, v27, v4
	v_and_b32_e32 v4, 0x7f800000, v21
	v_cmp_ne_u32_e64 s[0:1], s22, v4
                                        ; implicit-def: $vgpr4
	s_and_saveexec_b64 s[2:3], s[0:1]
	s_xor_b64 s[0:1], exec, s[2:3]
; %bb.130:                              ;   in Loop: Header=BB148_44 Depth=1
	v_bfe_u32 v4, v21, 16, 1
	v_add3_u32 v4, v21, v4, s23
                                        ; implicit-def: $vgpr21
; %bb.131:                              ;   in Loop: Header=BB148_44 Depth=1
	s_andn2_saveexec_b64 s[2:3], s[0:1]
; %bb.132:                              ;   in Loop: Header=BB148_44 Depth=1
	v_or_b32_e32 v4, 0x10000, v21
	v_cmp_eq_u32_sdwa s[0:1], v21, v17 src0_sel:WORD_0 src1_sel:DWORD
	s_nop 1
	v_cndmask_b32_e64 v4, v4, v21, s[0:1]
; %bb.133:                              ;   in Loop: Header=BB148_44 Depth=1
	s_or_b64 exec, exec, s[2:3]
	v_lshlrev_b32_e32 v9, 16, v9
	v_mul_f32_e32 v21, v28, v9
	v_and_b32_e32 v9, 0x7f800000, v21
	v_cmp_ne_u32_e64 s[0:1], s22, v9
                                        ; implicit-def: $vgpr9
	s_and_saveexec_b64 s[2:3], s[0:1]
	s_xor_b64 s[0:1], exec, s[2:3]
; %bb.134:                              ;   in Loop: Header=BB148_44 Depth=1
	v_bfe_u32 v9, v21, 16, 1
	v_add3_u32 v9, v21, v9, s23
                                        ; implicit-def: $vgpr21
; %bb.135:                              ;   in Loop: Header=BB148_44 Depth=1
	s_andn2_saveexec_b64 s[2:3], s[0:1]
; %bb.136:                              ;   in Loop: Header=BB148_44 Depth=1
	v_or_b32_e32 v9, 0x10000, v21
	v_cmp_eq_u32_sdwa s[0:1], v21, v17 src0_sel:WORD_0 src1_sel:DWORD
	s_nop 1
	v_cndmask_b32_e64 v9, v9, v21, s[0:1]
; %bb.137:                              ;   in Loop: Header=BB148_44 Depth=1
	s_or_b64 exec, exec, s[2:3]
	v_lshlrev_b32_e32 v5, 16, v5
	v_mul_f32_e32 v21, v29, v5
	v_and_b32_e32 v5, 0x7f800000, v21
	v_cmp_ne_u32_e64 s[0:1], s22, v5
                                        ; implicit-def: $vgpr5
	s_and_saveexec_b64 s[2:3], s[0:1]
	s_xor_b64 s[0:1], exec, s[2:3]
; %bb.138:                              ;   in Loop: Header=BB148_44 Depth=1
	v_bfe_u32 v5, v21, 16, 1
	v_add3_u32 v5, v21, v5, s23
                                        ; implicit-def: $vgpr21
; %bb.139:                              ;   in Loop: Header=BB148_44 Depth=1
	s_andn2_saveexec_b64 s[2:3], s[0:1]
; %bb.140:                              ;   in Loop: Header=BB148_44 Depth=1
	v_or_b32_e32 v5, 0x10000, v21
	v_cmp_eq_u32_sdwa s[0:1], v21, v17 src0_sel:WORD_0 src1_sel:DWORD
	s_nop 1
	v_cndmask_b32_e64 v5, v5, v21, s[0:1]
; %bb.141:                              ;   in Loop: Header=BB148_44 Depth=1
	s_or_b64 exec, exec, s[2:3]
	v_lshlrev_b32_e32 v7, 16, v7
	v_mul_f32_e32 v7, v30, v7
	v_and_b32_e32 v21, 0x7f800000, v7
	v_cmp_ne_u32_e64 s[0:1], s22, v21
                                        ; implicit-def: $vgpr21
	s_and_saveexec_b64 s[2:3], s[0:1]
	s_xor_b64 s[0:1], exec, s[2:3]
; %bb.142:                              ;   in Loop: Header=BB148_44 Depth=1
	v_bfe_u32 v21, v7, 16, 1
	v_add3_u32 v21, v7, v21, s23
                                        ; implicit-def: $vgpr7
; %bb.143:                              ;   in Loop: Header=BB148_44 Depth=1
	s_andn2_saveexec_b64 s[2:3], s[0:1]
	s_cbranch_execz .LBB148_42
; %bb.144:                              ;   in Loop: Header=BB148_44 Depth=1
	v_or_b32_e32 v21, 0x10000, v7
	v_cmp_eq_u32_sdwa s[0:1], v7, v17 src0_sel:WORD_0 src1_sel:DWORD
	s_nop 1
	v_cndmask_b32_e64 v21, v21, v7, s[0:1]
	s_branch .LBB148_42
.LBB148_145:
	s_or_b64 exec, exec, s[16:17]
.LBB148_146:
	s_or_b64 exec, exec, s[12:13]
	v_and_b32_e32 v2, 0x3c0, v0
	v_cmp_eq_u32_e32 vcc, 64, v2
	s_barrier
	s_and_saveexec_b64 s[0:1], vcc
	s_cbranch_execz .LBB148_149
; %bb.147:
	v_mov_b32_e32 v2, 0xf0
	v_lshl_add_u32 v1, v1, 2, v2
	ds_write_b32 v1, v6
	s_and_b64 exec, exec, s[8:9]
	s_cbranch_execz .LBB148_149
; %bb.148:
	v_lshl_add_u32 v1, v0, 2, v2
	ds_write_b32 v1, v15
.LBB148_149:
	s_or_b64 exec, exec, s[0:1]
	v_cmp_gt_u32_e32 vcc, 64, v0
	v_or_b32_e32 v1, 64, v0
	s_waitcnt lgkmcnt(0)
	s_barrier
	s_and_saveexec_b64 s[2:3], vcc
	s_cbranch_execz .LBB148_153
; %bb.150:
	v_mov_b32_e32 v2, 0xf0
	v_lshl_add_u32 v2, v0, 2, v2
	ds_read_b32 v0, v2
	s_movk_i32 s0, 0x70
	v_cmp_gt_u32_e64 s[0:1], s0, v1
	s_and_saveexec_b64 s[6:7], s[0:1]
	s_cbranch_execz .LBB148_152
; %bb.151:
	ds_read_b32 v2, v2 offset:256
	s_waitcnt lgkmcnt(0)
	v_add_f32_e32 v15, v15, v2
.LBB148_152:
	s_or_b64 exec, exec, s[6:7]
	s_waitcnt lgkmcnt(0)
	v_add_f32_e32 v6, v6, v0
.LBB148_153:
	s_or_b64 exec, exec, s[2:3]
	s_barrier
	s_and_saveexec_b64 s[0:1], vcc
	s_cbranch_execz .LBB148_164
; %bb.154:
	s_mov_b32 s0, 0x7f800000
	v_and_b32_e32 v0, 0x7f800000, v6
	v_cmp_ne_u32_e32 vcc, s0, v0
                                        ; implicit-def: $vgpr0
	s_and_saveexec_b64 s[0:1], vcc
	s_xor_b64 s[0:1], exec, s[0:1]
; %bb.155:
	v_bfe_u32 v0, v6, 16, 1
	s_movk_i32 s2, 0x7fff
	v_add3_u32 v0, v6, v0, s2
                                        ; implicit-def: $vgpr6
; %bb.156:
	s_andn2_saveexec_b64 s[0:1], s[0:1]
; %bb.157:
	v_mov_b32_e32 v0, 0
	v_or_b32_e32 v2, 0x10000, v6
	v_cmp_eq_u32_sdwa vcc, v6, v0 src0_sel:WORD_0 src1_sel:DWORD
	s_nop 1
	v_cndmask_b32_e32 v0, v2, v6, vcc
; %bb.158:
	s_or_b64 exec, exec, s[0:1]
	s_mul_i32 s0, s10, 0x70
	s_ashr_i32 s1, s0, 31
	s_lshl_b64 s[0:1], s[0:1], 1
	s_add_u32 s3, s24, s0
	s_mul_i32 s0, s15, s14
	s_addc_u32 s5, s25, s1
	s_ashr_i32 s1, s0, 31
	s_lshl_b64 s[0:1], s[0:1], 1
	s_add_u32 s3, s3, s0
	s_mul_i32 s0, s4, 0x70
	s_addc_u32 s5, s5, s1
	s_ashr_i32 s1, s0, 31
	s_lshl_b64 s[0:1], s[0:1], 1
	s_movk_i32 s2, 0x70
	s_add_u32 s0, s3, s0
	s_addc_u32 s1, s5, s1
	v_cmp_gt_u32_e32 vcc, s2, v1
	global_store_short_d16_hi v10, v0, s[0:1]
	s_and_b64 exec, exec, vcc
	s_cbranch_execz .LBB148_164
; %bb.159:
	s_mov_b32 s2, 0x7f800000
	v_and_b32_e32 v0, 0x7f800000, v15
	v_mov_b32_e32 v11, 0
	v_cmp_ne_u32_e32 vcc, s2, v0
                                        ; implicit-def: $vgpr2
	s_and_saveexec_b64 s[2:3], vcc
	s_xor_b64 s[2:3], exec, s[2:3]
; %bb.160:
	v_bfe_u32 v0, v15, 16, 1
	s_movk_i32 s4, 0x7fff
	v_add3_u32 v2, v15, v0, s4
                                        ; implicit-def: $vgpr15
; %bb.161:
	s_or_saveexec_b64 s[2:3], s[2:3]
	v_lshl_add_u64 v[0:1], s[0:1], 0, v[10:11]
	s_xor_b64 exec, exec, s[2:3]
; %bb.162:
	v_mov_b32_e32 v2, 0
	v_or_b32_e32 v3, 0x10000, v15
	v_cmp_eq_u32_sdwa vcc, v15, v2 src0_sel:WORD_0 src1_sel:DWORD
	s_nop 1
	v_cndmask_b32_e32 v2, v3, v15, vcc
; %bb.163:
	s_or_b64 exec, exec, s[2:3]
	global_store_short_d16_hi v[0:1], v2, off offset:128
.LBB148_164:
	s_endpgm
	.section	.rodata,"a",@progbits
	.p2align	6, 0x0
	.amdhsa_kernel _ZN4vllm25paged_attention_v2_kernelI14__hip_bfloat16S1_Li112ELi8ELi128ELNS_18Fp8KVCacheDataTypeE0ELb0ELi512EEEvPfS3_PT_PKS4_PKT0_SA_ifPKiSC_iPKfiiiSE_SE_iiiii
		.amdhsa_group_segment_fixed_size 240
		.amdhsa_private_segment_fixed_size 0
		.amdhsa_kernarg_size 400
		.amdhsa_user_sgpr_count 2
		.amdhsa_user_sgpr_dispatch_ptr 0
		.amdhsa_user_sgpr_queue_ptr 0
		.amdhsa_user_sgpr_kernarg_segment_ptr 1
		.amdhsa_user_sgpr_dispatch_id 0
		.amdhsa_user_sgpr_kernarg_preload_length 0
		.amdhsa_user_sgpr_kernarg_preload_offset 0
		.amdhsa_user_sgpr_private_segment_size 0
		.amdhsa_uses_dynamic_stack 0
		.amdhsa_enable_private_segment 0
		.amdhsa_system_sgpr_workgroup_id_x 1
		.amdhsa_system_sgpr_workgroup_id_y 1
		.amdhsa_system_sgpr_workgroup_id_z 1
		.amdhsa_system_sgpr_workgroup_info 0
		.amdhsa_system_vgpr_workitem_id 0
		.amdhsa_next_free_vgpr 49
		.amdhsa_next_free_sgpr 44
		.amdhsa_accum_offset 52
		.amdhsa_reserve_vcc 1
		.amdhsa_float_round_mode_32 0
		.amdhsa_float_round_mode_16_64 0
		.amdhsa_float_denorm_mode_32 3
		.amdhsa_float_denorm_mode_16_64 3
		.amdhsa_dx10_clamp 1
		.amdhsa_ieee_mode 1
		.amdhsa_fp16_overflow 0
		.amdhsa_tg_split 0
		.amdhsa_exception_fp_ieee_invalid_op 0
		.amdhsa_exception_fp_denorm_src 0
		.amdhsa_exception_fp_ieee_div_zero 0
		.amdhsa_exception_fp_ieee_overflow 0
		.amdhsa_exception_fp_ieee_underflow 0
		.amdhsa_exception_fp_ieee_inexact 0
		.amdhsa_exception_int_div_zero 0
	.end_amdhsa_kernel
	.section	.text._ZN4vllm25paged_attention_v2_kernelI14__hip_bfloat16S1_Li112ELi8ELi128ELNS_18Fp8KVCacheDataTypeE0ELb0ELi512EEEvPfS3_PT_PKS4_PKT0_SA_ifPKiSC_iPKfiiiSE_SE_iiiii,"axG",@progbits,_ZN4vllm25paged_attention_v2_kernelI14__hip_bfloat16S1_Li112ELi8ELi128ELNS_18Fp8KVCacheDataTypeE0ELb0ELi512EEEvPfS3_PT_PKS4_PKT0_SA_ifPKiSC_iPKfiiiSE_SE_iiiii,comdat
.Lfunc_end148:
	.size	_ZN4vllm25paged_attention_v2_kernelI14__hip_bfloat16S1_Li112ELi8ELi128ELNS_18Fp8KVCacheDataTypeE0ELb0ELi512EEEvPfS3_PT_PKS4_PKT0_SA_ifPKiSC_iPKfiiiSE_SE_iiiii, .Lfunc_end148-_ZN4vllm25paged_attention_v2_kernelI14__hip_bfloat16S1_Li112ELi8ELi128ELNS_18Fp8KVCacheDataTypeE0ELb0ELi512EEEvPfS3_PT_PKS4_PKT0_SA_ifPKiSC_iPKfiiiSE_SE_iiiii
                                        ; -- End function
	.section	.AMDGPU.csdata,"",@progbits
; Kernel info:
; codeLenInByte = 6456
; NumSgprs: 50
; NumVgprs: 49
; NumAgprs: 0
; TotalNumVgprs: 49
; ScratchSize: 0
; MemoryBound: 0
; FloatMode: 240
; IeeeMode: 1
; LDSByteSize: 240 bytes/workgroup (compile time only)
; SGPRBlocks: 6
; VGPRBlocks: 6
; NumSGPRsForWavesPerEU: 50
; NumVGPRsForWavesPerEU: 49
; AccumOffset: 52
; Occupancy: 8
; WaveLimiterHint : 1
; COMPUTE_PGM_RSRC2:SCRATCH_EN: 0
; COMPUTE_PGM_RSRC2:USER_SGPR: 2
; COMPUTE_PGM_RSRC2:TRAP_HANDLER: 0
; COMPUTE_PGM_RSRC2:TGID_X_EN: 1
; COMPUTE_PGM_RSRC2:TGID_Y_EN: 1
; COMPUTE_PGM_RSRC2:TGID_Z_EN: 1
; COMPUTE_PGM_RSRC2:TIDIG_COMP_CNT: 0
; COMPUTE_PGM_RSRC3_GFX90A:ACCUM_OFFSET: 12
; COMPUTE_PGM_RSRC3_GFX90A:TG_SPLIT: 0
	.section	.text._ZN4vllm25paged_attention_v2_kernelI14__hip_bfloat16S1_Li120ELi8ELi128ELNS_18Fp8KVCacheDataTypeE0ELb0ELi512EEEvPfS3_PT_PKS4_PKT0_SA_ifPKiSC_iPKfiiiSE_SE_iiiii,"axG",@progbits,_ZN4vllm25paged_attention_v2_kernelI14__hip_bfloat16S1_Li120ELi8ELi128ELNS_18Fp8KVCacheDataTypeE0ELb0ELi512EEEvPfS3_PT_PKS4_PKT0_SA_ifPKiSC_iPKfiiiSE_SE_iiiii,comdat
	.protected	_ZN4vllm25paged_attention_v2_kernelI14__hip_bfloat16S1_Li120ELi8ELi128ELNS_18Fp8KVCacheDataTypeE0ELb0ELi512EEEvPfS3_PT_PKS4_PKT0_SA_ifPKiSC_iPKfiiiSE_SE_iiiii ; -- Begin function _ZN4vllm25paged_attention_v2_kernelI14__hip_bfloat16S1_Li120ELi8ELi128ELNS_18Fp8KVCacheDataTypeE0ELb0ELi512EEEvPfS3_PT_PKS4_PKT0_SA_ifPKiSC_iPKfiiiSE_SE_iiiii
	.globl	_ZN4vllm25paged_attention_v2_kernelI14__hip_bfloat16S1_Li120ELi8ELi128ELNS_18Fp8KVCacheDataTypeE0ELb0ELi512EEEvPfS3_PT_PKS4_PKT0_SA_ifPKiSC_iPKfiiiSE_SE_iiiii
	.p2align	8
	.type	_ZN4vllm25paged_attention_v2_kernelI14__hip_bfloat16S1_Li120ELi8ELi128ELNS_18Fp8KVCacheDataTypeE0ELb0ELi512EEEvPfS3_PT_PKS4_PKT0_SA_ifPKiSC_iPKfiiiSE_SE_iiiii,@function
_ZN4vllm25paged_attention_v2_kernelI14__hip_bfloat16S1_Li120ELi8ELi128ELNS_18Fp8KVCacheDataTypeE0ELb0ELi512EEEvPfS3_PT_PKS4_PKT0_SA_ifPKiSC_iPKfiiiSE_SE_iiiii: ; @_ZN4vllm25paged_attention_v2_kernelI14__hip_bfloat16S1_Li120ELi8ELi128ELNS_18Fp8KVCacheDataTypeE0ELb0ELi512EEEvPfS3_PT_PKS4_PKT0_SA_ifPKiSC_iPKfiiiSE_SE_iiiii
; %bb.0:
	s_load_dwordx2 s[6:7], s[0:1], 0x40
	s_mov_b32 s26, s3
	s_ashr_i32 s27, s3, 31
	s_lshl_b64 s[8:9], s[26:27], 2
	s_waitcnt lgkmcnt(0)
	s_add_u32 s6, s6, s8
	s_addc_u32 s7, s7, s9
	s_load_dword s27, s[6:7], 0x0
	s_lshl_b32 s42, s4, 9
	s_waitcnt lgkmcnt(0)
	s_cmp_ge_i32 s42, s27
	s_cbranch_scc1 .LBB149_164
; %bb.1:
	s_load_dword s5, s[0:1], 0x90
	s_load_dwordx2 s[12:13], s[0:1], 0x30
	s_mov_b32 s43, 0
	s_waitcnt lgkmcnt(0)
	s_abs_i32 s7, s5
	s_abs_i32 s3, s12
	v_cvt_f32_u32_e32 v1, s3
	s_sub_i32 s8, 0, s3
	s_xor_b32 s6, s5, s12
	s_ashr_i32 s6, s6, 31
	v_rcp_iflag_f32_e32 v1, v1
	s_nop 0
	v_mul_f32_e32 v1, 0x4f7ffffe, v1
	v_cvt_u32_f32_e32 v1, v1
	s_nop 0
	v_readfirstlane_b32 s9, v1
	s_mul_i32 s8, s8, s9
	s_mul_hi_u32 s8, s9, s8
	s_add_i32 s9, s9, s8
	s_mul_hi_u32 s8, s7, s9
	s_mul_i32 s9, s8, s3
	s_sub_i32 s7, s7, s9
	s_add_i32 s10, s8, 1
	s_sub_i32 s9, s7, s3
	s_cmp_ge_u32 s7, s3
	s_cselect_b32 s8, s10, s8
	s_cselect_b32 s7, s9, s7
	s_add_i32 s9, s8, 1
	s_cmp_ge_u32 s7, s3
	s_cselect_b32 s3, s9, s8
	s_xor_b32 s3, s3, s6
	s_sub_i32 s8, s3, s6
	s_abs_i32 s10, s8
	v_cvt_f32_u32_e32 v1, s10
	s_load_dwordx2 s[6:7], s[0:1], 0x50
	s_sub_i32 s3, 0, s10
	s_abs_i32 s11, s2
	v_rcp_iflag_f32_e32 v1, v1
	s_nop 0
	v_mul_f32_e32 v1, 0x4f7ffffe, v1
	v_cvt_u32_f32_e32 v1, v1
	s_nop 0
	v_readfirstlane_b32 s9, v1
	s_mul_i32 s3, s3, s9
	s_mul_hi_u32 s3, s9, s3
	s_add_i32 s9, s9, s3
	s_waitcnt lgkmcnt(0)
	s_cmp_eq_u64 s[6:7], 0
	s_mul_hi_u32 s20, s11, s9
	s_cbranch_scc1 .LBB149_3
; %bb.2:
	s_ashr_i32 s3, s2, 31
	s_lshl_b64 s[14:15], s[2:3], 2
	s_add_u32 s6, s6, s14
	s_addc_u32 s7, s7, s15
	s_load_dword s43, s[6:7], 0x0
.LBB149_3:
	s_load_dwordx4 s[16:19], s[0:1], 0x58
	s_movk_i32 s3, 0x78
	s_ashr_i32 s21, s2, 31
	s_ashr_i32 s22, s8, 31
	v_and_b32_e32 v4, 7, v0
	s_mul_i32 s14, s2, 0x78
	v_cmp_gt_u32_e64 s[8:9], s3, v0
	v_lshlrev_b32_e32 v10, 1, v0
	s_and_saveexec_b64 s[6:7], s[8:9]
	s_cbranch_execz .LBB149_5
; %bb.4:
	s_load_dwordx2 s[24:25], s[0:1], 0x18
	s_waitcnt lgkmcnt(0)
	s_mul_i32 s28, s26, s16
	s_ashr_i32 s29, s28, 31
	s_lshl_b64 s[28:29], s[28:29], 1
	v_lshrrev_b32_e32 v2, 2, v0
	s_add_u32 s3, s24, s28
	s_addc_u32 s12, s25, s29
	s_ashr_i32 s15, s14, 31
	s_lshl_b64 s[24:25], s[14:15], 1
	s_add_u32 s24, s3, s24
	s_addc_u32 s25, s12, s25
	global_load_ushort v1, v10, s[24:25]
	v_and_b32_e32 v2, 0xfe, v2
	v_mad_u32_u24 v2, v4, 30, v2
	s_waitcnt vmcnt(0)
	ds_write_b16 v2, v1
.LBB149_5:
	s_or_b64 exec, exec, s[6:7]
	s_add_i32 s3, s27, 7
	s_ashr_i32 s6, s3, 31
	s_lshr_b32 s6, s6, 29
	s_add_i32 s3, s3, s6
	s_lshl_b32 s12, s4, 6
	s_mul_i32 s7, s20, s10
	s_ashr_i32 s3, s3, 3
	s_add_i32 s6, s12, 64
	s_sub_i32 s7, s11, s7
	s_min_i32 s33, s6, s3
	s_xor_b32 s6, s21, s22
	s_add_i32 s11, s20, 1
	s_sub_i32 s15, s7, s10
	s_cmp_ge_u32 s7, s10
	s_cselect_b32 s11, s11, s20
	s_cselect_b32 s7, s15, s7
	s_add_i32 s15, s11, 1
	s_cmp_ge_u32 s7, s10
	s_load_dwordx2 s[28:29], s[0:1], 0x38
	s_load_dword s10, s[0:1], 0x48
	v_lshrrev_b32_e32 v7, 6, v0
	s_cselect_b32 s7, s15, s11
	s_xor_b32 s7, s7, s6
	v_or_b32_e32 v12, s12, v7
	s_waitcnt lgkmcnt(0)
	s_mul_i32 s30, s26, s10
	s_sub_i32 s16, s7, s6
	s_ashr_i32 s31, s30, 31
	v_cmp_gt_i32_e64 s[6:7], s33, v12
	v_cmp_le_i32_e32 vcc, s33, v12
	v_mbcnt_lo_u32_b32 v5, -1, 0
	s_barrier
	s_waitcnt lgkmcnt(0)
                                        ; implicit-def: $sgpr19
                                        ; implicit-def: $vgpr6
                                        ; implicit-def: $vgpr9
	s_and_saveexec_b64 s[10:11], vcc
	s_xor_b64 s[10:11], exec, s[10:11]
; %bb.6:
	v_mbcnt_hi_u32_b32 v6, -1, v5
	v_and_b32_e32 v1, 64, v6
	v_add_u32_e32 v9, 64, v1
	s_mov_b32 s19, 0xff7fffff
                                        ; implicit-def: $vgpr4
                                        ; implicit-def: $vgpr5
; %bb.7:
	s_or_saveexec_b64 s[36:37], s[10:11]
	s_load_dwordx4 s[20:23], s[0:1], 0x0
	s_load_dwordx2 s[24:25], s[0:1], 0x10
	s_load_dwordx2 s[34:35], s[0:1], 0x28
	s_load_dword s15, s[0:1], 0x98
	v_mov_b32_e32 v26, s19
	s_mul_i32 s18, s16, s18
	v_ashrrev_i32_e32 v13, 31, v12
	v_lshlrev_b32_e32 v8, 3, v7
	s_xor_b64 exec, exec, s[36:37]
	s_cbranch_execz .LBB149_13
; %bb.8:
	v_mul_u32_u24_e32 v1, 30, v4
	ds_read_b128 v[16:19], v1
	ds_read_b96 v[24:26], v1 offset:16
	ds_read_u16 v6, v1 offset:28
	s_load_dwordx2 s[0:1], s[0:1], 0x20
	s_ashr_i32 s19, s18, 31
	s_lshl_b64 s[10:11], s[18:19], 1
	v_bfe_u32 v32, v0, 3, 3
	s_waitcnt lgkmcnt(0)
	v_lshlrev_b32_e32 v27, 16, v6
	v_mbcnt_hi_u32_b32 v6, -1, v5
	v_and_b32_e32 v5, 64, v6
	v_add_u32_e32 v9, 64, v5
	v_xor_b32_e32 v5, 4, v6
	v_cmp_lt_i32_e32 vcc, v5, v9
	s_add_u32 s0, s0, s10
	s_addc_u32 s1, s1, s11
	v_cndmask_b32_e32 v5, v6, v5, vcc
	v_lshlrev_b32_e32 v28, 2, v5
	v_xor_b32_e32 v5, 2, v6
	v_cmp_lt_i32_e32 vcc, v5, v9
	v_lshlrev_b32_e32 v2, 4, v32
	v_mov_b32_e32 v3, 0
	v_cndmask_b32_e32 v5, v6, v5, vcc
	v_lshlrev_b32_e32 v29, 2, v5
	v_xor_b32_e32 v5, 1, v6
	v_cmp_lt_i32_e32 vcc, v5, v9
	s_sub_i32 s19, 1, s27
	s_lshl_b64 s[10:11], s[30:31], 2
	v_lshl_add_u64 v[14:15], s[0:1], 0, v[2:3]
	v_lshlrev_b32_e32 v2, 1, v4
	v_cndmask_b32_e32 v5, v6, v5, vcc
	v_cmp_eq_u32_e32 vcc, 0, v4
	v_lshlrev_b32_e32 v4, 2, v32
	s_add_u32 s10, s28, s10
	v_lshl_or_b32 v4, v7, 5, v4
	s_addc_u32 s11, s29, s11
	s_mov_b32 s16, s17
	v_lshl_add_u64 v[2:3], v[14:15], 0, v[2:3]
	v_lshlrev_b32_e32 v1, 16, v16
	v_and_b32_e32 v11, 0xffff0000, v16
	v_lshlrev_b32_e32 v14, 16, v17
	v_and_b32_e32 v15, 0xffff0000, v17
	;; [unrolled: 2-line block ×7, first 2 shown]
	v_lshlrev_b32_e32 v30, 2, v5
	v_cmp_neq_f32_e64 s[0:1], s43, 0
	v_add3_u32 v31, s42, v8, v32
	v_add_u32_e32 v32, 0x100, v4
	v_lshl_add_u64 v[4:5], v[12:13], 2, s[10:11]
	s_mov_b64 s[38:39], 0
	v_mov_b32_e32 v26, 0xff7fffff
	v_mov_b32_e32 v33, v12
	s_branch .LBB149_10
.LBB149_9:                              ;   in Loop: Header=BB149_10 Depth=1
	s_or_b64 exec, exec, s[40:41]
	v_add_u32_e32 v33, 2, v33
	v_cmp_le_i32_e64 s[10:11], s33, v33
	v_add_u32_e32 v31, 16, v31
	v_add_u32_e32 v32, 64, v32
	s_or_b64 s[38:39], s[10:11], s[38:39]
	v_lshl_add_u64 v[4:5], v[4:5], 0, 8
	s_andn2_b64 exec, exec, s[38:39]
	s_cbranch_execz .LBB149_12
.LBB149_10:                             ; =>This Inner Loop Header: Depth=1
	global_load_dword v34, v[4:5], off
	s_waitcnt vmcnt(0) lgkmcnt(0)
	v_mad_i64_i32 v[34:35], s[10:11], v34, s16, 0
	v_lshl_add_u64 v[34:35], v[34:35], 1, v[2:3]
	global_load_ushort v36, v[34:35], off
	global_load_ushort v37, v[34:35], off offset:128
	global_load_ushort v38, v[34:35], off offset:256
	;; [unrolled: 1-line block ×14, first 2 shown]
	s_waitcnt vmcnt(14)
	v_lshlrev_b32_e32 v34, 16, v36
	s_waitcnt vmcnt(13)
	v_lshlrev_b32_e32 v35, 16, v37
	v_mul_f32_e32 v35, v11, v35
	s_waitcnt vmcnt(12)
	v_lshlrev_b32_e32 v36, 16, v38
	v_fmac_f32_e32 v35, v1, v34
	s_waitcnt vmcnt(11)
	v_lshlrev_b32_e32 v37, 16, v39
	v_fmac_f32_e32 v35, v14, v36
	;; [unrolled: 3-line block ×12, first 2 shown]
	v_fmac_f32_e32 v35, v25, v47
	s_waitcnt vmcnt(0)
	v_lshlrev_b32_e32 v34, 16, v50
	v_fmac_f32_e32 v35, v27, v34
	ds_bpermute_b32 v34, v28, v35
	s_waitcnt lgkmcnt(0)
	v_add_f32_e32 v34, v35, v34
	ds_bpermute_b32 v35, v29, v34
	s_waitcnt lgkmcnt(0)
	v_add_f32_e32 v34, v34, v35
	ds_bpermute_b32 v35, v30, v34
	s_and_saveexec_b64 s[40:41], vcc
	s_cbranch_execz .LBB149_9
; %bb.11:                               ;   in Loop: Header=BB149_10 Depth=1
	v_add_u32_e32 v36, s19, v31
	v_cvt_f32_i32_e32 v36, v36
	s_waitcnt lgkmcnt(0)
	v_add_f32_e32 v34, v34, v35
	v_cmp_gt_i32_e64 s[10:11], s27, v31
	v_max_f32_e32 v35, v26, v26
	v_mul_f32_e32 v36, s43, v36
	v_cndmask_b32_e64 v36, 0, v36, s[0:1]
	v_fmac_f32_e32 v36, s13, v34
	v_cndmask_b32_e64 v34, 0, v36, s[10:11]
	ds_write_b32 v32, v34
	v_max_f32_e32 v34, v35, v36
	v_cndmask_b32_e64 v26, v26, v34, s[10:11]
	s_branch .LBB149_9
.LBB149_12:
	s_or_b64 exec, exec, s[38:39]
.LBB149_13:
	s_or_b64 exec, exec, s[36:37]
	v_xor_b32_e32 v1, 32, v6
	v_cmp_lt_i32_e32 vcc, v1, v9
	v_xor_b32_e32 v4, 16, v6
	v_max_f32_e32 v2, v26, v26
	v_cndmask_b32_e32 v1, v6, v1, vcc
	v_lshlrev_b32_e32 v3, 2, v1
	ds_bpermute_b32 v1, v3, v26
	v_cmp_lt_i32_e32 vcc, v4, v9
	v_xor_b32_e32 v5, 8, v6
	s_waitcnt lgkmcnt(0)
	v_max_f32_e32 v1, v1, v1
	v_max_f32_e32 v1, v2, v1
	v_cndmask_b32_e32 v2, v6, v4, vcc
	v_lshlrev_b32_e32 v11, 2, v2
	ds_bpermute_b32 v2, v11, v1
	v_cmp_lt_i32_e32 vcc, v5, v9
	s_waitcnt lgkmcnt(0)
	v_max_f32_e32 v2, v2, v2
	v_max_f32_e32 v4, v1, v2
	v_cndmask_b32_e32 v1, v6, v5, vcc
	v_lshlrev_b32_e32 v14, 2, v1
	ds_bpermute_b32 v5, v14, v4
	v_and_b32_e32 v1, 63, v0
	v_cmp_eq_u32_e32 vcc, 0, v1
	v_lshlrev_b32_e32 v2, 2, v7
	s_and_saveexec_b64 s[0:1], vcc
	s_cbranch_execz .LBB149_15
; %bb.14:
	s_waitcnt lgkmcnt(0)
	v_max_f32_e32 v5, v5, v5
	v_max_f32_e32 v4, v4, v4
	;; [unrolled: 1-line block ×3, first 2 shown]
	ds_write_b32 v2, v4 offset:240
.LBB149_15:
	s_or_b64 exec, exec, s[0:1]
	v_cmp_gt_u32_e64 s[0:1], 2, v1
	v_mov_b32_e32 v4, 0xff7fffff
	s_waitcnt lgkmcnt(0)
	v_lshlrev_b32_e32 v5, 2, v1
	s_barrier
	s_and_saveexec_b64 s[10:11], s[0:1]
	s_cbranch_execz .LBB149_17
; %bb.16:
	ds_read_b32 v4, v5 offset:240
.LBB149_17:
	s_or_b64 exec, exec, s[10:11]
	v_xor_b32_e32 v15, 1, v6
	v_cmp_lt_i32_e64 s[10:11], v15, v9
	v_mov_b32_e32 v17, 0
	s_nop 0
	v_cndmask_b32_e64 v15, v6, v15, s[10:11]
	v_lshlrev_b32_e32 v15, 2, v15
	s_waitcnt lgkmcnt(0)
	ds_bpermute_b32 v16, v15, v4
	v_max_f32_e32 v4, v4, v4
	s_sub_i32 s10, s33, s12
	s_lshl_b32 s10, s10, 3
	s_add_i32 s10, s10, s42
	s_waitcnt lgkmcnt(0)
	v_max_f32_e32 v16, v16, v16
	v_max_f32_e32 v4, v4, v16
	v_lshlrev_b32_e32 v16, 2, v6
	v_and_b32_e32 v16, 0xffffff00, v16
	ds_bpermute_b32 v4, v16, v4
	s_min_i32 s19, s10, s27
	s_sub_i32 s16, s19, s42
	v_cmp_gt_i32_e64 s[10:11], s16, v0
	s_and_saveexec_b64 s[36:37], s[10:11]
	s_cbranch_execz .LBB149_21
; %bb.18:
	v_mov_b32_e32 v17, 0x100
	v_lshl_add_u32 v18, v0, 2, v17
	s_mov_b64 s[38:39], 0
	v_mov_b32_e32 v17, 0
	v_mov_b32_e32 v19, v0
.LBB149_19:                             ; =>This Inner Loop Header: Depth=1
	ds_read_b32 v20, v18
	v_add_u32_e32 v19, 0x80, v19
	v_cmp_le_i32_e64 s[12:13], s16, v19
	s_or_b64 s[38:39], s[12:13], s[38:39]
	s_waitcnt lgkmcnt(0)
	v_sub_f32_e32 v20, v20, v4
	v_mul_f32_e32 v20, 0x3fb8aa3b, v20
	v_exp_f32_e32 v20, v20
	ds_write_b32 v18, v20
	v_add_f32_e32 v17, v17, v20
	v_add_u32_e32 v18, 0x200, v18
	s_andn2_b64 exec, exec, s[38:39]
	s_cbranch_execnz .LBB149_19
; %bb.20:
	s_or_b64 exec, exec, s[38:39]
.LBB149_21:
	s_or_b64 exec, exec, s[36:37]
	ds_bpermute_b32 v3, v3, v17
	s_waitcnt lgkmcnt(0)
	v_add_f32_e32 v3, v17, v3
	ds_bpermute_b32 v11, v11, v3
	s_waitcnt lgkmcnt(0)
	v_add_f32_e32 v3, v3, v11
	ds_bpermute_b32 v11, v14, v3
	v_xor_b32_e32 v14, 4, v6
	v_cmp_lt_i32_e64 s[12:13], v14, v9
	s_waitcnt lgkmcnt(0)
	v_add_f32_e32 v3, v3, v11
	v_cndmask_b32_e64 v14, v6, v14, s[12:13]
	v_lshlrev_b32_e32 v14, 2, v14
	ds_bpermute_b32 v11, v14, v3
	v_xor_b32_e32 v14, 2, v6
	v_cmp_lt_i32_e64 s[12:13], v14, v9
	s_waitcnt lgkmcnt(0)
	v_add_f32_e32 v3, v3, v11
	v_cndmask_b32_e64 v6, v6, v14, s[12:13]
	v_lshlrev_b32_e32 v6, 2, v6
	ds_bpermute_b32 v6, v6, v3
	s_waitcnt lgkmcnt(0)
	v_add_f32_e32 v3, v3, v6
	ds_bpermute_b32 v6, v15, v3
	s_waitcnt lgkmcnt(0)
	v_add_f32_e32 v3, v3, v6
	s_and_saveexec_b64 s[12:13], vcc
	s_cbranch_execz .LBB149_23
; %bb.22:
	ds_write_b32 v2, v3 offset:248
.LBB149_23:
	s_or_b64 exec, exec, s[12:13]
	s_waitcnt lgkmcnt(0)
	s_barrier
	s_and_saveexec_b64 s[12:13], s[0:1]
	s_cbranch_execz .LBB149_25
; %bb.24:
	ds_read_b32 v3, v5 offset:248
.LBB149_25:
	s_or_b64 exec, exec, s[12:13]
	s_waitcnt lgkmcnt(0)
	ds_bpermute_b32 v2, v15, v3
	s_waitcnt lgkmcnt(0)
	v_add_f32_e32 v2, v3, v2
	ds_bpermute_b32 v5, v16, v2
	s_and_saveexec_b64 s[0:1], s[10:11]
	s_cbranch_execz .LBB149_38
; %bb.26:
	s_waitcnt lgkmcnt(0)
	v_add_f32_e32 v2, 0x358637bd, v5
	v_div_scale_f32 v3, s[10:11], v2, v2, 1.0
	v_rcp_f32_e32 v6, v3
	v_div_scale_f32 v9, vcc, 1.0, v2, 1.0
	s_movk_i32 s10, 0x7f
	v_fma_f32 v11, -v3, v6, 1.0
	v_fmac_f32_e32 v6, v11, v6
	v_mul_f32_e32 v11, v9, v6
	v_fma_f32 v14, -v3, v11, v9
	v_fmac_f32_e32 v11, v14, v6
	v_fma_f32 v3, -v3, v11, v9
	v_div_fmas_f32 v3, v3, v6, v11
	v_div_fixup_f32 v2, v3, v2, 1.0
	v_xad_u32 v3, v0, -1, s19
	v_subrev_u32_e32 v6, s42, v3
	v_cmp_lt_u32_e32 vcc, s10, v6
	s_mov_b64 s[12:13], -1
	v_mov_b32_e32 v3, v0
	s_and_saveexec_b64 s[10:11], vcc
	s_cbranch_execz .LBB149_35
; %bb.27:
	v_lshrrev_b32_e32 v6, 7, v6
	v_add_u32_e32 v11, -1, v6
	v_lshrrev_b32_e32 v9, 1, v11
	v_mov_b32_e32 v3, v2
	v_add_u32_e32 v9, 1, v9
	v_cmp_lt_u32_e32 vcc, 13, v11
	v_mov_b32_e32 v15, 0
	s_and_saveexec_b64 s[12:13], vcc
	s_cbranch_execz .LBB149_31
; %bb.28:
	v_mov_b32_e32 v14, 0x100
	v_and_b32_e32 v11, -8, v9
	v_lshl_add_u32 v14, v0, 2, v14
	s_mov_b32 s19, 0
	s_mov_b64 s[36:37], 0
.LBB149_29:                             ; =>This Inner Loop Header: Depth=1
	ds_read2st64_b32 v[16:17], v14 offset1:2
	ds_read2st64_b32 v[18:19], v14 offset0:4 offset1:6
	ds_read2st64_b32 v[20:21], v14 offset0:8 offset1:10
	;; [unrolled: 1-line block ×3, first 2 shown]
	v_add_u32_e32 v11, -8, v11
	s_waitcnt lgkmcnt(3)
	v_pk_mul_f32 v[16:17], v[2:3], v[16:17]
	s_waitcnt lgkmcnt(2)
	v_pk_mul_f32 v[18:19], v[2:3], v[18:19]
	ds_write2st64_b32 v14, v16, v17 offset1:2
	ds_write2st64_b32 v14, v18, v19 offset0:4 offset1:6
	ds_read2st64_b32 v[18:19], v14 offset0:16 offset1:18
	s_waitcnt lgkmcnt(4)
	v_pk_mul_f32 v[16:17], v[2:3], v[20:21]
	ds_write2st64_b32 v14, v16, v17 offset0:8 offset1:10
	s_waitcnt lgkmcnt(4)
	v_pk_mul_f32 v[16:17], v[2:3], v[22:23]
	ds_write2st64_b32 v14, v16, v17 offset0:12 offset1:14
	ds_read2st64_b32 v[16:17], v14 offset0:20 offset1:22
	s_waitcnt lgkmcnt(3)
	v_pk_mul_f32 v[18:19], v[2:3], v[18:19]
	ds_read2st64_b32 v[20:21], v14 offset0:24 offset1:26
	ds_write2st64_b32 v14, v18, v19 offset0:16 offset1:18
	ds_read2st64_b32 v[18:19], v14 offset0:28 offset1:30
	s_waitcnt lgkmcnt(3)
	v_pk_mul_f32 v[16:17], v[2:3], v[16:17]
	ds_write2st64_b32 v14, v16, v17 offset0:20 offset1:22
	s_waitcnt lgkmcnt(3)
	v_pk_mul_f32 v[16:17], v[2:3], v[20:21]
	ds_write2st64_b32 v14, v16, v17 offset0:24 offset1:26
	s_waitcnt lgkmcnt(2)
	v_pk_mul_f32 v[16:17], v[2:3], v[18:19]
	s_add_i32 s19, s19, 16
	v_cmp_eq_u32_e32 vcc, 0, v11
	ds_write2st64_b32 v14, v16, v17 offset0:28 offset1:30
	v_add_u32_e32 v14, 0x2000, v14
	s_or_b64 s[36:37], vcc, s[36:37]
	v_mov_b32_e32 v15, s19
	s_andn2_b64 exec, exec, s[36:37]
	s_cbranch_execnz .LBB149_29
; %bb.30:
	s_or_b64 exec, exec, s[36:37]
.LBB149_31:
	s_or_b64 exec, exec, s[12:13]
	v_and_b32_e32 v9, 7, v9
	v_cmp_ne_u32_e32 vcc, 0, v9
	s_and_saveexec_b64 s[12:13], vcc
	s_cbranch_execz .LBB149_34
; %bb.32:
	v_lshlrev_b32_e32 v11, 9, v15
	v_lshlrev_b32_e32 v14, 2, v0
	s_movk_i32 s19, 0x100
	v_add3_u32 v11, v11, v14, s19
	s_mov_b64 s[36:37], 0
.LBB149_33:                             ; =>This Inner Loop Header: Depth=1
	ds_read2st64_b32 v[14:15], v11 offset1:2
	v_add_u32_e32 v9, -1, v9
	v_cmp_eq_u32_e32 vcc, 0, v9
	s_or_b64 s[36:37], vcc, s[36:37]
	s_waitcnt lgkmcnt(0)
	v_pk_mul_f32 v[14:15], v[2:3], v[14:15]
	ds_write2st64_b32 v11, v14, v15 offset1:2
	v_add_u32_e32 v11, 0x400, v11
	s_andn2_b64 exec, exec, s[36:37]
	s_cbranch_execnz .LBB149_33
.LBB149_34:
	s_or_b64 exec, exec, s[12:13]
	v_add_u32_e32 v6, 1, v6
	v_and_b32_e32 v9, 0x3fffffe, v6
	v_cmp_ne_u32_e32 vcc, v6, v9
	v_lshl_add_u32 v3, v9, 7, v0
	s_orn2_b64 s[12:13], vcc, exec
.LBB149_35:
	s_or_b64 exec, exec, s[10:11]
	s_and_b64 exec, exec, s[12:13]
	s_cbranch_execz .LBB149_38
; %bb.36:
	v_mov_b32_e32 v6, 0x100
	v_lshl_add_u32 v6, v3, 2, v6
	s_mov_b64 s[10:11], 0
.LBB149_37:                             ; =>This Inner Loop Header: Depth=1
	ds_read_b32 v9, v6
	v_add_u32_e32 v3, 0x80, v3
	v_cmp_le_i32_e32 vcc, s16, v3
	s_or_b64 s[10:11], vcc, s[10:11]
	s_waitcnt lgkmcnt(0)
	v_mul_f32_e32 v9, v2, v9
	ds_write_b32 v6, v9
	v_add_u32_e32 v6, 0x200, v6
	s_andn2_b64 exec, exec, s[10:11]
	s_cbranch_execnz .LBB149_37
.LBB149_38:
	s_or_b64 exec, exec, s[0:1]
	s_mul_i32 s0, s15, s26
	v_cmp_eq_u32_e32 vcc, 0, v0
	s_mul_i32 s10, s0, s5
	s_waitcnt lgkmcnt(0)
	s_barrier
	s_and_saveexec_b64 s[0:1], vcc
	s_cbranch_execz .LBB149_40
; %bb.39:
	s_ashr_i32 s11, s10, 31
	s_lshl_b64 s[12:13], s[10:11], 2
	s_add_u32 s5, s22, s12
	s_mul_i32 s22, s15, s2
	s_addc_u32 s11, s23, s13
	s_ashr_i32 s23, s22, 31
	s_lshl_b64 s[22:23], s[22:23], 2
	s_add_u32 s2, s5, s22
	s_addc_u32 s11, s11, s23
	s_ashr_i32 s5, s4, 31
	s_lshl_b64 s[36:37], s[4:5], 2
	s_add_u32 s38, s2, s36
	s_addc_u32 s39, s11, s37
	s_add_u32 s2, s20, s12
	s_addc_u32 s5, s21, s13
	;; [unrolled: 2-line block ×3, first 2 shown]
	s_add_u32 s12, s2, s36
	v_mov_b32_e32 v2, 0
	s_addc_u32 s13, s5, s37
	global_store_dword v2, v4, s[38:39]
	global_store_dword v2, v5, s[12:13]
.LBB149_40:
	s_or_b64 exec, exec, s[0:1]
	v_mov_b32_e32 v15, 0
	v_mov_b32_e32 v6, v15
	s_and_saveexec_b64 s[12:13], s[6:7]
	s_cbranch_execz .LBB149_146
; %bb.41:
	s_ashr_i32 s19, s18, 31
	s_lshl_b64 s[0:1], s[18:19], 1
	s_add_u32 s6, s34, s0
	v_or_b32_e32 v3, 64, v1
	s_movk_i32 s0, 0x78
	s_addc_u32 s7, s35, s1
	s_add_i32 s11, s3, -1
	v_cmp_gt_u32_e32 vcc, s0, v3
	s_lshl_b64 s[0:1], s[30:31], 2
	s_add_u32 s0, s28, s0
	v_lshlrev_b32_e32 v2, 3, v1
	v_mov_b32_e32 v17, 0
	v_lshlrev_b32_e32 v4, 3, v3
	v_mov_b32_e32 v3, 0x100
	s_addc_u32 s1, s29, s1
	s_mov_b32 s5, s17
	v_add3_u32 v11, s42, v8, 7
	v_lshl_add_u32 v22, v7, 5, v3
	v_lshl_add_u64 v[18:19], v[12:13], 2, s[0:1]
	s_mov_b64 s[16:17], 0
	s_mov_b32 s22, 0x7f800000
	s_movk_i32 s23, 0x7fff
	v_lshlrev_b32_e32 v16, 1, v2
	v_lshlrev_b32_e32 v20, 1, v4
	v_mov_b32_e32 v14, v17
	v_mov_b32_e32 v15, v17
	s_branch .LBB149_44
.LBB149_42:                             ;   in Loop: Header=BB149_44 Depth=1
	s_or_b64 exec, exec, s[2:3]
	v_and_b32_e32 v24, 0xffff0000, v9
	v_and_b32_e32 v9, 0xffff0000, v13
	;; [unrolled: 1-line block ×5, first 2 shown]
	v_pk_add_f32 v[2:3], v[2:3], v[8:9]
	v_and_b32_e32 v25, 0xffff0000, v21
	v_and_b32_e32 v5, 0xffff0000, v5
	;; [unrolled: 1-line block ×3, first 2 shown]
	v_mov_b32_e32 v8, v3
	v_pk_add_f32 v[2:3], v[2:3], v[8:9]
	v_pk_add_f32 v[4:5], v[4:5], v[24:25]
	s_nop 0
	v_pk_add_f32 v[2:3], v[2:3], v[4:5]
	v_mov_b32_e32 v4, v5
	v_pk_add_f32 v[2:3], v[2:3], v[4:5]
	s_nop 0
	v_mov_b32_e32 v3, v2
	v_pk_add_f32 v[14:15], v[14:15], v[2:3]
.LBB149_43:                             ;   in Loop: Header=BB149_44 Depth=1
	s_or_b64 exec, exec, s[18:19]
	v_add_u32_e32 v12, 2, v12
	v_cmp_le_i32_e64 s[0:1], s33, v12
	v_add_u32_e32 v11, 16, v11
	v_add_u32_e32 v22, 64, v22
	v_lshl_add_u64 v[18:19], v[18:19], 0, 8
	s_or_b64 s[16:17], s[0:1], s[16:17]
	v_mov_b32_e32 v14, v6
	s_andn2_b64 exec, exec, s[16:17]
	s_cbranch_execz .LBB149_145
.LBB149_44:                             ; =>This Inner Loop Header: Depth=1
	global_load_dword v13, v[18:19], off
	ds_read2_b64 v[6:9], v22 offset1:1
	ds_read2_b64 v[2:5], v22 offset0:2 offset1:3
                                        ; implicit-def: $vgpr23
	s_waitcnt lgkmcnt(1)
	v_and_b32_e32 v21, 0x7f800000, v6
	v_cmp_ne_u32_e64 s[0:1], s22, v21
	s_and_saveexec_b64 s[2:3], s[0:1]
	s_xor_b64 s[0:1], exec, s[2:3]
; %bb.45:                               ;   in Loop: Header=BB149_44 Depth=1
	v_bfe_u32 v21, v6, 16, 1
	v_add3_u32 v23, v6, v21, s23
; %bb.46:                               ;   in Loop: Header=BB149_44 Depth=1
	s_andn2_saveexec_b64 s[2:3], s[0:1]
; %bb.47:                               ;   in Loop: Header=BB149_44 Depth=1
	v_or_b32_e32 v21, 0x10000, v6
	v_cmp_eq_u32_sdwa s[0:1], v6, v17 src0_sel:WORD_0 src1_sel:DWORD
	s_nop 1
	v_cndmask_b32_e64 v23, v21, v6, s[0:1]
; %bb.48:                               ;   in Loop: Header=BB149_44 Depth=1
	s_or_b64 exec, exec, s[2:3]
	v_and_b32_e32 v6, 0x7f800000, v7
	v_cmp_ne_u32_e64 s[0:1], s22, v6
                                        ; implicit-def: $vgpr24
	s_and_saveexec_b64 s[2:3], s[0:1]
	s_xor_b64 s[0:1], exec, s[2:3]
; %bb.49:                               ;   in Loop: Header=BB149_44 Depth=1
	v_bfe_u32 v6, v7, 16, 1
	v_add3_u32 v24, v7, v6, s23
; %bb.50:                               ;   in Loop: Header=BB149_44 Depth=1
	s_andn2_saveexec_b64 s[2:3], s[0:1]
; %bb.51:                               ;   in Loop: Header=BB149_44 Depth=1
	v_or_b32_e32 v6, 0x10000, v7
	v_cmp_eq_u32_sdwa s[0:1], v7, v17 src0_sel:WORD_0 src1_sel:DWORD
	s_nop 1
	v_cndmask_b32_e64 v24, v6, v7, s[0:1]
; %bb.52:                               ;   in Loop: Header=BB149_44 Depth=1
	s_or_b64 exec, exec, s[2:3]
	v_and_b32_e32 v6, 0x7f800000, v8
	v_cmp_ne_u32_e64 s[0:1], s22, v6
                                        ; implicit-def: $vgpr25
	s_and_saveexec_b64 s[2:3], s[0:1]
	s_xor_b64 s[0:1], exec, s[2:3]
; %bb.53:                               ;   in Loop: Header=BB149_44 Depth=1
	v_bfe_u32 v6, v8, 16, 1
	v_add3_u32 v25, v8, v6, s23
; %bb.54:                               ;   in Loop: Header=BB149_44 Depth=1
	s_andn2_saveexec_b64 s[2:3], s[0:1]
; %bb.55:                               ;   in Loop: Header=BB149_44 Depth=1
	v_or_b32_e32 v6, 0x10000, v8
	v_cmp_eq_u32_sdwa s[0:1], v8, v17 src0_sel:WORD_0 src1_sel:DWORD
	s_nop 1
	v_cndmask_b32_e64 v25, v6, v8, s[0:1]
; %bb.56:                               ;   in Loop: Header=BB149_44 Depth=1
	s_or_b64 exec, exec, s[2:3]
	v_and_b32_e32 v6, 0x7f800000, v9
	v_cmp_ne_u32_e64 s[0:1], s22, v6
                                        ; implicit-def: $vgpr26
	s_and_saveexec_b64 s[2:3], s[0:1]
	s_xor_b64 s[0:1], exec, s[2:3]
; %bb.57:                               ;   in Loop: Header=BB149_44 Depth=1
	v_bfe_u32 v6, v9, 16, 1
	v_add3_u32 v26, v9, v6, s23
                                        ; implicit-def: $vgpr6_vgpr7_vgpr8_vgpr9
; %bb.58:                               ;   in Loop: Header=BB149_44 Depth=1
	s_andn2_saveexec_b64 s[2:3], s[0:1]
; %bb.59:                               ;   in Loop: Header=BB149_44 Depth=1
	v_or_b32_e32 v6, 0x10000, v9
	v_cmp_eq_u32_sdwa s[0:1], v9, v17 src0_sel:WORD_0 src1_sel:DWORD
	s_nop 1
	v_cndmask_b32_e64 v26, v6, v9, s[0:1]
; %bb.60:                               ;   in Loop: Header=BB149_44 Depth=1
	s_or_b64 exec, exec, s[2:3]
	s_waitcnt lgkmcnt(0)
	v_and_b32_e32 v6, 0x7f800000, v2
	v_cmp_ne_u32_e64 s[0:1], s22, v6
                                        ; implicit-def: $vgpr27
	s_and_saveexec_b64 s[2:3], s[0:1]
	s_xor_b64 s[0:1], exec, s[2:3]
; %bb.61:                               ;   in Loop: Header=BB149_44 Depth=1
	v_bfe_u32 v6, v2, 16, 1
	v_add3_u32 v27, v2, v6, s23
; %bb.62:                               ;   in Loop: Header=BB149_44 Depth=1
	s_andn2_saveexec_b64 s[2:3], s[0:1]
; %bb.63:                               ;   in Loop: Header=BB149_44 Depth=1
	v_or_b32_e32 v6, 0x10000, v2
	v_cmp_eq_u32_sdwa s[0:1], v2, v17 src0_sel:WORD_0 src1_sel:DWORD
	s_nop 1
	v_cndmask_b32_e64 v27, v6, v2, s[0:1]
; %bb.64:                               ;   in Loop: Header=BB149_44 Depth=1
	s_or_b64 exec, exec, s[2:3]
	v_and_b32_e32 v2, 0x7f800000, v3
	v_cmp_ne_u32_e64 s[0:1], s22, v2
                                        ; implicit-def: $vgpr21
	s_and_saveexec_b64 s[2:3], s[0:1]
	s_xor_b64 s[0:1], exec, s[2:3]
; %bb.65:                               ;   in Loop: Header=BB149_44 Depth=1
	v_bfe_u32 v2, v3, 16, 1
	v_add3_u32 v21, v3, v2, s23
; %bb.66:                               ;   in Loop: Header=BB149_44 Depth=1
	s_andn2_saveexec_b64 s[2:3], s[0:1]
; %bb.67:                               ;   in Loop: Header=BB149_44 Depth=1
	v_or_b32_e32 v2, 0x10000, v3
	v_cmp_eq_u32_sdwa s[0:1], v3, v17 src0_sel:WORD_0 src1_sel:DWORD
	s_nop 1
	v_cndmask_b32_e64 v21, v2, v3, s[0:1]
; %bb.68:                               ;   in Loop: Header=BB149_44 Depth=1
	s_or_b64 exec, exec, s[2:3]
	v_and_b32_e32 v2, 0x7f800000, v4
	v_cmp_ne_u32_e64 s[0:1], s22, v2
                                        ; implicit-def: $vgpr7
	s_and_saveexec_b64 s[2:3], s[0:1]
	s_xor_b64 s[0:1], exec, s[2:3]
; %bb.69:                               ;   in Loop: Header=BB149_44 Depth=1
	v_bfe_u32 v2, v4, 16, 1
	v_add3_u32 v7, v4, v2, s23
; %bb.70:                               ;   in Loop: Header=BB149_44 Depth=1
	s_andn2_saveexec_b64 s[2:3], s[0:1]
; %bb.71:                               ;   in Loop: Header=BB149_44 Depth=1
	v_or_b32_e32 v2, 0x10000, v4
	v_cmp_eq_u32_sdwa s[0:1], v4, v17 src0_sel:WORD_0 src1_sel:DWORD
	s_nop 1
	v_cndmask_b32_e64 v7, v2, v4, s[0:1]
; %bb.72:                               ;   in Loop: Header=BB149_44 Depth=1
	s_or_b64 exec, exec, s[2:3]
	v_and_b32_e32 v2, 0x7f800000, v5
	v_cmp_ne_u32_e64 s[0:1], s22, v2
                                        ; implicit-def: $vgpr6
	s_and_saveexec_b64 s[2:3], s[0:1]
	s_xor_b64 s[0:1], exec, s[2:3]
; %bb.73:                               ;   in Loop: Header=BB149_44 Depth=1
	v_bfe_u32 v2, v5, 16, 1
	v_add3_u32 v6, v5, v2, s23
                                        ; implicit-def: $vgpr2_vgpr3_vgpr4_vgpr5
; %bb.74:                               ;   in Loop: Header=BB149_44 Depth=1
	s_andn2_saveexec_b64 s[2:3], s[0:1]
; %bb.75:                               ;   in Loop: Header=BB149_44 Depth=1
	v_or_b32_e32 v2, 0x10000, v5
	v_cmp_eq_u32_sdwa s[0:1], v5, v17 src0_sel:WORD_0 src1_sel:DWORD
	s_nop 1
	v_cndmask_b32_e64 v6, v2, v5, s[0:1]
; %bb.76:                               ;   in Loop: Header=BB149_44 Depth=1
	s_or_b64 exec, exec, s[2:3]
	s_waitcnt vmcnt(0)
	v_mad_i64_i32 v[2:3], s[0:1], v13, s5, 0
	v_lshl_add_u64 v[8:9], v[2:3], 1, s[6:7]
	v_lshl_add_u64 v[2:3], v[8:9], 0, v[16:17]
	global_load_dwordx4 v[2:5], v[2:3], off
	v_add_u32_e32 v13, -7, v11
	v_cmp_eq_u32_e64 s[2:3], s11, v12
	s_waitcnt vmcnt(0)
	v_lshrrev_b32_e32 v30, 16, v2
	v_lshrrev_b32_e32 v28, 16, v3
	;; [unrolled: 1-line block ×4, first 2 shown]
	s_and_saveexec_b64 s[18:19], s[2:3]
	s_cbranch_execz .LBB149_78
; %bb.77:                               ;   in Loop: Header=BB149_44 Depth=1
	v_cmp_gt_i32_e64 s[0:1], s27, v13
	v_add_u32_e32 v32, -6, v11
	s_nop 0
	v_cndmask_b32_e64 v2, 0, v2, s[0:1]
	v_cmp_gt_i32_e64 s[0:1], s27, v32
	v_add_u32_e32 v32, -5, v11
	s_nop 0
	v_cndmask_b32_e64 v30, 0, v30, s[0:1]
	;; [unrolled: 4-line block ×6, first 2 shown]
	v_cmp_gt_i32_e64 s[0:1], s27, v32
	s_nop 1
	v_cndmask_b32_e64 v5, 0, v5, s[0:1]
	v_cmp_gt_i32_e64 s[0:1], s27, v11
	s_nop 1
	v_cndmask_b32_e64 v31, 0, v31, s[0:1]
.LBB149_78:                             ;   in Loop: Header=BB149_44 Depth=1
	s_or_b64 exec, exec, s[18:19]
	v_and_b32_e32 v23, 0xffff0000, v23
	v_lshlrev_b32_e32 v2, 16, v2
	v_mul_f32_e32 v32, v23, v2
	v_and_b32_e32 v2, 0x7f800000, v32
	v_cmp_ne_u32_e64 s[0:1], s22, v2
                                        ; implicit-def: $vgpr2
	s_and_saveexec_b64 s[18:19], s[0:1]
	s_xor_b64 s[0:1], exec, s[18:19]
; %bb.79:                               ;   in Loop: Header=BB149_44 Depth=1
	v_bfe_u32 v2, v32, 16, 1
	v_add3_u32 v2, v32, v2, s23
                                        ; implicit-def: $vgpr32
; %bb.80:                               ;   in Loop: Header=BB149_44 Depth=1
	s_andn2_saveexec_b64 s[18:19], s[0:1]
; %bb.81:                               ;   in Loop: Header=BB149_44 Depth=1
	v_or_b32_e32 v2, 0x10000, v32
	v_cmp_eq_u32_sdwa s[0:1], v32, v17 src0_sel:WORD_0 src1_sel:DWORD
	s_nop 1
	v_cndmask_b32_e64 v2, v2, v32, s[0:1]
; %bb.82:                               ;   in Loop: Header=BB149_44 Depth=1
	s_or_b64 exec, exec, s[18:19]
	v_and_b32_e32 v24, 0xffff0000, v24
	v_lshlrev_b32_e32 v30, 16, v30
	v_mul_f32_e32 v30, v24, v30
	v_and_b32_e32 v32, 0x7f800000, v30
	v_cmp_ne_u32_e64 s[0:1], s22, v32
                                        ; implicit-def: $vgpr32
	s_and_saveexec_b64 s[18:19], s[0:1]
	s_xor_b64 s[0:1], exec, s[18:19]
; %bb.83:                               ;   in Loop: Header=BB149_44 Depth=1
	v_bfe_u32 v32, v30, 16, 1
	v_add3_u32 v32, v30, v32, s23
                                        ; implicit-def: $vgpr30
; %bb.84:                               ;   in Loop: Header=BB149_44 Depth=1
	s_andn2_saveexec_b64 s[18:19], s[0:1]
; %bb.85:                               ;   in Loop: Header=BB149_44 Depth=1
	v_or_b32_e32 v32, 0x10000, v30
	v_cmp_eq_u32_sdwa s[0:1], v30, v17 src0_sel:WORD_0 src1_sel:DWORD
	s_nop 1
	v_cndmask_b32_e64 v32, v32, v30, s[0:1]
; %bb.86:                               ;   in Loop: Header=BB149_44 Depth=1
	s_or_b64 exec, exec, s[18:19]
	v_and_b32_e32 v25, 0xffff0000, v25
	v_lshlrev_b32_e32 v3, 16, v3
	v_mul_f32_e32 v30, v25, v3
	v_and_b32_e32 v3, 0x7f800000, v30
	v_cmp_ne_u32_e64 s[0:1], s22, v3
                                        ; implicit-def: $vgpr3
	s_and_saveexec_b64 s[18:19], s[0:1]
	s_xor_b64 s[0:1], exec, s[18:19]
; %bb.87:                               ;   in Loop: Header=BB149_44 Depth=1
	v_bfe_u32 v3, v30, 16, 1
	v_add3_u32 v3, v30, v3, s23
                                        ; implicit-def: $vgpr30
; %bb.88:                               ;   in Loop: Header=BB149_44 Depth=1
	s_andn2_saveexec_b64 s[18:19], s[0:1]
; %bb.89:                               ;   in Loop: Header=BB149_44 Depth=1
	v_or_b32_e32 v3, 0x10000, v30
	v_cmp_eq_u32_sdwa s[0:1], v30, v17 src0_sel:WORD_0 src1_sel:DWORD
	s_nop 1
	v_cndmask_b32_e64 v3, v3, v30, s[0:1]
; %bb.90:                               ;   in Loop: Header=BB149_44 Depth=1
	s_or_b64 exec, exec, s[18:19]
	v_and_b32_e32 v26, 0xffff0000, v26
	v_lshlrev_b32_e32 v28, 16, v28
	v_mul_f32_e32 v28, v26, v28
	v_and_b32_e32 v30, 0x7f800000, v28
	v_cmp_ne_u32_e64 s[0:1], s22, v30
                                        ; implicit-def: $vgpr33
	s_and_saveexec_b64 s[18:19], s[0:1]
	s_xor_b64 s[0:1], exec, s[18:19]
; %bb.91:                               ;   in Loop: Header=BB149_44 Depth=1
	v_bfe_u32 v30, v28, 16, 1
	v_add3_u32 v33, v28, v30, s23
                                        ; implicit-def: $vgpr28
; %bb.92:                               ;   in Loop: Header=BB149_44 Depth=1
	s_andn2_saveexec_b64 s[18:19], s[0:1]
; %bb.93:                               ;   in Loop: Header=BB149_44 Depth=1
	v_or_b32_e32 v30, 0x10000, v28
	v_cmp_eq_u32_sdwa s[0:1], v28, v17 src0_sel:WORD_0 src1_sel:DWORD
	s_nop 1
	v_cndmask_b32_e64 v33, v30, v28, s[0:1]
; %bb.94:                               ;   in Loop: Header=BB149_44 Depth=1
	s_or_b64 exec, exec, s[18:19]
	v_and_b32_e32 v27, 0xffff0000, v27
	v_lshlrev_b32_e32 v4, 16, v4
	v_mul_f32_e32 v28, v27, v4
	v_and_b32_e32 v4, 0x7f800000, v28
	v_cmp_ne_u32_e64 s[0:1], s22, v4
                                        ; implicit-def: $vgpr4
	s_and_saveexec_b64 s[18:19], s[0:1]
	s_xor_b64 s[0:1], exec, s[18:19]
; %bb.95:                               ;   in Loop: Header=BB149_44 Depth=1
	v_bfe_u32 v4, v28, 16, 1
	v_add3_u32 v4, v28, v4, s23
                                        ; implicit-def: $vgpr28
; %bb.96:                               ;   in Loop: Header=BB149_44 Depth=1
	s_andn2_saveexec_b64 s[18:19], s[0:1]
; %bb.97:                               ;   in Loop: Header=BB149_44 Depth=1
	v_or_b32_e32 v4, 0x10000, v28
	v_cmp_eq_u32_sdwa s[0:1], v28, v17 src0_sel:WORD_0 src1_sel:DWORD
	s_nop 1
	v_cndmask_b32_e64 v4, v4, v28, s[0:1]
; %bb.98:                               ;   in Loop: Header=BB149_44 Depth=1
	s_or_b64 exec, exec, s[18:19]
	v_and_b32_e32 v28, 0xffff0000, v21
	v_lshlrev_b32_e32 v21, 16, v29
	v_mul_f32_e32 v29, v28, v21
	v_and_b32_e32 v21, 0x7f800000, v29
	v_cmp_ne_u32_e64 s[0:1], s22, v21
                                        ; implicit-def: $vgpr21
	s_and_saveexec_b64 s[18:19], s[0:1]
	s_xor_b64 s[0:1], exec, s[18:19]
; %bb.99:                               ;   in Loop: Header=BB149_44 Depth=1
	v_bfe_u32 v21, v29, 16, 1
	v_add3_u32 v21, v29, v21, s23
                                        ; implicit-def: $vgpr29
; %bb.100:                              ;   in Loop: Header=BB149_44 Depth=1
	s_andn2_saveexec_b64 s[18:19], s[0:1]
; %bb.101:                              ;   in Loop: Header=BB149_44 Depth=1
	v_or_b32_e32 v21, 0x10000, v29
	v_cmp_eq_u32_sdwa s[0:1], v29, v17 src0_sel:WORD_0 src1_sel:DWORD
	s_nop 1
	v_cndmask_b32_e64 v21, v21, v29, s[0:1]
; %bb.102:                              ;   in Loop: Header=BB149_44 Depth=1
	s_or_b64 exec, exec, s[18:19]
	v_and_b32_e32 v29, 0xffff0000, v7
	v_lshlrev_b32_e32 v5, 16, v5
	v_mul_f32_e32 v7, v29, v5
	v_and_b32_e32 v5, 0x7f800000, v7
	v_cmp_ne_u32_e64 s[0:1], s22, v5
                                        ; implicit-def: $vgpr5
	s_and_saveexec_b64 s[18:19], s[0:1]
	s_xor_b64 s[0:1], exec, s[18:19]
; %bb.103:                              ;   in Loop: Header=BB149_44 Depth=1
	v_bfe_u32 v5, v7, 16, 1
	v_add3_u32 v5, v7, v5, s23
                                        ; implicit-def: $vgpr7
; %bb.104:                              ;   in Loop: Header=BB149_44 Depth=1
	s_andn2_saveexec_b64 s[18:19], s[0:1]
; %bb.105:                              ;   in Loop: Header=BB149_44 Depth=1
	v_or_b32_e32 v5, 0x10000, v7
	v_cmp_eq_u32_sdwa s[0:1], v7, v17 src0_sel:WORD_0 src1_sel:DWORD
	s_nop 1
	v_cndmask_b32_e64 v5, v5, v7, s[0:1]
; %bb.106:                              ;   in Loop: Header=BB149_44 Depth=1
	s_or_b64 exec, exec, s[18:19]
	v_and_b32_e32 v30, 0xffff0000, v6
	v_lshlrev_b32_e32 v6, 16, v31
	v_mul_f32_e32 v6, v30, v6
	v_and_b32_e32 v7, 0x7f800000, v6
	v_cmp_ne_u32_e64 s[0:1], s22, v7
                                        ; implicit-def: $vgpr7
	s_and_saveexec_b64 s[18:19], s[0:1]
	s_xor_b64 s[0:1], exec, s[18:19]
; %bb.107:                              ;   in Loop: Header=BB149_44 Depth=1
	v_bfe_u32 v7, v6, 16, 1
	v_add3_u32 v7, v6, v7, s23
                                        ; implicit-def: $vgpr6
; %bb.108:                              ;   in Loop: Header=BB149_44 Depth=1
	s_andn2_saveexec_b64 s[18:19], s[0:1]
; %bb.109:                              ;   in Loop: Header=BB149_44 Depth=1
	v_or_b32_e32 v7, 0x10000, v6
	v_cmp_eq_u32_sdwa s[0:1], v6, v17 src0_sel:WORD_0 src1_sel:DWORD
	s_nop 1
	v_cndmask_b32_e64 v7, v7, v6, s[0:1]
; %bb.110:                              ;   in Loop: Header=BB149_44 Depth=1
	s_or_b64 exec, exec, s[18:19]
	v_and_b32_e32 v33, 0xffff0000, v33
	v_and_b32_e32 v32, 0xffff0000, v32
	;; [unrolled: 1-line block ×4, first 2 shown]
	v_pk_add_f32 v[2:3], v[2:3], v[32:33]
	v_and_b32_e32 v7, 0xffff0000, v7
	v_and_b32_e32 v6, 0xffff0000, v21
	;; [unrolled: 1-line block ×4, first 2 shown]
	v_mov_b32_e32 v32, v3
	v_pk_add_f32 v[2:3], v[2:3], v[32:33]
	v_pk_add_f32 v[4:5], v[4:5], v[6:7]
	s_nop 0
	v_pk_add_f32 v[2:3], v[2:3], v[4:5]
	v_mov_b32_e32 v4, v5
	v_pk_add_f32 v[2:3], v[2:3], v[4:5]
	s_nop 0
	v_pk_add_f32 v[6:7], v[14:15], v[2:3]
	s_and_saveexec_b64 s[18:19], vcc
	s_cbranch_execz .LBB149_43
; %bb.111:                              ;   in Loop: Header=BB149_44 Depth=1
	v_mov_b32_e32 v21, v17
	v_lshl_add_u64 v[2:3], v[8:9], 0, v[20:21]
	global_load_dwordx4 v[2:5], v[2:3], off
	s_waitcnt vmcnt(0)
	v_lshrrev_b32_e32 v8, 16, v2
	v_lshrrev_b32_e32 v21, 16, v3
	v_lshrrev_b32_e32 v9, 16, v4
	v_lshrrev_b32_e32 v7, 16, v5
	s_and_saveexec_b64 s[20:21], s[2:3]
	s_cbranch_execz .LBB149_113
; %bb.112:                              ;   in Loop: Header=BB149_44 Depth=1
	v_cmp_gt_i32_e64 s[0:1], s27, v13
	v_add_u32_e32 v13, -6, v11
	s_nop 0
	v_cndmask_b32_e64 v2, 0, v2, s[0:1]
	v_cmp_gt_i32_e64 s[0:1], s27, v13
	v_add_u32_e32 v13, -5, v11
	s_nop 0
	v_cndmask_b32_e64 v8, 0, v8, s[0:1]
	v_cmp_gt_i32_e64 s[0:1], s27, v13
	v_add_u32_e32 v13, -4, v11
	s_nop 0
	v_cndmask_b32_e64 v3, 0, v3, s[0:1]
	v_cmp_gt_i32_e64 s[0:1], s27, v13
	v_add_u32_e32 v13, -3, v11
	s_nop 0
	v_cndmask_b32_e64 v21, 0, v21, s[0:1]
	v_cmp_gt_i32_e64 s[0:1], s27, v13
	v_add_u32_e32 v13, -2, v11
	s_nop 0
	v_cndmask_b32_e64 v4, 0, v4, s[0:1]
	v_cmp_gt_i32_e64 s[0:1], s27, v13
	v_add_u32_e32 v13, -1, v11
	s_nop 0
	v_cndmask_b32_e64 v9, 0, v9, s[0:1]
	v_cmp_gt_i32_e64 s[0:1], s27, v13
	s_nop 1
	v_cndmask_b32_e64 v5, 0, v5, s[0:1]
	v_cmp_gt_i32_e64 s[0:1], s27, v11
	s_nop 1
	v_cndmask_b32_e64 v7, 0, v7, s[0:1]
.LBB149_113:                            ;   in Loop: Header=BB149_44 Depth=1
	s_or_b64 exec, exec, s[20:21]
	v_lshlrev_b32_e32 v2, 16, v2
	v_mul_f32_e32 v13, v23, v2
	v_and_b32_e32 v2, 0x7f800000, v13
	v_cmp_ne_u32_e64 s[0:1], s22, v2
                                        ; implicit-def: $vgpr2
	s_and_saveexec_b64 s[2:3], s[0:1]
	s_xor_b64 s[0:1], exec, s[2:3]
; %bb.114:                              ;   in Loop: Header=BB149_44 Depth=1
	v_bfe_u32 v2, v13, 16, 1
	v_add3_u32 v2, v13, v2, s23
                                        ; implicit-def: $vgpr13
; %bb.115:                              ;   in Loop: Header=BB149_44 Depth=1
	s_andn2_saveexec_b64 s[2:3], s[0:1]
; %bb.116:                              ;   in Loop: Header=BB149_44 Depth=1
	v_or_b32_e32 v2, 0x10000, v13
	v_cmp_eq_u32_sdwa s[0:1], v13, v17 src0_sel:WORD_0 src1_sel:DWORD
	s_nop 1
	v_cndmask_b32_e64 v2, v2, v13, s[0:1]
; %bb.117:                              ;   in Loop: Header=BB149_44 Depth=1
	s_or_b64 exec, exec, s[2:3]
	v_lshlrev_b32_e32 v8, 16, v8
	v_mul_f32_e32 v13, v24, v8
	v_and_b32_e32 v8, 0x7f800000, v13
	v_cmp_ne_u32_e64 s[0:1], s22, v8
                                        ; implicit-def: $vgpr8
	s_and_saveexec_b64 s[2:3], s[0:1]
	s_xor_b64 s[0:1], exec, s[2:3]
; %bb.118:                              ;   in Loop: Header=BB149_44 Depth=1
	v_bfe_u32 v8, v13, 16, 1
	v_add3_u32 v8, v13, v8, s23
                                        ; implicit-def: $vgpr13
; %bb.119:                              ;   in Loop: Header=BB149_44 Depth=1
	s_andn2_saveexec_b64 s[2:3], s[0:1]
; %bb.120:                              ;   in Loop: Header=BB149_44 Depth=1
	v_or_b32_e32 v8, 0x10000, v13
	v_cmp_eq_u32_sdwa s[0:1], v13, v17 src0_sel:WORD_0 src1_sel:DWORD
	s_nop 1
	v_cndmask_b32_e64 v8, v8, v13, s[0:1]
; %bb.121:                              ;   in Loop: Header=BB149_44 Depth=1
	s_or_b64 exec, exec, s[2:3]
	v_lshlrev_b32_e32 v3, 16, v3
	v_mul_f32_e32 v13, v25, v3
	v_and_b32_e32 v3, 0x7f800000, v13
	v_cmp_ne_u32_e64 s[0:1], s22, v3
                                        ; implicit-def: $vgpr3
	s_and_saveexec_b64 s[2:3], s[0:1]
	s_xor_b64 s[0:1], exec, s[2:3]
; %bb.122:                              ;   in Loop: Header=BB149_44 Depth=1
	v_bfe_u32 v3, v13, 16, 1
	v_add3_u32 v3, v13, v3, s23
                                        ; implicit-def: $vgpr13
; %bb.123:                              ;   in Loop: Header=BB149_44 Depth=1
	s_andn2_saveexec_b64 s[2:3], s[0:1]
; %bb.124:                              ;   in Loop: Header=BB149_44 Depth=1
	v_or_b32_e32 v3, 0x10000, v13
	v_cmp_eq_u32_sdwa s[0:1], v13, v17 src0_sel:WORD_0 src1_sel:DWORD
	s_nop 1
	v_cndmask_b32_e64 v3, v3, v13, s[0:1]
; %bb.125:                              ;   in Loop: Header=BB149_44 Depth=1
	s_or_b64 exec, exec, s[2:3]
	v_lshlrev_b32_e32 v13, 16, v21
	v_mul_f32_e32 v21, v26, v13
	v_and_b32_e32 v13, 0x7f800000, v21
	v_cmp_ne_u32_e64 s[0:1], s22, v13
                                        ; implicit-def: $vgpr13
	s_and_saveexec_b64 s[2:3], s[0:1]
	s_xor_b64 s[0:1], exec, s[2:3]
; %bb.126:                              ;   in Loop: Header=BB149_44 Depth=1
	v_bfe_u32 v13, v21, 16, 1
	v_add3_u32 v13, v21, v13, s23
                                        ; implicit-def: $vgpr21
; %bb.127:                              ;   in Loop: Header=BB149_44 Depth=1
	s_andn2_saveexec_b64 s[2:3], s[0:1]
; %bb.128:                              ;   in Loop: Header=BB149_44 Depth=1
	v_or_b32_e32 v13, 0x10000, v21
	v_cmp_eq_u32_sdwa s[0:1], v21, v17 src0_sel:WORD_0 src1_sel:DWORD
	s_nop 1
	v_cndmask_b32_e64 v13, v13, v21, s[0:1]
; %bb.129:                              ;   in Loop: Header=BB149_44 Depth=1
	s_or_b64 exec, exec, s[2:3]
	v_lshlrev_b32_e32 v4, 16, v4
	v_mul_f32_e32 v21, v27, v4
	v_and_b32_e32 v4, 0x7f800000, v21
	v_cmp_ne_u32_e64 s[0:1], s22, v4
                                        ; implicit-def: $vgpr4
	s_and_saveexec_b64 s[2:3], s[0:1]
	s_xor_b64 s[0:1], exec, s[2:3]
; %bb.130:                              ;   in Loop: Header=BB149_44 Depth=1
	v_bfe_u32 v4, v21, 16, 1
	v_add3_u32 v4, v21, v4, s23
                                        ; implicit-def: $vgpr21
; %bb.131:                              ;   in Loop: Header=BB149_44 Depth=1
	s_andn2_saveexec_b64 s[2:3], s[0:1]
; %bb.132:                              ;   in Loop: Header=BB149_44 Depth=1
	v_or_b32_e32 v4, 0x10000, v21
	v_cmp_eq_u32_sdwa s[0:1], v21, v17 src0_sel:WORD_0 src1_sel:DWORD
	s_nop 1
	v_cndmask_b32_e64 v4, v4, v21, s[0:1]
; %bb.133:                              ;   in Loop: Header=BB149_44 Depth=1
	s_or_b64 exec, exec, s[2:3]
	v_lshlrev_b32_e32 v9, 16, v9
	v_mul_f32_e32 v21, v28, v9
	v_and_b32_e32 v9, 0x7f800000, v21
	v_cmp_ne_u32_e64 s[0:1], s22, v9
                                        ; implicit-def: $vgpr9
	s_and_saveexec_b64 s[2:3], s[0:1]
	s_xor_b64 s[0:1], exec, s[2:3]
; %bb.134:                              ;   in Loop: Header=BB149_44 Depth=1
	v_bfe_u32 v9, v21, 16, 1
	v_add3_u32 v9, v21, v9, s23
                                        ; implicit-def: $vgpr21
; %bb.135:                              ;   in Loop: Header=BB149_44 Depth=1
	s_andn2_saveexec_b64 s[2:3], s[0:1]
; %bb.136:                              ;   in Loop: Header=BB149_44 Depth=1
	v_or_b32_e32 v9, 0x10000, v21
	v_cmp_eq_u32_sdwa s[0:1], v21, v17 src0_sel:WORD_0 src1_sel:DWORD
	s_nop 1
	v_cndmask_b32_e64 v9, v9, v21, s[0:1]
; %bb.137:                              ;   in Loop: Header=BB149_44 Depth=1
	s_or_b64 exec, exec, s[2:3]
	v_lshlrev_b32_e32 v5, 16, v5
	v_mul_f32_e32 v21, v29, v5
	v_and_b32_e32 v5, 0x7f800000, v21
	v_cmp_ne_u32_e64 s[0:1], s22, v5
                                        ; implicit-def: $vgpr5
	s_and_saveexec_b64 s[2:3], s[0:1]
	s_xor_b64 s[0:1], exec, s[2:3]
; %bb.138:                              ;   in Loop: Header=BB149_44 Depth=1
	v_bfe_u32 v5, v21, 16, 1
	v_add3_u32 v5, v21, v5, s23
                                        ; implicit-def: $vgpr21
; %bb.139:                              ;   in Loop: Header=BB149_44 Depth=1
	s_andn2_saveexec_b64 s[2:3], s[0:1]
; %bb.140:                              ;   in Loop: Header=BB149_44 Depth=1
	v_or_b32_e32 v5, 0x10000, v21
	v_cmp_eq_u32_sdwa s[0:1], v21, v17 src0_sel:WORD_0 src1_sel:DWORD
	s_nop 1
	v_cndmask_b32_e64 v5, v5, v21, s[0:1]
; %bb.141:                              ;   in Loop: Header=BB149_44 Depth=1
	s_or_b64 exec, exec, s[2:3]
	v_lshlrev_b32_e32 v7, 16, v7
	v_mul_f32_e32 v7, v30, v7
	v_and_b32_e32 v21, 0x7f800000, v7
	v_cmp_ne_u32_e64 s[0:1], s22, v21
                                        ; implicit-def: $vgpr21
	s_and_saveexec_b64 s[2:3], s[0:1]
	s_xor_b64 s[0:1], exec, s[2:3]
; %bb.142:                              ;   in Loop: Header=BB149_44 Depth=1
	v_bfe_u32 v21, v7, 16, 1
	v_add3_u32 v21, v7, v21, s23
                                        ; implicit-def: $vgpr7
; %bb.143:                              ;   in Loop: Header=BB149_44 Depth=1
	s_andn2_saveexec_b64 s[2:3], s[0:1]
	s_cbranch_execz .LBB149_42
; %bb.144:                              ;   in Loop: Header=BB149_44 Depth=1
	v_or_b32_e32 v21, 0x10000, v7
	v_cmp_eq_u32_sdwa s[0:1], v7, v17 src0_sel:WORD_0 src1_sel:DWORD
	s_nop 1
	v_cndmask_b32_e64 v21, v21, v7, s[0:1]
	s_branch .LBB149_42
.LBB149_145:
	s_or_b64 exec, exec, s[16:17]
.LBB149_146:
	s_or_b64 exec, exec, s[12:13]
	v_and_b32_e32 v2, 0x3c0, v0
	v_cmp_eq_u32_e32 vcc, 64, v2
	s_barrier
	s_and_saveexec_b64 s[0:1], vcc
	s_cbranch_execz .LBB149_149
; %bb.147:
	v_mov_b32_e32 v2, 0x100
	v_lshl_add_u32 v1, v1, 2, v2
	ds_write_b32 v1, v6
	s_and_b64 exec, exec, s[8:9]
	s_cbranch_execz .LBB149_149
; %bb.148:
	v_lshl_add_u32 v1, v0, 2, v2
	ds_write_b32 v1, v15
.LBB149_149:
	s_or_b64 exec, exec, s[0:1]
	v_cmp_gt_u32_e32 vcc, 64, v0
	v_or_b32_e32 v1, 64, v0
	s_waitcnt lgkmcnt(0)
	s_barrier
	s_and_saveexec_b64 s[2:3], vcc
	s_cbranch_execz .LBB149_153
; %bb.150:
	v_mov_b32_e32 v2, 0x100
	v_lshl_add_u32 v2, v0, 2, v2
	ds_read_b32 v0, v2
	s_movk_i32 s0, 0x78
	v_cmp_gt_u32_e64 s[0:1], s0, v1
	s_and_saveexec_b64 s[6:7], s[0:1]
	s_cbranch_execz .LBB149_152
; %bb.151:
	ds_read_b32 v2, v2 offset:256
	s_waitcnt lgkmcnt(0)
	v_add_f32_e32 v15, v15, v2
.LBB149_152:
	s_or_b64 exec, exec, s[6:7]
	s_waitcnt lgkmcnt(0)
	v_add_f32_e32 v6, v6, v0
.LBB149_153:
	s_or_b64 exec, exec, s[2:3]
	s_barrier
	s_and_saveexec_b64 s[0:1], vcc
	s_cbranch_execz .LBB149_164
; %bb.154:
	s_mov_b32 s0, 0x7f800000
	v_and_b32_e32 v0, 0x7f800000, v6
	v_cmp_ne_u32_e32 vcc, s0, v0
                                        ; implicit-def: $vgpr0
	s_and_saveexec_b64 s[0:1], vcc
	s_xor_b64 s[0:1], exec, s[0:1]
; %bb.155:
	v_bfe_u32 v0, v6, 16, 1
	s_movk_i32 s2, 0x7fff
	v_add3_u32 v0, v6, v0, s2
                                        ; implicit-def: $vgpr6
; %bb.156:
	s_andn2_saveexec_b64 s[0:1], s[0:1]
; %bb.157:
	v_mov_b32_e32 v0, 0
	v_or_b32_e32 v2, 0x10000, v6
	v_cmp_eq_u32_sdwa vcc, v6, v0 src0_sel:WORD_0 src1_sel:DWORD
	s_nop 1
	v_cndmask_b32_e32 v0, v2, v6, vcc
; %bb.158:
	s_or_b64 exec, exec, s[0:1]
	s_mul_i32 s0, s10, 0x78
	s_ashr_i32 s1, s0, 31
	s_lshl_b64 s[0:1], s[0:1], 1
	s_add_u32 s3, s24, s0
	s_mul_i32 s0, s15, s14
	s_addc_u32 s5, s25, s1
	s_ashr_i32 s1, s0, 31
	s_lshl_b64 s[0:1], s[0:1], 1
	s_add_u32 s3, s3, s0
	s_mul_i32 s0, s4, 0x78
	s_addc_u32 s5, s5, s1
	s_ashr_i32 s1, s0, 31
	s_lshl_b64 s[0:1], s[0:1], 1
	s_movk_i32 s2, 0x78
	s_add_u32 s0, s3, s0
	s_addc_u32 s1, s5, s1
	v_cmp_gt_u32_e32 vcc, s2, v1
	global_store_short_d16_hi v10, v0, s[0:1]
	s_and_b64 exec, exec, vcc
	s_cbranch_execz .LBB149_164
; %bb.159:
	s_mov_b32 s2, 0x7f800000
	v_and_b32_e32 v0, 0x7f800000, v15
	v_mov_b32_e32 v11, 0
	v_cmp_ne_u32_e32 vcc, s2, v0
                                        ; implicit-def: $vgpr2
	s_and_saveexec_b64 s[2:3], vcc
	s_xor_b64 s[2:3], exec, s[2:3]
; %bb.160:
	v_bfe_u32 v0, v15, 16, 1
	s_movk_i32 s4, 0x7fff
	v_add3_u32 v2, v15, v0, s4
                                        ; implicit-def: $vgpr15
; %bb.161:
	s_or_saveexec_b64 s[2:3], s[2:3]
	v_lshl_add_u64 v[0:1], s[0:1], 0, v[10:11]
	s_xor_b64 exec, exec, s[2:3]
; %bb.162:
	v_mov_b32_e32 v2, 0
	v_or_b32_e32 v3, 0x10000, v15
	v_cmp_eq_u32_sdwa vcc, v15, v2 src0_sel:WORD_0 src1_sel:DWORD
	s_nop 1
	v_cndmask_b32_e32 v2, v3, v15, vcc
; %bb.163:
	s_or_b64 exec, exec, s[2:3]
	global_store_short_d16_hi v[0:1], v2, off offset:128
.LBB149_164:
	s_endpgm
	.section	.rodata,"a",@progbits
	.p2align	6, 0x0
	.amdhsa_kernel _ZN4vllm25paged_attention_v2_kernelI14__hip_bfloat16S1_Li120ELi8ELi128ELNS_18Fp8KVCacheDataTypeE0ELb0ELi512EEEvPfS3_PT_PKS4_PKT0_SA_ifPKiSC_iPKfiiiSE_SE_iiiii
		.amdhsa_group_segment_fixed_size 256
		.amdhsa_private_segment_fixed_size 0
		.amdhsa_kernarg_size 400
		.amdhsa_user_sgpr_count 2
		.amdhsa_user_sgpr_dispatch_ptr 0
		.amdhsa_user_sgpr_queue_ptr 0
		.amdhsa_user_sgpr_kernarg_segment_ptr 1
		.amdhsa_user_sgpr_dispatch_id 0
		.amdhsa_user_sgpr_kernarg_preload_length 0
		.amdhsa_user_sgpr_kernarg_preload_offset 0
		.amdhsa_user_sgpr_private_segment_size 0
		.amdhsa_uses_dynamic_stack 0
		.amdhsa_enable_private_segment 0
		.amdhsa_system_sgpr_workgroup_id_x 1
		.amdhsa_system_sgpr_workgroup_id_y 1
		.amdhsa_system_sgpr_workgroup_id_z 1
		.amdhsa_system_sgpr_workgroup_info 0
		.amdhsa_system_vgpr_workitem_id 0
		.amdhsa_next_free_vgpr 51
		.amdhsa_next_free_sgpr 44
		.amdhsa_accum_offset 52
		.amdhsa_reserve_vcc 1
		.amdhsa_float_round_mode_32 0
		.amdhsa_float_round_mode_16_64 0
		.amdhsa_float_denorm_mode_32 3
		.amdhsa_float_denorm_mode_16_64 3
		.amdhsa_dx10_clamp 1
		.amdhsa_ieee_mode 1
		.amdhsa_fp16_overflow 0
		.amdhsa_tg_split 0
		.amdhsa_exception_fp_ieee_invalid_op 0
		.amdhsa_exception_fp_denorm_src 0
		.amdhsa_exception_fp_ieee_div_zero 0
		.amdhsa_exception_fp_ieee_overflow 0
		.amdhsa_exception_fp_ieee_underflow 0
		.amdhsa_exception_fp_ieee_inexact 0
		.amdhsa_exception_int_div_zero 0
	.end_amdhsa_kernel
	.section	.text._ZN4vllm25paged_attention_v2_kernelI14__hip_bfloat16S1_Li120ELi8ELi128ELNS_18Fp8KVCacheDataTypeE0ELb0ELi512EEEvPfS3_PT_PKS4_PKT0_SA_ifPKiSC_iPKfiiiSE_SE_iiiii,"axG",@progbits,_ZN4vllm25paged_attention_v2_kernelI14__hip_bfloat16S1_Li120ELi8ELi128ELNS_18Fp8KVCacheDataTypeE0ELb0ELi512EEEvPfS3_PT_PKS4_PKT0_SA_ifPKiSC_iPKfiiiSE_SE_iiiii,comdat
.Lfunc_end149:
	.size	_ZN4vllm25paged_attention_v2_kernelI14__hip_bfloat16S1_Li120ELi8ELi128ELNS_18Fp8KVCacheDataTypeE0ELb0ELi512EEEvPfS3_PT_PKS4_PKT0_SA_ifPKiSC_iPKfiiiSE_SE_iiiii, .Lfunc_end149-_ZN4vllm25paged_attention_v2_kernelI14__hip_bfloat16S1_Li120ELi8ELi128ELNS_18Fp8KVCacheDataTypeE0ELb0ELi512EEEvPfS3_PT_PKS4_PKT0_SA_ifPKiSC_iPKfiiiSE_SE_iiiii
                                        ; -- End function
	.section	.AMDGPU.csdata,"",@progbits
; Kernel info:
; codeLenInByte = 6472
; NumSgprs: 50
; NumVgprs: 51
; NumAgprs: 0
; TotalNumVgprs: 51
; ScratchSize: 0
; MemoryBound: 0
; FloatMode: 240
; IeeeMode: 1
; LDSByteSize: 256 bytes/workgroup (compile time only)
; SGPRBlocks: 6
; VGPRBlocks: 6
; NumSGPRsForWavesPerEU: 50
; NumVGPRsForWavesPerEU: 51
; AccumOffset: 52
; Occupancy: 8
; WaveLimiterHint : 1
; COMPUTE_PGM_RSRC2:SCRATCH_EN: 0
; COMPUTE_PGM_RSRC2:USER_SGPR: 2
; COMPUTE_PGM_RSRC2:TRAP_HANDLER: 0
; COMPUTE_PGM_RSRC2:TGID_X_EN: 1
; COMPUTE_PGM_RSRC2:TGID_Y_EN: 1
; COMPUTE_PGM_RSRC2:TGID_Z_EN: 1
; COMPUTE_PGM_RSRC2:TIDIG_COMP_CNT: 0
; COMPUTE_PGM_RSRC3_GFX90A:ACCUM_OFFSET: 12
; COMPUTE_PGM_RSRC3_GFX90A:TG_SPLIT: 0
	.section	.text._ZN4vllm25paged_attention_v2_kernelI14__hip_bfloat16S1_Li128ELi8ELi128ELNS_18Fp8KVCacheDataTypeE0ELb0ELi512EEEvPfS3_PT_PKS4_PKT0_SA_ifPKiSC_iPKfiiiSE_SE_iiiii,"axG",@progbits,_ZN4vllm25paged_attention_v2_kernelI14__hip_bfloat16S1_Li128ELi8ELi128ELNS_18Fp8KVCacheDataTypeE0ELb0ELi512EEEvPfS3_PT_PKS4_PKT0_SA_ifPKiSC_iPKfiiiSE_SE_iiiii,comdat
	.protected	_ZN4vllm25paged_attention_v2_kernelI14__hip_bfloat16S1_Li128ELi8ELi128ELNS_18Fp8KVCacheDataTypeE0ELb0ELi512EEEvPfS3_PT_PKS4_PKT0_SA_ifPKiSC_iPKfiiiSE_SE_iiiii ; -- Begin function _ZN4vllm25paged_attention_v2_kernelI14__hip_bfloat16S1_Li128ELi8ELi128ELNS_18Fp8KVCacheDataTypeE0ELb0ELi512EEEvPfS3_PT_PKS4_PKT0_SA_ifPKiSC_iPKfiiiSE_SE_iiiii
	.globl	_ZN4vllm25paged_attention_v2_kernelI14__hip_bfloat16S1_Li128ELi8ELi128ELNS_18Fp8KVCacheDataTypeE0ELb0ELi512EEEvPfS3_PT_PKS4_PKT0_SA_ifPKiSC_iPKfiiiSE_SE_iiiii
	.p2align	8
	.type	_ZN4vllm25paged_attention_v2_kernelI14__hip_bfloat16S1_Li128ELi8ELi128ELNS_18Fp8KVCacheDataTypeE0ELb0ELi512EEEvPfS3_PT_PKS4_PKT0_SA_ifPKiSC_iPKfiiiSE_SE_iiiii,@function
_ZN4vllm25paged_attention_v2_kernelI14__hip_bfloat16S1_Li128ELi8ELi128ELNS_18Fp8KVCacheDataTypeE0ELb0ELi512EEEvPfS3_PT_PKS4_PKT0_SA_ifPKiSC_iPKfiiiSE_SE_iiiii: ; @_ZN4vllm25paged_attention_v2_kernelI14__hip_bfloat16S1_Li128ELi8ELi128ELNS_18Fp8KVCacheDataTypeE0ELb0ELi512EEEvPfS3_PT_PKS4_PKT0_SA_ifPKiSC_iPKfiiiSE_SE_iiiii
; %bb.0:
	s_load_dwordx2 s[6:7], s[0:1], 0x40
	s_mov_b32 s24, s3
	s_ashr_i32 s25, s3, 31
	s_lshl_b64 s[8:9], s[24:25], 2
	s_waitcnt lgkmcnt(0)
	s_add_u32 s6, s6, s8
	s_addc_u32 s7, s7, s9
	s_load_dword s25, s[6:7], 0x0
	s_lshl_b32 s33, s4, 9
	s_waitcnt lgkmcnt(0)
	s_cmp_ge_i32 s33, s25
	s_cbranch_scc1 .LBB150_158
; %bb.1:
	s_load_dword s5, s[0:1], 0x90
	s_load_dwordx2 s[10:11], s[0:1], 0x30
	s_waitcnt lgkmcnt(0)
	s_abs_i32 s7, s5
	s_abs_i32 s3, s10
	v_cvt_f32_u32_e32 v1, s3
	s_sub_i32 s8, 0, s3
	s_xor_b32 s6, s5, s10
	s_ashr_i32 s6, s6, 31
	v_rcp_iflag_f32_e32 v1, v1
	s_nop 0
	v_mul_f32_e32 v1, 0x4f7ffffe, v1
	v_cvt_u32_f32_e32 v1, v1
	s_nop 0
	v_readfirstlane_b32 s9, v1
	s_mul_i32 s8, s8, s9
	s_mul_hi_u32 s8, s9, s8
	s_add_i32 s9, s9, s8
	s_mul_hi_u32 s8, s7, s9
	s_mul_i32 s9, s8, s3
	s_sub_i32 s7, s7, s9
	s_add_i32 s10, s8, 1
	s_sub_i32 s9, s7, s3
	s_cmp_ge_u32 s7, s3
	s_cselect_b32 s8, s10, s8
	s_cselect_b32 s7, s9, s7
	s_add_i32 s9, s8, 1
	s_cmp_ge_u32 s7, s3
	s_cselect_b32 s3, s9, s8
	s_xor_b32 s3, s3, s6
	s_sub_i32 s12, s3, s6
	s_abs_i32 s8, s12
	v_cvt_f32_u32_e32 v1, s8
	s_load_dwordx2 s[6:7], s[0:1], 0x50
	s_sub_i32 s3, 0, s8
	s_abs_i32 s9, s2
	v_rcp_iflag_f32_e32 v1, v1
	s_mov_b32 s10, 0
	v_mul_f32_e32 v1, 0x4f7ffffe, v1
	v_cvt_u32_f32_e32 v1, v1
	s_nop 0
	v_readfirstlane_b32 s13, v1
	s_mul_i32 s3, s3, s13
	s_mul_hi_u32 s3, s13, s3
	s_add_i32 s13, s13, s3
	s_waitcnt lgkmcnt(0)
	s_cmp_eq_u64 s[6:7], 0
	s_mul_hi_u32 s16, s9, s13
	s_cbranch_scc1 .LBB150_3
; %bb.2:
	s_ashr_i32 s3, s2, 31
	s_lshl_b64 s[14:15], s[2:3], 2
	s_add_u32 s6, s6, s14
	s_addc_u32 s7, s7, s15
	s_load_dword s10, s[6:7], 0x0
.LBB150_3:
	s_ashr_i32 s18, s12, 31
	s_load_dwordx4 s[12:15], s[0:1], 0x58
	s_movk_i32 s3, 0x80
	s_ashr_i32 s17, s2, 31
	v_and_b32_e32 v4, 7, v0
	s_lshl_b32 s20, s2, 7
	v_cmp_gt_u32_e32 vcc, s3, v0
	v_lshlrev_b32_e32 v10, 1, v0
	s_and_saveexec_b64 s[6:7], vcc
	s_cbranch_execz .LBB150_5
; %bb.4:
	s_load_dwordx2 s[22:23], s[0:1], 0x18
	s_waitcnt lgkmcnt(0)
	s_mul_i32 s26, s24, s12
	s_ashr_i32 s27, s26, 31
	s_lshl_b64 s[26:27], s[26:27], 1
	v_lshrrev_b32_e32 v2, 2, v0
	s_add_u32 s3, s22, s26
	s_addc_u32 s12, s23, s27
	s_ashr_i32 s21, s20, 31
	s_lshl_b64 s[22:23], s[20:21], 1
	s_add_u32 s22, s3, s22
	s_addc_u32 s23, s12, s23
	global_load_ushort v1, v10, s[22:23]
	v_and_b32_e32 v2, 0xfe, v2
	v_lshl_add_u32 v2, v4, 5, v2
	s_waitcnt vmcnt(0)
	ds_write_b16 v2, v1
.LBB150_5:
	s_or_b64 exec, exec, s[6:7]
	s_add_i32 s3, s25, 7
	s_ashr_i32 s6, s3, 31
	s_lshr_b32 s6, s6, 29
	s_add_i32 s3, s3, s6
	s_ashr_i32 s40, s3, 3
	s_lshl_b32 s3, s4, 6
	s_mul_i32 s7, s16, s8
	s_add_i32 s6, s3, 64
	s_sub_i32 s7, s9, s7
	s_min_i32 s21, s6, s40
	s_xor_b32 s6, s17, s18
	s_add_i32 s9, s16, 1
	s_waitcnt lgkmcnt(0)
	s_sub_i32 s12, s7, s8
	s_cmp_ge_u32 s7, s8
	s_cselect_b32 s9, s9, s16
	s_cselect_b32 s7, s12, s7
	s_add_i32 s12, s9, 1
	s_cmp_ge_u32 s7, s8
	s_load_dwordx2 s[26:27], s[0:1], 0x38
	s_load_dword s8, s[0:1], 0x48
	v_lshrrev_b32_e32 v6, 6, v0
	s_cselect_b32 s7, s12, s9
	s_xor_b32 s7, s7, s6
	v_or_b32_e32 v12, s3, v6
	s_waitcnt lgkmcnt(0)
	s_mul_i32 s28, s24, s8
	s_sub_i32 s15, s7, s6
	s_ashr_i32 s29, s28, 31
	v_cmp_gt_i32_e64 s[6:7], s21, v12
	v_cmp_le_i32_e32 vcc, s21, v12
	v_mbcnt_lo_u32_b32 v5, -1, 0
	s_barrier
	s_waitcnt lgkmcnt(0)
                                        ; implicit-def: $sgpr36
                                        ; implicit-def: $vgpr8
                                        ; implicit-def: $vgpr9
	s_and_saveexec_b64 s[8:9], vcc
	s_xor_b64 s[8:9], exec, s[8:9]
; %bb.6:
	v_mbcnt_hi_u32_b32 v8, -1, v5
	v_and_b32_e32 v1, 64, v8
	v_add_u32_e32 v9, 64, v1
	s_mov_b32 s36, 0xff7fffff
                                        ; implicit-def: $vgpr4
                                        ; implicit-def: $vgpr5
; %bb.7:
	s_or_saveexec_b64 s[34:35], s[8:9]
	s_load_dwordx4 s[16:19], s[0:1], 0x0
	s_load_dwordx2 s[22:23], s[0:1], 0x10
	s_load_dwordx2 s[30:31], s[0:1], 0x28
	s_load_dword s12, s[0:1], 0x98
	v_mov_b32_e32 v27, s36
	s_mul_i32 s14, s15, s14
	v_ashrrev_i32_e32 v13, 31, v12
	v_lshlrev_b32_e32 v7, 3, v6
	s_xor_b64 exec, exec, s[34:35]
	s_cbranch_execz .LBB150_13
; %bb.8:
	s_load_dwordx2 s[0:1], s[0:1], 0x20
	s_ashr_i32 s15, s14, 31
	s_lshl_b64 s[8:9], s[14:15], 1
	v_bfe_u32 v33, v0, 3, 3
	v_lshlrev_b32_e32 v2, 4, v33
	s_waitcnt lgkmcnt(0)
	s_add_u32 s0, s0, s8
	s_addc_u32 s1, s1, s9
	v_mov_b32_e32 v3, 0
	v_lshl_add_u64 v[8:9], s[0:1], 0, v[2:3]
	v_lshlrev_b32_e32 v2, 1, v4
	v_lshl_add_u64 v[2:3], v[8:9], 0, v[2:3]
	v_mbcnt_hi_u32_b32 v8, -1, v5
	v_and_b32_e32 v5, 64, v8
	v_add_u32_e32 v9, 64, v5
	v_xor_b32_e32 v5, 4, v8
	v_cmp_lt_i32_e32 vcc, v5, v9
	v_lshlrev_b32_e32 v1, 5, v4
	ds_read_b128 v[16:19], v1
	ds_read_b128 v[24:27], v1 offset:16
	v_cndmask_b32_e32 v5, v8, v5, vcc
	v_lshlrev_b32_e32 v29, 2, v5
	v_xor_b32_e32 v5, 2, v8
	v_cmp_lt_i32_e32 vcc, v5, v9
	s_sub_i32 s15, 1, s25
	s_lshl_b64 s[8:9], s[28:29], 2
	v_cndmask_b32_e32 v5, v8, v5, vcc
	v_lshlrev_b32_e32 v30, 2, v5
	v_xor_b32_e32 v5, 1, v8
	v_cmp_lt_i32_e32 vcc, v5, v9
	s_add_u32 s8, s26, s8
	s_addc_u32 s9, s27, s9
	v_cndmask_b32_e32 v5, v8, v5, vcc
	v_cmp_eq_u32_e32 vcc, 0, v4
	v_lshlrev_b32_e32 v4, 2, v33
	v_lshl_or_b32 v4, v6, 5, v4
	s_mov_b32 s41, s13
	s_waitcnt lgkmcnt(1)
	v_lshlrev_b32_e32 v1, 16, v16
	v_and_b32_e32 v11, 0xffff0000, v16
	v_lshlrev_b32_e32 v14, 16, v17
	v_and_b32_e32 v15, 0xffff0000, v17
	;; [unrolled: 2-line block ×4, first 2 shown]
	s_waitcnt lgkmcnt(0)
	v_lshlrev_b32_e32 v20, 16, v24
	v_and_b32_e32 v21, 0xffff0000, v24
	v_lshlrev_b32_e32 v22, 16, v25
	v_and_b32_e32 v23, 0xffff0000, v25
	;; [unrolled: 2-line block ×4, first 2 shown]
	v_lshlrev_b32_e32 v31, 2, v5
	v_cmp_neq_f32_e64 s[0:1], s10, 0
	v_add3_u32 v32, s33, v7, v33
	v_add_u32_e32 v33, 0x110, v4
	v_lshl_add_u64 v[4:5], v[12:13], 2, s[8:9]
	s_mov_b64 s[36:37], 0
	v_mov_b32_e32 v27, 0xff7fffff
	v_mov_b32_e32 v34, v12
	s_branch .LBB150_10
.LBB150_9:                              ;   in Loop: Header=BB150_10 Depth=1
	s_or_b64 exec, exec, s[38:39]
	v_add_u32_e32 v34, 2, v34
	v_cmp_le_i32_e64 s[8:9], s21, v34
	v_add_u32_e32 v32, 16, v32
	v_add_u32_e32 v33, 64, v33
	s_or_b64 s[36:37], s[8:9], s[36:37]
	v_lshl_add_u64 v[4:5], v[4:5], 0, 8
	s_andn2_b64 exec, exec, s[36:37]
	s_cbranch_execz .LBB150_12
.LBB150_10:                             ; =>This Inner Loop Header: Depth=1
	global_load_dword v35, v[4:5], off
	s_waitcnt vmcnt(0) lgkmcnt(0)
	v_mad_i64_i32 v[36:37], s[8:9], v35, s41, 0
	v_lshl_add_u64 v[36:37], v[36:37], 1, v[2:3]
	global_load_ushort v35, v[36:37], off
	global_load_ushort v38, v[36:37], off offset:128
	global_load_ushort v39, v[36:37], off offset:256
	;; [unrolled: 1-line block ×14, first 2 shown]
	s_nop 0
	global_load_ushort v36, v[36:37], off offset:1920
	s_waitcnt vmcnt(15)
	v_lshlrev_b32_e32 v35, 16, v35
	s_waitcnt vmcnt(14)
	v_lshlrev_b32_e32 v37, 16, v38
	v_mul_f32_e32 v37, v11, v37
	s_waitcnt vmcnt(13)
	v_lshlrev_b32_e32 v38, 16, v39
	v_fmac_f32_e32 v37, v1, v35
	s_waitcnt vmcnt(12)
	v_lshlrev_b32_e32 v39, 16, v40
	v_fmac_f32_e32 v37, v14, v38
	;; [unrolled: 3-line block ×13, first 2 shown]
	v_fmac_f32_e32 v37, v26, v50
	s_waitcnt vmcnt(0)
	v_lshlrev_b32_e32 v35, 16, v36
	v_fmac_f32_e32 v37, v28, v35
	ds_bpermute_b32 v35, v29, v37
	s_waitcnt lgkmcnt(0)
	v_add_f32_e32 v35, v37, v35
	ds_bpermute_b32 v36, v30, v35
	s_waitcnt lgkmcnt(0)
	v_add_f32_e32 v35, v35, v36
	ds_bpermute_b32 v36, v31, v35
	s_and_saveexec_b64 s[38:39], vcc
	s_cbranch_execz .LBB150_9
; %bb.11:                               ;   in Loop: Header=BB150_10 Depth=1
	v_add_u32_e32 v37, s15, v32
	v_cvt_f32_i32_e32 v37, v37
	s_waitcnt lgkmcnt(0)
	v_add_f32_e32 v35, v35, v36
	v_cmp_gt_i32_e64 s[8:9], s25, v32
	v_max_f32_e32 v36, v27, v27
	v_mul_f32_e32 v37, s10, v37
	v_cndmask_b32_e64 v37, 0, v37, s[0:1]
	v_fmac_f32_e32 v37, s11, v35
	v_cndmask_b32_e64 v35, 0, v37, s[8:9]
	ds_write_b32 v33, v35
	v_max_f32_e32 v35, v36, v37
	v_cndmask_b32_e64 v27, v27, v35, s[8:9]
	s_branch .LBB150_9
.LBB150_12:
	s_or_b64 exec, exec, s[36:37]
.LBB150_13:
	s_or_b64 exec, exec, s[34:35]
	v_xor_b32_e32 v1, 32, v8
	v_cmp_lt_i32_e32 vcc, v1, v9
	v_xor_b32_e32 v4, 16, v8
	v_max_f32_e32 v2, v27, v27
	v_cndmask_b32_e32 v1, v8, v1, vcc
	v_lshlrev_b32_e32 v3, 2, v1
	ds_bpermute_b32 v1, v3, v27
	v_cmp_lt_i32_e32 vcc, v4, v9
	v_xor_b32_e32 v5, 8, v8
	s_waitcnt lgkmcnt(0)
	v_max_f32_e32 v1, v1, v1
	v_max_f32_e32 v1, v2, v1
	v_cndmask_b32_e32 v2, v8, v4, vcc
	v_lshlrev_b32_e32 v11, 2, v2
	ds_bpermute_b32 v2, v11, v1
	v_cmp_lt_i32_e32 vcc, v5, v9
	s_waitcnt lgkmcnt(0)
	v_max_f32_e32 v2, v2, v2
	v_max_f32_e32 v4, v1, v2
	v_cndmask_b32_e32 v1, v8, v5, vcc
	v_lshlrev_b32_e32 v14, 2, v1
	ds_bpermute_b32 v5, v14, v4
	v_and_b32_e32 v1, 63, v0
	v_cmp_eq_u32_e32 vcc, 0, v1
	v_lshlrev_b32_e32 v2, 2, v6
	s_and_saveexec_b64 s[0:1], vcc
	s_cbranch_execz .LBB150_15
; %bb.14:
	s_waitcnt lgkmcnt(0)
	v_max_f32_e32 v5, v5, v5
	v_max_f32_e32 v4, v4, v4
	;; [unrolled: 1-line block ×3, first 2 shown]
	ds_write_b32 v2, v4 offset:256
.LBB150_15:
	s_or_b64 exec, exec, s[0:1]
	v_cmp_gt_u32_e64 s[0:1], 2, v1
	v_mov_b32_e32 v4, 0xff7fffff
	s_waitcnt lgkmcnt(0)
	v_lshlrev_b32_e32 v5, 2, v1
	s_barrier
	s_and_saveexec_b64 s[8:9], s[0:1]
	s_cbranch_execz .LBB150_17
; %bb.16:
	ds_read_b32 v4, v5 offset:256
.LBB150_17:
	s_or_b64 exec, exec, s[8:9]
	v_xor_b32_e32 v15, 1, v8
	v_cmp_lt_i32_e64 s[8:9], v15, v9
	s_sub_i32 s3, s21, s3
	s_lshl_b32 s3, s3, 3
	v_cndmask_b32_e64 v15, v8, v15, s[8:9]
	v_lshlrev_b32_e32 v15, 2, v15
	s_waitcnt lgkmcnt(0)
	ds_bpermute_b32 v16, v15, v4
	v_max_f32_e32 v4, v4, v4
	s_add_i32 s3, s3, s33
	s_min_i32 s15, s3, s25
	s_sub_i32 s3, s15, s33
	s_waitcnt lgkmcnt(0)
	v_max_f32_e32 v16, v16, v16
	v_max_f32_e32 v4, v4, v16
	v_lshlrev_b32_e32 v16, 2, v8
	v_and_b32_e32 v16, 0xffffff00, v16
	ds_bpermute_b32 v4, v16, v4
	v_cmp_gt_i32_e64 s[8:9], s3, v0
	v_mov_b32_e32 v17, 0
	s_and_saveexec_b64 s[34:35], s[8:9]
	s_cbranch_execz .LBB150_21
; %bb.18:
	v_mov_b32_e32 v17, 0x110
	v_lshl_add_u32 v18, v0, 2, v17
	s_mov_b64 s[36:37], 0
	v_mov_b32_e32 v17, 0
	v_mov_b32_e32 v19, v0
.LBB150_19:                             ; =>This Inner Loop Header: Depth=1
	ds_read_b32 v20, v18
	v_add_u32_e32 v19, 0x80, v19
	v_cmp_le_i32_e64 s[10:11], s3, v19
	s_or_b64 s[36:37], s[10:11], s[36:37]
	s_waitcnt lgkmcnt(0)
	v_sub_f32_e32 v20, v20, v4
	v_mul_f32_e32 v20, 0x3fb8aa3b, v20
	v_exp_f32_e32 v20, v20
	ds_write_b32 v18, v20
	v_add_f32_e32 v17, v17, v20
	v_add_u32_e32 v18, 0x200, v18
	s_andn2_b64 exec, exec, s[36:37]
	s_cbranch_execnz .LBB150_19
; %bb.20:
	s_or_b64 exec, exec, s[36:37]
.LBB150_21:
	s_or_b64 exec, exec, s[34:35]
	ds_bpermute_b32 v3, v3, v17
	s_waitcnt lgkmcnt(0)
	v_add_f32_e32 v3, v17, v3
	ds_bpermute_b32 v11, v11, v3
	s_waitcnt lgkmcnt(0)
	v_add_f32_e32 v3, v3, v11
	ds_bpermute_b32 v11, v14, v3
	v_xor_b32_e32 v14, 4, v8
	v_cmp_lt_i32_e64 s[10:11], v14, v9
	s_waitcnt lgkmcnt(0)
	v_add_f32_e32 v3, v3, v11
	v_cndmask_b32_e64 v14, v8, v14, s[10:11]
	v_lshlrev_b32_e32 v14, 2, v14
	ds_bpermute_b32 v11, v14, v3
	v_xor_b32_e32 v14, 2, v8
	v_cmp_lt_i32_e64 s[10:11], v14, v9
	s_waitcnt lgkmcnt(0)
	v_add_f32_e32 v3, v3, v11
	v_cndmask_b32_e64 v8, v8, v14, s[10:11]
	v_lshlrev_b32_e32 v8, 2, v8
	ds_bpermute_b32 v8, v8, v3
	s_waitcnt lgkmcnt(0)
	v_add_f32_e32 v3, v3, v8
	ds_bpermute_b32 v8, v15, v3
	s_waitcnt lgkmcnt(0)
	v_add_f32_e32 v3, v3, v8
	s_and_saveexec_b64 s[10:11], vcc
	s_cbranch_execz .LBB150_23
; %bb.22:
	ds_write_b32 v2, v3 offset:264
.LBB150_23:
	s_or_b64 exec, exec, s[10:11]
	s_waitcnt lgkmcnt(0)
	s_barrier
	s_and_saveexec_b64 s[10:11], s[0:1]
	s_cbranch_execz .LBB150_25
; %bb.24:
	ds_read_b32 v3, v5 offset:264
.LBB150_25:
	s_or_b64 exec, exec, s[10:11]
	s_waitcnt lgkmcnt(0)
	ds_bpermute_b32 v2, v15, v3
	s_waitcnt lgkmcnt(0)
	v_add_f32_e32 v2, v3, v2
	ds_bpermute_b32 v5, v16, v2
	s_and_saveexec_b64 s[0:1], s[8:9]
	s_cbranch_execz .LBB150_38
; %bb.26:
	s_waitcnt lgkmcnt(0)
	v_add_f32_e32 v2, 0x358637bd, v5
	v_div_scale_f32 v3, s[8:9], v2, v2, 1.0
	v_rcp_f32_e32 v8, v3
	v_div_scale_f32 v9, vcc, 1.0, v2, 1.0
	s_movk_i32 s8, 0x7f
	v_fma_f32 v11, -v3, v8, 1.0
	v_fmac_f32_e32 v8, v11, v8
	v_mul_f32_e32 v11, v9, v8
	v_fma_f32 v14, -v3, v11, v9
	v_fmac_f32_e32 v11, v14, v8
	v_fma_f32 v3, -v3, v11, v9
	v_div_fmas_f32 v3, v3, v8, v11
	v_div_fixup_f32 v2, v3, v2, 1.0
	v_xad_u32 v3, v0, -1, s15
	v_subrev_u32_e32 v8, s33, v3
	v_cmp_lt_u32_e32 vcc, s8, v8
	s_mov_b64 s[10:11], -1
	v_mov_b32_e32 v3, v0
	s_and_saveexec_b64 s[8:9], vcc
	s_cbranch_execz .LBB150_35
; %bb.27:
	v_lshrrev_b32_e32 v8, 7, v8
	v_add_u32_e32 v11, -1, v8
	v_lshrrev_b32_e32 v9, 1, v11
	v_mov_b32_e32 v3, v2
	v_add_u32_e32 v9, 1, v9
	v_cmp_lt_u32_e32 vcc, 13, v11
	v_mov_b32_e32 v15, 0
	s_and_saveexec_b64 s[10:11], vcc
	s_cbranch_execz .LBB150_31
; %bb.28:
	v_mov_b32_e32 v14, 0x110
	v_and_b32_e32 v11, -8, v9
	v_lshl_add_u32 v14, v0, 2, v14
	s_mov_b32 s15, 0
	s_mov_b64 s[34:35], 0
.LBB150_29:                             ; =>This Inner Loop Header: Depth=1
	ds_read2st64_b32 v[16:17], v14 offset1:2
	ds_read2st64_b32 v[18:19], v14 offset0:4 offset1:6
	ds_read2st64_b32 v[20:21], v14 offset0:8 offset1:10
	;; [unrolled: 1-line block ×3, first 2 shown]
	v_add_u32_e32 v11, -8, v11
	s_waitcnt lgkmcnt(3)
	v_pk_mul_f32 v[16:17], v[2:3], v[16:17]
	s_waitcnt lgkmcnt(2)
	v_pk_mul_f32 v[18:19], v[2:3], v[18:19]
	ds_write2st64_b32 v14, v16, v17 offset1:2
	ds_write2st64_b32 v14, v18, v19 offset0:4 offset1:6
	ds_read2st64_b32 v[18:19], v14 offset0:16 offset1:18
	s_waitcnt lgkmcnt(4)
	v_pk_mul_f32 v[16:17], v[2:3], v[20:21]
	ds_write2st64_b32 v14, v16, v17 offset0:8 offset1:10
	s_waitcnt lgkmcnt(4)
	v_pk_mul_f32 v[16:17], v[2:3], v[22:23]
	ds_write2st64_b32 v14, v16, v17 offset0:12 offset1:14
	ds_read2st64_b32 v[16:17], v14 offset0:20 offset1:22
	s_waitcnt lgkmcnt(3)
	v_pk_mul_f32 v[18:19], v[2:3], v[18:19]
	ds_read2st64_b32 v[20:21], v14 offset0:24 offset1:26
	ds_write2st64_b32 v14, v18, v19 offset0:16 offset1:18
	ds_read2st64_b32 v[18:19], v14 offset0:28 offset1:30
	s_waitcnt lgkmcnt(3)
	v_pk_mul_f32 v[16:17], v[2:3], v[16:17]
	ds_write2st64_b32 v14, v16, v17 offset0:20 offset1:22
	s_waitcnt lgkmcnt(3)
	v_pk_mul_f32 v[16:17], v[2:3], v[20:21]
	ds_write2st64_b32 v14, v16, v17 offset0:24 offset1:26
	s_waitcnt lgkmcnt(2)
	v_pk_mul_f32 v[16:17], v[2:3], v[18:19]
	s_add_i32 s15, s15, 16
	v_cmp_eq_u32_e32 vcc, 0, v11
	ds_write2st64_b32 v14, v16, v17 offset0:28 offset1:30
	v_add_u32_e32 v14, 0x2000, v14
	s_or_b64 s[34:35], vcc, s[34:35]
	v_mov_b32_e32 v15, s15
	s_andn2_b64 exec, exec, s[34:35]
	s_cbranch_execnz .LBB150_29
; %bb.30:
	s_or_b64 exec, exec, s[34:35]
.LBB150_31:
	s_or_b64 exec, exec, s[10:11]
	v_and_b32_e32 v9, 7, v9
	v_cmp_ne_u32_e32 vcc, 0, v9
	s_and_saveexec_b64 s[10:11], vcc
	s_cbranch_execz .LBB150_34
; %bb.32:
	v_lshlrev_b32_e32 v11, 9, v15
	v_lshlrev_b32_e32 v14, 2, v0
	s_movk_i32 s15, 0x110
	v_add3_u32 v11, v11, v14, s15
	s_mov_b64 s[34:35], 0
.LBB150_33:                             ; =>This Inner Loop Header: Depth=1
	ds_read2st64_b32 v[14:15], v11 offset1:2
	v_add_u32_e32 v9, -1, v9
	v_cmp_eq_u32_e32 vcc, 0, v9
	s_or_b64 s[34:35], vcc, s[34:35]
	s_waitcnt lgkmcnt(0)
	v_pk_mul_f32 v[14:15], v[2:3], v[14:15]
	ds_write2st64_b32 v11, v14, v15 offset1:2
	v_add_u32_e32 v11, 0x400, v11
	s_andn2_b64 exec, exec, s[34:35]
	s_cbranch_execnz .LBB150_33
.LBB150_34:
	s_or_b64 exec, exec, s[10:11]
	v_add_u32_e32 v8, 1, v8
	v_and_b32_e32 v9, 0x3fffffe, v8
	v_cmp_ne_u32_e32 vcc, v8, v9
	v_lshl_add_u32 v3, v9, 7, v0
	s_orn2_b64 s[10:11], vcc, exec
.LBB150_35:
	s_or_b64 exec, exec, s[8:9]
	s_and_b64 exec, exec, s[10:11]
	s_cbranch_execz .LBB150_38
; %bb.36:
	v_mov_b32_e32 v8, 0x110
	v_lshl_add_u32 v8, v3, 2, v8
	s_mov_b64 s[8:9], 0
.LBB150_37:                             ; =>This Inner Loop Header: Depth=1
	ds_read_b32 v9, v8
	v_add_u32_e32 v3, 0x80, v3
	v_cmp_le_i32_e32 vcc, s3, v3
	s_or_b64 s[8:9], vcc, s[8:9]
	s_waitcnt lgkmcnt(0)
	v_mul_f32_e32 v9, v2, v9
	ds_write_b32 v8, v9
	v_add_u32_e32 v8, 0x200, v8
	s_andn2_b64 exec, exec, s[8:9]
	s_cbranch_execnz .LBB150_37
.LBB150_38:
	s_or_b64 exec, exec, s[0:1]
	s_mul_i32 s1, s12, s24
	s_mov_b32 s0, 0
	v_cmp_eq_u32_e32 vcc, 0, v0
	s_mul_i32 s8, s1, s5
	s_waitcnt lgkmcnt(0)
	s_barrier
	s_and_saveexec_b64 s[10:11], vcc
	s_cbranch_execz .LBB150_40
; %bb.39:
	s_ashr_i32 s9, s8, 31
	s_lshl_b64 s[34:35], s[8:9], 2
	s_add_u32 s1, s18, s34
	s_mul_i32 s2, s12, s2
	s_addc_u32 s5, s19, s35
	s_ashr_i32 s3, s2, 31
	s_lshl_b64 s[2:3], s[2:3], 2
	s_add_u32 s1, s1, s2
	s_addc_u32 s9, s5, s3
	s_ashr_i32 s5, s4, 31
	s_lshl_b64 s[18:19], s[4:5], 2
	s_add_u32 s36, s1, s18
	s_addc_u32 s37, s9, s19
	s_add_u32 s1, s16, s34
	s_addc_u32 s5, s17, s35
	s_add_u32 s1, s1, s2
	s_addc_u32 s3, s5, s3
	s_add_u32 s2, s1, s18
	v_mov_b32_e32 v2, 0
	s_addc_u32 s3, s3, s19
	global_store_dword v2, v4, s[36:37]
	global_store_dword v2, v5, s[2:3]
.LBB150_40:
	s_or_b64 exec, exec, s[10:11]
	s_mov_b32 s1, s0
	v_mov_b64_e32 v[2:3], s[0:1]
	s_and_saveexec_b64 s[2:3], s[6:7]
	s_cbranch_execz .LBB150_144
; %bb.41:
	s_ashr_i32 s15, s14, 31
	s_lshl_b64 s[0:1], s[14:15], 1
	s_add_u32 s0, s30, s0
	s_addc_u32 s1, s31, s1
	v_lshlrev_b32_e32 v14, 4, v1
	v_mov_b32_e32 v15, 0
	s_add_i32 s9, s40, -1
	v_lshl_add_u64 v[16:17], s[0:1], 0, v[14:15]
	s_lshl_b64 s[0:1], s[28:29], 2
	s_add_u32 s0, s26, s0
	v_mov_b32_e32 v2, 0x110
	s_addc_u32 s1, s27, s1
	s_mov_b32 s5, s13
	v_add3_u32 v11, s33, v7, 7
	v_lshl_add_u32 v14, v6, 5, v2
	v_lshl_add_u64 v[18:19], v[12:13], 2, s[0:1]
	s_mov_b64 s[6:7], 0
	s_mov_b32 s13, 0x7f800000
	s_movk_i32 s14, 0x7fff
	v_mov_b32_e32 v20, 0
	v_mov_b32_e32 v21, v15
	s_branch .LBB150_43
.LBB150_42:                             ;   in Loop: Header=BB150_43 Depth=1
	s_or_b64 exec, exec, s[0:1]
	v_and_b32_e32 v2, 0xffff0000, v24
	v_and_b32_e32 v24, 0xffff0000, v23
	;; [unrolled: 1-line block ×6, first 2 shown]
	v_pk_add_f32 v[8:9], v[8:9], v[22:23]
	v_and_b32_e32 v3, 0xffff0000, v33
	v_and_b32_e32 v25, 0xffff0000, v25
	v_mov_b32_e32 v22, v9
	v_pk_add_f32 v[8:9], v[8:9], v[22:23]
	v_pk_add_f32 v[2:3], v[24:25], v[2:3]
	v_and_b32_e32 v23, 0xffff0000, v28
	v_pk_add_f32 v[8:9], v[8:9], v[2:3]
	v_mov_b32_e32 v2, v3
	v_pk_add_f32 v[2:3], v[8:9], v[2:3]
	v_and_b32_e32 v9, 0xffff0000, v7
	v_and_b32_e32 v22, 0xffff0000, v26
	;; [unrolled: 1-line block ×4, first 2 shown]
	v_pk_add_f32 v[6:7], v[6:7], v[22:23]
	v_and_b32_e32 v8, 0xffff0000, v29
	v_and_b32_e32 v5, 0xffff0000, v5
	;; [unrolled: 1-line block ×3, first 2 shown]
	v_mov_b32_e32 v22, v7
	v_pk_add_f32 v[6:7], v[6:7], v[22:23]
	v_pk_add_f32 v[4:5], v[4:5], v[8:9]
	;; [unrolled: 1-line block ×4, first 2 shown]
	v_mov_b32_e32 v4, v5
	v_pk_add_f32 v[4:5], v[6:7], v[4:5]
	v_add_u32_e32 v12, 2, v12
	v_mov_b32_e32 v3, v4
	v_pk_add_f32 v[20:21], v[20:21], v[2:3]
	v_cmp_le_i32_e32 vcc, s21, v12
	v_add_u32_e32 v11, 16, v11
	v_add_u32_e32 v14, 64, v14
	v_lshl_add_u64 v[18:19], v[18:19], 0, 8
	s_or_b64 s[6:7], vcc, s[6:7]
	v_mov_b32_e32 v20, v2
	s_andn2_b64 exec, exec, s[6:7]
	s_cbranch_execz .LBB150_143
.LBB150_43:                             ; =>This Inner Loop Header: Depth=1
	global_load_dword v26, v[18:19], off
	ds_read2_b64 v[6:9], v14 offset1:1
	ds_read2_b64 v[2:5], v14 offset0:2 offset1:3
                                        ; implicit-def: $vgpr34
	s_waitcnt lgkmcnt(1)
	v_and_b32_e32 v13, 0x7f800000, v6
	v_cmp_ne_u32_e32 vcc, s13, v13
	s_and_saveexec_b64 s[0:1], vcc
	s_xor_b64 s[0:1], exec, s[0:1]
; %bb.44:                               ;   in Loop: Header=BB150_43 Depth=1
	v_bfe_u32 v13, v6, 16, 1
	v_add3_u32 v34, v6, v13, s14
; %bb.45:                               ;   in Loop: Header=BB150_43 Depth=1
	s_andn2_saveexec_b64 s[0:1], s[0:1]
; %bb.46:                               ;   in Loop: Header=BB150_43 Depth=1
	v_or_b32_e32 v13, 0x10000, v6
	v_cmp_eq_u32_sdwa vcc, v6, v15 src0_sel:WORD_0 src1_sel:DWORD
	s_nop 1
	v_cndmask_b32_e32 v34, v13, v6, vcc
; %bb.47:                               ;   in Loop: Header=BB150_43 Depth=1
	s_or_b64 exec, exec, s[0:1]
	v_and_b32_e32 v6, 0x7f800000, v7
	v_cmp_ne_u32_e32 vcc, s13, v6
                                        ; implicit-def: $vgpr35
	s_and_saveexec_b64 s[0:1], vcc
	s_xor_b64 s[0:1], exec, s[0:1]
; %bb.48:                               ;   in Loop: Header=BB150_43 Depth=1
	v_bfe_u32 v6, v7, 16, 1
	v_add3_u32 v35, v7, v6, s14
; %bb.49:                               ;   in Loop: Header=BB150_43 Depth=1
	s_andn2_saveexec_b64 s[0:1], s[0:1]
; %bb.50:                               ;   in Loop: Header=BB150_43 Depth=1
	v_or_b32_e32 v6, 0x10000, v7
	v_cmp_eq_u32_sdwa vcc, v7, v15 src0_sel:WORD_0 src1_sel:DWORD
	s_nop 1
	v_cndmask_b32_e32 v35, v6, v7, vcc
; %bb.51:                               ;   in Loop: Header=BB150_43 Depth=1
	s_or_b64 exec, exec, s[0:1]
	v_and_b32_e32 v6, 0x7f800000, v8
	v_cmp_ne_u32_e32 vcc, s13, v6
                                        ; implicit-def: $vgpr13
	s_and_saveexec_b64 s[0:1], vcc
	s_xor_b64 s[0:1], exec, s[0:1]
; %bb.52:                               ;   in Loop: Header=BB150_43 Depth=1
	v_bfe_u32 v6, v8, 16, 1
	v_add3_u32 v13, v8, v6, s14
; %bb.53:                               ;   in Loop: Header=BB150_43 Depth=1
	s_andn2_saveexec_b64 s[0:1], s[0:1]
; %bb.54:                               ;   in Loop: Header=BB150_43 Depth=1
	v_or_b32_e32 v6, 0x10000, v8
	v_cmp_eq_u32_sdwa vcc, v8, v15 src0_sel:WORD_0 src1_sel:DWORD
	s_nop 1
	v_cndmask_b32_e32 v13, v6, v8, vcc
; %bb.55:                               ;   in Loop: Header=BB150_43 Depth=1
	s_or_b64 exec, exec, s[0:1]
	v_and_b32_e32 v6, 0x7f800000, v9
	v_cmp_ne_u32_e32 vcc, s13, v6
                                        ; implicit-def: $vgpr22
	s_and_saveexec_b64 s[0:1], vcc
	s_xor_b64 s[0:1], exec, s[0:1]
; %bb.56:                               ;   in Loop: Header=BB150_43 Depth=1
	v_bfe_u32 v6, v9, 16, 1
	v_add3_u32 v22, v9, v6, s14
                                        ; implicit-def: $vgpr6_vgpr7_vgpr8_vgpr9
; %bb.57:                               ;   in Loop: Header=BB150_43 Depth=1
	s_andn2_saveexec_b64 s[0:1], s[0:1]
; %bb.58:                               ;   in Loop: Header=BB150_43 Depth=1
	v_or_b32_e32 v6, 0x10000, v9
	v_cmp_eq_u32_sdwa vcc, v9, v15 src0_sel:WORD_0 src1_sel:DWORD
	s_nop 1
	v_cndmask_b32_e32 v22, v6, v9, vcc
; %bb.59:                               ;   in Loop: Header=BB150_43 Depth=1
	s_or_b64 exec, exec, s[0:1]
	s_waitcnt lgkmcnt(0)
	v_and_b32_e32 v6, 0x7f800000, v2
	v_cmp_ne_u32_e32 vcc, s13, v6
                                        ; implicit-def: $vgpr23
	s_and_saveexec_b64 s[0:1], vcc
	s_xor_b64 s[0:1], exec, s[0:1]
; %bb.60:                               ;   in Loop: Header=BB150_43 Depth=1
	v_bfe_u32 v6, v2, 16, 1
	v_add3_u32 v23, v2, v6, s14
; %bb.61:                               ;   in Loop: Header=BB150_43 Depth=1
	s_andn2_saveexec_b64 s[0:1], s[0:1]
; %bb.62:                               ;   in Loop: Header=BB150_43 Depth=1
	v_or_b32_e32 v6, 0x10000, v2
	v_cmp_eq_u32_sdwa vcc, v2, v15 src0_sel:WORD_0 src1_sel:DWORD
	s_nop 1
	v_cndmask_b32_e32 v23, v6, v2, vcc
; %bb.63:                               ;   in Loop: Header=BB150_43 Depth=1
	s_or_b64 exec, exec, s[0:1]
	v_and_b32_e32 v2, 0x7f800000, v3
	v_cmp_ne_u32_e32 vcc, s13, v2
                                        ; implicit-def: $vgpr24
	s_and_saveexec_b64 s[0:1], vcc
	s_xor_b64 s[0:1], exec, s[0:1]
; %bb.64:                               ;   in Loop: Header=BB150_43 Depth=1
	v_bfe_u32 v2, v3, 16, 1
	v_add3_u32 v24, v3, v2, s14
; %bb.65:                               ;   in Loop: Header=BB150_43 Depth=1
	s_andn2_saveexec_b64 s[0:1], s[0:1]
; %bb.66:                               ;   in Loop: Header=BB150_43 Depth=1
	v_or_b32_e32 v2, 0x10000, v3
	v_cmp_eq_u32_sdwa vcc, v3, v15 src0_sel:WORD_0 src1_sel:DWORD
	s_nop 1
	v_cndmask_b32_e32 v24, v2, v3, vcc
; %bb.67:                               ;   in Loop: Header=BB150_43 Depth=1
	s_or_b64 exec, exec, s[0:1]
	v_and_b32_e32 v2, 0x7f800000, v4
	v_cmp_ne_u32_e32 vcc, s13, v2
                                        ; implicit-def: $vgpr25
	s_and_saveexec_b64 s[0:1], vcc
	s_xor_b64 s[0:1], exec, s[0:1]
; %bb.68:                               ;   in Loop: Header=BB150_43 Depth=1
	v_bfe_u32 v2, v4, 16, 1
	v_add3_u32 v25, v4, v2, s14
; %bb.69:                               ;   in Loop: Header=BB150_43 Depth=1
	s_andn2_saveexec_b64 s[0:1], s[0:1]
; %bb.70:                               ;   in Loop: Header=BB150_43 Depth=1
	v_or_b32_e32 v2, 0x10000, v4
	v_cmp_eq_u32_sdwa vcc, v4, v15 src0_sel:WORD_0 src1_sel:DWORD
	s_nop 1
	v_cndmask_b32_e32 v25, v2, v4, vcc
; %bb.71:                               ;   in Loop: Header=BB150_43 Depth=1
	s_or_b64 exec, exec, s[0:1]
	v_and_b32_e32 v2, 0x7f800000, v5
	v_cmp_ne_u32_e32 vcc, s13, v2
                                        ; implicit-def: $vgpr33
	s_and_saveexec_b64 s[0:1], vcc
	s_xor_b64 s[0:1], exec, s[0:1]
; %bb.72:                               ;   in Loop: Header=BB150_43 Depth=1
	v_bfe_u32 v2, v5, 16, 1
	v_add3_u32 v33, v5, v2, s14
                                        ; implicit-def: $vgpr2_vgpr3_vgpr4_vgpr5
; %bb.73:                               ;   in Loop: Header=BB150_43 Depth=1
	s_andn2_saveexec_b64 s[0:1], s[0:1]
; %bb.74:                               ;   in Loop: Header=BB150_43 Depth=1
	v_or_b32_e32 v2, 0x10000, v5
	v_cmp_eq_u32_sdwa vcc, v5, v15 src0_sel:WORD_0 src1_sel:DWORD
	s_nop 1
	v_cndmask_b32_e32 v33, v2, v5, vcc
; %bb.75:                               ;   in Loop: Header=BB150_43 Depth=1
	s_or_b64 exec, exec, s[0:1]
	s_waitcnt vmcnt(0)
	v_mad_i64_i32 v[2:3], s[0:1], v26, s5, 0
	v_lshl_add_u64 v[6:7], v[2:3], 1, v[16:17]
	global_load_dwordx4 v[2:5], v[6:7], off
	v_add_u32_e32 v26, -7, v11
	v_cmp_eq_u32_e32 vcc, s9, v12
	v_add_u32_e32 v32, -6, v11
	v_add_u32_e32 v30, -5, v11
	;; [unrolled: 1-line block ×6, first 2 shown]
	s_waitcnt vmcnt(0)
	v_lshrrev_b32_e32 v9, 16, v2
	v_lshrrev_b32_e32 v38, 16, v3
	;; [unrolled: 1-line block ×4, first 2 shown]
	s_and_saveexec_b64 s[10:11], vcc
	s_cbranch_execz .LBB150_77
; %bb.76:                               ;   in Loop: Header=BB150_43 Depth=1
	v_cmp_gt_i32_e64 s[0:1], s25, v26
	s_nop 1
	v_cndmask_b32_e64 v2, 0, v2, s[0:1]
	v_cmp_gt_i32_e64 s[0:1], s25, v32
	s_nop 1
	v_cndmask_b32_e64 v9, 0, v9, s[0:1]
	;; [unrolled: 3-line block ×8, first 2 shown]
.LBB150_77:                             ;   in Loop: Header=BB150_43 Depth=1
	s_or_b64 exec, exec, s[10:11]
	v_and_b32_e32 v34, 0xffff0000, v34
	v_lshlrev_b32_e32 v2, 16, v2
	v_mul_f32_e32 v2, v34, v2
	v_and_b32_e32 v8, 0x7f800000, v2
	v_cmp_ne_u32_e64 s[0:1], s13, v8
                                        ; implicit-def: $vgpr8
	s_and_saveexec_b64 s[10:11], s[0:1]
	s_xor_b64 s[0:1], exec, s[10:11]
; %bb.78:                               ;   in Loop: Header=BB150_43 Depth=1
	v_bfe_u32 v8, v2, 16, 1
	v_add3_u32 v8, v2, v8, s14
                                        ; implicit-def: $vgpr2
; %bb.79:                               ;   in Loop: Header=BB150_43 Depth=1
	s_andn2_saveexec_b64 s[10:11], s[0:1]
; %bb.80:                               ;   in Loop: Header=BB150_43 Depth=1
	v_or_b32_e32 v8, 0x10000, v2
	v_cmp_eq_u32_sdwa s[0:1], v2, v15 src0_sel:WORD_0 src1_sel:DWORD
	s_nop 1
	v_cndmask_b32_e64 v8, v8, v2, s[0:1]
; %bb.81:                               ;   in Loop: Header=BB150_43 Depth=1
	s_or_b64 exec, exec, s[10:11]
	v_and_b32_e32 v35, 0xffff0000, v35
	v_lshlrev_b32_e32 v2, 16, v9
	v_mul_f32_e32 v2, v35, v2
	v_and_b32_e32 v9, 0x7f800000, v2
	v_cmp_ne_u32_e64 s[0:1], s13, v9
                                        ; implicit-def: $vgpr9
	s_and_saveexec_b64 s[10:11], s[0:1]
	s_xor_b64 s[0:1], exec, s[10:11]
; %bb.82:                               ;   in Loop: Header=BB150_43 Depth=1
	v_bfe_u32 v9, v2, 16, 1
	v_add3_u32 v9, v2, v9, s14
                                        ; implicit-def: $vgpr2
; %bb.83:                               ;   in Loop: Header=BB150_43 Depth=1
	s_andn2_saveexec_b64 s[10:11], s[0:1]
; %bb.84:                               ;   in Loop: Header=BB150_43 Depth=1
	v_or_b32_e32 v9, 0x10000, v2
	v_cmp_eq_u32_sdwa s[0:1], v2, v15 src0_sel:WORD_0 src1_sel:DWORD
	s_nop 1
	v_cndmask_b32_e64 v9, v9, v2, s[0:1]
; %bb.85:                               ;   in Loop: Header=BB150_43 Depth=1
	s_or_b64 exec, exec, s[10:11]
	v_and_b32_e32 v36, 0xffff0000, v13
	v_lshlrev_b32_e32 v2, 16, v3
	v_mul_f32_e32 v2, v36, v2
	v_and_b32_e32 v3, 0x7f800000, v2
	v_cmp_ne_u32_e64 s[0:1], s13, v3
                                        ; implicit-def: $vgpr13
	s_and_saveexec_b64 s[10:11], s[0:1]
	s_xor_b64 s[0:1], exec, s[10:11]
; %bb.86:                               ;   in Loop: Header=BB150_43 Depth=1
	v_bfe_u32 v3, v2, 16, 1
	v_add3_u32 v13, v2, v3, s14
                                        ; implicit-def: $vgpr2
; %bb.87:                               ;   in Loop: Header=BB150_43 Depth=1
	s_andn2_saveexec_b64 s[10:11], s[0:1]
; %bb.88:                               ;   in Loop: Header=BB150_43 Depth=1
	v_or_b32_e32 v3, 0x10000, v2
	v_cmp_eq_u32_sdwa s[0:1], v2, v15 src0_sel:WORD_0 src1_sel:DWORD
	s_nop 1
	v_cndmask_b32_e64 v13, v3, v2, s[0:1]
; %bb.89:                               ;   in Loop: Header=BB150_43 Depth=1
	s_or_b64 exec, exec, s[10:11]
	v_and_b32_e32 v37, 0xffff0000, v22
	v_lshlrev_b32_e32 v2, 16, v38
	v_mul_f32_e32 v2, v37, v2
	v_and_b32_e32 v3, 0x7f800000, v2
	v_cmp_ne_u32_e64 s[0:1], s13, v3
                                        ; implicit-def: $vgpr22
	s_and_saveexec_b64 s[10:11], s[0:1]
	s_xor_b64 s[0:1], exec, s[10:11]
; %bb.90:                               ;   in Loop: Header=BB150_43 Depth=1
	v_bfe_u32 v3, v2, 16, 1
	v_add3_u32 v22, v2, v3, s14
                                        ; implicit-def: $vgpr2
; %bb.91:                               ;   in Loop: Header=BB150_43 Depth=1
	s_andn2_saveexec_b64 s[10:11], s[0:1]
; %bb.92:                               ;   in Loop: Header=BB150_43 Depth=1
	v_or_b32_e32 v3, 0x10000, v2
	v_cmp_eq_u32_sdwa s[0:1], v2, v15 src0_sel:WORD_0 src1_sel:DWORD
	s_nop 1
	v_cndmask_b32_e64 v22, v3, v2, s[0:1]
; %bb.93:                               ;   in Loop: Header=BB150_43 Depth=1
	s_or_b64 exec, exec, s[10:11]
	v_and_b32_e32 v38, 0xffff0000, v23
	v_lshlrev_b32_e32 v2, 16, v4
	v_mul_f32_e32 v2, v38, v2
	v_and_b32_e32 v3, 0x7f800000, v2
	v_cmp_ne_u32_e64 s[0:1], s13, v3
                                        ; implicit-def: $vgpr23
	s_and_saveexec_b64 s[10:11], s[0:1]
	s_xor_b64 s[0:1], exec, s[10:11]
; %bb.94:                               ;   in Loop: Header=BB150_43 Depth=1
	v_bfe_u32 v3, v2, 16, 1
	v_add3_u32 v23, v2, v3, s14
                                        ; implicit-def: $vgpr2
; %bb.95:                               ;   in Loop: Header=BB150_43 Depth=1
	s_andn2_saveexec_b64 s[10:11], s[0:1]
; %bb.96:                               ;   in Loop: Header=BB150_43 Depth=1
	v_or_b32_e32 v3, 0x10000, v2
	v_cmp_eq_u32_sdwa s[0:1], v2, v15 src0_sel:WORD_0 src1_sel:DWORD
	s_nop 1
	v_cndmask_b32_e64 v23, v3, v2, s[0:1]
; %bb.97:                               ;   in Loop: Header=BB150_43 Depth=1
	s_or_b64 exec, exec, s[10:11]
	v_and_b32_e32 v39, 0xffff0000, v24
	v_lshlrev_b32_e32 v2, 16, v40
	v_mul_f32_e32 v2, v39, v2
	v_and_b32_e32 v3, 0x7f800000, v2
	v_cmp_ne_u32_e64 s[0:1], s13, v3
                                        ; implicit-def: $vgpr24
	s_and_saveexec_b64 s[10:11], s[0:1]
	s_xor_b64 s[0:1], exec, s[10:11]
; %bb.98:                               ;   in Loop: Header=BB150_43 Depth=1
	v_bfe_u32 v3, v2, 16, 1
	v_add3_u32 v24, v2, v3, s14
                                        ; implicit-def: $vgpr2
; %bb.99:                               ;   in Loop: Header=BB150_43 Depth=1
	s_andn2_saveexec_b64 s[10:11], s[0:1]
; %bb.100:                              ;   in Loop: Header=BB150_43 Depth=1
	v_or_b32_e32 v3, 0x10000, v2
	v_cmp_eq_u32_sdwa s[0:1], v2, v15 src0_sel:WORD_0 src1_sel:DWORD
	s_nop 1
	v_cndmask_b32_e64 v24, v3, v2, s[0:1]
; %bb.101:                              ;   in Loop: Header=BB150_43 Depth=1
	s_or_b64 exec, exec, s[10:11]
	v_and_b32_e32 v40, 0xffff0000, v25
	v_lshlrev_b32_e32 v2, 16, v5
	v_mul_f32_e32 v2, v40, v2
	v_and_b32_e32 v3, 0x7f800000, v2
	v_cmp_ne_u32_e64 s[0:1], s13, v3
                                        ; implicit-def: $vgpr25
	s_and_saveexec_b64 s[10:11], s[0:1]
	s_xor_b64 s[0:1], exec, s[10:11]
; %bb.102:                              ;   in Loop: Header=BB150_43 Depth=1
	v_bfe_u32 v3, v2, 16, 1
	v_add3_u32 v25, v2, v3, s14
                                        ; implicit-def: $vgpr2
; %bb.103:                              ;   in Loop: Header=BB150_43 Depth=1
	s_andn2_saveexec_b64 s[10:11], s[0:1]
; %bb.104:                              ;   in Loop: Header=BB150_43 Depth=1
	v_or_b32_e32 v3, 0x10000, v2
	v_cmp_eq_u32_sdwa s[0:1], v2, v15 src0_sel:WORD_0 src1_sel:DWORD
	s_nop 1
	v_cndmask_b32_e64 v25, v3, v2, s[0:1]
; %bb.105:                              ;   in Loop: Header=BB150_43 Depth=1
	s_or_b64 exec, exec, s[10:11]
	v_and_b32_e32 v41, 0xffff0000, v33
	v_lshlrev_b32_e32 v2, 16, v42
	v_mul_f32_e32 v2, v41, v2
	v_and_b32_e32 v3, 0x7f800000, v2
	v_cmp_ne_u32_e64 s[0:1], s13, v3
                                        ; implicit-def: $vgpr33
	s_and_saveexec_b64 s[10:11], s[0:1]
	s_xor_b64 s[0:1], exec, s[10:11]
; %bb.106:                              ;   in Loop: Header=BB150_43 Depth=1
	v_bfe_u32 v3, v2, 16, 1
	v_add3_u32 v33, v2, v3, s14
                                        ; implicit-def: $vgpr2
; %bb.107:                              ;   in Loop: Header=BB150_43 Depth=1
	s_andn2_saveexec_b64 s[10:11], s[0:1]
; %bb.108:                              ;   in Loop: Header=BB150_43 Depth=1
	v_or_b32_e32 v3, 0x10000, v2
	v_cmp_eq_u32_sdwa s[0:1], v2, v15 src0_sel:WORD_0 src1_sel:DWORD
	s_nop 1
	v_cndmask_b32_e64 v33, v3, v2, s[0:1]
; %bb.109:                              ;   in Loop: Header=BB150_43 Depth=1
	s_or_b64 exec, exec, s[10:11]
	global_load_dwordx4 v[2:5], v[6:7], off offset:1024
	s_waitcnt vmcnt(0)
	v_lshrrev_b32_e32 v44, 16, v2
	v_lshrrev_b32_e32 v43, 16, v3
	;; [unrolled: 1-line block ×4, first 2 shown]
	s_and_saveexec_b64 s[0:1], vcc
	s_cbranch_execz .LBB150_111
; %bb.110:                              ;   in Loop: Header=BB150_43 Depth=1
	v_cmp_gt_i32_e32 vcc, s25, v26
	s_nop 1
	v_cndmask_b32_e32 v2, 0, v2, vcc
	v_cmp_gt_i32_e32 vcc, s25, v32
	s_nop 1
	v_cndmask_b32_e32 v44, 0, v44, vcc
	;; [unrolled: 3-line block ×8, first 2 shown]
.LBB150_111:                            ;   in Loop: Header=BB150_43 Depth=1
	s_or_b64 exec, exec, s[0:1]
	v_lshlrev_b32_e32 v2, 16, v2
	v_mul_f32_e32 v2, v34, v2
	v_and_b32_e32 v6, 0x7f800000, v2
	v_cmp_ne_u32_e32 vcc, s13, v6
                                        ; implicit-def: $vgpr6
	s_and_saveexec_b64 s[0:1], vcc
	s_xor_b64 s[0:1], exec, s[0:1]
; %bb.112:                              ;   in Loop: Header=BB150_43 Depth=1
	v_bfe_u32 v6, v2, 16, 1
	v_add3_u32 v6, v2, v6, s14
                                        ; implicit-def: $vgpr2
; %bb.113:                              ;   in Loop: Header=BB150_43 Depth=1
	s_andn2_saveexec_b64 s[0:1], s[0:1]
; %bb.114:                              ;   in Loop: Header=BB150_43 Depth=1
	v_or_b32_e32 v6, 0x10000, v2
	v_cmp_eq_u32_sdwa vcc, v2, v15 src0_sel:WORD_0 src1_sel:DWORD
	s_nop 1
	v_cndmask_b32_e32 v6, v6, v2, vcc
; %bb.115:                              ;   in Loop: Header=BB150_43 Depth=1
	s_or_b64 exec, exec, s[0:1]
	v_lshlrev_b32_e32 v2, 16, v44
	v_mul_f32_e32 v2, v35, v2
	v_and_b32_e32 v26, 0x7f800000, v2
	v_cmp_ne_u32_e32 vcc, s13, v26
                                        ; implicit-def: $vgpr26
	s_and_saveexec_b64 s[0:1], vcc
	s_xor_b64 s[0:1], exec, s[0:1]
; %bb.116:                              ;   in Loop: Header=BB150_43 Depth=1
	v_bfe_u32 v26, v2, 16, 1
	v_add3_u32 v26, v2, v26, s14
                                        ; implicit-def: $vgpr2
; %bb.117:                              ;   in Loop: Header=BB150_43 Depth=1
	s_andn2_saveexec_b64 s[0:1], s[0:1]
; %bb.118:                              ;   in Loop: Header=BB150_43 Depth=1
	v_or_b32_e32 v26, 0x10000, v2
	v_cmp_eq_u32_sdwa vcc, v2, v15 src0_sel:WORD_0 src1_sel:DWORD
	s_nop 1
	v_cndmask_b32_e32 v26, v26, v2, vcc
; %bb.119:                              ;   in Loop: Header=BB150_43 Depth=1
	s_or_b64 exec, exec, s[0:1]
	v_lshlrev_b32_e32 v2, 16, v3
	v_mul_f32_e32 v2, v36, v2
	v_and_b32_e32 v3, 0x7f800000, v2
	v_cmp_ne_u32_e32 vcc, s13, v3
                                        ; implicit-def: $vgpr27
	s_and_saveexec_b64 s[0:1], vcc
	s_xor_b64 s[0:1], exec, s[0:1]
; %bb.120:                              ;   in Loop: Header=BB150_43 Depth=1
	v_bfe_u32 v3, v2, 16, 1
	v_add3_u32 v27, v2, v3, s14
                                        ; implicit-def: $vgpr2
; %bb.121:                              ;   in Loop: Header=BB150_43 Depth=1
	s_andn2_saveexec_b64 s[0:1], s[0:1]
; %bb.122:                              ;   in Loop: Header=BB150_43 Depth=1
	v_or_b32_e32 v3, 0x10000, v2
	v_cmp_eq_u32_sdwa vcc, v2, v15 src0_sel:WORD_0 src1_sel:DWORD
	s_nop 1
	v_cndmask_b32_e32 v27, v3, v2, vcc
; %bb.123:                              ;   in Loop: Header=BB150_43 Depth=1
	s_or_b64 exec, exec, s[0:1]
	v_lshlrev_b32_e32 v2, 16, v43
	v_mul_f32_e32 v2, v37, v2
	v_and_b32_e32 v3, 0x7f800000, v2
	v_cmp_ne_u32_e32 vcc, s13, v3
                                        ; implicit-def: $vgpr28
	s_and_saveexec_b64 s[0:1], vcc
	s_xor_b64 s[0:1], exec, s[0:1]
; %bb.124:                              ;   in Loop: Header=BB150_43 Depth=1
	v_bfe_u32 v3, v2, 16, 1
	v_add3_u32 v28, v2, v3, s14
                                        ; implicit-def: $vgpr2
; %bb.125:                              ;   in Loop: Header=BB150_43 Depth=1
	s_andn2_saveexec_b64 s[0:1], s[0:1]
; %bb.126:                              ;   in Loop: Header=BB150_43 Depth=1
	v_or_b32_e32 v3, 0x10000, v2
	v_cmp_eq_u32_sdwa vcc, v2, v15 src0_sel:WORD_0 src1_sel:DWORD
	s_nop 1
	v_cndmask_b32_e32 v28, v3, v2, vcc
; %bb.127:                              ;   in Loop: Header=BB150_43 Depth=1
	s_or_b64 exec, exec, s[0:1]
	v_lshlrev_b32_e32 v2, 16, v4
	v_mul_f32_e32 v2, v38, v2
	v_and_b32_e32 v3, 0x7f800000, v2
	v_cmp_ne_u32_e32 vcc, s13, v3
                                        ; implicit-def: $vgpr4
	s_and_saveexec_b64 s[0:1], vcc
	s_xor_b64 s[0:1], exec, s[0:1]
; %bb.128:                              ;   in Loop: Header=BB150_43 Depth=1
	v_bfe_u32 v3, v2, 16, 1
	v_add3_u32 v4, v2, v3, s14
                                        ; implicit-def: $vgpr2
; %bb.129:                              ;   in Loop: Header=BB150_43 Depth=1
	s_andn2_saveexec_b64 s[0:1], s[0:1]
; %bb.130:                              ;   in Loop: Header=BB150_43 Depth=1
	v_or_b32_e32 v3, 0x10000, v2
	v_cmp_eq_u32_sdwa vcc, v2, v15 src0_sel:WORD_0 src1_sel:DWORD
	s_nop 1
	v_cndmask_b32_e32 v4, v3, v2, vcc
; %bb.131:                              ;   in Loop: Header=BB150_43 Depth=1
	s_or_b64 exec, exec, s[0:1]
	v_lshlrev_b32_e32 v2, 16, v42
	v_mul_f32_e32 v2, v39, v2
	v_and_b32_e32 v3, 0x7f800000, v2
	v_cmp_ne_u32_e32 vcc, s13, v3
                                        ; implicit-def: $vgpr29
	s_and_saveexec_b64 s[0:1], vcc
	s_xor_b64 s[0:1], exec, s[0:1]
; %bb.132:                              ;   in Loop: Header=BB150_43 Depth=1
	v_bfe_u32 v3, v2, 16, 1
	v_add3_u32 v29, v2, v3, s14
                                        ; implicit-def: $vgpr2
; %bb.133:                              ;   in Loop: Header=BB150_43 Depth=1
	s_andn2_saveexec_b64 s[0:1], s[0:1]
; %bb.134:                              ;   in Loop: Header=BB150_43 Depth=1
	v_or_b32_e32 v3, 0x10000, v2
	v_cmp_eq_u32_sdwa vcc, v2, v15 src0_sel:WORD_0 src1_sel:DWORD
	s_nop 1
	v_cndmask_b32_e32 v29, v3, v2, vcc
; %bb.135:                              ;   in Loop: Header=BB150_43 Depth=1
	s_or_b64 exec, exec, s[0:1]
	v_lshlrev_b32_e32 v2, 16, v5
	v_mul_f32_e32 v2, v40, v2
	v_and_b32_e32 v3, 0x7f800000, v2
	v_cmp_ne_u32_e32 vcc, s13, v3
                                        ; implicit-def: $vgpr5
	s_and_saveexec_b64 s[0:1], vcc
	s_xor_b64 s[0:1], exec, s[0:1]
; %bb.136:                              ;   in Loop: Header=BB150_43 Depth=1
	v_bfe_u32 v3, v2, 16, 1
	v_add3_u32 v5, v2, v3, s14
                                        ; implicit-def: $vgpr2
; %bb.137:                              ;   in Loop: Header=BB150_43 Depth=1
	s_andn2_saveexec_b64 s[0:1], s[0:1]
; %bb.138:                              ;   in Loop: Header=BB150_43 Depth=1
	v_or_b32_e32 v3, 0x10000, v2
	v_cmp_eq_u32_sdwa vcc, v2, v15 src0_sel:WORD_0 src1_sel:DWORD
	s_nop 1
	v_cndmask_b32_e32 v5, v3, v2, vcc
; %bb.139:                              ;   in Loop: Header=BB150_43 Depth=1
	s_or_b64 exec, exec, s[0:1]
	v_lshlrev_b32_e32 v2, 16, v7
	v_mul_f32_e32 v2, v41, v2
	v_and_b32_e32 v3, 0x7f800000, v2
	v_cmp_ne_u32_e32 vcc, s13, v3
                                        ; implicit-def: $vgpr7
	s_and_saveexec_b64 s[0:1], vcc
	s_xor_b64 s[0:1], exec, s[0:1]
; %bb.140:                              ;   in Loop: Header=BB150_43 Depth=1
	v_bfe_u32 v3, v2, 16, 1
	v_add3_u32 v7, v2, v3, s14
                                        ; implicit-def: $vgpr2
; %bb.141:                              ;   in Loop: Header=BB150_43 Depth=1
	s_andn2_saveexec_b64 s[0:1], s[0:1]
	s_cbranch_execz .LBB150_42
; %bb.142:                              ;   in Loop: Header=BB150_43 Depth=1
	v_or_b32_e32 v3, 0x10000, v2
	v_cmp_eq_u32_sdwa vcc, v2, v15 src0_sel:WORD_0 src1_sel:DWORD
	s_nop 1
	v_cndmask_b32_e32 v7, v3, v2, vcc
	s_branch .LBB150_42
.LBB150_143:
	s_or_b64 exec, exec, s[6:7]
	v_mov_b32_e32 v3, v21
.LBB150_144:
	s_or_b64 exec, exec, s[2:3]
	v_and_b32_e32 v4, 0x3c0, v0
	v_cmp_eq_u32_e32 vcc, 64, v4
	s_barrier
	s_and_saveexec_b64 s[0:1], vcc
	s_cbranch_execz .LBB150_146
; %bb.145:
	v_mov_b32_e32 v4, 0x110
	v_lshl_add_u32 v1, v1, 2, v4
	v_lshl_add_u32 v5, v0, 2, v4
	ds_write_b32 v1, v2
	ds_write_b32 v5, v3
.LBB150_146:
	s_or_b64 exec, exec, s[0:1]
	v_cmp_gt_u32_e32 vcc, 64, v0
	s_waitcnt lgkmcnt(0)
	s_barrier
	s_and_saveexec_b64 s[0:1], vcc
	s_cbranch_execz .LBB150_148
; %bb.147:
	v_mov_b32_e32 v1, 0x110
	v_lshl_add_u32 v0, v0, 2, v1
	ds_read2st64_b32 v[0:1], v0 offset1:1
	s_waitcnt lgkmcnt(0)
	v_pk_add_f32 v[2:3], v[2:3], v[0:1]
.LBB150_148:
	s_or_b64 exec, exec, s[0:1]
	s_barrier
	s_and_saveexec_b64 s[0:1], vcc
	s_cbranch_execz .LBB150_158
; %bb.149:
	s_mov_b32 s0, 0x7f800000
	v_and_b32_e32 v0, 0x7f800000, v2
	v_cmp_ne_u32_e32 vcc, s0, v0
                                        ; implicit-def: $vgpr0
	s_and_saveexec_b64 s[0:1], vcc
	s_xor_b64 s[0:1], exec, s[0:1]
; %bb.150:
	v_bfe_u32 v0, v2, 16, 1
	s_movk_i32 s2, 0x7fff
	v_add3_u32 v0, v2, v0, s2
; %bb.151:
	s_andn2_saveexec_b64 s[0:1], s[0:1]
; %bb.152:
	v_mov_b32_e32 v0, 0
	v_or_b32_e32 v1, 0x10000, v2
	v_cmp_eq_u32_sdwa vcc, v2, v0 src0_sel:WORD_0 src1_sel:DWORD
	s_nop 1
	v_cndmask_b32_e32 v0, v1, v2, vcc
; %bb.153:
	s_or_b64 exec, exec, s[0:1]
	s_lshl_b32 s0, s8, 7
	s_ashr_i32 s1, s0, 31
	s_lshl_b64 s[0:1], s[0:1], 1
	s_add_u32 s2, s22, s0
	s_mul_i32 s0, s12, s20
	s_addc_u32 s3, s23, s1
	s_ashr_i32 s1, s0, 31
	s_lshl_b64 s[0:1], s[0:1], 1
	s_add_u32 s2, s2, s0
	s_addc_u32 s3, s3, s1
	s_lshl_b32 s0, s4, 7
	s_ashr_i32 s1, s0, 31
	s_lshl_b64 s[0:1], s[0:1], 1
	s_add_u32 s0, s2, s0
	s_addc_u32 s1, s3, s1
	global_store_short_d16_hi v10, v0, s[0:1]
	s_mov_b32 s2, 0x7f800000
	v_and_b32_e32 v0, 0x7f800000, v3
	v_mov_b32_e32 v11, 0
	v_cmp_ne_u32_e32 vcc, s2, v0
                                        ; implicit-def: $vgpr4
	s_and_saveexec_b64 s[2:3], vcc
	s_xor_b64 s[2:3], exec, s[2:3]
; %bb.154:
	v_bfe_u32 v0, v3, 16, 1
	s_movk_i32 s4, 0x7fff
	v_add3_u32 v4, v3, v0, s4
                                        ; implicit-def: $vgpr2_vgpr3
; %bb.155:
	s_or_saveexec_b64 s[2:3], s[2:3]
	v_lshl_add_u64 v[0:1], s[0:1], 0, v[10:11]
	s_xor_b64 exec, exec, s[2:3]
; %bb.156:
	v_mov_b32_e32 v2, 0
	v_or_b32_e32 v4, 0x10000, v3
	v_cmp_eq_u32_sdwa vcc, v3, v2 src0_sel:WORD_0 src1_sel:DWORD
	s_nop 1
	v_cndmask_b32_e32 v4, v4, v3, vcc
; %bb.157:
	s_or_b64 exec, exec, s[2:3]
	global_store_short_d16_hi v[0:1], v4, off offset:128
.LBB150_158:
	s_endpgm
	.section	.rodata,"a",@progbits
	.p2align	6, 0x0
	.amdhsa_kernel _ZN4vllm25paged_attention_v2_kernelI14__hip_bfloat16S1_Li128ELi8ELi128ELNS_18Fp8KVCacheDataTypeE0ELb0ELi512EEEvPfS3_PT_PKS4_PKT0_SA_ifPKiSC_iPKfiiiSE_SE_iiiii
		.amdhsa_group_segment_fixed_size 272
		.amdhsa_private_segment_fixed_size 0
		.amdhsa_kernarg_size 400
		.amdhsa_user_sgpr_count 2
		.amdhsa_user_sgpr_dispatch_ptr 0
		.amdhsa_user_sgpr_queue_ptr 0
		.amdhsa_user_sgpr_kernarg_segment_ptr 1
		.amdhsa_user_sgpr_dispatch_id 0
		.amdhsa_user_sgpr_kernarg_preload_length 0
		.amdhsa_user_sgpr_kernarg_preload_offset 0
		.amdhsa_user_sgpr_private_segment_size 0
		.amdhsa_uses_dynamic_stack 0
		.amdhsa_enable_private_segment 0
		.amdhsa_system_sgpr_workgroup_id_x 1
		.amdhsa_system_sgpr_workgroup_id_y 1
		.amdhsa_system_sgpr_workgroup_id_z 1
		.amdhsa_system_sgpr_workgroup_info 0
		.amdhsa_system_vgpr_workitem_id 0
		.amdhsa_next_free_vgpr 52
		.amdhsa_next_free_sgpr 42
		.amdhsa_accum_offset 52
		.amdhsa_reserve_vcc 1
		.amdhsa_float_round_mode_32 0
		.amdhsa_float_round_mode_16_64 0
		.amdhsa_float_denorm_mode_32 3
		.amdhsa_float_denorm_mode_16_64 3
		.amdhsa_dx10_clamp 1
		.amdhsa_ieee_mode 1
		.amdhsa_fp16_overflow 0
		.amdhsa_tg_split 0
		.amdhsa_exception_fp_ieee_invalid_op 0
		.amdhsa_exception_fp_denorm_src 0
		.amdhsa_exception_fp_ieee_div_zero 0
		.amdhsa_exception_fp_ieee_overflow 0
		.amdhsa_exception_fp_ieee_underflow 0
		.amdhsa_exception_fp_ieee_inexact 0
		.amdhsa_exception_int_div_zero 0
	.end_amdhsa_kernel
	.section	.text._ZN4vllm25paged_attention_v2_kernelI14__hip_bfloat16S1_Li128ELi8ELi128ELNS_18Fp8KVCacheDataTypeE0ELb0ELi512EEEvPfS3_PT_PKS4_PKT0_SA_ifPKiSC_iPKfiiiSE_SE_iiiii,"axG",@progbits,_ZN4vllm25paged_attention_v2_kernelI14__hip_bfloat16S1_Li128ELi8ELi128ELNS_18Fp8KVCacheDataTypeE0ELb0ELi512EEEvPfS3_PT_PKS4_PKT0_SA_ifPKiSC_iPKfiiiSE_SE_iiiii,comdat
.Lfunc_end150:
	.size	_ZN4vllm25paged_attention_v2_kernelI14__hip_bfloat16S1_Li128ELi8ELi128ELNS_18Fp8KVCacheDataTypeE0ELb0ELi512EEEvPfS3_PT_PKS4_PKT0_SA_ifPKiSC_iPKfiiiSE_SE_iiiii, .Lfunc_end150-_ZN4vllm25paged_attention_v2_kernelI14__hip_bfloat16S1_Li128ELi8ELi128ELNS_18Fp8KVCacheDataTypeE0ELb0ELi512EEEvPfS3_PT_PKS4_PKT0_SA_ifPKiSC_iPKfiiiSE_SE_iiiii
                                        ; -- End function
	.section	.AMDGPU.csdata,"",@progbits
; Kernel info:
; codeLenInByte = 6140
; NumSgprs: 48
; NumVgprs: 52
; NumAgprs: 0
; TotalNumVgprs: 52
; ScratchSize: 0
; MemoryBound: 0
; FloatMode: 240
; IeeeMode: 1
; LDSByteSize: 272 bytes/workgroup (compile time only)
; SGPRBlocks: 5
; VGPRBlocks: 6
; NumSGPRsForWavesPerEU: 48
; NumVGPRsForWavesPerEU: 52
; AccumOffset: 52
; Occupancy: 8
; WaveLimiterHint : 1
; COMPUTE_PGM_RSRC2:SCRATCH_EN: 0
; COMPUTE_PGM_RSRC2:USER_SGPR: 2
; COMPUTE_PGM_RSRC2:TRAP_HANDLER: 0
; COMPUTE_PGM_RSRC2:TGID_X_EN: 1
; COMPUTE_PGM_RSRC2:TGID_Y_EN: 1
; COMPUTE_PGM_RSRC2:TGID_Z_EN: 1
; COMPUTE_PGM_RSRC2:TIDIG_COMP_CNT: 0
; COMPUTE_PGM_RSRC3_GFX90A:ACCUM_OFFSET: 12
; COMPUTE_PGM_RSRC3_GFX90A:TG_SPLIT: 0
	.section	.text._ZN4vllm25paged_attention_v2_kernelI14__hip_bfloat16S1_Li192ELi8ELi128ELNS_18Fp8KVCacheDataTypeE0ELb0ELi512EEEvPfS3_PT_PKS4_PKT0_SA_ifPKiSC_iPKfiiiSE_SE_iiiii,"axG",@progbits,_ZN4vllm25paged_attention_v2_kernelI14__hip_bfloat16S1_Li192ELi8ELi128ELNS_18Fp8KVCacheDataTypeE0ELb0ELi512EEEvPfS3_PT_PKS4_PKT0_SA_ifPKiSC_iPKfiiiSE_SE_iiiii,comdat
	.protected	_ZN4vllm25paged_attention_v2_kernelI14__hip_bfloat16S1_Li192ELi8ELi128ELNS_18Fp8KVCacheDataTypeE0ELb0ELi512EEEvPfS3_PT_PKS4_PKT0_SA_ifPKiSC_iPKfiiiSE_SE_iiiii ; -- Begin function _ZN4vllm25paged_attention_v2_kernelI14__hip_bfloat16S1_Li192ELi8ELi128ELNS_18Fp8KVCacheDataTypeE0ELb0ELi512EEEvPfS3_PT_PKS4_PKT0_SA_ifPKiSC_iPKfiiiSE_SE_iiiii
	.globl	_ZN4vllm25paged_attention_v2_kernelI14__hip_bfloat16S1_Li192ELi8ELi128ELNS_18Fp8KVCacheDataTypeE0ELb0ELi512EEEvPfS3_PT_PKS4_PKT0_SA_ifPKiSC_iPKfiiiSE_SE_iiiii
	.p2align	8
	.type	_ZN4vllm25paged_attention_v2_kernelI14__hip_bfloat16S1_Li192ELi8ELi128ELNS_18Fp8KVCacheDataTypeE0ELb0ELi512EEEvPfS3_PT_PKS4_PKT0_SA_ifPKiSC_iPKfiiiSE_SE_iiiii,@function
_ZN4vllm25paged_attention_v2_kernelI14__hip_bfloat16S1_Li192ELi8ELi128ELNS_18Fp8KVCacheDataTypeE0ELb0ELi512EEEvPfS3_PT_PKS4_PKT0_SA_ifPKiSC_iPKfiiiSE_SE_iiiii: ; @_ZN4vllm25paged_attention_v2_kernelI14__hip_bfloat16S1_Li192ELi8ELi128ELNS_18Fp8KVCacheDataTypeE0ELb0ELi512EEEvPfS3_PT_PKS4_PKT0_SA_ifPKiSC_iPKfiiiSE_SE_iiiii
; %bb.0:
	s_load_dwordx2 s[6:7], s[0:1], 0x40
	s_mov_b32 s28, s3
	s_ashr_i32 s29, s3, 31
	s_lshl_b64 s[8:9], s[28:29], 2
	s_waitcnt lgkmcnt(0)
	s_add_u32 s6, s6, s8
	s_addc_u32 s7, s7, s9
	s_load_dword s33, s[6:7], 0x0
	s_lshl_b32 s40, s4, 9
	s_waitcnt lgkmcnt(0)
	s_cmp_ge_i32 s40, s33
	s_cbranch_scc1 .LBB151_197
; %bb.1:
	s_load_dword s5, s[0:1], 0x90
	s_load_dwordx2 s[10:11], s[0:1], 0x30
	s_waitcnt lgkmcnt(0)
	s_abs_i32 s7, s5
	s_abs_i32 s3, s10
	v_cvt_f32_u32_e32 v1, s3
	s_sub_i32 s8, 0, s3
	s_xor_b32 s6, s5, s10
	s_ashr_i32 s6, s6, 31
	v_rcp_iflag_f32_e32 v1, v1
	s_nop 0
	v_mul_f32_e32 v1, 0x4f7ffffe, v1
	v_cvt_u32_f32_e32 v1, v1
	s_nop 0
	v_readfirstlane_b32 s9, v1
	s_mul_i32 s8, s8, s9
	s_mul_hi_u32 s8, s9, s8
	s_add_i32 s9, s9, s8
	s_mul_hi_u32 s8, s7, s9
	s_mul_i32 s9, s8, s3
	s_sub_i32 s7, s7, s9
	s_add_i32 s10, s8, 1
	s_sub_i32 s9, s7, s3
	s_cmp_ge_u32 s7, s3
	s_cselect_b32 s8, s10, s8
	s_cselect_b32 s7, s9, s7
	s_add_i32 s9, s8, 1
	s_cmp_ge_u32 s7, s3
	s_cselect_b32 s3, s9, s8
	s_xor_b32 s3, s3, s6
	s_sub_i32 s10, s3, s6
	s_abs_i32 s36, s10
	v_cvt_f32_u32_e32 v1, s36
	s_load_dwordx2 s[6:7], s[0:1], 0x50
	s_sub_i32 s3, 0, s36
	s_abs_i32 s37, s2
	v_rcp_iflag_f32_e32 v1, v1
	s_nop 0
	v_mul_f32_e32 v1, 0x4f7ffffe, v1
	v_cvt_u32_f32_e32 v1, v1
	s_nop 0
	v_readfirstlane_b32 s8, v1
	s_mul_i32 s3, s3, s8
	s_mul_hi_u32 s3, s8, s3
	s_add_i32 s8, s8, s3
	s_waitcnt lgkmcnt(0)
	s_cmp_eq_u64 s[6:7], 0
	s_mov_b32 s3, 0
	s_cbranch_scc1 .LBB151_3
; %bb.2:
	s_ashr_i32 s3, s2, 31
	s_lshl_b64 s[12:13], s[2:3], 2
	s_add_u32 s6, s6, s12
	s_addc_u32 s7, s7, s13
	s_load_dword s3, s[6:7], 0x0
.LBB151_3:
	s_load_dwordx4 s[20:23], s[0:1], 0x0
	s_load_dwordx2 s[24:25], s[0:1], 0x10
	s_load_dwordx4 s[12:15], s[0:1], 0x20
	s_load_dwordx2 s[30:31], s[0:1], 0x38
	s_load_dword s29, s[0:1], 0x98
	s_load_dwordx4 s[16:19], s[0:1], 0x58
	v_and_b32_e32 v39, 7, v0
	s_movk_i32 s6, 0xc0
	s_mul_i32 s26, s2, 0xc0
	s_mul_hi_u32 s38, s37, s8
	s_ashr_i32 s27, s26, 31
	v_cmp_gt_u32_e32 vcc, s6, v0
	v_lshlrev_b32_e32 v2, 1, v39
	s_and_saveexec_b64 s[6:7], vcc
	s_cbranch_execz .LBB151_6
; %bb.4:
	s_load_dwordx2 s[8:9], s[0:1], 0x18
	s_waitcnt lgkmcnt(0)
	s_mul_i32 s34, s28, s16
	s_ashr_i32 s35, s34, 31
	s_lshl_b64 s[34:35], s[34:35], 1
	s_lshl_b64 s[42:43], s[26:27], 1
	s_add_u32 s16, s34, s42
	s_addc_u32 s19, s35, s43
	v_lshrrev_b32_e32 v4, 3, v0
	s_add_u32 s8, s8, s16
	v_add_u32_e32 v1, -16, v4
	v_lshlrev_b32_e32 v3, 1, v4
	v_lshl_or_b32 v4, v4, 4, v2
	v_mov_b32_e32 v5, 0
	s_addc_u32 s9, s9, s19
	v_mad_u32_u24 v3, v39, 48, v3
	v_lshl_add_u64 v[4:5], s[8:9], 0, v[4:5]
	s_mov_b64 s[8:9], 0
	s_mov_b64 s[34:35], 0x100
.LBB151_5:                              ; =>This Inner Loop Header: Depth=1
	global_load_ushort v6, v[4:5], off
	v_add_u32_e32 v1, 16, v1
	v_cmp_lt_u32_e32 vcc, 7, v1
	v_lshl_add_u64 v[4:5], v[4:5], 0, s[34:35]
	s_or_b64 s[8:9], vcc, s[8:9]
	s_waitcnt vmcnt(0)
	ds_write_b16 v3, v6
	v_add_u32_e32 v3, 32, v3
	s_andn2_b64 exec, exec, s[8:9]
	s_cbranch_execnz .LBB151_5
.LBB151_6:
	s_or_b64 exec, exec, s[6:7]
	s_add_i32 s8, s33, 7
	s_ashr_i32 s9, s8, 31
	s_ashr_i32 s6, s2, 31
	s_ashr_i32 s7, s10, 31
	s_lshr_b32 s9, s9, 29
	s_add_i32 s8, s8, s9
	s_lshl_b32 s10, s4, 6
	s_xor_b32 s6, s6, s7
	s_mul_i32 s7, s38, s36
	s_ashr_i32 s27, s8, 3
	s_add_i32 s8, s10, 64
	s_sub_i32 s7, s37, s7
	s_waitcnt lgkmcnt(0)
	s_min_i32 s16, s8, s27
	s_add_i32 s8, s38, 1
	s_sub_i32 s9, s7, s36
	s_cmp_ge_u32 s7, s36
	s_load_dword s0, s[0:1], 0x48
	s_cselect_b32 s8, s8, s38
	s_cselect_b32 s7, s9, s7
	s_add_i32 s9, s8, 1
	s_cmp_ge_u32 s7, s36
	v_lshrrev_b32_e32 v6, 6, v0
	s_cselect_b32 s7, s9, s8
	s_xor_b32 s7, s7, s6
	s_waitcnt lgkmcnt(0)
	s_mul_i32 s34, s28, s0
	v_or_b32_e32 v12, s10, v6
	s_sub_i32 s8, s7, s6
	s_ashr_i32 s35, s34, 31
	v_cmp_gt_i32_e64 s[0:1], s16, v12
	v_cmp_le_i32_e32 vcc, s16, v12
	v_mbcnt_lo_u32_b32 v4, -1, 0
	s_barrier
	s_waitcnt lgkmcnt(0)
                                        ; implicit-def: $sgpr9
                                        ; implicit-def: $vgpr8
                                        ; implicit-def: $vgpr9
	s_and_saveexec_b64 s[6:7], vcc
	s_xor_b64 s[6:7], exec, s[6:7]
; %bb.7:
	v_mbcnt_hi_u32_b32 v8, -1, v4
	v_and_b32_e32 v1, 64, v8
	v_add_u32_e32 v9, 64, v1
	s_mov_b32 s9, 0xff7fffff
                                        ; implicit-def: $vgpr2
                                        ; implicit-def: $vgpr39
                                        ; implicit-def: $vgpr4
; %bb.8:
	s_or_saveexec_b64 s[36:37], s[6:7]
	v_mov_b32_e32 v35, s9
	s_mul_i32 s18, s8, s18
	v_ashrrev_i32_e32 v13, 31, v12
	v_lshlrev_b32_e32 v7, 3, v6
	s_xor_b64 exec, exec, s[36:37]
	s_cbranch_execz .LBB151_14
; %bb.9:
	s_ashr_i32 s19, s18, 31
	s_lshl_b64 s[6:7], s[18:19], 1
	v_bfe_u32 v5, v0, 3, 3
	s_add_u32 s6, s12, s6
	s_addc_u32 s7, s13, s7
	v_lshlrev_b32_e32 v8, 4, v5
	v_mov_b32_e32 v9, 0
	v_lshl_add_u64 v[10:11], s[6:7], 0, v[8:9]
	v_mbcnt_hi_u32_b32 v8, -1, v4
	v_and_b32_e32 v4, 64, v8
	v_mov_b32_e32 v3, v9
	v_add_u32_e32 v9, 64, v4
	v_xor_b32_e32 v4, 4, v8
	v_cmp_lt_i32_e32 vcc, v4, v9
	v_mul_u32_u24_e32 v1, 48, v39
	ds_read_b128 v[16:19], v1
	v_cndmask_b32_e32 v4, v8, v4, vcc
	v_lshlrev_b32_e32 v36, 2, v4
	v_xor_b32_e32 v4, 2, v8
	v_cmp_lt_i32_e32 vcc, v4, v9
	ds_read_b128 v[24:27], v1 offset:16
	ds_read_b128 v[32:35], v1 offset:32
	v_cndmask_b32_e32 v4, v8, v4, vcc
	v_lshlrev_b32_e32 v37, 2, v4
	v_xor_b32_e32 v4, 1, v8
	v_cmp_lt_i32_e32 vcc, v4, v9
	s_sub_i32 s19, 1, s33
	s_lshl_b64 s[8:9], s[34:35], 2
	v_cndmask_b32_e32 v4, v8, v4, vcc
	v_lshlrev_b32_e32 v38, 2, v4
	v_lshlrev_b32_e32 v4, 2, v5
	s_add_u32 s8, s30, s8
	v_lshl_or_b32 v4, v6, 5, v4
	s_addc_u32 s9, s31, s9
	s_mov_b32 s41, s17
	v_lshl_add_u64 v[2:3], v[10:11], 0, v[2:3]
	s_waitcnt lgkmcnt(2)
	v_lshlrev_b32_e32 v1, 16, v16
	v_and_b32_e32 v10, 0xffff0000, v16
	v_lshlrev_b32_e32 v11, 16, v17
	v_and_b32_e32 v14, 0xffff0000, v17
	v_lshlrev_b32_e32 v15, 16, v18
	v_and_b32_e32 v16, 0xffff0000, v18
	v_lshlrev_b32_e32 v17, 16, v19
	v_and_b32_e32 v18, 0xffff0000, v19
	s_waitcnt lgkmcnt(1)
	v_lshlrev_b32_e32 v19, 16, v24
	v_and_b32_e32 v20, 0xffff0000, v24
	v_lshlrev_b32_e32 v21, 16, v25
	v_and_b32_e32 v22, 0xffff0000, v25
	v_lshlrev_b32_e32 v23, 16, v26
	v_and_b32_e32 v24, 0xffff0000, v26
	v_lshlrev_b32_e32 v25, 16, v27
	v_and_b32_e32 v26, 0xffff0000, v27
	s_waitcnt lgkmcnt(0)
	v_lshlrev_b32_e32 v27, 16, v32
	v_and_b32_e32 v28, 0xffff0000, v32
	v_lshlrev_b32_e32 v29, 16, v33
	v_and_b32_e32 v30, 0xffff0000, v33
	v_lshlrev_b32_e32 v31, 16, v34
	v_and_b32_e32 v32, 0xffff0000, v34
	v_lshlrev_b32_e32 v33, 16, v35
	v_and_b32_e32 v34, 0xffff0000, v35
	v_cmp_eq_u32_e32 vcc, 0, v39
	v_cmp_neq_f32_e64 s[6:7], s3, 0
	v_add3_u32 v39, s40, v7, v5
	v_add_u32_e32 v40, 0x190, v4
	v_lshl_add_u64 v[4:5], v[12:13], 2, s[8:9]
	s_mov_b64 s[12:13], 0
	v_mov_b32_e32 v35, 0xff7fffff
	v_mov_b32_e32 v41, v12
	s_branch .LBB151_11
.LBB151_10:                             ;   in Loop: Header=BB151_11 Depth=1
	s_or_b64 exec, exec, s[38:39]
	v_add_u32_e32 v41, 2, v41
	v_cmp_le_i32_e64 s[8:9], s16, v41
	v_add_u32_e32 v39, 16, v39
	v_add_u32_e32 v40, 64, v40
	s_or_b64 s[12:13], s[8:9], s[12:13]
	v_lshl_add_u64 v[4:5], v[4:5], 0, 8
	s_andn2_b64 exec, exec, s[12:13]
	s_cbranch_execz .LBB151_13
.LBB151_11:                             ; =>This Inner Loop Header: Depth=1
	global_load_dword v42, v[4:5], off
	s_waitcnt vmcnt(0) lgkmcnt(0)
	v_mad_i64_i32 v[42:43], s[8:9], v42, s41, 0
	v_lshl_add_u64 v[42:43], v[42:43], 1, v[2:3]
	global_load_ushort v44, v[42:43], off
	global_load_ushort v45, v[42:43], off offset:128
	global_load_ushort v46, v[42:43], off offset:256
	;; [unrolled: 1-line block ×22, first 2 shown]
	s_nop 0
	global_load_ushort v42, v[42:43], off offset:2944
	s_waitcnt vmcnt(23)
	v_lshlrev_b32_e32 v43, 16, v44
	s_waitcnt vmcnt(22)
	v_lshlrev_b32_e32 v44, 16, v45
	v_mul_f32_e32 v44, v10, v44
	s_waitcnt vmcnt(21)
	v_lshlrev_b32_e32 v45, 16, v46
	v_fmac_f32_e32 v44, v1, v43
	s_waitcnt vmcnt(20)
	v_lshlrev_b32_e32 v46, 16, v47
	v_fmac_f32_e32 v44, v11, v45
	;; [unrolled: 3-line block ×21, first 2 shown]
	v_fmac_f32_e32 v44, v33, v65
	s_waitcnt vmcnt(0)
	v_lshlrev_b32_e32 v42, 16, v42
	v_fmac_f32_e32 v44, v34, v42
	ds_bpermute_b32 v42, v36, v44
	s_waitcnt lgkmcnt(0)
	v_add_f32_e32 v42, v44, v42
	ds_bpermute_b32 v43, v37, v42
	s_waitcnt lgkmcnt(0)
	v_add_f32_e32 v42, v42, v43
	ds_bpermute_b32 v43, v38, v42
	s_and_saveexec_b64 s[38:39], vcc
	s_cbranch_execz .LBB151_10
; %bb.12:                               ;   in Loop: Header=BB151_11 Depth=1
	v_add_u32_e32 v44, s19, v39
	v_cvt_f32_i32_e32 v44, v44
	s_waitcnt lgkmcnt(0)
	v_add_f32_e32 v42, v42, v43
	v_cmp_gt_i32_e64 s[8:9], s33, v39
	v_max_f32_e32 v43, v35, v35
	v_mul_f32_e32 v44, s3, v44
	v_cndmask_b32_e64 v44, 0, v44, s[6:7]
	v_fmac_f32_e32 v44, s11, v42
	v_cndmask_b32_e64 v42, 0, v44, s[8:9]
	ds_write_b32 v40, v42
	v_max_f32_e32 v42, v43, v44
	v_cndmask_b32_e64 v35, v35, v42, s[8:9]
	s_branch .LBB151_10
.LBB151_13:
	s_or_b64 exec, exec, s[12:13]
.LBB151_14:
	s_or_b64 exec, exec, s[36:37]
	v_xor_b32_e32 v1, 32, v8
	v_cmp_lt_i32_e32 vcc, v1, v9
	v_xor_b32_e32 v4, 16, v8
	v_max_f32_e32 v2, v35, v35
	v_cndmask_b32_e32 v1, v8, v1, vcc
	v_lshlrev_b32_e32 v3, 2, v1
	ds_bpermute_b32 v1, v3, v35
	v_cmp_lt_i32_e32 vcc, v4, v9
	v_xor_b32_e32 v5, 8, v8
	s_waitcnt lgkmcnt(0)
	v_max_f32_e32 v1, v1, v1
	v_max_f32_e32 v1, v2, v1
	v_cndmask_b32_e32 v2, v8, v4, vcc
	v_lshlrev_b32_e32 v10, 2, v2
	ds_bpermute_b32 v2, v10, v1
	v_cmp_lt_i32_e32 vcc, v5, v9
	s_waitcnt lgkmcnt(0)
	v_max_f32_e32 v2, v2, v2
	v_max_f32_e32 v4, v1, v2
	v_cndmask_b32_e32 v1, v8, v5, vcc
	v_lshlrev_b32_e32 v11, 2, v1
	ds_bpermute_b32 v5, v11, v4
	v_and_b32_e32 v1, 63, v0
	v_cmp_eq_u32_e32 vcc, 0, v1
	v_lshlrev_b32_e32 v2, 2, v6
	s_and_saveexec_b64 s[6:7], vcc
	s_cbranch_execz .LBB151_16
; %bb.15:
	s_waitcnt lgkmcnt(0)
	v_max_f32_e32 v5, v5, v5
	v_max_f32_e32 v4, v4, v4
	;; [unrolled: 1-line block ×3, first 2 shown]
	ds_write_b32 v2, v4 offset:384
.LBB151_16:
	s_or_b64 exec, exec, s[6:7]
	v_cmp_gt_u32_e64 s[6:7], 2, v1
	v_mov_b32_e32 v4, 0xff7fffff
	s_waitcnt lgkmcnt(0)
	v_lshlrev_b32_e32 v5, 2, v1
	s_barrier
	s_and_saveexec_b64 s[8:9], s[6:7]
	s_cbranch_execz .LBB151_18
; %bb.17:
	ds_read_b32 v4, v5 offset:384
.LBB151_18:
	s_or_b64 exec, exec, s[8:9]
	v_xor_b32_e32 v14, 1, v8
	v_cmp_lt_i32_e64 s[8:9], v14, v9
	s_sub_i32 s3, s16, s10
	s_lshl_b32 s3, s3, 3
	v_cndmask_b32_e64 v14, v8, v14, s[8:9]
	v_lshlrev_b32_e32 v14, 2, v14
	s_waitcnt lgkmcnt(0)
	ds_bpermute_b32 v15, v14, v4
	v_max_f32_e32 v4, v4, v4
	s_add_i32 s3, s3, s40
	s_min_i32 s19, s3, s33
	s_sub_i32 s3, s19, s40
	s_waitcnt lgkmcnt(0)
	v_max_f32_e32 v15, v15, v15
	v_max_f32_e32 v4, v4, v15
	v_lshlrev_b32_e32 v15, 2, v8
	v_and_b32_e32 v15, 0xffffff00, v15
	ds_bpermute_b32 v4, v15, v4
	v_cmp_gt_i32_e64 s[8:9], s3, v0
	v_mov_b32_e32 v16, 0
	s_and_saveexec_b64 s[12:13], s[8:9]
	s_cbranch_execz .LBB151_22
; %bb.19:
	v_mov_b32_e32 v16, 0x190
	v_lshl_add_u32 v17, v0, 2, v16
	s_mov_b64 s[36:37], 0
	v_mov_b32_e32 v16, 0
	v_mov_b32_e32 v18, v0
.LBB151_20:                             ; =>This Inner Loop Header: Depth=1
	ds_read_b32 v19, v17
	v_add_u32_e32 v18, 0x80, v18
	v_cmp_le_i32_e64 s[10:11], s3, v18
	s_or_b64 s[36:37], s[10:11], s[36:37]
	s_waitcnt lgkmcnt(0)
	v_sub_f32_e32 v19, v19, v4
	v_mul_f32_e32 v19, 0x3fb8aa3b, v19
	v_exp_f32_e32 v19, v19
	ds_write_b32 v17, v19
	v_add_f32_e32 v16, v16, v19
	v_add_u32_e32 v17, 0x200, v17
	s_andn2_b64 exec, exec, s[36:37]
	s_cbranch_execnz .LBB151_20
; %bb.21:
	s_or_b64 exec, exec, s[36:37]
.LBB151_22:
	s_or_b64 exec, exec, s[12:13]
	ds_bpermute_b32 v3, v3, v16
	s_waitcnt lgkmcnt(0)
	v_add_f32_e32 v3, v16, v3
	ds_bpermute_b32 v10, v10, v3
	s_waitcnt lgkmcnt(0)
	v_add_f32_e32 v3, v3, v10
	ds_bpermute_b32 v10, v11, v3
	v_xor_b32_e32 v11, 4, v8
	v_cmp_lt_i32_e64 s[10:11], v11, v9
	s_waitcnt lgkmcnt(0)
	v_add_f32_e32 v3, v3, v10
	v_cndmask_b32_e64 v11, v8, v11, s[10:11]
	v_lshlrev_b32_e32 v11, 2, v11
	ds_bpermute_b32 v10, v11, v3
	v_xor_b32_e32 v11, 2, v8
	v_cmp_lt_i32_e64 s[10:11], v11, v9
	s_waitcnt lgkmcnt(0)
	v_add_f32_e32 v3, v3, v10
	v_cndmask_b32_e64 v8, v8, v11, s[10:11]
	v_lshlrev_b32_e32 v8, 2, v8
	ds_bpermute_b32 v8, v8, v3
	s_waitcnt lgkmcnt(0)
	v_add_f32_e32 v3, v3, v8
	ds_bpermute_b32 v8, v14, v3
	s_waitcnt lgkmcnt(0)
	v_add_f32_e32 v3, v3, v8
	s_and_saveexec_b64 s[10:11], vcc
	s_cbranch_execz .LBB151_24
; %bb.23:
	ds_write_b32 v2, v3 offset:392
.LBB151_24:
	s_or_b64 exec, exec, s[10:11]
	s_waitcnt lgkmcnt(0)
	s_barrier
	s_and_saveexec_b64 s[10:11], s[6:7]
	s_cbranch_execz .LBB151_26
; %bb.25:
	ds_read_b32 v3, v5 offset:392
.LBB151_26:
	s_or_b64 exec, exec, s[10:11]
	s_waitcnt lgkmcnt(0)
	ds_bpermute_b32 v2, v14, v3
	s_waitcnt lgkmcnt(0)
	v_add_f32_e32 v2, v3, v2
	ds_bpermute_b32 v5, v15, v2
	s_and_saveexec_b64 s[6:7], s[8:9]
	s_cbranch_execz .LBB151_39
; %bb.27:
	s_waitcnt lgkmcnt(0)
	v_add_f32_e32 v2, 0x358637bd, v5
	v_div_scale_f32 v3, s[8:9], v2, v2, 1.0
	v_rcp_f32_e32 v8, v3
	v_div_scale_f32 v9, vcc, 1.0, v2, 1.0
	s_movk_i32 s8, 0x7f
	v_fma_f32 v10, -v3, v8, 1.0
	v_fmac_f32_e32 v8, v10, v8
	v_mul_f32_e32 v10, v9, v8
	v_fma_f32 v11, -v3, v10, v9
	v_fmac_f32_e32 v10, v11, v8
	v_fma_f32 v3, -v3, v10, v9
	v_div_fmas_f32 v3, v3, v8, v10
	v_div_fixup_f32 v2, v3, v2, 1.0
	v_xad_u32 v3, v0, -1, s19
	v_subrev_u32_e32 v8, s40, v3
	v_cmp_lt_u32_e32 vcc, s8, v8
	s_mov_b64 s[10:11], -1
	v_mov_b32_e32 v3, v0
	s_and_saveexec_b64 s[8:9], vcc
	s_cbranch_execz .LBB151_36
; %bb.28:
	v_lshrrev_b32_e32 v8, 7, v8
	v_add_u32_e32 v10, -1, v8
	v_lshrrev_b32_e32 v9, 1, v10
	v_mov_b32_e32 v3, v2
	v_add_u32_e32 v9, 1, v9
	v_cmp_lt_u32_e32 vcc, 13, v10
	v_mov_b32_e32 v14, 0
	s_and_saveexec_b64 s[10:11], vcc
	s_cbranch_execz .LBB151_32
; %bb.29:
	v_mov_b32_e32 v11, 0x190
	v_and_b32_e32 v10, -8, v9
	v_lshl_add_u32 v11, v0, 2, v11
	s_mov_b32 s19, 0
	s_mov_b64 s[12:13], 0
.LBB151_30:                             ; =>This Inner Loop Header: Depth=1
	ds_read2st64_b32 v[14:15], v11 offset1:2
	ds_read2st64_b32 v[16:17], v11 offset0:4 offset1:6
	ds_read2st64_b32 v[18:19], v11 offset0:8 offset1:10
	;; [unrolled: 1-line block ×3, first 2 shown]
	v_add_u32_e32 v10, -8, v10
	s_waitcnt lgkmcnt(3)
	v_pk_mul_f32 v[14:15], v[2:3], v[14:15]
	s_waitcnt lgkmcnt(2)
	v_pk_mul_f32 v[16:17], v[2:3], v[16:17]
	ds_write2st64_b32 v11, v14, v15 offset1:2
	ds_write2st64_b32 v11, v16, v17 offset0:4 offset1:6
	ds_read2st64_b32 v[16:17], v11 offset0:16 offset1:18
	s_waitcnt lgkmcnt(4)
	v_pk_mul_f32 v[14:15], v[2:3], v[18:19]
	ds_write2st64_b32 v11, v14, v15 offset0:8 offset1:10
	s_waitcnt lgkmcnt(4)
	v_pk_mul_f32 v[14:15], v[2:3], v[20:21]
	ds_write2st64_b32 v11, v14, v15 offset0:12 offset1:14
	ds_read2st64_b32 v[14:15], v11 offset0:20 offset1:22
	s_waitcnt lgkmcnt(3)
	v_pk_mul_f32 v[16:17], v[2:3], v[16:17]
	ds_read2st64_b32 v[18:19], v11 offset0:24 offset1:26
	ds_write2st64_b32 v11, v16, v17 offset0:16 offset1:18
	ds_read2st64_b32 v[16:17], v11 offset0:28 offset1:30
	s_waitcnt lgkmcnt(3)
	v_pk_mul_f32 v[14:15], v[2:3], v[14:15]
	ds_write2st64_b32 v11, v14, v15 offset0:20 offset1:22
	s_waitcnt lgkmcnt(3)
	v_pk_mul_f32 v[14:15], v[2:3], v[18:19]
	ds_write2st64_b32 v11, v14, v15 offset0:24 offset1:26
	s_waitcnt lgkmcnt(2)
	v_pk_mul_f32 v[14:15], v[2:3], v[16:17]
	s_add_i32 s19, s19, 16
	v_cmp_eq_u32_e32 vcc, 0, v10
	ds_write2st64_b32 v11, v14, v15 offset0:28 offset1:30
	v_add_u32_e32 v11, 0x2000, v11
	s_or_b64 s[12:13], vcc, s[12:13]
	v_mov_b32_e32 v14, s19
	s_andn2_b64 exec, exec, s[12:13]
	s_cbranch_execnz .LBB151_30
; %bb.31:
	s_or_b64 exec, exec, s[12:13]
.LBB151_32:
	s_or_b64 exec, exec, s[10:11]
	v_and_b32_e32 v9, 7, v9
	v_cmp_ne_u32_e32 vcc, 0, v9
	s_and_saveexec_b64 s[10:11], vcc
	s_cbranch_execz .LBB151_35
; %bb.33:
	v_lshlrev_b32_e32 v10, 9, v14
	v_lshlrev_b32_e32 v11, 2, v0
	s_movk_i32 s12, 0x190
	v_add3_u32 v10, v10, v11, s12
	s_mov_b64 s[12:13], 0
.LBB151_34:                             ; =>This Inner Loop Header: Depth=1
	ds_read2st64_b32 v[14:15], v10 offset1:2
	v_add_u32_e32 v9, -1, v9
	v_cmp_eq_u32_e32 vcc, 0, v9
	s_or_b64 s[12:13], vcc, s[12:13]
	s_waitcnt lgkmcnt(0)
	v_pk_mul_f32 v[14:15], v[2:3], v[14:15]
	ds_write2st64_b32 v10, v14, v15 offset1:2
	v_add_u32_e32 v10, 0x400, v10
	s_andn2_b64 exec, exec, s[12:13]
	s_cbranch_execnz .LBB151_34
.LBB151_35:
	s_or_b64 exec, exec, s[10:11]
	v_add_u32_e32 v8, 1, v8
	v_and_b32_e32 v9, 0x3fffffe, v8
	v_cmp_ne_u32_e32 vcc, v8, v9
	v_lshl_add_u32 v3, v9, 7, v0
	s_orn2_b64 s[10:11], vcc, exec
.LBB151_36:
	s_or_b64 exec, exec, s[8:9]
	s_and_b64 exec, exec, s[10:11]
	s_cbranch_execz .LBB151_39
; %bb.37:
	v_mov_b32_e32 v8, 0x190
	v_lshl_add_u32 v8, v3, 2, v8
	s_mov_b64 s[8:9], 0
.LBB151_38:                             ; =>This Inner Loop Header: Depth=1
	ds_read_b32 v9, v8
	v_add_u32_e32 v3, 0x80, v3
	v_cmp_le_i32_e32 vcc, s3, v3
	s_or_b64 s[8:9], vcc, s[8:9]
	s_waitcnt lgkmcnt(0)
	v_mul_f32_e32 v9, v2, v9
	ds_write_b32 v8, v9
	v_add_u32_e32 v8, 0x200, v8
	s_andn2_b64 exec, exec, s[8:9]
	s_cbranch_execnz .LBB151_38
.LBB151_39:
	s_or_b64 exec, exec, s[6:7]
	s_mul_i32 s3, s29, s28
	v_cmp_eq_u32_e32 vcc, 0, v0
	s_mul_i32 s6, s3, s5
	s_waitcnt lgkmcnt(0)
	s_barrier
	s_and_saveexec_b64 s[8:9], vcc
	s_cbranch_execz .LBB151_41
; %bb.40:
	s_ashr_i32 s7, s6, 31
	s_lshl_b64 s[10:11], s[6:7], 2
	s_add_u32 s5, s22, s10
	s_mul_i32 s2, s29, s2
	s_addc_u32 s7, s23, s11
	s_ashr_i32 s3, s2, 31
	s_lshl_b64 s[2:3], s[2:3], 2
	s_add_u32 s19, s5, s2
	s_addc_u32 s7, s7, s3
	s_ashr_i32 s5, s4, 31
	s_lshl_b64 s[12:13], s[4:5], 2
	s_add_u32 s22, s19, s12
	s_addc_u32 s23, s7, s13
	s_add_u32 s5, s20, s10
	s_addc_u32 s7, s21, s11
	;; [unrolled: 2-line block ×3, first 2 shown]
	s_add_u32 s2, s2, s12
	v_mov_b32_e32 v2, 0
	s_addc_u32 s3, s3, s13
	global_store_dword v2, v4, s[22:23]
	global_store_dword v2, v5, s[2:3]
.LBB151_41:
	s_or_b64 exec, exec, s[8:9]
	v_mov_b32_e32 v10, 0
	v_mov_b32_e32 v15, v10
	;; [unrolled: 1-line block ×3, first 2 shown]
	s_and_saveexec_b64 s[2:3], s[0:1]
	s_cbranch_execz .LBB151_179
; %bb.42:
	s_ashr_i32 s19, s18, 31
	s_lshl_b64 s[0:1], s[18:19], 1
	s_add_u32 s0, s14, s0
	s_addc_u32 s1, s15, s1
	v_lshlrev_b32_e32 v10, 4, v1
	v_mov_b32_e32 v11, 0
	s_add_i32 s7, s27, -1
	v_lshl_add_u64 v[16:17], s[0:1], 0, v[10:11]
	s_lshl_b64 s[0:1], s[34:35], 2
	s_add_u32 s0, s30, s0
	v_mov_b32_e32 v2, 0x190
	s_addc_u32 s1, s31, s1
	s_mov_b32 s5, s17
	v_add3_u32 v20, s40, v7, 7
	v_lshl_add_u32 v21, v6, 5, v2
	v_lshl_add_u64 v[18:19], v[12:13], 2, s[0:1]
	s_mov_b64 s[8:9], 0
	s_mov_b32 s12, 0x7f800000
	s_movk_i32 s13, 0x7fff
	v_mov_b32_e32 v14, 0
	v_mov_b32_e32 v15, 0
	v_mov_b32_e32 v10, 0
	s_branch .LBB151_44
.LBB151_43:                             ;   in Loop: Header=BB151_44 Depth=1
	s_or_b64 exec, exec, s[0:1]
	v_and_b32_e32 v28, 0xffff0000, v24
	v_and_b32_e32 v24, 0xffff0000, v23
	;; [unrolled: 1-line block ×8, first 2 shown]
	v_pk_add_f32 v[8:9], v[8:9], v[22:23]
	v_pk_add_f32 v[22:23], v[24:25], v[28:29]
	v_add_f32_e32 v8, v8, v9
	v_add_f32_e32 v8, v8, v22
	;; [unrolled: 1-line block ×3, first 2 shown]
	v_and_b32_e32 v25, 0xffff0000, v45
	v_and_b32_e32 v24, 0xffff0000, v43
	;; [unrolled: 1-line block ×4, first 2 shown]
	v_add_f32_e32 v14, v14, v8
	v_and_b32_e32 v9, 0xffff0000, v49
	v_and_b32_e32 v8, 0xffff0000, v47
	;; [unrolled: 1-line block ×4, first 2 shown]
	v_pk_add_f32 v[24:25], v[28:29], v[24:25]
	v_pk_add_f32 v[8:9], v[22:23], v[8:9]
	v_add_f32_e32 v13, v24, v25
	v_add_f32_e32 v8, v13, v8
	v_add_f32_e32 v8, v8, v9
	v_and_b32_e32 v23, 0xffff0000, v26
	v_and_b32_e32 v22, 0xffff0000, v7
	;; [unrolled: 1-line block ×4, first 2 shown]
	v_add_f32_e32 v15, v15, v8
	v_and_b32_e32 v9, 0xffff0000, v6
	v_and_b32_e32 v8, 0xffff0000, v27
	;; [unrolled: 1-line block ×4, first 2 shown]
	v_pk_add_f32 v[2:3], v[2:3], v[22:23]
	v_pk_add_f32 v[4:5], v[4:5], v[8:9]
	v_add_f32_e32 v2, v2, v3
	v_add_f32_e32 v2, v2, v4
	v_add_u32_e32 v12, 2, v12
	v_add_f32_e32 v2, v2, v5
	v_cmp_le_i32_e32 vcc, s16, v12
	v_add_f32_e32 v10, v10, v2
	v_add_u32_e32 v20, 16, v20
	v_add_u32_e32 v21, 64, v21
	s_or_b64 s[8:9], vcc, s[8:9]
	v_lshl_add_u64 v[18:19], v[18:19], 0, 8
	s_andn2_b64 exec, exec, s[8:9]
	s_cbranch_execz .LBB151_178
.LBB151_44:                             ; =>This Inner Loop Header: Depth=1
	global_load_dword v26, v[18:19], off
	ds_read2_b64 v[6:9], v21 offset1:1
	ds_read2_b64 v[2:5], v21 offset0:2 offset1:3
                                        ; implicit-def: $vgpr34
	s_waitcnt lgkmcnt(1)
	v_and_b32_e32 v13, 0x7f800000, v6
	v_cmp_ne_u32_e32 vcc, s12, v13
	s_and_saveexec_b64 s[0:1], vcc
	s_xor_b64 s[0:1], exec, s[0:1]
; %bb.45:                               ;   in Loop: Header=BB151_44 Depth=1
	v_bfe_u32 v13, v6, 16, 1
	v_add3_u32 v34, v6, v13, s13
; %bb.46:                               ;   in Loop: Header=BB151_44 Depth=1
	s_andn2_saveexec_b64 s[0:1], s[0:1]
; %bb.47:                               ;   in Loop: Header=BB151_44 Depth=1
	v_or_b32_e32 v13, 0x10000, v6
	v_cmp_eq_u32_sdwa vcc, v6, v11 src0_sel:WORD_0 src1_sel:DWORD
	s_nop 1
	v_cndmask_b32_e32 v34, v13, v6, vcc
; %bb.48:                               ;   in Loop: Header=BB151_44 Depth=1
	s_or_b64 exec, exec, s[0:1]
	v_and_b32_e32 v6, 0x7f800000, v7
	v_cmp_ne_u32_e32 vcc, s12, v6
                                        ; implicit-def: $vgpr35
	s_and_saveexec_b64 s[0:1], vcc
	s_xor_b64 s[0:1], exec, s[0:1]
; %bb.49:                               ;   in Loop: Header=BB151_44 Depth=1
	v_bfe_u32 v6, v7, 16, 1
	v_add3_u32 v35, v7, v6, s13
; %bb.50:                               ;   in Loop: Header=BB151_44 Depth=1
	s_andn2_saveexec_b64 s[0:1], s[0:1]
; %bb.51:                               ;   in Loop: Header=BB151_44 Depth=1
	v_or_b32_e32 v6, 0x10000, v7
	v_cmp_eq_u32_sdwa vcc, v7, v11 src0_sel:WORD_0 src1_sel:DWORD
	s_nop 1
	v_cndmask_b32_e32 v35, v6, v7, vcc
; %bb.52:                               ;   in Loop: Header=BB151_44 Depth=1
	s_or_b64 exec, exec, s[0:1]
	v_and_b32_e32 v6, 0x7f800000, v8
	v_cmp_ne_u32_e32 vcc, s12, v6
                                        ; implicit-def: $vgpr13
	s_and_saveexec_b64 s[0:1], vcc
	s_xor_b64 s[0:1], exec, s[0:1]
; %bb.53:                               ;   in Loop: Header=BB151_44 Depth=1
	v_bfe_u32 v6, v8, 16, 1
	v_add3_u32 v13, v8, v6, s13
; %bb.54:                               ;   in Loop: Header=BB151_44 Depth=1
	s_andn2_saveexec_b64 s[0:1], s[0:1]
; %bb.55:                               ;   in Loop: Header=BB151_44 Depth=1
	v_or_b32_e32 v6, 0x10000, v8
	v_cmp_eq_u32_sdwa vcc, v8, v11 src0_sel:WORD_0 src1_sel:DWORD
	s_nop 1
	v_cndmask_b32_e32 v13, v6, v8, vcc
; %bb.56:                               ;   in Loop: Header=BB151_44 Depth=1
	s_or_b64 exec, exec, s[0:1]
	v_and_b32_e32 v6, 0x7f800000, v9
	v_cmp_ne_u32_e32 vcc, s12, v6
                                        ; implicit-def: $vgpr22
	s_and_saveexec_b64 s[0:1], vcc
	s_xor_b64 s[0:1], exec, s[0:1]
; %bb.57:                               ;   in Loop: Header=BB151_44 Depth=1
	v_bfe_u32 v6, v9, 16, 1
	v_add3_u32 v22, v9, v6, s13
                                        ; implicit-def: $vgpr6_vgpr7_vgpr8_vgpr9
; %bb.58:                               ;   in Loop: Header=BB151_44 Depth=1
	s_andn2_saveexec_b64 s[0:1], s[0:1]
; %bb.59:                               ;   in Loop: Header=BB151_44 Depth=1
	v_or_b32_e32 v6, 0x10000, v9
	v_cmp_eq_u32_sdwa vcc, v9, v11 src0_sel:WORD_0 src1_sel:DWORD
	s_nop 1
	v_cndmask_b32_e32 v22, v6, v9, vcc
; %bb.60:                               ;   in Loop: Header=BB151_44 Depth=1
	s_or_b64 exec, exec, s[0:1]
	s_waitcnt lgkmcnt(0)
	v_and_b32_e32 v6, 0x7f800000, v2
	v_cmp_ne_u32_e32 vcc, s12, v6
                                        ; implicit-def: $vgpr23
	s_and_saveexec_b64 s[0:1], vcc
	s_xor_b64 s[0:1], exec, s[0:1]
; %bb.61:                               ;   in Loop: Header=BB151_44 Depth=1
	v_bfe_u32 v6, v2, 16, 1
	v_add3_u32 v23, v2, v6, s13
; %bb.62:                               ;   in Loop: Header=BB151_44 Depth=1
	s_andn2_saveexec_b64 s[0:1], s[0:1]
; %bb.63:                               ;   in Loop: Header=BB151_44 Depth=1
	v_or_b32_e32 v6, 0x10000, v2
	v_cmp_eq_u32_sdwa vcc, v2, v11 src0_sel:WORD_0 src1_sel:DWORD
	s_nop 1
	v_cndmask_b32_e32 v23, v6, v2, vcc
; %bb.64:                               ;   in Loop: Header=BB151_44 Depth=1
	s_or_b64 exec, exec, s[0:1]
	v_and_b32_e32 v2, 0x7f800000, v3
	v_cmp_ne_u32_e32 vcc, s12, v2
                                        ; implicit-def: $vgpr24
	s_and_saveexec_b64 s[0:1], vcc
	s_xor_b64 s[0:1], exec, s[0:1]
; %bb.65:                               ;   in Loop: Header=BB151_44 Depth=1
	v_bfe_u32 v2, v3, 16, 1
	v_add3_u32 v24, v3, v2, s13
; %bb.66:                               ;   in Loop: Header=BB151_44 Depth=1
	s_andn2_saveexec_b64 s[0:1], s[0:1]
; %bb.67:                               ;   in Loop: Header=BB151_44 Depth=1
	v_or_b32_e32 v2, 0x10000, v3
	v_cmp_eq_u32_sdwa vcc, v3, v11 src0_sel:WORD_0 src1_sel:DWORD
	s_nop 1
	v_cndmask_b32_e32 v24, v2, v3, vcc
; %bb.68:                               ;   in Loop: Header=BB151_44 Depth=1
	s_or_b64 exec, exec, s[0:1]
	v_and_b32_e32 v2, 0x7f800000, v4
	v_cmp_ne_u32_e32 vcc, s12, v2
                                        ; implicit-def: $vgpr25
	s_and_saveexec_b64 s[0:1], vcc
	s_xor_b64 s[0:1], exec, s[0:1]
; %bb.69:                               ;   in Loop: Header=BB151_44 Depth=1
	v_bfe_u32 v2, v4, 16, 1
	v_add3_u32 v25, v4, v2, s13
; %bb.70:                               ;   in Loop: Header=BB151_44 Depth=1
	s_andn2_saveexec_b64 s[0:1], s[0:1]
; %bb.71:                               ;   in Loop: Header=BB151_44 Depth=1
	v_or_b32_e32 v2, 0x10000, v4
	v_cmp_eq_u32_sdwa vcc, v4, v11 src0_sel:WORD_0 src1_sel:DWORD
	s_nop 1
	v_cndmask_b32_e32 v25, v2, v4, vcc
; %bb.72:                               ;   in Loop: Header=BB151_44 Depth=1
	s_or_b64 exec, exec, s[0:1]
	v_and_b32_e32 v2, 0x7f800000, v5
	v_cmp_ne_u32_e32 vcc, s12, v2
                                        ; implicit-def: $vgpr33
	s_and_saveexec_b64 s[0:1], vcc
	s_xor_b64 s[0:1], exec, s[0:1]
; %bb.73:                               ;   in Loop: Header=BB151_44 Depth=1
	v_bfe_u32 v2, v5, 16, 1
	v_add3_u32 v33, v5, v2, s13
                                        ; implicit-def: $vgpr2_vgpr3_vgpr4_vgpr5
; %bb.74:                               ;   in Loop: Header=BB151_44 Depth=1
	s_andn2_saveexec_b64 s[0:1], s[0:1]
; %bb.75:                               ;   in Loop: Header=BB151_44 Depth=1
	v_or_b32_e32 v2, 0x10000, v5
	v_cmp_eq_u32_sdwa vcc, v5, v11 src0_sel:WORD_0 src1_sel:DWORD
	s_nop 1
	v_cndmask_b32_e32 v33, v2, v5, vcc
; %bb.76:                               ;   in Loop: Header=BB151_44 Depth=1
	s_or_b64 exec, exec, s[0:1]
	s_waitcnt vmcnt(0)
	v_mad_i64_i32 v[2:3], s[0:1], v26, s5, 0
	v_lshl_add_u64 v[6:7], v[2:3], 1, v[16:17]
	global_load_dwordx4 v[2:5], v[6:7], off
	v_add_u32_e32 v26, -7, v20
	v_cmp_eq_u32_e32 vcc, s7, v12
	v_add_u32_e32 v32, -6, v20
	v_add_u32_e32 v30, -5, v20
	;; [unrolled: 1-line block ×6, first 2 shown]
	s_waitcnt vmcnt(0)
	v_lshrrev_b32_e32 v9, 16, v2
	v_lshrrev_b32_e32 v38, 16, v3
	;; [unrolled: 1-line block ×4, first 2 shown]
	s_and_saveexec_b64 s[10:11], vcc
	s_cbranch_execz .LBB151_78
; %bb.77:                               ;   in Loop: Header=BB151_44 Depth=1
	v_cmp_gt_i32_e64 s[0:1], s33, v26
	s_nop 1
	v_cndmask_b32_e64 v2, 0, v2, s[0:1]
	v_cmp_gt_i32_e64 s[0:1], s33, v32
	s_nop 1
	v_cndmask_b32_e64 v9, 0, v9, s[0:1]
	;; [unrolled: 3-line block ×8, first 2 shown]
.LBB151_78:                             ;   in Loop: Header=BB151_44 Depth=1
	s_or_b64 exec, exec, s[10:11]
	v_and_b32_e32 v34, 0xffff0000, v34
	v_lshlrev_b32_e32 v2, 16, v2
	v_mul_f32_e32 v2, v34, v2
	v_and_b32_e32 v8, 0x7f800000, v2
	v_cmp_ne_u32_e64 s[0:1], s12, v8
                                        ; implicit-def: $vgpr8
	s_and_saveexec_b64 s[10:11], s[0:1]
	s_xor_b64 s[0:1], exec, s[10:11]
; %bb.79:                               ;   in Loop: Header=BB151_44 Depth=1
	v_bfe_u32 v8, v2, 16, 1
	v_add3_u32 v8, v2, v8, s13
                                        ; implicit-def: $vgpr2
; %bb.80:                               ;   in Loop: Header=BB151_44 Depth=1
	s_andn2_saveexec_b64 s[10:11], s[0:1]
; %bb.81:                               ;   in Loop: Header=BB151_44 Depth=1
	v_or_b32_e32 v8, 0x10000, v2
	v_cmp_eq_u32_sdwa s[0:1], v2, v11 src0_sel:WORD_0 src1_sel:DWORD
	s_nop 1
	v_cndmask_b32_e64 v8, v8, v2, s[0:1]
; %bb.82:                               ;   in Loop: Header=BB151_44 Depth=1
	s_or_b64 exec, exec, s[10:11]
	v_and_b32_e32 v35, 0xffff0000, v35
	v_lshlrev_b32_e32 v2, 16, v9
	v_mul_f32_e32 v2, v35, v2
	v_and_b32_e32 v9, 0x7f800000, v2
	v_cmp_ne_u32_e64 s[0:1], s12, v9
                                        ; implicit-def: $vgpr9
	s_and_saveexec_b64 s[10:11], s[0:1]
	s_xor_b64 s[0:1], exec, s[10:11]
; %bb.83:                               ;   in Loop: Header=BB151_44 Depth=1
	v_bfe_u32 v9, v2, 16, 1
	v_add3_u32 v9, v2, v9, s13
                                        ; implicit-def: $vgpr2
; %bb.84:                               ;   in Loop: Header=BB151_44 Depth=1
	s_andn2_saveexec_b64 s[10:11], s[0:1]
; %bb.85:                               ;   in Loop: Header=BB151_44 Depth=1
	v_or_b32_e32 v9, 0x10000, v2
	v_cmp_eq_u32_sdwa s[0:1], v2, v11 src0_sel:WORD_0 src1_sel:DWORD
	s_nop 1
	v_cndmask_b32_e64 v9, v9, v2, s[0:1]
; %bb.86:                               ;   in Loop: Header=BB151_44 Depth=1
	s_or_b64 exec, exec, s[10:11]
	v_and_b32_e32 v36, 0xffff0000, v13
	v_lshlrev_b32_e32 v2, 16, v3
	v_mul_f32_e32 v2, v36, v2
	v_and_b32_e32 v3, 0x7f800000, v2
	v_cmp_ne_u32_e64 s[0:1], s12, v3
                                        ; implicit-def: $vgpr13
	s_and_saveexec_b64 s[10:11], s[0:1]
	s_xor_b64 s[0:1], exec, s[10:11]
; %bb.87:                               ;   in Loop: Header=BB151_44 Depth=1
	v_bfe_u32 v3, v2, 16, 1
	v_add3_u32 v13, v2, v3, s13
                                        ; implicit-def: $vgpr2
; %bb.88:                               ;   in Loop: Header=BB151_44 Depth=1
	s_andn2_saveexec_b64 s[10:11], s[0:1]
; %bb.89:                               ;   in Loop: Header=BB151_44 Depth=1
	v_or_b32_e32 v3, 0x10000, v2
	v_cmp_eq_u32_sdwa s[0:1], v2, v11 src0_sel:WORD_0 src1_sel:DWORD
	s_nop 1
	v_cndmask_b32_e64 v13, v3, v2, s[0:1]
; %bb.90:                               ;   in Loop: Header=BB151_44 Depth=1
	s_or_b64 exec, exec, s[10:11]
	v_and_b32_e32 v37, 0xffff0000, v22
	v_lshlrev_b32_e32 v2, 16, v38
	v_mul_f32_e32 v2, v37, v2
	v_and_b32_e32 v3, 0x7f800000, v2
	v_cmp_ne_u32_e64 s[0:1], s12, v3
                                        ; implicit-def: $vgpr22
	s_and_saveexec_b64 s[10:11], s[0:1]
	s_xor_b64 s[0:1], exec, s[10:11]
; %bb.91:                               ;   in Loop: Header=BB151_44 Depth=1
	v_bfe_u32 v3, v2, 16, 1
	v_add3_u32 v22, v2, v3, s13
                                        ; implicit-def: $vgpr2
; %bb.92:                               ;   in Loop: Header=BB151_44 Depth=1
	s_andn2_saveexec_b64 s[10:11], s[0:1]
; %bb.93:                               ;   in Loop: Header=BB151_44 Depth=1
	v_or_b32_e32 v3, 0x10000, v2
	v_cmp_eq_u32_sdwa s[0:1], v2, v11 src0_sel:WORD_0 src1_sel:DWORD
	s_nop 1
	v_cndmask_b32_e64 v22, v3, v2, s[0:1]
; %bb.94:                               ;   in Loop: Header=BB151_44 Depth=1
	s_or_b64 exec, exec, s[10:11]
	v_and_b32_e32 v38, 0xffff0000, v23
	v_lshlrev_b32_e32 v2, 16, v4
	v_mul_f32_e32 v2, v38, v2
	v_and_b32_e32 v3, 0x7f800000, v2
	v_cmp_ne_u32_e64 s[0:1], s12, v3
                                        ; implicit-def: $vgpr23
	s_and_saveexec_b64 s[10:11], s[0:1]
	s_xor_b64 s[0:1], exec, s[10:11]
; %bb.95:                               ;   in Loop: Header=BB151_44 Depth=1
	v_bfe_u32 v3, v2, 16, 1
	v_add3_u32 v23, v2, v3, s13
                                        ; implicit-def: $vgpr2
; %bb.96:                               ;   in Loop: Header=BB151_44 Depth=1
	s_andn2_saveexec_b64 s[10:11], s[0:1]
; %bb.97:                               ;   in Loop: Header=BB151_44 Depth=1
	v_or_b32_e32 v3, 0x10000, v2
	v_cmp_eq_u32_sdwa s[0:1], v2, v11 src0_sel:WORD_0 src1_sel:DWORD
	s_nop 1
	v_cndmask_b32_e64 v23, v3, v2, s[0:1]
; %bb.98:                               ;   in Loop: Header=BB151_44 Depth=1
	s_or_b64 exec, exec, s[10:11]
	v_and_b32_e32 v39, 0xffff0000, v24
	v_lshlrev_b32_e32 v2, 16, v40
	v_mul_f32_e32 v2, v39, v2
	v_and_b32_e32 v3, 0x7f800000, v2
	v_cmp_ne_u32_e64 s[0:1], s12, v3
                                        ; implicit-def: $vgpr24
	s_and_saveexec_b64 s[10:11], s[0:1]
	s_xor_b64 s[0:1], exec, s[10:11]
; %bb.99:                               ;   in Loop: Header=BB151_44 Depth=1
	v_bfe_u32 v3, v2, 16, 1
	v_add3_u32 v24, v2, v3, s13
                                        ; implicit-def: $vgpr2
; %bb.100:                              ;   in Loop: Header=BB151_44 Depth=1
	s_andn2_saveexec_b64 s[10:11], s[0:1]
; %bb.101:                              ;   in Loop: Header=BB151_44 Depth=1
	v_or_b32_e32 v3, 0x10000, v2
	v_cmp_eq_u32_sdwa s[0:1], v2, v11 src0_sel:WORD_0 src1_sel:DWORD
	s_nop 1
	v_cndmask_b32_e64 v24, v3, v2, s[0:1]
; %bb.102:                              ;   in Loop: Header=BB151_44 Depth=1
	s_or_b64 exec, exec, s[10:11]
	v_and_b32_e32 v40, 0xffff0000, v25
	v_lshlrev_b32_e32 v2, 16, v5
	v_mul_f32_e32 v2, v40, v2
	v_and_b32_e32 v3, 0x7f800000, v2
	v_cmp_ne_u32_e64 s[0:1], s12, v3
                                        ; implicit-def: $vgpr25
	s_and_saveexec_b64 s[10:11], s[0:1]
	s_xor_b64 s[0:1], exec, s[10:11]
; %bb.103:                              ;   in Loop: Header=BB151_44 Depth=1
	v_bfe_u32 v3, v2, 16, 1
	v_add3_u32 v25, v2, v3, s13
                                        ; implicit-def: $vgpr2
; %bb.104:                              ;   in Loop: Header=BB151_44 Depth=1
	s_andn2_saveexec_b64 s[10:11], s[0:1]
; %bb.105:                              ;   in Loop: Header=BB151_44 Depth=1
	v_or_b32_e32 v3, 0x10000, v2
	v_cmp_eq_u32_sdwa s[0:1], v2, v11 src0_sel:WORD_0 src1_sel:DWORD
	s_nop 1
	v_cndmask_b32_e64 v25, v3, v2, s[0:1]
; %bb.106:                              ;   in Loop: Header=BB151_44 Depth=1
	s_or_b64 exec, exec, s[10:11]
	v_and_b32_e32 v41, 0xffff0000, v33
	v_lshlrev_b32_e32 v2, 16, v42
	v_mul_f32_e32 v2, v41, v2
	v_and_b32_e32 v3, 0x7f800000, v2
	v_cmp_ne_u32_e64 s[0:1], s12, v3
                                        ; implicit-def: $vgpr33
	s_and_saveexec_b64 s[10:11], s[0:1]
	s_xor_b64 s[0:1], exec, s[10:11]
; %bb.107:                              ;   in Loop: Header=BB151_44 Depth=1
	v_bfe_u32 v3, v2, 16, 1
	v_add3_u32 v33, v2, v3, s13
                                        ; implicit-def: $vgpr2
; %bb.108:                              ;   in Loop: Header=BB151_44 Depth=1
	s_andn2_saveexec_b64 s[10:11], s[0:1]
; %bb.109:                              ;   in Loop: Header=BB151_44 Depth=1
	v_or_b32_e32 v3, 0x10000, v2
	v_cmp_eq_u32_sdwa s[0:1], v2, v11 src0_sel:WORD_0 src1_sel:DWORD
	s_nop 1
	v_cndmask_b32_e64 v33, v3, v2, s[0:1]
; %bb.110:                              ;   in Loop: Header=BB151_44 Depth=1
	s_or_b64 exec, exec, s[10:11]
	global_load_dwordx4 v[2:5], v[6:7], off offset:1024
	s_waitcnt vmcnt(0)
	v_lshrrev_b32_e32 v43, 16, v2
	v_lshrrev_b32_e32 v45, 16, v3
	;; [unrolled: 1-line block ×4, first 2 shown]
	s_and_saveexec_b64 s[10:11], vcc
	s_cbranch_execz .LBB151_112
; %bb.111:                              ;   in Loop: Header=BB151_44 Depth=1
	v_cmp_gt_i32_e64 s[0:1], s33, v26
	s_nop 1
	v_cndmask_b32_e64 v2, 0, v2, s[0:1]
	v_cmp_gt_i32_e64 s[0:1], s33, v32
	s_nop 1
	v_cndmask_b32_e64 v43, 0, v43, s[0:1]
	;; [unrolled: 3-line block ×8, first 2 shown]
.LBB151_112:                            ;   in Loop: Header=BB151_44 Depth=1
	s_or_b64 exec, exec, s[10:11]
	v_lshlrev_b32_e32 v2, 16, v2
	v_mul_f32_e32 v2, v34, v2
	v_and_b32_e32 v42, 0x7f800000, v2
	v_cmp_ne_u32_e64 s[0:1], s12, v42
                                        ; implicit-def: $vgpr42
	s_and_saveexec_b64 s[10:11], s[0:1]
	s_xor_b64 s[0:1], exec, s[10:11]
; %bb.113:                              ;   in Loop: Header=BB151_44 Depth=1
	v_bfe_u32 v42, v2, 16, 1
	v_add3_u32 v42, v2, v42, s13
                                        ; implicit-def: $vgpr2
; %bb.114:                              ;   in Loop: Header=BB151_44 Depth=1
	s_andn2_saveexec_b64 s[10:11], s[0:1]
; %bb.115:                              ;   in Loop: Header=BB151_44 Depth=1
	v_or_b32_e32 v42, 0x10000, v2
	v_cmp_eq_u32_sdwa s[0:1], v2, v11 src0_sel:WORD_0 src1_sel:DWORD
	s_nop 1
	v_cndmask_b32_e64 v42, v42, v2, s[0:1]
; %bb.116:                              ;   in Loop: Header=BB151_44 Depth=1
	s_or_b64 exec, exec, s[10:11]
	v_lshlrev_b32_e32 v2, 16, v43
	v_mul_f32_e32 v2, v35, v2
	v_and_b32_e32 v43, 0x7f800000, v2
	v_cmp_ne_u32_e64 s[0:1], s12, v43
                                        ; implicit-def: $vgpr43
	s_and_saveexec_b64 s[10:11], s[0:1]
	s_xor_b64 s[0:1], exec, s[10:11]
; %bb.117:                              ;   in Loop: Header=BB151_44 Depth=1
	v_bfe_u32 v43, v2, 16, 1
	v_add3_u32 v43, v2, v43, s13
                                        ; implicit-def: $vgpr2
; %bb.118:                              ;   in Loop: Header=BB151_44 Depth=1
	s_andn2_saveexec_b64 s[10:11], s[0:1]
; %bb.119:                              ;   in Loop: Header=BB151_44 Depth=1
	v_or_b32_e32 v43, 0x10000, v2
	v_cmp_eq_u32_sdwa s[0:1], v2, v11 src0_sel:WORD_0 src1_sel:DWORD
	s_nop 1
	v_cndmask_b32_e64 v43, v43, v2, s[0:1]
; %bb.120:                              ;   in Loop: Header=BB151_44 Depth=1
	s_or_b64 exec, exec, s[10:11]
	v_lshlrev_b32_e32 v2, 16, v3
	v_mul_f32_e32 v2, v36, v2
	v_and_b32_e32 v3, 0x7f800000, v2
	v_cmp_ne_u32_e64 s[0:1], s12, v3
                                        ; implicit-def: $vgpr44
	s_and_saveexec_b64 s[10:11], s[0:1]
	s_xor_b64 s[0:1], exec, s[10:11]
; %bb.121:                              ;   in Loop: Header=BB151_44 Depth=1
	v_bfe_u32 v3, v2, 16, 1
	v_add3_u32 v44, v2, v3, s13
                                        ; implicit-def: $vgpr2
; %bb.122:                              ;   in Loop: Header=BB151_44 Depth=1
	s_andn2_saveexec_b64 s[10:11], s[0:1]
; %bb.123:                              ;   in Loop: Header=BB151_44 Depth=1
	v_or_b32_e32 v3, 0x10000, v2
	v_cmp_eq_u32_sdwa s[0:1], v2, v11 src0_sel:WORD_0 src1_sel:DWORD
	s_nop 1
	v_cndmask_b32_e64 v44, v3, v2, s[0:1]
; %bb.124:                              ;   in Loop: Header=BB151_44 Depth=1
	s_or_b64 exec, exec, s[10:11]
	v_lshlrev_b32_e32 v2, 16, v45
	v_mul_f32_e32 v2, v37, v2
	v_and_b32_e32 v3, 0x7f800000, v2
	v_cmp_ne_u32_e64 s[0:1], s12, v3
                                        ; implicit-def: $vgpr45
	s_and_saveexec_b64 s[10:11], s[0:1]
	s_xor_b64 s[0:1], exec, s[10:11]
; %bb.125:                              ;   in Loop: Header=BB151_44 Depth=1
	v_bfe_u32 v3, v2, 16, 1
	v_add3_u32 v45, v2, v3, s13
                                        ; implicit-def: $vgpr2
; %bb.126:                              ;   in Loop: Header=BB151_44 Depth=1
	s_andn2_saveexec_b64 s[10:11], s[0:1]
; %bb.127:                              ;   in Loop: Header=BB151_44 Depth=1
	v_or_b32_e32 v3, 0x10000, v2
	v_cmp_eq_u32_sdwa s[0:1], v2, v11 src0_sel:WORD_0 src1_sel:DWORD
	s_nop 1
	v_cndmask_b32_e64 v45, v3, v2, s[0:1]
; %bb.128:                              ;   in Loop: Header=BB151_44 Depth=1
	s_or_b64 exec, exec, s[10:11]
	v_lshlrev_b32_e32 v2, 16, v4
	v_mul_f32_e32 v2, v38, v2
	v_and_b32_e32 v3, 0x7f800000, v2
	v_cmp_ne_u32_e64 s[0:1], s12, v3
                                        ; implicit-def: $vgpr46
	s_and_saveexec_b64 s[10:11], s[0:1]
	s_xor_b64 s[0:1], exec, s[10:11]
; %bb.129:                              ;   in Loop: Header=BB151_44 Depth=1
	v_bfe_u32 v3, v2, 16, 1
	v_add3_u32 v46, v2, v3, s13
                                        ; implicit-def: $vgpr2
; %bb.130:                              ;   in Loop: Header=BB151_44 Depth=1
	s_andn2_saveexec_b64 s[10:11], s[0:1]
; %bb.131:                              ;   in Loop: Header=BB151_44 Depth=1
	v_or_b32_e32 v3, 0x10000, v2
	v_cmp_eq_u32_sdwa s[0:1], v2, v11 src0_sel:WORD_0 src1_sel:DWORD
	s_nop 1
	v_cndmask_b32_e64 v46, v3, v2, s[0:1]
; %bb.132:                              ;   in Loop: Header=BB151_44 Depth=1
	s_or_b64 exec, exec, s[10:11]
	v_lshlrev_b32_e32 v2, 16, v47
	v_mul_f32_e32 v2, v39, v2
	v_and_b32_e32 v3, 0x7f800000, v2
	v_cmp_ne_u32_e64 s[0:1], s12, v3
                                        ; implicit-def: $vgpr47
	s_and_saveexec_b64 s[10:11], s[0:1]
	s_xor_b64 s[0:1], exec, s[10:11]
; %bb.133:                              ;   in Loop: Header=BB151_44 Depth=1
	v_bfe_u32 v3, v2, 16, 1
	v_add3_u32 v47, v2, v3, s13
                                        ; implicit-def: $vgpr2
; %bb.134:                              ;   in Loop: Header=BB151_44 Depth=1
	s_andn2_saveexec_b64 s[10:11], s[0:1]
; %bb.135:                              ;   in Loop: Header=BB151_44 Depth=1
	v_or_b32_e32 v3, 0x10000, v2
	v_cmp_eq_u32_sdwa s[0:1], v2, v11 src0_sel:WORD_0 src1_sel:DWORD
	s_nop 1
	v_cndmask_b32_e64 v47, v3, v2, s[0:1]
; %bb.136:                              ;   in Loop: Header=BB151_44 Depth=1
	s_or_b64 exec, exec, s[10:11]
	v_lshlrev_b32_e32 v2, 16, v5
	v_mul_f32_e32 v2, v40, v2
	v_and_b32_e32 v3, 0x7f800000, v2
	v_cmp_ne_u32_e64 s[0:1], s12, v3
                                        ; implicit-def: $vgpr48
	s_and_saveexec_b64 s[10:11], s[0:1]
	s_xor_b64 s[0:1], exec, s[10:11]
; %bb.137:                              ;   in Loop: Header=BB151_44 Depth=1
	v_bfe_u32 v3, v2, 16, 1
	v_add3_u32 v48, v2, v3, s13
                                        ; implicit-def: $vgpr2
; %bb.138:                              ;   in Loop: Header=BB151_44 Depth=1
	s_andn2_saveexec_b64 s[10:11], s[0:1]
; %bb.139:                              ;   in Loop: Header=BB151_44 Depth=1
	v_or_b32_e32 v3, 0x10000, v2
	v_cmp_eq_u32_sdwa s[0:1], v2, v11 src0_sel:WORD_0 src1_sel:DWORD
	s_nop 1
	v_cndmask_b32_e64 v48, v3, v2, s[0:1]
; %bb.140:                              ;   in Loop: Header=BB151_44 Depth=1
	s_or_b64 exec, exec, s[10:11]
	v_lshlrev_b32_e32 v2, 16, v49
	v_mul_f32_e32 v2, v41, v2
	v_and_b32_e32 v3, 0x7f800000, v2
	v_cmp_ne_u32_e64 s[0:1], s12, v3
                                        ; implicit-def: $vgpr49
	s_and_saveexec_b64 s[10:11], s[0:1]
	s_xor_b64 s[0:1], exec, s[10:11]
; %bb.141:                              ;   in Loop: Header=BB151_44 Depth=1
	v_bfe_u32 v3, v2, 16, 1
	v_add3_u32 v49, v2, v3, s13
                                        ; implicit-def: $vgpr2
; %bb.142:                              ;   in Loop: Header=BB151_44 Depth=1
	s_andn2_saveexec_b64 s[10:11], s[0:1]
; %bb.143:                              ;   in Loop: Header=BB151_44 Depth=1
	v_or_b32_e32 v3, 0x10000, v2
	v_cmp_eq_u32_sdwa s[0:1], v2, v11 src0_sel:WORD_0 src1_sel:DWORD
	s_nop 1
	v_cndmask_b32_e64 v49, v3, v2, s[0:1]
; %bb.144:                              ;   in Loop: Header=BB151_44 Depth=1
	s_or_b64 exec, exec, s[10:11]
	global_load_dwordx4 v[2:5], v[6:7], off offset:2048
	s_waitcnt vmcnt(0)
	v_lshrrev_b32_e32 v7, 16, v2
	v_lshrrev_b32_e32 v51, 16, v3
	;; [unrolled: 1-line block ×4, first 2 shown]
	s_and_saveexec_b64 s[0:1], vcc
	s_cbranch_execz .LBB151_146
; %bb.145:                              ;   in Loop: Header=BB151_44 Depth=1
	v_cmp_gt_i32_e32 vcc, s33, v26
	s_nop 1
	v_cndmask_b32_e32 v2, 0, v2, vcc
	v_cmp_gt_i32_e32 vcc, s33, v32
	s_nop 1
	v_cndmask_b32_e32 v7, 0, v7, vcc
	;; [unrolled: 3-line block ×8, first 2 shown]
.LBB151_146:                            ;   in Loop: Header=BB151_44 Depth=1
	s_or_b64 exec, exec, s[0:1]
	v_lshlrev_b32_e32 v2, 16, v2
	v_mul_f32_e32 v26, v34, v2
	v_and_b32_e32 v2, 0x7f800000, v26
	v_cmp_ne_u32_e32 vcc, s12, v2
                                        ; implicit-def: $vgpr2
	s_and_saveexec_b64 s[0:1], vcc
	s_xor_b64 s[0:1], exec, s[0:1]
; %bb.147:                              ;   in Loop: Header=BB151_44 Depth=1
	v_bfe_u32 v2, v26, 16, 1
	v_add3_u32 v2, v26, v2, s13
                                        ; implicit-def: $vgpr26
; %bb.148:                              ;   in Loop: Header=BB151_44 Depth=1
	s_andn2_saveexec_b64 s[0:1], s[0:1]
; %bb.149:                              ;   in Loop: Header=BB151_44 Depth=1
	v_or_b32_e32 v2, 0x10000, v26
	v_cmp_eq_u32_sdwa vcc, v26, v11 src0_sel:WORD_0 src1_sel:DWORD
	s_nop 1
	v_cndmask_b32_e32 v2, v2, v26, vcc
; %bb.150:                              ;   in Loop: Header=BB151_44 Depth=1
	s_or_b64 exec, exec, s[0:1]
	v_lshlrev_b32_e32 v7, 16, v7
	v_mul_f32_e32 v26, v35, v7
	v_and_b32_e32 v7, 0x7f800000, v26
	v_cmp_ne_u32_e32 vcc, s12, v7
                                        ; implicit-def: $vgpr7
	s_and_saveexec_b64 s[0:1], vcc
	s_xor_b64 s[0:1], exec, s[0:1]
; %bb.151:                              ;   in Loop: Header=BB151_44 Depth=1
	v_bfe_u32 v7, v26, 16, 1
	v_add3_u32 v7, v26, v7, s13
                                        ; implicit-def: $vgpr26
; %bb.152:                              ;   in Loop: Header=BB151_44 Depth=1
	s_andn2_saveexec_b64 s[0:1], s[0:1]
; %bb.153:                              ;   in Loop: Header=BB151_44 Depth=1
	v_or_b32_e32 v7, 0x10000, v26
	v_cmp_eq_u32_sdwa vcc, v26, v11 src0_sel:WORD_0 src1_sel:DWORD
	s_nop 1
	v_cndmask_b32_e32 v7, v7, v26, vcc
; %bb.154:                              ;   in Loop: Header=BB151_44 Depth=1
	s_or_b64 exec, exec, s[0:1]
	v_lshlrev_b32_e32 v3, 16, v3
	v_mul_f32_e32 v26, v36, v3
	v_and_b32_e32 v3, 0x7f800000, v26
	v_cmp_ne_u32_e32 vcc, s12, v3
                                        ; implicit-def: $vgpr3
	s_and_saveexec_b64 s[0:1], vcc
	s_xor_b64 s[0:1], exec, s[0:1]
; %bb.155:                              ;   in Loop: Header=BB151_44 Depth=1
	v_bfe_u32 v3, v26, 16, 1
	v_add3_u32 v3, v26, v3, s13
                                        ; implicit-def: $vgpr26
; %bb.156:                              ;   in Loop: Header=BB151_44 Depth=1
	s_andn2_saveexec_b64 s[0:1], s[0:1]
; %bb.157:                              ;   in Loop: Header=BB151_44 Depth=1
	v_or_b32_e32 v3, 0x10000, v26
	v_cmp_eq_u32_sdwa vcc, v26, v11 src0_sel:WORD_0 src1_sel:DWORD
	s_nop 1
	v_cndmask_b32_e32 v3, v3, v26, vcc
; %bb.158:                              ;   in Loop: Header=BB151_44 Depth=1
	s_or_b64 exec, exec, s[0:1]
	v_lshlrev_b32_e32 v26, 16, v51
	v_mul_f32_e32 v27, v37, v26
	v_and_b32_e32 v26, 0x7f800000, v27
	v_cmp_ne_u32_e32 vcc, s12, v26
                                        ; implicit-def: $vgpr26
	s_and_saveexec_b64 s[0:1], vcc
	s_xor_b64 s[0:1], exec, s[0:1]
; %bb.159:                              ;   in Loop: Header=BB151_44 Depth=1
	v_bfe_u32 v26, v27, 16, 1
	v_add3_u32 v26, v27, v26, s13
                                        ; implicit-def: $vgpr27
; %bb.160:                              ;   in Loop: Header=BB151_44 Depth=1
	s_andn2_saveexec_b64 s[0:1], s[0:1]
; %bb.161:                              ;   in Loop: Header=BB151_44 Depth=1
	v_or_b32_e32 v26, 0x10000, v27
	v_cmp_eq_u32_sdwa vcc, v27, v11 src0_sel:WORD_0 src1_sel:DWORD
	s_nop 1
	v_cndmask_b32_e32 v26, v26, v27, vcc
; %bb.162:                              ;   in Loop: Header=BB151_44 Depth=1
	s_or_b64 exec, exec, s[0:1]
	v_lshlrev_b32_e32 v4, 16, v4
	v_mul_f32_e32 v27, v38, v4
	v_and_b32_e32 v4, 0x7f800000, v27
	v_cmp_ne_u32_e32 vcc, s12, v4
                                        ; implicit-def: $vgpr4
	s_and_saveexec_b64 s[0:1], vcc
	s_xor_b64 s[0:1], exec, s[0:1]
; %bb.163:                              ;   in Loop: Header=BB151_44 Depth=1
	v_bfe_u32 v4, v27, 16, 1
	v_add3_u32 v4, v27, v4, s13
                                        ; implicit-def: $vgpr27
; %bb.164:                              ;   in Loop: Header=BB151_44 Depth=1
	s_andn2_saveexec_b64 s[0:1], s[0:1]
; %bb.165:                              ;   in Loop: Header=BB151_44 Depth=1
	v_or_b32_e32 v4, 0x10000, v27
	v_cmp_eq_u32_sdwa vcc, v27, v11 src0_sel:WORD_0 src1_sel:DWORD
	s_nop 1
	v_cndmask_b32_e32 v4, v4, v27, vcc
; %bb.166:                              ;   in Loop: Header=BB151_44 Depth=1
	s_or_b64 exec, exec, s[0:1]
	v_lshlrev_b32_e32 v27, 16, v50
	v_mul_f32_e32 v28, v39, v27
	v_and_b32_e32 v27, 0x7f800000, v28
	v_cmp_ne_u32_e32 vcc, s12, v27
                                        ; implicit-def: $vgpr27
	s_and_saveexec_b64 s[0:1], vcc
	s_xor_b64 s[0:1], exec, s[0:1]
; %bb.167:                              ;   in Loop: Header=BB151_44 Depth=1
	v_bfe_u32 v27, v28, 16, 1
	v_add3_u32 v27, v28, v27, s13
                                        ; implicit-def: $vgpr28
; %bb.168:                              ;   in Loop: Header=BB151_44 Depth=1
	s_andn2_saveexec_b64 s[0:1], s[0:1]
; %bb.169:                              ;   in Loop: Header=BB151_44 Depth=1
	v_or_b32_e32 v27, 0x10000, v28
	v_cmp_eq_u32_sdwa vcc, v28, v11 src0_sel:WORD_0 src1_sel:DWORD
	s_nop 1
	v_cndmask_b32_e32 v27, v27, v28, vcc
; %bb.170:                              ;   in Loop: Header=BB151_44 Depth=1
	s_or_b64 exec, exec, s[0:1]
	v_lshlrev_b32_e32 v5, 16, v5
	v_mul_f32_e32 v28, v40, v5
	v_and_b32_e32 v5, 0x7f800000, v28
	v_cmp_ne_u32_e32 vcc, s12, v5
                                        ; implicit-def: $vgpr5
	s_and_saveexec_b64 s[0:1], vcc
	s_xor_b64 s[0:1], exec, s[0:1]
; %bb.171:                              ;   in Loop: Header=BB151_44 Depth=1
	v_bfe_u32 v5, v28, 16, 1
	v_add3_u32 v5, v28, v5, s13
                                        ; implicit-def: $vgpr28
; %bb.172:                              ;   in Loop: Header=BB151_44 Depth=1
	s_andn2_saveexec_b64 s[0:1], s[0:1]
; %bb.173:                              ;   in Loop: Header=BB151_44 Depth=1
	v_or_b32_e32 v5, 0x10000, v28
	v_cmp_eq_u32_sdwa vcc, v28, v11 src0_sel:WORD_0 src1_sel:DWORD
	s_nop 1
	v_cndmask_b32_e32 v5, v5, v28, vcc
; %bb.174:                              ;   in Loop: Header=BB151_44 Depth=1
	s_or_b64 exec, exec, s[0:1]
	v_lshlrev_b32_e32 v6, 16, v6
	v_mul_f32_e32 v28, v41, v6
	v_and_b32_e32 v6, 0x7f800000, v28
	v_cmp_ne_u32_e32 vcc, s12, v6
                                        ; implicit-def: $vgpr6
	s_and_saveexec_b64 s[0:1], vcc
	s_xor_b64 s[0:1], exec, s[0:1]
; %bb.175:                              ;   in Loop: Header=BB151_44 Depth=1
	v_bfe_u32 v6, v28, 16, 1
	v_add3_u32 v6, v28, v6, s13
                                        ; implicit-def: $vgpr28
; %bb.176:                              ;   in Loop: Header=BB151_44 Depth=1
	s_andn2_saveexec_b64 s[0:1], s[0:1]
	s_cbranch_execz .LBB151_43
; %bb.177:                              ;   in Loop: Header=BB151_44 Depth=1
	v_or_b32_e32 v6, 0x10000, v28
	v_cmp_eq_u32_sdwa vcc, v28, v11 src0_sel:WORD_0 src1_sel:DWORD
	s_nop 1
	v_cndmask_b32_e32 v6, v6, v28, vcc
	s_branch .LBB151_43
.LBB151_178:
	s_or_b64 exec, exec, s[8:9]
.LBB151_179:
	s_or_b64 exec, exec, s[2:3]
	v_and_b32_e32 v2, 0x3c0, v0
	v_cmp_eq_u32_e32 vcc, 64, v2
	s_barrier
	s_and_saveexec_b64 s[0:1], vcc
	s_cbranch_execz .LBB151_181
; %bb.180:
	v_mov_b32_e32 v2, 0x190
	v_lshl_add_u32 v1, v1, 2, v2
	v_lshl_add_u32 v2, v0, 2, v2
	ds_write_b32 v1, v14
	ds_write_b32 v2, v15
	ds_write_b32 v1, v10 offset:512
.LBB151_181:
	s_or_b64 exec, exec, s[0:1]
	v_cmp_gt_u32_e32 vcc, 64, v0
	s_waitcnt lgkmcnt(0)
	s_barrier
	s_and_saveexec_b64 s[0:1], vcc
	s_cbranch_execz .LBB151_183
; %bb.182:
	v_mov_b32_e32 v1, 0x190
	v_lshl_add_u32 v1, v0, 2, v1
	ds_read2st64_b32 v[2:3], v1 offset1:1
	ds_read_b32 v1, v1 offset:512
	s_waitcnt lgkmcnt(1)
	v_pk_add_f32 v[14:15], v[14:15], v[2:3]
	s_waitcnt lgkmcnt(0)
	v_add_f32_e32 v10, v10, v1
.LBB151_183:
	s_or_b64 exec, exec, s[0:1]
	s_barrier
	s_and_saveexec_b64 s[0:1], vcc
	s_cbranch_execz .LBB151_197
; %bb.184:
	s_mov_b32 s0, 0x7f800000
	v_and_b32_e32 v1, 0x7f800000, v14
	v_cmp_ne_u32_e32 vcc, s0, v1
                                        ; implicit-def: $vgpr2
	s_and_saveexec_b64 s[0:1], vcc
	s_xor_b64 s[0:1], exec, s[0:1]
; %bb.185:
	v_bfe_u32 v1, v14, 16, 1
	s_movk_i32 s2, 0x7fff
	v_add3_u32 v2, v14, v1, s2
; %bb.186:
	s_andn2_saveexec_b64 s[0:1], s[0:1]
; %bb.187:
	v_mov_b32_e32 v1, 0
	v_or_b32_e32 v2, 0x10000, v14
	v_cmp_eq_u32_sdwa vcc, v14, v1 src0_sel:WORD_0 src1_sel:DWORD
	s_nop 1
	v_cndmask_b32_e32 v2, v2, v14, vcc
; %bb.188:
	s_or_b64 exec, exec, s[0:1]
	s_mul_i32 s0, s6, 0xc0
	s_ashr_i32 s1, s0, 31
	s_lshl_b64 s[0:1], s[0:1], 1
	s_add_u32 s2, s24, s0
	s_mul_i32 s0, s29, s26
	s_addc_u32 s3, s25, s1
	s_ashr_i32 s1, s0, 31
	s_lshl_b64 s[0:1], s[0:1], 1
	s_add_u32 s2, s2, s0
	s_mul_i32 s0, s4, 0xc0
	s_addc_u32 s3, s3, s1
	s_ashr_i32 s1, s0, 31
	s_lshl_b64 s[0:1], s[0:1], 1
	s_add_u32 s0, s2, s0
	s_addc_u32 s1, s3, s1
	v_lshlrev_b32_e32 v0, 1, v0
	global_store_short_d16_hi v0, v2, s[0:1]
	s_mov_b32 s2, 0x7f800000
	v_and_b32_e32 v2, 0x7f800000, v15
	v_mov_b32_e32 v1, 0
	v_cmp_ne_u32_e32 vcc, s2, v2
                                        ; implicit-def: $vgpr2
	s_and_saveexec_b64 s[2:3], vcc
	s_xor_b64 s[2:3], exec, s[2:3]
; %bb.189:
	v_bfe_u32 v2, v15, 16, 1
	s_movk_i32 s4, 0x7fff
	v_add3_u32 v2, v15, v2, s4
; %bb.190:
	s_or_saveexec_b64 s[2:3], s[2:3]
	v_lshl_add_u64 v[0:1], s[0:1], 0, v[0:1]
	s_xor_b64 exec, exec, s[2:3]
; %bb.191:
	v_mov_b32_e32 v2, 0
	v_or_b32_e32 v3, 0x10000, v15
	v_cmp_eq_u32_sdwa vcc, v15, v2 src0_sel:WORD_0 src1_sel:DWORD
	s_nop 1
	v_cndmask_b32_e32 v2, v3, v15, vcc
; %bb.192:
	s_or_b64 exec, exec, s[2:3]
	global_store_short_d16_hi v[0:1], v2, off offset:128
	s_mov_b32 s0, 0x7f800000
	v_and_b32_e32 v2, 0x7f800000, v10
	v_cmp_ne_u32_e32 vcc, s0, v2
                                        ; implicit-def: $vgpr2
	s_and_saveexec_b64 s[0:1], vcc
	s_xor_b64 s[0:1], exec, s[0:1]
; %bb.193:
	v_bfe_u32 v2, v10, 16, 1
	s_movk_i32 s2, 0x7fff
	v_add3_u32 v2, v10, v2, s2
                                        ; implicit-def: $vgpr8_vgpr9_vgpr10
; %bb.194:
	s_andn2_saveexec_b64 s[0:1], s[0:1]
; %bb.195:
	v_mov_b32_e32 v2, 0
	v_or_b32_e32 v3, 0x10000, v10
	v_cmp_eq_u32_sdwa vcc, v10, v2 src0_sel:WORD_0 src1_sel:DWORD
	s_nop 1
	v_cndmask_b32_e32 v2, v3, v10, vcc
; %bb.196:
	s_or_b64 exec, exec, s[0:1]
	global_store_short_d16_hi v[0:1], v2, off offset:256
.LBB151_197:
	s_endpgm
	.section	.rodata,"a",@progbits
	.p2align	6, 0x0
	.amdhsa_kernel _ZN4vllm25paged_attention_v2_kernelI14__hip_bfloat16S1_Li192ELi8ELi128ELNS_18Fp8KVCacheDataTypeE0ELb0ELi512EEEvPfS3_PT_PKS4_PKT0_SA_ifPKiSC_iPKfiiiSE_SE_iiiii
		.amdhsa_group_segment_fixed_size 400
		.amdhsa_private_segment_fixed_size 0
		.amdhsa_kernarg_size 400
		.amdhsa_user_sgpr_count 2
		.amdhsa_user_sgpr_dispatch_ptr 0
		.amdhsa_user_sgpr_queue_ptr 0
		.amdhsa_user_sgpr_kernarg_segment_ptr 1
		.amdhsa_user_sgpr_dispatch_id 0
		.amdhsa_user_sgpr_kernarg_preload_length 0
		.amdhsa_user_sgpr_kernarg_preload_offset 0
		.amdhsa_user_sgpr_private_segment_size 0
		.amdhsa_uses_dynamic_stack 0
		.amdhsa_enable_private_segment 0
		.amdhsa_system_sgpr_workgroup_id_x 1
		.amdhsa_system_sgpr_workgroup_id_y 1
		.amdhsa_system_sgpr_workgroup_id_z 1
		.amdhsa_system_sgpr_workgroup_info 0
		.amdhsa_system_vgpr_workitem_id 0
		.amdhsa_next_free_vgpr 67
		.amdhsa_next_free_sgpr 44
		.amdhsa_accum_offset 68
		.amdhsa_reserve_vcc 1
		.amdhsa_float_round_mode_32 0
		.amdhsa_float_round_mode_16_64 0
		.amdhsa_float_denorm_mode_32 3
		.amdhsa_float_denorm_mode_16_64 3
		.amdhsa_dx10_clamp 1
		.amdhsa_ieee_mode 1
		.amdhsa_fp16_overflow 0
		.amdhsa_tg_split 0
		.amdhsa_exception_fp_ieee_invalid_op 0
		.amdhsa_exception_fp_denorm_src 0
		.amdhsa_exception_fp_ieee_div_zero 0
		.amdhsa_exception_fp_ieee_overflow 0
		.amdhsa_exception_fp_ieee_underflow 0
		.amdhsa_exception_fp_ieee_inexact 0
		.amdhsa_exception_int_div_zero 0
	.end_amdhsa_kernel
	.section	.text._ZN4vllm25paged_attention_v2_kernelI14__hip_bfloat16S1_Li192ELi8ELi128ELNS_18Fp8KVCacheDataTypeE0ELb0ELi512EEEvPfS3_PT_PKS4_PKT0_SA_ifPKiSC_iPKfiiiSE_SE_iiiii,"axG",@progbits,_ZN4vllm25paged_attention_v2_kernelI14__hip_bfloat16S1_Li192ELi8ELi128ELNS_18Fp8KVCacheDataTypeE0ELb0ELi512EEEvPfS3_PT_PKS4_PKT0_SA_ifPKiSC_iPKfiiiSE_SE_iiiii,comdat
.Lfunc_end151:
	.size	_ZN4vllm25paged_attention_v2_kernelI14__hip_bfloat16S1_Li192ELi8ELi128ELNS_18Fp8KVCacheDataTypeE0ELb0ELi512EEEvPfS3_PT_PKS4_PKT0_SA_ifPKiSC_iPKfiiiSE_SE_iiiii, .Lfunc_end151-_ZN4vllm25paged_attention_v2_kernelI14__hip_bfloat16S1_Li192ELi8ELi128ELNS_18Fp8KVCacheDataTypeE0ELb0ELi512EEEvPfS3_PT_PKS4_PKT0_SA_ifPKiSC_iPKfiiiSE_SE_iiiii
                                        ; -- End function
	.section	.AMDGPU.csdata,"",@progbits
; Kernel info:
; codeLenInByte = 7460
; NumSgprs: 50
; NumVgprs: 67
; NumAgprs: 0
; TotalNumVgprs: 67
; ScratchSize: 0
; MemoryBound: 0
; FloatMode: 240
; IeeeMode: 1
; LDSByteSize: 400 bytes/workgroup (compile time only)
; SGPRBlocks: 6
; VGPRBlocks: 8
; NumSGPRsForWavesPerEU: 50
; NumVGPRsForWavesPerEU: 67
; AccumOffset: 68
; Occupancy: 7
; WaveLimiterHint : 1
; COMPUTE_PGM_RSRC2:SCRATCH_EN: 0
; COMPUTE_PGM_RSRC2:USER_SGPR: 2
; COMPUTE_PGM_RSRC2:TRAP_HANDLER: 0
; COMPUTE_PGM_RSRC2:TGID_X_EN: 1
; COMPUTE_PGM_RSRC2:TGID_Y_EN: 1
; COMPUTE_PGM_RSRC2:TGID_Z_EN: 1
; COMPUTE_PGM_RSRC2:TIDIG_COMP_CNT: 0
; COMPUTE_PGM_RSRC3_GFX90A:ACCUM_OFFSET: 16
; COMPUTE_PGM_RSRC3_GFX90A:TG_SPLIT: 0
	.section	.text._ZN4vllm25paged_attention_v2_kernelI14__hip_bfloat16S1_Li256ELi8ELi128ELNS_18Fp8KVCacheDataTypeE0ELb0ELi512EEEvPfS3_PT_PKS4_PKT0_SA_ifPKiSC_iPKfiiiSE_SE_iiiii,"axG",@progbits,_ZN4vllm25paged_attention_v2_kernelI14__hip_bfloat16S1_Li256ELi8ELi128ELNS_18Fp8KVCacheDataTypeE0ELb0ELi512EEEvPfS3_PT_PKS4_PKT0_SA_ifPKiSC_iPKfiiiSE_SE_iiiii,comdat
	.protected	_ZN4vllm25paged_attention_v2_kernelI14__hip_bfloat16S1_Li256ELi8ELi128ELNS_18Fp8KVCacheDataTypeE0ELb0ELi512EEEvPfS3_PT_PKS4_PKT0_SA_ifPKiSC_iPKfiiiSE_SE_iiiii ; -- Begin function _ZN4vllm25paged_attention_v2_kernelI14__hip_bfloat16S1_Li256ELi8ELi128ELNS_18Fp8KVCacheDataTypeE0ELb0ELi512EEEvPfS3_PT_PKS4_PKT0_SA_ifPKiSC_iPKfiiiSE_SE_iiiii
	.globl	_ZN4vllm25paged_attention_v2_kernelI14__hip_bfloat16S1_Li256ELi8ELi128ELNS_18Fp8KVCacheDataTypeE0ELb0ELi512EEEvPfS3_PT_PKS4_PKT0_SA_ifPKiSC_iPKfiiiSE_SE_iiiii
	.p2align	8
	.type	_ZN4vllm25paged_attention_v2_kernelI14__hip_bfloat16S1_Li256ELi8ELi128ELNS_18Fp8KVCacheDataTypeE0ELb0ELi512EEEvPfS3_PT_PKS4_PKT0_SA_ifPKiSC_iPKfiiiSE_SE_iiiii,@function
_ZN4vllm25paged_attention_v2_kernelI14__hip_bfloat16S1_Li256ELi8ELi128ELNS_18Fp8KVCacheDataTypeE0ELb0ELi512EEEvPfS3_PT_PKS4_PKT0_SA_ifPKiSC_iPKfiiiSE_SE_iiiii: ; @_ZN4vllm25paged_attention_v2_kernelI14__hip_bfloat16S1_Li256ELi8ELi128ELNS_18Fp8KVCacheDataTypeE0ELb0ELi512EEEvPfS3_PT_PKS4_PKT0_SA_ifPKiSC_iPKfiiiSE_SE_iiiii
; %bb.0:
	s_load_dwordx2 s[6:7], s[0:1], 0x40
	s_mov_b32 s28, s3
	s_ashr_i32 s29, s3, 31
	s_lshl_b64 s[8:9], s[28:29], 2
	s_waitcnt lgkmcnt(0)
	s_add_u32 s6, s6, s8
	s_addc_u32 s7, s7, s9
	s_load_dword s33, s[6:7], 0x0
	s_lshl_b32 s40, s4, 9
	s_waitcnt lgkmcnt(0)
	s_cmp_ge_i32 s40, s33
	s_cbranch_scc1 .LBB152_235
; %bb.1:
	s_load_dword s5, s[0:1], 0x90
	s_load_dwordx2 s[10:11], s[0:1], 0x30
	s_waitcnt lgkmcnt(0)
	s_abs_i32 s7, s5
	s_abs_i32 s3, s10
	v_cvt_f32_u32_e32 v1, s3
	s_sub_i32 s8, 0, s3
	s_xor_b32 s6, s5, s10
	s_ashr_i32 s6, s6, 31
	v_rcp_iflag_f32_e32 v1, v1
	s_nop 0
	v_mul_f32_e32 v1, 0x4f7ffffe, v1
	v_cvt_u32_f32_e32 v1, v1
	s_nop 0
	v_readfirstlane_b32 s9, v1
	s_mul_i32 s8, s8, s9
	s_mul_hi_u32 s8, s9, s8
	s_add_i32 s9, s9, s8
	s_mul_hi_u32 s8, s7, s9
	s_mul_i32 s9, s8, s3
	s_sub_i32 s7, s7, s9
	s_add_i32 s10, s8, 1
	s_sub_i32 s9, s7, s3
	s_cmp_ge_u32 s7, s3
	s_cselect_b32 s8, s10, s8
	s_cselect_b32 s7, s9, s7
	s_add_i32 s9, s8, 1
	s_cmp_ge_u32 s7, s3
	s_cselect_b32 s3, s9, s8
	s_xor_b32 s3, s3, s6
	s_sub_i32 s10, s3, s6
	s_abs_i32 s36, s10
	v_cvt_f32_u32_e32 v1, s36
	s_load_dwordx2 s[6:7], s[0:1], 0x50
	s_sub_i32 s3, 0, s36
	s_abs_i32 s37, s2
	v_rcp_iflag_f32_e32 v1, v1
	s_nop 0
	v_mul_f32_e32 v1, 0x4f7ffffe, v1
	v_cvt_u32_f32_e32 v1, v1
	s_nop 0
	v_readfirstlane_b32 s8, v1
	s_mul_i32 s3, s3, s8
	s_mul_hi_u32 s3, s8, s3
	s_add_i32 s8, s8, s3
	s_waitcnt lgkmcnt(0)
	s_cmp_eq_u64 s[6:7], 0
	s_mov_b32 s3, 0
	s_cbranch_scc1 .LBB152_3
; %bb.2:
	s_ashr_i32 s3, s2, 31
	s_lshl_b64 s[12:13], s[2:3], 2
	s_add_u32 s6, s6, s12
	s_addc_u32 s7, s7, s13
	s_load_dword s3, s[6:7], 0x0
.LBB152_3:
	s_load_dwordx4 s[20:23], s[0:1], 0x0
	s_load_dwordx2 s[24:25], s[0:1], 0x10
	s_load_dwordx4 s[12:15], s[0:1], 0x20
	s_load_dwordx2 s[30:31], s[0:1], 0x38
	s_load_dword s29, s[0:1], 0x98
	s_load_dwordx4 s[16:19], s[0:1], 0x58
	v_and_b32_e32 v47, 7, v0
	s_lshl_b32 s26, s2, 8
	s_movk_i32 s6, 0x100
	s_mul_hi_u32 s38, s37, s8
	s_ashr_i32 s27, s26, 31
	v_cmp_gt_u32_e32 vcc, s6, v0
	v_lshlrev_b32_e32 v2, 1, v47
	s_and_saveexec_b64 s[6:7], vcc
	s_cbranch_execz .LBB152_6
; %bb.4:
	s_load_dwordx2 s[8:9], s[0:1], 0x18
	s_waitcnt lgkmcnt(0)
	s_mul_i32 s34, s28, s16
	s_ashr_i32 s35, s34, 31
	s_lshl_b64 s[34:35], s[34:35], 1
	s_lshl_b64 s[42:43], s[26:27], 1
	s_add_u32 s16, s34, s42
	s_addc_u32 s19, s35, s43
	v_lshrrev_b32_e32 v4, 3, v0
	s_add_u32 s8, s8, s16
	v_add_u32_e32 v1, -16, v4
	v_lshlrev_b32_e32 v3, 1, v4
	v_lshl_or_b32 v4, v4, 4, v2
	v_mov_b32_e32 v5, 0
	s_addc_u32 s9, s9, s19
	v_lshl_add_u32 v3, v47, 6, v3
	v_lshl_add_u64 v[4:5], s[8:9], 0, v[4:5]
	s_mov_b64 s[8:9], 0
	s_mov_b64 s[34:35], 0x100
.LBB152_5:                              ; =>This Inner Loop Header: Depth=1
	global_load_ushort v6, v[4:5], off
	v_add_co_u32_e32 v1, vcc, 16, v1
	s_xor_b64 s[42:43], vcc, -1
	s_and_b64 s[42:43], exec, s[42:43]
	v_lshl_add_u64 v[4:5], v[4:5], 0, s[34:35]
	s_or_b64 s[8:9], s[42:43], s[8:9]
	s_waitcnt vmcnt(0)
	ds_write_b16 v3, v6
	v_add_u32_e32 v3, 32, v3
	s_andn2_b64 exec, exec, s[8:9]
	s_cbranch_execnz .LBB152_5
.LBB152_6:
	s_or_b64 exec, exec, s[6:7]
	s_add_i32 s8, s33, 7
	s_ashr_i32 s9, s8, 31
	s_ashr_i32 s6, s2, 31
	s_ashr_i32 s7, s10, 31
	s_lshr_b32 s9, s9, 29
	s_add_i32 s8, s8, s9
	s_lshl_b32 s10, s4, 6
	s_xor_b32 s6, s6, s7
	s_mul_i32 s7, s38, s36
	s_ashr_i32 s27, s8, 3
	s_add_i32 s8, s10, 64
	s_sub_i32 s7, s37, s7
	s_waitcnt lgkmcnt(0)
	s_min_i32 s16, s8, s27
	s_add_i32 s8, s38, 1
	s_sub_i32 s9, s7, s36
	s_cmp_ge_u32 s7, s36
	s_load_dword s0, s[0:1], 0x48
	s_cselect_b32 s8, s8, s38
	s_cselect_b32 s7, s9, s7
	s_add_i32 s9, s8, 1
	s_cmp_ge_u32 s7, s36
	v_lshrrev_b32_e32 v6, 6, v0
	s_cselect_b32 s7, s9, s8
	s_xor_b32 s7, s7, s6
	s_waitcnt lgkmcnt(0)
	s_mul_i32 s34, s28, s0
	v_or_b32_e32 v14, s10, v6
	s_sub_i32 s8, s7, s6
	s_ashr_i32 s35, s34, 31
	v_cmp_gt_i32_e64 s[0:1], s16, v14
	v_cmp_le_i32_e32 vcc, s16, v14
	v_mbcnt_lo_u32_b32 v4, -1, 0
	s_barrier
	s_waitcnt lgkmcnt(0)
                                        ; implicit-def: $sgpr9
                                        ; implicit-def: $vgpr8
                                        ; implicit-def: $vgpr9
	s_and_saveexec_b64 s[6:7], vcc
	s_xor_b64 s[6:7], exec, s[6:7]
; %bb.7:
	v_mbcnt_hi_u32_b32 v8, -1, v4
	v_and_b32_e32 v1, 64, v8
	v_add_u32_e32 v9, 64, v1
	s_mov_b32 s9, 0xff7fffff
                                        ; implicit-def: $vgpr2
                                        ; implicit-def: $vgpr47
                                        ; implicit-def: $vgpr4
; %bb.8:
	s_or_saveexec_b64 s[36:37], s[6:7]
	v_mov_b32_e32 v43, s9
	s_mul_i32 s18, s8, s18
	v_ashrrev_i32_e32 v15, 31, v14
	v_lshlrev_b32_e32 v7, 3, v6
	s_xor_b64 exec, exec, s[36:37]
	s_cbranch_execz .LBB152_14
; %bb.9:
	s_ashr_i32 s19, s18, 31
	s_lshl_b64 s[6:7], s[18:19], 1
	v_bfe_u32 v5, v0, 3, 3
	s_add_u32 s6, s12, s6
	s_addc_u32 s7, s13, s7
	v_lshlrev_b32_e32 v8, 4, v5
	v_mov_b32_e32 v9, 0
	v_lshl_add_u64 v[10:11], s[6:7], 0, v[8:9]
	v_mbcnt_hi_u32_b32 v8, -1, v4
	v_and_b32_e32 v4, 64, v8
	v_mov_b32_e32 v3, v9
	v_add_u32_e32 v9, 64, v4
	v_xor_b32_e32 v4, 4, v8
	v_cmp_lt_i32_e32 vcc, v4, v9
	v_lshlrev_b32_e32 v1, 6, v47
	ds_read_b128 v[16:19], v1
	v_cndmask_b32_e32 v4, v8, v4, vcc
	v_lshlrev_b32_e32 v44, 2, v4
	v_xor_b32_e32 v4, 2, v8
	v_cmp_lt_i32_e32 vcc, v4, v9
	ds_read_b128 v[24:27], v1 offset:16
	ds_read_b128 v[32:35], v1 offset:32
	;; [unrolled: 1-line block ×3, first 2 shown]
	v_cndmask_b32_e32 v4, v8, v4, vcc
	v_lshlrev_b32_e32 v45, 2, v4
	v_xor_b32_e32 v4, 1, v8
	v_cmp_lt_i32_e32 vcc, v4, v9
	s_sub_i32 s19, 1, s33
	s_lshl_b64 s[8:9], s[34:35], 2
	v_cndmask_b32_e32 v4, v8, v4, vcc
	v_lshlrev_b32_e32 v46, 2, v4
	v_lshlrev_b32_e32 v4, 2, v5
	s_add_u32 s8, s30, s8
	v_lshl_or_b32 v4, v6, 5, v4
	s_addc_u32 s9, s31, s9
	s_mov_b32 s41, s17
	v_lshl_add_u64 v[2:3], v[10:11], 0, v[2:3]
	s_waitcnt lgkmcnt(3)
	v_lshlrev_b32_e32 v1, 16, v16
	v_and_b32_e32 v10, 0xffff0000, v16
	v_lshlrev_b32_e32 v11, 16, v17
	v_and_b32_e32 v12, 0xffff0000, v17
	v_lshlrev_b32_e32 v13, 16, v18
	v_and_b32_e32 v16, 0xffff0000, v18
	v_lshlrev_b32_e32 v17, 16, v19
	v_and_b32_e32 v18, 0xffff0000, v19
	s_waitcnt lgkmcnt(2)
	v_lshlrev_b32_e32 v19, 16, v24
	v_and_b32_e32 v20, 0xffff0000, v24
	v_lshlrev_b32_e32 v21, 16, v25
	v_and_b32_e32 v22, 0xffff0000, v25
	v_lshlrev_b32_e32 v23, 16, v26
	v_and_b32_e32 v24, 0xffff0000, v26
	v_lshlrev_b32_e32 v25, 16, v27
	v_and_b32_e32 v26, 0xffff0000, v27
	;; [unrolled: 9-line block ×4, first 2 shown]
	v_cmp_eq_u32_e32 vcc, 0, v47
	v_cmp_neq_f32_e64 s[6:7], s3, 0
	v_add3_u32 v47, s40, v7, v5
	v_add_u32_e32 v48, 0x210, v4
	v_lshl_add_u64 v[4:5], v[14:15], 2, s[8:9]
	s_mov_b64 s[12:13], 0
	v_mov_b32_e32 v43, 0xff7fffff
	v_mov_b32_e32 v49, v14
	s_branch .LBB152_11
.LBB152_10:                             ;   in Loop: Header=BB152_11 Depth=1
	s_or_b64 exec, exec, s[38:39]
	v_add_u32_e32 v49, 2, v49
	v_cmp_le_i32_e64 s[8:9], s16, v49
	v_add_u32_e32 v47, 16, v47
	v_add_u32_e32 v48, 64, v48
	s_or_b64 s[12:13], s[8:9], s[12:13]
	v_lshl_add_u64 v[4:5], v[4:5], 0, 8
	s_andn2_b64 exec, exec, s[12:13]
	s_cbranch_execz .LBB152_13
.LBB152_11:                             ; =>This Inner Loop Header: Depth=1
	global_load_dword v50, v[4:5], off
	s_waitcnt vmcnt(0) lgkmcnt(0)
	v_mad_i64_i32 v[50:51], s[8:9], v50, s41, 0
	v_lshl_add_u64 v[50:51], v[50:51], 1, v[2:3]
	global_load_ushort v52, v[50:51], off
	global_load_ushort v53, v[50:51], off offset:128
	global_load_ushort v54, v[50:51], off offset:256
	global_load_ushort v55, v[50:51], off offset:384
	global_load_ushort v56, v[50:51], off offset:512
	global_load_ushort v57, v[50:51], off offset:640
	global_load_ushort v58, v[50:51], off offset:768
	global_load_ushort v59, v[50:51], off offset:896
	global_load_ushort v60, v[50:51], off offset:1024
	global_load_ushort v61, v[50:51], off offset:1152
	global_load_ushort v62, v[50:51], off offset:1280
	global_load_ushort v63, v[50:51], off offset:1408
	global_load_ushort v64, v[50:51], off offset:1536
	global_load_ushort v65, v[50:51], off offset:1664
	global_load_ushort v66, v[50:51], off offset:1792
	global_load_ushort v67, v[50:51], off offset:1920
	global_load_ushort v68, v[50:51], off offset:2048
	global_load_ushort v69, v[50:51], off offset:2176
	global_load_ushort v70, v[50:51], off offset:2304
	global_load_ushort v71, v[50:51], off offset:2432
	global_load_ushort v72, v[50:51], off offset:2560
	global_load_ushort v73, v[50:51], off offset:2688
	global_load_ushort v74, v[50:51], off offset:2816
	global_load_ushort v75, v[50:51], off offset:2944
	global_load_ushort v76, v[50:51], off offset:3072
	global_load_ushort v77, v[50:51], off offset:3200
	global_load_ushort v78, v[50:51], off offset:3328
	global_load_ushort v79, v[50:51], off offset:3456
	global_load_ushort v80, v[50:51], off offset:3584
	global_load_ushort v81, v[50:51], off offset:3712
	global_load_ushort v82, v[50:51], off offset:3840
	s_nop 0
	global_load_ushort v50, v[50:51], off offset:3968
	s_waitcnt vmcnt(31)
	v_lshlrev_b32_e32 v51, 16, v52
	s_waitcnt vmcnt(30)
	v_lshlrev_b32_e32 v52, 16, v53
	v_mul_f32_e32 v52, v10, v52
	s_waitcnt vmcnt(29)
	v_lshlrev_b32_e32 v53, 16, v54
	v_fmac_f32_e32 v52, v1, v51
	s_waitcnt vmcnt(28)
	v_lshlrev_b32_e32 v54, 16, v55
	v_fmac_f32_e32 v52, v11, v53
	;; [unrolled: 3-line block ×29, first 2 shown]
	v_fmac_f32_e32 v52, v41, v81
	s_waitcnt vmcnt(0)
	v_lshlrev_b32_e32 v50, 16, v50
	v_fmac_f32_e32 v52, v42, v50
	ds_bpermute_b32 v50, v44, v52
	s_waitcnt lgkmcnt(0)
	v_add_f32_e32 v50, v52, v50
	ds_bpermute_b32 v51, v45, v50
	s_waitcnt lgkmcnt(0)
	v_add_f32_e32 v50, v50, v51
	ds_bpermute_b32 v51, v46, v50
	s_and_saveexec_b64 s[38:39], vcc
	s_cbranch_execz .LBB152_10
; %bb.12:                               ;   in Loop: Header=BB152_11 Depth=1
	v_add_u32_e32 v52, s19, v47
	v_cvt_f32_i32_e32 v52, v52
	s_waitcnt lgkmcnt(0)
	v_add_f32_e32 v50, v50, v51
	v_cmp_gt_i32_e64 s[8:9], s33, v47
	v_max_f32_e32 v51, v43, v43
	v_mul_f32_e32 v52, s3, v52
	v_cndmask_b32_e64 v52, 0, v52, s[6:7]
	v_fmac_f32_e32 v52, s11, v50
	v_cndmask_b32_e64 v50, 0, v52, s[8:9]
	ds_write_b32 v48, v50
	v_max_f32_e32 v50, v51, v52
	v_cndmask_b32_e64 v43, v43, v50, s[8:9]
	s_branch .LBB152_10
.LBB152_13:
	s_or_b64 exec, exec, s[12:13]
.LBB152_14:
	s_or_b64 exec, exec, s[36:37]
	v_xor_b32_e32 v1, 32, v8
	v_cmp_lt_i32_e32 vcc, v1, v9
	v_xor_b32_e32 v4, 16, v8
	v_max_f32_e32 v2, v43, v43
	v_cndmask_b32_e32 v1, v8, v1, vcc
	v_lshlrev_b32_e32 v3, 2, v1
	ds_bpermute_b32 v1, v3, v43
	v_cmp_lt_i32_e32 vcc, v4, v9
	v_xor_b32_e32 v5, 8, v8
	s_waitcnt lgkmcnt(0)
	v_max_f32_e32 v1, v1, v1
	v_max_f32_e32 v1, v2, v1
	v_cndmask_b32_e32 v2, v8, v4, vcc
	v_lshlrev_b32_e32 v10, 2, v2
	ds_bpermute_b32 v2, v10, v1
	v_cmp_lt_i32_e32 vcc, v5, v9
	s_waitcnt lgkmcnt(0)
	v_max_f32_e32 v2, v2, v2
	v_max_f32_e32 v4, v1, v2
	v_cndmask_b32_e32 v1, v8, v5, vcc
	v_lshlrev_b32_e32 v11, 2, v1
	ds_bpermute_b32 v5, v11, v4
	v_and_b32_e32 v1, 63, v0
	v_cmp_eq_u32_e32 vcc, 0, v1
	v_lshlrev_b32_e32 v2, 2, v6
	s_and_saveexec_b64 s[6:7], vcc
	s_cbranch_execz .LBB152_16
; %bb.15:
	s_waitcnt lgkmcnt(0)
	v_max_f32_e32 v5, v5, v5
	v_max_f32_e32 v4, v4, v4
	;; [unrolled: 1-line block ×3, first 2 shown]
	ds_write_b32 v2, v4 offset:512
.LBB152_16:
	s_or_b64 exec, exec, s[6:7]
	v_cmp_gt_u32_e64 s[6:7], 2, v1
	v_mov_b32_e32 v4, 0xff7fffff
	s_waitcnt lgkmcnt(0)
	v_lshlrev_b32_e32 v5, 2, v1
	s_barrier
	s_and_saveexec_b64 s[8:9], s[6:7]
	s_cbranch_execz .LBB152_18
; %bb.17:
	ds_read_b32 v4, v5 offset:512
.LBB152_18:
	s_or_b64 exec, exec, s[8:9]
	v_xor_b32_e32 v12, 1, v8
	v_cmp_lt_i32_e64 s[8:9], v12, v9
	s_sub_i32 s3, s16, s10
	s_lshl_b32 s3, s3, 3
	v_cndmask_b32_e64 v12, v8, v12, s[8:9]
	v_lshlrev_b32_e32 v12, 2, v12
	s_waitcnt lgkmcnt(0)
	ds_bpermute_b32 v13, v12, v4
	v_max_f32_e32 v4, v4, v4
	s_add_i32 s3, s3, s40
	s_min_i32 s19, s3, s33
	s_sub_i32 s3, s19, s40
	s_waitcnt lgkmcnt(0)
	v_max_f32_e32 v13, v13, v13
	v_max_f32_e32 v4, v4, v13
	v_lshlrev_b32_e32 v13, 2, v8
	v_and_b32_e32 v13, 0xffffff00, v13
	ds_bpermute_b32 v4, v13, v4
	v_cmp_gt_i32_e64 s[8:9], s3, v0
	v_mov_b32_e32 v16, 0
	s_and_saveexec_b64 s[12:13], s[8:9]
	s_cbranch_execz .LBB152_22
; %bb.19:
	v_mov_b32_e32 v16, 0x210
	v_lshl_add_u32 v17, v0, 2, v16
	s_mov_b64 s[36:37], 0
	v_mov_b32_e32 v16, 0
	v_mov_b32_e32 v18, v0
.LBB152_20:                             ; =>This Inner Loop Header: Depth=1
	ds_read_b32 v19, v17
	v_add_u32_e32 v18, 0x80, v18
	v_cmp_le_i32_e64 s[10:11], s3, v18
	s_or_b64 s[36:37], s[10:11], s[36:37]
	s_waitcnt lgkmcnt(0)
	v_sub_f32_e32 v19, v19, v4
	v_mul_f32_e32 v19, 0x3fb8aa3b, v19
	v_exp_f32_e32 v19, v19
	ds_write_b32 v17, v19
	v_add_f32_e32 v16, v16, v19
	v_add_u32_e32 v17, 0x200, v17
	s_andn2_b64 exec, exec, s[36:37]
	s_cbranch_execnz .LBB152_20
; %bb.21:
	s_or_b64 exec, exec, s[36:37]
.LBB152_22:
	s_or_b64 exec, exec, s[12:13]
	ds_bpermute_b32 v3, v3, v16
	s_waitcnt lgkmcnt(0)
	v_add_f32_e32 v3, v16, v3
	ds_bpermute_b32 v10, v10, v3
	s_waitcnt lgkmcnt(0)
	v_add_f32_e32 v3, v3, v10
	ds_bpermute_b32 v10, v11, v3
	v_xor_b32_e32 v11, 4, v8
	v_cmp_lt_i32_e64 s[10:11], v11, v9
	s_waitcnt lgkmcnt(0)
	v_add_f32_e32 v3, v3, v10
	v_cndmask_b32_e64 v11, v8, v11, s[10:11]
	v_lshlrev_b32_e32 v11, 2, v11
	ds_bpermute_b32 v10, v11, v3
	v_xor_b32_e32 v11, 2, v8
	v_cmp_lt_i32_e64 s[10:11], v11, v9
	s_waitcnt lgkmcnt(0)
	v_add_f32_e32 v3, v3, v10
	v_cndmask_b32_e64 v8, v8, v11, s[10:11]
	v_lshlrev_b32_e32 v8, 2, v8
	ds_bpermute_b32 v8, v8, v3
	s_waitcnt lgkmcnt(0)
	v_add_f32_e32 v3, v3, v8
	ds_bpermute_b32 v8, v12, v3
	s_waitcnt lgkmcnt(0)
	v_add_f32_e32 v3, v3, v8
	s_and_saveexec_b64 s[10:11], vcc
	s_cbranch_execz .LBB152_24
; %bb.23:
	ds_write_b32 v2, v3 offset:520
.LBB152_24:
	s_or_b64 exec, exec, s[10:11]
	s_waitcnt lgkmcnt(0)
	s_barrier
	s_and_saveexec_b64 s[10:11], s[6:7]
	s_cbranch_execz .LBB152_26
; %bb.25:
	ds_read_b32 v3, v5 offset:520
.LBB152_26:
	s_or_b64 exec, exec, s[10:11]
	s_waitcnt lgkmcnt(0)
	ds_bpermute_b32 v2, v12, v3
	s_waitcnt lgkmcnt(0)
	v_add_f32_e32 v2, v3, v2
	ds_bpermute_b32 v5, v13, v2
	s_and_saveexec_b64 s[6:7], s[8:9]
	s_cbranch_execz .LBB152_39
; %bb.27:
	s_waitcnt lgkmcnt(0)
	v_add_f32_e32 v2, 0x358637bd, v5
	v_div_scale_f32 v3, s[8:9], v2, v2, 1.0
	v_rcp_f32_e32 v8, v3
	v_div_scale_f32 v9, vcc, 1.0, v2, 1.0
	s_movk_i32 s8, 0x7f
	v_fma_f32 v10, -v3, v8, 1.0
	v_fmac_f32_e32 v8, v10, v8
	v_mul_f32_e32 v10, v9, v8
	v_fma_f32 v11, -v3, v10, v9
	v_fmac_f32_e32 v10, v11, v8
	v_fma_f32 v3, -v3, v10, v9
	v_div_fmas_f32 v3, v3, v8, v10
	v_div_fixup_f32 v2, v3, v2, 1.0
	v_xad_u32 v3, v0, -1, s19
	v_subrev_u32_e32 v8, s40, v3
	v_cmp_lt_u32_e32 vcc, s8, v8
	s_mov_b64 s[10:11], -1
	v_mov_b32_e32 v3, v0
	s_and_saveexec_b64 s[8:9], vcc
	s_cbranch_execz .LBB152_36
; %bb.28:
	v_lshrrev_b32_e32 v8, 7, v8
	v_add_u32_e32 v10, -1, v8
	v_lshrrev_b32_e32 v9, 1, v10
	v_mov_b32_e32 v3, v2
	v_add_u32_e32 v9, 1, v9
	v_cmp_lt_u32_e32 vcc, 13, v10
	v_mov_b32_e32 v12, 0
	s_and_saveexec_b64 s[10:11], vcc
	s_cbranch_execz .LBB152_32
; %bb.29:
	v_mov_b32_e32 v11, 0x210
	v_and_b32_e32 v10, -8, v9
	v_lshl_add_u32 v11, v0, 2, v11
	s_mov_b32 s19, 0
	s_mov_b64 s[12:13], 0
.LBB152_30:                             ; =>This Inner Loop Header: Depth=1
	ds_read2st64_b32 v[12:13], v11 offset1:2
	ds_read2st64_b32 v[16:17], v11 offset0:4 offset1:6
	ds_read2st64_b32 v[18:19], v11 offset0:8 offset1:10
	;; [unrolled: 1-line block ×3, first 2 shown]
	v_add_u32_e32 v10, -8, v10
	s_waitcnt lgkmcnt(3)
	v_pk_mul_f32 v[12:13], v[2:3], v[12:13]
	s_waitcnt lgkmcnt(2)
	v_pk_mul_f32 v[16:17], v[2:3], v[16:17]
	ds_write2st64_b32 v11, v12, v13 offset1:2
	ds_write2st64_b32 v11, v16, v17 offset0:4 offset1:6
	ds_read2st64_b32 v[16:17], v11 offset0:16 offset1:18
	s_waitcnt lgkmcnt(4)
	v_pk_mul_f32 v[12:13], v[2:3], v[18:19]
	ds_write2st64_b32 v11, v12, v13 offset0:8 offset1:10
	s_waitcnt lgkmcnt(4)
	v_pk_mul_f32 v[12:13], v[2:3], v[20:21]
	ds_write2st64_b32 v11, v12, v13 offset0:12 offset1:14
	ds_read2st64_b32 v[12:13], v11 offset0:20 offset1:22
	s_waitcnt lgkmcnt(3)
	v_pk_mul_f32 v[16:17], v[2:3], v[16:17]
	ds_read2st64_b32 v[18:19], v11 offset0:24 offset1:26
	ds_write2st64_b32 v11, v16, v17 offset0:16 offset1:18
	ds_read2st64_b32 v[16:17], v11 offset0:28 offset1:30
	s_waitcnt lgkmcnt(3)
	v_pk_mul_f32 v[12:13], v[2:3], v[12:13]
	ds_write2st64_b32 v11, v12, v13 offset0:20 offset1:22
	s_waitcnt lgkmcnt(3)
	v_pk_mul_f32 v[12:13], v[2:3], v[18:19]
	ds_write2st64_b32 v11, v12, v13 offset0:24 offset1:26
	s_waitcnt lgkmcnt(2)
	v_pk_mul_f32 v[12:13], v[2:3], v[16:17]
	s_add_i32 s19, s19, 16
	v_cmp_eq_u32_e32 vcc, 0, v10
	ds_write2st64_b32 v11, v12, v13 offset0:28 offset1:30
	v_add_u32_e32 v11, 0x2000, v11
	s_or_b64 s[12:13], vcc, s[12:13]
	v_mov_b32_e32 v12, s19
	s_andn2_b64 exec, exec, s[12:13]
	s_cbranch_execnz .LBB152_30
; %bb.31:
	s_or_b64 exec, exec, s[12:13]
.LBB152_32:
	s_or_b64 exec, exec, s[10:11]
	v_and_b32_e32 v9, 7, v9
	v_cmp_ne_u32_e32 vcc, 0, v9
	s_and_saveexec_b64 s[10:11], vcc
	s_cbranch_execz .LBB152_35
; %bb.33:
	v_lshlrev_b32_e32 v10, 9, v12
	v_lshlrev_b32_e32 v11, 2, v0
	s_movk_i32 s12, 0x210
	v_add3_u32 v10, v10, v11, s12
	s_mov_b64 s[12:13], 0
.LBB152_34:                             ; =>This Inner Loop Header: Depth=1
	ds_read2st64_b32 v[12:13], v10 offset1:2
	v_add_u32_e32 v9, -1, v9
	v_cmp_eq_u32_e32 vcc, 0, v9
	s_or_b64 s[12:13], vcc, s[12:13]
	s_waitcnt lgkmcnt(0)
	v_pk_mul_f32 v[12:13], v[2:3], v[12:13]
	ds_write2st64_b32 v10, v12, v13 offset1:2
	v_add_u32_e32 v10, 0x400, v10
	s_andn2_b64 exec, exec, s[12:13]
	s_cbranch_execnz .LBB152_34
.LBB152_35:
	s_or_b64 exec, exec, s[10:11]
	v_add_u32_e32 v8, 1, v8
	v_and_b32_e32 v9, 0x3fffffe, v8
	v_cmp_ne_u32_e32 vcc, v8, v9
	v_lshl_add_u32 v3, v9, 7, v0
	s_orn2_b64 s[10:11], vcc, exec
.LBB152_36:
	s_or_b64 exec, exec, s[8:9]
	s_and_b64 exec, exec, s[10:11]
	s_cbranch_execz .LBB152_39
; %bb.37:
	v_mov_b32_e32 v8, 0x210
	v_lshl_add_u32 v8, v3, 2, v8
	s_mov_b64 s[8:9], 0
.LBB152_38:                             ; =>This Inner Loop Header: Depth=1
	ds_read_b32 v9, v8
	v_add_u32_e32 v3, 0x80, v3
	v_cmp_le_i32_e32 vcc, s3, v3
	s_or_b64 s[8:9], vcc, s[8:9]
	s_waitcnt lgkmcnt(0)
	v_mul_f32_e32 v9, v2, v9
	ds_write_b32 v8, v9
	v_add_u32_e32 v8, 0x200, v8
	s_andn2_b64 exec, exec, s[8:9]
	s_cbranch_execnz .LBB152_38
.LBB152_39:
	s_or_b64 exec, exec, s[6:7]
	s_mul_i32 s3, s29, s28
	s_mov_b32 s8, 0
	v_cmp_eq_u32_e32 vcc, 0, v0
	s_mul_i32 s6, s3, s5
	s_waitcnt lgkmcnt(0)
	s_barrier
	s_and_saveexec_b64 s[10:11], vcc
	s_cbranch_execz .LBB152_41
; %bb.40:
	s_ashr_i32 s7, s6, 31
	s_lshl_b64 s[12:13], s[6:7], 2
	s_add_u32 s5, s22, s12
	s_mul_i32 s2, s29, s2
	s_addc_u32 s7, s23, s13
	s_ashr_i32 s3, s2, 31
	s_lshl_b64 s[2:3], s[2:3], 2
	s_add_u32 s9, s5, s2
	s_addc_u32 s7, s7, s3
	s_ashr_i32 s5, s4, 31
	s_lshl_b64 s[22:23], s[4:5], 2
	s_add_u32 s36, s9, s22
	s_addc_u32 s37, s7, s23
	s_add_u32 s5, s20, s12
	s_addc_u32 s7, s21, s13
	;; [unrolled: 2-line block ×3, first 2 shown]
	s_add_u32 s2, s2, s22
	v_mov_b32_e32 v2, 0
	s_addc_u32 s3, s3, s23
	global_store_dword v2, v4, s[36:37]
	global_store_dword v2, v5, s[2:3]
.LBB152_41:
	s_or_b64 exec, exec, s[10:11]
	s_mov_b32 s9, s8
	s_mov_b32 s10, s8
	;; [unrolled: 1-line block ×3, first 2 shown]
	v_mov_b64_e32 v[2:3], s[8:9]
	v_mov_b64_e32 v[4:5], s[10:11]
	s_and_saveexec_b64 s[2:3], s[0:1]
	s_cbranch_execz .LBB152_213
; %bb.42:
	s_ashr_i32 s19, s18, 31
	s_lshl_b64 s[0:1], s[18:19], 1
	s_add_u32 s0, s14, s0
	s_addc_u32 s1, s15, s1
	v_lshlrev_b32_e32 v16, 4, v1
	v_mov_b32_e32 v17, 0
	s_add_i32 s7, s27, -1
	v_lshl_add_u64 v[18:19], s[0:1], 0, v[16:17]
	s_lshl_b64 s[0:1], s[34:35], 2
	s_add_u32 s0, s30, s0
	v_mov_b32_e32 v2, 0x210
	s_addc_u32 s1, s31, s1
	s_mov_b32 s5, s17
	v_add3_u32 v16, s40, v7, 7
	v_lshl_add_u32 v22, v6, 5, v2
	v_lshl_add_u64 v[20:21], v[14:15], 2, s[0:1]
	s_mov_b64 s[8:9], 0
	s_mov_b32 s12, 0x7f800000
	s_movk_i32 s13, 0x7fff
	v_mov_b32_e32 v2, 0
	v_mov_b32_e32 v3, 0
	;; [unrolled: 1-line block ×4, first 2 shown]
	s_branch .LBB152_44
.LBB152_43:                             ;   in Loop: Header=BB152_44 Depth=1
	s_or_b64 exec, exec, s[0:1]
	v_and_b32_e32 v33, 0xffff0000, v23
	v_and_b32_e32 v32, 0xffff0000, v13
	;; [unrolled: 1-line block ×8, first 2 shown]
	v_pk_add_f32 v[12:13], v[12:13], v[32:33]
	v_pk_add_f32 v[24:25], v[24:25], v[30:31]
	v_add_f32_e32 v12, v12, v13
	v_add_f32_e32 v12, v12, v24
	;; [unrolled: 1-line block ×3, first 2 shown]
	v_and_b32_e32 v31, 0xffff0000, v46
	v_and_b32_e32 v30, 0xffff0000, v44
	;; [unrolled: 1-line block ×4, first 2 shown]
	v_add_f32_e32 v2, v2, v12
	v_and_b32_e32 v13, 0xffff0000, v50
	v_and_b32_e32 v12, 0xffff0000, v48
	;; [unrolled: 1-line block ×4, first 2 shown]
	v_pk_add_f32 v[30:31], v[32:33], v[30:31]
	v_pk_add_f32 v[12:13], v[24:25], v[12:13]
	v_add_f32_e32 v15, v30, v31
	v_add_f32_e32 v12, v15, v12
	;; [unrolled: 1-line block ×3, first 2 shown]
	v_and_b32_e32 v31, 0xffff0000, v54
	v_and_b32_e32 v30, 0xffff0000, v52
	;; [unrolled: 1-line block ×4, first 2 shown]
	v_add_f32_e32 v3, v3, v12
	v_and_b32_e32 v13, 0xffff0000, v58
	v_and_b32_e32 v12, 0xffff0000, v56
	;; [unrolled: 1-line block ×4, first 2 shown]
	v_pk_add_f32 v[30:31], v[32:33], v[30:31]
	v_pk_add_f32 v[12:13], v[24:25], v[12:13]
	v_add_f32_e32 v15, v30, v31
	v_add_f32_e32 v12, v15, v12
	v_add_f32_e32 v12, v12, v13
	v_and_b32_e32 v13, 0xffff0000, v11
	v_and_b32_e32 v11, 0xffff0000, v27
	;; [unrolled: 1-line block ×5, first 2 shown]
	v_add_f32_e32 v4, v4, v12
	v_and_b32_e32 v12, 0xffff0000, v28
	v_and_b32_e32 v9, 0xffff0000, v9
	;; [unrolled: 1-line block ×3, first 2 shown]
	v_pk_add_f32 v[6:7], v[6:7], v[10:11]
	v_pk_add_f32 v[8:9], v[8:9], v[12:13]
	v_add_f32_e32 v6, v6, v7
	v_add_f32_e32 v6, v6, v8
	v_add_u32_e32 v14, 2, v14
	v_add_f32_e32 v6, v6, v9
	v_cmp_le_i32_e32 vcc, s16, v14
	v_add_f32_e32 v5, v5, v6
	v_add_u32_e32 v16, 16, v16
	v_add_u32_e32 v22, 64, v22
	s_or_b64 s[8:9], vcc, s[8:9]
	v_lshl_add_u64 v[20:21], v[20:21], 0, 8
	s_andn2_b64 exec, exec, s[8:9]
	s_cbranch_execz .LBB152_212
.LBB152_44:                             ; =>This Inner Loop Header: Depth=1
	global_load_dword v27, v[20:21], off
	ds_read2_b64 v[10:13], v22 offset1:1
	ds_read2_b64 v[6:9], v22 offset0:2 offset1:3
                                        ; implicit-def: $vgpr35
	s_waitcnt lgkmcnt(1)
	v_and_b32_e32 v15, 0x7f800000, v10
	v_cmp_ne_u32_e32 vcc, s12, v15
	s_and_saveexec_b64 s[0:1], vcc
	s_xor_b64 s[0:1], exec, s[0:1]
; %bb.45:                               ;   in Loop: Header=BB152_44 Depth=1
	v_bfe_u32 v15, v10, 16, 1
	v_add3_u32 v35, v10, v15, s13
; %bb.46:                               ;   in Loop: Header=BB152_44 Depth=1
	s_andn2_saveexec_b64 s[0:1], s[0:1]
; %bb.47:                               ;   in Loop: Header=BB152_44 Depth=1
	v_or_b32_e32 v15, 0x10000, v10
	v_cmp_eq_u32_sdwa vcc, v10, v17 src0_sel:WORD_0 src1_sel:DWORD
	s_nop 1
	v_cndmask_b32_e32 v35, v15, v10, vcc
; %bb.48:                               ;   in Loop: Header=BB152_44 Depth=1
	s_or_b64 exec, exec, s[0:1]
	v_and_b32_e32 v10, 0x7f800000, v11
	v_cmp_ne_u32_e32 vcc, s12, v10
                                        ; implicit-def: $vgpr36
	s_and_saveexec_b64 s[0:1], vcc
	s_xor_b64 s[0:1], exec, s[0:1]
; %bb.49:                               ;   in Loop: Header=BB152_44 Depth=1
	v_bfe_u32 v10, v11, 16, 1
	v_add3_u32 v36, v11, v10, s13
; %bb.50:                               ;   in Loop: Header=BB152_44 Depth=1
	s_andn2_saveexec_b64 s[0:1], s[0:1]
; %bb.51:                               ;   in Loop: Header=BB152_44 Depth=1
	v_or_b32_e32 v10, 0x10000, v11
	v_cmp_eq_u32_sdwa vcc, v11, v17 src0_sel:WORD_0 src1_sel:DWORD
	s_nop 1
	v_cndmask_b32_e32 v36, v10, v11, vcc
; %bb.52:                               ;   in Loop: Header=BB152_44 Depth=1
	s_or_b64 exec, exec, s[0:1]
	v_and_b32_e32 v10, 0x7f800000, v12
	v_cmp_ne_u32_e32 vcc, s12, v10
                                        ; implicit-def: $vgpr15
	s_and_saveexec_b64 s[0:1], vcc
	s_xor_b64 s[0:1], exec, s[0:1]
; %bb.53:                               ;   in Loop: Header=BB152_44 Depth=1
	v_bfe_u32 v10, v12, 16, 1
	v_add3_u32 v15, v12, v10, s13
; %bb.54:                               ;   in Loop: Header=BB152_44 Depth=1
	s_andn2_saveexec_b64 s[0:1], s[0:1]
; %bb.55:                               ;   in Loop: Header=BB152_44 Depth=1
	v_or_b32_e32 v10, 0x10000, v12
	v_cmp_eq_u32_sdwa vcc, v12, v17 src0_sel:WORD_0 src1_sel:DWORD
	s_nop 1
	v_cndmask_b32_e32 v15, v10, v12, vcc
; %bb.56:                               ;   in Loop: Header=BB152_44 Depth=1
	s_or_b64 exec, exec, s[0:1]
	v_and_b32_e32 v10, 0x7f800000, v13
	v_cmp_ne_u32_e32 vcc, s12, v10
                                        ; implicit-def: $vgpr23
	s_and_saveexec_b64 s[0:1], vcc
	s_xor_b64 s[0:1], exec, s[0:1]
; %bb.57:                               ;   in Loop: Header=BB152_44 Depth=1
	v_bfe_u32 v10, v13, 16, 1
	v_add3_u32 v23, v13, v10, s13
                                        ; implicit-def: $vgpr10_vgpr11_vgpr12_vgpr13
; %bb.58:                               ;   in Loop: Header=BB152_44 Depth=1
	s_andn2_saveexec_b64 s[0:1], s[0:1]
; %bb.59:                               ;   in Loop: Header=BB152_44 Depth=1
	v_or_b32_e32 v10, 0x10000, v13
	v_cmp_eq_u32_sdwa vcc, v13, v17 src0_sel:WORD_0 src1_sel:DWORD
	s_nop 1
	v_cndmask_b32_e32 v23, v10, v13, vcc
; %bb.60:                               ;   in Loop: Header=BB152_44 Depth=1
	s_or_b64 exec, exec, s[0:1]
	s_waitcnt lgkmcnt(0)
	v_and_b32_e32 v10, 0x7f800000, v6
	v_cmp_ne_u32_e32 vcc, s12, v10
                                        ; implicit-def: $vgpr24
	s_and_saveexec_b64 s[0:1], vcc
	s_xor_b64 s[0:1], exec, s[0:1]
; %bb.61:                               ;   in Loop: Header=BB152_44 Depth=1
	v_bfe_u32 v10, v6, 16, 1
	v_add3_u32 v24, v6, v10, s13
; %bb.62:                               ;   in Loop: Header=BB152_44 Depth=1
	s_andn2_saveexec_b64 s[0:1], s[0:1]
; %bb.63:                               ;   in Loop: Header=BB152_44 Depth=1
	v_or_b32_e32 v10, 0x10000, v6
	v_cmp_eq_u32_sdwa vcc, v6, v17 src0_sel:WORD_0 src1_sel:DWORD
	s_nop 1
	v_cndmask_b32_e32 v24, v10, v6, vcc
; %bb.64:                               ;   in Loop: Header=BB152_44 Depth=1
	s_or_b64 exec, exec, s[0:1]
	v_and_b32_e32 v6, 0x7f800000, v7
	v_cmp_ne_u32_e32 vcc, s12, v6
                                        ; implicit-def: $vgpr25
	s_and_saveexec_b64 s[0:1], vcc
	s_xor_b64 s[0:1], exec, s[0:1]
; %bb.65:                               ;   in Loop: Header=BB152_44 Depth=1
	v_bfe_u32 v6, v7, 16, 1
	v_add3_u32 v25, v7, v6, s13
; %bb.66:                               ;   in Loop: Header=BB152_44 Depth=1
	s_andn2_saveexec_b64 s[0:1], s[0:1]
; %bb.67:                               ;   in Loop: Header=BB152_44 Depth=1
	v_or_b32_e32 v6, 0x10000, v7
	v_cmp_eq_u32_sdwa vcc, v7, v17 src0_sel:WORD_0 src1_sel:DWORD
	s_nop 1
	v_cndmask_b32_e32 v25, v6, v7, vcc
; %bb.68:                               ;   in Loop: Header=BB152_44 Depth=1
	s_or_b64 exec, exec, s[0:1]
	v_and_b32_e32 v6, 0x7f800000, v8
	v_cmp_ne_u32_e32 vcc, s12, v6
                                        ; implicit-def: $vgpr26
	s_and_saveexec_b64 s[0:1], vcc
	s_xor_b64 s[0:1], exec, s[0:1]
; %bb.69:                               ;   in Loop: Header=BB152_44 Depth=1
	v_bfe_u32 v6, v8, 16, 1
	v_add3_u32 v26, v8, v6, s13
; %bb.70:                               ;   in Loop: Header=BB152_44 Depth=1
	s_andn2_saveexec_b64 s[0:1], s[0:1]
; %bb.71:                               ;   in Loop: Header=BB152_44 Depth=1
	v_or_b32_e32 v6, 0x10000, v8
	v_cmp_eq_u32_sdwa vcc, v8, v17 src0_sel:WORD_0 src1_sel:DWORD
	s_nop 1
	v_cndmask_b32_e32 v26, v6, v8, vcc
; %bb.72:                               ;   in Loop: Header=BB152_44 Depth=1
	s_or_b64 exec, exec, s[0:1]
	v_and_b32_e32 v6, 0x7f800000, v9
	v_cmp_ne_u32_e32 vcc, s12, v6
                                        ; implicit-def: $vgpr34
	s_and_saveexec_b64 s[0:1], vcc
	s_xor_b64 s[0:1], exec, s[0:1]
; %bb.73:                               ;   in Loop: Header=BB152_44 Depth=1
	v_bfe_u32 v6, v9, 16, 1
	v_add3_u32 v34, v9, v6, s13
                                        ; implicit-def: $vgpr6_vgpr7_vgpr8_vgpr9
; %bb.74:                               ;   in Loop: Header=BB152_44 Depth=1
	s_andn2_saveexec_b64 s[0:1], s[0:1]
; %bb.75:                               ;   in Loop: Header=BB152_44 Depth=1
	v_or_b32_e32 v6, 0x10000, v9
	v_cmp_eq_u32_sdwa vcc, v9, v17 src0_sel:WORD_0 src1_sel:DWORD
	s_nop 1
	v_cndmask_b32_e32 v34, v6, v9, vcc
; %bb.76:                               ;   in Loop: Header=BB152_44 Depth=1
	s_or_b64 exec, exec, s[0:1]
	s_waitcnt vmcnt(0)
	v_mad_i64_i32 v[6:7], s[0:1], v27, s5, 0
	v_lshl_add_u64 v[10:11], v[6:7], 1, v[18:19]
	global_load_dwordx4 v[6:9], v[10:11], off
	v_add_u32_e32 v27, -7, v16
	v_cmp_eq_u32_e32 vcc, s7, v14
	v_add_u32_e32 v33, -6, v16
	v_add_u32_e32 v31, -5, v16
	;; [unrolled: 1-line block ×6, first 2 shown]
	s_waitcnt vmcnt(0)
	v_lshrrev_b32_e32 v13, 16, v6
	v_lshrrev_b32_e32 v39, 16, v7
	;; [unrolled: 1-line block ×4, first 2 shown]
	s_and_saveexec_b64 s[10:11], vcc
	s_cbranch_execz .LBB152_78
; %bb.77:                               ;   in Loop: Header=BB152_44 Depth=1
	v_cmp_gt_i32_e64 s[0:1], s33, v27
	s_nop 1
	v_cndmask_b32_e64 v6, 0, v6, s[0:1]
	v_cmp_gt_i32_e64 s[0:1], s33, v33
	s_nop 1
	v_cndmask_b32_e64 v13, 0, v13, s[0:1]
	;; [unrolled: 3-line block ×8, first 2 shown]
.LBB152_78:                             ;   in Loop: Header=BB152_44 Depth=1
	s_or_b64 exec, exec, s[10:11]
	v_and_b32_e32 v35, 0xffff0000, v35
	v_lshlrev_b32_e32 v6, 16, v6
	v_mul_f32_e32 v6, v35, v6
	v_and_b32_e32 v12, 0x7f800000, v6
	v_cmp_ne_u32_e64 s[0:1], s12, v12
                                        ; implicit-def: $vgpr12
	s_and_saveexec_b64 s[10:11], s[0:1]
	s_xor_b64 s[0:1], exec, s[10:11]
; %bb.79:                               ;   in Loop: Header=BB152_44 Depth=1
	v_bfe_u32 v12, v6, 16, 1
	v_add3_u32 v12, v6, v12, s13
                                        ; implicit-def: $vgpr6
; %bb.80:                               ;   in Loop: Header=BB152_44 Depth=1
	s_andn2_saveexec_b64 s[10:11], s[0:1]
; %bb.81:                               ;   in Loop: Header=BB152_44 Depth=1
	v_or_b32_e32 v12, 0x10000, v6
	v_cmp_eq_u32_sdwa s[0:1], v6, v17 src0_sel:WORD_0 src1_sel:DWORD
	s_nop 1
	v_cndmask_b32_e64 v12, v12, v6, s[0:1]
; %bb.82:                               ;   in Loop: Header=BB152_44 Depth=1
	s_or_b64 exec, exec, s[10:11]
	v_and_b32_e32 v36, 0xffff0000, v36
	v_lshlrev_b32_e32 v6, 16, v13
	v_mul_f32_e32 v6, v36, v6
	v_and_b32_e32 v13, 0x7f800000, v6
	v_cmp_ne_u32_e64 s[0:1], s12, v13
                                        ; implicit-def: $vgpr13
	s_and_saveexec_b64 s[10:11], s[0:1]
	s_xor_b64 s[0:1], exec, s[10:11]
; %bb.83:                               ;   in Loop: Header=BB152_44 Depth=1
	v_bfe_u32 v13, v6, 16, 1
	v_add3_u32 v13, v6, v13, s13
                                        ; implicit-def: $vgpr6
; %bb.84:                               ;   in Loop: Header=BB152_44 Depth=1
	s_andn2_saveexec_b64 s[10:11], s[0:1]
; %bb.85:                               ;   in Loop: Header=BB152_44 Depth=1
	v_or_b32_e32 v13, 0x10000, v6
	v_cmp_eq_u32_sdwa s[0:1], v6, v17 src0_sel:WORD_0 src1_sel:DWORD
	s_nop 1
	v_cndmask_b32_e64 v13, v13, v6, s[0:1]
; %bb.86:                               ;   in Loop: Header=BB152_44 Depth=1
	s_or_b64 exec, exec, s[10:11]
	v_and_b32_e32 v37, 0xffff0000, v15
	v_lshlrev_b32_e32 v6, 16, v7
	v_mul_f32_e32 v6, v37, v6
	v_and_b32_e32 v7, 0x7f800000, v6
	v_cmp_ne_u32_e64 s[0:1], s12, v7
                                        ; implicit-def: $vgpr15
	s_and_saveexec_b64 s[10:11], s[0:1]
	s_xor_b64 s[0:1], exec, s[10:11]
; %bb.87:                               ;   in Loop: Header=BB152_44 Depth=1
	v_bfe_u32 v7, v6, 16, 1
	v_add3_u32 v15, v6, v7, s13
                                        ; implicit-def: $vgpr6
; %bb.88:                               ;   in Loop: Header=BB152_44 Depth=1
	s_andn2_saveexec_b64 s[10:11], s[0:1]
; %bb.89:                               ;   in Loop: Header=BB152_44 Depth=1
	v_or_b32_e32 v7, 0x10000, v6
	v_cmp_eq_u32_sdwa s[0:1], v6, v17 src0_sel:WORD_0 src1_sel:DWORD
	s_nop 1
	v_cndmask_b32_e64 v15, v7, v6, s[0:1]
; %bb.90:                               ;   in Loop: Header=BB152_44 Depth=1
	s_or_b64 exec, exec, s[10:11]
	v_and_b32_e32 v38, 0xffff0000, v23
	v_lshlrev_b32_e32 v6, 16, v39
	v_mul_f32_e32 v6, v38, v6
	v_and_b32_e32 v7, 0x7f800000, v6
	v_cmp_ne_u32_e64 s[0:1], s12, v7
                                        ; implicit-def: $vgpr23
	s_and_saveexec_b64 s[10:11], s[0:1]
	s_xor_b64 s[0:1], exec, s[10:11]
; %bb.91:                               ;   in Loop: Header=BB152_44 Depth=1
	v_bfe_u32 v7, v6, 16, 1
	v_add3_u32 v23, v6, v7, s13
                                        ; implicit-def: $vgpr6
; %bb.92:                               ;   in Loop: Header=BB152_44 Depth=1
	s_andn2_saveexec_b64 s[10:11], s[0:1]
; %bb.93:                               ;   in Loop: Header=BB152_44 Depth=1
	v_or_b32_e32 v7, 0x10000, v6
	v_cmp_eq_u32_sdwa s[0:1], v6, v17 src0_sel:WORD_0 src1_sel:DWORD
	s_nop 1
	v_cndmask_b32_e64 v23, v7, v6, s[0:1]
; %bb.94:                               ;   in Loop: Header=BB152_44 Depth=1
	s_or_b64 exec, exec, s[10:11]
	v_and_b32_e32 v39, 0xffff0000, v24
	v_lshlrev_b32_e32 v6, 16, v8
	v_mul_f32_e32 v6, v39, v6
	v_and_b32_e32 v7, 0x7f800000, v6
	v_cmp_ne_u32_e64 s[0:1], s12, v7
                                        ; implicit-def: $vgpr24
	s_and_saveexec_b64 s[10:11], s[0:1]
	s_xor_b64 s[0:1], exec, s[10:11]
; %bb.95:                               ;   in Loop: Header=BB152_44 Depth=1
	v_bfe_u32 v7, v6, 16, 1
	v_add3_u32 v24, v6, v7, s13
                                        ; implicit-def: $vgpr6
; %bb.96:                               ;   in Loop: Header=BB152_44 Depth=1
	s_andn2_saveexec_b64 s[10:11], s[0:1]
; %bb.97:                               ;   in Loop: Header=BB152_44 Depth=1
	v_or_b32_e32 v7, 0x10000, v6
	v_cmp_eq_u32_sdwa s[0:1], v6, v17 src0_sel:WORD_0 src1_sel:DWORD
	s_nop 1
	v_cndmask_b32_e64 v24, v7, v6, s[0:1]
; %bb.98:                               ;   in Loop: Header=BB152_44 Depth=1
	s_or_b64 exec, exec, s[10:11]
	v_and_b32_e32 v40, 0xffff0000, v25
	v_lshlrev_b32_e32 v6, 16, v41
	v_mul_f32_e32 v6, v40, v6
	v_and_b32_e32 v7, 0x7f800000, v6
	v_cmp_ne_u32_e64 s[0:1], s12, v7
                                        ; implicit-def: $vgpr25
	s_and_saveexec_b64 s[10:11], s[0:1]
	s_xor_b64 s[0:1], exec, s[10:11]
; %bb.99:                               ;   in Loop: Header=BB152_44 Depth=1
	v_bfe_u32 v7, v6, 16, 1
	v_add3_u32 v25, v6, v7, s13
                                        ; implicit-def: $vgpr6
; %bb.100:                              ;   in Loop: Header=BB152_44 Depth=1
	s_andn2_saveexec_b64 s[10:11], s[0:1]
; %bb.101:                              ;   in Loop: Header=BB152_44 Depth=1
	v_or_b32_e32 v7, 0x10000, v6
	v_cmp_eq_u32_sdwa s[0:1], v6, v17 src0_sel:WORD_0 src1_sel:DWORD
	s_nop 1
	v_cndmask_b32_e64 v25, v7, v6, s[0:1]
; %bb.102:                              ;   in Loop: Header=BB152_44 Depth=1
	s_or_b64 exec, exec, s[10:11]
	v_and_b32_e32 v41, 0xffff0000, v26
	v_lshlrev_b32_e32 v6, 16, v9
	v_mul_f32_e32 v6, v41, v6
	v_and_b32_e32 v7, 0x7f800000, v6
	v_cmp_ne_u32_e64 s[0:1], s12, v7
                                        ; implicit-def: $vgpr26
	s_and_saveexec_b64 s[10:11], s[0:1]
	s_xor_b64 s[0:1], exec, s[10:11]
; %bb.103:                              ;   in Loop: Header=BB152_44 Depth=1
	v_bfe_u32 v7, v6, 16, 1
	v_add3_u32 v26, v6, v7, s13
                                        ; implicit-def: $vgpr6
; %bb.104:                              ;   in Loop: Header=BB152_44 Depth=1
	s_andn2_saveexec_b64 s[10:11], s[0:1]
; %bb.105:                              ;   in Loop: Header=BB152_44 Depth=1
	v_or_b32_e32 v7, 0x10000, v6
	v_cmp_eq_u32_sdwa s[0:1], v6, v17 src0_sel:WORD_0 src1_sel:DWORD
	s_nop 1
	v_cndmask_b32_e64 v26, v7, v6, s[0:1]
; %bb.106:                              ;   in Loop: Header=BB152_44 Depth=1
	s_or_b64 exec, exec, s[10:11]
	v_and_b32_e32 v42, 0xffff0000, v34
	v_lshlrev_b32_e32 v6, 16, v43
	v_mul_f32_e32 v6, v42, v6
	v_and_b32_e32 v7, 0x7f800000, v6
	v_cmp_ne_u32_e64 s[0:1], s12, v7
                                        ; implicit-def: $vgpr34
	s_and_saveexec_b64 s[10:11], s[0:1]
	s_xor_b64 s[0:1], exec, s[10:11]
; %bb.107:                              ;   in Loop: Header=BB152_44 Depth=1
	v_bfe_u32 v7, v6, 16, 1
	v_add3_u32 v34, v6, v7, s13
                                        ; implicit-def: $vgpr6
; %bb.108:                              ;   in Loop: Header=BB152_44 Depth=1
	s_andn2_saveexec_b64 s[10:11], s[0:1]
; %bb.109:                              ;   in Loop: Header=BB152_44 Depth=1
	v_or_b32_e32 v7, 0x10000, v6
	v_cmp_eq_u32_sdwa s[0:1], v6, v17 src0_sel:WORD_0 src1_sel:DWORD
	s_nop 1
	v_cndmask_b32_e64 v34, v7, v6, s[0:1]
; %bb.110:                              ;   in Loop: Header=BB152_44 Depth=1
	s_or_b64 exec, exec, s[10:11]
	global_load_dwordx4 v[6:9], v[10:11], off offset:1024
	s_waitcnt vmcnt(0)
	v_lshrrev_b32_e32 v44, 16, v6
	v_lshrrev_b32_e32 v46, 16, v7
	;; [unrolled: 1-line block ×4, first 2 shown]
	s_and_saveexec_b64 s[10:11], vcc
	s_cbranch_execz .LBB152_112
; %bb.111:                              ;   in Loop: Header=BB152_44 Depth=1
	v_cmp_gt_i32_e64 s[0:1], s33, v27
	s_nop 1
	v_cndmask_b32_e64 v6, 0, v6, s[0:1]
	v_cmp_gt_i32_e64 s[0:1], s33, v33
	s_nop 1
	v_cndmask_b32_e64 v44, 0, v44, s[0:1]
	;; [unrolled: 3-line block ×8, first 2 shown]
.LBB152_112:                            ;   in Loop: Header=BB152_44 Depth=1
	s_or_b64 exec, exec, s[10:11]
	v_lshlrev_b32_e32 v6, 16, v6
	v_mul_f32_e32 v6, v35, v6
	v_and_b32_e32 v43, 0x7f800000, v6
	v_cmp_ne_u32_e64 s[0:1], s12, v43
                                        ; implicit-def: $vgpr43
	s_and_saveexec_b64 s[10:11], s[0:1]
	s_xor_b64 s[0:1], exec, s[10:11]
; %bb.113:                              ;   in Loop: Header=BB152_44 Depth=1
	v_bfe_u32 v43, v6, 16, 1
	v_add3_u32 v43, v6, v43, s13
                                        ; implicit-def: $vgpr6
; %bb.114:                              ;   in Loop: Header=BB152_44 Depth=1
	s_andn2_saveexec_b64 s[10:11], s[0:1]
; %bb.115:                              ;   in Loop: Header=BB152_44 Depth=1
	v_or_b32_e32 v43, 0x10000, v6
	v_cmp_eq_u32_sdwa s[0:1], v6, v17 src0_sel:WORD_0 src1_sel:DWORD
	s_nop 1
	v_cndmask_b32_e64 v43, v43, v6, s[0:1]
; %bb.116:                              ;   in Loop: Header=BB152_44 Depth=1
	s_or_b64 exec, exec, s[10:11]
	v_lshlrev_b32_e32 v6, 16, v44
	v_mul_f32_e32 v6, v36, v6
	v_and_b32_e32 v44, 0x7f800000, v6
	v_cmp_ne_u32_e64 s[0:1], s12, v44
                                        ; implicit-def: $vgpr44
	s_and_saveexec_b64 s[10:11], s[0:1]
	s_xor_b64 s[0:1], exec, s[10:11]
; %bb.117:                              ;   in Loop: Header=BB152_44 Depth=1
	v_bfe_u32 v44, v6, 16, 1
	v_add3_u32 v44, v6, v44, s13
                                        ; implicit-def: $vgpr6
; %bb.118:                              ;   in Loop: Header=BB152_44 Depth=1
	s_andn2_saveexec_b64 s[10:11], s[0:1]
; %bb.119:                              ;   in Loop: Header=BB152_44 Depth=1
	v_or_b32_e32 v44, 0x10000, v6
	v_cmp_eq_u32_sdwa s[0:1], v6, v17 src0_sel:WORD_0 src1_sel:DWORD
	s_nop 1
	v_cndmask_b32_e64 v44, v44, v6, s[0:1]
; %bb.120:                              ;   in Loop: Header=BB152_44 Depth=1
	s_or_b64 exec, exec, s[10:11]
	v_lshlrev_b32_e32 v6, 16, v7
	v_mul_f32_e32 v6, v37, v6
	v_and_b32_e32 v7, 0x7f800000, v6
	v_cmp_ne_u32_e64 s[0:1], s12, v7
                                        ; implicit-def: $vgpr45
	s_and_saveexec_b64 s[10:11], s[0:1]
	s_xor_b64 s[0:1], exec, s[10:11]
; %bb.121:                              ;   in Loop: Header=BB152_44 Depth=1
	v_bfe_u32 v7, v6, 16, 1
	v_add3_u32 v45, v6, v7, s13
                                        ; implicit-def: $vgpr6
; %bb.122:                              ;   in Loop: Header=BB152_44 Depth=1
	s_andn2_saveexec_b64 s[10:11], s[0:1]
; %bb.123:                              ;   in Loop: Header=BB152_44 Depth=1
	v_or_b32_e32 v7, 0x10000, v6
	v_cmp_eq_u32_sdwa s[0:1], v6, v17 src0_sel:WORD_0 src1_sel:DWORD
	s_nop 1
	v_cndmask_b32_e64 v45, v7, v6, s[0:1]
; %bb.124:                              ;   in Loop: Header=BB152_44 Depth=1
	s_or_b64 exec, exec, s[10:11]
	v_lshlrev_b32_e32 v6, 16, v46
	v_mul_f32_e32 v6, v38, v6
	v_and_b32_e32 v7, 0x7f800000, v6
	v_cmp_ne_u32_e64 s[0:1], s12, v7
                                        ; implicit-def: $vgpr46
	s_and_saveexec_b64 s[10:11], s[0:1]
	s_xor_b64 s[0:1], exec, s[10:11]
; %bb.125:                              ;   in Loop: Header=BB152_44 Depth=1
	v_bfe_u32 v7, v6, 16, 1
	v_add3_u32 v46, v6, v7, s13
                                        ; implicit-def: $vgpr6
; %bb.126:                              ;   in Loop: Header=BB152_44 Depth=1
	s_andn2_saveexec_b64 s[10:11], s[0:1]
; %bb.127:                              ;   in Loop: Header=BB152_44 Depth=1
	v_or_b32_e32 v7, 0x10000, v6
	v_cmp_eq_u32_sdwa s[0:1], v6, v17 src0_sel:WORD_0 src1_sel:DWORD
	s_nop 1
	v_cndmask_b32_e64 v46, v7, v6, s[0:1]
; %bb.128:                              ;   in Loop: Header=BB152_44 Depth=1
	s_or_b64 exec, exec, s[10:11]
	v_lshlrev_b32_e32 v6, 16, v8
	v_mul_f32_e32 v6, v39, v6
	v_and_b32_e32 v7, 0x7f800000, v6
	v_cmp_ne_u32_e64 s[0:1], s12, v7
                                        ; implicit-def: $vgpr47
	s_and_saveexec_b64 s[10:11], s[0:1]
	s_xor_b64 s[0:1], exec, s[10:11]
; %bb.129:                              ;   in Loop: Header=BB152_44 Depth=1
	v_bfe_u32 v7, v6, 16, 1
	v_add3_u32 v47, v6, v7, s13
                                        ; implicit-def: $vgpr6
; %bb.130:                              ;   in Loop: Header=BB152_44 Depth=1
	s_andn2_saveexec_b64 s[10:11], s[0:1]
; %bb.131:                              ;   in Loop: Header=BB152_44 Depth=1
	v_or_b32_e32 v7, 0x10000, v6
	v_cmp_eq_u32_sdwa s[0:1], v6, v17 src0_sel:WORD_0 src1_sel:DWORD
	s_nop 1
	v_cndmask_b32_e64 v47, v7, v6, s[0:1]
; %bb.132:                              ;   in Loop: Header=BB152_44 Depth=1
	s_or_b64 exec, exec, s[10:11]
	v_lshlrev_b32_e32 v6, 16, v48
	v_mul_f32_e32 v6, v40, v6
	v_and_b32_e32 v7, 0x7f800000, v6
	v_cmp_ne_u32_e64 s[0:1], s12, v7
                                        ; implicit-def: $vgpr48
	s_and_saveexec_b64 s[10:11], s[0:1]
	s_xor_b64 s[0:1], exec, s[10:11]
; %bb.133:                              ;   in Loop: Header=BB152_44 Depth=1
	v_bfe_u32 v7, v6, 16, 1
	v_add3_u32 v48, v6, v7, s13
                                        ; implicit-def: $vgpr6
; %bb.134:                              ;   in Loop: Header=BB152_44 Depth=1
	s_andn2_saveexec_b64 s[10:11], s[0:1]
; %bb.135:                              ;   in Loop: Header=BB152_44 Depth=1
	v_or_b32_e32 v7, 0x10000, v6
	v_cmp_eq_u32_sdwa s[0:1], v6, v17 src0_sel:WORD_0 src1_sel:DWORD
	s_nop 1
	v_cndmask_b32_e64 v48, v7, v6, s[0:1]
; %bb.136:                              ;   in Loop: Header=BB152_44 Depth=1
	s_or_b64 exec, exec, s[10:11]
	v_lshlrev_b32_e32 v6, 16, v9
	v_mul_f32_e32 v6, v41, v6
	v_and_b32_e32 v7, 0x7f800000, v6
	v_cmp_ne_u32_e64 s[0:1], s12, v7
                                        ; implicit-def: $vgpr49
	s_and_saveexec_b64 s[10:11], s[0:1]
	s_xor_b64 s[0:1], exec, s[10:11]
; %bb.137:                              ;   in Loop: Header=BB152_44 Depth=1
	v_bfe_u32 v7, v6, 16, 1
	v_add3_u32 v49, v6, v7, s13
                                        ; implicit-def: $vgpr6
; %bb.138:                              ;   in Loop: Header=BB152_44 Depth=1
	s_andn2_saveexec_b64 s[10:11], s[0:1]
; %bb.139:                              ;   in Loop: Header=BB152_44 Depth=1
	v_or_b32_e32 v7, 0x10000, v6
	v_cmp_eq_u32_sdwa s[0:1], v6, v17 src0_sel:WORD_0 src1_sel:DWORD
	s_nop 1
	v_cndmask_b32_e64 v49, v7, v6, s[0:1]
; %bb.140:                              ;   in Loop: Header=BB152_44 Depth=1
	s_or_b64 exec, exec, s[10:11]
	v_lshlrev_b32_e32 v6, 16, v50
	v_mul_f32_e32 v6, v42, v6
	v_and_b32_e32 v7, 0x7f800000, v6
	v_cmp_ne_u32_e64 s[0:1], s12, v7
                                        ; implicit-def: $vgpr50
	s_and_saveexec_b64 s[10:11], s[0:1]
	s_xor_b64 s[0:1], exec, s[10:11]
; %bb.141:                              ;   in Loop: Header=BB152_44 Depth=1
	v_bfe_u32 v7, v6, 16, 1
	v_add3_u32 v50, v6, v7, s13
                                        ; implicit-def: $vgpr6
; %bb.142:                              ;   in Loop: Header=BB152_44 Depth=1
	s_andn2_saveexec_b64 s[10:11], s[0:1]
; %bb.143:                              ;   in Loop: Header=BB152_44 Depth=1
	v_or_b32_e32 v7, 0x10000, v6
	v_cmp_eq_u32_sdwa s[0:1], v6, v17 src0_sel:WORD_0 src1_sel:DWORD
	s_nop 1
	v_cndmask_b32_e64 v50, v7, v6, s[0:1]
; %bb.144:                              ;   in Loop: Header=BB152_44 Depth=1
	s_or_b64 exec, exec, s[10:11]
	global_load_dwordx4 v[6:9], v[10:11], off offset:2048
	s_waitcnt vmcnt(0)
	v_lshrrev_b32_e32 v52, 16, v6
	v_lshrrev_b32_e32 v54, 16, v7
	;; [unrolled: 1-line block ×4, first 2 shown]
	s_and_saveexec_b64 s[10:11], vcc
	s_cbranch_execz .LBB152_146
; %bb.145:                              ;   in Loop: Header=BB152_44 Depth=1
	v_cmp_gt_i32_e64 s[0:1], s33, v27
	s_nop 1
	v_cndmask_b32_e64 v6, 0, v6, s[0:1]
	v_cmp_gt_i32_e64 s[0:1], s33, v33
	s_nop 1
	v_cndmask_b32_e64 v52, 0, v52, s[0:1]
	;; [unrolled: 3-line block ×8, first 2 shown]
.LBB152_146:                            ;   in Loop: Header=BB152_44 Depth=1
	s_or_b64 exec, exec, s[10:11]
	v_lshlrev_b32_e32 v6, 16, v6
	v_mul_f32_e32 v6, v35, v6
	v_and_b32_e32 v51, 0x7f800000, v6
	v_cmp_ne_u32_e64 s[0:1], s12, v51
                                        ; implicit-def: $vgpr51
	s_and_saveexec_b64 s[10:11], s[0:1]
	s_xor_b64 s[0:1], exec, s[10:11]
; %bb.147:                              ;   in Loop: Header=BB152_44 Depth=1
	v_bfe_u32 v51, v6, 16, 1
	v_add3_u32 v51, v6, v51, s13
                                        ; implicit-def: $vgpr6
; %bb.148:                              ;   in Loop: Header=BB152_44 Depth=1
	s_andn2_saveexec_b64 s[10:11], s[0:1]
; %bb.149:                              ;   in Loop: Header=BB152_44 Depth=1
	v_or_b32_e32 v51, 0x10000, v6
	v_cmp_eq_u32_sdwa s[0:1], v6, v17 src0_sel:WORD_0 src1_sel:DWORD
	s_nop 1
	v_cndmask_b32_e64 v51, v51, v6, s[0:1]
; %bb.150:                              ;   in Loop: Header=BB152_44 Depth=1
	s_or_b64 exec, exec, s[10:11]
	v_lshlrev_b32_e32 v6, 16, v52
	v_mul_f32_e32 v6, v36, v6
	v_and_b32_e32 v52, 0x7f800000, v6
	v_cmp_ne_u32_e64 s[0:1], s12, v52
                                        ; implicit-def: $vgpr52
	s_and_saveexec_b64 s[10:11], s[0:1]
	s_xor_b64 s[0:1], exec, s[10:11]
; %bb.151:                              ;   in Loop: Header=BB152_44 Depth=1
	v_bfe_u32 v52, v6, 16, 1
	v_add3_u32 v52, v6, v52, s13
                                        ; implicit-def: $vgpr6
; %bb.152:                              ;   in Loop: Header=BB152_44 Depth=1
	s_andn2_saveexec_b64 s[10:11], s[0:1]
; %bb.153:                              ;   in Loop: Header=BB152_44 Depth=1
	v_or_b32_e32 v52, 0x10000, v6
	v_cmp_eq_u32_sdwa s[0:1], v6, v17 src0_sel:WORD_0 src1_sel:DWORD
	s_nop 1
	v_cndmask_b32_e64 v52, v52, v6, s[0:1]
; %bb.154:                              ;   in Loop: Header=BB152_44 Depth=1
	s_or_b64 exec, exec, s[10:11]
	v_lshlrev_b32_e32 v6, 16, v7
	v_mul_f32_e32 v6, v37, v6
	v_and_b32_e32 v7, 0x7f800000, v6
	v_cmp_ne_u32_e64 s[0:1], s12, v7
                                        ; implicit-def: $vgpr53
	s_and_saveexec_b64 s[10:11], s[0:1]
	s_xor_b64 s[0:1], exec, s[10:11]
; %bb.155:                              ;   in Loop: Header=BB152_44 Depth=1
	v_bfe_u32 v7, v6, 16, 1
	v_add3_u32 v53, v6, v7, s13
                                        ; implicit-def: $vgpr6
; %bb.156:                              ;   in Loop: Header=BB152_44 Depth=1
	s_andn2_saveexec_b64 s[10:11], s[0:1]
; %bb.157:                              ;   in Loop: Header=BB152_44 Depth=1
	v_or_b32_e32 v7, 0x10000, v6
	v_cmp_eq_u32_sdwa s[0:1], v6, v17 src0_sel:WORD_0 src1_sel:DWORD
	s_nop 1
	v_cndmask_b32_e64 v53, v7, v6, s[0:1]
; %bb.158:                              ;   in Loop: Header=BB152_44 Depth=1
	s_or_b64 exec, exec, s[10:11]
	v_lshlrev_b32_e32 v6, 16, v54
	v_mul_f32_e32 v6, v38, v6
	v_and_b32_e32 v7, 0x7f800000, v6
	v_cmp_ne_u32_e64 s[0:1], s12, v7
                                        ; implicit-def: $vgpr54
	s_and_saveexec_b64 s[10:11], s[0:1]
	s_xor_b64 s[0:1], exec, s[10:11]
; %bb.159:                              ;   in Loop: Header=BB152_44 Depth=1
	v_bfe_u32 v7, v6, 16, 1
	v_add3_u32 v54, v6, v7, s13
                                        ; implicit-def: $vgpr6
; %bb.160:                              ;   in Loop: Header=BB152_44 Depth=1
	s_andn2_saveexec_b64 s[10:11], s[0:1]
; %bb.161:                              ;   in Loop: Header=BB152_44 Depth=1
	v_or_b32_e32 v7, 0x10000, v6
	v_cmp_eq_u32_sdwa s[0:1], v6, v17 src0_sel:WORD_0 src1_sel:DWORD
	s_nop 1
	v_cndmask_b32_e64 v54, v7, v6, s[0:1]
; %bb.162:                              ;   in Loop: Header=BB152_44 Depth=1
	s_or_b64 exec, exec, s[10:11]
	v_lshlrev_b32_e32 v6, 16, v8
	v_mul_f32_e32 v6, v39, v6
	v_and_b32_e32 v7, 0x7f800000, v6
	v_cmp_ne_u32_e64 s[0:1], s12, v7
                                        ; implicit-def: $vgpr55
	s_and_saveexec_b64 s[10:11], s[0:1]
	s_xor_b64 s[0:1], exec, s[10:11]
; %bb.163:                              ;   in Loop: Header=BB152_44 Depth=1
	v_bfe_u32 v7, v6, 16, 1
	v_add3_u32 v55, v6, v7, s13
                                        ; implicit-def: $vgpr6
; %bb.164:                              ;   in Loop: Header=BB152_44 Depth=1
	s_andn2_saveexec_b64 s[10:11], s[0:1]
; %bb.165:                              ;   in Loop: Header=BB152_44 Depth=1
	v_or_b32_e32 v7, 0x10000, v6
	v_cmp_eq_u32_sdwa s[0:1], v6, v17 src0_sel:WORD_0 src1_sel:DWORD
	s_nop 1
	v_cndmask_b32_e64 v55, v7, v6, s[0:1]
; %bb.166:                              ;   in Loop: Header=BB152_44 Depth=1
	s_or_b64 exec, exec, s[10:11]
	v_lshlrev_b32_e32 v6, 16, v56
	v_mul_f32_e32 v6, v40, v6
	v_and_b32_e32 v7, 0x7f800000, v6
	v_cmp_ne_u32_e64 s[0:1], s12, v7
                                        ; implicit-def: $vgpr56
	s_and_saveexec_b64 s[10:11], s[0:1]
	s_xor_b64 s[0:1], exec, s[10:11]
; %bb.167:                              ;   in Loop: Header=BB152_44 Depth=1
	v_bfe_u32 v7, v6, 16, 1
	v_add3_u32 v56, v6, v7, s13
                                        ; implicit-def: $vgpr6
; %bb.168:                              ;   in Loop: Header=BB152_44 Depth=1
	s_andn2_saveexec_b64 s[10:11], s[0:1]
; %bb.169:                              ;   in Loop: Header=BB152_44 Depth=1
	v_or_b32_e32 v7, 0x10000, v6
	v_cmp_eq_u32_sdwa s[0:1], v6, v17 src0_sel:WORD_0 src1_sel:DWORD
	s_nop 1
	v_cndmask_b32_e64 v56, v7, v6, s[0:1]
; %bb.170:                              ;   in Loop: Header=BB152_44 Depth=1
	s_or_b64 exec, exec, s[10:11]
	v_lshlrev_b32_e32 v6, 16, v9
	v_mul_f32_e32 v6, v41, v6
	v_and_b32_e32 v7, 0x7f800000, v6
	v_cmp_ne_u32_e64 s[0:1], s12, v7
                                        ; implicit-def: $vgpr57
	s_and_saveexec_b64 s[10:11], s[0:1]
	s_xor_b64 s[0:1], exec, s[10:11]
; %bb.171:                              ;   in Loop: Header=BB152_44 Depth=1
	v_bfe_u32 v7, v6, 16, 1
	v_add3_u32 v57, v6, v7, s13
                                        ; implicit-def: $vgpr6
; %bb.172:                              ;   in Loop: Header=BB152_44 Depth=1
	s_andn2_saveexec_b64 s[10:11], s[0:1]
; %bb.173:                              ;   in Loop: Header=BB152_44 Depth=1
	v_or_b32_e32 v7, 0x10000, v6
	v_cmp_eq_u32_sdwa s[0:1], v6, v17 src0_sel:WORD_0 src1_sel:DWORD
	s_nop 1
	v_cndmask_b32_e64 v57, v7, v6, s[0:1]
; %bb.174:                              ;   in Loop: Header=BB152_44 Depth=1
	s_or_b64 exec, exec, s[10:11]
	v_lshlrev_b32_e32 v6, 16, v58
	v_mul_f32_e32 v6, v42, v6
	v_and_b32_e32 v7, 0x7f800000, v6
	v_cmp_ne_u32_e64 s[0:1], s12, v7
                                        ; implicit-def: $vgpr58
	s_and_saveexec_b64 s[10:11], s[0:1]
	s_xor_b64 s[0:1], exec, s[10:11]
; %bb.175:                              ;   in Loop: Header=BB152_44 Depth=1
	v_bfe_u32 v7, v6, 16, 1
	v_add3_u32 v58, v6, v7, s13
                                        ; implicit-def: $vgpr6
; %bb.176:                              ;   in Loop: Header=BB152_44 Depth=1
	s_andn2_saveexec_b64 s[10:11], s[0:1]
; %bb.177:                              ;   in Loop: Header=BB152_44 Depth=1
	v_or_b32_e32 v7, 0x10000, v6
	v_cmp_eq_u32_sdwa s[0:1], v6, v17 src0_sel:WORD_0 src1_sel:DWORD
	s_nop 1
	v_cndmask_b32_e64 v58, v7, v6, s[0:1]
; %bb.178:                              ;   in Loop: Header=BB152_44 Depth=1
	s_or_b64 exec, exec, s[10:11]
	global_load_dwordx4 v[6:9], v[10:11], off offset:3072
	s_waitcnt vmcnt(0)
	v_lshrrev_b32_e32 v10, 16, v6
	v_lshrrev_b32_e32 v60, 16, v7
	;; [unrolled: 1-line block ×4, first 2 shown]
	s_and_saveexec_b64 s[0:1], vcc
	s_cbranch_execz .LBB152_180
; %bb.179:                              ;   in Loop: Header=BB152_44 Depth=1
	v_cmp_gt_i32_e32 vcc, s33, v27
	s_nop 1
	v_cndmask_b32_e32 v6, 0, v6, vcc
	v_cmp_gt_i32_e32 vcc, s33, v33
	s_nop 1
	v_cndmask_b32_e32 v10, 0, v10, vcc
	;; [unrolled: 3-line block ×8, first 2 shown]
.LBB152_180:                            ;   in Loop: Header=BB152_44 Depth=1
	s_or_b64 exec, exec, s[0:1]
	v_lshlrev_b32_e32 v6, 16, v6
	v_mul_f32_e32 v27, v35, v6
	v_and_b32_e32 v6, 0x7f800000, v27
	v_cmp_ne_u32_e32 vcc, s12, v6
                                        ; implicit-def: $vgpr6
	s_and_saveexec_b64 s[0:1], vcc
	s_xor_b64 s[0:1], exec, s[0:1]
; %bb.181:                              ;   in Loop: Header=BB152_44 Depth=1
	v_bfe_u32 v6, v27, 16, 1
	v_add3_u32 v6, v27, v6, s13
                                        ; implicit-def: $vgpr27
; %bb.182:                              ;   in Loop: Header=BB152_44 Depth=1
	s_andn2_saveexec_b64 s[0:1], s[0:1]
; %bb.183:                              ;   in Loop: Header=BB152_44 Depth=1
	v_or_b32_e32 v6, 0x10000, v27
	v_cmp_eq_u32_sdwa vcc, v27, v17 src0_sel:WORD_0 src1_sel:DWORD
	s_nop 1
	v_cndmask_b32_e32 v6, v6, v27, vcc
; %bb.184:                              ;   in Loop: Header=BB152_44 Depth=1
	s_or_b64 exec, exec, s[0:1]
	v_lshlrev_b32_e32 v10, 16, v10
	v_mul_f32_e32 v27, v36, v10
	v_and_b32_e32 v10, 0x7f800000, v27
	v_cmp_ne_u32_e32 vcc, s12, v10
                                        ; implicit-def: $vgpr10
	s_and_saveexec_b64 s[0:1], vcc
	s_xor_b64 s[0:1], exec, s[0:1]
; %bb.185:                              ;   in Loop: Header=BB152_44 Depth=1
	v_bfe_u32 v10, v27, 16, 1
	v_add3_u32 v10, v27, v10, s13
                                        ; implicit-def: $vgpr27
; %bb.186:                              ;   in Loop: Header=BB152_44 Depth=1
	s_andn2_saveexec_b64 s[0:1], s[0:1]
; %bb.187:                              ;   in Loop: Header=BB152_44 Depth=1
	v_or_b32_e32 v10, 0x10000, v27
	v_cmp_eq_u32_sdwa vcc, v27, v17 src0_sel:WORD_0 src1_sel:DWORD
	s_nop 1
	v_cndmask_b32_e32 v10, v10, v27, vcc
; %bb.188:                              ;   in Loop: Header=BB152_44 Depth=1
	s_or_b64 exec, exec, s[0:1]
	v_lshlrev_b32_e32 v7, 16, v7
	v_mul_f32_e32 v27, v37, v7
	v_and_b32_e32 v7, 0x7f800000, v27
	v_cmp_ne_u32_e32 vcc, s12, v7
                                        ; implicit-def: $vgpr7
	s_and_saveexec_b64 s[0:1], vcc
	s_xor_b64 s[0:1], exec, s[0:1]
; %bb.189:                              ;   in Loop: Header=BB152_44 Depth=1
	v_bfe_u32 v7, v27, 16, 1
	v_add3_u32 v7, v27, v7, s13
                                        ; implicit-def: $vgpr27
; %bb.190:                              ;   in Loop: Header=BB152_44 Depth=1
	s_andn2_saveexec_b64 s[0:1], s[0:1]
; %bb.191:                              ;   in Loop: Header=BB152_44 Depth=1
	v_or_b32_e32 v7, 0x10000, v27
	v_cmp_eq_u32_sdwa vcc, v27, v17 src0_sel:WORD_0 src1_sel:DWORD
	s_nop 1
	v_cndmask_b32_e32 v7, v7, v27, vcc
; %bb.192:                              ;   in Loop: Header=BB152_44 Depth=1
	s_or_b64 exec, exec, s[0:1]
	v_lshlrev_b32_e32 v27, 16, v60
	v_mul_f32_e32 v28, v38, v27
	v_and_b32_e32 v27, 0x7f800000, v28
	v_cmp_ne_u32_e32 vcc, s12, v27
                                        ; implicit-def: $vgpr27
	s_and_saveexec_b64 s[0:1], vcc
	s_xor_b64 s[0:1], exec, s[0:1]
; %bb.193:                              ;   in Loop: Header=BB152_44 Depth=1
	v_bfe_u32 v27, v28, 16, 1
	v_add3_u32 v27, v28, v27, s13
                                        ; implicit-def: $vgpr28
; %bb.194:                              ;   in Loop: Header=BB152_44 Depth=1
	s_andn2_saveexec_b64 s[0:1], s[0:1]
; %bb.195:                              ;   in Loop: Header=BB152_44 Depth=1
	v_or_b32_e32 v27, 0x10000, v28
	v_cmp_eq_u32_sdwa vcc, v28, v17 src0_sel:WORD_0 src1_sel:DWORD
	s_nop 1
	v_cndmask_b32_e32 v27, v27, v28, vcc
; %bb.196:                              ;   in Loop: Header=BB152_44 Depth=1
	s_or_b64 exec, exec, s[0:1]
	v_lshlrev_b32_e32 v8, 16, v8
	v_mul_f32_e32 v28, v39, v8
	v_and_b32_e32 v8, 0x7f800000, v28
	v_cmp_ne_u32_e32 vcc, s12, v8
                                        ; implicit-def: $vgpr8
	s_and_saveexec_b64 s[0:1], vcc
	s_xor_b64 s[0:1], exec, s[0:1]
; %bb.197:                              ;   in Loop: Header=BB152_44 Depth=1
	v_bfe_u32 v8, v28, 16, 1
	v_add3_u32 v8, v28, v8, s13
                                        ; implicit-def: $vgpr28
; %bb.198:                              ;   in Loop: Header=BB152_44 Depth=1
	s_andn2_saveexec_b64 s[0:1], s[0:1]
; %bb.199:                              ;   in Loop: Header=BB152_44 Depth=1
	v_or_b32_e32 v8, 0x10000, v28
	v_cmp_eq_u32_sdwa vcc, v28, v17 src0_sel:WORD_0 src1_sel:DWORD
	s_nop 1
	v_cndmask_b32_e32 v8, v8, v28, vcc
; %bb.200:                              ;   in Loop: Header=BB152_44 Depth=1
	s_or_b64 exec, exec, s[0:1]
	v_lshlrev_b32_e32 v28, 16, v59
	v_mul_f32_e32 v29, v40, v28
	v_and_b32_e32 v28, 0x7f800000, v29
	v_cmp_ne_u32_e32 vcc, s12, v28
                                        ; implicit-def: $vgpr28
	s_and_saveexec_b64 s[0:1], vcc
	s_xor_b64 s[0:1], exec, s[0:1]
; %bb.201:                              ;   in Loop: Header=BB152_44 Depth=1
	v_bfe_u32 v28, v29, 16, 1
	v_add3_u32 v28, v29, v28, s13
                                        ; implicit-def: $vgpr29
; %bb.202:                              ;   in Loop: Header=BB152_44 Depth=1
	s_andn2_saveexec_b64 s[0:1], s[0:1]
; %bb.203:                              ;   in Loop: Header=BB152_44 Depth=1
	v_or_b32_e32 v28, 0x10000, v29
	v_cmp_eq_u32_sdwa vcc, v29, v17 src0_sel:WORD_0 src1_sel:DWORD
	s_nop 1
	v_cndmask_b32_e32 v28, v28, v29, vcc
; %bb.204:                              ;   in Loop: Header=BB152_44 Depth=1
	s_or_b64 exec, exec, s[0:1]
	v_lshlrev_b32_e32 v9, 16, v9
	v_mul_f32_e32 v29, v41, v9
	v_and_b32_e32 v9, 0x7f800000, v29
	v_cmp_ne_u32_e32 vcc, s12, v9
                                        ; implicit-def: $vgpr9
	s_and_saveexec_b64 s[0:1], vcc
	s_xor_b64 s[0:1], exec, s[0:1]
; %bb.205:                              ;   in Loop: Header=BB152_44 Depth=1
	v_bfe_u32 v9, v29, 16, 1
	v_add3_u32 v9, v29, v9, s13
                                        ; implicit-def: $vgpr29
; %bb.206:                              ;   in Loop: Header=BB152_44 Depth=1
	s_andn2_saveexec_b64 s[0:1], s[0:1]
; %bb.207:                              ;   in Loop: Header=BB152_44 Depth=1
	v_or_b32_e32 v9, 0x10000, v29
	v_cmp_eq_u32_sdwa vcc, v29, v17 src0_sel:WORD_0 src1_sel:DWORD
	s_nop 1
	v_cndmask_b32_e32 v9, v9, v29, vcc
; %bb.208:                              ;   in Loop: Header=BB152_44 Depth=1
	s_or_b64 exec, exec, s[0:1]
	v_lshlrev_b32_e32 v11, 16, v11
	v_mul_f32_e32 v29, v42, v11
	v_and_b32_e32 v11, 0x7f800000, v29
	v_cmp_ne_u32_e32 vcc, s12, v11
                                        ; implicit-def: $vgpr11
	s_and_saveexec_b64 s[0:1], vcc
	s_xor_b64 s[0:1], exec, s[0:1]
; %bb.209:                              ;   in Loop: Header=BB152_44 Depth=1
	v_bfe_u32 v11, v29, 16, 1
	v_add3_u32 v11, v29, v11, s13
                                        ; implicit-def: $vgpr29
; %bb.210:                              ;   in Loop: Header=BB152_44 Depth=1
	s_andn2_saveexec_b64 s[0:1], s[0:1]
	s_cbranch_execz .LBB152_43
; %bb.211:                              ;   in Loop: Header=BB152_44 Depth=1
	v_or_b32_e32 v11, 0x10000, v29
	v_cmp_eq_u32_sdwa vcc, v29, v17 src0_sel:WORD_0 src1_sel:DWORD
	s_nop 1
	v_cndmask_b32_e32 v11, v11, v29, vcc
	s_branch .LBB152_43
.LBB152_212:
	s_or_b64 exec, exec, s[8:9]
.LBB152_213:
	s_or_b64 exec, exec, s[2:3]
	v_and_b32_e32 v6, 0x3c0, v0
	v_cmp_eq_u32_e32 vcc, 64, v6
	s_barrier
	s_and_saveexec_b64 s[0:1], vcc
	s_cbranch_execz .LBB152_215
; %bb.214:
	v_lshlrev_b32_e32 v6, 2, v0
	v_mov_b32_e32 v8, 0x210
	v_or_b32_e32 v7, 0x300, v6
	v_lshl_add_u32 v1, v1, 2, v8
	v_add_u32_e32 v7, 0x210, v7
	v_add_u32_e32 v6, 0x210, v6
	ds_write_b32 v1, v2
	ds_write_b32 v6, v3
	ds_write_b32 v1, v4 offset:512
	ds_write_b32 v7, v5
.LBB152_215:
	s_or_b64 exec, exec, s[0:1]
	v_cmp_gt_u32_e32 vcc, 64, v0
	s_waitcnt lgkmcnt(0)
	s_barrier
	s_and_saveexec_b64 s[0:1], vcc
	s_cbranch_execz .LBB152_217
; %bb.216:
	v_mov_b32_e32 v1, 0x210
	v_lshl_add_u32 v1, v0, 2, v1
	ds_read2st64_b32 v[6:7], v1 offset0:2 offset1:3
	ds_read2st64_b32 v[8:9], v1 offset1:1
	s_waitcnt lgkmcnt(1)
	v_pk_add_f32 v[4:5], v[4:5], v[6:7]
	s_waitcnt lgkmcnt(0)
	v_pk_add_f32 v[2:3], v[2:3], v[8:9]
.LBB152_217:
	s_or_b64 exec, exec, s[0:1]
	s_barrier
	s_and_saveexec_b64 s[0:1], vcc
	s_cbranch_execz .LBB152_235
; %bb.218:
	s_mov_b32 s0, 0x7f800000
	v_and_b32_e32 v1, 0x7f800000, v2
	v_cmp_ne_u32_e32 vcc, s0, v1
                                        ; implicit-def: $vgpr6
	s_and_saveexec_b64 s[0:1], vcc
	s_xor_b64 s[0:1], exec, s[0:1]
; %bb.219:
	v_bfe_u32 v1, v2, 16, 1
	s_movk_i32 s2, 0x7fff
	v_add3_u32 v6, v2, v1, s2
; %bb.220:
	s_andn2_saveexec_b64 s[0:1], s[0:1]
; %bb.221:
	v_mov_b32_e32 v1, 0
	v_or_b32_e32 v6, 0x10000, v2
	v_cmp_eq_u32_sdwa vcc, v2, v1 src0_sel:WORD_0 src1_sel:DWORD
	s_nop 1
	v_cndmask_b32_e32 v6, v6, v2, vcc
; %bb.222:
	s_or_b64 exec, exec, s[0:1]
	s_lshl_b32 s0, s6, 8
	s_ashr_i32 s1, s0, 31
	s_lshl_b64 s[0:1], s[0:1], 1
	s_add_u32 s2, s24, s0
	s_mul_i32 s0, s29, s26
	s_addc_u32 s3, s25, s1
	s_ashr_i32 s1, s0, 31
	s_lshl_b64 s[0:1], s[0:1], 1
	s_add_u32 s2, s2, s0
	s_addc_u32 s3, s3, s1
	s_lshl_b32 s0, s4, 8
	s_ashr_i32 s1, s0, 31
	s_lshl_b64 s[0:1], s[0:1], 1
	s_add_u32 s0, s2, s0
	s_mov_b32 s2, 0x7f800000
	v_and_b32_e32 v2, 0x7f800000, v3
	s_addc_u32 s1, s3, s1
	v_lshlrev_b32_e32 v0, 1, v0
	v_mov_b32_e32 v1, 0
	v_cmp_ne_u32_e32 vcc, s2, v2
	global_store_short_d16_hi v0, v6, s[0:1]
                                        ; implicit-def: $vgpr2
	s_and_saveexec_b64 s[2:3], vcc
	s_xor_b64 s[2:3], exec, s[2:3]
; %bb.223:
	v_bfe_u32 v2, v3, 16, 1
	s_movk_i32 s4, 0x7fff
	v_add3_u32 v2, v3, v2, s4
; %bb.224:
	s_or_saveexec_b64 s[2:3], s[2:3]
	v_lshl_add_u64 v[0:1], s[0:1], 0, v[0:1]
	s_xor_b64 exec, exec, s[2:3]
; %bb.225:
	v_mov_b32_e32 v2, 0
	v_or_b32_e32 v6, 0x10000, v3
	v_cmp_eq_u32_sdwa vcc, v3, v2 src0_sel:WORD_0 src1_sel:DWORD
	s_nop 1
	v_cndmask_b32_e32 v2, v6, v3, vcc
; %bb.226:
	s_or_b64 exec, exec, s[2:3]
	global_store_short_d16_hi v[0:1], v2, off offset:128
	s_mov_b32 s0, 0x7f800000
	v_and_b32_e32 v2, 0x7f800000, v4
	v_cmp_ne_u32_e32 vcc, s0, v2
                                        ; implicit-def: $vgpr2
	s_and_saveexec_b64 s[0:1], vcc
	s_xor_b64 s[0:1], exec, s[0:1]
; %bb.227:
	v_bfe_u32 v2, v4, 16, 1
	s_movk_i32 s2, 0x7fff
	v_add3_u32 v2, v4, v2, s2
; %bb.228:
	s_andn2_saveexec_b64 s[0:1], s[0:1]
; %bb.229:
	v_mov_b32_e32 v2, 0
	v_or_b32_e32 v3, 0x10000, v4
	v_cmp_eq_u32_sdwa vcc, v4, v2 src0_sel:WORD_0 src1_sel:DWORD
	s_nop 1
	v_cndmask_b32_e32 v2, v3, v4, vcc
; %bb.230:
	s_or_b64 exec, exec, s[0:1]
	global_store_short_d16_hi v[0:1], v2, off offset:256
	s_mov_b32 s0, 0x7f800000
	v_and_b32_e32 v2, 0x7f800000, v5
	v_cmp_ne_u32_e32 vcc, s0, v2
                                        ; implicit-def: $vgpr6
	s_and_saveexec_b64 s[0:1], vcc
	s_xor_b64 s[0:1], exec, s[0:1]
; %bb.231:
	v_bfe_u32 v2, v5, 16, 1
	s_movk_i32 s2, 0x7fff
	v_add3_u32 v6, v5, v2, s2
                                        ; implicit-def: $vgpr2_vgpr3_vgpr4_vgpr5
; %bb.232:
	s_andn2_saveexec_b64 s[0:1], s[0:1]
; %bb.233:
	v_mov_b32_e32 v2, 0
	v_or_b32_e32 v3, 0x10000, v5
	v_cmp_eq_u32_sdwa vcc, v5, v2 src0_sel:WORD_0 src1_sel:DWORD
	s_nop 1
	v_cndmask_b32_e32 v6, v3, v5, vcc
; %bb.234:
	s_or_b64 exec, exec, s[0:1]
	global_store_short_d16_hi v[0:1], v6, off offset:384
.LBB152_235:
	s_endpgm
	.section	.rodata,"a",@progbits
	.p2align	6, 0x0
	.amdhsa_kernel _ZN4vllm25paged_attention_v2_kernelI14__hip_bfloat16S1_Li256ELi8ELi128ELNS_18Fp8KVCacheDataTypeE0ELb0ELi512EEEvPfS3_PT_PKS4_PKT0_SA_ifPKiSC_iPKfiiiSE_SE_iiiii
		.amdhsa_group_segment_fixed_size 528
		.amdhsa_private_segment_fixed_size 0
		.amdhsa_kernarg_size 400
		.amdhsa_user_sgpr_count 2
		.amdhsa_user_sgpr_dispatch_ptr 0
		.amdhsa_user_sgpr_queue_ptr 0
		.amdhsa_user_sgpr_kernarg_segment_ptr 1
		.amdhsa_user_sgpr_dispatch_id 0
		.amdhsa_user_sgpr_kernarg_preload_length 0
		.amdhsa_user_sgpr_kernarg_preload_offset 0
		.amdhsa_user_sgpr_private_segment_size 0
		.amdhsa_uses_dynamic_stack 0
		.amdhsa_enable_private_segment 0
		.amdhsa_system_sgpr_workgroup_id_x 1
		.amdhsa_system_sgpr_workgroup_id_y 1
		.amdhsa_system_sgpr_workgroup_id_z 1
		.amdhsa_system_sgpr_workgroup_info 0
		.amdhsa_system_vgpr_workitem_id 0
		.amdhsa_next_free_vgpr 83
		.amdhsa_next_free_sgpr 44
		.amdhsa_accum_offset 84
		.amdhsa_reserve_vcc 1
		.amdhsa_float_round_mode_32 0
		.amdhsa_float_round_mode_16_64 0
		.amdhsa_float_denorm_mode_32 3
		.amdhsa_float_denorm_mode_16_64 3
		.amdhsa_dx10_clamp 1
		.amdhsa_ieee_mode 1
		.amdhsa_fp16_overflow 0
		.amdhsa_tg_split 0
		.amdhsa_exception_fp_ieee_invalid_op 0
		.amdhsa_exception_fp_denorm_src 0
		.amdhsa_exception_fp_ieee_div_zero 0
		.amdhsa_exception_fp_ieee_overflow 0
		.amdhsa_exception_fp_ieee_underflow 0
		.amdhsa_exception_fp_ieee_inexact 0
		.amdhsa_exception_int_div_zero 0
	.end_amdhsa_kernel
	.section	.text._ZN4vllm25paged_attention_v2_kernelI14__hip_bfloat16S1_Li256ELi8ELi128ELNS_18Fp8KVCacheDataTypeE0ELb0ELi512EEEvPfS3_PT_PKS4_PKT0_SA_ifPKiSC_iPKfiiiSE_SE_iiiii,"axG",@progbits,_ZN4vllm25paged_attention_v2_kernelI14__hip_bfloat16S1_Li256ELi8ELi128ELNS_18Fp8KVCacheDataTypeE0ELb0ELi512EEEvPfS3_PT_PKS4_PKT0_SA_ifPKiSC_iPKfiiiSE_SE_iiiii,comdat
.Lfunc_end152:
	.size	_ZN4vllm25paged_attention_v2_kernelI14__hip_bfloat16S1_Li256ELi8ELi128ELNS_18Fp8KVCacheDataTypeE0ELb0ELi512EEEvPfS3_PT_PKS4_PKT0_SA_ifPKiSC_iPKfiiiSE_SE_iiiii, .Lfunc_end152-_ZN4vllm25paged_attention_v2_kernelI14__hip_bfloat16S1_Li256ELi8ELi128ELNS_18Fp8KVCacheDataTypeE0ELb0ELi512EEEvPfS3_PT_PKS4_PKT0_SA_ifPKiSC_iPKfiiiSE_SE_iiiii
                                        ; -- End function
	.section	.AMDGPU.csdata,"",@progbits
; Kernel info:
; codeLenInByte = 8780
; NumSgprs: 50
; NumVgprs: 83
; NumAgprs: 0
; TotalNumVgprs: 83
; ScratchSize: 0
; MemoryBound: 0
; FloatMode: 240
; IeeeMode: 1
; LDSByteSize: 528 bytes/workgroup (compile time only)
; SGPRBlocks: 6
; VGPRBlocks: 10
; NumSGPRsForWavesPerEU: 50
; NumVGPRsForWavesPerEU: 83
; AccumOffset: 84
; Occupancy: 5
; WaveLimiterHint : 1
; COMPUTE_PGM_RSRC2:SCRATCH_EN: 0
; COMPUTE_PGM_RSRC2:USER_SGPR: 2
; COMPUTE_PGM_RSRC2:TRAP_HANDLER: 0
; COMPUTE_PGM_RSRC2:TGID_X_EN: 1
; COMPUTE_PGM_RSRC2:TGID_Y_EN: 1
; COMPUTE_PGM_RSRC2:TGID_Z_EN: 1
; COMPUTE_PGM_RSRC2:TIDIG_COMP_CNT: 0
; COMPUTE_PGM_RSRC3_GFX90A:ACCUM_OFFSET: 20
; COMPUTE_PGM_RSRC3_GFX90A:TG_SPLIT: 0
	.section	.text._ZN4vllm25paged_attention_v2_kernelI14__hip_bfloat16S1_Li32ELi16ELi128ELNS_18Fp8KVCacheDataTypeE0ELb1ELi512EEEvPfS3_PT_PKS4_PKT0_SA_ifPKiSC_iPKfiiiSE_SE_iiiii,"axG",@progbits,_ZN4vllm25paged_attention_v2_kernelI14__hip_bfloat16S1_Li32ELi16ELi128ELNS_18Fp8KVCacheDataTypeE0ELb1ELi512EEEvPfS3_PT_PKS4_PKT0_SA_ifPKiSC_iPKfiiiSE_SE_iiiii,comdat
	.protected	_ZN4vllm25paged_attention_v2_kernelI14__hip_bfloat16S1_Li32ELi16ELi128ELNS_18Fp8KVCacheDataTypeE0ELb1ELi512EEEvPfS3_PT_PKS4_PKT0_SA_ifPKiSC_iPKfiiiSE_SE_iiiii ; -- Begin function _ZN4vllm25paged_attention_v2_kernelI14__hip_bfloat16S1_Li32ELi16ELi128ELNS_18Fp8KVCacheDataTypeE0ELb1ELi512EEEvPfS3_PT_PKS4_PKT0_SA_ifPKiSC_iPKfiiiSE_SE_iiiii
	.globl	_ZN4vllm25paged_attention_v2_kernelI14__hip_bfloat16S1_Li32ELi16ELi128ELNS_18Fp8KVCacheDataTypeE0ELb1ELi512EEEvPfS3_PT_PKS4_PKT0_SA_ifPKiSC_iPKfiiiSE_SE_iiiii
	.p2align	8
	.type	_ZN4vllm25paged_attention_v2_kernelI14__hip_bfloat16S1_Li32ELi16ELi128ELNS_18Fp8KVCacheDataTypeE0ELb1ELi512EEEvPfS3_PT_PKS4_PKT0_SA_ifPKiSC_iPKfiiiSE_SE_iiiii,@function
_ZN4vllm25paged_attention_v2_kernelI14__hip_bfloat16S1_Li32ELi16ELi128ELNS_18Fp8KVCacheDataTypeE0ELb1ELi512EEEvPfS3_PT_PKS4_PKT0_SA_ifPKiSC_iPKfiiiSE_SE_iiiii: ; @_ZN4vllm25paged_attention_v2_kernelI14__hip_bfloat16S1_Li32ELi16ELi128ELNS_18Fp8KVCacheDataTypeE0ELb1ELi512EEEvPfS3_PT_PKS4_PKT0_SA_ifPKiSC_iPKfiiiSE_SE_iiiii
; %bb.0:
	s_load_dwordx2 s[6:7], s[0:1], 0x40
	s_mov_b32 s28, s3
	s_ashr_i32 s29, s3, 31
	s_lshl_b64 s[8:9], s[28:29], 2
	s_waitcnt lgkmcnt(0)
	s_add_u32 s6, s6, s8
	s_addc_u32 s7, s7, s9
	s_load_dword s29, s[6:7], 0x0
	s_lshl_b32 s50, s4, 9
	s_waitcnt lgkmcnt(0)
	s_cmp_ge_i32 s50, s29
	s_cbranch_scc1 .LBB153_129
; %bb.1:
	s_load_dword s5, s[0:1], 0x90
	s_load_dwordx2 s[38:39], s[0:1], 0x30
	s_waitcnt lgkmcnt(0)
	s_abs_i32 s7, s5
	s_abs_i32 s3, s38
	v_cvt_f32_u32_e32 v1, s3
	s_sub_i32 s8, 0, s3
	s_xor_b32 s6, s5, s38
	s_ashr_i32 s6, s6, 31
	v_rcp_iflag_f32_e32 v1, v1
	s_nop 0
	v_mul_f32_e32 v1, 0x4f7ffffe, v1
	v_cvt_u32_f32_e32 v1, v1
	s_nop 0
	v_readfirstlane_b32 s9, v1
	s_mul_i32 s8, s8, s9
	s_mul_hi_u32 s8, s9, s8
	s_add_i32 s9, s9, s8
	s_mul_hi_u32 s8, s7, s9
	s_mul_i32 s9, s8, s3
	s_sub_i32 s7, s7, s9
	s_add_i32 s10, s8, 1
	s_sub_i32 s9, s7, s3
	s_cmp_ge_u32 s7, s3
	s_cselect_b32 s8, s10, s8
	s_cselect_b32 s7, s9, s7
	s_add_i32 s9, s8, 1
	s_cmp_ge_u32 s7, s3
	s_cselect_b32 s3, s9, s8
	s_xor_b32 s3, s3, s6
	s_sub_i32 s11, s3, s6
	s_abs_i32 s8, s11
	v_cvt_f32_u32_e32 v1, s8
	s_load_dwordx2 s[6:7], s[0:1], 0x50
	s_sub_i32 s10, 0, s8
	s_abs_i32 s9, s2
	v_rcp_iflag_f32_e32 v1, v1
	s_mov_b32 s3, 0
	v_mul_f32_e32 v1, 0x4f7ffffe, v1
	v_cvt_u32_f32_e32 v1, v1
	s_nop 0
	v_readfirstlane_b32 s12, v1
	s_mul_i32 s10, s10, s12
	s_mul_hi_u32 s10, s12, s10
	s_add_i32 s12, s12, s10
	s_waitcnt lgkmcnt(0)
	s_cmp_eq_u64 s[6:7], 0
	s_mul_hi_u32 s10, s9, s12
	s_cbranch_scc1 .LBB153_3
; %bb.2:
	s_ashr_i32 s3, s2, 31
	s_lshl_b64 s[12:13], s[2:3], 2
	s_add_u32 s6, s6, s12
	s_addc_u32 s7, s7, s13
	s_load_dword s3, s[6:7], 0x0
.LBB153_3:
	s_load_dwordx4 s[12:15], s[0:1], 0x58
	s_ashr_i32 s16, s2, 31
	s_ashr_i32 s11, s11, 31
	v_and_b32_e32 v4, 3, v0
	s_lshl_b32 s24, s2, 5
	v_cmp_gt_u32_e32 vcc, 16, v0
	s_and_saveexec_b64 s[6:7], vcc
	s_cbranch_execz .LBB153_5
; %bb.4:
	s_load_dwordx2 s[18:19], s[0:1], 0x18
	s_waitcnt lgkmcnt(0)
	s_mul_i32 s20, s28, s12
	s_ashr_i32 s21, s20, 31
	s_lshl_b64 s[20:21], s[20:21], 1
	v_lshlrev_b32_e32 v1, 2, v0
	s_add_u32 s12, s18, s20
	s_addc_u32 s15, s19, s21
	s_ashr_i32 s25, s24, 31
	s_lshl_b64 s[18:19], s[24:25], 1
	s_add_u32 s18, s12, s18
	s_addc_u32 s19, s15, s19
	global_load_dword v1, v1, s[18:19]
	v_and_b32_e32 v2, 0x3fc, v0
	v_lshl_add_u32 v2, v4, 4, v2
	s_waitcnt vmcnt(0)
	ds_write_b32 v2, v1
.LBB153_5:
	s_or_b64 exec, exec, s[6:7]
	s_mul_i32 s7, s10, s8
	s_sub_i32 s7, s9, s7
	s_xor_b32 s6, s16, s11
	s_add_i32 s9, s10, 1
	s_sub_i32 s11, s7, s8
	s_load_dwordx4 s[16:19], s[0:1], 0x78
	s_cmp_ge_u32 s7, s8
	s_cselect_b32 s9, s9, s10
	s_cselect_b32 s7, s11, s7
	s_load_dword s11, s[0:1], 0x88
	s_add_i32 s10, s9, 1
	s_cmp_ge_u32 s7, s8
	s_cselect_b32 s7, s10, s9
	s_waitcnt lgkmcnt(0)
	s_abs_i32 s25, s19
	v_cvt_f32_u32_e32 v1, s25
	s_xor_b32 s7, s7, s6
	s_sub_i32 s8, s7, s6
	s_sub_i32 s6, 0, s25
	v_rcp_iflag_f32_e32 v1, v1
	s_add_i32 s12, s29, -1
	s_abs_i32 s9, s12
	v_mul_f32_e32 v1, 0x4f7ffffe, v1
	v_cvt_u32_f32_e32 v1, v1
	s_barrier
	v_readfirstlane_b32 s33, v1
	s_mul_i32 s6, s6, s33
	s_mul_hi_u32 s6, s33, s6
	s_add_i32 s33, s33, s6
	s_cmp_lt_i32 s11, 0
	s_mul_hi_u32 s10, s9, s33
	s_cbranch_scc0 .LBB153_7
; %bb.6:
	s_mul_i32 s6, s16, s38
	s_add_i32 s6, s8, s6
	s_mul_i32 s6, s6, s11
	s_sub_i32 s46, 1, s6
	s_mov_b64 s[6:7], 0
	s_branch .LBB153_8
.LBB153_7:
	s_mov_b64 s[6:7], -1
                                        ; implicit-def: $sgpr46
.LBB153_8:
	s_load_dwordx2 s[30:31], s[0:1], 0x38
	s_ashr_i32 s12, s12, 31
	s_andn2_b64 vcc, exec, s[6:7]
	s_ashr_i32 s19, s19, 31
	s_cbranch_vccnz .LBB153_10
; %bb.9:
	s_mul_i32 s6, s5, s16
	s_add_i32 s6, s6, s2
	s_mul_i32 s6, s6, s11
	s_add_i32 s46, s6, 1
.LBB153_10:
	s_load_dword s6, s[0:1], 0x48
	s_load_dwordx2 s[36:37], s[0:1], 0x28
	s_load_dword s16, s[0:1], 0x98
	s_load_dwordx4 s[20:23], s[0:1], 0x0
	s_load_dwordx2 s[26:27], s[0:1], 0x10
	s_mul_i32 s7, s10, s25
	s_waitcnt lgkmcnt(0)
	s_mul_i32 s34, s28, s6
	s_sub_i32 s7, s9, s7
	s_ashr_i32 s35, s34, 31
	s_xor_b32 s6, s12, s19
	s_add_i32 s9, s10, 1
	s_sub_i32 s11, s7, s25
	s_cmp_ge_u32 s7, s25
	s_cselect_b32 s9, s9, s10
	s_cselect_b32 s7, s11, s7
	s_add_i32 s10, s9, 1
	s_cmp_ge_u32 s7, s25
	s_cselect_b32 s7, s10, s9
	s_xor_b32 s7, s7, s6
	s_sub_i32 s49, s7, s6
	s_add_i32 s6, s29, 15
	s_ashr_i32 s7, s6, 31
	s_lshr_b32 s7, s7, 28
	s_add_i32 s6, s6, s7
	s_lshl_b32 s12, s4, 5
	s_ashr_i32 s48, s6, 4
	s_add_i32 s6, s12, 32
	v_lshrrev_b32_e32 v6, 6, v0
	s_min_i32 s47, s6, s48
	v_or_b32_e32 v10, s12, v6
	v_cmp_gt_i32_e64 s[6:7], s47, v10
	v_mov_b32_e32 v12, 0xff7fffff
	s_mul_i32 s14, s8, s14
	v_ashrrev_i32_e32 v11, 31, v10
	v_lshl_add_u32 v1, v6, 4, s50
	v_mbcnt_lo_u32_b32 v7, -1, 0
	s_and_saveexec_b64 s[40:41], s[6:7]
	s_cbranch_execz .LBB153_20
; %bb.11:
	s_load_dwordx2 s[0:1], s[0:1], 0x20
	s_ashr_i32 s15, s14, 31
	s_sub_i32 s38, s49, s17
	s_lshl_b64 s[8:9], s[14:15], 1
	v_bfe_u32 v8, v0, 2, 4
	s_waitcnt lgkmcnt(0)
	s_add_u32 s0, s0, s8
	s_addc_u32 s1, s1, s9
	s_abs_i32 s15, s18
	v_cvt_f32_u32_e32 v5, s15
	v_lshlrev_b32_e32 v2, 4, v8
	v_mov_b32_e32 v3, 0
	v_lshl_add_u64 v[12:13], s[0:1], 0, v[2:3]
	v_rcp_iflag_f32_e32 v5, v5
	v_lshlrev_b32_e32 v2, 2, v0
	v_and_b32_e32 v2, 12, v2
	v_lshl_add_u64 v[2:3], v[12:13], 0, v[2:3]
	v_mul_f32_e32 v5, 0x4f7ffffe, v5
	v_cvt_u32_f32_e32 v5, v5
	s_sub_i32 s8, 0, s15
	v_lshlrev_b32_e32 v12, 2, v8
	v_cmp_eq_u32_e32 vcc, 0, v4
	v_lshlrev_b32_e32 v9, 4, v4
	v_mul_lo_u32 v4, s8, v5
	s_lshl_b64 s[8:9], s[34:35], 2
	v_lshl_or_b32 v12, v6, 6, v12
	s_add_u32 s8, s30, s8
	v_add_u32_e32 v15, 0x50, v12
	v_subrev_u32_e32 v12, s29, v8
	v_mbcnt_hi_u32_b32 v18, -1, v7
	v_mul_hi_u32 v4, v5, v4
	s_addc_u32 s9, s31, s9
	v_add_u32_e32 v16, 1, v12
	v_and_b32_e32 v12, 64, v18
	s_mov_b32 s51, s13
	v_cmp_neq_f32_e64 s[0:1], s3, 0
	v_add_u32_e32 v13, v5, v4
	v_lshl_add_u64 v[4:5], v[10:11], 2, s[8:9]
	v_lshl_add_u32 v14, v6, 4, s50
	s_mov_b64 s[42:43], 0
	v_mov_b32_e32 v17, 0xff7fffff
	v_add_u32_e32 v19, 64, v12
	v_xor_b32_e32 v20, 2, v18
	v_xor_b32_e32 v21, 1, v18
	v_mov_b32_e32 v12, 0xff7fffff
	v_mov_b32_e32 v22, v10
	s_branch .LBB153_14
.LBB153_12:                             ;   in Loop: Header=BB153_14 Depth=1
	s_or_b64 exec, exec, s[44:45]
.LBB153_13:                             ;   in Loop: Header=BB153_14 Depth=1
	s_or_b64 exec, exec, s[10:11]
	v_add_u32_e32 v22, 2, v22
	v_cmp_le_i32_e64 s[8:9], s47, v22
	v_lshl_add_u64 v[4:5], v[4:5], 0, 8
	v_add_u32_e32 v14, 32, v14
	s_or_b64 s[42:43], s[8:9], s[42:43]
	v_add_u32_e32 v15, 0x80, v15
	s_andn2_b64 exec, exec, s[42:43]
	s_cbranch_execz .LBB153_19
.LBB153_14:                             ; =>This Inner Loop Header: Depth=1
	s_waitcnt lgkmcnt(0)
	v_sub_u32_e32 v24, 0, v14
	v_max_i32_e32 v24, v14, v24
	v_mul_hi_u32 v25, v24, s33
	v_mul_lo_u32 v26, v25, s25
	v_sub_u32_e32 v24, v24, v26
	v_add_u32_e32 v26, 1, v25
	v_cmp_le_u32_e64 s[8:9], s25, v24
	v_ashrrev_i32_e32 v23, 31, v14
	v_xor_b32_e32 v23, s19, v23
	v_cndmask_b32_e64 v25, v25, v26, s[8:9]
	v_subrev_u32_e32 v26, s25, v24
	v_cndmask_b32_e64 v24, v24, v26, s[8:9]
	v_add_u32_e32 v26, 1, v25
	v_cmp_le_u32_e64 s[8:9], s25, v24
	s_nop 1
	v_cndmask_b32_e64 v24, v25, v26, s[8:9]
	v_xor_b32_e32 v24, v24, v23
	v_sub_u32_e32 v23, v24, v23
	v_add_u32_e32 v24, s46, v23
	v_sub_u32_e32 v26, 0, v24
	v_ashrrev_i32_e32 v25, 31, v24
	v_max_i32_e32 v24, v24, v26
	v_mul_hi_u32 v26, v24, v13
	v_mul_lo_u32 v26, v26, s15
	v_sub_u32_e32 v24, v24, v26
	v_subrev_u32_e32 v26, s15, v24
	v_cmp_le_u32_e64 s[8:9], s15, v24
	v_cmp_ge_i32_e64 s[10:11], s38, v23
	s_nop 0
	v_cndmask_b32_e64 v24, v24, v26, s[8:9]
	v_subrev_u32_e32 v26, s15, v24
	v_cmp_le_u32_e64 s[8:9], s15, v24
	s_nop 1
	v_cndmask_b32_e64 v24, v24, v26, s[8:9]
	v_xor_b32_e32 v24, v24, v25
	v_sub_u32_e32 v24, v24, v25
	v_cmp_ne_u32_e64 s[8:9], 0, v24
	s_and_b64 s[8:9], s[8:9], s[10:11]
	s_and_b64 s[44:45], vcc, s[8:9]
	s_and_saveexec_b64 s[10:11], s[44:45]
	s_cbranch_execz .LBB153_16
; %bb.15:                               ;   in Loop: Header=BB153_14 Depth=1
	ds_write_b32 v15, v17
.LBB153_16:                             ;   in Loop: Header=BB153_14 Depth=1
	s_or_b64 exec, exec, s[10:11]
	s_xor_b64 s[8:9], s[8:9], -1
	s_and_saveexec_b64 s[10:11], s[8:9]
	s_cbranch_execz .LBB153_13
; %bb.17:                               ;   in Loop: Header=BB153_14 Depth=1
	global_load_dword v23, v[4:5], off
	s_waitcnt vmcnt(0)
	v_mad_i64_i32 v[24:25], s[8:9], v23, s51, 0
	v_lshl_add_u64 v[24:25], v[24:25], 1, v[2:3]
	global_load_dword v23, v[24:25], off
	global_load_dword v28, v[24:25], off offset:256
	global_load_dword v29, v[24:25], off offset:512
	;; [unrolled: 1-line block ×3, first 2 shown]
	ds_read_b128 v[24:27], v9
	v_cmp_lt_i32_e64 s[8:9], v20, v19
	s_waitcnt lgkmcnt(0)
	v_lshlrev_b32_e32 v33, 16, v25
	v_and_b32_e32 v25, 0xffff0000, v25
	v_lshlrev_b32_e32 v32, 16, v24
	v_and_b32_e32 v24, 0xffff0000, v24
	;; [unrolled: 2-line block ×4, first 2 shown]
	v_cndmask_b32_e64 v31, v18, v20, s[8:9]
	v_lshlrev_b32_e32 v31, 2, v31
	v_cmp_lt_i32_e64 s[8:9], v21, v19
	s_waitcnt vmcnt(3)
	v_lshlrev_b32_e32 v36, 16, v23
	s_waitcnt vmcnt(2)
	v_lshlrev_b32_e32 v37, 16, v28
	v_and_b32_e32 v28, 0xffff0000, v28
	v_and_b32_e32 v23, 0xffff0000, v23
	v_mul_f32_e32 v33, v33, v37
	v_mul_f32_e32 v25, v25, v28
	s_waitcnt vmcnt(1)
	v_lshlrev_b32_e32 v38, 16, v29
	v_and_b32_e32 v29, 0xffff0000, v29
	v_fmac_f32_e32 v33, v32, v36
	v_fmac_f32_e32 v25, v24, v23
	s_waitcnt vmcnt(0)
	v_lshlrev_b32_e32 v39, 16, v30
	v_and_b32_e32 v30, 0xffff0000, v30
	v_fmac_f32_e32 v33, v34, v38
	v_fmac_f32_e32 v25, v26, v29
	;; [unrolled: 1-line block ×4, first 2 shown]
	v_add_f32_e32 v23, v33, v25
	ds_bpermute_b32 v24, v31, v23
	v_cndmask_b32_e64 v25, v18, v21, s[8:9]
	v_lshlrev_b32_e32 v25, 2, v25
	s_waitcnt lgkmcnt(0)
	v_add_f32_e32 v23, v23, v24
	ds_bpermute_b32 v24, v25, v23
	s_and_saveexec_b64 s[44:45], vcc
	s_cbranch_execz .LBB153_12
; %bb.18:                               ;   in Loop: Header=BB153_14 Depth=1
	v_add_u32_e32 v25, v16, v14
	v_cvt_f32_i32_e32 v25, v25
	s_waitcnt lgkmcnt(0)
	v_add_f32_e32 v23, v23, v24
	v_add_u32_e32 v26, v8, v14
	v_cmp_gt_i32_e64 s[8:9], s29, v26
	v_mul_f32_e32 v24, s3, v25
	v_cndmask_b32_e64 v24, 0, v24, s[0:1]
	v_fmac_f32_e32 v24, s39, v23
	v_cndmask_b32_e64 v23, 0, v24, s[8:9]
	ds_write_b32 v15, v23
	v_max_f32_e32 v23, v12, v12
	v_max_f32_e32 v23, v23, v24
	v_cndmask_b32_e64 v12, v12, v23, s[8:9]
	s_branch .LBB153_12
.LBB153_19:
	s_or_b64 exec, exec, s[42:43]
.LBB153_20:
	s_or_b64 exec, exec, s[40:41]
	v_mbcnt_hi_u32_b32 v2, -1, v7
	v_and_b32_e32 v3, 64, v2
	v_add_u32_e32 v3, 64, v3
	v_xor_b32_e32 v4, 32, v2
	v_cmp_lt_i32_e32 vcc, v4, v3
	v_xor_b32_e32 v8, 16, v2
	v_max_f32_e32 v7, v12, v12
	v_cndmask_b32_e32 v4, v2, v4, vcc
	v_lshlrev_b32_e32 v5, 2, v4
	ds_bpermute_b32 v4, v5, v12
	v_cmp_lt_i32_e32 vcc, v8, v3
	v_xor_b32_e32 v9, 8, v2
	v_and_b32_e32 v18, 63, v0
	s_waitcnt lgkmcnt(0)
	v_max_f32_e32 v4, v4, v4
	v_max_f32_e32 v4, v7, v4
	v_cndmask_b32_e32 v7, v2, v8, vcc
	v_lshlrev_b32_e32 v7, 2, v7
	ds_bpermute_b32 v8, v7, v4
	v_cmp_lt_i32_e32 vcc, v9, v3
	s_waitcnt lgkmcnt(0)
	v_max_f32_e32 v8, v8, v8
	v_max_f32_e32 v4, v4, v8
	v_cndmask_b32_e32 v8, v2, v9, vcc
	v_lshlrev_b32_e32 v12, 2, v8
	ds_bpermute_b32 v8, v12, v4
	v_xor_b32_e32 v9, 4, v2
	v_cmp_lt_i32_e32 vcc, v9, v3
	s_waitcnt lgkmcnt(0)
	v_max_f32_e32 v8, v8, v8
	v_max_f32_e32 v4, v4, v8
	v_cndmask_b32_e32 v8, v2, v9, vcc
	v_lshlrev_b32_e32 v13, 2, v8
	ds_bpermute_b32 v9, v13, v4
	v_cmp_eq_u32_e32 vcc, 0, v18
	v_lshlrev_b32_e32 v8, 2, v6
	s_and_saveexec_b64 s[0:1], vcc
	s_cbranch_execz .LBB153_22
; %bb.21:
	s_waitcnt lgkmcnt(0)
	v_max_f32_e32 v9, v9, v9
	v_max_f32_e32 v4, v4, v4
	;; [unrolled: 1-line block ×3, first 2 shown]
	ds_write_b32 v8, v4 offset:64
.LBB153_22:
	s_or_b64 exec, exec, s[0:1]
	v_cmp_gt_u32_e64 s[0:1], 2, v18
	v_mov_b32_e32 v4, 0xff7fffff
	s_waitcnt lgkmcnt(0)
	v_lshlrev_b32_e32 v9, 2, v18
	s_barrier
	s_and_saveexec_b64 s[8:9], s[0:1]
	s_cbranch_execz .LBB153_24
; %bb.23:
	ds_read_b32 v4, v9 offset:64
.LBB153_24:
	s_or_b64 exec, exec, s[8:9]
	v_xor_b32_e32 v14, 1, v2
	v_cmp_lt_i32_e64 s[8:9], v14, v3
	s_sub_i32 s3, s47, s12
	s_lshl_b32 s3, s3, 4
	v_cndmask_b32_e64 v14, v2, v14, s[8:9]
	v_lshlrev_b32_e32 v19, 2, v14
	s_waitcnt lgkmcnt(0)
	ds_bpermute_b32 v14, v19, v4
	v_max_f32_e32 v4, v4, v4
	s_add_i32 s3, s3, s50
	s_min_i32 s15, s3, s29
	s_sub_i32 s3, s15, s50
	s_waitcnt lgkmcnt(0)
	v_max_f32_e32 v14, v14, v14
	v_max_f32_e32 v4, v4, v14
	v_lshlrev_b32_e32 v14, 2, v2
	v_and_b32_e32 v14, 0x100, v14
	ds_bpermute_b32 v4, v14, v4
	v_cmp_gt_i32_e64 s[8:9], s3, v0
	v_mov_b32_e32 v15, 0
	s_and_saveexec_b64 s[38:39], s[8:9]
	s_cbranch_execz .LBB153_28
; %bb.25:
	v_mov_b32_e32 v15, 0x50
	v_lshl_add_u32 v16, v0, 2, v15
	s_mov_b64 s[40:41], 0
	v_mov_b32_e32 v15, 0
	v_mov_b32_e32 v17, v0
.LBB153_26:                             ; =>This Inner Loop Header: Depth=1
	ds_read_b32 v20, v16
	v_add_u32_e32 v17, 0x80, v17
	v_cmp_le_i32_e64 s[10:11], s3, v17
	s_or_b64 s[40:41], s[10:11], s[40:41]
	s_waitcnt lgkmcnt(0)
	v_sub_f32_e32 v20, v20, v4
	v_mul_f32_e32 v20, 0x3fb8aa3b, v20
	v_exp_f32_e32 v20, v20
	ds_write_b32 v16, v20
	v_add_f32_e32 v15, v15, v20
	v_add_u32_e32 v16, 0x200, v16
	s_andn2_b64 exec, exec, s[40:41]
	s_cbranch_execnz .LBB153_26
; %bb.27:
	s_or_b64 exec, exec, s[40:41]
.LBB153_28:
	s_or_b64 exec, exec, s[38:39]
	ds_bpermute_b32 v5, v5, v15
	s_waitcnt lgkmcnt(0)
	v_add_f32_e32 v5, v15, v5
	ds_bpermute_b32 v7, v7, v5
	s_waitcnt lgkmcnt(0)
	v_add_f32_e32 v5, v5, v7
	ds_bpermute_b32 v7, v12, v5
	v_xor_b32_e32 v12, 2, v2
	v_cmp_lt_i32_e64 s[10:11], v12, v3
	s_waitcnt lgkmcnt(0)
	v_add_f32_e32 v5, v5, v7
	ds_bpermute_b32 v7, v13, v5
	v_cndmask_b32_e64 v2, v2, v12, s[10:11]
	v_lshlrev_b32_e32 v2, 2, v2
	s_waitcnt lgkmcnt(0)
	v_add_f32_e32 v3, v5, v7
	ds_bpermute_b32 v2, v2, v3
	s_waitcnt lgkmcnt(0)
	v_add_f32_e32 v2, v3, v2
	ds_bpermute_b32 v3, v19, v2
	s_waitcnt lgkmcnt(0)
	v_add_f32_e32 v2, v2, v3
	s_and_saveexec_b64 s[10:11], vcc
	s_cbranch_execz .LBB153_30
; %bb.29:
	ds_write_b32 v8, v2 offset:72
.LBB153_30:
	s_or_b64 exec, exec, s[10:11]
	s_waitcnt lgkmcnt(0)
	s_barrier
	s_and_saveexec_b64 s[10:11], s[0:1]
	s_cbranch_execz .LBB153_32
; %bb.31:
	ds_read_b32 v2, v9 offset:72
.LBB153_32:
	s_or_b64 exec, exec, s[10:11]
	s_waitcnt lgkmcnt(0)
	ds_bpermute_b32 v3, v19, v2
	s_waitcnt lgkmcnt(0)
	v_add_f32_e32 v2, v2, v3
	ds_bpermute_b32 v5, v14, v2
	s_and_saveexec_b64 s[0:1], s[8:9]
	s_cbranch_execz .LBB153_45
; %bb.33:
	s_waitcnt lgkmcnt(0)
	v_add_f32_e32 v2, 0x358637bd, v5
	v_div_scale_f32 v3, s[8:9], v2, v2, 1.0
	v_rcp_f32_e32 v7, v3
	v_div_scale_f32 v8, vcc, 1.0, v2, 1.0
	s_movk_i32 s8, 0x7f
	v_fma_f32 v9, -v3, v7, 1.0
	v_fmac_f32_e32 v7, v9, v7
	v_mul_f32_e32 v9, v8, v7
	v_fma_f32 v12, -v3, v9, v8
	v_fmac_f32_e32 v9, v12, v7
	v_fma_f32 v3, -v3, v9, v8
	v_div_fmas_f32 v3, v3, v7, v9
	v_div_fixup_f32 v2, v3, v2, 1.0
	v_xad_u32 v3, v0, -1, s15
	v_subrev_u32_e32 v7, s50, v3
	v_cmp_lt_u32_e32 vcc, s8, v7
	s_mov_b64 s[10:11], -1
	v_mov_b32_e32 v3, v0
	s_and_saveexec_b64 s[8:9], vcc
	s_cbranch_execz .LBB153_42
; %bb.34:
	v_lshrrev_b32_e32 v7, 7, v7
	v_add_u32_e32 v9, -1, v7
	v_lshrrev_b32_e32 v8, 1, v9
	v_mov_b32_e32 v3, v2
	v_add_u32_e32 v8, 1, v8
	v_cmp_lt_u32_e32 vcc, 13, v9
	v_mov_b32_e32 v13, 0
	s_and_saveexec_b64 s[10:11], vcc
	s_cbranch_execz .LBB153_38
; %bb.35:
	v_mov_b32_e32 v12, 0x50
	v_and_b32_e32 v9, -8, v8
	v_lshl_add_u32 v12, v0, 2, v12
	s_mov_b32 s15, 0
	s_mov_b64 s[38:39], 0
.LBB153_36:                             ; =>This Inner Loop Header: Depth=1
	ds_read2st64_b32 v[14:15], v12 offset1:2
	ds_read2st64_b32 v[16:17], v12 offset0:4 offset1:6
	ds_read2st64_b32 v[20:21], v12 offset0:8 offset1:10
	;; [unrolled: 1-line block ×3, first 2 shown]
	v_add_u32_e32 v9, -8, v9
	s_waitcnt lgkmcnt(3)
	v_pk_mul_f32 v[14:15], v[2:3], v[14:15]
	s_waitcnt lgkmcnt(2)
	v_pk_mul_f32 v[16:17], v[2:3], v[16:17]
	ds_write2st64_b32 v12, v14, v15 offset1:2
	ds_write2st64_b32 v12, v16, v17 offset0:4 offset1:6
	ds_read2st64_b32 v[16:17], v12 offset0:16 offset1:18
	s_waitcnt lgkmcnt(4)
	v_pk_mul_f32 v[14:15], v[2:3], v[20:21]
	ds_write2st64_b32 v12, v14, v15 offset0:8 offset1:10
	s_waitcnt lgkmcnt(4)
	v_pk_mul_f32 v[14:15], v[2:3], v[22:23]
	ds_write2st64_b32 v12, v14, v15 offset0:12 offset1:14
	ds_read2st64_b32 v[14:15], v12 offset0:20 offset1:22
	s_waitcnt lgkmcnt(3)
	v_pk_mul_f32 v[16:17], v[2:3], v[16:17]
	ds_read2st64_b32 v[20:21], v12 offset0:24 offset1:26
	ds_write2st64_b32 v12, v16, v17 offset0:16 offset1:18
	ds_read2st64_b32 v[16:17], v12 offset0:28 offset1:30
	s_waitcnt lgkmcnt(3)
	v_pk_mul_f32 v[14:15], v[2:3], v[14:15]
	ds_write2st64_b32 v12, v14, v15 offset0:20 offset1:22
	s_waitcnt lgkmcnt(3)
	v_pk_mul_f32 v[14:15], v[2:3], v[20:21]
	ds_write2st64_b32 v12, v14, v15 offset0:24 offset1:26
	s_waitcnt lgkmcnt(2)
	v_pk_mul_f32 v[14:15], v[2:3], v[16:17]
	s_add_i32 s15, s15, 16
	v_cmp_eq_u32_e32 vcc, 0, v9
	ds_write2st64_b32 v12, v14, v15 offset0:28 offset1:30
	v_add_u32_e32 v12, 0x2000, v12
	s_or_b64 s[38:39], vcc, s[38:39]
	v_mov_b32_e32 v13, s15
	s_andn2_b64 exec, exec, s[38:39]
	s_cbranch_execnz .LBB153_36
; %bb.37:
	s_or_b64 exec, exec, s[38:39]
.LBB153_38:
	s_or_b64 exec, exec, s[10:11]
	v_and_b32_e32 v8, 7, v8
	v_cmp_ne_u32_e32 vcc, 0, v8
	s_and_saveexec_b64 s[10:11], vcc
	s_cbranch_execz .LBB153_41
; %bb.39:
	v_lshlrev_b32_e32 v9, 9, v13
	v_lshlrev_b32_e32 v12, 2, v0
	s_movk_i32 s15, 0x50
	v_add3_u32 v9, v9, v12, s15
	s_mov_b64 s[38:39], 0
.LBB153_40:                             ; =>This Inner Loop Header: Depth=1
	ds_read2st64_b32 v[12:13], v9 offset1:2
	v_add_u32_e32 v8, -1, v8
	v_cmp_eq_u32_e32 vcc, 0, v8
	s_or_b64 s[38:39], vcc, s[38:39]
	s_waitcnt lgkmcnt(0)
	v_pk_mul_f32 v[12:13], v[2:3], v[12:13]
	ds_write2st64_b32 v9, v12, v13 offset1:2
	v_add_u32_e32 v9, 0x400, v9
	s_andn2_b64 exec, exec, s[38:39]
	s_cbranch_execnz .LBB153_40
.LBB153_41:
	s_or_b64 exec, exec, s[10:11]
	v_add_u32_e32 v7, 1, v7
	v_and_b32_e32 v8, 0x3fffffe, v7
	v_cmp_ne_u32_e32 vcc, v7, v8
	v_lshl_add_u32 v3, v8, 7, v0
	s_orn2_b64 s[10:11], vcc, exec
.LBB153_42:
	s_or_b64 exec, exec, s[8:9]
	s_and_b64 exec, exec, s[10:11]
	s_cbranch_execz .LBB153_45
; %bb.43:
	v_mov_b32_e32 v7, 0x50
	v_lshl_add_u32 v7, v3, 2, v7
	s_mov_b64 s[8:9], 0
.LBB153_44:                             ; =>This Inner Loop Header: Depth=1
	ds_read_b32 v8, v7
	v_add_u32_e32 v3, 0x80, v3
	v_cmp_le_i32_e32 vcc, s3, v3
	s_or_b64 s[8:9], vcc, s[8:9]
	s_waitcnt lgkmcnt(0)
	v_mul_f32_e32 v8, v2, v8
	ds_write_b32 v7, v8
	v_add_u32_e32 v7, 0x200, v7
	s_andn2_b64 exec, exec, s[8:9]
	s_cbranch_execnz .LBB153_44
.LBB153_45:
	s_or_b64 exec, exec, s[0:1]
	s_mul_i32 s0, s16, s28
	v_cmp_eq_u32_e32 vcc, 0, v0
	s_mul_i32 s8, s0, s5
	s_waitcnt lgkmcnt(0)
	s_barrier
	s_and_saveexec_b64 s[0:1], vcc
	s_cbranch_execz .LBB153_47
; %bb.46:
	s_ashr_i32 s9, s8, 31
	s_lshl_b64 s[10:11], s[8:9], 2
	s_add_u32 s5, s22, s10
	s_mul_i32 s2, s16, s2
	s_addc_u32 s9, s23, s11
	s_ashr_i32 s3, s2, 31
	s_lshl_b64 s[2:3], s[2:3], 2
	s_add_u32 s15, s5, s2
	s_addc_u32 s9, s9, s3
	s_ashr_i32 s5, s4, 31
	s_lshl_b64 s[4:5], s[4:5], 2
	s_add_u32 s22, s15, s4
	s_addc_u32 s23, s9, s5
	s_add_u32 s9, s20, s10
	s_addc_u32 s10, s21, s11
	;; [unrolled: 2-line block ×3, first 2 shown]
	s_add_u32 s2, s2, s4
	v_mov_b32_e32 v2, 0
	s_addc_u32 s3, s3, s5
	global_store_dword v2, v4, s[22:23]
	global_store_dword v2, v5, s[2:3]
.LBB153_47:
	s_or_b64 exec, exec, s[0:1]
	v_mov_b32_e32 v12, 0
	s_and_saveexec_b64 s[2:3], s[6:7]
	s_cbranch_execz .LBB153_119
; %bb.48:
	s_ashr_i32 s15, s14, 31
	s_sub_i32 s9, s49, s17
	s_lshl_b64 s[0:1], s[14:15], 1
	s_add_u32 s0, s36, s0
	s_addc_u32 s1, s37, s1
	s_abs_i32 s10, s18
	v_cvt_f32_u32_e32 v2, s10
	v_lshlrev_b32_e32 v3, 3, v0
	v_and_b32_e32 v20, 8, v3
	v_lshlrev_b32_e32 v3, 4, v0
	v_rcp_iflag_f32_e32 v2, v2
	v_and_b32_e32 v12, 0x3f0, v3
	v_mov_b32_e32 v13, 0
	v_lshl_add_u64 v[14:15], s[0:1], 0, v[12:13]
	v_mul_f32_e32 v2, 0x4f7ffffe, v2
	v_cvt_u32_f32_e32 v2, v2
	s_sub_i32 s0, 0, s10
	s_add_i32 s48, s48, -1
	s_mov_b32 s11, s13
	v_mul_lo_u32 v3, s0, v2
	v_mul_hi_u32 v3, v2, v3
	v_add_u32_e32 v21, v2, v3
	s_lshl_b64 s[0:1], s[34:35], 2
	v_and_b32_e32 v2, 1, v0
	s_add_u32 s0, s30, s0
	v_lshlrev_b32_e32 v2, 5, v2
	s_addc_u32 s1, s31, s1
	v_lshl_or_b32 v2, v6, 6, v2
	v_lshl_add_u64 v[16:17], v[10:11], 2, s[0:1]
	v_add_u32_e32 v11, 0x50, v2
	s_mov_b64 s[4:5], 0
	s_mov_b32 s13, 0x7f800000
	s_movk_i32 s14, 0x7fff
	v_mov_b32_e32 v12, 0
	s_branch .LBB153_51
.LBB153_49:                             ;   in Loop: Header=BB153_51 Depth=1
	s_or_b64 exec, exec, s[6:7]
	v_and_b32_e32 v6, 0xffff0000, v8
	v_and_b32_e32 v9, 0xffff0000, v22
	;; [unrolled: 1-line block ×8, first 2 shown]
	v_pk_add_f32 v[2:3], v[2:3], v[8:9]
	v_pk_add_f32 v[4:5], v[4:5], v[6:7]
	v_add_f32_e32 v2, v2, v3
	v_add_f32_e32 v2, v2, v4
	;; [unrolled: 1-line block ×4, first 2 shown]
.LBB153_50:                             ;   in Loop: Header=BB153_51 Depth=1
	s_or_b64 exec, exec, s[0:1]
	v_add_u32_e32 v10, 2, v10
	v_cmp_le_i32_e32 vcc, s47, v10
	v_lshl_add_u64 v[16:17], v[16:17], 0, 8
	v_add_u32_e32 v1, 32, v1
	s_or_b64 s[4:5], vcc, s[4:5]
	v_add_u32_e32 v11, 0x80, v11
	s_andn2_b64 exec, exec, s[4:5]
	s_cbranch_execz .LBB153_118
.LBB153_51:                             ; =>This Inner Loop Header: Depth=1
	v_sub_u32_e32 v3, 0, v1
	v_max_i32_e32 v3, v1, v3
	v_mul_hi_u32 v4, v3, s33
	v_mul_lo_u32 v5, v4, s25
	v_sub_u32_e32 v3, v3, v5
	v_add_u32_e32 v5, 1, v4
	v_cmp_le_u32_e32 vcc, s25, v3
	v_ashrrev_i32_e32 v2, 31, v1
	v_xor_b32_e32 v2, s19, v2
	v_cndmask_b32_e32 v4, v4, v5, vcc
	v_subrev_u32_e32 v5, s25, v3
	v_cndmask_b32_e32 v3, v3, v5, vcc
	v_add_u32_e32 v5, 1, v4
	v_cmp_le_u32_e32 vcc, s25, v3
	s_nop 1
	v_cndmask_b32_e32 v3, v4, v5, vcc
	v_xor_b32_e32 v3, v3, v2
	v_sub_u32_e32 v2, v3, v2
	v_add_u32_e32 v3, s46, v2
	v_sub_u32_e32 v5, 0, v3
	v_ashrrev_i32_e32 v4, 31, v3
	v_max_i32_e32 v3, v3, v5
	v_mul_hi_u32 v5, v3, v21
	v_mul_lo_u32 v5, v5, s10
	v_sub_u32_e32 v3, v3, v5
	v_subrev_u32_e32 v5, s10, v3
	v_cmp_le_u32_e32 vcc, s10, v3
	v_cmp_lt_i32_e64 s[0:1], s9, v2
	s_nop 0
	v_cndmask_b32_e32 v3, v3, v5, vcc
	v_subrev_u32_e32 v5, s10, v3
	v_cmp_le_u32_e32 vcc, s10, v3
	s_nop 1
	v_cndmask_b32_e32 v3, v3, v5, vcc
	v_xor_b32_e32 v3, v3, v4
	v_sub_u32_e32 v3, v3, v4
	v_cmp_eq_u32_e32 vcc, 0, v3
	s_or_b64 s[6:7], vcc, s[0:1]
	s_and_saveexec_b64 s[0:1], s[6:7]
	s_cbranch_execz .LBB153_50
; %bb.52:                               ;   in Loop: Header=BB153_51 Depth=1
	global_load_dword v26, v[16:17], off
	ds_read2_b64 v[6:9], v11 offset1:1
	ds_read2_b64 v[2:5], v11 offset0:2 offset1:3
                                        ; implicit-def: $vgpr25
	s_waitcnt lgkmcnt(1)
	v_and_b32_e32 v22, 0x7f800000, v6
	v_cmp_ne_u32_e32 vcc, s13, v22
	s_and_saveexec_b64 s[6:7], vcc
	s_xor_b64 s[6:7], exec, s[6:7]
; %bb.53:                               ;   in Loop: Header=BB153_51 Depth=1
	v_bfe_u32 v22, v6, 16, 1
	v_add3_u32 v25, v6, v22, s14
; %bb.54:                               ;   in Loop: Header=BB153_51 Depth=1
	s_andn2_saveexec_b64 s[6:7], s[6:7]
; %bb.55:                               ;   in Loop: Header=BB153_51 Depth=1
	v_or_b32_e32 v22, 0x10000, v6
	v_cmp_eq_u32_sdwa vcc, v6, v13 src0_sel:WORD_0 src1_sel:DWORD
	s_nop 1
	v_cndmask_b32_e32 v25, v22, v6, vcc
; %bb.56:                               ;   in Loop: Header=BB153_51 Depth=1
	s_or_b64 exec, exec, s[6:7]
	v_and_b32_e32 v6, 0x7f800000, v7
	v_cmp_ne_u32_e32 vcc, s13, v6
                                        ; implicit-def: $vgpr24
	s_and_saveexec_b64 s[6:7], vcc
	s_xor_b64 s[6:7], exec, s[6:7]
; %bb.57:                               ;   in Loop: Header=BB153_51 Depth=1
	v_bfe_u32 v6, v7, 16, 1
	v_add3_u32 v24, v7, v6, s14
; %bb.58:                               ;   in Loop: Header=BB153_51 Depth=1
	s_andn2_saveexec_b64 s[6:7], s[6:7]
; %bb.59:                               ;   in Loop: Header=BB153_51 Depth=1
	v_or_b32_e32 v6, 0x10000, v7
	v_cmp_eq_u32_sdwa vcc, v7, v13 src0_sel:WORD_0 src1_sel:DWORD
	s_nop 1
	v_cndmask_b32_e32 v24, v6, v7, vcc
; %bb.60:                               ;   in Loop: Header=BB153_51 Depth=1
	s_or_b64 exec, exec, s[6:7]
	v_and_b32_e32 v6, 0x7f800000, v8
	v_cmp_ne_u32_e32 vcc, s13, v6
                                        ; implicit-def: $vgpr23
	s_and_saveexec_b64 s[6:7], vcc
	s_xor_b64 s[6:7], exec, s[6:7]
; %bb.61:                               ;   in Loop: Header=BB153_51 Depth=1
	v_bfe_u32 v6, v8, 16, 1
	v_add3_u32 v23, v8, v6, s14
; %bb.62:                               ;   in Loop: Header=BB153_51 Depth=1
	s_andn2_saveexec_b64 s[6:7], s[6:7]
; %bb.63:                               ;   in Loop: Header=BB153_51 Depth=1
	v_or_b32_e32 v6, 0x10000, v8
	v_cmp_eq_u32_sdwa vcc, v8, v13 src0_sel:WORD_0 src1_sel:DWORD
	s_nop 1
	v_cndmask_b32_e32 v23, v6, v8, vcc
; %bb.64:                               ;   in Loop: Header=BB153_51 Depth=1
	s_or_b64 exec, exec, s[6:7]
	v_and_b32_e32 v6, 0x7f800000, v9
	v_cmp_ne_u32_e32 vcc, s13, v6
                                        ; implicit-def: $vgpr22
	s_and_saveexec_b64 s[6:7], vcc
	s_xor_b64 s[6:7], exec, s[6:7]
; %bb.65:                               ;   in Loop: Header=BB153_51 Depth=1
	v_bfe_u32 v6, v9, 16, 1
	v_add3_u32 v22, v9, v6, s14
                                        ; implicit-def: $vgpr6_vgpr7_vgpr8_vgpr9
; %bb.66:                               ;   in Loop: Header=BB153_51 Depth=1
	s_andn2_saveexec_b64 s[6:7], s[6:7]
; %bb.67:                               ;   in Loop: Header=BB153_51 Depth=1
	v_or_b32_e32 v6, 0x10000, v9
	v_cmp_eq_u32_sdwa vcc, v9, v13 src0_sel:WORD_0 src1_sel:DWORD
	s_nop 1
	v_cndmask_b32_e32 v22, v6, v9, vcc
; %bb.68:                               ;   in Loop: Header=BB153_51 Depth=1
	s_or_b64 exec, exec, s[6:7]
	s_waitcnt lgkmcnt(0)
	v_and_b32_e32 v6, 0x7f800000, v2
	v_cmp_ne_u32_e32 vcc, s13, v6
                                        ; implicit-def: $vgpr9
	s_and_saveexec_b64 s[6:7], vcc
	s_xor_b64 s[6:7], exec, s[6:7]
; %bb.69:                               ;   in Loop: Header=BB153_51 Depth=1
	v_bfe_u32 v6, v2, 16, 1
	v_add3_u32 v9, v2, v6, s14
; %bb.70:                               ;   in Loop: Header=BB153_51 Depth=1
	s_andn2_saveexec_b64 s[6:7], s[6:7]
; %bb.71:                               ;   in Loop: Header=BB153_51 Depth=1
	v_or_b32_e32 v6, 0x10000, v2
	v_cmp_eq_u32_sdwa vcc, v2, v13 src0_sel:WORD_0 src1_sel:DWORD
	s_nop 1
	v_cndmask_b32_e32 v9, v6, v2, vcc
; %bb.72:                               ;   in Loop: Header=BB153_51 Depth=1
	s_or_b64 exec, exec, s[6:7]
	v_and_b32_e32 v2, 0x7f800000, v3
	v_cmp_ne_u32_e32 vcc, s13, v2
                                        ; implicit-def: $vgpr8
	s_and_saveexec_b64 s[6:7], vcc
	s_xor_b64 s[6:7], exec, s[6:7]
; %bb.73:                               ;   in Loop: Header=BB153_51 Depth=1
	v_bfe_u32 v2, v3, 16, 1
	v_add3_u32 v8, v3, v2, s14
; %bb.74:                               ;   in Loop: Header=BB153_51 Depth=1
	s_andn2_saveexec_b64 s[6:7], s[6:7]
; %bb.75:                               ;   in Loop: Header=BB153_51 Depth=1
	v_or_b32_e32 v2, 0x10000, v3
	v_cmp_eq_u32_sdwa vcc, v3, v13 src0_sel:WORD_0 src1_sel:DWORD
	s_nop 1
	v_cndmask_b32_e32 v8, v2, v3, vcc
; %bb.76:                               ;   in Loop: Header=BB153_51 Depth=1
	s_or_b64 exec, exec, s[6:7]
	v_and_b32_e32 v2, 0x7f800000, v4
	v_cmp_ne_u32_e32 vcc, s13, v2
                                        ; implicit-def: $vgpr7
	s_and_saveexec_b64 s[6:7], vcc
	s_xor_b64 s[6:7], exec, s[6:7]
; %bb.77:                               ;   in Loop: Header=BB153_51 Depth=1
	v_bfe_u32 v2, v4, 16, 1
	v_add3_u32 v7, v4, v2, s14
; %bb.78:                               ;   in Loop: Header=BB153_51 Depth=1
	s_andn2_saveexec_b64 s[6:7], s[6:7]
; %bb.79:                               ;   in Loop: Header=BB153_51 Depth=1
	v_or_b32_e32 v2, 0x10000, v4
	v_cmp_eq_u32_sdwa vcc, v4, v13 src0_sel:WORD_0 src1_sel:DWORD
	s_nop 1
	v_cndmask_b32_e32 v7, v2, v4, vcc
; %bb.80:                               ;   in Loop: Header=BB153_51 Depth=1
	s_or_b64 exec, exec, s[6:7]
	v_and_b32_e32 v2, 0x7f800000, v5
	v_cmp_ne_u32_e32 vcc, s13, v2
                                        ; implicit-def: $vgpr6
	s_and_saveexec_b64 s[6:7], vcc
	s_xor_b64 s[6:7], exec, s[6:7]
; %bb.81:                               ;   in Loop: Header=BB153_51 Depth=1
	v_bfe_u32 v2, v5, 16, 1
	v_add3_u32 v6, v5, v2, s14
                                        ; implicit-def: $vgpr2_vgpr3_vgpr4_vgpr5
; %bb.82:                               ;   in Loop: Header=BB153_51 Depth=1
	s_andn2_saveexec_b64 s[6:7], s[6:7]
; %bb.83:                               ;   in Loop: Header=BB153_51 Depth=1
	v_or_b32_e32 v2, 0x10000, v5
	v_cmp_eq_u32_sdwa vcc, v5, v13 src0_sel:WORD_0 src1_sel:DWORD
	s_nop 1
	v_cndmask_b32_e32 v6, v2, v5, vcc
; %bb.84:                               ;   in Loop: Header=BB153_51 Depth=1
	s_or_b64 exec, exec, s[6:7]
	s_waitcnt vmcnt(0)
	v_mad_i64_i32 v[2:3], s[6:7], v26, s11, 0
	v_lshl_add_u64 v[2:3], v[2:3], 1, v[14:15]
	global_load_dwordx4 v[2:5], v[2:3], off
	v_cmp_eq_u32_e32 vcc, s48, v10
	s_waitcnt vmcnt(0)
	v_lshrrev_b32_e32 v29, 16, v2
	v_lshrrev_b32_e32 v28, 16, v3
	;; [unrolled: 1-line block ×4, first 2 shown]
	s_and_saveexec_b64 s[6:7], vcc
	s_cbranch_execz .LBB153_86
; %bb.85:                               ;   in Loop: Header=BB153_51 Depth=1
	v_add_u32_e32 v30, v20, v1
	v_cmp_gt_i32_e32 vcc, s29, v30
	v_add_u32_e32 v31, 1, v30
	s_nop 0
	v_cndmask_b32_e32 v2, 0, v2, vcc
	v_cmp_gt_i32_e32 vcc, s29, v31
	v_add_u32_e32 v31, 2, v30
	s_nop 0
	v_cndmask_b32_e32 v29, 0, v29, vcc
	;; [unrolled: 4-line block ×5, first 2 shown]
	v_cmp_gt_i32_e32 vcc, s29, v31
	v_add_u32_e32 v31, 6, v30
	v_add_u32_e32 v30, 7, v30
	v_cndmask_b32_e32 v27, 0, v27, vcc
	v_cmp_gt_i32_e32 vcc, s29, v31
	s_nop 1
	v_cndmask_b32_e32 v5, 0, v5, vcc
	v_cmp_gt_i32_e32 vcc, s29, v30
	s_nop 1
	v_cndmask_b32_e32 v26, 0, v26, vcc
.LBB153_86:                             ;   in Loop: Header=BB153_51 Depth=1
	s_or_b64 exec, exec, s[6:7]
	v_and_b32_e32 v25, 0xffff0000, v25
	v_lshlrev_b32_e32 v2, 16, v2
	v_mul_f32_e32 v25, v25, v2
	v_and_b32_e32 v2, 0x7f800000, v25
	v_cmp_ne_u32_e32 vcc, s13, v2
                                        ; implicit-def: $vgpr2
	s_and_saveexec_b64 s[6:7], vcc
	s_xor_b64 s[6:7], exec, s[6:7]
; %bb.87:                               ;   in Loop: Header=BB153_51 Depth=1
	v_bfe_u32 v2, v25, 16, 1
	v_add3_u32 v2, v25, v2, s14
                                        ; implicit-def: $vgpr25
; %bb.88:                               ;   in Loop: Header=BB153_51 Depth=1
	s_andn2_saveexec_b64 s[6:7], s[6:7]
; %bb.89:                               ;   in Loop: Header=BB153_51 Depth=1
	v_or_b32_e32 v2, 0x10000, v25
	v_cmp_eq_u32_sdwa vcc, v25, v13 src0_sel:WORD_0 src1_sel:DWORD
	s_nop 1
	v_cndmask_b32_e32 v2, v2, v25, vcc
; %bb.90:                               ;   in Loop: Header=BB153_51 Depth=1
	s_or_b64 exec, exec, s[6:7]
	v_and_b32_e32 v24, 0xffff0000, v24
	v_lshlrev_b32_e32 v25, 16, v29
	v_mul_f32_e32 v25, v24, v25
	v_and_b32_e32 v24, 0x7f800000, v25
	v_cmp_ne_u32_e32 vcc, s13, v24
                                        ; implicit-def: $vgpr24
	s_and_saveexec_b64 s[6:7], vcc
	s_xor_b64 s[6:7], exec, s[6:7]
; %bb.91:                               ;   in Loop: Header=BB153_51 Depth=1
	v_bfe_u32 v24, v25, 16, 1
	v_add3_u32 v24, v25, v24, s14
                                        ; implicit-def: $vgpr25
; %bb.92:                               ;   in Loop: Header=BB153_51 Depth=1
	s_andn2_saveexec_b64 s[6:7], s[6:7]
; %bb.93:                               ;   in Loop: Header=BB153_51 Depth=1
	v_or_b32_e32 v24, 0x10000, v25
	v_cmp_eq_u32_sdwa vcc, v25, v13 src0_sel:WORD_0 src1_sel:DWORD
	s_nop 1
	v_cndmask_b32_e32 v24, v24, v25, vcc
; %bb.94:                               ;   in Loop: Header=BB153_51 Depth=1
	s_or_b64 exec, exec, s[6:7]
	v_and_b32_e32 v23, 0xffff0000, v23
	v_lshlrev_b32_e32 v3, 16, v3
	v_mul_f32_e32 v23, v23, v3
	v_and_b32_e32 v3, 0x7f800000, v23
	v_cmp_ne_u32_e32 vcc, s13, v3
                                        ; implicit-def: $vgpr3
	s_and_saveexec_b64 s[6:7], vcc
	s_xor_b64 s[6:7], exec, s[6:7]
; %bb.95:                               ;   in Loop: Header=BB153_51 Depth=1
	v_bfe_u32 v3, v23, 16, 1
	v_add3_u32 v3, v23, v3, s14
                                        ; implicit-def: $vgpr23
; %bb.96:                               ;   in Loop: Header=BB153_51 Depth=1
	s_andn2_saveexec_b64 s[6:7], s[6:7]
; %bb.97:                               ;   in Loop: Header=BB153_51 Depth=1
	v_or_b32_e32 v3, 0x10000, v23
	v_cmp_eq_u32_sdwa vcc, v23, v13 src0_sel:WORD_0 src1_sel:DWORD
	s_nop 1
	v_cndmask_b32_e32 v3, v3, v23, vcc
; %bb.98:                               ;   in Loop: Header=BB153_51 Depth=1
	s_or_b64 exec, exec, s[6:7]
	v_and_b32_e32 v22, 0xffff0000, v22
	v_lshlrev_b32_e32 v23, 16, v28
	v_mul_f32_e32 v23, v22, v23
	v_and_b32_e32 v22, 0x7f800000, v23
	v_cmp_ne_u32_e32 vcc, s13, v22
                                        ; implicit-def: $vgpr22
	s_and_saveexec_b64 s[6:7], vcc
	s_xor_b64 s[6:7], exec, s[6:7]
; %bb.99:                               ;   in Loop: Header=BB153_51 Depth=1
	v_bfe_u32 v22, v23, 16, 1
	v_add3_u32 v22, v23, v22, s14
                                        ; implicit-def: $vgpr23
; %bb.100:                              ;   in Loop: Header=BB153_51 Depth=1
	s_andn2_saveexec_b64 s[6:7], s[6:7]
; %bb.101:                              ;   in Loop: Header=BB153_51 Depth=1
	v_or_b32_e32 v22, 0x10000, v23
	v_cmp_eq_u32_sdwa vcc, v23, v13 src0_sel:WORD_0 src1_sel:DWORD
	s_nop 1
	v_cndmask_b32_e32 v22, v22, v23, vcc
; %bb.102:                              ;   in Loop: Header=BB153_51 Depth=1
	s_or_b64 exec, exec, s[6:7]
	v_and_b32_e32 v9, 0xffff0000, v9
	v_lshlrev_b32_e32 v4, 16, v4
	v_mul_f32_e32 v9, v9, v4
	v_and_b32_e32 v4, 0x7f800000, v9
	v_cmp_ne_u32_e32 vcc, s13, v4
                                        ; implicit-def: $vgpr4
	s_and_saveexec_b64 s[6:7], vcc
	s_xor_b64 s[6:7], exec, s[6:7]
; %bb.103:                              ;   in Loop: Header=BB153_51 Depth=1
	v_bfe_u32 v4, v9, 16, 1
	v_add3_u32 v4, v9, v4, s14
                                        ; implicit-def: $vgpr9
; %bb.104:                              ;   in Loop: Header=BB153_51 Depth=1
	s_andn2_saveexec_b64 s[6:7], s[6:7]
; %bb.105:                              ;   in Loop: Header=BB153_51 Depth=1
	v_or_b32_e32 v4, 0x10000, v9
	v_cmp_eq_u32_sdwa vcc, v9, v13 src0_sel:WORD_0 src1_sel:DWORD
	s_nop 1
	v_cndmask_b32_e32 v4, v4, v9, vcc
; %bb.106:                              ;   in Loop: Header=BB153_51 Depth=1
	s_or_b64 exec, exec, s[6:7]
	v_and_b32_e32 v8, 0xffff0000, v8
	v_lshlrev_b32_e32 v9, 16, v27
	v_mul_f32_e32 v9, v8, v9
	v_and_b32_e32 v8, 0x7f800000, v9
	v_cmp_ne_u32_e32 vcc, s13, v8
                                        ; implicit-def: $vgpr8
	s_and_saveexec_b64 s[6:7], vcc
	s_xor_b64 s[6:7], exec, s[6:7]
; %bb.107:                              ;   in Loop: Header=BB153_51 Depth=1
	v_bfe_u32 v8, v9, 16, 1
	v_add3_u32 v8, v9, v8, s14
                                        ; implicit-def: $vgpr9
; %bb.108:                              ;   in Loop: Header=BB153_51 Depth=1
	s_andn2_saveexec_b64 s[6:7], s[6:7]
; %bb.109:                              ;   in Loop: Header=BB153_51 Depth=1
	v_or_b32_e32 v8, 0x10000, v9
	v_cmp_eq_u32_sdwa vcc, v9, v13 src0_sel:WORD_0 src1_sel:DWORD
	s_nop 1
	v_cndmask_b32_e32 v8, v8, v9, vcc
; %bb.110:                              ;   in Loop: Header=BB153_51 Depth=1
	s_or_b64 exec, exec, s[6:7]
	v_and_b32_e32 v7, 0xffff0000, v7
	v_lshlrev_b32_e32 v5, 16, v5
	v_mul_f32_e32 v7, v7, v5
	v_and_b32_e32 v5, 0x7f800000, v7
	v_cmp_ne_u32_e32 vcc, s13, v5
                                        ; implicit-def: $vgpr5
	s_and_saveexec_b64 s[6:7], vcc
	s_xor_b64 s[6:7], exec, s[6:7]
; %bb.111:                              ;   in Loop: Header=BB153_51 Depth=1
	v_bfe_u32 v5, v7, 16, 1
	v_add3_u32 v5, v7, v5, s14
                                        ; implicit-def: $vgpr7
; %bb.112:                              ;   in Loop: Header=BB153_51 Depth=1
	s_andn2_saveexec_b64 s[6:7], s[6:7]
; %bb.113:                              ;   in Loop: Header=BB153_51 Depth=1
	v_or_b32_e32 v5, 0x10000, v7
	v_cmp_eq_u32_sdwa vcc, v7, v13 src0_sel:WORD_0 src1_sel:DWORD
	s_nop 1
	v_cndmask_b32_e32 v5, v5, v7, vcc
; %bb.114:                              ;   in Loop: Header=BB153_51 Depth=1
	s_or_b64 exec, exec, s[6:7]
	v_and_b32_e32 v6, 0xffff0000, v6
	v_lshlrev_b32_e32 v7, 16, v26
	v_mul_f32_e32 v6, v6, v7
	v_and_b32_e32 v7, 0x7f800000, v6
	v_cmp_ne_u32_e32 vcc, s13, v7
                                        ; implicit-def: $vgpr7
	s_and_saveexec_b64 s[6:7], vcc
	s_xor_b64 s[6:7], exec, s[6:7]
; %bb.115:                              ;   in Loop: Header=BB153_51 Depth=1
	v_bfe_u32 v7, v6, 16, 1
	v_add3_u32 v7, v6, v7, s14
                                        ; implicit-def: $vgpr6
; %bb.116:                              ;   in Loop: Header=BB153_51 Depth=1
	s_andn2_saveexec_b64 s[6:7], s[6:7]
	s_cbranch_execz .LBB153_49
; %bb.117:                              ;   in Loop: Header=BB153_51 Depth=1
	v_or_b32_e32 v7, 0x10000, v6
	v_cmp_eq_u32_sdwa vcc, v6, v13 src0_sel:WORD_0 src1_sel:DWORD
	s_nop 1
	v_cndmask_b32_e32 v7, v7, v6, vcc
	s_branch .LBB153_49
.LBB153_118:
	s_or_b64 exec, exec, s[4:5]
.LBB153_119:
	s_or_b64 exec, exec, s[2:3]
	ds_bpermute_b32 v1, v19, v12
	v_and_b32_e32 v2, 0x3c1, v0
	v_cmp_eq_u32_e32 vcc, 64, v2
	s_waitcnt lgkmcnt(0)
	s_barrier
	v_add_f32_e32 v1, v12, v1
	s_and_saveexec_b64 s[0:1], vcc
	s_cbranch_execz .LBB153_121
; %bb.120:
	v_mov_b32_e32 v3, 0x50
	v_lshl_add_u32 v3, v18, 1, v3
	ds_write_b32 v3, v1
.LBB153_121:
	s_or_b64 exec, exec, s[0:1]
	v_cmp_eq_u32_e32 vcc, 0, v2
	s_waitcnt lgkmcnt(0)
	s_barrier
	s_and_saveexec_b64 s[0:1], vcc
	s_cbranch_execz .LBB153_123
; %bb.122:
	v_mov_b32_e32 v2, 0x50
	v_lshl_add_u32 v2, v0, 1, v2
	ds_read_b32 v2, v2
	s_waitcnt lgkmcnt(0)
	v_add_f32_e32 v1, v1, v2
.LBB153_123:
	s_or_b64 exec, exec, s[0:1]
	s_barrier
	s_and_saveexec_b64 s[0:1], vcc
	s_cbranch_execz .LBB153_129
; %bb.124:
	s_mov_b32 s0, 0x7f800000
	v_and_b32_e32 v2, 0x7f800000, v1
	v_cmp_ne_u32_e32 vcc, s0, v2
                                        ; implicit-def: $vgpr2
	s_and_saveexec_b64 s[0:1], vcc
	s_xor_b64 s[0:1], exec, s[0:1]
; %bb.125:
	v_bfe_u32 v2, v1, 16, 1
	s_movk_i32 s2, 0x7fff
	v_add3_u32 v2, v1, v2, s2
                                        ; implicit-def: $vgpr1
; %bb.126:
	s_andn2_saveexec_b64 s[0:1], s[0:1]
; %bb.127:
	v_mov_b32_e32 v2, 0
	v_or_b32_e32 v3, 0x10000, v1
	v_cmp_eq_u32_sdwa vcc, v1, v2 src0_sel:WORD_0 src1_sel:DWORD
	s_nop 1
	v_cndmask_b32_e32 v2, v3, v1, vcc
; %bb.128:
	s_or_b64 exec, exec, s[0:1]
	s_lshl_b32 s0, s8, 5
	s_ashr_i32 s1, s0, 31
	s_lshl_b64 s[0:1], s[0:1], 1
	s_add_u32 s2, s26, s0
	s_mul_i32 s0, s16, s24
	s_addc_u32 s3, s27, s1
	s_ashr_i32 s1, s0, 31
	s_lshl_b64 s[0:1], s[0:1], 1
	s_add_u32 s2, s2, s0
	s_addc_u32 s3, s3, s1
	s_ashr_i32 s13, s12, 31
	s_lshl_b64 s[0:1], s[12:13], 1
	s_add_u32 s0, s2, s0
	s_addc_u32 s1, s3, s1
	global_store_short_d16_hi v0, v2, s[0:1]
.LBB153_129:
	s_endpgm
	.section	.rodata,"a",@progbits
	.p2align	6, 0x0
	.amdhsa_kernel _ZN4vllm25paged_attention_v2_kernelI14__hip_bfloat16S1_Li32ELi16ELi128ELNS_18Fp8KVCacheDataTypeE0ELb1ELi512EEEvPfS3_PT_PKS4_PKT0_SA_ifPKiSC_iPKfiiiSE_SE_iiiii
		.amdhsa_group_segment_fixed_size 80
		.amdhsa_private_segment_fixed_size 0
		.amdhsa_kernarg_size 400
		.amdhsa_user_sgpr_count 2
		.amdhsa_user_sgpr_dispatch_ptr 0
		.amdhsa_user_sgpr_queue_ptr 0
		.amdhsa_user_sgpr_kernarg_segment_ptr 1
		.amdhsa_user_sgpr_dispatch_id 0
		.amdhsa_user_sgpr_kernarg_preload_length 0
		.amdhsa_user_sgpr_kernarg_preload_offset 0
		.amdhsa_user_sgpr_private_segment_size 0
		.amdhsa_uses_dynamic_stack 0
		.amdhsa_enable_private_segment 0
		.amdhsa_system_sgpr_workgroup_id_x 1
		.amdhsa_system_sgpr_workgroup_id_y 1
		.amdhsa_system_sgpr_workgroup_id_z 1
		.amdhsa_system_sgpr_workgroup_info 0
		.amdhsa_system_vgpr_workitem_id 0
		.amdhsa_next_free_vgpr 40
		.amdhsa_next_free_sgpr 52
		.amdhsa_accum_offset 40
		.amdhsa_reserve_vcc 1
		.amdhsa_float_round_mode_32 0
		.amdhsa_float_round_mode_16_64 0
		.amdhsa_float_denorm_mode_32 3
		.amdhsa_float_denorm_mode_16_64 3
		.amdhsa_dx10_clamp 1
		.amdhsa_ieee_mode 1
		.amdhsa_fp16_overflow 0
		.amdhsa_tg_split 0
		.amdhsa_exception_fp_ieee_invalid_op 0
		.amdhsa_exception_fp_denorm_src 0
		.amdhsa_exception_fp_ieee_div_zero 0
		.amdhsa_exception_fp_ieee_overflow 0
		.amdhsa_exception_fp_ieee_underflow 0
		.amdhsa_exception_fp_ieee_inexact 0
		.amdhsa_exception_int_div_zero 0
	.end_amdhsa_kernel
	.section	.text._ZN4vllm25paged_attention_v2_kernelI14__hip_bfloat16S1_Li32ELi16ELi128ELNS_18Fp8KVCacheDataTypeE0ELb1ELi512EEEvPfS3_PT_PKS4_PKT0_SA_ifPKiSC_iPKfiiiSE_SE_iiiii,"axG",@progbits,_ZN4vllm25paged_attention_v2_kernelI14__hip_bfloat16S1_Li32ELi16ELi128ELNS_18Fp8KVCacheDataTypeE0ELb1ELi512EEEvPfS3_PT_PKS4_PKT0_SA_ifPKiSC_iPKfiiiSE_SE_iiiii,comdat
.Lfunc_end153:
	.size	_ZN4vllm25paged_attention_v2_kernelI14__hip_bfloat16S1_Li32ELi16ELi128ELNS_18Fp8KVCacheDataTypeE0ELb1ELi512EEEvPfS3_PT_PKS4_PKT0_SA_ifPKiSC_iPKfiiiSE_SE_iiiii, .Lfunc_end153-_ZN4vllm25paged_attention_v2_kernelI14__hip_bfloat16S1_Li32ELi16ELi128ELNS_18Fp8KVCacheDataTypeE0ELb1ELi512EEEvPfS3_PT_PKS4_PKT0_SA_ifPKiSC_iPKfiiiSE_SE_iiiii
                                        ; -- End function
	.section	.AMDGPU.csdata,"",@progbits
; Kernel info:
; codeLenInByte = 5480
; NumSgprs: 58
; NumVgprs: 40
; NumAgprs: 0
; TotalNumVgprs: 40
; ScratchSize: 0
; MemoryBound: 0
; FloatMode: 240
; IeeeMode: 1
; LDSByteSize: 80 bytes/workgroup (compile time only)
; SGPRBlocks: 7
; VGPRBlocks: 4
; NumSGPRsForWavesPerEU: 58
; NumVGPRsForWavesPerEU: 40
; AccumOffset: 40
; Occupancy: 8
; WaveLimiterHint : 1
; COMPUTE_PGM_RSRC2:SCRATCH_EN: 0
; COMPUTE_PGM_RSRC2:USER_SGPR: 2
; COMPUTE_PGM_RSRC2:TRAP_HANDLER: 0
; COMPUTE_PGM_RSRC2:TGID_X_EN: 1
; COMPUTE_PGM_RSRC2:TGID_Y_EN: 1
; COMPUTE_PGM_RSRC2:TGID_Z_EN: 1
; COMPUTE_PGM_RSRC2:TIDIG_COMP_CNT: 0
; COMPUTE_PGM_RSRC3_GFX90A:ACCUM_OFFSET: 9
; COMPUTE_PGM_RSRC3_GFX90A:TG_SPLIT: 0
	.section	.text._ZN4vllm25paged_attention_v2_kernelI14__hip_bfloat16S1_Li64ELi16ELi128ELNS_18Fp8KVCacheDataTypeE0ELb1ELi512EEEvPfS3_PT_PKS4_PKT0_SA_ifPKiSC_iPKfiiiSE_SE_iiiii,"axG",@progbits,_ZN4vllm25paged_attention_v2_kernelI14__hip_bfloat16S1_Li64ELi16ELi128ELNS_18Fp8KVCacheDataTypeE0ELb1ELi512EEEvPfS3_PT_PKS4_PKT0_SA_ifPKiSC_iPKfiiiSE_SE_iiiii,comdat
	.protected	_ZN4vllm25paged_attention_v2_kernelI14__hip_bfloat16S1_Li64ELi16ELi128ELNS_18Fp8KVCacheDataTypeE0ELb1ELi512EEEvPfS3_PT_PKS4_PKT0_SA_ifPKiSC_iPKfiiiSE_SE_iiiii ; -- Begin function _ZN4vllm25paged_attention_v2_kernelI14__hip_bfloat16S1_Li64ELi16ELi128ELNS_18Fp8KVCacheDataTypeE0ELb1ELi512EEEvPfS3_PT_PKS4_PKT0_SA_ifPKiSC_iPKfiiiSE_SE_iiiii
	.globl	_ZN4vllm25paged_attention_v2_kernelI14__hip_bfloat16S1_Li64ELi16ELi128ELNS_18Fp8KVCacheDataTypeE0ELb1ELi512EEEvPfS3_PT_PKS4_PKT0_SA_ifPKiSC_iPKfiiiSE_SE_iiiii
	.p2align	8
	.type	_ZN4vllm25paged_attention_v2_kernelI14__hip_bfloat16S1_Li64ELi16ELi128ELNS_18Fp8KVCacheDataTypeE0ELb1ELi512EEEvPfS3_PT_PKS4_PKT0_SA_ifPKiSC_iPKfiiiSE_SE_iiiii,@function
_ZN4vllm25paged_attention_v2_kernelI14__hip_bfloat16S1_Li64ELi16ELi128ELNS_18Fp8KVCacheDataTypeE0ELb1ELi512EEEvPfS3_PT_PKS4_PKT0_SA_ifPKiSC_iPKfiiiSE_SE_iiiii: ; @_ZN4vllm25paged_attention_v2_kernelI14__hip_bfloat16S1_Li64ELi16ELi128ELNS_18Fp8KVCacheDataTypeE0ELb1ELi512EEEvPfS3_PT_PKS4_PKT0_SA_ifPKiSC_iPKfiiiSE_SE_iiiii
; %bb.0:
	s_load_dwordx2 s[6:7], s[0:1], 0x40
	s_mov_b32 s24, s3
	s_ashr_i32 s25, s3, 31
	s_lshl_b64 s[8:9], s[24:25], 2
	s_waitcnt lgkmcnt(0)
	s_add_u32 s6, s6, s8
	s_addc_u32 s7, s7, s9
	s_load_dword s33, s[6:7], 0x0
	s_lshl_b32 s5, s4, 9
	s_waitcnt lgkmcnt(0)
	s_cmp_ge_i32 s5, s33
	s_cbranch_scc1 .LBB154_172
; %bb.1:
	s_load_dword s25, s[0:1], 0x90
	s_load_dwordx2 s[38:39], s[0:1], 0x30
	s_waitcnt lgkmcnt(0)
	s_abs_i32 s7, s25
	s_abs_i32 s3, s38
	v_cvt_f32_u32_e32 v1, s3
	s_sub_i32 s8, 0, s3
	s_xor_b32 s6, s25, s38
	s_ashr_i32 s6, s6, 31
	v_rcp_iflag_f32_e32 v1, v1
	s_nop 0
	v_mul_f32_e32 v1, 0x4f7ffffe, v1
	v_cvt_u32_f32_e32 v1, v1
	s_nop 0
	v_readfirstlane_b32 s9, v1
	s_mul_i32 s8, s8, s9
	s_mul_hi_u32 s8, s9, s8
	s_add_i32 s9, s9, s8
	s_mul_hi_u32 s8, s7, s9
	s_mul_i32 s9, s8, s3
	s_sub_i32 s7, s7, s9
	s_add_i32 s10, s8, 1
	s_sub_i32 s9, s7, s3
	s_cmp_ge_u32 s7, s3
	s_cselect_b32 s8, s10, s8
	s_cselect_b32 s7, s9, s7
	s_add_i32 s9, s8, 1
	s_cmp_ge_u32 s7, s3
	s_cselect_b32 s3, s9, s8
	s_xor_b32 s3, s3, s6
	s_sub_i32 s11, s3, s6
	s_abs_i32 s8, s11
	v_cvt_f32_u32_e32 v1, s8
	s_load_dwordx2 s[6:7], s[0:1], 0x50
	s_sub_i32 s10, 0, s8
	s_abs_i32 s9, s2
	v_rcp_iflag_f32_e32 v1, v1
	s_mov_b32 s3, 0
	v_mul_f32_e32 v1, 0x4f7ffffe, v1
	v_cvt_u32_f32_e32 v1, v1
	s_nop 0
	v_readfirstlane_b32 s12, v1
	s_mul_i32 s10, s10, s12
	s_mul_hi_u32 s10, s12, s10
	s_add_i32 s12, s12, s10
	s_waitcnt lgkmcnt(0)
	s_cmp_eq_u64 s[6:7], 0
	s_mul_hi_u32 s10, s9, s12
	s_cbranch_scc1 .LBB154_3
; %bb.2:
	s_ashr_i32 s3, s2, 31
	s_lshl_b64 s[12:13], s[2:3], 2
	s_add_u32 s6, s6, s12
	s_addc_u32 s7, s7, s13
	s_load_dword s3, s[6:7], 0x0
.LBB154_3:
	s_load_dwordx4 s[12:15], s[0:1], 0x58
	s_ashr_i32 s16, s2, 31
	s_ashr_i32 s11, s11, 31
	v_and_b32_e32 v4, 3, v0
	s_lshl_b32 s26, s2, 6
	v_cmp_gt_u32_e32 vcc, 32, v0
	s_and_saveexec_b64 s[6:7], vcc
	s_cbranch_execz .LBB154_5
; %bb.4:
	s_load_dwordx2 s[18:19], s[0:1], 0x18
	s_waitcnt lgkmcnt(0)
	s_mul_i32 s20, s24, s12
	s_ashr_i32 s21, s20, 31
	s_lshl_b64 s[20:21], s[20:21], 1
	v_lshlrev_b32_e32 v1, 2, v0
	s_add_u32 s12, s18, s20
	s_addc_u32 s15, s19, s21
	s_ashr_i32 s27, s26, 31
	s_lshl_b64 s[18:19], s[26:27], 1
	s_add_u32 s18, s12, s18
	s_addc_u32 s19, s15, s19
	global_load_dword v1, v1, s[18:19]
	v_and_b32_e32 v2, 0x3fc, v0
	v_lshl_add_u32 v2, v4, 5, v2
	s_waitcnt vmcnt(0)
	ds_write_b32 v2, v1
.LBB154_5:
	s_or_b64 exec, exec, s[6:7]
	s_mul_i32 s7, s10, s8
	s_sub_i32 s7, s9, s7
	s_xor_b32 s6, s16, s11
	s_add_i32 s9, s10, 1
	s_sub_i32 s11, s7, s8
	s_load_dwordx4 s[16:19], s[0:1], 0x78
	s_cmp_ge_u32 s7, s8
	s_cselect_b32 s9, s9, s10
	s_cselect_b32 s7, s11, s7
	s_load_dword s11, s[0:1], 0x88
	s_add_i32 s10, s9, 1
	s_cmp_ge_u32 s7, s8
	s_cselect_b32 s7, s10, s9
	s_waitcnt lgkmcnt(0)
	s_abs_i32 s27, s19
	v_cvt_f32_u32_e32 v1, s27
	s_xor_b32 s7, s7, s6
	s_sub_i32 s10, s7, s6
	s_sub_i32 s6, 0, s27
	v_rcp_iflag_f32_e32 v1, v1
	s_add_i32 s12, s33, -1
	s_abs_i32 s8, s12
	v_mul_f32_e32 v1, 0x4f7ffffe, v1
	v_cvt_u32_f32_e32 v1, v1
	s_barrier
	v_readfirstlane_b32 s46, v1
	s_mul_i32 s6, s6, s46
	s_mul_hi_u32 s6, s46, s6
	s_add_i32 s46, s46, s6
	s_cmp_lt_i32 s11, 0
	s_mul_hi_u32 s9, s8, s46
	s_cbranch_scc0 .LBB154_7
; %bb.6:
	s_mul_i32 s6, s16, s38
	s_add_i32 s6, s10, s6
	s_mul_i32 s6, s6, s11
	s_sub_i32 s47, 1, s6
	s_mov_b64 s[6:7], 0
	s_branch .LBB154_8
.LBB154_7:
	s_mov_b64 s[6:7], -1
                                        ; implicit-def: $sgpr47
.LBB154_8:
	s_load_dwordx2 s[30:31], s[0:1], 0x38
	s_ashr_i32 s15, s12, 31
	s_andn2_b64 vcc, exec, s[6:7]
	s_ashr_i32 s19, s19, 31
	s_cbranch_vccnz .LBB154_10
; %bb.9:
	s_mul_i32 s6, s25, s16
	s_add_i32 s6, s6, s2
	s_mul_i32 s6, s6, s11
	s_add_i32 s47, s6, 1
.LBB154_10:
	s_load_dword s6, s[0:1], 0x48
	s_load_dwordx2 s[36:37], s[0:1], 0x28
	s_load_dword s12, s[0:1], 0x98
	s_load_dwordx4 s[20:23], s[0:1], 0x0
	s_load_dwordx2 s[28:29], s[0:1], 0x10
	s_mul_i32 s7, s9, s27
	s_waitcnt lgkmcnt(0)
	s_mul_i32 s34, s24, s6
	s_sub_i32 s7, s8, s7
	s_ashr_i32 s35, s34, 31
	s_xor_b32 s6, s15, s19
	s_add_i32 s8, s9, 1
	s_sub_i32 s11, s7, s27
	s_cmp_ge_u32 s7, s27
	s_cselect_b32 s8, s8, s9
	s_cselect_b32 s7, s11, s7
	s_add_i32 s9, s8, 1
	s_cmp_ge_u32 s7, s27
	s_cselect_b32 s7, s9, s8
	s_xor_b32 s7, s7, s6
	s_sub_i32 s49, s7, s6
	s_add_i32 s6, s33, 15
	s_ashr_i32 s7, s6, 31
	s_lshr_b32 s7, s7, 28
	s_add_i32 s6, s6, s7
	s_lshl_b32 s38, s4, 5
	s_ashr_i32 s48, s6, 4
	s_add_i32 s6, s38, 32
	v_lshrrev_b32_e32 v6, 6, v0
	s_min_i32 s16, s6, s48
	v_or_b32_e32 v10, s38, v6
	v_cmp_gt_i32_e64 s[8:9], s16, v10
	v_mov_b32_e32 v12, 0xff7fffff
	s_mul_i32 s14, s10, s14
	v_ashrrev_i32_e32 v11, 31, v10
	v_lshl_add_u32 v1, v6, 4, s5
	v_mbcnt_lo_u32_b32 v7, -1, 0
	s_and_saveexec_b64 s[40:41], s[8:9]
	s_cbranch_execz .LBB154_20
; %bb.11:
	s_load_dwordx2 s[0:1], s[0:1], 0x20
	s_ashr_i32 s15, s14, 31
	s_sub_i32 s50, s49, s17
	s_lshl_b64 s[6:7], s[14:15], 1
	v_bfe_u32 v8, v0, 2, 4
	s_waitcnt lgkmcnt(0)
	s_add_u32 s0, s0, s6
	s_addc_u32 s1, s1, s7
	s_abs_i32 s15, s18
	v_cvt_f32_u32_e32 v5, s15
	v_lshlrev_b32_e32 v2, 4, v8
	v_mov_b32_e32 v3, 0
	v_lshl_add_u64 v[12:13], s[0:1], 0, v[2:3]
	v_rcp_iflag_f32_e32 v5, v5
	v_lshlrev_b32_e32 v2, 2, v0
	v_and_b32_e32 v2, 12, v2
	v_lshl_add_u64 v[2:3], v[12:13], 0, v[2:3]
	v_mul_f32_e32 v5, 0x4f7ffffe, v5
	v_cvt_u32_f32_e32 v5, v5
	s_sub_i32 s0, 0, s15
	v_lshlrev_b32_e32 v12, 2, v8
	v_cmp_eq_u32_e32 vcc, 0, v4
	v_lshlrev_b32_e32 v9, 5, v4
	v_mul_lo_u32 v4, s0, v5
	s_lshl_b64 s[0:1], s[34:35], 2
	v_lshl_or_b32 v12, v6, 6, v12
	s_add_u32 s0, s30, s0
	v_add_u32_e32 v15, 0x90, v12
	v_subrev_u32_e32 v12, s33, v8
	v_mbcnt_hi_u32_b32 v18, -1, v7
	v_mul_hi_u32 v4, v5, v4
	s_addc_u32 s1, s31, s1
	v_add_u32_e32 v16, 1, v12
	v_and_b32_e32 v12, 64, v18
	s_mov_b32 s51, s13
	v_cmp_neq_f32_e64 s[6:7], s3, 0
	v_add_u32_e32 v13, v5, v4
	v_lshl_add_u64 v[4:5], v[10:11], 2, s[0:1]
	v_lshl_add_u32 v14, v6, 4, s5
	s_mov_b64 s[42:43], 0
	v_mov_b32_e32 v17, 0xff7fffff
	v_add_u32_e32 v19, 64, v12
	v_xor_b32_e32 v20, 2, v18
	v_xor_b32_e32 v21, 1, v18
	v_mov_b32_e32 v12, 0xff7fffff
	v_mov_b32_e32 v22, v10
	s_branch .LBB154_14
.LBB154_12:                             ;   in Loop: Header=BB154_14 Depth=1
	s_or_b64 exec, exec, s[44:45]
.LBB154_13:                             ;   in Loop: Header=BB154_14 Depth=1
	s_or_b64 exec, exec, s[10:11]
	v_add_u32_e32 v22, 2, v22
	v_cmp_le_i32_e64 s[0:1], s16, v22
	v_lshl_add_u64 v[4:5], v[4:5], 0, 8
	v_add_u32_e32 v14, 32, v14
	s_or_b64 s[42:43], s[0:1], s[42:43]
	v_add_u32_e32 v15, 0x80, v15
	s_andn2_b64 exec, exec, s[42:43]
	s_cbranch_execz .LBB154_19
.LBB154_14:                             ; =>This Inner Loop Header: Depth=1
	s_waitcnt lgkmcnt(0)
	v_sub_u32_e32 v24, 0, v14
	v_max_i32_e32 v24, v14, v24
	v_mul_hi_u32 v25, v24, s46
	v_mul_lo_u32 v26, v25, s27
	v_sub_u32_e32 v24, v24, v26
	v_add_u32_e32 v26, 1, v25
	v_cmp_le_u32_e64 s[0:1], s27, v24
	v_ashrrev_i32_e32 v23, 31, v14
	v_xor_b32_e32 v23, s19, v23
	v_cndmask_b32_e64 v25, v25, v26, s[0:1]
	v_subrev_u32_e32 v26, s27, v24
	v_cndmask_b32_e64 v24, v24, v26, s[0:1]
	v_add_u32_e32 v26, 1, v25
	v_cmp_le_u32_e64 s[0:1], s27, v24
	s_nop 1
	v_cndmask_b32_e64 v24, v25, v26, s[0:1]
	v_xor_b32_e32 v24, v24, v23
	v_sub_u32_e32 v23, v24, v23
	v_add_u32_e32 v24, s47, v23
	v_sub_u32_e32 v26, 0, v24
	v_ashrrev_i32_e32 v25, 31, v24
	v_max_i32_e32 v24, v24, v26
	v_mul_hi_u32 v26, v24, v13
	v_mul_lo_u32 v26, v26, s15
	v_sub_u32_e32 v24, v24, v26
	v_subrev_u32_e32 v26, s15, v24
	v_cmp_le_u32_e64 s[0:1], s15, v24
	v_cmp_ge_i32_e64 s[10:11], s50, v23
	s_nop 0
	v_cndmask_b32_e64 v24, v24, v26, s[0:1]
	v_subrev_u32_e32 v26, s15, v24
	v_cmp_le_u32_e64 s[0:1], s15, v24
	s_nop 1
	v_cndmask_b32_e64 v24, v24, v26, s[0:1]
	v_xor_b32_e32 v24, v24, v25
	v_sub_u32_e32 v24, v24, v25
	v_cmp_ne_u32_e64 s[0:1], 0, v24
	s_and_b64 s[0:1], s[0:1], s[10:11]
	s_and_b64 s[44:45], vcc, s[0:1]
	s_and_saveexec_b64 s[10:11], s[44:45]
	s_cbranch_execz .LBB154_16
; %bb.15:                               ;   in Loop: Header=BB154_14 Depth=1
	ds_write_b32 v15, v17
.LBB154_16:                             ;   in Loop: Header=BB154_14 Depth=1
	s_or_b64 exec, exec, s[10:11]
	s_xor_b64 s[0:1], s[0:1], -1
	s_and_saveexec_b64 s[10:11], s[0:1]
	s_cbranch_execz .LBB154_13
; %bb.17:                               ;   in Loop: Header=BB154_14 Depth=1
	global_load_dword v23, v[4:5], off
	s_waitcnt vmcnt(0)
	v_mad_i64_i32 v[24:25], s[0:1], v23, s51, 0
	v_lshl_add_u64 v[24:25], v[24:25], 1, v[2:3]
	global_load_dword v23, v[24:25], off
	global_load_dword v32, v[24:25], off offset:256
	global_load_dword v33, v[24:25], off offset:512
	;; [unrolled: 1-line block ×7, first 2 shown]
	ds_read_b128 v[24:27], v9
	ds_read_b128 v[28:31], v9 offset:16
	v_cmp_lt_i32_e64 s[0:1], v20, v19
	s_waitcnt lgkmcnt(1)
	v_lshlrev_b32_e32 v41, 16, v25
	v_and_b32_e32 v25, 0xffff0000, v25
	v_lshlrev_b32_e32 v40, 16, v24
	v_and_b32_e32 v24, 0xffff0000, v24
	v_lshlrev_b32_e32 v42, 16, v26
	v_and_b32_e32 v26, 0xffff0000, v26
	v_lshlrev_b32_e32 v43, 16, v27
	v_and_b32_e32 v27, 0xffff0000, v27
	s_waitcnt lgkmcnt(0)
	v_lshlrev_b32_e32 v44, 16, v28
	v_and_b32_e32 v28, 0xffff0000, v28
	v_lshlrev_b32_e32 v45, 16, v29
	v_and_b32_e32 v29, 0xffff0000, v29
	;; [unrolled: 2-line block ×4, first 2 shown]
	v_cndmask_b32_e64 v39, v18, v20, s[0:1]
	v_lshlrev_b32_e32 v39, 2, v39
	v_cmp_lt_i32_e64 s[0:1], v21, v19
	s_waitcnt vmcnt(7)
	v_lshlrev_b32_e32 v48, 16, v23
	s_waitcnt vmcnt(6)
	v_lshlrev_b32_e32 v49, 16, v32
	v_and_b32_e32 v32, 0xffff0000, v32
	v_and_b32_e32 v23, 0xffff0000, v23
	v_mul_f32_e32 v41, v41, v49
	v_mul_f32_e32 v25, v25, v32
	s_waitcnt vmcnt(5)
	v_lshlrev_b32_e32 v50, 16, v33
	v_and_b32_e32 v33, 0xffff0000, v33
	v_fmac_f32_e32 v41, v40, v48
	v_fmac_f32_e32 v25, v24, v23
	s_waitcnt vmcnt(4)
	v_lshlrev_b32_e32 v51, 16, v34
	v_and_b32_e32 v34, 0xffff0000, v34
	v_fmac_f32_e32 v41, v42, v50
	v_fmac_f32_e32 v25, v26, v33
	;; [unrolled: 5-line block ×6, first 2 shown]
	v_fmac_f32_e32 v41, v47, v55
	v_fmac_f32_e32 v25, v31, v38
	v_add_f32_e32 v23, v41, v25
	ds_bpermute_b32 v24, v39, v23
	v_cndmask_b32_e64 v25, v18, v21, s[0:1]
	v_lshlrev_b32_e32 v25, 2, v25
	s_waitcnt lgkmcnt(0)
	v_add_f32_e32 v23, v23, v24
	ds_bpermute_b32 v24, v25, v23
	s_and_saveexec_b64 s[44:45], vcc
	s_cbranch_execz .LBB154_12
; %bb.18:                               ;   in Loop: Header=BB154_14 Depth=1
	v_add_u32_e32 v25, v16, v14
	v_cvt_f32_i32_e32 v25, v25
	s_waitcnt lgkmcnt(0)
	v_add_f32_e32 v23, v23, v24
	v_add_u32_e32 v26, v8, v14
	v_cmp_gt_i32_e64 s[0:1], s33, v26
	v_mul_f32_e32 v24, s3, v25
	v_cndmask_b32_e64 v24, 0, v24, s[6:7]
	v_fmac_f32_e32 v24, s39, v23
	v_cndmask_b32_e64 v23, 0, v24, s[0:1]
	ds_write_b32 v15, v23
	v_max_f32_e32 v23, v12, v12
	v_max_f32_e32 v23, v23, v24
	v_cndmask_b32_e64 v12, v12, v23, s[0:1]
	s_branch .LBB154_12
.LBB154_19:
	s_or_b64 exec, exec, s[42:43]
.LBB154_20:
	s_or_b64 exec, exec, s[40:41]
	v_mbcnt_hi_u32_b32 v2, -1, v7
	v_and_b32_e32 v3, 64, v2
	v_add_u32_e32 v3, 64, v3
	v_xor_b32_e32 v4, 32, v2
	v_cmp_lt_i32_e32 vcc, v4, v3
	v_xor_b32_e32 v8, 16, v2
	v_max_f32_e32 v7, v12, v12
	v_cndmask_b32_e32 v4, v2, v4, vcc
	v_lshlrev_b32_e32 v5, 2, v4
	ds_bpermute_b32 v4, v5, v12
	v_cmp_lt_i32_e32 vcc, v8, v3
	v_xor_b32_e32 v9, 8, v2
	v_and_b32_e32 v20, 63, v0
	s_waitcnt lgkmcnt(0)
	v_max_f32_e32 v4, v4, v4
	v_max_f32_e32 v4, v7, v4
	v_cndmask_b32_e32 v7, v2, v8, vcc
	v_lshlrev_b32_e32 v7, 2, v7
	ds_bpermute_b32 v8, v7, v4
	v_cmp_lt_i32_e32 vcc, v9, v3
	s_waitcnt lgkmcnt(0)
	v_max_f32_e32 v8, v8, v8
	v_max_f32_e32 v4, v4, v8
	v_cndmask_b32_e32 v8, v2, v9, vcc
	v_lshlrev_b32_e32 v12, 2, v8
	ds_bpermute_b32 v8, v12, v4
	v_xor_b32_e32 v9, 4, v2
	v_cmp_lt_i32_e32 vcc, v9, v3
	s_waitcnt lgkmcnt(0)
	v_max_f32_e32 v8, v8, v8
	v_max_f32_e32 v4, v4, v8
	v_cndmask_b32_e32 v8, v2, v9, vcc
	v_lshlrev_b32_e32 v13, 2, v8
	ds_bpermute_b32 v9, v13, v4
	v_cmp_eq_u32_e32 vcc, 0, v20
	v_lshlrev_b32_e32 v8, 2, v6
	s_and_saveexec_b64 s[0:1], vcc
	s_cbranch_execz .LBB154_22
; %bb.21:
	s_waitcnt lgkmcnt(0)
	v_max_f32_e32 v9, v9, v9
	v_max_f32_e32 v4, v4, v4
	v_max_f32_e32 v4, v4, v9
	ds_write_b32 v8, v4 offset:128
.LBB154_22:
	s_or_b64 exec, exec, s[0:1]
	v_cmp_gt_u32_e64 s[0:1], 2, v20
	v_mov_b32_e32 v4, 0xff7fffff
	s_waitcnt lgkmcnt(0)
	v_lshlrev_b32_e32 v9, 2, v20
	s_barrier
	s_and_saveexec_b64 s[6:7], s[0:1]
	s_cbranch_execz .LBB154_24
; %bb.23:
	ds_read_b32 v4, v9 offset:128
.LBB154_24:
	s_or_b64 exec, exec, s[6:7]
	v_xor_b32_e32 v14, 1, v2
	v_cmp_lt_i32_e64 s[6:7], v14, v3
	s_sub_i32 s3, s16, s38
	s_lshl_b32 s3, s3, 4
	v_cndmask_b32_e64 v14, v2, v14, s[6:7]
	v_lshlrev_b32_e32 v21, 2, v14
	s_waitcnt lgkmcnt(0)
	ds_bpermute_b32 v14, v21, v4
	v_max_f32_e32 v4, v4, v4
	s_add_i32 s3, s3, s5
	s_min_i32 s15, s3, s33
	s_sub_i32 s3, s15, s5
	s_waitcnt lgkmcnt(0)
	v_max_f32_e32 v14, v14, v14
	v_max_f32_e32 v4, v4, v14
	v_lshlrev_b32_e32 v14, 2, v2
	v_and_b32_e32 v14, 0x100, v14
	ds_bpermute_b32 v4, v14, v4
	v_cmp_gt_i32_e64 s[6:7], s3, v0
	v_mov_b32_e32 v15, 0
	s_and_saveexec_b64 s[38:39], s[6:7]
	s_cbranch_execz .LBB154_28
; %bb.25:
	v_mov_b32_e32 v15, 0x90
	v_lshl_add_u32 v16, v0, 2, v15
	s_mov_b64 s[40:41], 0
	v_mov_b32_e32 v15, 0
	v_mov_b32_e32 v17, v0
.LBB154_26:                             ; =>This Inner Loop Header: Depth=1
	ds_read_b32 v18, v16
	v_add_u32_e32 v17, 0x80, v17
	v_cmp_le_i32_e64 s[10:11], s3, v17
	s_or_b64 s[40:41], s[10:11], s[40:41]
	s_waitcnt lgkmcnt(0)
	v_sub_f32_e32 v18, v18, v4
	v_mul_f32_e32 v18, 0x3fb8aa3b, v18
	v_exp_f32_e32 v18, v18
	ds_write_b32 v16, v18
	v_add_f32_e32 v15, v15, v18
	v_add_u32_e32 v16, 0x200, v16
	s_andn2_b64 exec, exec, s[40:41]
	s_cbranch_execnz .LBB154_26
; %bb.27:
	s_or_b64 exec, exec, s[40:41]
.LBB154_28:
	s_or_b64 exec, exec, s[38:39]
	ds_bpermute_b32 v5, v5, v15
	s_waitcnt lgkmcnt(0)
	v_add_f32_e32 v5, v15, v5
	ds_bpermute_b32 v7, v7, v5
	s_waitcnt lgkmcnt(0)
	v_add_f32_e32 v5, v5, v7
	ds_bpermute_b32 v7, v12, v5
	v_xor_b32_e32 v12, 2, v2
	v_cmp_lt_i32_e64 s[10:11], v12, v3
	s_waitcnt lgkmcnt(0)
	v_add_f32_e32 v5, v5, v7
	ds_bpermute_b32 v7, v13, v5
	v_cndmask_b32_e64 v2, v2, v12, s[10:11]
	v_lshlrev_b32_e32 v2, 2, v2
	s_waitcnt lgkmcnt(0)
	v_add_f32_e32 v3, v5, v7
	ds_bpermute_b32 v2, v2, v3
	s_waitcnt lgkmcnt(0)
	v_add_f32_e32 v2, v3, v2
	ds_bpermute_b32 v3, v21, v2
	s_waitcnt lgkmcnt(0)
	v_add_f32_e32 v2, v2, v3
	s_and_saveexec_b64 s[10:11], vcc
	s_cbranch_execz .LBB154_30
; %bb.29:
	ds_write_b32 v8, v2 offset:136
.LBB154_30:
	s_or_b64 exec, exec, s[10:11]
	s_waitcnt lgkmcnt(0)
	s_barrier
	s_and_saveexec_b64 s[10:11], s[0:1]
	s_cbranch_execz .LBB154_32
; %bb.31:
	ds_read_b32 v2, v9 offset:136
.LBB154_32:
	s_or_b64 exec, exec, s[10:11]
	s_waitcnt lgkmcnt(0)
	ds_bpermute_b32 v3, v21, v2
	s_waitcnt lgkmcnt(0)
	v_add_f32_e32 v2, v2, v3
	ds_bpermute_b32 v5, v14, v2
	s_and_saveexec_b64 s[0:1], s[6:7]
	s_cbranch_execz .LBB154_45
; %bb.33:
	s_waitcnt lgkmcnt(0)
	v_add_f32_e32 v2, 0x358637bd, v5
	v_div_scale_f32 v3, s[6:7], v2, v2, 1.0
	v_rcp_f32_e32 v7, v3
	v_div_scale_f32 v8, vcc, 1.0, v2, 1.0
	s_mov_b64 s[10:11], -1
	v_fma_f32 v9, -v3, v7, 1.0
	v_fmac_f32_e32 v7, v9, v7
	v_mul_f32_e32 v9, v8, v7
	v_fma_f32 v12, -v3, v9, v8
	v_fmac_f32_e32 v9, v12, v7
	v_fma_f32 v3, -v3, v9, v8
	v_div_fmas_f32 v3, v3, v7, v9
	v_div_fixup_f32 v2, v3, v2, 1.0
	v_xad_u32 v3, v0, -1, s15
	v_subrev_u32_e32 v7, s5, v3
	s_movk_i32 s5, 0x7f
	v_cmp_lt_u32_e32 vcc, s5, v7
	v_mov_b32_e32 v3, v0
	s_and_saveexec_b64 s[6:7], vcc
	s_cbranch_execz .LBB154_42
; %bb.34:
	v_lshrrev_b32_e32 v7, 7, v7
	v_add_u32_e32 v9, -1, v7
	v_lshrrev_b32_e32 v8, 1, v9
	v_mov_b32_e32 v3, v2
	v_add_u32_e32 v8, 1, v8
	v_cmp_lt_u32_e32 vcc, 13, v9
	v_mov_b32_e32 v13, 0
	s_and_saveexec_b64 s[10:11], vcc
	s_cbranch_execz .LBB154_38
; %bb.35:
	v_mov_b32_e32 v12, 0x90
	v_and_b32_e32 v9, -8, v8
	v_lshl_add_u32 v12, v0, 2, v12
	s_mov_b32 s5, 0
	s_mov_b64 s[38:39], 0
.LBB154_36:                             ; =>This Inner Loop Header: Depth=1
	ds_read2st64_b32 v[14:15], v12 offset1:2
	ds_read2st64_b32 v[16:17], v12 offset0:4 offset1:6
	ds_read2st64_b32 v[18:19], v12 offset0:8 offset1:10
	;; [unrolled: 1-line block ×3, first 2 shown]
	v_add_u32_e32 v9, -8, v9
	s_waitcnt lgkmcnt(3)
	v_pk_mul_f32 v[14:15], v[2:3], v[14:15]
	s_waitcnt lgkmcnt(2)
	v_pk_mul_f32 v[16:17], v[2:3], v[16:17]
	ds_write2st64_b32 v12, v14, v15 offset1:2
	ds_write2st64_b32 v12, v16, v17 offset0:4 offset1:6
	ds_read2st64_b32 v[16:17], v12 offset0:16 offset1:18
	s_waitcnt lgkmcnt(4)
	v_pk_mul_f32 v[14:15], v[2:3], v[18:19]
	ds_write2st64_b32 v12, v14, v15 offset0:8 offset1:10
	s_waitcnt lgkmcnt(4)
	v_pk_mul_f32 v[14:15], v[2:3], v[22:23]
	ds_write2st64_b32 v12, v14, v15 offset0:12 offset1:14
	ds_read2st64_b32 v[14:15], v12 offset0:20 offset1:22
	s_waitcnt lgkmcnt(3)
	v_pk_mul_f32 v[16:17], v[2:3], v[16:17]
	ds_read2st64_b32 v[18:19], v12 offset0:24 offset1:26
	ds_write2st64_b32 v12, v16, v17 offset0:16 offset1:18
	ds_read2st64_b32 v[16:17], v12 offset0:28 offset1:30
	s_waitcnt lgkmcnt(3)
	v_pk_mul_f32 v[14:15], v[2:3], v[14:15]
	ds_write2st64_b32 v12, v14, v15 offset0:20 offset1:22
	s_waitcnt lgkmcnt(3)
	v_pk_mul_f32 v[14:15], v[2:3], v[18:19]
	ds_write2st64_b32 v12, v14, v15 offset0:24 offset1:26
	s_waitcnt lgkmcnt(2)
	v_pk_mul_f32 v[14:15], v[2:3], v[16:17]
	s_add_i32 s5, s5, 16
	v_cmp_eq_u32_e32 vcc, 0, v9
	ds_write2st64_b32 v12, v14, v15 offset0:28 offset1:30
	v_add_u32_e32 v12, 0x2000, v12
	s_or_b64 s[38:39], vcc, s[38:39]
	v_mov_b32_e32 v13, s5
	s_andn2_b64 exec, exec, s[38:39]
	s_cbranch_execnz .LBB154_36
; %bb.37:
	s_or_b64 exec, exec, s[38:39]
.LBB154_38:
	s_or_b64 exec, exec, s[10:11]
	v_and_b32_e32 v8, 7, v8
	v_cmp_ne_u32_e32 vcc, 0, v8
	s_and_saveexec_b64 s[10:11], vcc
	s_cbranch_execz .LBB154_41
; %bb.39:
	v_lshlrev_b32_e32 v9, 9, v13
	v_lshlrev_b32_e32 v12, 2, v0
	s_movk_i32 s5, 0x90
	v_add3_u32 v9, v9, v12, s5
	s_mov_b64 s[38:39], 0
.LBB154_40:                             ; =>This Inner Loop Header: Depth=1
	ds_read2st64_b32 v[12:13], v9 offset1:2
	v_add_u32_e32 v8, -1, v8
	v_cmp_eq_u32_e32 vcc, 0, v8
	s_or_b64 s[38:39], vcc, s[38:39]
	s_waitcnt lgkmcnt(0)
	v_pk_mul_f32 v[12:13], v[2:3], v[12:13]
	ds_write2st64_b32 v9, v12, v13 offset1:2
	v_add_u32_e32 v9, 0x400, v9
	s_andn2_b64 exec, exec, s[38:39]
	s_cbranch_execnz .LBB154_40
.LBB154_41:
	s_or_b64 exec, exec, s[10:11]
	v_add_u32_e32 v7, 1, v7
	v_and_b32_e32 v8, 0x3fffffe, v7
	v_cmp_ne_u32_e32 vcc, v7, v8
	v_lshl_add_u32 v3, v8, 7, v0
	s_orn2_b64 s[10:11], vcc, exec
.LBB154_42:
	s_or_b64 exec, exec, s[6:7]
	s_and_b64 exec, exec, s[10:11]
	s_cbranch_execz .LBB154_45
; %bb.43:
	v_mov_b32_e32 v7, 0x90
	v_lshl_add_u32 v7, v3, 2, v7
	s_mov_b64 s[6:7], 0
.LBB154_44:                             ; =>This Inner Loop Header: Depth=1
	ds_read_b32 v8, v7
	v_add_u32_e32 v3, 0x80, v3
	v_cmp_le_i32_e32 vcc, s3, v3
	s_or_b64 s[6:7], vcc, s[6:7]
	s_waitcnt lgkmcnt(0)
	v_mul_f32_e32 v8, v2, v8
	ds_write_b32 v7, v8
	v_add_u32_e32 v7, 0x200, v7
	s_andn2_b64 exec, exec, s[6:7]
	s_cbranch_execnz .LBB154_44
.LBB154_45:
	s_or_b64 exec, exec, s[0:1]
	v_cmp_eq_u32_e32 vcc, 0, v0
	s_waitcnt lgkmcnt(0)
	s_barrier
	s_and_saveexec_b64 s[0:1], vcc
	s_cbranch_execz .LBB154_47
; %bb.46:
	s_mul_i32 s3, s12, s24
	s_mul_i32 s6, s3, s25
	s_ashr_i32 s7, s6, 31
	s_lshl_b64 s[6:7], s[6:7], 2
	s_add_u32 s5, s22, s6
	s_mul_i32 s2, s12, s2
	s_addc_u32 s10, s23, s7
	s_ashr_i32 s3, s2, 31
	s_lshl_b64 s[2:3], s[2:3], 2
	s_add_u32 s15, s5, s2
	s_addc_u32 s23, s10, s3
	s_ashr_i32 s5, s4, 31
	s_lshl_b64 s[10:11], s[4:5], 2
	s_add_u32 s22, s15, s10
	s_addc_u32 s23, s23, s11
	s_add_u32 s5, s20, s6
	s_addc_u32 s6, s21, s7
	;; [unrolled: 2-line block ×3, first 2 shown]
	s_add_u32 s2, s2, s10
	v_mov_b32_e32 v2, 0
	s_addc_u32 s3, s3, s11
	global_store_dword v2, v4, s[22:23]
	global_store_dword v2, v5, s[2:3]
.LBB154_47:
	s_or_b64 exec, exec, s[0:1]
	v_mov_b32_e32 v15, 0
	v_and_b32_e32 v22, 1, v0
	v_mov_b32_e32 v14, v15
	s_and_saveexec_b64 s[2:3], s[8:9]
	s_cbranch_execz .LBB154_153
; %bb.48:
	s_ashr_i32 s15, s14, 31
	s_sub_i32 s5, s49, s17
	s_lshl_b64 s[0:1], s[14:15], 1
	s_add_u32 s0, s36, s0
	s_addc_u32 s1, s37, s1
	s_abs_i32 s14, s18
	v_cvt_f32_u32_e32 v2, s14
	v_lshlrev_b32_e32 v3, 3, v0
	v_lshlrev_b32_e32 v4, 4, v0
	s_sub_i32 s6, 0, s14
	v_rcp_iflag_f32_e32 v2, v2
	v_mov_b32_e32 v13, 0
	v_and_b32_e32 v23, 8, v3
	v_and_b32_e32 v12, 0x3f0, v4
	v_mul_f32_e32 v2, 0x4f7ffffe, v2
	v_cvt_u32_f32_e32 v2, v2
	s_add_i32 s15, s48, -1
	v_lshl_add_u64 v[16:17], s[0:1], 0, v[12:13]
	s_lshl_b64 s[0:1], s[34:35], 2
	v_mul_lo_u32 v3, s6, v2
	v_mul_hi_u32 v3, v2, v3
	v_add_u32_e32 v24, v2, v3
	s_add_u32 s0, s30, s0
	v_lshlrev_b32_e32 v2, 5, v22
	s_addc_u32 s1, s31, s1
	v_lshl_or_b32 v2, v6, 6, v2
	v_lshl_add_u64 v[18:19], v[10:11], 2, s[0:1]
	v_add_u32_e32 v11, 0x90, v2
	s_mov_b64 s[6:7], 0
	s_mov_b32 s17, 0x7f800000
	s_movk_i32 s18, 0x7fff
	v_mov_b32_e32 v14, 0
	v_mov_b32_e32 v15, v13
	s_branch .LBB154_51
.LBB154_49:                             ;   in Loop: Header=BB154_51 Depth=1
	s_or_b64 exec, exec, s[0:1]
	v_and_b32_e32 v35, 0xffff0000, v25
	v_and_b32_e32 v34, 0xffff0000, v9
	;; [unrolled: 1-line block ×4, first 2 shown]
	v_pk_add_f32 v[8:9], v[8:9], v[34:35]
	v_and_b32_e32 v33, 0xffff0000, v37
	v_and_b32_e32 v32, 0xffff0000, v27
	;; [unrolled: 1-line block ×4, first 2 shown]
	v_mov_b32_e32 v12, v9
	v_and_b32_e32 v29, 0xffff0000, v29
	v_and_b32_e32 v28, 0xffff0000, v7
	;; [unrolled: 1-line block ×4, first 2 shown]
	v_pk_add_f32 v[8:9], v[8:9], v[12:13]
	v_pk_add_f32 v[26:27], v[26:27], v[32:33]
	;; [unrolled: 1-line block ×4, first 2 shown]
	v_mov_b32_e32 v12, v27
	v_and_b32_e32 v27, 0xffff0000, v6
	v_and_b32_e32 v26, 0xffff0000, v30
	v_and_b32_e32 v5, 0xffff0000, v5
	v_and_b32_e32 v4, 0xffff0000, v4
	v_mov_b32_e32 v6, v3
	v_pk_add_f32 v[2:3], v[2:3], v[6:7]
	v_pk_add_f32 v[4:5], v[4:5], v[26:27]
	;; [unrolled: 1-line block ×4, first 2 shown]
	v_mov_b32_e32 v4, v5
	v_pk_add_f32 v[2:3], v[2:3], v[4:5]
	v_pk_add_f32 v[8:9], v[14:15], v[8:9]
	v_mov_b32_e32 v3, v2
	v_pk_add_f32 v[2:3], v[14:15], v[2:3]
	s_nop 0
	v_mov_b32_e32 v9, v3
	v_mov_b64_e32 v[14:15], v[8:9]
.LBB154_50:                             ;   in Loop: Header=BB154_51 Depth=1
	s_or_b64 exec, exec, s[8:9]
	v_add_u32_e32 v10, 2, v10
	v_cmp_le_i32_e32 vcc, s16, v10
	v_lshl_add_u64 v[18:19], v[18:19], 0, 8
	v_add_u32_e32 v1, 32, v1
	s_or_b64 s[6:7], vcc, s[6:7]
	v_add_u32_e32 v11, 0x80, v11
	s_andn2_b64 exec, exec, s[6:7]
	s_cbranch_execz .LBB154_152
.LBB154_51:                             ; =>This Inner Loop Header: Depth=1
	v_sub_u32_e32 v3, 0, v1
	v_max_i32_e32 v3, v1, v3
	v_mul_hi_u32 v4, v3, s46
	v_mul_lo_u32 v5, v4, s27
	v_sub_u32_e32 v3, v3, v5
	v_add_u32_e32 v5, 1, v4
	v_cmp_le_u32_e32 vcc, s27, v3
	v_ashrrev_i32_e32 v2, 31, v1
	v_xor_b32_e32 v2, s19, v2
	v_cndmask_b32_e32 v4, v4, v5, vcc
	v_subrev_u32_e32 v5, s27, v3
	v_cndmask_b32_e32 v3, v3, v5, vcc
	v_add_u32_e32 v5, 1, v4
	v_cmp_le_u32_e32 vcc, s27, v3
	s_nop 1
	v_cndmask_b32_e32 v3, v4, v5, vcc
	v_xor_b32_e32 v3, v3, v2
	v_sub_u32_e32 v2, v3, v2
	v_add_u32_e32 v3, s47, v2
	v_sub_u32_e32 v5, 0, v3
	v_ashrrev_i32_e32 v4, 31, v3
	v_max_i32_e32 v3, v3, v5
	v_mul_hi_u32 v5, v3, v24
	v_mul_lo_u32 v5, v5, s14
	v_sub_u32_e32 v3, v3, v5
	v_subrev_u32_e32 v5, s14, v3
	v_cmp_le_u32_e32 vcc, s14, v3
	v_cmp_lt_i32_e64 s[0:1], s5, v2
	s_nop 0
	v_cndmask_b32_e32 v3, v3, v5, vcc
	v_subrev_u32_e32 v5, s14, v3
	v_cmp_le_u32_e32 vcc, s14, v3
	s_nop 1
	v_cndmask_b32_e32 v3, v3, v5, vcc
	v_xor_b32_e32 v3, v3, v4
	v_sub_u32_e32 v3, v3, v4
	v_cmp_eq_u32_e32 vcc, 0, v3
	s_or_b64 s[0:1], vcc, s[0:1]
	s_and_saveexec_b64 s[8:9], s[0:1]
	s_cbranch_execz .LBB154_50
; %bb.52:                               ;   in Loop: Header=BB154_51 Depth=1
	global_load_dword v29, v[18:19], off
	ds_read2_b64 v[6:9], v11 offset1:1
	ds_read2_b64 v[2:5], v11 offset0:2 offset1:3
                                        ; implicit-def: $vgpr38
	s_waitcnt lgkmcnt(1)
	v_and_b32_e32 v12, 0x7f800000, v6
	v_cmp_ne_u32_e32 vcc, s17, v12
	s_and_saveexec_b64 s[0:1], vcc
	s_xor_b64 s[0:1], exec, s[0:1]
; %bb.53:                               ;   in Loop: Header=BB154_51 Depth=1
	v_bfe_u32 v12, v6, 16, 1
	v_add3_u32 v38, v6, v12, s18
; %bb.54:                               ;   in Loop: Header=BB154_51 Depth=1
	s_andn2_saveexec_b64 s[0:1], s[0:1]
; %bb.55:                               ;   in Loop: Header=BB154_51 Depth=1
	v_or_b32_e32 v12, 0x10000, v6
	v_cmp_eq_u32_sdwa vcc, v6, v13 src0_sel:WORD_0 src1_sel:DWORD
	s_nop 1
	v_cndmask_b32_e32 v38, v12, v6, vcc
; %bb.56:                               ;   in Loop: Header=BB154_51 Depth=1
	s_or_b64 exec, exec, s[0:1]
	v_and_b32_e32 v6, 0x7f800000, v7
	v_cmp_ne_u32_e32 vcc, s17, v6
                                        ; implicit-def: $vgpr39
	s_and_saveexec_b64 s[0:1], vcc
	s_xor_b64 s[0:1], exec, s[0:1]
; %bb.57:                               ;   in Loop: Header=BB154_51 Depth=1
	v_bfe_u32 v6, v7, 16, 1
	v_add3_u32 v39, v7, v6, s18
; %bb.58:                               ;   in Loop: Header=BB154_51 Depth=1
	s_andn2_saveexec_b64 s[0:1], s[0:1]
; %bb.59:                               ;   in Loop: Header=BB154_51 Depth=1
	v_or_b32_e32 v6, 0x10000, v7
	v_cmp_eq_u32_sdwa vcc, v7, v13 src0_sel:WORD_0 src1_sel:DWORD
	s_nop 1
	v_cndmask_b32_e32 v39, v6, v7, vcc
; %bb.60:                               ;   in Loop: Header=BB154_51 Depth=1
	s_or_b64 exec, exec, s[0:1]
	v_and_b32_e32 v6, 0x7f800000, v8
	v_cmp_ne_u32_e32 vcc, s17, v6
                                        ; implicit-def: $vgpr12
	s_and_saveexec_b64 s[0:1], vcc
	s_xor_b64 s[0:1], exec, s[0:1]
; %bb.61:                               ;   in Loop: Header=BB154_51 Depth=1
	v_bfe_u32 v6, v8, 16, 1
	v_add3_u32 v12, v8, v6, s18
; %bb.62:                               ;   in Loop: Header=BB154_51 Depth=1
	s_andn2_saveexec_b64 s[0:1], s[0:1]
; %bb.63:                               ;   in Loop: Header=BB154_51 Depth=1
	v_or_b32_e32 v6, 0x10000, v8
	v_cmp_eq_u32_sdwa vcc, v8, v13 src0_sel:WORD_0 src1_sel:DWORD
	s_nop 1
	v_cndmask_b32_e32 v12, v6, v8, vcc
; %bb.64:                               ;   in Loop: Header=BB154_51 Depth=1
	s_or_b64 exec, exec, s[0:1]
	v_and_b32_e32 v6, 0x7f800000, v9
	v_cmp_ne_u32_e32 vcc, s17, v6
                                        ; implicit-def: $vgpr25
	s_and_saveexec_b64 s[0:1], vcc
	s_xor_b64 s[0:1], exec, s[0:1]
; %bb.65:                               ;   in Loop: Header=BB154_51 Depth=1
	v_bfe_u32 v6, v9, 16, 1
	v_add3_u32 v25, v9, v6, s18
                                        ; implicit-def: $vgpr6_vgpr7_vgpr8_vgpr9
; %bb.66:                               ;   in Loop: Header=BB154_51 Depth=1
	s_andn2_saveexec_b64 s[0:1], s[0:1]
; %bb.67:                               ;   in Loop: Header=BB154_51 Depth=1
	v_or_b32_e32 v6, 0x10000, v9
	v_cmp_eq_u32_sdwa vcc, v9, v13 src0_sel:WORD_0 src1_sel:DWORD
	s_nop 1
	v_cndmask_b32_e32 v25, v6, v9, vcc
; %bb.68:                               ;   in Loop: Header=BB154_51 Depth=1
	s_or_b64 exec, exec, s[0:1]
	s_waitcnt lgkmcnt(0)
	v_and_b32_e32 v6, 0x7f800000, v2
	v_cmp_ne_u32_e32 vcc, s17, v6
                                        ; implicit-def: $vgpr26
	s_and_saveexec_b64 s[0:1], vcc
	s_xor_b64 s[0:1], exec, s[0:1]
; %bb.69:                               ;   in Loop: Header=BB154_51 Depth=1
	v_bfe_u32 v6, v2, 16, 1
	v_add3_u32 v26, v2, v6, s18
; %bb.70:                               ;   in Loop: Header=BB154_51 Depth=1
	s_andn2_saveexec_b64 s[0:1], s[0:1]
; %bb.71:                               ;   in Loop: Header=BB154_51 Depth=1
	v_or_b32_e32 v6, 0x10000, v2
	v_cmp_eq_u32_sdwa vcc, v2, v13 src0_sel:WORD_0 src1_sel:DWORD
	s_nop 1
	v_cndmask_b32_e32 v26, v6, v2, vcc
; %bb.72:                               ;   in Loop: Header=BB154_51 Depth=1
	s_or_b64 exec, exec, s[0:1]
	v_and_b32_e32 v2, 0x7f800000, v3
	v_cmp_ne_u32_e32 vcc, s17, v2
                                        ; implicit-def: $vgpr27
	s_and_saveexec_b64 s[0:1], vcc
	s_xor_b64 s[0:1], exec, s[0:1]
; %bb.73:                               ;   in Loop: Header=BB154_51 Depth=1
	v_bfe_u32 v2, v3, 16, 1
	v_add3_u32 v27, v3, v2, s18
; %bb.74:                               ;   in Loop: Header=BB154_51 Depth=1
	s_andn2_saveexec_b64 s[0:1], s[0:1]
; %bb.75:                               ;   in Loop: Header=BB154_51 Depth=1
	v_or_b32_e32 v2, 0x10000, v3
	v_cmp_eq_u32_sdwa vcc, v3, v13 src0_sel:WORD_0 src1_sel:DWORD
	s_nop 1
	v_cndmask_b32_e32 v27, v2, v3, vcc
; %bb.76:                               ;   in Loop: Header=BB154_51 Depth=1
	s_or_b64 exec, exec, s[0:1]
	v_and_b32_e32 v2, 0x7f800000, v4
	v_cmp_ne_u32_e32 vcc, s17, v2
                                        ; implicit-def: $vgpr28
	s_and_saveexec_b64 s[0:1], vcc
	s_xor_b64 s[0:1], exec, s[0:1]
; %bb.77:                               ;   in Loop: Header=BB154_51 Depth=1
	v_bfe_u32 v2, v4, 16, 1
	v_add3_u32 v28, v4, v2, s18
; %bb.78:                               ;   in Loop: Header=BB154_51 Depth=1
	s_andn2_saveexec_b64 s[0:1], s[0:1]
; %bb.79:                               ;   in Loop: Header=BB154_51 Depth=1
	v_or_b32_e32 v2, 0x10000, v4
	v_cmp_eq_u32_sdwa vcc, v4, v13 src0_sel:WORD_0 src1_sel:DWORD
	s_nop 1
	v_cndmask_b32_e32 v28, v2, v4, vcc
; %bb.80:                               ;   in Loop: Header=BB154_51 Depth=1
	s_or_b64 exec, exec, s[0:1]
	v_and_b32_e32 v2, 0x7f800000, v5
	v_cmp_ne_u32_e32 vcc, s17, v2
                                        ; implicit-def: $vgpr37
	s_and_saveexec_b64 s[0:1], vcc
	s_xor_b64 s[0:1], exec, s[0:1]
; %bb.81:                               ;   in Loop: Header=BB154_51 Depth=1
	v_bfe_u32 v2, v5, 16, 1
	v_add3_u32 v37, v5, v2, s18
                                        ; implicit-def: $vgpr2_vgpr3_vgpr4_vgpr5
; %bb.82:                               ;   in Loop: Header=BB154_51 Depth=1
	s_andn2_saveexec_b64 s[0:1], s[0:1]
; %bb.83:                               ;   in Loop: Header=BB154_51 Depth=1
	v_or_b32_e32 v2, 0x10000, v5
	v_cmp_eq_u32_sdwa vcc, v5, v13 src0_sel:WORD_0 src1_sel:DWORD
	s_nop 1
	v_cndmask_b32_e32 v37, v2, v5, vcc
; %bb.84:                               ;   in Loop: Header=BB154_51 Depth=1
	s_or_b64 exec, exec, s[0:1]
	s_waitcnt vmcnt(0)
	v_mad_i64_i32 v[2:3], s[0:1], v29, s13, 0
	v_lshl_add_u64 v[6:7], v[2:3], 1, v[16:17]
	global_load_dwordx4 v[2:5], v[6:7], off
	v_add_u32_e32 v29, v23, v1
	v_cmp_eq_u32_e32 vcc, s15, v10
	v_add_u32_e32 v36, 1, v29
	v_add_u32_e32 v35, 2, v29
	;; [unrolled: 1-line block ×7, first 2 shown]
	s_waitcnt vmcnt(0)
	v_lshrrev_b32_e32 v9, 16, v2
	v_lshrrev_b32_e32 v42, 16, v3
	v_lshrrev_b32_e32 v44, 16, v4
	v_lshrrev_b32_e32 v46, 16, v5
	s_and_saveexec_b64 s[10:11], vcc
	s_cbranch_execz .LBB154_86
; %bb.85:                               ;   in Loop: Header=BB154_51 Depth=1
	v_cmp_gt_i32_e64 s[0:1], s33, v29
	s_nop 1
	v_cndmask_b32_e64 v2, 0, v2, s[0:1]
	v_cmp_gt_i32_e64 s[0:1], s33, v36
	s_nop 1
	v_cndmask_b32_e64 v9, 0, v9, s[0:1]
	;; [unrolled: 3-line block ×8, first 2 shown]
.LBB154_86:                             ;   in Loop: Header=BB154_51 Depth=1
	s_or_b64 exec, exec, s[10:11]
	v_and_b32_e32 v38, 0xffff0000, v38
	v_lshlrev_b32_e32 v2, 16, v2
	v_mul_f32_e32 v2, v38, v2
	v_and_b32_e32 v8, 0x7f800000, v2
	v_cmp_ne_u32_e64 s[0:1], s17, v8
                                        ; implicit-def: $vgpr8
	s_and_saveexec_b64 s[10:11], s[0:1]
	s_xor_b64 s[0:1], exec, s[10:11]
; %bb.87:                               ;   in Loop: Header=BB154_51 Depth=1
	v_bfe_u32 v8, v2, 16, 1
	v_add3_u32 v8, v2, v8, s18
                                        ; implicit-def: $vgpr2
; %bb.88:                               ;   in Loop: Header=BB154_51 Depth=1
	s_andn2_saveexec_b64 s[10:11], s[0:1]
; %bb.89:                               ;   in Loop: Header=BB154_51 Depth=1
	v_or_b32_e32 v8, 0x10000, v2
	v_cmp_eq_u32_sdwa s[0:1], v2, v13 src0_sel:WORD_0 src1_sel:DWORD
	s_nop 1
	v_cndmask_b32_e64 v8, v8, v2, s[0:1]
; %bb.90:                               ;   in Loop: Header=BB154_51 Depth=1
	s_or_b64 exec, exec, s[10:11]
	v_and_b32_e32 v39, 0xffff0000, v39
	v_lshlrev_b32_e32 v2, 16, v9
	v_mul_f32_e32 v2, v39, v2
	v_and_b32_e32 v9, 0x7f800000, v2
	v_cmp_ne_u32_e64 s[0:1], s17, v9
                                        ; implicit-def: $vgpr9
	s_and_saveexec_b64 s[10:11], s[0:1]
	s_xor_b64 s[0:1], exec, s[10:11]
; %bb.91:                               ;   in Loop: Header=BB154_51 Depth=1
	v_bfe_u32 v9, v2, 16, 1
	v_add3_u32 v9, v2, v9, s18
                                        ; implicit-def: $vgpr2
; %bb.92:                               ;   in Loop: Header=BB154_51 Depth=1
	s_andn2_saveexec_b64 s[10:11], s[0:1]
; %bb.93:                               ;   in Loop: Header=BB154_51 Depth=1
	v_or_b32_e32 v9, 0x10000, v2
	v_cmp_eq_u32_sdwa s[0:1], v2, v13 src0_sel:WORD_0 src1_sel:DWORD
	s_nop 1
	v_cndmask_b32_e64 v9, v9, v2, s[0:1]
; %bb.94:                               ;   in Loop: Header=BB154_51 Depth=1
	s_or_b64 exec, exec, s[10:11]
	v_and_b32_e32 v40, 0xffff0000, v12
	v_lshlrev_b32_e32 v2, 16, v3
	v_mul_f32_e32 v2, v40, v2
	v_and_b32_e32 v3, 0x7f800000, v2
	v_cmp_ne_u32_e64 s[0:1], s17, v3
                                        ; implicit-def: $vgpr12
	s_and_saveexec_b64 s[10:11], s[0:1]
	s_xor_b64 s[0:1], exec, s[10:11]
; %bb.95:                               ;   in Loop: Header=BB154_51 Depth=1
	v_bfe_u32 v3, v2, 16, 1
	v_add3_u32 v12, v2, v3, s18
                                        ; implicit-def: $vgpr2
; %bb.96:                               ;   in Loop: Header=BB154_51 Depth=1
	s_andn2_saveexec_b64 s[10:11], s[0:1]
; %bb.97:                               ;   in Loop: Header=BB154_51 Depth=1
	v_or_b32_e32 v3, 0x10000, v2
	v_cmp_eq_u32_sdwa s[0:1], v2, v13 src0_sel:WORD_0 src1_sel:DWORD
	s_nop 1
	v_cndmask_b32_e64 v12, v3, v2, s[0:1]
; %bb.98:                               ;   in Loop: Header=BB154_51 Depth=1
	s_or_b64 exec, exec, s[10:11]
	v_and_b32_e32 v41, 0xffff0000, v25
	v_lshlrev_b32_e32 v2, 16, v42
	v_mul_f32_e32 v2, v41, v2
	v_and_b32_e32 v3, 0x7f800000, v2
	v_cmp_ne_u32_e64 s[0:1], s17, v3
                                        ; implicit-def: $vgpr25
	s_and_saveexec_b64 s[10:11], s[0:1]
	s_xor_b64 s[0:1], exec, s[10:11]
; %bb.99:                               ;   in Loop: Header=BB154_51 Depth=1
	v_bfe_u32 v3, v2, 16, 1
	v_add3_u32 v25, v2, v3, s18
                                        ; implicit-def: $vgpr2
; %bb.100:                              ;   in Loop: Header=BB154_51 Depth=1
	s_andn2_saveexec_b64 s[10:11], s[0:1]
; %bb.101:                              ;   in Loop: Header=BB154_51 Depth=1
	v_or_b32_e32 v3, 0x10000, v2
	v_cmp_eq_u32_sdwa s[0:1], v2, v13 src0_sel:WORD_0 src1_sel:DWORD
	s_nop 1
	v_cndmask_b32_e64 v25, v3, v2, s[0:1]
; %bb.102:                              ;   in Loop: Header=BB154_51 Depth=1
	s_or_b64 exec, exec, s[10:11]
	v_and_b32_e32 v42, 0xffff0000, v26
	v_lshlrev_b32_e32 v2, 16, v4
	v_mul_f32_e32 v2, v42, v2
	v_and_b32_e32 v3, 0x7f800000, v2
	v_cmp_ne_u32_e64 s[0:1], s17, v3
                                        ; implicit-def: $vgpr26
	s_and_saveexec_b64 s[10:11], s[0:1]
	s_xor_b64 s[0:1], exec, s[10:11]
; %bb.103:                              ;   in Loop: Header=BB154_51 Depth=1
	v_bfe_u32 v3, v2, 16, 1
	v_add3_u32 v26, v2, v3, s18
                                        ; implicit-def: $vgpr2
; %bb.104:                              ;   in Loop: Header=BB154_51 Depth=1
	s_andn2_saveexec_b64 s[10:11], s[0:1]
; %bb.105:                              ;   in Loop: Header=BB154_51 Depth=1
	v_or_b32_e32 v3, 0x10000, v2
	v_cmp_eq_u32_sdwa s[0:1], v2, v13 src0_sel:WORD_0 src1_sel:DWORD
	s_nop 1
	v_cndmask_b32_e64 v26, v3, v2, s[0:1]
; %bb.106:                              ;   in Loop: Header=BB154_51 Depth=1
	s_or_b64 exec, exec, s[10:11]
	v_and_b32_e32 v43, 0xffff0000, v27
	v_lshlrev_b32_e32 v2, 16, v44
	v_mul_f32_e32 v2, v43, v2
	v_and_b32_e32 v3, 0x7f800000, v2
	v_cmp_ne_u32_e64 s[0:1], s17, v3
                                        ; implicit-def: $vgpr27
	s_and_saveexec_b64 s[10:11], s[0:1]
	s_xor_b64 s[0:1], exec, s[10:11]
; %bb.107:                              ;   in Loop: Header=BB154_51 Depth=1
	v_bfe_u32 v3, v2, 16, 1
	v_add3_u32 v27, v2, v3, s18
                                        ; implicit-def: $vgpr2
; %bb.108:                              ;   in Loop: Header=BB154_51 Depth=1
	s_andn2_saveexec_b64 s[10:11], s[0:1]
; %bb.109:                              ;   in Loop: Header=BB154_51 Depth=1
	v_or_b32_e32 v3, 0x10000, v2
	v_cmp_eq_u32_sdwa s[0:1], v2, v13 src0_sel:WORD_0 src1_sel:DWORD
	s_nop 1
	v_cndmask_b32_e64 v27, v3, v2, s[0:1]
; %bb.110:                              ;   in Loop: Header=BB154_51 Depth=1
	s_or_b64 exec, exec, s[10:11]
	v_and_b32_e32 v44, 0xffff0000, v28
	v_lshlrev_b32_e32 v2, 16, v5
	v_mul_f32_e32 v2, v44, v2
	v_and_b32_e32 v3, 0x7f800000, v2
	v_cmp_ne_u32_e64 s[0:1], s17, v3
                                        ; implicit-def: $vgpr28
	s_and_saveexec_b64 s[10:11], s[0:1]
	s_xor_b64 s[0:1], exec, s[10:11]
; %bb.111:                              ;   in Loop: Header=BB154_51 Depth=1
	v_bfe_u32 v3, v2, 16, 1
	v_add3_u32 v28, v2, v3, s18
                                        ; implicit-def: $vgpr2
; %bb.112:                              ;   in Loop: Header=BB154_51 Depth=1
	s_andn2_saveexec_b64 s[10:11], s[0:1]
; %bb.113:                              ;   in Loop: Header=BB154_51 Depth=1
	v_or_b32_e32 v3, 0x10000, v2
	v_cmp_eq_u32_sdwa s[0:1], v2, v13 src0_sel:WORD_0 src1_sel:DWORD
	s_nop 1
	v_cndmask_b32_e64 v28, v3, v2, s[0:1]
; %bb.114:                              ;   in Loop: Header=BB154_51 Depth=1
	s_or_b64 exec, exec, s[10:11]
	v_and_b32_e32 v45, 0xffff0000, v37
	v_lshlrev_b32_e32 v2, 16, v46
	v_mul_f32_e32 v2, v45, v2
	v_and_b32_e32 v3, 0x7f800000, v2
	v_cmp_ne_u32_e64 s[0:1], s17, v3
                                        ; implicit-def: $vgpr37
	s_and_saveexec_b64 s[10:11], s[0:1]
	s_xor_b64 s[0:1], exec, s[10:11]
; %bb.115:                              ;   in Loop: Header=BB154_51 Depth=1
	v_bfe_u32 v3, v2, 16, 1
	v_add3_u32 v37, v2, v3, s18
                                        ; implicit-def: $vgpr2
; %bb.116:                              ;   in Loop: Header=BB154_51 Depth=1
	s_andn2_saveexec_b64 s[10:11], s[0:1]
; %bb.117:                              ;   in Loop: Header=BB154_51 Depth=1
	v_or_b32_e32 v3, 0x10000, v2
	v_cmp_eq_u32_sdwa s[0:1], v2, v13 src0_sel:WORD_0 src1_sel:DWORD
	s_nop 1
	v_cndmask_b32_e64 v37, v3, v2, s[0:1]
; %bb.118:                              ;   in Loop: Header=BB154_51 Depth=1
	s_or_b64 exec, exec, s[10:11]
	global_load_dwordx4 v[2:5], v[6:7], off offset:1024
	s_waitcnt vmcnt(0)
	v_lshrrev_b32_e32 v7, 16, v2
	v_lshrrev_b32_e32 v47, 16, v3
	;; [unrolled: 1-line block ×4, first 2 shown]
	s_and_saveexec_b64 s[0:1], vcc
	s_cbranch_execz .LBB154_120
; %bb.119:                              ;   in Loop: Header=BB154_51 Depth=1
	v_cmp_gt_i32_e32 vcc, s33, v29
	s_nop 1
	v_cndmask_b32_e32 v2, 0, v2, vcc
	v_cmp_gt_i32_e32 vcc, s33, v36
	s_nop 1
	v_cndmask_b32_e32 v7, 0, v7, vcc
	v_cmp_gt_i32_e32 vcc, s33, v35
	s_nop 1
	v_cndmask_b32_e32 v3, 0, v3, vcc
	v_cmp_gt_i32_e32 vcc, s33, v33
	s_nop 1
	v_cndmask_b32_e32 v47, 0, v47, vcc
	v_cmp_gt_i32_e32 vcc, s33, v32
	s_nop 1
	v_cndmask_b32_e32 v4, 0, v4, vcc
	v_cmp_gt_i32_e32 vcc, s33, v31
	s_nop 1
	v_cndmask_b32_e32 v46, 0, v46, vcc
	v_cmp_gt_i32_e32 vcc, s33, v30
	s_nop 1
	v_cndmask_b32_e32 v5, 0, v5, vcc
	v_cmp_gt_i32_e32 vcc, s33, v34
	s_nop 1
	v_cndmask_b32_e32 v6, 0, v6, vcc
.LBB154_120:                            ;   in Loop: Header=BB154_51 Depth=1
	s_or_b64 exec, exec, s[0:1]
	v_lshlrev_b32_e32 v2, 16, v2
	v_mul_f32_e32 v29, v38, v2
	v_and_b32_e32 v2, 0x7f800000, v29
	v_cmp_ne_u32_e32 vcc, s17, v2
                                        ; implicit-def: $vgpr2
	s_and_saveexec_b64 s[0:1], vcc
	s_xor_b64 s[0:1], exec, s[0:1]
; %bb.121:                              ;   in Loop: Header=BB154_51 Depth=1
	v_bfe_u32 v2, v29, 16, 1
	v_add3_u32 v2, v29, v2, s18
                                        ; implicit-def: $vgpr29
; %bb.122:                              ;   in Loop: Header=BB154_51 Depth=1
	s_andn2_saveexec_b64 s[0:1], s[0:1]
; %bb.123:                              ;   in Loop: Header=BB154_51 Depth=1
	v_or_b32_e32 v2, 0x10000, v29
	v_cmp_eq_u32_sdwa vcc, v29, v13 src0_sel:WORD_0 src1_sel:DWORD
	s_nop 1
	v_cndmask_b32_e32 v2, v2, v29, vcc
; %bb.124:                              ;   in Loop: Header=BB154_51 Depth=1
	s_or_b64 exec, exec, s[0:1]
	v_lshlrev_b32_e32 v7, 16, v7
	v_mul_f32_e32 v29, v39, v7
	v_and_b32_e32 v7, 0x7f800000, v29
	v_cmp_ne_u32_e32 vcc, s17, v7
                                        ; implicit-def: $vgpr7
	s_and_saveexec_b64 s[0:1], vcc
	s_xor_b64 s[0:1], exec, s[0:1]
; %bb.125:                              ;   in Loop: Header=BB154_51 Depth=1
	v_bfe_u32 v7, v29, 16, 1
	v_add3_u32 v7, v29, v7, s18
                                        ; implicit-def: $vgpr29
; %bb.126:                              ;   in Loop: Header=BB154_51 Depth=1
	s_andn2_saveexec_b64 s[0:1], s[0:1]
; %bb.127:                              ;   in Loop: Header=BB154_51 Depth=1
	v_or_b32_e32 v7, 0x10000, v29
	v_cmp_eq_u32_sdwa vcc, v29, v13 src0_sel:WORD_0 src1_sel:DWORD
	s_nop 1
	v_cndmask_b32_e32 v7, v7, v29, vcc
; %bb.128:                              ;   in Loop: Header=BB154_51 Depth=1
	s_or_b64 exec, exec, s[0:1]
	v_lshlrev_b32_e32 v3, 16, v3
	v_mul_f32_e32 v29, v40, v3
	v_and_b32_e32 v3, 0x7f800000, v29
	v_cmp_ne_u32_e32 vcc, s17, v3
                                        ; implicit-def: $vgpr3
	s_and_saveexec_b64 s[0:1], vcc
	s_xor_b64 s[0:1], exec, s[0:1]
; %bb.129:                              ;   in Loop: Header=BB154_51 Depth=1
	v_bfe_u32 v3, v29, 16, 1
	v_add3_u32 v3, v29, v3, s18
                                        ; implicit-def: $vgpr29
; %bb.130:                              ;   in Loop: Header=BB154_51 Depth=1
	s_andn2_saveexec_b64 s[0:1], s[0:1]
; %bb.131:                              ;   in Loop: Header=BB154_51 Depth=1
	v_or_b32_e32 v3, 0x10000, v29
	v_cmp_eq_u32_sdwa vcc, v29, v13 src0_sel:WORD_0 src1_sel:DWORD
	s_nop 1
	v_cndmask_b32_e32 v3, v3, v29, vcc
; %bb.132:                              ;   in Loop: Header=BB154_51 Depth=1
	s_or_b64 exec, exec, s[0:1]
	v_lshlrev_b32_e32 v29, 16, v47
	v_mul_f32_e32 v30, v41, v29
	v_and_b32_e32 v29, 0x7f800000, v30
	v_cmp_ne_u32_e32 vcc, s17, v29
                                        ; implicit-def: $vgpr29
	s_and_saveexec_b64 s[0:1], vcc
	s_xor_b64 s[0:1], exec, s[0:1]
; %bb.133:                              ;   in Loop: Header=BB154_51 Depth=1
	v_bfe_u32 v29, v30, 16, 1
	v_add3_u32 v29, v30, v29, s18
                                        ; implicit-def: $vgpr30
; %bb.134:                              ;   in Loop: Header=BB154_51 Depth=1
	s_andn2_saveexec_b64 s[0:1], s[0:1]
; %bb.135:                              ;   in Loop: Header=BB154_51 Depth=1
	v_or_b32_e32 v29, 0x10000, v30
	v_cmp_eq_u32_sdwa vcc, v30, v13 src0_sel:WORD_0 src1_sel:DWORD
	s_nop 1
	v_cndmask_b32_e32 v29, v29, v30, vcc
; %bb.136:                              ;   in Loop: Header=BB154_51 Depth=1
	s_or_b64 exec, exec, s[0:1]
	v_lshlrev_b32_e32 v4, 16, v4
	v_mul_f32_e32 v30, v42, v4
	v_and_b32_e32 v4, 0x7f800000, v30
	v_cmp_ne_u32_e32 vcc, s17, v4
                                        ; implicit-def: $vgpr4
	s_and_saveexec_b64 s[0:1], vcc
	s_xor_b64 s[0:1], exec, s[0:1]
; %bb.137:                              ;   in Loop: Header=BB154_51 Depth=1
	v_bfe_u32 v4, v30, 16, 1
	v_add3_u32 v4, v30, v4, s18
                                        ; implicit-def: $vgpr30
; %bb.138:                              ;   in Loop: Header=BB154_51 Depth=1
	s_andn2_saveexec_b64 s[0:1], s[0:1]
; %bb.139:                              ;   in Loop: Header=BB154_51 Depth=1
	v_or_b32_e32 v4, 0x10000, v30
	v_cmp_eq_u32_sdwa vcc, v30, v13 src0_sel:WORD_0 src1_sel:DWORD
	s_nop 1
	v_cndmask_b32_e32 v4, v4, v30, vcc
; %bb.140:                              ;   in Loop: Header=BB154_51 Depth=1
	s_or_b64 exec, exec, s[0:1]
	v_lshlrev_b32_e32 v30, 16, v46
	v_mul_f32_e32 v31, v43, v30
	v_and_b32_e32 v30, 0x7f800000, v31
	v_cmp_ne_u32_e32 vcc, s17, v30
                                        ; implicit-def: $vgpr30
	s_and_saveexec_b64 s[0:1], vcc
	s_xor_b64 s[0:1], exec, s[0:1]
; %bb.141:                              ;   in Loop: Header=BB154_51 Depth=1
	v_bfe_u32 v30, v31, 16, 1
	v_add3_u32 v30, v31, v30, s18
                                        ; implicit-def: $vgpr31
; %bb.142:                              ;   in Loop: Header=BB154_51 Depth=1
	s_andn2_saveexec_b64 s[0:1], s[0:1]
; %bb.143:                              ;   in Loop: Header=BB154_51 Depth=1
	v_or_b32_e32 v30, 0x10000, v31
	v_cmp_eq_u32_sdwa vcc, v31, v13 src0_sel:WORD_0 src1_sel:DWORD
	s_nop 1
	v_cndmask_b32_e32 v30, v30, v31, vcc
; %bb.144:                              ;   in Loop: Header=BB154_51 Depth=1
	s_or_b64 exec, exec, s[0:1]
	v_lshlrev_b32_e32 v5, 16, v5
	v_mul_f32_e32 v31, v44, v5
	v_and_b32_e32 v5, 0x7f800000, v31
	v_cmp_ne_u32_e32 vcc, s17, v5
                                        ; implicit-def: $vgpr5
	s_and_saveexec_b64 s[0:1], vcc
	s_xor_b64 s[0:1], exec, s[0:1]
; %bb.145:                              ;   in Loop: Header=BB154_51 Depth=1
	v_bfe_u32 v5, v31, 16, 1
	v_add3_u32 v5, v31, v5, s18
                                        ; implicit-def: $vgpr31
; %bb.146:                              ;   in Loop: Header=BB154_51 Depth=1
	s_andn2_saveexec_b64 s[0:1], s[0:1]
; %bb.147:                              ;   in Loop: Header=BB154_51 Depth=1
	v_or_b32_e32 v5, 0x10000, v31
	v_cmp_eq_u32_sdwa vcc, v31, v13 src0_sel:WORD_0 src1_sel:DWORD
	s_nop 1
	v_cndmask_b32_e32 v5, v5, v31, vcc
; %bb.148:                              ;   in Loop: Header=BB154_51 Depth=1
	s_or_b64 exec, exec, s[0:1]
	v_lshlrev_b32_e32 v6, 16, v6
	v_mul_f32_e32 v31, v45, v6
	v_and_b32_e32 v6, 0x7f800000, v31
	v_cmp_ne_u32_e32 vcc, s17, v6
                                        ; implicit-def: $vgpr6
	s_and_saveexec_b64 s[0:1], vcc
	s_xor_b64 s[0:1], exec, s[0:1]
; %bb.149:                              ;   in Loop: Header=BB154_51 Depth=1
	v_bfe_u32 v6, v31, 16, 1
	v_add3_u32 v6, v31, v6, s18
                                        ; implicit-def: $vgpr31
; %bb.150:                              ;   in Loop: Header=BB154_51 Depth=1
	s_andn2_saveexec_b64 s[0:1], s[0:1]
	s_cbranch_execz .LBB154_49
; %bb.151:                              ;   in Loop: Header=BB154_51 Depth=1
	v_or_b32_e32 v6, 0x10000, v31
	v_cmp_eq_u32_sdwa vcc, v31, v13 src0_sel:WORD_0 src1_sel:DWORD
	s_nop 1
	v_cndmask_b32_e32 v6, v6, v31, vcc
	s_branch .LBB154_49
.LBB154_152:
	s_or_b64 exec, exec, s[6:7]
.LBB154_153:
	s_or_b64 exec, exec, s[2:3]
	ds_bpermute_b32 v2, v21, v14
	ds_bpermute_b32 v3, v21, v15
	v_and_b32_e32 v1, 0x3c1, v0
	v_cmp_eq_u32_e32 vcc, 64, v1
	s_waitcnt lgkmcnt(0)
	s_barrier
	v_pk_add_f32 v[2:3], v[14:15], v[2:3]
	s_and_saveexec_b64 s[0:1], vcc
	s_cbranch_execz .LBB154_155
; %bb.154:
	v_mov_b32_e32 v1, 0x90
	v_lshl_add_u32 v1, v20, 1, v1
	ds_write2_b32 v1, v2, v3 offset1:32
.LBB154_155:
	s_or_b64 exec, exec, s[0:1]
	v_cmp_gt_u32_e32 vcc, 64, v0
	s_waitcnt lgkmcnt(0)
	s_barrier
	s_and_saveexec_b64 s[2:3], vcc
	s_cbranch_execz .LBB154_161
; %bb.156:
	v_cmp_eq_u32_e64 s[0:1], 0, v22
	v_lshrrev_b32_e32 v1, 1, v0
	s_and_saveexec_b64 s[6:7], s[0:1]
	s_cbranch_execz .LBB154_158
; %bb.157:
	v_mov_b32_e32 v4, 0x90
	v_lshl_add_u32 v4, v1, 2, v4
	ds_read_b32 v4, v4
	s_waitcnt lgkmcnt(0)
	v_add_f32_e32 v2, v2, v4
.LBB154_158:
	s_or_b64 exec, exec, s[6:7]
	s_and_saveexec_b64 s[6:7], s[0:1]
	s_cbranch_execz .LBB154_160
; %bb.159:
	v_mov_b32_e32 v4, 0x90
	v_lshl_add_u32 v1, v1, 2, v4
	ds_read_b32 v1, v1 offset:128
	s_waitcnt lgkmcnt(0)
	v_add_f32_e32 v3, v3, v1
.LBB154_160:
	s_or_b64 exec, exec, s[6:7]
.LBB154_161:
	s_or_b64 exec, exec, s[2:3]
	s_barrier
	s_and_saveexec_b64 s[0:1], vcc
	s_cbranch_execz .LBB154_172
; %bb.162:
	v_cmp_eq_u32_e32 vcc, 0, v22
	s_and_b64 exec, exec, vcc
	s_cbranch_execz .LBB154_172
; %bb.163:
	s_mov_b32 s0, 0x7f800000
	v_and_b32_e32 v1, 0x7f800000, v2
	v_cmp_ne_u32_e32 vcc, s0, v1
                                        ; implicit-def: $vgpr4
	s_and_saveexec_b64 s[0:1], vcc
	s_xor_b64 s[0:1], exec, s[0:1]
; %bb.164:
	v_bfe_u32 v1, v2, 16, 1
	s_movk_i32 s2, 0x7fff
	v_add3_u32 v4, v2, v1, s2
; %bb.165:
	s_andn2_saveexec_b64 s[0:1], s[0:1]
; %bb.166:
	v_mov_b32_e32 v1, 0
	v_or_b32_e32 v4, 0x10000, v2
	v_cmp_eq_u32_sdwa vcc, v2, v1 src0_sel:WORD_0 src1_sel:DWORD
	s_nop 1
	v_cndmask_b32_e32 v4, v4, v2, vcc
; %bb.167:
	s_or_b64 exec, exec, s[0:1]
	s_mul_i32 s0, s12, s24
	s_mul_i32 s0, s0, s25
	s_lshl_b32 s0, s0, 6
	s_ashr_i32 s1, s0, 31
	s_lshl_b64 s[0:1], s[0:1], 1
	s_add_u32 s2, s28, s0
	s_mul_i32 s0, s12, s26
	s_addc_u32 s3, s29, s1
	s_ashr_i32 s1, s0, 31
	s_lshl_b64 s[0:1], s[0:1], 1
	s_add_u32 s2, s2, s0
	s_addc_u32 s3, s3, s1
	s_lshl_b32 s0, s4, 6
	s_ashr_i32 s1, s0, 31
	s_lshl_b64 s[0:1], s[0:1], 1
	s_add_u32 s0, s2, s0
	s_mov_b32 s2, 0x7f800000
	v_and_b32_e32 v2, 0x7f800000, v3
	s_addc_u32 s1, s3, s1
	v_and_b32_e32 v0, 0x3fe, v0
	v_mov_b32_e32 v1, 0
	v_cmp_ne_u32_e32 vcc, s2, v2
	global_store_short_d16_hi v0, v4, s[0:1]
                                        ; implicit-def: $vgpr4
	s_and_saveexec_b64 s[2:3], vcc
	s_xor_b64 s[2:3], exec, s[2:3]
; %bb.168:
	v_bfe_u32 v2, v3, 16, 1
	s_movk_i32 s4, 0x7fff
	v_add3_u32 v4, v3, v2, s4
                                        ; implicit-def: $vgpr2_vgpr3
; %bb.169:
	s_or_saveexec_b64 s[2:3], s[2:3]
	v_lshl_add_u64 v[0:1], s[0:1], 0, v[0:1]
	s_xor_b64 exec, exec, s[2:3]
; %bb.170:
	v_mov_b32_e32 v2, 0
	v_or_b32_e32 v4, 0x10000, v3
	v_cmp_eq_u32_sdwa vcc, v3, v2 src0_sel:WORD_0 src1_sel:DWORD
	s_nop 1
	v_cndmask_b32_e32 v4, v4, v3, vcc
; %bb.171:
	s_or_b64 exec, exec, s[2:3]
	global_store_short_d16_hi v[0:1], v4, off offset:64
.LBB154_172:
	s_endpgm
	.section	.rodata,"a",@progbits
	.p2align	6, 0x0
	.amdhsa_kernel _ZN4vllm25paged_attention_v2_kernelI14__hip_bfloat16S1_Li64ELi16ELi128ELNS_18Fp8KVCacheDataTypeE0ELb1ELi512EEEvPfS3_PT_PKS4_PKT0_SA_ifPKiSC_iPKfiiiSE_SE_iiiii
		.amdhsa_group_segment_fixed_size 144
		.amdhsa_private_segment_fixed_size 0
		.amdhsa_kernarg_size 400
		.amdhsa_user_sgpr_count 2
		.amdhsa_user_sgpr_dispatch_ptr 0
		.amdhsa_user_sgpr_queue_ptr 0
		.amdhsa_user_sgpr_kernarg_segment_ptr 1
		.amdhsa_user_sgpr_dispatch_id 0
		.amdhsa_user_sgpr_kernarg_preload_length 0
		.amdhsa_user_sgpr_kernarg_preload_offset 0
		.amdhsa_user_sgpr_private_segment_size 0
		.amdhsa_uses_dynamic_stack 0
		.amdhsa_enable_private_segment 0
		.amdhsa_system_sgpr_workgroup_id_x 1
		.amdhsa_system_sgpr_workgroup_id_y 1
		.amdhsa_system_sgpr_workgroup_id_z 1
		.amdhsa_system_sgpr_workgroup_info 0
		.amdhsa_system_vgpr_workitem_id 0
		.amdhsa_next_free_vgpr 56
		.amdhsa_next_free_sgpr 52
		.amdhsa_accum_offset 56
		.amdhsa_reserve_vcc 1
		.amdhsa_float_round_mode_32 0
		.amdhsa_float_round_mode_16_64 0
		.amdhsa_float_denorm_mode_32 3
		.amdhsa_float_denorm_mode_16_64 3
		.amdhsa_dx10_clamp 1
		.amdhsa_ieee_mode 1
		.amdhsa_fp16_overflow 0
		.amdhsa_tg_split 0
		.amdhsa_exception_fp_ieee_invalid_op 0
		.amdhsa_exception_fp_denorm_src 0
		.amdhsa_exception_fp_ieee_div_zero 0
		.amdhsa_exception_fp_ieee_overflow 0
		.amdhsa_exception_fp_ieee_underflow 0
		.amdhsa_exception_fp_ieee_inexact 0
		.amdhsa_exception_int_div_zero 0
	.end_amdhsa_kernel
	.section	.text._ZN4vllm25paged_attention_v2_kernelI14__hip_bfloat16S1_Li64ELi16ELi128ELNS_18Fp8KVCacheDataTypeE0ELb1ELi512EEEvPfS3_PT_PKS4_PKT0_SA_ifPKiSC_iPKfiiiSE_SE_iiiii,"axG",@progbits,_ZN4vllm25paged_attention_v2_kernelI14__hip_bfloat16S1_Li64ELi16ELi128ELNS_18Fp8KVCacheDataTypeE0ELb1ELi512EEEvPfS3_PT_PKS4_PKT0_SA_ifPKiSC_iPKfiiiSE_SE_iiiii,comdat
.Lfunc_end154:
	.size	_ZN4vllm25paged_attention_v2_kernelI14__hip_bfloat16S1_Li64ELi16ELi128ELNS_18Fp8KVCacheDataTypeE0ELb1ELi512EEEvPfS3_PT_PKS4_PKT0_SA_ifPKiSC_iPKfiiiSE_SE_iiiii, .Lfunc_end154-_ZN4vllm25paged_attention_v2_kernelI14__hip_bfloat16S1_Li64ELi16ELi128ELNS_18Fp8KVCacheDataTypeE0ELb1ELi512EEEvPfS3_PT_PKS4_PKT0_SA_ifPKiSC_iPKfiiiSE_SE_iiiii
                                        ; -- End function
	.section	.AMDGPU.csdata,"",@progbits
; Kernel info:
; codeLenInByte = 6928
; NumSgprs: 58
; NumVgprs: 56
; NumAgprs: 0
; TotalNumVgprs: 56
; ScratchSize: 0
; MemoryBound: 0
; FloatMode: 240
; IeeeMode: 1
; LDSByteSize: 144 bytes/workgroup (compile time only)
; SGPRBlocks: 7
; VGPRBlocks: 6
; NumSGPRsForWavesPerEU: 58
; NumVGPRsForWavesPerEU: 56
; AccumOffset: 56
; Occupancy: 8
; WaveLimiterHint : 1
; COMPUTE_PGM_RSRC2:SCRATCH_EN: 0
; COMPUTE_PGM_RSRC2:USER_SGPR: 2
; COMPUTE_PGM_RSRC2:TRAP_HANDLER: 0
; COMPUTE_PGM_RSRC2:TGID_X_EN: 1
; COMPUTE_PGM_RSRC2:TGID_Y_EN: 1
; COMPUTE_PGM_RSRC2:TGID_Z_EN: 1
; COMPUTE_PGM_RSRC2:TIDIG_COMP_CNT: 0
; COMPUTE_PGM_RSRC3_GFX90A:ACCUM_OFFSET: 13
; COMPUTE_PGM_RSRC3_GFX90A:TG_SPLIT: 0
	.section	.text._ZN4vllm25paged_attention_v2_kernelI14__hip_bfloat16S1_Li80ELi16ELi128ELNS_18Fp8KVCacheDataTypeE0ELb1ELi512EEEvPfS3_PT_PKS4_PKT0_SA_ifPKiSC_iPKfiiiSE_SE_iiiii,"axG",@progbits,_ZN4vllm25paged_attention_v2_kernelI14__hip_bfloat16S1_Li80ELi16ELi128ELNS_18Fp8KVCacheDataTypeE0ELb1ELi512EEEvPfS3_PT_PKS4_PKT0_SA_ifPKiSC_iPKfiiiSE_SE_iiiii,comdat
	.protected	_ZN4vllm25paged_attention_v2_kernelI14__hip_bfloat16S1_Li80ELi16ELi128ELNS_18Fp8KVCacheDataTypeE0ELb1ELi512EEEvPfS3_PT_PKS4_PKT0_SA_ifPKiSC_iPKfiiiSE_SE_iiiii ; -- Begin function _ZN4vllm25paged_attention_v2_kernelI14__hip_bfloat16S1_Li80ELi16ELi128ELNS_18Fp8KVCacheDataTypeE0ELb1ELi512EEEvPfS3_PT_PKS4_PKT0_SA_ifPKiSC_iPKfiiiSE_SE_iiiii
	.globl	_ZN4vllm25paged_attention_v2_kernelI14__hip_bfloat16S1_Li80ELi16ELi128ELNS_18Fp8KVCacheDataTypeE0ELb1ELi512EEEvPfS3_PT_PKS4_PKT0_SA_ifPKiSC_iPKfiiiSE_SE_iiiii
	.p2align	8
	.type	_ZN4vllm25paged_attention_v2_kernelI14__hip_bfloat16S1_Li80ELi16ELi128ELNS_18Fp8KVCacheDataTypeE0ELb1ELi512EEEvPfS3_PT_PKS4_PKT0_SA_ifPKiSC_iPKfiiiSE_SE_iiiii,@function
_ZN4vllm25paged_attention_v2_kernelI14__hip_bfloat16S1_Li80ELi16ELi128ELNS_18Fp8KVCacheDataTypeE0ELb1ELi512EEEvPfS3_PT_PKS4_PKT0_SA_ifPKiSC_iPKfiiiSE_SE_iiiii: ; @_ZN4vllm25paged_attention_v2_kernelI14__hip_bfloat16S1_Li80ELi16ELi128ELNS_18Fp8KVCacheDataTypeE0ELb1ELi512EEEvPfS3_PT_PKS4_PKT0_SA_ifPKiSC_iPKfiiiSE_SE_iiiii
; %bb.0:
	s_load_dwordx2 s[6:7], s[0:1], 0x40
	s_mov_b32 s28, s3
	s_ashr_i32 s29, s3, 31
	s_lshl_b64 s[8:9], s[28:29], 2
	s_waitcnt lgkmcnt(0)
	s_add_u32 s6, s6, s8
	s_addc_u32 s7, s7, s9
	s_load_dword s29, s[6:7], 0x0
	s_lshl_b32 s49, s4, 9
	s_waitcnt lgkmcnt(0)
	s_cmp_ge_i32 s49, s29
	s_cbranch_scc1 .LBB155_219
; %bb.1:
	s_load_dword s5, s[0:1], 0x90
	s_load_dwordx2 s[38:39], s[0:1], 0x30
	s_mov_b32 s50, 0
	s_waitcnt lgkmcnt(0)
	s_abs_i32 s7, s5
	s_abs_i32 s3, s38
	v_cvt_f32_u32_e32 v1, s3
	s_sub_i32 s8, 0, s3
	s_xor_b32 s6, s5, s38
	s_ashr_i32 s6, s6, 31
	v_rcp_iflag_f32_e32 v1, v1
	s_nop 0
	v_mul_f32_e32 v1, 0x4f7ffffe, v1
	v_cvt_u32_f32_e32 v1, v1
	s_nop 0
	v_readfirstlane_b32 s9, v1
	s_mul_i32 s8, s8, s9
	s_mul_hi_u32 s8, s9, s8
	s_add_i32 s9, s9, s8
	s_mul_hi_u32 s8, s7, s9
	s_mul_i32 s9, s8, s3
	s_sub_i32 s7, s7, s9
	s_add_i32 s10, s8, 1
	s_sub_i32 s9, s7, s3
	s_cmp_ge_u32 s7, s3
	s_cselect_b32 s8, s10, s8
	s_cselect_b32 s7, s9, s7
	s_add_i32 s9, s8, 1
	s_cmp_ge_u32 s7, s3
	s_cselect_b32 s3, s9, s8
	s_xor_b32 s3, s3, s6
	s_sub_i32 s11, s3, s6
	s_abs_i32 s8, s11
	v_cvt_f32_u32_e32 v1, s8
	s_load_dwordx2 s[6:7], s[0:1], 0x50
	s_sub_i32 s3, 0, s8
	s_abs_i32 s9, s2
	v_rcp_iflag_f32_e32 v1, v1
	s_nop 0
	v_mul_f32_e32 v1, 0x4f7ffffe, v1
	v_cvt_u32_f32_e32 v1, v1
	s_nop 0
	v_readfirstlane_b32 s10, v1
	s_mul_i32 s3, s3, s10
	s_mul_hi_u32 s3, s10, s3
	s_add_i32 s10, s10, s3
	s_waitcnt lgkmcnt(0)
	s_cmp_eq_u64 s[6:7], 0
	s_mul_hi_u32 s10, s9, s10
	s_cbranch_scc1 .LBB155_3
; %bb.2:
	s_ashr_i32 s3, s2, 31
	s_lshl_b64 s[12:13], s[2:3], 2
	s_add_u32 s6, s6, s12
	s_addc_u32 s7, s7, s13
	s_load_dword s50, s[6:7], 0x0
.LBB155_3:
	s_load_dwordx4 s[12:15], s[0:1], 0x58
	s_ashr_i32 s3, s2, 31
	s_ashr_i32 s11, s11, 31
	v_and_b32_e32 v4, 3, v0
	s_mul_i32 s24, s2, 0x50
	v_cmp_gt_u32_e32 vcc, 40, v0
	s_and_saveexec_b64 s[6:7], vcc
	s_cbranch_execz .LBB155_5
; %bb.4:
	s_load_dwordx2 s[16:17], s[0:1], 0x18
	s_waitcnt lgkmcnt(0)
	s_mul_i32 s18, s28, s12
	s_ashr_i32 s19, s18, 31
	s_lshl_b64 s[18:19], s[18:19], 1
	v_lshlrev_b32_e32 v1, 2, v0
	s_add_u32 s12, s16, s18
	s_addc_u32 s15, s17, s19
	s_ashr_i32 s25, s24, 31
	s_lshl_b64 s[16:17], s[24:25], 1
	s_add_u32 s16, s12, s16
	s_addc_u32 s17, s15, s17
	global_load_dword v1, v1, s[16:17]
	v_and_b32_e32 v2, 0x3fc, v0
	v_mad_u32_u24 v2, v4, 40, v2
	s_waitcnt vmcnt(0)
	ds_write_b32 v2, v1
.LBB155_5:
	s_or_b64 exec, exec, s[6:7]
	s_mul_i32 s6, s10, s8
	s_sub_i32 s6, s9, s6
	s_xor_b32 s3, s3, s11
	s_add_i32 s7, s10, 1
	s_sub_i32 s9, s6, s8
	s_load_dwordx4 s[16:19], s[0:1], 0x78
	s_cmp_ge_u32 s6, s8
	s_cselect_b32 s7, s7, s10
	s_cselect_b32 s6, s9, s6
	s_add_i32 s9, s7, 1
	s_cmp_ge_u32 s6, s8
	s_cselect_b32 s6, s9, s7
	s_load_dword s9, s[0:1], 0x88
	s_waitcnt lgkmcnt(0)
	s_abs_i32 s25, s19
	v_cvt_f32_u32_e32 v1, s25
	s_xor_b32 s6, s6, s3
	s_sub_i32 s10, s6, s3
	s_sub_i32 s6, 0, s25
	v_rcp_iflag_f32_e32 v1, v1
	s_add_i32 s11, s29, -1
	s_abs_i32 s3, s11
	v_mul_f32_e32 v1, 0x4f7ffffe, v1
	v_cvt_u32_f32_e32 v1, v1
	s_barrier
	v_readfirstlane_b32 s33, v1
	s_mul_i32 s6, s6, s33
	s_mul_hi_u32 s6, s33, s6
	s_add_i32 s33, s33, s6
	s_cmp_lt_i32 s9, 0
	s_mul_hi_u32 s8, s3, s33
	s_cbranch_scc0 .LBB155_7
; %bb.6:
	s_mul_i32 s6, s16, s38
	s_add_i32 s6, s10, s6
	s_mul_i32 s6, s6, s9
	s_sub_i32 s46, 1, s6
	s_mov_b64 s[6:7], 0
	s_branch .LBB155_8
.LBB155_7:
	s_mov_b64 s[6:7], -1
                                        ; implicit-def: $sgpr46
.LBB155_8:
	s_load_dwordx2 s[30:31], s[0:1], 0x38
	s_ashr_i32 s11, s11, 31
	s_andn2_b64 vcc, exec, s[6:7]
	s_ashr_i32 s47, s19, 31
	s_cbranch_vccnz .LBB155_10
; %bb.9:
	s_mul_i32 s6, s5, s16
	s_add_i32 s6, s6, s2
	s_mul_i32 s6, s6, s9
	s_add_i32 s46, s6, 1
.LBB155_10:
	s_load_dword s6, s[0:1], 0x48
	s_load_dwordx2 s[36:37], s[0:1], 0x28
	s_load_dword s19, s[0:1], 0x98
	s_load_dwordx4 s[20:23], s[0:1], 0x0
	s_load_dwordx2 s[26:27], s[0:1], 0x10
	s_mul_i32 s7, s8, s25
	s_waitcnt lgkmcnt(0)
	s_mul_i32 s34, s28, s6
	s_sub_i32 s3, s3, s7
	s_ashr_i32 s35, s34, 31
	s_xor_b32 s6, s11, s47
	s_add_i32 s7, s8, 1
	s_sub_i32 s9, s3, s25
	s_cmp_ge_u32 s3, s25
	s_cselect_b32 s7, s7, s8
	s_cselect_b32 s3, s9, s3
	s_add_i32 s8, s7, 1
	s_cmp_ge_u32 s3, s25
	s_cselect_b32 s3, s8, s7
	s_xor_b32 s3, s3, s6
	s_sub_i32 s12, s3, s6
	s_add_i32 s3, s29, 15
	s_ashr_i32 s6, s3, 31
	s_lshr_b32 s6, s6, 28
	s_add_i32 s3, s3, s6
	s_lshl_b32 s16, s4, 5
	s_ashr_i32 s3, s3, 4
	s_add_i32 s6, s16, 32
	v_lshrrev_b32_e32 v6, 6, v0
	s_min_i32 s48, s6, s3
	v_or_b32_e32 v14, s16, v6
	v_cmp_gt_i32_e64 s[8:9], s48, v14
	v_mov_b32_e32 v10, 0xff7fffff
	s_mul_i32 s14, s10, s14
	v_ashrrev_i32_e32 v15, 31, v14
	v_lshl_add_u32 v1, v6, 4, s49
	v_mbcnt_lo_u32_b32 v7, -1, 0
	s_and_saveexec_b64 s[40:41], s[8:9]
	s_cbranch_execz .LBB155_20
; %bb.11:
	s_load_dwordx2 s[0:1], s[0:1], 0x20
	s_ashr_i32 s15, s14, 31
	s_sub_i32 s38, s12, s17
	s_lshl_b64 s[6:7], s[14:15], 1
	v_bfe_u32 v8, v0, 2, 4
	s_waitcnt lgkmcnt(0)
	s_add_u32 s0, s0, s6
	s_addc_u32 s1, s1, s7
	s_abs_i32 s15, s18
	v_cvt_f32_u32_e32 v5, s15
	v_lshlrev_b32_e32 v2, 4, v8
	v_mov_b32_e32 v3, 0
	v_lshl_add_u64 v[10:11], s[0:1], 0, v[2:3]
	v_rcp_iflag_f32_e32 v5, v5
	v_lshlrev_b32_e32 v2, 2, v0
	v_and_b32_e32 v2, 12, v2
	v_lshl_add_u64 v[2:3], v[10:11], 0, v[2:3]
	v_mul_f32_e32 v5, 0x4f7ffffe, v5
	v_cvt_u32_f32_e32 v5, v5
	s_sub_i32 s0, 0, s15
	v_lshlrev_b32_e32 v10, 2, v8
	v_cmp_eq_u32_e32 vcc, 0, v4
	v_mul_u32_u24_e32 v9, 40, v4
	v_mul_lo_u32 v4, s0, v5
	s_lshl_b64 s[0:1], s[34:35], 2
	v_lshl_or_b32 v10, v6, 6, v10
	s_add_u32 s0, s30, s0
	v_add_u32_e32 v13, 0xb0, v10
	v_subrev_u32_e32 v10, s29, v8
	v_mbcnt_hi_u32_b32 v17, -1, v7
	v_mul_hi_u32 v4, v5, v4
	s_addc_u32 s1, s31, s1
	v_add_u32_e32 v16, 1, v10
	v_and_b32_e32 v10, 64, v17
	s_mov_b32 s51, s13
	v_cmp_neq_f32_e64 s[6:7], s50, 0
	v_add_u32_e32 v11, v5, v4
	v_lshl_add_u64 v[4:5], v[14:15], 2, s[0:1]
	v_lshl_add_u32 v12, v6, 4, s49
	s_mov_b64 s[42:43], 0
	v_add_u32_e32 v18, 64, v10
	v_xor_b32_e32 v19, 2, v17
	v_xor_b32_e32 v20, 1, v17
	v_mov_b32_e32 v10, 0xff7fffff
	v_mov_b32_e32 v21, v14
	s_branch .LBB155_14
.LBB155_12:                             ;   in Loop: Header=BB155_14 Depth=1
	s_or_b64 exec, exec, s[44:45]
.LBB155_13:                             ;   in Loop: Header=BB155_14 Depth=1
	s_or_b64 exec, exec, s[10:11]
	v_add_u32_e32 v21, 2, v21
	v_cmp_le_i32_e64 s[0:1], s48, v21
	v_lshl_add_u64 v[4:5], v[4:5], 0, 8
	v_add_u32_e32 v12, 32, v12
	s_or_b64 s[42:43], s[0:1], s[42:43]
	v_add_u32_e32 v13, 0x80, v13
	s_andn2_b64 exec, exec, s[42:43]
	s_cbranch_execz .LBB155_19
.LBB155_14:                             ; =>This Inner Loop Header: Depth=1
	s_waitcnt lgkmcnt(0)
	v_sub_u32_e32 v23, 0, v12
	v_max_i32_e32 v23, v12, v23
	v_mul_hi_u32 v24, v23, s33
	v_mul_lo_u32 v25, v24, s25
	v_sub_u32_e32 v23, v23, v25
	v_add_u32_e32 v25, 1, v24
	v_cmp_le_u32_e64 s[0:1], s25, v23
	v_ashrrev_i32_e32 v22, 31, v12
	v_xor_b32_e32 v22, s47, v22
	v_cndmask_b32_e64 v24, v24, v25, s[0:1]
	v_subrev_u32_e32 v25, s25, v23
	v_cndmask_b32_e64 v23, v23, v25, s[0:1]
	v_add_u32_e32 v25, 1, v24
	v_cmp_le_u32_e64 s[0:1], s25, v23
	s_nop 1
	v_cndmask_b32_e64 v23, v24, v25, s[0:1]
	v_xor_b32_e32 v23, v23, v22
	v_sub_u32_e32 v22, v23, v22
	v_add_u32_e32 v23, s46, v22
	v_sub_u32_e32 v25, 0, v23
	v_ashrrev_i32_e32 v24, 31, v23
	v_max_i32_e32 v23, v23, v25
	v_mul_hi_u32 v25, v23, v11
	v_mul_lo_u32 v25, v25, s15
	v_sub_u32_e32 v23, v23, v25
	v_subrev_u32_e32 v25, s15, v23
	v_cmp_le_u32_e64 s[0:1], s15, v23
	v_cmp_ge_i32_e64 s[10:11], s38, v22
	s_nop 0
	v_cndmask_b32_e64 v23, v23, v25, s[0:1]
	v_subrev_u32_e32 v25, s15, v23
	v_cmp_le_u32_e64 s[0:1], s15, v23
	s_nop 1
	v_cndmask_b32_e64 v23, v23, v25, s[0:1]
	v_xor_b32_e32 v23, v23, v24
	v_sub_u32_e32 v23, v23, v24
	v_cmp_ne_u32_e64 s[0:1], 0, v23
	s_and_b64 s[0:1], s[0:1], s[10:11]
	s_and_b64 s[44:45], vcc, s[0:1]
	s_and_saveexec_b64 s[10:11], s[44:45]
	s_cbranch_execz .LBB155_16
; %bb.15:                               ;   in Loop: Header=BB155_14 Depth=1
	v_mov_b32_e32 v22, 0xff7fffff
	ds_write_b32 v13, v22
.LBB155_16:                             ;   in Loop: Header=BB155_14 Depth=1
	s_or_b64 exec, exec, s[10:11]
	s_xor_b64 s[0:1], s[0:1], -1
	s_and_saveexec_b64 s[10:11], s[0:1]
	s_cbranch_execz .LBB155_13
; %bb.17:                               ;   in Loop: Header=BB155_14 Depth=1
	global_load_dword v22, v[4:5], off
	s_waitcnt vmcnt(0)
	v_mad_i64_i32 v[22:23], s[0:1], v22, s51, 0
	v_lshl_add_u64 v[22:23], v[22:23], 1, v[2:3]
	global_load_dword v32, v[22:23], off
	global_load_dword v33, v[22:23], off offset:256
	global_load_dword v34, v[22:23], off offset:512
	;; [unrolled: 1-line block ×9, first 2 shown]
	ds_read2_b64 v[22:25], v9 offset1:1
	ds_read2_b64 v[26:29], v9 offset0:2 offset1:3
	ds_read_b64 v[30:31], v9 offset:32
	v_cmp_lt_i32_e64 s[0:1], v19, v18
	s_waitcnt lgkmcnt(2)
	v_lshlrev_b32_e32 v44, 16, v23
	v_and_b32_e32 v23, 0xffff0000, v23
	v_lshlrev_b32_e32 v43, 16, v22
	v_and_b32_e32 v22, 0xffff0000, v22
	;; [unrolled: 2-line block ×4, first 2 shown]
	s_waitcnt lgkmcnt(1)
	v_lshlrev_b32_e32 v47, 16, v26
	v_and_b32_e32 v26, 0xffff0000, v26
	v_lshlrev_b32_e32 v48, 16, v27
	v_and_b32_e32 v27, 0xffff0000, v27
	;; [unrolled: 2-line block ×4, first 2 shown]
	s_waitcnt lgkmcnt(0)
	v_lshlrev_b32_e32 v51, 16, v30
	v_and_b32_e32 v30, 0xffff0000, v30
	v_lshlrev_b32_e32 v52, 16, v31
	v_and_b32_e32 v31, 0xffff0000, v31
	v_cndmask_b32_e64 v42, v17, v19, s[0:1]
	v_lshlrev_b32_e32 v42, 2, v42
	v_cmp_lt_i32_e64 s[0:1], v20, v18
	s_waitcnt vmcnt(9)
	v_lshlrev_b32_e32 v53, 16, v32
	s_waitcnt vmcnt(8)
	v_lshlrev_b32_e32 v54, 16, v33
	v_and_b32_e32 v33, 0xffff0000, v33
	v_and_b32_e32 v32, 0xffff0000, v32
	v_mul_f32_e32 v44, v44, v54
	v_mul_f32_e32 v23, v23, v33
	s_waitcnt vmcnt(7)
	v_lshlrev_b32_e32 v55, 16, v34
	v_and_b32_e32 v34, 0xffff0000, v34
	v_fmac_f32_e32 v44, v43, v53
	v_fmac_f32_e32 v23, v22, v32
	s_waitcnt vmcnt(6)
	v_lshlrev_b32_e32 v56, 16, v35
	v_and_b32_e32 v35, 0xffff0000, v35
	v_fmac_f32_e32 v44, v45, v55
	v_fmac_f32_e32 v23, v24, v34
	;; [unrolled: 5-line block ×8, first 2 shown]
	v_fmac_f32_e32 v44, v52, v62
	v_fmac_f32_e32 v23, v31, v41
	v_add_f32_e32 v22, v44, v23
	ds_bpermute_b32 v23, v42, v22
	v_cndmask_b32_e64 v24, v17, v20, s[0:1]
	v_lshlrev_b32_e32 v24, 2, v24
	s_waitcnt lgkmcnt(0)
	v_add_f32_e32 v22, v22, v23
	ds_bpermute_b32 v23, v24, v22
	s_and_saveexec_b64 s[44:45], vcc
	s_cbranch_execz .LBB155_12
; %bb.18:                               ;   in Loop: Header=BB155_14 Depth=1
	v_add_u32_e32 v24, v16, v12
	v_cvt_f32_i32_e32 v24, v24
	s_waitcnt lgkmcnt(0)
	v_add_f32_e32 v22, v22, v23
	v_add_u32_e32 v25, v8, v12
	v_cmp_gt_i32_e64 s[0:1], s29, v25
	v_mul_f32_e32 v23, s50, v24
	v_cndmask_b32_e64 v23, 0, v23, s[6:7]
	v_fmac_f32_e32 v23, s39, v22
	v_cndmask_b32_e64 v22, 0, v23, s[0:1]
	ds_write_b32 v13, v22
	v_max_f32_e32 v22, v10, v10
	v_max_f32_e32 v22, v22, v23
	v_cndmask_b32_e64 v10, v10, v22, s[0:1]
	s_branch .LBB155_12
.LBB155_19:
	s_or_b64 exec, exec, s[42:43]
.LBB155_20:
	s_or_b64 exec, exec, s[40:41]
	v_mbcnt_hi_u32_b32 v2, -1, v7
	v_and_b32_e32 v3, 64, v2
	v_add_u32_e32 v3, 64, v3
	v_xor_b32_e32 v4, 32, v2
	v_cmp_lt_i32_e32 vcc, v4, v3
	v_xor_b32_e32 v8, 16, v2
	v_max_f32_e32 v5, v10, v10
	v_cndmask_b32_e32 v4, v2, v4, vcc
	v_lshlrev_b32_e32 v7, 2, v4
	ds_bpermute_b32 v4, v7, v10
	v_cmp_lt_i32_e32 vcc, v8, v3
	v_xor_b32_e32 v9, 8, v2
	s_waitcnt lgkmcnt(0)
	v_max_f32_e32 v4, v4, v4
	v_max_f32_e32 v4, v5, v4
	v_cndmask_b32_e32 v5, v2, v8, vcc
	v_lshlrev_b32_e32 v8, 2, v5
	ds_bpermute_b32 v5, v8, v4
	v_cmp_lt_i32_e32 vcc, v9, v3
	s_waitcnt lgkmcnt(0)
	v_max_f32_e32 v5, v5, v5
	v_max_f32_e32 v4, v4, v5
	v_cndmask_b32_e32 v5, v2, v9, vcc
	v_lshlrev_b32_e32 v11, 2, v5
	ds_bpermute_b32 v5, v11, v4
	v_xor_b32_e32 v9, 4, v2
	v_cmp_lt_i32_e32 vcc, v9, v3
	s_waitcnt lgkmcnt(0)
	v_max_f32_e32 v5, v5, v5
	v_max_f32_e32 v5, v4, v5
	v_cndmask_b32_e32 v4, v2, v9, vcc
	v_lshlrev_b32_e32 v12, 2, v4
	ds_bpermute_b32 v10, v12, v5
	v_and_b32_e32 v4, 63, v0
	v_cmp_eq_u32_e32 vcc, 0, v4
	v_lshlrev_b32_e32 v9, 2, v6
	s_and_saveexec_b64 s[0:1], vcc
	s_cbranch_execz .LBB155_22
; %bb.21:
	s_waitcnt lgkmcnt(0)
	v_max_f32_e32 v10, v10, v10
	v_max_f32_e32 v5, v5, v5
	;; [unrolled: 1-line block ×3, first 2 shown]
	ds_write_b32 v9, v5 offset:160
.LBB155_22:
	s_or_b64 exec, exec, s[0:1]
	v_cmp_gt_u32_e64 s[0:1], 2, v4
	v_mov_b32_e32 v5, 0xff7fffff
	s_waitcnt lgkmcnt(0)
	v_lshlrev_b32_e32 v10, 2, v4
	s_barrier
	s_and_saveexec_b64 s[6:7], s[0:1]
	s_cbranch_execz .LBB155_24
; %bb.23:
	ds_read_b32 v5, v10 offset:160
.LBB155_24:
	s_or_b64 exec, exec, s[6:7]
	v_xor_b32_e32 v13, 1, v2
	v_cmp_lt_i32_e64 s[6:7], v13, v3
	v_mov_b32_e32 v17, 0
	s_nop 0
	v_cndmask_b32_e64 v13, v2, v13, s[6:7]
	v_lshlrev_b32_e32 v13, 2, v13
	s_waitcnt lgkmcnt(0)
	ds_bpermute_b32 v16, v13, v5
	v_max_f32_e32 v5, v5, v5
	s_sub_i32 s6, s48, s16
	s_lshl_b32 s6, s6, 4
	s_add_i32 s6, s6, s49
	s_waitcnt lgkmcnt(0)
	v_max_f32_e32 v16, v16, v16
	v_max_f32_e32 v5, v5, v16
	v_lshlrev_b32_e32 v16, 2, v2
	v_and_b32_e32 v16, 0x100, v16
	ds_bpermute_b32 v5, v16, v5
	s_min_i32 s16, s6, s29
	s_sub_i32 s15, s16, s49
	v_cmp_gt_i32_e64 s[6:7], s15, v0
	s_and_saveexec_b64 s[38:39], s[6:7]
	s_cbranch_execz .LBB155_28
; %bb.25:
	v_mov_b32_e32 v17, 0xb0
	v_lshl_add_u32 v18, v0, 2, v17
	s_mov_b64 s[40:41], 0
	v_mov_b32_e32 v17, 0
	v_mov_b32_e32 v19, v0
.LBB155_26:                             ; =>This Inner Loop Header: Depth=1
	ds_read_b32 v20, v18
	v_add_u32_e32 v19, 0x80, v19
	v_cmp_le_i32_e64 s[10:11], s15, v19
	s_or_b64 s[40:41], s[10:11], s[40:41]
	s_waitcnt lgkmcnt(0)
	v_sub_f32_e32 v20, v20, v5
	v_mul_f32_e32 v20, 0x3fb8aa3b, v20
	v_exp_f32_e32 v20, v20
	ds_write_b32 v18, v20
	v_add_f32_e32 v17, v17, v20
	v_add_u32_e32 v18, 0x200, v18
	s_andn2_b64 exec, exec, s[40:41]
	s_cbranch_execnz .LBB155_26
; %bb.27:
	s_or_b64 exec, exec, s[40:41]
.LBB155_28:
	s_or_b64 exec, exec, s[38:39]
	ds_bpermute_b32 v7, v7, v17
	s_waitcnt lgkmcnt(0)
	v_add_f32_e32 v7, v17, v7
	ds_bpermute_b32 v8, v8, v7
	s_waitcnt lgkmcnt(0)
	v_add_f32_e32 v7, v7, v8
	ds_bpermute_b32 v8, v11, v7
	v_xor_b32_e32 v11, 2, v2
	v_cmp_lt_i32_e64 s[10:11], v11, v3
	s_waitcnt lgkmcnt(0)
	v_add_f32_e32 v7, v7, v8
	ds_bpermute_b32 v8, v12, v7
	v_cndmask_b32_e64 v2, v2, v11, s[10:11]
	v_lshlrev_b32_e32 v2, 2, v2
	s_waitcnt lgkmcnt(0)
	v_add_f32_e32 v3, v7, v8
	ds_bpermute_b32 v2, v2, v3
	s_waitcnt lgkmcnt(0)
	v_add_f32_e32 v2, v3, v2
	ds_bpermute_b32 v3, v13, v2
	s_waitcnt lgkmcnt(0)
	v_add_f32_e32 v2, v2, v3
	s_and_saveexec_b64 s[10:11], vcc
	s_cbranch_execz .LBB155_30
; %bb.29:
	ds_write_b32 v9, v2 offset:168
.LBB155_30:
	s_or_b64 exec, exec, s[10:11]
	s_waitcnt lgkmcnt(0)
	s_barrier
	s_and_saveexec_b64 s[10:11], s[0:1]
	s_cbranch_execz .LBB155_32
; %bb.31:
	ds_read_b32 v2, v10 offset:168
.LBB155_32:
	s_or_b64 exec, exec, s[10:11]
	s_waitcnt lgkmcnt(0)
	ds_bpermute_b32 v3, v13, v2
	s_waitcnt lgkmcnt(0)
	v_add_f32_e32 v2, v2, v3
	ds_bpermute_b32 v7, v16, v2
	s_and_saveexec_b64 s[0:1], s[6:7]
	s_cbranch_execz .LBB155_45
; %bb.33:
	s_waitcnt lgkmcnt(0)
	v_add_f32_e32 v2, 0x358637bd, v7
	v_div_scale_f32 v3, s[6:7], v2, v2, 1.0
	v_rcp_f32_e32 v8, v3
	v_div_scale_f32 v9, vcc, 1.0, v2, 1.0
	s_movk_i32 s6, 0x7f
	v_fma_f32 v10, -v3, v8, 1.0
	v_fmac_f32_e32 v8, v10, v8
	v_mul_f32_e32 v10, v9, v8
	v_fma_f32 v11, -v3, v10, v9
	v_fmac_f32_e32 v10, v11, v8
	v_fma_f32 v3, -v3, v10, v9
	v_div_fmas_f32 v3, v3, v8, v10
	v_div_fixup_f32 v2, v3, v2, 1.0
	v_xad_u32 v3, v0, -1, s16
	v_subrev_u32_e32 v8, s49, v3
	v_cmp_lt_u32_e32 vcc, s6, v8
	s_mov_b64 s[10:11], -1
	v_mov_b32_e32 v3, v0
	s_and_saveexec_b64 s[6:7], vcc
	s_cbranch_execz .LBB155_42
; %bb.34:
	v_lshrrev_b32_e32 v8, 7, v8
	v_add_u32_e32 v10, -1, v8
	v_lshrrev_b32_e32 v9, 1, v10
	v_mov_b32_e32 v3, v2
	v_add_u32_e32 v9, 1, v9
	v_cmp_lt_u32_e32 vcc, 13, v10
	v_mov_b32_e32 v12, 0
	s_and_saveexec_b64 s[10:11], vcc
	s_cbranch_execz .LBB155_38
; %bb.35:
	v_mov_b32_e32 v11, 0xb0
	v_and_b32_e32 v10, -8, v9
	v_lshl_add_u32 v11, v0, 2, v11
	s_mov_b32 s16, 0
	s_mov_b64 s[38:39], 0
.LBB155_36:                             ; =>This Inner Loop Header: Depth=1
	ds_read2st64_b32 v[16:17], v11 offset1:2
	ds_read2st64_b32 v[18:19], v11 offset0:4 offset1:6
	ds_read2st64_b32 v[20:21], v11 offset0:8 offset1:10
	;; [unrolled: 1-line block ×3, first 2 shown]
	v_add_u32_e32 v10, -8, v10
	s_waitcnt lgkmcnt(3)
	v_pk_mul_f32 v[16:17], v[2:3], v[16:17]
	s_waitcnt lgkmcnt(2)
	v_pk_mul_f32 v[18:19], v[2:3], v[18:19]
	ds_write2st64_b32 v11, v16, v17 offset1:2
	ds_write2st64_b32 v11, v18, v19 offset0:4 offset1:6
	ds_read2st64_b32 v[18:19], v11 offset0:16 offset1:18
	s_waitcnt lgkmcnt(4)
	v_pk_mul_f32 v[16:17], v[2:3], v[20:21]
	ds_write2st64_b32 v11, v16, v17 offset0:8 offset1:10
	s_waitcnt lgkmcnt(4)
	v_pk_mul_f32 v[16:17], v[2:3], v[22:23]
	ds_write2st64_b32 v11, v16, v17 offset0:12 offset1:14
	ds_read2st64_b32 v[16:17], v11 offset0:20 offset1:22
	s_waitcnt lgkmcnt(3)
	v_pk_mul_f32 v[18:19], v[2:3], v[18:19]
	ds_read2st64_b32 v[20:21], v11 offset0:24 offset1:26
	ds_write2st64_b32 v11, v18, v19 offset0:16 offset1:18
	ds_read2st64_b32 v[18:19], v11 offset0:28 offset1:30
	s_waitcnt lgkmcnt(3)
	v_pk_mul_f32 v[16:17], v[2:3], v[16:17]
	ds_write2st64_b32 v11, v16, v17 offset0:20 offset1:22
	s_waitcnt lgkmcnt(3)
	v_pk_mul_f32 v[16:17], v[2:3], v[20:21]
	ds_write2st64_b32 v11, v16, v17 offset0:24 offset1:26
	s_waitcnt lgkmcnt(2)
	v_pk_mul_f32 v[16:17], v[2:3], v[18:19]
	s_add_i32 s16, s16, 16
	v_cmp_eq_u32_e32 vcc, 0, v10
	ds_write2st64_b32 v11, v16, v17 offset0:28 offset1:30
	v_add_u32_e32 v11, 0x2000, v11
	s_or_b64 s[38:39], vcc, s[38:39]
	v_mov_b32_e32 v12, s16
	s_andn2_b64 exec, exec, s[38:39]
	s_cbranch_execnz .LBB155_36
; %bb.37:
	s_or_b64 exec, exec, s[38:39]
.LBB155_38:
	s_or_b64 exec, exec, s[10:11]
	v_and_b32_e32 v9, 7, v9
	v_cmp_ne_u32_e32 vcc, 0, v9
	s_and_saveexec_b64 s[10:11], vcc
	s_cbranch_execz .LBB155_41
; %bb.39:
	v_lshlrev_b32_e32 v10, 9, v12
	v_lshlrev_b32_e32 v11, 2, v0
	s_movk_i32 s16, 0xb0
	v_add3_u32 v10, v10, v11, s16
	s_mov_b64 s[38:39], 0
.LBB155_40:                             ; =>This Inner Loop Header: Depth=1
	ds_read2st64_b32 v[16:17], v10 offset1:2
	v_add_u32_e32 v9, -1, v9
	v_cmp_eq_u32_e32 vcc, 0, v9
	s_or_b64 s[38:39], vcc, s[38:39]
	s_waitcnt lgkmcnt(0)
	v_pk_mul_f32 v[16:17], v[2:3], v[16:17]
	ds_write2st64_b32 v10, v16, v17 offset1:2
	v_add_u32_e32 v10, 0x400, v10
	s_andn2_b64 exec, exec, s[38:39]
	s_cbranch_execnz .LBB155_40
.LBB155_41:
	s_or_b64 exec, exec, s[10:11]
	v_add_u32_e32 v8, 1, v8
	v_and_b32_e32 v9, 0x3fffffe, v8
	v_cmp_ne_u32_e32 vcc, v8, v9
	v_lshl_add_u32 v3, v9, 7, v0
	s_orn2_b64 s[10:11], vcc, exec
.LBB155_42:
	s_or_b64 exec, exec, s[6:7]
	s_and_b64 exec, exec, s[10:11]
	s_cbranch_execz .LBB155_45
; %bb.43:
	v_mov_b32_e32 v8, 0xb0
	v_lshl_add_u32 v8, v3, 2, v8
	s_mov_b64 s[6:7], 0
.LBB155_44:                             ; =>This Inner Loop Header: Depth=1
	ds_read_b32 v9, v8
	v_add_u32_e32 v3, 0x80, v3
	v_cmp_le_i32_e32 vcc, s15, v3
	s_or_b64 s[6:7], vcc, s[6:7]
	s_waitcnt lgkmcnt(0)
	v_mul_f32_e32 v9, v2, v9
	ds_write_b32 v8, v9
	v_add_u32_e32 v8, 0x200, v8
	s_andn2_b64 exec, exec, s[6:7]
	s_cbranch_execnz .LBB155_44
.LBB155_45:
	s_or_b64 exec, exec, s[0:1]
	s_mul_i32 s0, s19, s28
	v_cmp_eq_u32_e32 vcc, 0, v0
	s_mul_i32 s6, s0, s5
	s_waitcnt lgkmcnt(0)
	s_barrier
	s_and_saveexec_b64 s[0:1], vcc
	s_cbranch_execz .LBB155_47
; %bb.46:
	s_ashr_i32 s7, s6, 31
	s_lshl_b64 s[10:11], s[6:7], 2
	s_add_u32 s5, s22, s10
	s_mul_i32 s22, s19, s2
	s_addc_u32 s7, s23, s11
	s_ashr_i32 s23, s22, 31
	s_lshl_b64 s[22:23], s[22:23], 2
	s_add_u32 s2, s5, s22
	s_addc_u32 s7, s7, s23
	s_ashr_i32 s5, s4, 31
	s_lshl_b64 s[38:39], s[4:5], 2
	s_add_u32 s40, s2, s38
	s_addc_u32 s41, s7, s39
	s_add_u32 s2, s20, s10
	s_addc_u32 s5, s21, s11
	s_add_u32 s2, s2, s22
	s_addc_u32 s5, s5, s23
	s_add_u32 s10, s2, s38
	v_mov_b32_e32 v2, 0
	s_addc_u32 s11, s5, s39
	global_store_dword v2, v5, s[40:41]
	global_store_dword v2, v7, s[10:11]
.LBB155_47:
	s_or_b64 exec, exec, s[0:1]
	s_mov_b32 s0, 0
	v_mov_b32_e32 v12, 0
	v_lshrrev_b32_e32 v23, 1, v4
	v_and_b32_e32 v22, 1, v0
	v_mov_b32_e32 v11, 0
	v_mov_b32_e32 v10, 0
	s_and_saveexec_b64 s[10:11], s[8:9]
	s_cbranch_execz .LBB155_189
; %bb.48:
	s_ashr_i32 s15, s14, 31
	s_sub_i32 s5, s12, s17
	s_lshl_b64 s[8:9], s[14:15], 1
	s_add_u32 s8, s36, s8
	s_addc_u32 s9, s37, s9
	s_abs_i32 s7, s18
	v_cvt_f32_u32_e32 v3, s7
	v_or_b32_e32 v4, 64, v23
	s_movk_i32 s1, 0x50
	s_add_i32 s20, s3, -1
	v_rcp_iflag_f32_e32 v3, v3
	v_cmp_gt_u32_e32 vcc, s1, v4
	s_sub_i32 s1, 0, s7
	s_lshl_b64 s[2:3], s[34:35], 2
	v_mul_f32_e32 v3, 0x4f7ffffe, v3
	v_cvt_u32_f32_e32 v3, v3
	s_add_u32 s2, s30, s2
	v_lshlrev_b32_e32 v2, 3, v0
	s_addc_u32 s3, s31, s3
	v_mul_lo_u32 v5, s1, v3
	v_mul_hi_u32 v5, v3, v5
	v_and_b32_e32 v24, 8, v2
	v_add_u32_e32 v25, v3, v5
	v_lshl_add_u64 v[18:19], v[14:15], 2, s[2:3]
	v_lshlrev_b32_e32 v3, 5, v22
	s_mov_b32 s2, s0
	v_lshl_or_b32 v2, v23, 4, v24
	v_lshl_or_b32 v4, v4, 4, v24
	;; [unrolled: 1-line block ×3, first 2 shown]
	s_mov_b32 s1, s0
	v_mov_b32_e32 v12, s2
	s_mov_b32 s18, s13
	v_mov_b32_e32 v17, 0
	v_add_u32_e32 v15, 0xb0, v3
	s_mov_b64 s[12:13], 0
	v_mov_b32_e32 v11, s1
	v_mov_b32_e32 v10, s0
	s_mov_b32 s21, 0x7f800000
	s_movk_i32 s22, 0x7fff
	v_lshlrev_b32_e32 v16, 1, v2
	v_lshlrev_b32_e32 v20, 1, v4
	s_branch .LBB155_52
.LBB155_49:                             ;   in Loop: Header=BB155_52 Depth=1
	s_or_b64 exec, exec, s[16:17]
	v_and_b32_e32 v26, 0xffff0000, v8
	v_and_b32_e32 v9, 0xffff0000, v9
	;; [unrolled: 1-line block ×8, first 2 shown]
	v_pk_add_f32 v[2:3], v[2:3], v[8:9]
	v_pk_add_f32 v[4:5], v[4:5], v[26:27]
	v_add_f32_e32 v2, v2, v3
	v_add_f32_e32 v2, v2, v4
	;; [unrolled: 1-line block ×4, first 2 shown]
.LBB155_50:                             ;   in Loop: Header=BB155_52 Depth=1
	s_or_b64 exec, exec, s[2:3]
.LBB155_51:                             ;   in Loop: Header=BB155_52 Depth=1
	s_or_b64 exec, exec, s[14:15]
	v_add_u32_e32 v14, 2, v14
	v_cmp_le_i32_e64 s[0:1], s48, v14
	v_lshl_add_u64 v[18:19], v[18:19], 0, 8
	v_add_u32_e32 v1, 32, v1
	s_or_b64 s[12:13], s[0:1], s[12:13]
	v_add_u32_e32 v15, 0x80, v15
	s_andn2_b64 exec, exec, s[12:13]
	s_cbranch_execz .LBB155_188
.LBB155_52:                             ; =>This Inner Loop Header: Depth=1
	v_sub_u32_e32 v3, 0, v1
	v_max_i32_e32 v3, v1, v3
	v_mul_hi_u32 v4, v3, s33
	v_mul_lo_u32 v5, v4, s25
	v_sub_u32_e32 v3, v3, v5
	v_add_u32_e32 v5, 1, v4
	v_cmp_le_u32_e64 s[0:1], s25, v3
	v_ashrrev_i32_e32 v2, 31, v1
	v_xor_b32_e32 v2, s47, v2
	v_cndmask_b32_e64 v4, v4, v5, s[0:1]
	v_subrev_u32_e32 v5, s25, v3
	v_cndmask_b32_e64 v3, v3, v5, s[0:1]
	v_add_u32_e32 v5, 1, v4
	v_cmp_le_u32_e64 s[0:1], s25, v3
	s_nop 1
	v_cndmask_b32_e64 v3, v4, v5, s[0:1]
	v_xor_b32_e32 v3, v3, v2
	v_sub_u32_e32 v2, v3, v2
	v_add_u32_e32 v3, s46, v2
	v_sub_u32_e32 v5, 0, v3
	v_ashrrev_i32_e32 v4, 31, v3
	v_max_i32_e32 v3, v3, v5
	v_mul_hi_u32 v5, v3, v25
	v_mul_lo_u32 v5, v5, s7
	v_sub_u32_e32 v3, v3, v5
	v_subrev_u32_e32 v5, s7, v3
	v_cmp_le_u32_e64 s[0:1], s7, v3
	v_cmp_lt_i32_e64 s[2:3], s5, v2
	s_nop 0
	v_cndmask_b32_e64 v3, v3, v5, s[0:1]
	v_subrev_u32_e32 v5, s7, v3
	v_cmp_le_u32_e64 s[0:1], s7, v3
	s_nop 1
	v_cndmask_b32_e64 v3, v3, v5, s[0:1]
	v_xor_b32_e32 v3, v3, v4
	v_sub_u32_e32 v3, v3, v4
	v_cmp_eq_u32_e64 s[0:1], 0, v3
	s_or_b64 s[0:1], s[0:1], s[2:3]
	s_and_saveexec_b64 s[14:15], s[0:1]
	s_cbranch_execz .LBB155_51
; %bb.53:                               ;   in Loop: Header=BB155_52 Depth=1
	global_load_dword v26, v[18:19], off
	ds_read2_b64 v[6:9], v15 offset1:1
	ds_read2_b64 v[2:5], v15 offset0:2 offset1:3
	s_waitcnt lgkmcnt(1)
	v_and_b32_e32 v21, 0x7f800000, v6
	v_cmp_ne_u32_e64 s[0:1], s21, v21
                                        ; implicit-def: $vgpr21
	s_and_saveexec_b64 s[2:3], s[0:1]
	s_xor_b64 s[0:1], exec, s[2:3]
; %bb.54:                               ;   in Loop: Header=BB155_52 Depth=1
	v_bfe_u32 v21, v6, 16, 1
	v_add3_u32 v21, v6, v21, s22
; %bb.55:                               ;   in Loop: Header=BB155_52 Depth=1
	s_andn2_saveexec_b64 s[2:3], s[0:1]
; %bb.56:                               ;   in Loop: Header=BB155_52 Depth=1
	v_or_b32_e32 v21, 0x10000, v6
	v_cmp_eq_u32_sdwa s[0:1], v6, v17 src0_sel:WORD_0 src1_sel:DWORD
	s_nop 1
	v_cndmask_b32_e64 v21, v21, v6, s[0:1]
; %bb.57:                               ;   in Loop: Header=BB155_52 Depth=1
	s_or_b64 exec, exec, s[2:3]
	v_and_b32_e32 v6, 0x7f800000, v7
	v_cmp_ne_u32_e64 s[0:1], s21, v6
                                        ; implicit-def: $vgpr28
	s_and_saveexec_b64 s[2:3], s[0:1]
	s_xor_b64 s[0:1], exec, s[2:3]
; %bb.58:                               ;   in Loop: Header=BB155_52 Depth=1
	v_bfe_u32 v6, v7, 16, 1
	v_add3_u32 v28, v7, v6, s22
; %bb.59:                               ;   in Loop: Header=BB155_52 Depth=1
	s_andn2_saveexec_b64 s[2:3], s[0:1]
; %bb.60:                               ;   in Loop: Header=BB155_52 Depth=1
	v_or_b32_e32 v6, 0x10000, v7
	v_cmp_eq_u32_sdwa s[0:1], v7, v17 src0_sel:WORD_0 src1_sel:DWORD
	s_nop 1
	v_cndmask_b32_e64 v28, v6, v7, s[0:1]
; %bb.61:                               ;   in Loop: Header=BB155_52 Depth=1
	s_or_b64 exec, exec, s[2:3]
	v_and_b32_e32 v6, 0x7f800000, v8
	v_cmp_ne_u32_e64 s[0:1], s21, v6
                                        ; implicit-def: $vgpr29
	s_and_saveexec_b64 s[2:3], s[0:1]
	s_xor_b64 s[0:1], exec, s[2:3]
; %bb.62:                               ;   in Loop: Header=BB155_52 Depth=1
	v_bfe_u32 v6, v8, 16, 1
	v_add3_u32 v29, v8, v6, s22
; %bb.63:                               ;   in Loop: Header=BB155_52 Depth=1
	s_andn2_saveexec_b64 s[2:3], s[0:1]
; %bb.64:                               ;   in Loop: Header=BB155_52 Depth=1
	v_or_b32_e32 v6, 0x10000, v8
	v_cmp_eq_u32_sdwa s[0:1], v8, v17 src0_sel:WORD_0 src1_sel:DWORD
	s_nop 1
	v_cndmask_b32_e64 v29, v6, v8, s[0:1]
; %bb.65:                               ;   in Loop: Header=BB155_52 Depth=1
	s_or_b64 exec, exec, s[2:3]
	v_and_b32_e32 v6, 0x7f800000, v9
	v_cmp_ne_u32_e64 s[0:1], s21, v6
                                        ; implicit-def: $vgpr30
	s_and_saveexec_b64 s[2:3], s[0:1]
	s_xor_b64 s[0:1], exec, s[2:3]
; %bb.66:                               ;   in Loop: Header=BB155_52 Depth=1
	v_bfe_u32 v6, v9, 16, 1
	v_add3_u32 v30, v9, v6, s22
                                        ; implicit-def: $vgpr6_vgpr7_vgpr8_vgpr9
; %bb.67:                               ;   in Loop: Header=BB155_52 Depth=1
	s_andn2_saveexec_b64 s[2:3], s[0:1]
; %bb.68:                               ;   in Loop: Header=BB155_52 Depth=1
	v_or_b32_e32 v6, 0x10000, v9
	v_cmp_eq_u32_sdwa s[0:1], v9, v17 src0_sel:WORD_0 src1_sel:DWORD
	s_nop 1
	v_cndmask_b32_e64 v30, v6, v9, s[0:1]
; %bb.69:                               ;   in Loop: Header=BB155_52 Depth=1
	s_or_b64 exec, exec, s[2:3]
	s_waitcnt lgkmcnt(0)
	v_and_b32_e32 v6, 0x7f800000, v2
	v_cmp_ne_u32_e64 s[0:1], s21, v6
                                        ; implicit-def: $vgpr31
	s_and_saveexec_b64 s[2:3], s[0:1]
	s_xor_b64 s[0:1], exec, s[2:3]
; %bb.70:                               ;   in Loop: Header=BB155_52 Depth=1
	v_bfe_u32 v6, v2, 16, 1
	v_add3_u32 v31, v2, v6, s22
; %bb.71:                               ;   in Loop: Header=BB155_52 Depth=1
	s_andn2_saveexec_b64 s[2:3], s[0:1]
; %bb.72:                               ;   in Loop: Header=BB155_52 Depth=1
	v_or_b32_e32 v6, 0x10000, v2
	v_cmp_eq_u32_sdwa s[0:1], v2, v17 src0_sel:WORD_0 src1_sel:DWORD
	s_nop 1
	v_cndmask_b32_e64 v31, v6, v2, s[0:1]
; %bb.73:                               ;   in Loop: Header=BB155_52 Depth=1
	s_or_b64 exec, exec, s[2:3]
	v_and_b32_e32 v2, 0x7f800000, v3
	v_cmp_ne_u32_e64 s[0:1], s21, v2
                                        ; implicit-def: $vgpr32
	s_and_saveexec_b64 s[2:3], s[0:1]
	s_xor_b64 s[0:1], exec, s[2:3]
; %bb.74:                               ;   in Loop: Header=BB155_52 Depth=1
	v_bfe_u32 v2, v3, 16, 1
	v_add3_u32 v32, v3, v2, s22
; %bb.75:                               ;   in Loop: Header=BB155_52 Depth=1
	s_andn2_saveexec_b64 s[2:3], s[0:1]
; %bb.76:                               ;   in Loop: Header=BB155_52 Depth=1
	v_or_b32_e32 v2, 0x10000, v3
	v_cmp_eq_u32_sdwa s[0:1], v3, v17 src0_sel:WORD_0 src1_sel:DWORD
	s_nop 1
	v_cndmask_b32_e64 v32, v2, v3, s[0:1]
; %bb.77:                               ;   in Loop: Header=BB155_52 Depth=1
	s_or_b64 exec, exec, s[2:3]
	v_and_b32_e32 v2, 0x7f800000, v4
	v_cmp_ne_u32_e64 s[0:1], s21, v2
                                        ; implicit-def: $vgpr33
	s_and_saveexec_b64 s[2:3], s[0:1]
	s_xor_b64 s[0:1], exec, s[2:3]
; %bb.78:                               ;   in Loop: Header=BB155_52 Depth=1
	v_bfe_u32 v2, v4, 16, 1
	v_add3_u32 v33, v4, v2, s22
; %bb.79:                               ;   in Loop: Header=BB155_52 Depth=1
	s_andn2_saveexec_b64 s[2:3], s[0:1]
; %bb.80:                               ;   in Loop: Header=BB155_52 Depth=1
	v_or_b32_e32 v2, 0x10000, v4
	v_cmp_eq_u32_sdwa s[0:1], v4, v17 src0_sel:WORD_0 src1_sel:DWORD
	s_nop 1
	v_cndmask_b32_e64 v33, v2, v4, s[0:1]
; %bb.81:                               ;   in Loop: Header=BB155_52 Depth=1
	s_or_b64 exec, exec, s[2:3]
	v_and_b32_e32 v2, 0x7f800000, v5
	v_cmp_ne_u32_e64 s[0:1], s21, v2
                                        ; implicit-def: $vgpr34
	s_and_saveexec_b64 s[2:3], s[0:1]
	s_xor_b64 s[0:1], exec, s[2:3]
; %bb.82:                               ;   in Loop: Header=BB155_52 Depth=1
	v_bfe_u32 v2, v5, 16, 1
	v_add3_u32 v34, v5, v2, s22
                                        ; implicit-def: $vgpr2_vgpr3_vgpr4_vgpr5
; %bb.83:                               ;   in Loop: Header=BB155_52 Depth=1
	s_andn2_saveexec_b64 s[2:3], s[0:1]
; %bb.84:                               ;   in Loop: Header=BB155_52 Depth=1
	v_or_b32_e32 v2, 0x10000, v5
	v_cmp_eq_u32_sdwa s[0:1], v5, v17 src0_sel:WORD_0 src1_sel:DWORD
	s_nop 1
	v_cndmask_b32_e64 v34, v2, v5, s[0:1]
; %bb.85:                               ;   in Loop: Header=BB155_52 Depth=1
	s_or_b64 exec, exec, s[2:3]
	s_waitcnt vmcnt(0)
	v_mad_i64_i32 v[2:3], s[0:1], v26, s18, 0
	v_lshl_add_u64 v[6:7], v[2:3], 1, s[8:9]
	v_lshl_add_u64 v[8:9], v[6:7], 0, v[16:17]
	global_load_dwordx4 v[2:5], v[8:9], off
	v_add_u32_e32 v26, v24, v1
	v_cmp_eq_u32_e64 s[0:1], s20, v14
	s_waitcnt vmcnt(0)
	v_lshrrev_b32_e32 v35, 16, v2
	v_lshrrev_b32_e32 v37, 16, v3
	v_lshrrev_b32_e32 v39, 16, v4
	v_lshrrev_b32_e32 v41, 16, v5
	s_and_saveexec_b64 s[16:17], s[0:1]
	s_cbranch_execz .LBB155_87
; %bb.86:                               ;   in Loop: Header=BB155_52 Depth=1
	v_cmp_gt_i32_e64 s[2:3], s29, v26
	v_add_u32_e32 v27, 1, v26
	s_nop 0
	v_cndmask_b32_e64 v2, 0, v2, s[2:3]
	v_cmp_gt_i32_e64 s[2:3], s29, v27
	v_add_u32_e32 v27, 2, v26
	s_nop 0
	v_cndmask_b32_e64 v35, 0, v35, s[2:3]
	;; [unrolled: 4-line block ×7, first 2 shown]
	v_cmp_gt_i32_e64 s[2:3], s29, v27
	s_nop 1
	v_cndmask_b32_e64 v41, 0, v41, s[2:3]
.LBB155_87:                             ;   in Loop: Header=BB155_52 Depth=1
	s_or_b64 exec, exec, s[16:17]
	v_and_b32_e32 v27, 0xffff0000, v21
	v_lshlrev_b32_e32 v2, 16, v2
	v_mul_f32_e32 v2, v27, v2
	v_and_b32_e32 v21, 0x7f800000, v2
	v_cmp_ne_u32_e64 s[2:3], s21, v21
                                        ; implicit-def: $vgpr21
	s_and_saveexec_b64 s[16:17], s[2:3]
	s_xor_b64 s[2:3], exec, s[16:17]
; %bb.88:                               ;   in Loop: Header=BB155_52 Depth=1
	v_bfe_u32 v21, v2, 16, 1
	v_add3_u32 v21, v2, v21, s22
                                        ; implicit-def: $vgpr2
; %bb.89:                               ;   in Loop: Header=BB155_52 Depth=1
	s_andn2_saveexec_b64 s[16:17], s[2:3]
; %bb.90:                               ;   in Loop: Header=BB155_52 Depth=1
	v_or_b32_e32 v21, 0x10000, v2
	v_cmp_eq_u32_sdwa s[2:3], v2, v17 src0_sel:WORD_0 src1_sel:DWORD
	s_nop 1
	v_cndmask_b32_e64 v21, v21, v2, s[2:3]
; %bb.91:                               ;   in Loop: Header=BB155_52 Depth=1
	s_or_b64 exec, exec, s[16:17]
	v_and_b32_e32 v28, 0xffff0000, v28
	v_lshlrev_b32_e32 v2, 16, v35
	v_mul_f32_e32 v2, v28, v2
	v_and_b32_e32 v35, 0x7f800000, v2
	v_cmp_ne_u32_e64 s[2:3], s21, v35
                                        ; implicit-def: $vgpr35
	s_and_saveexec_b64 s[16:17], s[2:3]
	s_xor_b64 s[2:3], exec, s[16:17]
; %bb.92:                               ;   in Loop: Header=BB155_52 Depth=1
	v_bfe_u32 v35, v2, 16, 1
	v_add3_u32 v35, v2, v35, s22
                                        ; implicit-def: $vgpr2
; %bb.93:                               ;   in Loop: Header=BB155_52 Depth=1
	s_andn2_saveexec_b64 s[16:17], s[2:3]
; %bb.94:                               ;   in Loop: Header=BB155_52 Depth=1
	v_or_b32_e32 v35, 0x10000, v2
	v_cmp_eq_u32_sdwa s[2:3], v2, v17 src0_sel:WORD_0 src1_sel:DWORD
	s_nop 1
	v_cndmask_b32_e64 v35, v35, v2, s[2:3]
; %bb.95:                               ;   in Loop: Header=BB155_52 Depth=1
	s_or_b64 exec, exec, s[16:17]
	v_and_b32_e32 v29, 0xffff0000, v29
	v_lshlrev_b32_e32 v2, 16, v3
	v_mul_f32_e32 v2, v29, v2
	v_and_b32_e32 v3, 0x7f800000, v2
	v_cmp_ne_u32_e64 s[2:3], s21, v3
                                        ; implicit-def: $vgpr36
	s_and_saveexec_b64 s[16:17], s[2:3]
	s_xor_b64 s[2:3], exec, s[16:17]
; %bb.96:                               ;   in Loop: Header=BB155_52 Depth=1
	v_bfe_u32 v3, v2, 16, 1
	v_add3_u32 v36, v2, v3, s22
                                        ; implicit-def: $vgpr2
; %bb.97:                               ;   in Loop: Header=BB155_52 Depth=1
	s_andn2_saveexec_b64 s[16:17], s[2:3]
; %bb.98:                               ;   in Loop: Header=BB155_52 Depth=1
	v_or_b32_e32 v3, 0x10000, v2
	v_cmp_eq_u32_sdwa s[2:3], v2, v17 src0_sel:WORD_0 src1_sel:DWORD
	s_nop 1
	v_cndmask_b32_e64 v36, v3, v2, s[2:3]
; %bb.99:                               ;   in Loop: Header=BB155_52 Depth=1
	s_or_b64 exec, exec, s[16:17]
	v_and_b32_e32 v30, 0xffff0000, v30
	v_lshlrev_b32_e32 v2, 16, v37
	v_mul_f32_e32 v2, v30, v2
	v_and_b32_e32 v3, 0x7f800000, v2
	v_cmp_ne_u32_e64 s[2:3], s21, v3
                                        ; implicit-def: $vgpr37
	s_and_saveexec_b64 s[16:17], s[2:3]
	s_xor_b64 s[2:3], exec, s[16:17]
; %bb.100:                              ;   in Loop: Header=BB155_52 Depth=1
	v_bfe_u32 v3, v2, 16, 1
	v_add3_u32 v37, v2, v3, s22
                                        ; implicit-def: $vgpr2
; %bb.101:                              ;   in Loop: Header=BB155_52 Depth=1
	s_andn2_saveexec_b64 s[16:17], s[2:3]
; %bb.102:                              ;   in Loop: Header=BB155_52 Depth=1
	v_or_b32_e32 v3, 0x10000, v2
	v_cmp_eq_u32_sdwa s[2:3], v2, v17 src0_sel:WORD_0 src1_sel:DWORD
	s_nop 1
	v_cndmask_b32_e64 v37, v3, v2, s[2:3]
; %bb.103:                              ;   in Loop: Header=BB155_52 Depth=1
	s_or_b64 exec, exec, s[16:17]
	v_and_b32_e32 v31, 0xffff0000, v31
	v_lshlrev_b32_e32 v2, 16, v4
	v_mul_f32_e32 v2, v31, v2
	v_and_b32_e32 v3, 0x7f800000, v2
	v_cmp_ne_u32_e64 s[2:3], s21, v3
                                        ; implicit-def: $vgpr38
	s_and_saveexec_b64 s[16:17], s[2:3]
	s_xor_b64 s[2:3], exec, s[16:17]
; %bb.104:                              ;   in Loop: Header=BB155_52 Depth=1
	v_bfe_u32 v3, v2, 16, 1
	v_add3_u32 v38, v2, v3, s22
                                        ; implicit-def: $vgpr2
; %bb.105:                              ;   in Loop: Header=BB155_52 Depth=1
	s_andn2_saveexec_b64 s[16:17], s[2:3]
; %bb.106:                              ;   in Loop: Header=BB155_52 Depth=1
	v_or_b32_e32 v3, 0x10000, v2
	v_cmp_eq_u32_sdwa s[2:3], v2, v17 src0_sel:WORD_0 src1_sel:DWORD
	s_nop 1
	v_cndmask_b32_e64 v38, v3, v2, s[2:3]
; %bb.107:                              ;   in Loop: Header=BB155_52 Depth=1
	s_or_b64 exec, exec, s[16:17]
	v_and_b32_e32 v32, 0xffff0000, v32
	v_lshlrev_b32_e32 v2, 16, v39
	v_mul_f32_e32 v2, v32, v2
	v_and_b32_e32 v3, 0x7f800000, v2
	v_cmp_ne_u32_e64 s[2:3], s21, v3
                                        ; implicit-def: $vgpr39
	s_and_saveexec_b64 s[16:17], s[2:3]
	s_xor_b64 s[2:3], exec, s[16:17]
; %bb.108:                              ;   in Loop: Header=BB155_52 Depth=1
	v_bfe_u32 v3, v2, 16, 1
	v_add3_u32 v39, v2, v3, s22
                                        ; implicit-def: $vgpr2
; %bb.109:                              ;   in Loop: Header=BB155_52 Depth=1
	s_andn2_saveexec_b64 s[16:17], s[2:3]
; %bb.110:                              ;   in Loop: Header=BB155_52 Depth=1
	v_or_b32_e32 v3, 0x10000, v2
	v_cmp_eq_u32_sdwa s[2:3], v2, v17 src0_sel:WORD_0 src1_sel:DWORD
	s_nop 1
	v_cndmask_b32_e64 v39, v3, v2, s[2:3]
; %bb.111:                              ;   in Loop: Header=BB155_52 Depth=1
	s_or_b64 exec, exec, s[16:17]
	v_and_b32_e32 v33, 0xffff0000, v33
	v_lshlrev_b32_e32 v2, 16, v5
	v_mul_f32_e32 v2, v33, v2
	v_and_b32_e32 v3, 0x7f800000, v2
	v_cmp_ne_u32_e64 s[2:3], s21, v3
                                        ; implicit-def: $vgpr40
	s_and_saveexec_b64 s[16:17], s[2:3]
	s_xor_b64 s[2:3], exec, s[16:17]
; %bb.112:                              ;   in Loop: Header=BB155_52 Depth=1
	v_bfe_u32 v3, v2, 16, 1
	v_add3_u32 v40, v2, v3, s22
                                        ; implicit-def: $vgpr2
; %bb.113:                              ;   in Loop: Header=BB155_52 Depth=1
	s_andn2_saveexec_b64 s[16:17], s[2:3]
; %bb.114:                              ;   in Loop: Header=BB155_52 Depth=1
	v_or_b32_e32 v3, 0x10000, v2
	v_cmp_eq_u32_sdwa s[2:3], v2, v17 src0_sel:WORD_0 src1_sel:DWORD
	s_nop 1
	v_cndmask_b32_e64 v40, v3, v2, s[2:3]
; %bb.115:                              ;   in Loop: Header=BB155_52 Depth=1
	s_or_b64 exec, exec, s[16:17]
	v_and_b32_e32 v34, 0xffff0000, v34
	v_lshlrev_b32_e32 v2, 16, v41
	v_mul_f32_e32 v2, v34, v2
	v_and_b32_e32 v3, 0x7f800000, v2
	v_cmp_ne_u32_e64 s[2:3], s21, v3
                                        ; implicit-def: $vgpr41
	s_and_saveexec_b64 s[16:17], s[2:3]
	s_xor_b64 s[2:3], exec, s[16:17]
; %bb.116:                              ;   in Loop: Header=BB155_52 Depth=1
	v_bfe_u32 v3, v2, 16, 1
	v_add3_u32 v41, v2, v3, s22
                                        ; implicit-def: $vgpr2
; %bb.117:                              ;   in Loop: Header=BB155_52 Depth=1
	s_andn2_saveexec_b64 s[16:17], s[2:3]
; %bb.118:                              ;   in Loop: Header=BB155_52 Depth=1
	v_or_b32_e32 v3, 0x10000, v2
	v_cmp_eq_u32_sdwa s[2:3], v2, v17 src0_sel:WORD_0 src1_sel:DWORD
	s_nop 1
	v_cndmask_b32_e64 v41, v3, v2, s[2:3]
; %bb.119:                              ;   in Loop: Header=BB155_52 Depth=1
	s_or_b64 exec, exec, s[16:17]
	global_load_dwordx4 v[2:5], v[8:9], off offset:1024
	s_waitcnt vmcnt(0)
	v_lshrrev_b32_e32 v9, 16, v2
	v_lshrrev_b32_e32 v43, 16, v3
	;; [unrolled: 1-line block ×4, first 2 shown]
	s_and_saveexec_b64 s[16:17], s[0:1]
	s_cbranch_execz .LBB155_121
; %bb.120:                              ;   in Loop: Header=BB155_52 Depth=1
	v_cmp_gt_i32_e64 s[2:3], s29, v26
	v_add_u32_e32 v44, 1, v26
	s_nop 0
	v_cndmask_b32_e64 v2, 0, v2, s[2:3]
	v_cmp_gt_i32_e64 s[2:3], s29, v44
	v_add_u32_e32 v44, 2, v26
	s_nop 0
	v_cndmask_b32_e64 v9, 0, v9, s[2:3]
	;; [unrolled: 4-line block ×7, first 2 shown]
	v_cmp_gt_i32_e64 s[2:3], s29, v44
	s_nop 1
	v_cndmask_b32_e64 v8, 0, v8, s[2:3]
.LBB155_121:                            ;   in Loop: Header=BB155_52 Depth=1
	s_or_b64 exec, exec, s[16:17]
	v_lshlrev_b32_e32 v2, 16, v2
	v_mul_f32_e32 v44, v27, v2
	v_and_b32_e32 v2, 0x7f800000, v44
	v_cmp_ne_u32_e64 s[2:3], s21, v2
                                        ; implicit-def: $vgpr2
	s_and_saveexec_b64 s[16:17], s[2:3]
	s_xor_b64 s[2:3], exec, s[16:17]
; %bb.122:                              ;   in Loop: Header=BB155_52 Depth=1
	v_bfe_u32 v2, v44, 16, 1
	v_add3_u32 v2, v44, v2, s22
                                        ; implicit-def: $vgpr44
; %bb.123:                              ;   in Loop: Header=BB155_52 Depth=1
	s_andn2_saveexec_b64 s[16:17], s[2:3]
; %bb.124:                              ;   in Loop: Header=BB155_52 Depth=1
	v_or_b32_e32 v2, 0x10000, v44
	v_cmp_eq_u32_sdwa s[2:3], v44, v17 src0_sel:WORD_0 src1_sel:DWORD
	s_nop 1
	v_cndmask_b32_e64 v2, v2, v44, s[2:3]
; %bb.125:                              ;   in Loop: Header=BB155_52 Depth=1
	s_or_b64 exec, exec, s[16:17]
	v_lshlrev_b32_e32 v9, 16, v9
	v_mul_f32_e32 v44, v28, v9
	v_and_b32_e32 v9, 0x7f800000, v44
	v_cmp_ne_u32_e64 s[2:3], s21, v9
                                        ; implicit-def: $vgpr9
	s_and_saveexec_b64 s[16:17], s[2:3]
	s_xor_b64 s[2:3], exec, s[16:17]
; %bb.126:                              ;   in Loop: Header=BB155_52 Depth=1
	v_bfe_u32 v9, v44, 16, 1
	v_add3_u32 v9, v44, v9, s22
                                        ; implicit-def: $vgpr44
; %bb.127:                              ;   in Loop: Header=BB155_52 Depth=1
	s_andn2_saveexec_b64 s[16:17], s[2:3]
; %bb.128:                              ;   in Loop: Header=BB155_52 Depth=1
	v_or_b32_e32 v9, 0x10000, v44
	v_cmp_eq_u32_sdwa s[2:3], v44, v17 src0_sel:WORD_0 src1_sel:DWORD
	s_nop 1
	v_cndmask_b32_e64 v9, v9, v44, s[2:3]
; %bb.129:                              ;   in Loop: Header=BB155_52 Depth=1
	s_or_b64 exec, exec, s[16:17]
	v_lshlrev_b32_e32 v3, 16, v3
	v_mul_f32_e32 v44, v29, v3
	v_and_b32_e32 v3, 0x7f800000, v44
	v_cmp_ne_u32_e64 s[2:3], s21, v3
                                        ; implicit-def: $vgpr3
	s_and_saveexec_b64 s[16:17], s[2:3]
	s_xor_b64 s[2:3], exec, s[16:17]
; %bb.130:                              ;   in Loop: Header=BB155_52 Depth=1
	v_bfe_u32 v3, v44, 16, 1
	v_add3_u32 v3, v44, v3, s22
                                        ; implicit-def: $vgpr44
; %bb.131:                              ;   in Loop: Header=BB155_52 Depth=1
	s_andn2_saveexec_b64 s[16:17], s[2:3]
; %bb.132:                              ;   in Loop: Header=BB155_52 Depth=1
	v_or_b32_e32 v3, 0x10000, v44
	v_cmp_eq_u32_sdwa s[2:3], v44, v17 src0_sel:WORD_0 src1_sel:DWORD
	s_nop 1
	v_cndmask_b32_e64 v3, v3, v44, s[2:3]
; %bb.133:                              ;   in Loop: Header=BB155_52 Depth=1
	s_or_b64 exec, exec, s[16:17]
	v_lshlrev_b32_e32 v43, 16, v43
	v_mul_f32_e32 v44, v30, v43
	v_and_b32_e32 v43, 0x7f800000, v44
	v_cmp_ne_u32_e64 s[2:3], s21, v43
                                        ; implicit-def: $vgpr43
	s_and_saveexec_b64 s[16:17], s[2:3]
	s_xor_b64 s[2:3], exec, s[16:17]
; %bb.134:                              ;   in Loop: Header=BB155_52 Depth=1
	v_bfe_u32 v43, v44, 16, 1
	v_add3_u32 v43, v44, v43, s22
                                        ; implicit-def: $vgpr44
; %bb.135:                              ;   in Loop: Header=BB155_52 Depth=1
	s_andn2_saveexec_b64 s[16:17], s[2:3]
; %bb.136:                              ;   in Loop: Header=BB155_52 Depth=1
	v_or_b32_e32 v43, 0x10000, v44
	v_cmp_eq_u32_sdwa s[2:3], v44, v17 src0_sel:WORD_0 src1_sel:DWORD
	s_nop 1
	v_cndmask_b32_e64 v43, v43, v44, s[2:3]
; %bb.137:                              ;   in Loop: Header=BB155_52 Depth=1
	s_or_b64 exec, exec, s[16:17]
	v_lshlrev_b32_e32 v4, 16, v4
	v_mul_f32_e32 v44, v31, v4
	v_and_b32_e32 v4, 0x7f800000, v44
	v_cmp_ne_u32_e64 s[2:3], s21, v4
                                        ; implicit-def: $vgpr4
	s_and_saveexec_b64 s[16:17], s[2:3]
	s_xor_b64 s[2:3], exec, s[16:17]
; %bb.138:                              ;   in Loop: Header=BB155_52 Depth=1
	v_bfe_u32 v4, v44, 16, 1
	v_add3_u32 v4, v44, v4, s22
                                        ; implicit-def: $vgpr44
; %bb.139:                              ;   in Loop: Header=BB155_52 Depth=1
	s_andn2_saveexec_b64 s[16:17], s[2:3]
; %bb.140:                              ;   in Loop: Header=BB155_52 Depth=1
	v_or_b32_e32 v4, 0x10000, v44
	v_cmp_eq_u32_sdwa s[2:3], v44, v17 src0_sel:WORD_0 src1_sel:DWORD
	s_nop 1
	v_cndmask_b32_e64 v4, v4, v44, s[2:3]
; %bb.141:                              ;   in Loop: Header=BB155_52 Depth=1
	s_or_b64 exec, exec, s[16:17]
	v_lshlrev_b32_e32 v42, 16, v42
	v_mul_f32_e32 v44, v32, v42
	v_and_b32_e32 v42, 0x7f800000, v44
	v_cmp_ne_u32_e64 s[2:3], s21, v42
                                        ; implicit-def: $vgpr42
	s_and_saveexec_b64 s[16:17], s[2:3]
	s_xor_b64 s[2:3], exec, s[16:17]
; %bb.142:                              ;   in Loop: Header=BB155_52 Depth=1
	v_bfe_u32 v42, v44, 16, 1
	v_add3_u32 v42, v44, v42, s22
                                        ; implicit-def: $vgpr44
; %bb.143:                              ;   in Loop: Header=BB155_52 Depth=1
	s_andn2_saveexec_b64 s[16:17], s[2:3]
; %bb.144:                              ;   in Loop: Header=BB155_52 Depth=1
	v_or_b32_e32 v42, 0x10000, v44
	v_cmp_eq_u32_sdwa s[2:3], v44, v17 src0_sel:WORD_0 src1_sel:DWORD
	s_nop 1
	v_cndmask_b32_e64 v42, v42, v44, s[2:3]
; %bb.145:                              ;   in Loop: Header=BB155_52 Depth=1
	s_or_b64 exec, exec, s[16:17]
	v_lshlrev_b32_e32 v5, 16, v5
	v_mul_f32_e32 v44, v33, v5
	v_and_b32_e32 v5, 0x7f800000, v44
	v_cmp_ne_u32_e64 s[2:3], s21, v5
                                        ; implicit-def: $vgpr5
	s_and_saveexec_b64 s[16:17], s[2:3]
	s_xor_b64 s[2:3], exec, s[16:17]
; %bb.146:                              ;   in Loop: Header=BB155_52 Depth=1
	v_bfe_u32 v5, v44, 16, 1
	v_add3_u32 v5, v44, v5, s22
                                        ; implicit-def: $vgpr44
; %bb.147:                              ;   in Loop: Header=BB155_52 Depth=1
	s_andn2_saveexec_b64 s[16:17], s[2:3]
; %bb.148:                              ;   in Loop: Header=BB155_52 Depth=1
	v_or_b32_e32 v5, 0x10000, v44
	v_cmp_eq_u32_sdwa s[2:3], v44, v17 src0_sel:WORD_0 src1_sel:DWORD
	s_nop 1
	v_cndmask_b32_e64 v5, v5, v44, s[2:3]
; %bb.149:                              ;   in Loop: Header=BB155_52 Depth=1
	s_or_b64 exec, exec, s[16:17]
	v_lshlrev_b32_e32 v8, 16, v8
	v_mul_f32_e32 v44, v34, v8
	v_and_b32_e32 v8, 0x7f800000, v44
	v_cmp_ne_u32_e64 s[2:3], s21, v8
                                        ; implicit-def: $vgpr8
	s_and_saveexec_b64 s[16:17], s[2:3]
	s_xor_b64 s[2:3], exec, s[16:17]
; %bb.150:                              ;   in Loop: Header=BB155_52 Depth=1
	v_bfe_u32 v8, v44, 16, 1
	v_add3_u32 v8, v44, v8, s22
                                        ; implicit-def: $vgpr44
; %bb.151:                              ;   in Loop: Header=BB155_52 Depth=1
	s_andn2_saveexec_b64 s[16:17], s[2:3]
; %bb.152:                              ;   in Loop: Header=BB155_52 Depth=1
	v_or_b32_e32 v8, 0x10000, v44
	v_cmp_eq_u32_sdwa s[2:3], v44, v17 src0_sel:WORD_0 src1_sel:DWORD
	s_nop 1
	v_cndmask_b32_e64 v8, v8, v44, s[2:3]
; %bb.153:                              ;   in Loop: Header=BB155_52 Depth=1
	s_or_b64 exec, exec, s[16:17]
	v_and_b32_e32 v45, 0xffff0000, v41
	v_and_b32_e32 v44, 0xffff0000, v39
	;; [unrolled: 1-line block ×8, first 2 shown]
	v_pk_add_f32 v[36:37], v[36:37], v[40:41]
	v_pk_add_f32 v[38:39], v[38:39], v[44:45]
	v_add_f32_e32 v21, v36, v37
	v_add_f32_e32 v21, v21, v38
	;; [unrolled: 1-line block ×3, first 2 shown]
	v_and_b32_e32 v39, 0xffff0000, v43
	v_and_b32_e32 v38, 0xffff0000, v9
	;; [unrolled: 1-line block ×8, first 2 shown]
	v_pk_add_f32 v[2:3], v[2:3], v[38:39]
	v_pk_add_f32 v[4:5], v[4:5], v[36:37]
	v_add_f32_e32 v2, v2, v3
	v_add_f32_e32 v2, v2, v4
	;; [unrolled: 1-line block ×5, first 2 shown]
	s_and_saveexec_b64 s[2:3], vcc
	s_cbranch_execz .LBB155_50
; %bb.154:                              ;   in Loop: Header=BB155_52 Depth=1
	v_mov_b32_e32 v21, v17
	v_lshl_add_u64 v[2:3], v[6:7], 0, v[20:21]
	global_load_dwordx4 v[2:5], v[2:3], off
	s_waitcnt vmcnt(0)
	v_lshrrev_b32_e32 v7, 16, v2
	v_lshrrev_b32_e32 v9, 16, v3
	;; [unrolled: 1-line block ×4, first 2 shown]
	s_and_saveexec_b64 s[16:17], s[0:1]
	s_cbranch_execz .LBB155_156
; %bb.155:                              ;   in Loop: Header=BB155_52 Depth=1
	v_cmp_gt_i32_e64 s[0:1], s29, v26
	v_add_u32_e32 v21, 1, v26
	s_nop 0
	v_cndmask_b32_e64 v2, 0, v2, s[0:1]
	v_cmp_gt_i32_e64 s[0:1], s29, v21
	v_add_u32_e32 v21, 2, v26
	s_nop 0
	v_cndmask_b32_e64 v7, 0, v7, s[0:1]
	;; [unrolled: 4-line block ×7, first 2 shown]
	v_cmp_gt_i32_e64 s[0:1], s29, v21
	s_nop 1
	v_cndmask_b32_e64 v6, 0, v6, s[0:1]
.LBB155_156:                            ;   in Loop: Header=BB155_52 Depth=1
	s_or_b64 exec, exec, s[16:17]
	v_lshlrev_b32_e32 v2, 16, v2
	v_mul_f32_e32 v21, v27, v2
	v_and_b32_e32 v2, 0x7f800000, v21
	v_cmp_ne_u32_e64 s[0:1], s21, v2
                                        ; implicit-def: $vgpr2
	s_and_saveexec_b64 s[16:17], s[0:1]
	s_xor_b64 s[0:1], exec, s[16:17]
; %bb.157:                              ;   in Loop: Header=BB155_52 Depth=1
	v_bfe_u32 v2, v21, 16, 1
	v_add3_u32 v2, v21, v2, s22
                                        ; implicit-def: $vgpr21
; %bb.158:                              ;   in Loop: Header=BB155_52 Depth=1
	s_andn2_saveexec_b64 s[16:17], s[0:1]
; %bb.159:                              ;   in Loop: Header=BB155_52 Depth=1
	v_or_b32_e32 v2, 0x10000, v21
	v_cmp_eq_u32_sdwa s[0:1], v21, v17 src0_sel:WORD_0 src1_sel:DWORD
	s_nop 1
	v_cndmask_b32_e64 v2, v2, v21, s[0:1]
; %bb.160:                              ;   in Loop: Header=BB155_52 Depth=1
	s_or_b64 exec, exec, s[16:17]
	v_lshlrev_b32_e32 v7, 16, v7
	v_mul_f32_e32 v21, v28, v7
	v_and_b32_e32 v7, 0x7f800000, v21
	v_cmp_ne_u32_e64 s[0:1], s21, v7
                                        ; implicit-def: $vgpr7
	s_and_saveexec_b64 s[16:17], s[0:1]
	s_xor_b64 s[0:1], exec, s[16:17]
; %bb.161:                              ;   in Loop: Header=BB155_52 Depth=1
	v_bfe_u32 v7, v21, 16, 1
	v_add3_u32 v7, v21, v7, s22
                                        ; implicit-def: $vgpr21
; %bb.162:                              ;   in Loop: Header=BB155_52 Depth=1
	s_andn2_saveexec_b64 s[16:17], s[0:1]
; %bb.163:                              ;   in Loop: Header=BB155_52 Depth=1
	v_or_b32_e32 v7, 0x10000, v21
	v_cmp_eq_u32_sdwa s[0:1], v21, v17 src0_sel:WORD_0 src1_sel:DWORD
	s_nop 1
	v_cndmask_b32_e64 v7, v7, v21, s[0:1]
; %bb.164:                              ;   in Loop: Header=BB155_52 Depth=1
	s_or_b64 exec, exec, s[16:17]
	v_lshlrev_b32_e32 v3, 16, v3
	v_mul_f32_e32 v21, v29, v3
	v_and_b32_e32 v3, 0x7f800000, v21
	v_cmp_ne_u32_e64 s[0:1], s21, v3
                                        ; implicit-def: $vgpr3
	s_and_saveexec_b64 s[16:17], s[0:1]
	s_xor_b64 s[0:1], exec, s[16:17]
; %bb.165:                              ;   in Loop: Header=BB155_52 Depth=1
	v_bfe_u32 v3, v21, 16, 1
	v_add3_u32 v3, v21, v3, s22
                                        ; implicit-def: $vgpr21
; %bb.166:                              ;   in Loop: Header=BB155_52 Depth=1
	s_andn2_saveexec_b64 s[16:17], s[0:1]
; %bb.167:                              ;   in Loop: Header=BB155_52 Depth=1
	v_or_b32_e32 v3, 0x10000, v21
	v_cmp_eq_u32_sdwa s[0:1], v21, v17 src0_sel:WORD_0 src1_sel:DWORD
	s_nop 1
	v_cndmask_b32_e64 v3, v3, v21, s[0:1]
; %bb.168:                              ;   in Loop: Header=BB155_52 Depth=1
	s_or_b64 exec, exec, s[16:17]
	v_lshlrev_b32_e32 v9, 16, v9
	v_mul_f32_e32 v21, v30, v9
	v_and_b32_e32 v9, 0x7f800000, v21
	v_cmp_ne_u32_e64 s[0:1], s21, v9
                                        ; implicit-def: $vgpr9
	s_and_saveexec_b64 s[16:17], s[0:1]
	s_xor_b64 s[0:1], exec, s[16:17]
; %bb.169:                              ;   in Loop: Header=BB155_52 Depth=1
	v_bfe_u32 v9, v21, 16, 1
	v_add3_u32 v9, v21, v9, s22
                                        ; implicit-def: $vgpr21
; %bb.170:                              ;   in Loop: Header=BB155_52 Depth=1
	s_andn2_saveexec_b64 s[16:17], s[0:1]
; %bb.171:                              ;   in Loop: Header=BB155_52 Depth=1
	v_or_b32_e32 v9, 0x10000, v21
	v_cmp_eq_u32_sdwa s[0:1], v21, v17 src0_sel:WORD_0 src1_sel:DWORD
	s_nop 1
	v_cndmask_b32_e64 v9, v9, v21, s[0:1]
; %bb.172:                              ;   in Loop: Header=BB155_52 Depth=1
	s_or_b64 exec, exec, s[16:17]
	v_lshlrev_b32_e32 v4, 16, v4
	v_mul_f32_e32 v21, v31, v4
	v_and_b32_e32 v4, 0x7f800000, v21
	v_cmp_ne_u32_e64 s[0:1], s21, v4
                                        ; implicit-def: $vgpr4
	s_and_saveexec_b64 s[16:17], s[0:1]
	s_xor_b64 s[0:1], exec, s[16:17]
; %bb.173:                              ;   in Loop: Header=BB155_52 Depth=1
	v_bfe_u32 v4, v21, 16, 1
	v_add3_u32 v4, v21, v4, s22
                                        ; implicit-def: $vgpr21
; %bb.174:                              ;   in Loop: Header=BB155_52 Depth=1
	s_andn2_saveexec_b64 s[16:17], s[0:1]
; %bb.175:                              ;   in Loop: Header=BB155_52 Depth=1
	v_or_b32_e32 v4, 0x10000, v21
	v_cmp_eq_u32_sdwa s[0:1], v21, v17 src0_sel:WORD_0 src1_sel:DWORD
	s_nop 1
	v_cndmask_b32_e64 v4, v4, v21, s[0:1]
; %bb.176:                              ;   in Loop: Header=BB155_52 Depth=1
	s_or_b64 exec, exec, s[16:17]
	v_lshlrev_b32_e32 v8, 16, v8
	v_mul_f32_e32 v21, v32, v8
	v_and_b32_e32 v8, 0x7f800000, v21
	v_cmp_ne_u32_e64 s[0:1], s21, v8
                                        ; implicit-def: $vgpr8
	s_and_saveexec_b64 s[16:17], s[0:1]
	s_xor_b64 s[0:1], exec, s[16:17]
; %bb.177:                              ;   in Loop: Header=BB155_52 Depth=1
	v_bfe_u32 v8, v21, 16, 1
	v_add3_u32 v8, v21, v8, s22
                                        ; implicit-def: $vgpr21
; %bb.178:                              ;   in Loop: Header=BB155_52 Depth=1
	s_andn2_saveexec_b64 s[16:17], s[0:1]
; %bb.179:                              ;   in Loop: Header=BB155_52 Depth=1
	v_or_b32_e32 v8, 0x10000, v21
	v_cmp_eq_u32_sdwa s[0:1], v21, v17 src0_sel:WORD_0 src1_sel:DWORD
	s_nop 1
	v_cndmask_b32_e64 v8, v8, v21, s[0:1]
; %bb.180:                              ;   in Loop: Header=BB155_52 Depth=1
	s_or_b64 exec, exec, s[16:17]
	v_lshlrev_b32_e32 v5, 16, v5
	v_mul_f32_e32 v21, v33, v5
	v_and_b32_e32 v5, 0x7f800000, v21
	v_cmp_ne_u32_e64 s[0:1], s21, v5
                                        ; implicit-def: $vgpr5
	s_and_saveexec_b64 s[16:17], s[0:1]
	s_xor_b64 s[0:1], exec, s[16:17]
; %bb.181:                              ;   in Loop: Header=BB155_52 Depth=1
	v_bfe_u32 v5, v21, 16, 1
	v_add3_u32 v5, v21, v5, s22
                                        ; implicit-def: $vgpr21
; %bb.182:                              ;   in Loop: Header=BB155_52 Depth=1
	s_andn2_saveexec_b64 s[16:17], s[0:1]
; %bb.183:                              ;   in Loop: Header=BB155_52 Depth=1
	v_or_b32_e32 v5, 0x10000, v21
	v_cmp_eq_u32_sdwa s[0:1], v21, v17 src0_sel:WORD_0 src1_sel:DWORD
	s_nop 1
	v_cndmask_b32_e64 v5, v5, v21, s[0:1]
; %bb.184:                              ;   in Loop: Header=BB155_52 Depth=1
	s_or_b64 exec, exec, s[16:17]
	v_lshlrev_b32_e32 v6, 16, v6
	v_mul_f32_e32 v6, v34, v6
	v_and_b32_e32 v21, 0x7f800000, v6
	v_cmp_ne_u32_e64 s[0:1], s21, v21
                                        ; implicit-def: $vgpr21
	s_and_saveexec_b64 s[16:17], s[0:1]
	s_xor_b64 s[0:1], exec, s[16:17]
; %bb.185:                              ;   in Loop: Header=BB155_52 Depth=1
	v_bfe_u32 v21, v6, 16, 1
	v_add3_u32 v21, v6, v21, s22
                                        ; implicit-def: $vgpr6
; %bb.186:                              ;   in Loop: Header=BB155_52 Depth=1
	s_andn2_saveexec_b64 s[16:17], s[0:1]
	s_cbranch_execz .LBB155_49
; %bb.187:                              ;   in Loop: Header=BB155_52 Depth=1
	v_or_b32_e32 v21, 0x10000, v6
	v_cmp_eq_u32_sdwa s[0:1], v6, v17 src0_sel:WORD_0 src1_sel:DWORD
	s_nop 1
	v_cndmask_b32_e64 v21, v21, v6, s[0:1]
	s_branch .LBB155_49
.LBB155_188:
	s_or_b64 exec, exec, s[12:13]
.LBB155_189:
	s_or_b64 exec, exec, s[10:11]
	ds_bpermute_b32 v2, v13, v10
	ds_bpermute_b32 v3, v13, v11
	;; [unrolled: 1-line block ×3, first 2 shown]
	s_waitcnt lgkmcnt(0)
	s_barrier
	v_pk_add_f32 v[4:5], v[10:11], v[2:3]
	v_add_f32_e32 v2, v12, v1
	v_and_b32_e32 v1, 0x3c0, v0
	v_cmp_eq_u32_e32 vcc, 64, v1
	s_and_saveexec_b64 s[2:3], vcc
	s_cbranch_execz .LBB155_194
; %bb.190:
	v_cmp_eq_u32_e32 vcc, 0, v22
	s_and_saveexec_b64 s[0:1], vcc
	s_cbranch_execz .LBB155_192
; %bb.191:
	v_mov_b32_e32 v1, 0xb0
	v_lshl_add_u32 v1, v23, 2, v1
	ds_write2_b32 v1, v4, v5 offset1:32
.LBB155_192:
	s_or_b64 exec, exec, s[0:1]
	v_or_b32_e32 v1, 64, v23
	s_movk_i32 s0, 0x50
	v_cmp_gt_u32_e64 s[0:1], s0, v1
	s_and_b64 s[0:1], vcc, s[0:1]
	s_and_b64 exec, exec, s[0:1]
	s_cbranch_execz .LBB155_194
; %bb.193:
	v_mov_b32_e32 v1, 0xb0
	v_lshl_add_u32 v1, v23, 2, v1
	ds_write_b32 v1, v2 offset:256
.LBB155_194:
	s_or_b64 exec, exec, s[2:3]
	v_cmp_gt_u32_e32 vcc, 64, v0
	v_cmp_lt_u32_e64 s[0:1], 63, v0
	s_waitcnt lgkmcnt(0)
	s_barrier
	s_and_saveexec_b64 s[2:3], s[0:1]
	s_xor_b64 s[0:1], exec, s[2:3]
	s_or_saveexec_b64 s[8:9], s[0:1]
	v_lshrrev_b32_e32 v3, 1, v0
	s_xor_b64 exec, exec, s[8:9]
	s_cbranch_execz .LBB155_202
; %bb.195:
	v_cmp_eq_u32_e64 s[0:1], 0, v22
	s_and_saveexec_b64 s[2:3], s[0:1]
	s_cbranch_execz .LBB155_197
; %bb.196:
	v_mov_b32_e32 v0, 0xb0
	v_lshl_add_u32 v0, v3, 2, v0
	ds_read_b32 v0, v0
	s_waitcnt lgkmcnt(0)
	v_add_f32_e32 v4, v4, v0
.LBB155_197:
	s_or_b64 exec, exec, s[2:3]
	s_and_saveexec_b64 s[2:3], s[0:1]
	s_cbranch_execz .LBB155_199
; %bb.198:
	v_mov_b32_e32 v0, 0xb0
	v_lshl_add_u32 v0, v3, 2, v0
	ds_read_b32 v0, v0 offset:128
	s_waitcnt lgkmcnt(0)
	v_add_f32_e32 v5, v5, v0
.LBB155_199:
	s_or_b64 exec, exec, s[2:3]
	v_or_b32_e32 v0, 64, v3
	s_movk_i32 s2, 0x50
	v_cmp_gt_u32_e64 s[2:3], s2, v0
	s_and_b64 s[2:3], s[0:1], s[2:3]
	s_and_saveexec_b64 s[0:1], s[2:3]
	s_cbranch_execz .LBB155_201
; %bb.200:
	v_mov_b32_e32 v0, 0xb0
	v_lshl_add_u32 v0, v3, 2, v0
	ds_read_b32 v0, v0 offset:256
	s_waitcnt lgkmcnt(0)
	v_add_f32_e32 v2, v2, v0
.LBB155_201:
	s_or_b64 exec, exec, s[0:1]
.LBB155_202:
	s_or_b64 exec, exec, s[8:9]
	s_barrier
	s_and_saveexec_b64 s[0:1], vcc
	s_cbranch_execz .LBB155_219
; %bb.203:
	s_mul_i32 s0, s6, 0x50
	s_ashr_i32 s1, s0, 31
	s_lshl_b64 s[0:1], s[0:1], 1
	s_add_u32 s2, s26, s0
	s_mul_i32 s0, s19, s24
	s_addc_u32 s3, s27, s1
	s_ashr_i32 s1, s0, 31
	s_lshl_b64 s[0:1], s[0:1], 1
	s_add_u32 s2, s2, s0
	s_mul_i32 s0, s4, 0x50
	s_addc_u32 s3, s3, s1
	s_ashr_i32 s1, s0, 31
	s_lshl_b64 s[0:1], s[0:1], 1
	s_add_u32 s2, s2, s0
	s_addc_u32 s3, s3, s1
	v_cmp_eq_u32_e32 vcc, 0, v22
	s_and_saveexec_b64 s[4:5], vcc
	s_cbranch_execz .LBB155_213
; %bb.204:
	s_mov_b32 s0, 0x7f800000
	v_and_b32_e32 v0, 0x7f800000, v4
	v_cmp_ne_u32_e64 s[0:1], s0, v0
                                        ; implicit-def: $vgpr6
	s_and_saveexec_b64 s[6:7], s[0:1]
	s_xor_b64 s[0:1], exec, s[6:7]
; %bb.205:
	v_bfe_u32 v0, v4, 16, 1
	s_movk_i32 s6, 0x7fff
	v_add3_u32 v6, v4, v0, s6
; %bb.206:
	s_andn2_saveexec_b64 s[6:7], s[0:1]
; %bb.207:
	v_mov_b32_e32 v0, 0
	v_or_b32_e32 v1, 0x10000, v4
	v_cmp_eq_u32_sdwa s[0:1], v4, v0 src0_sel:WORD_0 src1_sel:DWORD
	s_nop 1
	v_cndmask_b32_e64 v6, v1, v4, s[0:1]
; %bb.208:
	s_or_b64 exec, exec, s[6:7]
	s_mov_b32 s0, 0x7f800000
	v_and_b32_e32 v4, 0x7f800000, v5
	v_lshlrev_b32_e32 v0, 1, v3
	v_mov_b32_e32 v1, 0
	v_cmp_ne_u32_e64 s[0:1], s0, v4
	global_store_short_d16_hi v0, v6, s[2:3]
                                        ; implicit-def: $vgpr7
	s_and_saveexec_b64 s[6:7], s[0:1]
	s_xor_b64 s[0:1], exec, s[6:7]
; %bb.209:
	v_bfe_u32 v4, v5, 16, 1
	s_movk_i32 s6, 0x7fff
	v_add3_u32 v7, v5, v4, s6
                                        ; implicit-def: $vgpr4_vgpr5_vgpr6
; %bb.210:
	s_or_saveexec_b64 s[6:7], s[0:1]
	v_lshl_add_u64 v[0:1], s[2:3], 0, v[0:1]
	s_xor_b64 exec, exec, s[6:7]
; %bb.211:
	v_mov_b32_e32 v4, 0
	v_or_b32_e32 v6, 0x10000, v5
	v_cmp_eq_u32_sdwa s[0:1], v5, v4 src0_sel:WORD_0 src1_sel:DWORD
	s_nop 1
	v_cndmask_b32_e64 v7, v6, v5, s[0:1]
; %bb.212:
	s_or_b64 exec, exec, s[6:7]
	global_store_short_d16_hi v[0:1], v7, off offset:64
.LBB155_213:
	s_or_b64 exec, exec, s[4:5]
	v_or_b32_e32 v0, 64, v3
	s_movk_i32 s0, 0x50
	v_cmp_gt_u32_e64 s[0:1], s0, v0
	s_and_b64 s[0:1], vcc, s[0:1]
	s_and_b64 exec, exec, s[0:1]
	s_cbranch_execz .LBB155_219
; %bb.214:
	s_mov_b32 s0, 0x7f800000
	v_and_b32_e32 v0, 0x7f800000, v2
	v_cmp_ne_u32_e32 vcc, s0, v0
                                        ; implicit-def: $vgpr0
	s_and_saveexec_b64 s[0:1], vcc
	s_xor_b64 s[0:1], exec, s[0:1]
; %bb.215:
	v_bfe_u32 v0, v2, 16, 1
	s_movk_i32 s4, 0x7fff
	v_add3_u32 v0, v2, v0, s4
                                        ; implicit-def: $vgpr2
; %bb.216:
	s_andn2_saveexec_b64 s[0:1], s[0:1]
; %bb.217:
	v_mov_b32_e32 v0, 0
	v_or_b32_e32 v1, 0x10000, v2
	v_cmp_eq_u32_sdwa vcc, v2, v0 src0_sel:WORD_0 src1_sel:DWORD
	s_nop 1
	v_cndmask_b32_e32 v0, v1, v2, vcc
; %bb.218:
	s_or_b64 exec, exec, s[0:1]
	v_lshlrev_b32_e32 v1, 1, v3
	global_store_short_d16_hi v1, v0, s[2:3] offset:128
.LBB155_219:
	s_endpgm
	.section	.rodata,"a",@progbits
	.p2align	6, 0x0
	.amdhsa_kernel _ZN4vllm25paged_attention_v2_kernelI14__hip_bfloat16S1_Li80ELi16ELi128ELNS_18Fp8KVCacheDataTypeE0ELb1ELi512EEEvPfS3_PT_PKS4_PKT0_SA_ifPKiSC_iPKfiiiSE_SE_iiiii
		.amdhsa_group_segment_fixed_size 176
		.amdhsa_private_segment_fixed_size 0
		.amdhsa_kernarg_size 400
		.amdhsa_user_sgpr_count 2
		.amdhsa_user_sgpr_dispatch_ptr 0
		.amdhsa_user_sgpr_queue_ptr 0
		.amdhsa_user_sgpr_kernarg_segment_ptr 1
		.amdhsa_user_sgpr_dispatch_id 0
		.amdhsa_user_sgpr_kernarg_preload_length 0
		.amdhsa_user_sgpr_kernarg_preload_offset 0
		.amdhsa_user_sgpr_private_segment_size 0
		.amdhsa_uses_dynamic_stack 0
		.amdhsa_enable_private_segment 0
		.amdhsa_system_sgpr_workgroup_id_x 1
		.amdhsa_system_sgpr_workgroup_id_y 1
		.amdhsa_system_sgpr_workgroup_id_z 1
		.amdhsa_system_sgpr_workgroup_info 0
		.amdhsa_system_vgpr_workitem_id 0
		.amdhsa_next_free_vgpr 63
		.amdhsa_next_free_sgpr 52
		.amdhsa_accum_offset 64
		.amdhsa_reserve_vcc 1
		.amdhsa_float_round_mode_32 0
		.amdhsa_float_round_mode_16_64 0
		.amdhsa_float_denorm_mode_32 3
		.amdhsa_float_denorm_mode_16_64 3
		.amdhsa_dx10_clamp 1
		.amdhsa_ieee_mode 1
		.amdhsa_fp16_overflow 0
		.amdhsa_tg_split 0
		.amdhsa_exception_fp_ieee_invalid_op 0
		.amdhsa_exception_fp_denorm_src 0
		.amdhsa_exception_fp_ieee_div_zero 0
		.amdhsa_exception_fp_ieee_overflow 0
		.amdhsa_exception_fp_ieee_underflow 0
		.amdhsa_exception_fp_ieee_inexact 0
		.amdhsa_exception_int_div_zero 0
	.end_amdhsa_kernel
	.section	.text._ZN4vllm25paged_attention_v2_kernelI14__hip_bfloat16S1_Li80ELi16ELi128ELNS_18Fp8KVCacheDataTypeE0ELb1ELi512EEEvPfS3_PT_PKS4_PKT0_SA_ifPKiSC_iPKfiiiSE_SE_iiiii,"axG",@progbits,_ZN4vllm25paged_attention_v2_kernelI14__hip_bfloat16S1_Li80ELi16ELi128ELNS_18Fp8KVCacheDataTypeE0ELb1ELi512EEEvPfS3_PT_PKS4_PKT0_SA_ifPKiSC_iPKfiiiSE_SE_iiiii,comdat
.Lfunc_end155:
	.size	_ZN4vllm25paged_attention_v2_kernelI14__hip_bfloat16S1_Li80ELi16ELi128ELNS_18Fp8KVCacheDataTypeE0ELb1ELi512EEEvPfS3_PT_PKS4_PKT0_SA_ifPKiSC_iPKfiiiSE_SE_iiiii, .Lfunc_end155-_ZN4vllm25paged_attention_v2_kernelI14__hip_bfloat16S1_Li80ELi16ELi128ELNS_18Fp8KVCacheDataTypeE0ELb1ELi512EEEvPfS3_PT_PKS4_PKT0_SA_ifPKiSC_iPKfiiiSE_SE_iiiii
                                        ; -- End function
	.section	.AMDGPU.csdata,"",@progbits
; Kernel info:
; codeLenInByte = 8620
; NumSgprs: 58
; NumVgprs: 63
; NumAgprs: 0
; TotalNumVgprs: 63
; ScratchSize: 0
; MemoryBound: 0
; FloatMode: 240
; IeeeMode: 1
; LDSByteSize: 176 bytes/workgroup (compile time only)
; SGPRBlocks: 7
; VGPRBlocks: 7
; NumSGPRsForWavesPerEU: 58
; NumVGPRsForWavesPerEU: 63
; AccumOffset: 64
; Occupancy: 8
; WaveLimiterHint : 1
; COMPUTE_PGM_RSRC2:SCRATCH_EN: 0
; COMPUTE_PGM_RSRC2:USER_SGPR: 2
; COMPUTE_PGM_RSRC2:TRAP_HANDLER: 0
; COMPUTE_PGM_RSRC2:TGID_X_EN: 1
; COMPUTE_PGM_RSRC2:TGID_Y_EN: 1
; COMPUTE_PGM_RSRC2:TGID_Z_EN: 1
; COMPUTE_PGM_RSRC2:TIDIG_COMP_CNT: 0
; COMPUTE_PGM_RSRC3_GFX90A:ACCUM_OFFSET: 15
; COMPUTE_PGM_RSRC3_GFX90A:TG_SPLIT: 0
	.section	.text._ZN4vllm25paged_attention_v2_kernelI14__hip_bfloat16S1_Li96ELi16ELi128ELNS_18Fp8KVCacheDataTypeE0ELb1ELi512EEEvPfS3_PT_PKS4_PKT0_SA_ifPKiSC_iPKfiiiSE_SE_iiiii,"axG",@progbits,_ZN4vllm25paged_attention_v2_kernelI14__hip_bfloat16S1_Li96ELi16ELi128ELNS_18Fp8KVCacheDataTypeE0ELb1ELi512EEEvPfS3_PT_PKS4_PKT0_SA_ifPKiSC_iPKfiiiSE_SE_iiiii,comdat
	.protected	_ZN4vllm25paged_attention_v2_kernelI14__hip_bfloat16S1_Li96ELi16ELi128ELNS_18Fp8KVCacheDataTypeE0ELb1ELi512EEEvPfS3_PT_PKS4_PKT0_SA_ifPKiSC_iPKfiiiSE_SE_iiiii ; -- Begin function _ZN4vllm25paged_attention_v2_kernelI14__hip_bfloat16S1_Li96ELi16ELi128ELNS_18Fp8KVCacheDataTypeE0ELb1ELi512EEEvPfS3_PT_PKS4_PKT0_SA_ifPKiSC_iPKfiiiSE_SE_iiiii
	.globl	_ZN4vllm25paged_attention_v2_kernelI14__hip_bfloat16S1_Li96ELi16ELi128ELNS_18Fp8KVCacheDataTypeE0ELb1ELi512EEEvPfS3_PT_PKS4_PKT0_SA_ifPKiSC_iPKfiiiSE_SE_iiiii
	.p2align	8
	.type	_ZN4vllm25paged_attention_v2_kernelI14__hip_bfloat16S1_Li96ELi16ELi128ELNS_18Fp8KVCacheDataTypeE0ELb1ELi512EEEvPfS3_PT_PKS4_PKT0_SA_ifPKiSC_iPKfiiiSE_SE_iiiii,@function
_ZN4vllm25paged_attention_v2_kernelI14__hip_bfloat16S1_Li96ELi16ELi128ELNS_18Fp8KVCacheDataTypeE0ELb1ELi512EEEvPfS3_PT_PKS4_PKT0_SA_ifPKiSC_iPKfiiiSE_SE_iiiii: ; @_ZN4vllm25paged_attention_v2_kernelI14__hip_bfloat16S1_Li96ELi16ELi128ELNS_18Fp8KVCacheDataTypeE0ELb1ELi512EEEvPfS3_PT_PKS4_PKT0_SA_ifPKiSC_iPKfiiiSE_SE_iiiii
; %bb.0:
	s_load_dwordx2 s[6:7], s[0:1], 0x40
	s_mov_b32 s24, s3
	s_ashr_i32 s25, s3, 31
	s_lshl_b64 s[8:9], s[24:25], 2
	s_waitcnt lgkmcnt(0)
	s_add_u32 s6, s6, s8
	s_addc_u32 s7, s7, s9
	s_load_dword s33, s[6:7], 0x0
	s_lshl_b32 s5, s4, 9
	s_waitcnt lgkmcnt(0)
	s_cmp_ge_i32 s5, s33
	s_cbranch_scc1 .LBB156_210
; %bb.1:
	s_load_dword s25, s[0:1], 0x90
	s_load_dwordx2 s[38:39], s[0:1], 0x30
	s_waitcnt lgkmcnt(0)
	s_abs_i32 s7, s25
	s_abs_i32 s3, s38
	v_cvt_f32_u32_e32 v1, s3
	s_sub_i32 s8, 0, s3
	s_xor_b32 s6, s25, s38
	s_ashr_i32 s6, s6, 31
	v_rcp_iflag_f32_e32 v1, v1
	s_nop 0
	v_mul_f32_e32 v1, 0x4f7ffffe, v1
	v_cvt_u32_f32_e32 v1, v1
	s_nop 0
	v_readfirstlane_b32 s9, v1
	s_mul_i32 s8, s8, s9
	s_mul_hi_u32 s8, s9, s8
	s_add_i32 s9, s9, s8
	s_mul_hi_u32 s8, s7, s9
	s_mul_i32 s9, s8, s3
	s_sub_i32 s7, s7, s9
	s_add_i32 s10, s8, 1
	s_sub_i32 s9, s7, s3
	s_cmp_ge_u32 s7, s3
	s_cselect_b32 s8, s10, s8
	s_cselect_b32 s7, s9, s7
	s_add_i32 s9, s8, 1
	s_cmp_ge_u32 s7, s3
	s_cselect_b32 s3, s9, s8
	s_xor_b32 s3, s3, s6
	s_sub_i32 s11, s3, s6
	s_abs_i32 s8, s11
	v_cvt_f32_u32_e32 v1, s8
	s_load_dwordx2 s[6:7], s[0:1], 0x50
	s_sub_i32 s10, 0, s8
	s_abs_i32 s9, s2
	v_rcp_iflag_f32_e32 v1, v1
	s_mov_b32 s3, 0
	v_mul_f32_e32 v1, 0x4f7ffffe, v1
	v_cvt_u32_f32_e32 v1, v1
	s_nop 0
	v_readfirstlane_b32 s12, v1
	s_mul_i32 s10, s10, s12
	s_mul_hi_u32 s10, s12, s10
	s_add_i32 s12, s12, s10
	s_waitcnt lgkmcnt(0)
	s_cmp_eq_u64 s[6:7], 0
	s_mul_hi_u32 s10, s9, s12
	s_cbranch_scc1 .LBB156_3
; %bb.2:
	s_ashr_i32 s3, s2, 31
	s_lshl_b64 s[12:13], s[2:3], 2
	s_add_u32 s6, s6, s12
	s_addc_u32 s7, s7, s13
	s_load_dword s3, s[6:7], 0x0
.LBB156_3:
	s_load_dwordx4 s[12:15], s[0:1], 0x58
	s_ashr_i32 s16, s2, 31
	s_ashr_i32 s11, s11, 31
	v_and_b32_e32 v4, 3, v0
	s_mul_i32 s26, s2, 0x60
	v_cmp_gt_u32_e32 vcc, 48, v0
	s_and_saveexec_b64 s[6:7], vcc
	s_cbranch_execz .LBB156_5
; %bb.4:
	s_load_dwordx2 s[18:19], s[0:1], 0x18
	s_waitcnt lgkmcnt(0)
	s_mul_i32 s20, s24, s12
	s_ashr_i32 s21, s20, 31
	s_lshl_b64 s[20:21], s[20:21], 1
	v_lshlrev_b32_e32 v1, 2, v0
	s_add_u32 s12, s18, s20
	s_addc_u32 s15, s19, s21
	s_ashr_i32 s27, s26, 31
	s_lshl_b64 s[18:19], s[26:27], 1
	s_add_u32 s18, s12, s18
	s_addc_u32 s19, s15, s19
	global_load_dword v1, v1, s[18:19]
	v_and_b32_e32 v2, 0x3fc, v0
	v_mad_u32_u24 v2, v4, 48, v2
	s_waitcnt vmcnt(0)
	ds_write_b32 v2, v1
.LBB156_5:
	s_or_b64 exec, exec, s[6:7]
	s_mul_i32 s7, s10, s8
	s_sub_i32 s7, s9, s7
	s_xor_b32 s6, s16, s11
	s_add_i32 s9, s10, 1
	s_sub_i32 s11, s7, s8
	s_load_dwordx4 s[16:19], s[0:1], 0x78
	s_cmp_ge_u32 s7, s8
	s_cselect_b32 s9, s9, s10
	s_cselect_b32 s7, s11, s7
	s_load_dword s11, s[0:1], 0x88
	s_add_i32 s10, s9, 1
	s_cmp_ge_u32 s7, s8
	s_cselect_b32 s7, s10, s9
	s_waitcnt lgkmcnt(0)
	s_abs_i32 s27, s19
	v_cvt_f32_u32_e32 v1, s27
	s_xor_b32 s7, s7, s6
	s_sub_i32 s10, s7, s6
	s_sub_i32 s6, 0, s27
	v_rcp_iflag_f32_e32 v1, v1
	s_add_i32 s12, s33, -1
	s_abs_i32 s8, s12
	v_mul_f32_e32 v1, 0x4f7ffffe, v1
	v_cvt_u32_f32_e32 v1, v1
	s_barrier
	v_readfirstlane_b32 s46, v1
	s_mul_i32 s6, s6, s46
	s_mul_hi_u32 s6, s46, s6
	s_add_i32 s46, s46, s6
	s_cmp_lt_i32 s11, 0
	s_mul_hi_u32 s9, s8, s46
	s_cbranch_scc0 .LBB156_7
; %bb.6:
	s_mul_i32 s6, s16, s38
	s_add_i32 s6, s10, s6
	s_mul_i32 s6, s6, s11
	s_sub_i32 s47, 1, s6
	s_mov_b64 s[6:7], 0
	s_branch .LBB156_8
.LBB156_7:
	s_mov_b64 s[6:7], -1
                                        ; implicit-def: $sgpr47
.LBB156_8:
	s_load_dwordx2 s[30:31], s[0:1], 0x38
	s_ashr_i32 s15, s12, 31
	s_andn2_b64 vcc, exec, s[6:7]
	s_ashr_i32 s19, s19, 31
	s_cbranch_vccnz .LBB156_10
; %bb.9:
	s_mul_i32 s6, s25, s16
	s_add_i32 s6, s6, s2
	s_mul_i32 s6, s6, s11
	s_add_i32 s47, s6, 1
.LBB156_10:
	s_load_dword s6, s[0:1], 0x48
	s_load_dwordx2 s[36:37], s[0:1], 0x28
	s_load_dword s12, s[0:1], 0x98
	s_load_dwordx4 s[20:23], s[0:1], 0x0
	s_load_dwordx2 s[28:29], s[0:1], 0x10
	s_mul_i32 s7, s9, s27
	s_waitcnt lgkmcnt(0)
	s_mul_i32 s34, s24, s6
	s_sub_i32 s7, s8, s7
	s_ashr_i32 s35, s34, 31
	s_xor_b32 s6, s15, s19
	s_add_i32 s8, s9, 1
	s_sub_i32 s11, s7, s27
	s_cmp_ge_u32 s7, s27
	s_cselect_b32 s8, s8, s9
	s_cselect_b32 s7, s11, s7
	s_add_i32 s9, s8, 1
	s_cmp_ge_u32 s7, s27
	s_cselect_b32 s7, s9, s8
	s_xor_b32 s7, s7, s6
	s_sub_i32 s49, s7, s6
	s_add_i32 s6, s33, 15
	s_ashr_i32 s7, s6, 31
	s_lshr_b32 s7, s7, 28
	s_add_i32 s6, s6, s7
	s_lshl_b32 s38, s4, 5
	s_ashr_i32 s48, s6, 4
	s_add_i32 s6, s38, 32
	v_lshrrev_b32_e32 v6, 6, v0
	s_min_i32 s16, s6, s48
	v_or_b32_e32 v14, s38, v6
	v_cmp_gt_i32_e64 s[8:9], s16, v14
	v_mov_b32_e32 v10, 0xff7fffff
	s_mul_i32 s14, s10, s14
	v_ashrrev_i32_e32 v15, 31, v14
	v_lshl_add_u32 v1, v6, 4, s5
	v_mbcnt_lo_u32_b32 v7, -1, 0
	s_and_saveexec_b64 s[40:41], s[8:9]
	s_cbranch_execz .LBB156_20
; %bb.11:
	s_load_dwordx2 s[0:1], s[0:1], 0x20
	s_ashr_i32 s15, s14, 31
	s_sub_i32 s50, s49, s17
	s_lshl_b64 s[6:7], s[14:15], 1
	v_bfe_u32 v8, v0, 2, 4
	s_waitcnt lgkmcnt(0)
	s_add_u32 s0, s0, s6
	s_addc_u32 s1, s1, s7
	s_abs_i32 s15, s18
	v_cvt_f32_u32_e32 v5, s15
	v_lshlrev_b32_e32 v2, 4, v8
	v_mov_b32_e32 v3, 0
	v_lshl_add_u64 v[10:11], s[0:1], 0, v[2:3]
	v_rcp_iflag_f32_e32 v5, v5
	v_lshlrev_b32_e32 v2, 2, v0
	v_and_b32_e32 v2, 12, v2
	v_lshl_add_u64 v[2:3], v[10:11], 0, v[2:3]
	v_mul_f32_e32 v5, 0x4f7ffffe, v5
	v_cvt_u32_f32_e32 v5, v5
	s_sub_i32 s0, 0, s15
	v_lshlrev_b32_e32 v10, 2, v8
	v_cmp_eq_u32_e32 vcc, 0, v4
	v_mul_u32_u24_e32 v9, 48, v4
	v_mul_lo_u32 v4, s0, v5
	s_lshl_b64 s[0:1], s[34:35], 2
	v_lshl_or_b32 v10, v6, 6, v10
	s_add_u32 s0, s30, s0
	v_add_u32_e32 v13, 0xd0, v10
	v_subrev_u32_e32 v10, s33, v8
	v_mbcnt_hi_u32_b32 v17, -1, v7
	v_mul_hi_u32 v4, v5, v4
	s_addc_u32 s1, s31, s1
	v_add_u32_e32 v16, 1, v10
	v_and_b32_e32 v10, 64, v17
	s_mov_b32 s51, s13
	v_cmp_neq_f32_e64 s[6:7], s3, 0
	v_add_u32_e32 v11, v5, v4
	v_lshl_add_u64 v[4:5], v[14:15], 2, s[0:1]
	v_lshl_add_u32 v12, v6, 4, s5
	s_mov_b64 s[42:43], 0
	v_add_u32_e32 v18, 64, v10
	v_xor_b32_e32 v19, 2, v17
	v_xor_b32_e32 v20, 1, v17
	v_mov_b32_e32 v10, 0xff7fffff
	v_mov_b32_e32 v21, v14
	s_branch .LBB156_14
.LBB156_12:                             ;   in Loop: Header=BB156_14 Depth=1
	s_or_b64 exec, exec, s[44:45]
.LBB156_13:                             ;   in Loop: Header=BB156_14 Depth=1
	s_or_b64 exec, exec, s[10:11]
	v_add_u32_e32 v21, 2, v21
	v_cmp_le_i32_e64 s[0:1], s16, v21
	v_lshl_add_u64 v[4:5], v[4:5], 0, 8
	v_add_u32_e32 v12, 32, v12
	s_or_b64 s[42:43], s[0:1], s[42:43]
	v_add_u32_e32 v13, 0x80, v13
	s_andn2_b64 exec, exec, s[42:43]
	s_cbranch_execz .LBB156_19
.LBB156_14:                             ; =>This Inner Loop Header: Depth=1
	s_waitcnt lgkmcnt(0)
	v_sub_u32_e32 v23, 0, v12
	v_max_i32_e32 v23, v12, v23
	v_mul_hi_u32 v24, v23, s46
	v_mul_lo_u32 v25, v24, s27
	v_sub_u32_e32 v23, v23, v25
	v_add_u32_e32 v25, 1, v24
	v_cmp_le_u32_e64 s[0:1], s27, v23
	v_ashrrev_i32_e32 v22, 31, v12
	v_xor_b32_e32 v22, s19, v22
	v_cndmask_b32_e64 v24, v24, v25, s[0:1]
	v_subrev_u32_e32 v25, s27, v23
	v_cndmask_b32_e64 v23, v23, v25, s[0:1]
	v_add_u32_e32 v25, 1, v24
	v_cmp_le_u32_e64 s[0:1], s27, v23
	s_nop 1
	v_cndmask_b32_e64 v23, v24, v25, s[0:1]
	v_xor_b32_e32 v23, v23, v22
	v_sub_u32_e32 v22, v23, v22
	v_add_u32_e32 v23, s47, v22
	v_sub_u32_e32 v25, 0, v23
	v_ashrrev_i32_e32 v24, 31, v23
	v_max_i32_e32 v23, v23, v25
	v_mul_hi_u32 v25, v23, v11
	v_mul_lo_u32 v25, v25, s15
	v_sub_u32_e32 v23, v23, v25
	v_subrev_u32_e32 v25, s15, v23
	v_cmp_le_u32_e64 s[0:1], s15, v23
	v_cmp_ge_i32_e64 s[10:11], s50, v22
	s_nop 0
	v_cndmask_b32_e64 v23, v23, v25, s[0:1]
	v_subrev_u32_e32 v25, s15, v23
	v_cmp_le_u32_e64 s[0:1], s15, v23
	s_nop 1
	v_cndmask_b32_e64 v23, v23, v25, s[0:1]
	v_xor_b32_e32 v23, v23, v24
	v_sub_u32_e32 v23, v23, v24
	v_cmp_ne_u32_e64 s[0:1], 0, v23
	s_and_b64 s[0:1], s[0:1], s[10:11]
	s_and_b64 s[44:45], vcc, s[0:1]
	s_and_saveexec_b64 s[10:11], s[44:45]
	s_cbranch_execz .LBB156_16
; %bb.15:                               ;   in Loop: Header=BB156_14 Depth=1
	v_mov_b32_e32 v22, 0xff7fffff
	ds_write_b32 v13, v22
.LBB156_16:                             ;   in Loop: Header=BB156_14 Depth=1
	s_or_b64 exec, exec, s[10:11]
	s_xor_b64 s[0:1], s[0:1], -1
	s_and_saveexec_b64 s[10:11], s[0:1]
	s_cbranch_execz .LBB156_13
; %bb.17:                               ;   in Loop: Header=BB156_14 Depth=1
	global_load_dword v22, v[4:5], off
	s_waitcnt vmcnt(0)
	v_mad_i64_i32 v[22:23], s[0:1], v22, s51, 0
	v_lshl_add_u64 v[22:23], v[22:23], 1, v[2:3]
	global_load_dword v34, v[22:23], off
	global_load_dword v35, v[22:23], off offset:256
	global_load_dword v36, v[22:23], off offset:512
	;; [unrolled: 1-line block ×11, first 2 shown]
	ds_read_b128 v[22:25], v9
	ds_read_b128 v[26:29], v9 offset:16
	ds_read_b128 v[30:33], v9 offset:32
	v_cmp_lt_i32_e64 s[0:1], v19, v18
	s_waitcnt lgkmcnt(2)
	v_lshlrev_b32_e32 v48, 16, v23
	v_and_b32_e32 v23, 0xffff0000, v23
	v_lshlrev_b32_e32 v47, 16, v22
	v_and_b32_e32 v22, 0xffff0000, v22
	v_lshlrev_b32_e32 v49, 16, v24
	v_and_b32_e32 v24, 0xffff0000, v24
	v_lshlrev_b32_e32 v50, 16, v25
	v_and_b32_e32 v25, 0xffff0000, v25
	s_waitcnt lgkmcnt(1)
	v_lshlrev_b32_e32 v51, 16, v26
	v_and_b32_e32 v26, 0xffff0000, v26
	v_lshlrev_b32_e32 v52, 16, v27
	v_and_b32_e32 v27, 0xffff0000, v27
	v_lshlrev_b32_e32 v53, 16, v28
	v_and_b32_e32 v28, 0xffff0000, v28
	v_lshlrev_b32_e32 v54, 16, v29
	v_and_b32_e32 v29, 0xffff0000, v29
	;; [unrolled: 9-line block ×3, first 2 shown]
	v_cndmask_b32_e64 v46, v17, v19, s[0:1]
	v_lshlrev_b32_e32 v46, 2, v46
	v_cmp_lt_i32_e64 s[0:1], v20, v18
	s_waitcnt vmcnt(11)
	v_lshlrev_b32_e32 v59, 16, v34
	s_waitcnt vmcnt(10)
	v_lshlrev_b32_e32 v60, 16, v35
	v_and_b32_e32 v35, 0xffff0000, v35
	v_and_b32_e32 v34, 0xffff0000, v34
	v_mul_f32_e32 v48, v48, v60
	v_mul_f32_e32 v23, v23, v35
	s_waitcnt vmcnt(9)
	v_lshlrev_b32_e32 v61, 16, v36
	v_and_b32_e32 v36, 0xffff0000, v36
	v_fmac_f32_e32 v48, v47, v59
	v_fmac_f32_e32 v23, v22, v34
	s_waitcnt vmcnt(8)
	v_lshlrev_b32_e32 v62, 16, v37
	v_and_b32_e32 v37, 0xffff0000, v37
	v_fmac_f32_e32 v48, v49, v61
	v_fmac_f32_e32 v23, v24, v36
	;; [unrolled: 5-line block ×10, first 2 shown]
	v_fmac_f32_e32 v48, v58, v70
	v_fmac_f32_e32 v23, v33, v45
	v_add_f32_e32 v22, v48, v23
	ds_bpermute_b32 v23, v46, v22
	v_cndmask_b32_e64 v24, v17, v20, s[0:1]
	v_lshlrev_b32_e32 v24, 2, v24
	s_waitcnt lgkmcnt(0)
	v_add_f32_e32 v22, v22, v23
	ds_bpermute_b32 v23, v24, v22
	s_and_saveexec_b64 s[44:45], vcc
	s_cbranch_execz .LBB156_12
; %bb.18:                               ;   in Loop: Header=BB156_14 Depth=1
	v_add_u32_e32 v24, v16, v12
	v_cvt_f32_i32_e32 v24, v24
	s_waitcnt lgkmcnt(0)
	v_add_f32_e32 v22, v22, v23
	v_add_u32_e32 v25, v8, v12
	v_cmp_gt_i32_e64 s[0:1], s33, v25
	v_mul_f32_e32 v23, s3, v24
	v_cndmask_b32_e64 v23, 0, v23, s[6:7]
	v_fmac_f32_e32 v23, s39, v22
	v_cndmask_b32_e64 v22, 0, v23, s[0:1]
	ds_write_b32 v13, v22
	v_max_f32_e32 v22, v10, v10
	v_max_f32_e32 v22, v22, v23
	v_cndmask_b32_e64 v10, v10, v22, s[0:1]
	s_branch .LBB156_12
.LBB156_19:
	s_or_b64 exec, exec, s[42:43]
.LBB156_20:
	s_or_b64 exec, exec, s[40:41]
	v_mbcnt_hi_u32_b32 v2, -1, v7
	v_and_b32_e32 v3, 64, v2
	v_add_u32_e32 v3, 64, v3
	v_xor_b32_e32 v4, 32, v2
	v_cmp_lt_i32_e32 vcc, v4, v3
	v_xor_b32_e32 v8, 16, v2
	v_max_f32_e32 v7, v10, v10
	v_cndmask_b32_e32 v4, v2, v4, vcc
	v_lshlrev_b32_e32 v5, 2, v4
	ds_bpermute_b32 v4, v5, v10
	v_cmp_lt_i32_e32 vcc, v8, v3
	v_xor_b32_e32 v9, 8, v2
	v_and_b32_e32 v20, 63, v0
	s_waitcnt lgkmcnt(0)
	v_max_f32_e32 v4, v4, v4
	v_max_f32_e32 v4, v7, v4
	v_cndmask_b32_e32 v7, v2, v8, vcc
	v_lshlrev_b32_e32 v7, 2, v7
	ds_bpermute_b32 v8, v7, v4
	v_cmp_lt_i32_e32 vcc, v9, v3
	s_waitcnt lgkmcnt(0)
	v_max_f32_e32 v8, v8, v8
	v_max_f32_e32 v4, v4, v8
	v_cndmask_b32_e32 v8, v2, v9, vcc
	v_lshlrev_b32_e32 v10, 2, v8
	ds_bpermute_b32 v8, v10, v4
	v_xor_b32_e32 v9, 4, v2
	v_cmp_lt_i32_e32 vcc, v9, v3
	s_waitcnt lgkmcnt(0)
	v_max_f32_e32 v8, v8, v8
	v_max_f32_e32 v4, v4, v8
	v_cndmask_b32_e32 v8, v2, v9, vcc
	v_lshlrev_b32_e32 v11, 2, v8
	ds_bpermute_b32 v9, v11, v4
	v_cmp_eq_u32_e32 vcc, 0, v20
	v_lshlrev_b32_e32 v8, 2, v6
	s_and_saveexec_b64 s[0:1], vcc
	s_cbranch_execz .LBB156_22
; %bb.21:
	s_waitcnt lgkmcnt(0)
	v_max_f32_e32 v9, v9, v9
	v_max_f32_e32 v4, v4, v4
	;; [unrolled: 1-line block ×3, first 2 shown]
	ds_write_b32 v8, v4 offset:192
.LBB156_22:
	s_or_b64 exec, exec, s[0:1]
	v_cmp_gt_u32_e64 s[0:1], 2, v20
	v_mov_b32_e32 v4, 0xff7fffff
	s_waitcnt lgkmcnt(0)
	v_lshlrev_b32_e32 v9, 2, v20
	s_barrier
	s_and_saveexec_b64 s[6:7], s[0:1]
	s_cbranch_execz .LBB156_24
; %bb.23:
	ds_read_b32 v4, v9 offset:192
.LBB156_24:
	s_or_b64 exec, exec, s[6:7]
	v_xor_b32_e32 v12, 1, v2
	v_cmp_lt_i32_e64 s[6:7], v12, v3
	s_sub_i32 s3, s16, s38
	s_lshl_b32 s3, s3, 4
	v_cndmask_b32_e64 v12, v2, v12, s[6:7]
	v_lshlrev_b32_e32 v21, 2, v12
	s_waitcnt lgkmcnt(0)
	ds_bpermute_b32 v12, v21, v4
	v_max_f32_e32 v4, v4, v4
	s_add_i32 s3, s3, s5
	s_min_i32 s15, s3, s33
	s_sub_i32 s3, s15, s5
	s_waitcnt lgkmcnt(0)
	v_max_f32_e32 v12, v12, v12
	v_max_f32_e32 v4, v4, v12
	v_lshlrev_b32_e32 v12, 2, v2
	v_and_b32_e32 v12, 0x100, v12
	ds_bpermute_b32 v4, v12, v4
	v_cmp_gt_i32_e64 s[6:7], s3, v0
	v_mov_b32_e32 v13, 0
	s_and_saveexec_b64 s[38:39], s[6:7]
	s_cbranch_execz .LBB156_28
; %bb.25:
	v_mov_b32_e32 v13, 0xd0
	v_lshl_add_u32 v16, v0, 2, v13
	s_mov_b64 s[40:41], 0
	v_mov_b32_e32 v13, 0
	v_mov_b32_e32 v17, v0
.LBB156_26:                             ; =>This Inner Loop Header: Depth=1
	ds_read_b32 v18, v16
	v_add_u32_e32 v17, 0x80, v17
	v_cmp_le_i32_e64 s[10:11], s3, v17
	s_or_b64 s[40:41], s[10:11], s[40:41]
	s_waitcnt lgkmcnt(0)
	v_sub_f32_e32 v18, v18, v4
	v_mul_f32_e32 v18, 0x3fb8aa3b, v18
	v_exp_f32_e32 v18, v18
	ds_write_b32 v16, v18
	v_add_f32_e32 v13, v13, v18
	v_add_u32_e32 v16, 0x200, v16
	s_andn2_b64 exec, exec, s[40:41]
	s_cbranch_execnz .LBB156_26
; %bb.27:
	s_or_b64 exec, exec, s[40:41]
.LBB156_28:
	s_or_b64 exec, exec, s[38:39]
	ds_bpermute_b32 v5, v5, v13
	s_waitcnt lgkmcnt(0)
	v_add_f32_e32 v5, v13, v5
	ds_bpermute_b32 v7, v7, v5
	s_waitcnt lgkmcnt(0)
	v_add_f32_e32 v5, v5, v7
	ds_bpermute_b32 v7, v10, v5
	v_xor_b32_e32 v10, 2, v2
	v_cmp_lt_i32_e64 s[10:11], v10, v3
	s_waitcnt lgkmcnt(0)
	v_add_f32_e32 v5, v5, v7
	ds_bpermute_b32 v7, v11, v5
	v_cndmask_b32_e64 v2, v2, v10, s[10:11]
	v_lshlrev_b32_e32 v2, 2, v2
	s_waitcnt lgkmcnt(0)
	v_add_f32_e32 v3, v5, v7
	ds_bpermute_b32 v2, v2, v3
	s_waitcnt lgkmcnt(0)
	v_add_f32_e32 v2, v3, v2
	ds_bpermute_b32 v3, v21, v2
	s_waitcnt lgkmcnt(0)
	v_add_f32_e32 v2, v2, v3
	s_and_saveexec_b64 s[10:11], vcc
	s_cbranch_execz .LBB156_30
; %bb.29:
	ds_write_b32 v8, v2 offset:200
.LBB156_30:
	s_or_b64 exec, exec, s[10:11]
	s_waitcnt lgkmcnt(0)
	s_barrier
	s_and_saveexec_b64 s[10:11], s[0:1]
	s_cbranch_execz .LBB156_32
; %bb.31:
	ds_read_b32 v2, v9 offset:200
.LBB156_32:
	s_or_b64 exec, exec, s[10:11]
	s_waitcnt lgkmcnt(0)
	ds_bpermute_b32 v3, v21, v2
	s_waitcnt lgkmcnt(0)
	v_add_f32_e32 v2, v2, v3
	ds_bpermute_b32 v5, v12, v2
	s_and_saveexec_b64 s[0:1], s[6:7]
	s_cbranch_execz .LBB156_45
; %bb.33:
	s_waitcnt lgkmcnt(0)
	v_add_f32_e32 v2, 0x358637bd, v5
	v_div_scale_f32 v3, s[6:7], v2, v2, 1.0
	v_rcp_f32_e32 v7, v3
	v_div_scale_f32 v8, vcc, 1.0, v2, 1.0
	s_mov_b64 s[10:11], -1
	v_fma_f32 v9, -v3, v7, 1.0
	v_fmac_f32_e32 v7, v9, v7
	v_mul_f32_e32 v9, v8, v7
	v_fma_f32 v10, -v3, v9, v8
	v_fmac_f32_e32 v9, v10, v7
	v_fma_f32 v3, -v3, v9, v8
	v_div_fmas_f32 v3, v3, v7, v9
	v_div_fixup_f32 v2, v3, v2, 1.0
	v_xad_u32 v3, v0, -1, s15
	v_subrev_u32_e32 v7, s5, v3
	s_movk_i32 s5, 0x7f
	v_cmp_lt_u32_e32 vcc, s5, v7
	v_mov_b32_e32 v3, v0
	s_and_saveexec_b64 s[6:7], vcc
	s_cbranch_execz .LBB156_42
; %bb.34:
	v_lshrrev_b32_e32 v7, 7, v7
	v_add_u32_e32 v9, -1, v7
	v_lshrrev_b32_e32 v8, 1, v9
	v_mov_b32_e32 v3, v2
	v_add_u32_e32 v8, 1, v8
	v_cmp_lt_u32_e32 vcc, 13, v9
	v_mov_b32_e32 v11, 0
	s_and_saveexec_b64 s[10:11], vcc
	s_cbranch_execz .LBB156_38
; %bb.35:
	v_mov_b32_e32 v10, 0xd0
	v_and_b32_e32 v9, -8, v8
	v_lshl_add_u32 v10, v0, 2, v10
	s_mov_b32 s5, 0
	s_mov_b64 s[38:39], 0
.LBB156_36:                             ; =>This Inner Loop Header: Depth=1
	ds_read2st64_b32 v[12:13], v10 offset1:2
	ds_read2st64_b32 v[16:17], v10 offset0:4 offset1:6
	ds_read2st64_b32 v[18:19], v10 offset0:8 offset1:10
	;; [unrolled: 1-line block ×3, first 2 shown]
	v_add_u32_e32 v9, -8, v9
	s_waitcnt lgkmcnt(3)
	v_pk_mul_f32 v[12:13], v[2:3], v[12:13]
	s_waitcnt lgkmcnt(2)
	v_pk_mul_f32 v[16:17], v[2:3], v[16:17]
	ds_write2st64_b32 v10, v12, v13 offset1:2
	ds_write2st64_b32 v10, v16, v17 offset0:4 offset1:6
	ds_read2st64_b32 v[16:17], v10 offset0:16 offset1:18
	s_waitcnt lgkmcnt(4)
	v_pk_mul_f32 v[12:13], v[2:3], v[18:19]
	ds_write2st64_b32 v10, v12, v13 offset0:8 offset1:10
	s_waitcnt lgkmcnt(4)
	v_pk_mul_f32 v[12:13], v[2:3], v[22:23]
	ds_write2st64_b32 v10, v12, v13 offset0:12 offset1:14
	ds_read2st64_b32 v[12:13], v10 offset0:20 offset1:22
	s_waitcnt lgkmcnt(3)
	v_pk_mul_f32 v[16:17], v[2:3], v[16:17]
	ds_read2st64_b32 v[18:19], v10 offset0:24 offset1:26
	ds_write2st64_b32 v10, v16, v17 offset0:16 offset1:18
	ds_read2st64_b32 v[16:17], v10 offset0:28 offset1:30
	s_waitcnt lgkmcnt(3)
	v_pk_mul_f32 v[12:13], v[2:3], v[12:13]
	ds_write2st64_b32 v10, v12, v13 offset0:20 offset1:22
	s_waitcnt lgkmcnt(3)
	v_pk_mul_f32 v[12:13], v[2:3], v[18:19]
	ds_write2st64_b32 v10, v12, v13 offset0:24 offset1:26
	s_waitcnt lgkmcnt(2)
	v_pk_mul_f32 v[12:13], v[2:3], v[16:17]
	s_add_i32 s5, s5, 16
	v_cmp_eq_u32_e32 vcc, 0, v9
	ds_write2st64_b32 v10, v12, v13 offset0:28 offset1:30
	v_add_u32_e32 v10, 0x2000, v10
	s_or_b64 s[38:39], vcc, s[38:39]
	v_mov_b32_e32 v11, s5
	s_andn2_b64 exec, exec, s[38:39]
	s_cbranch_execnz .LBB156_36
; %bb.37:
	s_or_b64 exec, exec, s[38:39]
.LBB156_38:
	s_or_b64 exec, exec, s[10:11]
	v_and_b32_e32 v8, 7, v8
	v_cmp_ne_u32_e32 vcc, 0, v8
	s_and_saveexec_b64 s[10:11], vcc
	s_cbranch_execz .LBB156_41
; %bb.39:
	v_lshlrev_b32_e32 v9, 9, v11
	v_lshlrev_b32_e32 v10, 2, v0
	s_movk_i32 s5, 0xd0
	v_add3_u32 v9, v9, v10, s5
	s_mov_b64 s[38:39], 0
.LBB156_40:                             ; =>This Inner Loop Header: Depth=1
	ds_read2st64_b32 v[10:11], v9 offset1:2
	v_add_u32_e32 v8, -1, v8
	v_cmp_eq_u32_e32 vcc, 0, v8
	s_or_b64 s[38:39], vcc, s[38:39]
	s_waitcnt lgkmcnt(0)
	v_pk_mul_f32 v[10:11], v[2:3], v[10:11]
	ds_write2st64_b32 v9, v10, v11 offset1:2
	v_add_u32_e32 v9, 0x400, v9
	s_andn2_b64 exec, exec, s[38:39]
	s_cbranch_execnz .LBB156_40
.LBB156_41:
	s_or_b64 exec, exec, s[10:11]
	v_add_u32_e32 v7, 1, v7
	v_and_b32_e32 v8, 0x3fffffe, v7
	v_cmp_ne_u32_e32 vcc, v7, v8
	v_lshl_add_u32 v3, v8, 7, v0
	s_orn2_b64 s[10:11], vcc, exec
.LBB156_42:
	s_or_b64 exec, exec, s[6:7]
	s_and_b64 exec, exec, s[10:11]
	s_cbranch_execz .LBB156_45
; %bb.43:
	v_mov_b32_e32 v7, 0xd0
	v_lshl_add_u32 v7, v3, 2, v7
	s_mov_b64 s[6:7], 0
.LBB156_44:                             ; =>This Inner Loop Header: Depth=1
	ds_read_b32 v8, v7
	v_add_u32_e32 v3, 0x80, v3
	v_cmp_le_i32_e32 vcc, s3, v3
	s_or_b64 s[6:7], vcc, s[6:7]
	s_waitcnt lgkmcnt(0)
	v_mul_f32_e32 v8, v2, v8
	ds_write_b32 v7, v8
	v_add_u32_e32 v7, 0x200, v7
	s_andn2_b64 exec, exec, s[6:7]
	s_cbranch_execnz .LBB156_44
.LBB156_45:
	s_or_b64 exec, exec, s[0:1]
	v_cmp_eq_u32_e32 vcc, 0, v0
	s_waitcnt lgkmcnt(0)
	s_barrier
	s_and_saveexec_b64 s[0:1], vcc
	s_cbranch_execz .LBB156_47
; %bb.46:
	s_mul_i32 s3, s12, s24
	s_mul_i32 s6, s3, s25
	s_ashr_i32 s7, s6, 31
	s_lshl_b64 s[6:7], s[6:7], 2
	s_add_u32 s5, s22, s6
	s_mul_i32 s2, s12, s2
	s_addc_u32 s10, s23, s7
	s_ashr_i32 s3, s2, 31
	s_lshl_b64 s[2:3], s[2:3], 2
	s_add_u32 s15, s5, s2
	s_addc_u32 s23, s10, s3
	s_ashr_i32 s5, s4, 31
	s_lshl_b64 s[10:11], s[4:5], 2
	s_add_u32 s22, s15, s10
	s_addc_u32 s23, s23, s11
	s_add_u32 s5, s20, s6
	s_addc_u32 s6, s21, s7
	;; [unrolled: 2-line block ×3, first 2 shown]
	s_add_u32 s2, s2, s10
	v_mov_b32_e32 v2, 0
	s_addc_u32 s3, s3, s11
	global_store_dword v2, v4, s[22:23]
	global_store_dword v2, v5, s[2:3]
.LBB156_47:
	s_or_b64 exec, exec, s[0:1]
	v_mov_b32_e32 v12, 0
	v_and_b32_e32 v22, 1, v0
	v_mov_b32_e32 v11, 0
	v_mov_b32_e32 v10, 0
	s_and_saveexec_b64 s[2:3], s[8:9]
	s_cbranch_execz .LBB156_187
; %bb.48:
	s_ashr_i32 s15, s14, 31
	s_sub_i32 s5, s49, s17
	s_lshl_b64 s[0:1], s[14:15], 1
	s_add_u32 s0, s36, s0
	s_addc_u32 s1, s37, s1
	s_abs_i32 s14, s18
	v_cvt_f32_u32_e32 v2, s14
	v_lshlrev_b32_e32 v3, 3, v0
	s_sub_i32 s6, 0, s14
	v_and_b32_e32 v23, 8, v3
	v_rcp_iflag_f32_e32 v2, v2
	v_mov_b32_e32 v13, 0
	s_mov_b32 s8, 0
	s_add_i32 s15, s48, -1
	v_mul_f32_e32 v2, 0x4f7ffffe, v2
	v_cvt_u32_f32_e32 v2, v2
	s_mov_b32 s10, s8
	s_mov_b32 s9, s8
	;; [unrolled: 1-line block ×3, first 2 shown]
	v_mul_lo_u32 v3, s6, v2
	v_mul_hi_u32 v3, v2, v3
	v_add_u32_e32 v24, v2, v3
	v_lshlrev_b32_e32 v2, 4, v0
	v_and_b32_e32 v12, 0x3f0, v2
	v_lshl_add_u64 v[16:17], s[0:1], 0, v[12:13]
	s_lshl_b64 s[0:1], s[34:35], 2
	s_add_u32 s0, s30, s0
	v_lshlrev_b32_e32 v2, 5, v22
	s_addc_u32 s1, s31, s1
	v_lshl_or_b32 v2, v6, 6, v2
	v_mov_b32_e32 v12, s10
	v_lshl_add_u64 v[18:19], v[14:15], 2, s[0:1]
	v_add_u32_e32 v15, 0xd0, v2
	s_mov_b64 s[6:7], 0
	v_mov_b32_e32 v11, s9
	v_mov_b32_e32 v10, s8
	s_movk_i32 s18, 0x7fff
	s_branch .LBB156_51
.LBB156_49:                             ;   in Loop: Header=BB156_51 Depth=1
	s_or_b64 exec, exec, s[0:1]
	v_and_b32_e32 v32, 0xffff0000, v28
	v_and_b32_e32 v28, 0xffff0000, v27
	;; [unrolled: 1-line block ×8, first 2 shown]
	v_pk_add_f32 v[8:9], v[8:9], v[26:27]
	v_pk_add_f32 v[26:27], v[28:29], v[32:33]
	v_add_f32_e32 v8, v8, v9
	v_add_f32_e32 v8, v8, v26
	v_add_f32_e32 v8, v8, v27
	v_and_b32_e32 v29, 0xffff0000, v50
	v_and_b32_e32 v28, 0xffff0000, v48
	;; [unrolled: 1-line block ×4, first 2 shown]
	v_add_f32_e32 v10, v10, v8
	v_and_b32_e32 v9, 0xffff0000, v54
	v_and_b32_e32 v8, 0xffff0000, v52
	;; [unrolled: 1-line block ×4, first 2 shown]
	v_pk_add_f32 v[28:29], v[32:33], v[28:29]
	v_pk_add_f32 v[8:9], v[26:27], v[8:9]
	v_add_f32_e32 v25, v28, v29
	v_add_f32_e32 v8, v25, v8
	;; [unrolled: 1-line block ×3, first 2 shown]
	v_and_b32_e32 v27, 0xffff0000, v30
	v_and_b32_e32 v26, 0xffff0000, v7
	;; [unrolled: 1-line block ×4, first 2 shown]
	v_add_f32_e32 v11, v11, v8
	v_and_b32_e32 v9, 0xffff0000, v6
	v_and_b32_e32 v8, 0xffff0000, v31
	;; [unrolled: 1-line block ×4, first 2 shown]
	v_pk_add_f32 v[2:3], v[2:3], v[26:27]
	v_pk_add_f32 v[4:5], v[4:5], v[8:9]
	v_add_f32_e32 v2, v2, v3
	v_add_f32_e32 v2, v2, v4
	;; [unrolled: 1-line block ×4, first 2 shown]
.LBB156_50:                             ;   in Loop: Header=BB156_51 Depth=1
	s_or_b64 exec, exec, s[8:9]
	v_add_u32_e32 v14, 2, v14
	v_cmp_le_i32_e32 vcc, s16, v14
	v_lshl_add_u64 v[18:19], v[18:19], 0, 8
	v_add_u32_e32 v1, 32, v1
	s_or_b64 s[6:7], vcc, s[6:7]
	v_add_u32_e32 v15, 0x80, v15
	s_andn2_b64 exec, exec, s[6:7]
	s_cbranch_execz .LBB156_186
.LBB156_51:                             ; =>This Inner Loop Header: Depth=1
	v_sub_u32_e32 v3, 0, v1
	v_max_i32_e32 v3, v1, v3
	v_mul_hi_u32 v4, v3, s46
	v_mul_lo_u32 v5, v4, s27
	v_sub_u32_e32 v3, v3, v5
	v_add_u32_e32 v5, 1, v4
	v_cmp_le_u32_e32 vcc, s27, v3
	v_ashrrev_i32_e32 v2, 31, v1
	v_xor_b32_e32 v2, s19, v2
	v_cndmask_b32_e32 v4, v4, v5, vcc
	v_subrev_u32_e32 v5, s27, v3
	v_cndmask_b32_e32 v3, v3, v5, vcc
	v_add_u32_e32 v5, 1, v4
	v_cmp_le_u32_e32 vcc, s27, v3
	s_nop 1
	v_cndmask_b32_e32 v3, v4, v5, vcc
	v_xor_b32_e32 v3, v3, v2
	v_sub_u32_e32 v2, v3, v2
	v_add_u32_e32 v3, s47, v2
	v_sub_u32_e32 v5, 0, v3
	v_ashrrev_i32_e32 v4, 31, v3
	v_max_i32_e32 v3, v3, v5
	v_mul_hi_u32 v5, v3, v24
	v_mul_lo_u32 v5, v5, s14
	v_sub_u32_e32 v3, v3, v5
	v_subrev_u32_e32 v5, s14, v3
	v_cmp_le_u32_e32 vcc, s14, v3
	v_cmp_lt_i32_e64 s[0:1], s5, v2
	s_nop 0
	v_cndmask_b32_e32 v3, v3, v5, vcc
	v_subrev_u32_e32 v5, s14, v3
	v_cmp_le_u32_e32 vcc, s14, v3
	s_nop 1
	v_cndmask_b32_e32 v3, v3, v5, vcc
	v_xor_b32_e32 v3, v3, v4
	v_sub_u32_e32 v3, v3, v4
	v_cmp_eq_u32_e32 vcc, 0, v3
	s_or_b64 s[0:1], vcc, s[0:1]
	s_and_saveexec_b64 s[8:9], s[0:1]
	s_cbranch_execz .LBB156_50
; %bb.52:                               ;   in Loop: Header=BB156_51 Depth=1
	global_load_dword v30, v[18:19], off
	ds_read2_b64 v[6:9], v15 offset1:1
	ds_read2_b64 v[2:5], v15 offset0:2 offset1:3
                                        ; implicit-def: $vgpr39
	s_waitcnt lgkmcnt(1)
	v_and_b32_e32 v25, 0x7f800000, v6
	v_cmp_ne_u32_e32 vcc, s17, v25
	s_and_saveexec_b64 s[0:1], vcc
	s_xor_b64 s[0:1], exec, s[0:1]
; %bb.53:                               ;   in Loop: Header=BB156_51 Depth=1
	v_bfe_u32 v25, v6, 16, 1
	v_add3_u32 v39, v6, v25, s18
; %bb.54:                               ;   in Loop: Header=BB156_51 Depth=1
	s_andn2_saveexec_b64 s[0:1], s[0:1]
; %bb.55:                               ;   in Loop: Header=BB156_51 Depth=1
	v_or_b32_e32 v25, 0x10000, v6
	v_cmp_eq_u32_sdwa vcc, v6, v13 src0_sel:WORD_0 src1_sel:DWORD
	s_nop 1
	v_cndmask_b32_e32 v39, v25, v6, vcc
; %bb.56:                               ;   in Loop: Header=BB156_51 Depth=1
	s_or_b64 exec, exec, s[0:1]
	v_and_b32_e32 v6, 0x7f800000, v7
	v_cmp_ne_u32_e32 vcc, s17, v6
                                        ; implicit-def: $vgpr40
	s_and_saveexec_b64 s[0:1], vcc
	s_xor_b64 s[0:1], exec, s[0:1]
; %bb.57:                               ;   in Loop: Header=BB156_51 Depth=1
	v_bfe_u32 v6, v7, 16, 1
	v_add3_u32 v40, v7, v6, s18
; %bb.58:                               ;   in Loop: Header=BB156_51 Depth=1
	s_andn2_saveexec_b64 s[0:1], s[0:1]
; %bb.59:                               ;   in Loop: Header=BB156_51 Depth=1
	v_or_b32_e32 v6, 0x10000, v7
	v_cmp_eq_u32_sdwa vcc, v7, v13 src0_sel:WORD_0 src1_sel:DWORD
	s_nop 1
	v_cndmask_b32_e32 v40, v6, v7, vcc
; %bb.60:                               ;   in Loop: Header=BB156_51 Depth=1
	s_or_b64 exec, exec, s[0:1]
	v_and_b32_e32 v6, 0x7f800000, v8
	v_cmp_ne_u32_e32 vcc, s17, v6
                                        ; implicit-def: $vgpr25
	s_and_saveexec_b64 s[0:1], vcc
	s_xor_b64 s[0:1], exec, s[0:1]
; %bb.61:                               ;   in Loop: Header=BB156_51 Depth=1
	v_bfe_u32 v6, v8, 16, 1
	v_add3_u32 v25, v8, v6, s18
; %bb.62:                               ;   in Loop: Header=BB156_51 Depth=1
	s_andn2_saveexec_b64 s[0:1], s[0:1]
; %bb.63:                               ;   in Loop: Header=BB156_51 Depth=1
	v_or_b32_e32 v6, 0x10000, v8
	v_cmp_eq_u32_sdwa vcc, v8, v13 src0_sel:WORD_0 src1_sel:DWORD
	s_nop 1
	v_cndmask_b32_e32 v25, v6, v8, vcc
; %bb.64:                               ;   in Loop: Header=BB156_51 Depth=1
	s_or_b64 exec, exec, s[0:1]
	v_and_b32_e32 v6, 0x7f800000, v9
	v_cmp_ne_u32_e32 vcc, s17, v6
                                        ; implicit-def: $vgpr26
	s_and_saveexec_b64 s[0:1], vcc
	s_xor_b64 s[0:1], exec, s[0:1]
; %bb.65:                               ;   in Loop: Header=BB156_51 Depth=1
	v_bfe_u32 v6, v9, 16, 1
	v_add3_u32 v26, v9, v6, s18
                                        ; implicit-def: $vgpr6_vgpr7_vgpr8_vgpr9
; %bb.66:                               ;   in Loop: Header=BB156_51 Depth=1
	s_andn2_saveexec_b64 s[0:1], s[0:1]
; %bb.67:                               ;   in Loop: Header=BB156_51 Depth=1
	v_or_b32_e32 v6, 0x10000, v9
	v_cmp_eq_u32_sdwa vcc, v9, v13 src0_sel:WORD_0 src1_sel:DWORD
	s_nop 1
	v_cndmask_b32_e32 v26, v6, v9, vcc
; %bb.68:                               ;   in Loop: Header=BB156_51 Depth=1
	s_or_b64 exec, exec, s[0:1]
	s_waitcnt lgkmcnt(0)
	v_and_b32_e32 v6, 0x7f800000, v2
	v_cmp_ne_u32_e32 vcc, s17, v6
                                        ; implicit-def: $vgpr27
	s_and_saveexec_b64 s[0:1], vcc
	s_xor_b64 s[0:1], exec, s[0:1]
; %bb.69:                               ;   in Loop: Header=BB156_51 Depth=1
	v_bfe_u32 v6, v2, 16, 1
	v_add3_u32 v27, v2, v6, s18
; %bb.70:                               ;   in Loop: Header=BB156_51 Depth=1
	s_andn2_saveexec_b64 s[0:1], s[0:1]
; %bb.71:                               ;   in Loop: Header=BB156_51 Depth=1
	v_or_b32_e32 v6, 0x10000, v2
	v_cmp_eq_u32_sdwa vcc, v2, v13 src0_sel:WORD_0 src1_sel:DWORD
	s_nop 1
	v_cndmask_b32_e32 v27, v6, v2, vcc
; %bb.72:                               ;   in Loop: Header=BB156_51 Depth=1
	s_or_b64 exec, exec, s[0:1]
	v_and_b32_e32 v2, 0x7f800000, v3
	v_cmp_ne_u32_e32 vcc, s17, v2
                                        ; implicit-def: $vgpr28
	s_and_saveexec_b64 s[0:1], vcc
	s_xor_b64 s[0:1], exec, s[0:1]
; %bb.73:                               ;   in Loop: Header=BB156_51 Depth=1
	v_bfe_u32 v2, v3, 16, 1
	v_add3_u32 v28, v3, v2, s18
; %bb.74:                               ;   in Loop: Header=BB156_51 Depth=1
	s_andn2_saveexec_b64 s[0:1], s[0:1]
; %bb.75:                               ;   in Loop: Header=BB156_51 Depth=1
	v_or_b32_e32 v2, 0x10000, v3
	v_cmp_eq_u32_sdwa vcc, v3, v13 src0_sel:WORD_0 src1_sel:DWORD
	s_nop 1
	v_cndmask_b32_e32 v28, v2, v3, vcc
; %bb.76:                               ;   in Loop: Header=BB156_51 Depth=1
	s_or_b64 exec, exec, s[0:1]
	v_and_b32_e32 v2, 0x7f800000, v4
	v_cmp_ne_u32_e32 vcc, s17, v2
                                        ; implicit-def: $vgpr29
	s_and_saveexec_b64 s[0:1], vcc
	s_xor_b64 s[0:1], exec, s[0:1]
; %bb.77:                               ;   in Loop: Header=BB156_51 Depth=1
	v_bfe_u32 v2, v4, 16, 1
	v_add3_u32 v29, v4, v2, s18
; %bb.78:                               ;   in Loop: Header=BB156_51 Depth=1
	s_andn2_saveexec_b64 s[0:1], s[0:1]
; %bb.79:                               ;   in Loop: Header=BB156_51 Depth=1
	v_or_b32_e32 v2, 0x10000, v4
	v_cmp_eq_u32_sdwa vcc, v4, v13 src0_sel:WORD_0 src1_sel:DWORD
	s_nop 1
	v_cndmask_b32_e32 v29, v2, v4, vcc
; %bb.80:                               ;   in Loop: Header=BB156_51 Depth=1
	s_or_b64 exec, exec, s[0:1]
	v_and_b32_e32 v2, 0x7f800000, v5
	v_cmp_ne_u32_e32 vcc, s17, v2
                                        ; implicit-def: $vgpr38
	s_and_saveexec_b64 s[0:1], vcc
	s_xor_b64 s[0:1], exec, s[0:1]
; %bb.81:                               ;   in Loop: Header=BB156_51 Depth=1
	v_bfe_u32 v2, v5, 16, 1
	v_add3_u32 v38, v5, v2, s18
                                        ; implicit-def: $vgpr2_vgpr3_vgpr4_vgpr5
; %bb.82:                               ;   in Loop: Header=BB156_51 Depth=1
	s_andn2_saveexec_b64 s[0:1], s[0:1]
; %bb.83:                               ;   in Loop: Header=BB156_51 Depth=1
	v_or_b32_e32 v2, 0x10000, v5
	v_cmp_eq_u32_sdwa vcc, v5, v13 src0_sel:WORD_0 src1_sel:DWORD
	s_nop 1
	v_cndmask_b32_e32 v38, v2, v5, vcc
; %bb.84:                               ;   in Loop: Header=BB156_51 Depth=1
	s_or_b64 exec, exec, s[0:1]
	s_waitcnt vmcnt(0)
	v_mad_i64_i32 v[2:3], s[0:1], v30, s13, 0
	v_lshl_add_u64 v[6:7], v[2:3], 1, v[16:17]
	global_load_dwordx4 v[2:5], v[6:7], off
	v_add_u32_e32 v30, v23, v1
	v_cmp_eq_u32_e32 vcc, s15, v14
	v_add_u32_e32 v37, 1, v30
	v_add_u32_e32 v36, 2, v30
	;; [unrolled: 1-line block ×7, first 2 shown]
	s_waitcnt vmcnt(0)
	v_lshrrev_b32_e32 v9, 16, v2
	v_lshrrev_b32_e32 v43, 16, v3
	;; [unrolled: 1-line block ×4, first 2 shown]
	s_and_saveexec_b64 s[10:11], vcc
	s_cbranch_execz .LBB156_86
; %bb.85:                               ;   in Loop: Header=BB156_51 Depth=1
	v_cmp_gt_i32_e64 s[0:1], s33, v30
	s_nop 1
	v_cndmask_b32_e64 v2, 0, v2, s[0:1]
	v_cmp_gt_i32_e64 s[0:1], s33, v37
	s_nop 1
	v_cndmask_b32_e64 v9, 0, v9, s[0:1]
	;; [unrolled: 3-line block ×8, first 2 shown]
.LBB156_86:                             ;   in Loop: Header=BB156_51 Depth=1
	s_or_b64 exec, exec, s[10:11]
	v_and_b32_e32 v39, 0xffff0000, v39
	v_lshlrev_b32_e32 v2, 16, v2
	v_mul_f32_e32 v2, v39, v2
	v_and_b32_e32 v8, 0x7f800000, v2
	v_cmp_ne_u32_e64 s[0:1], s17, v8
                                        ; implicit-def: $vgpr8
	s_and_saveexec_b64 s[10:11], s[0:1]
	s_xor_b64 s[0:1], exec, s[10:11]
; %bb.87:                               ;   in Loop: Header=BB156_51 Depth=1
	v_bfe_u32 v8, v2, 16, 1
	v_add3_u32 v8, v2, v8, s18
                                        ; implicit-def: $vgpr2
; %bb.88:                               ;   in Loop: Header=BB156_51 Depth=1
	s_andn2_saveexec_b64 s[10:11], s[0:1]
; %bb.89:                               ;   in Loop: Header=BB156_51 Depth=1
	v_or_b32_e32 v8, 0x10000, v2
	v_cmp_eq_u32_sdwa s[0:1], v2, v13 src0_sel:WORD_0 src1_sel:DWORD
	s_nop 1
	v_cndmask_b32_e64 v8, v8, v2, s[0:1]
; %bb.90:                               ;   in Loop: Header=BB156_51 Depth=1
	s_or_b64 exec, exec, s[10:11]
	v_and_b32_e32 v40, 0xffff0000, v40
	v_lshlrev_b32_e32 v2, 16, v9
	v_mul_f32_e32 v2, v40, v2
	v_and_b32_e32 v9, 0x7f800000, v2
	v_cmp_ne_u32_e64 s[0:1], s17, v9
                                        ; implicit-def: $vgpr9
	s_and_saveexec_b64 s[10:11], s[0:1]
	s_xor_b64 s[0:1], exec, s[10:11]
; %bb.91:                               ;   in Loop: Header=BB156_51 Depth=1
	v_bfe_u32 v9, v2, 16, 1
	v_add3_u32 v9, v2, v9, s18
                                        ; implicit-def: $vgpr2
; %bb.92:                               ;   in Loop: Header=BB156_51 Depth=1
	s_andn2_saveexec_b64 s[10:11], s[0:1]
; %bb.93:                               ;   in Loop: Header=BB156_51 Depth=1
	v_or_b32_e32 v9, 0x10000, v2
	v_cmp_eq_u32_sdwa s[0:1], v2, v13 src0_sel:WORD_0 src1_sel:DWORD
	s_nop 1
	v_cndmask_b32_e64 v9, v9, v2, s[0:1]
; %bb.94:                               ;   in Loop: Header=BB156_51 Depth=1
	s_or_b64 exec, exec, s[10:11]
	v_and_b32_e32 v41, 0xffff0000, v25
	v_lshlrev_b32_e32 v2, 16, v3
	v_mul_f32_e32 v2, v41, v2
	v_and_b32_e32 v3, 0x7f800000, v2
	v_cmp_ne_u32_e64 s[0:1], s17, v3
                                        ; implicit-def: $vgpr25
	s_and_saveexec_b64 s[10:11], s[0:1]
	s_xor_b64 s[0:1], exec, s[10:11]
; %bb.95:                               ;   in Loop: Header=BB156_51 Depth=1
	v_bfe_u32 v3, v2, 16, 1
	v_add3_u32 v25, v2, v3, s18
                                        ; implicit-def: $vgpr2
; %bb.96:                               ;   in Loop: Header=BB156_51 Depth=1
	s_andn2_saveexec_b64 s[10:11], s[0:1]
; %bb.97:                               ;   in Loop: Header=BB156_51 Depth=1
	v_or_b32_e32 v3, 0x10000, v2
	v_cmp_eq_u32_sdwa s[0:1], v2, v13 src0_sel:WORD_0 src1_sel:DWORD
	s_nop 1
	v_cndmask_b32_e64 v25, v3, v2, s[0:1]
; %bb.98:                               ;   in Loop: Header=BB156_51 Depth=1
	s_or_b64 exec, exec, s[10:11]
	v_and_b32_e32 v42, 0xffff0000, v26
	v_lshlrev_b32_e32 v2, 16, v43
	v_mul_f32_e32 v2, v42, v2
	v_and_b32_e32 v3, 0x7f800000, v2
	v_cmp_ne_u32_e64 s[0:1], s17, v3
                                        ; implicit-def: $vgpr26
	s_and_saveexec_b64 s[10:11], s[0:1]
	s_xor_b64 s[0:1], exec, s[10:11]
; %bb.99:                               ;   in Loop: Header=BB156_51 Depth=1
	v_bfe_u32 v3, v2, 16, 1
	v_add3_u32 v26, v2, v3, s18
                                        ; implicit-def: $vgpr2
; %bb.100:                              ;   in Loop: Header=BB156_51 Depth=1
	s_andn2_saveexec_b64 s[10:11], s[0:1]
; %bb.101:                              ;   in Loop: Header=BB156_51 Depth=1
	v_or_b32_e32 v3, 0x10000, v2
	v_cmp_eq_u32_sdwa s[0:1], v2, v13 src0_sel:WORD_0 src1_sel:DWORD
	s_nop 1
	v_cndmask_b32_e64 v26, v3, v2, s[0:1]
; %bb.102:                              ;   in Loop: Header=BB156_51 Depth=1
	s_or_b64 exec, exec, s[10:11]
	v_and_b32_e32 v43, 0xffff0000, v27
	v_lshlrev_b32_e32 v2, 16, v4
	v_mul_f32_e32 v2, v43, v2
	v_and_b32_e32 v3, 0x7f800000, v2
	v_cmp_ne_u32_e64 s[0:1], s17, v3
                                        ; implicit-def: $vgpr27
	s_and_saveexec_b64 s[10:11], s[0:1]
	s_xor_b64 s[0:1], exec, s[10:11]
; %bb.103:                              ;   in Loop: Header=BB156_51 Depth=1
	v_bfe_u32 v3, v2, 16, 1
	v_add3_u32 v27, v2, v3, s18
                                        ; implicit-def: $vgpr2
; %bb.104:                              ;   in Loop: Header=BB156_51 Depth=1
	s_andn2_saveexec_b64 s[10:11], s[0:1]
; %bb.105:                              ;   in Loop: Header=BB156_51 Depth=1
	v_or_b32_e32 v3, 0x10000, v2
	v_cmp_eq_u32_sdwa s[0:1], v2, v13 src0_sel:WORD_0 src1_sel:DWORD
	s_nop 1
	v_cndmask_b32_e64 v27, v3, v2, s[0:1]
; %bb.106:                              ;   in Loop: Header=BB156_51 Depth=1
	s_or_b64 exec, exec, s[10:11]
	v_and_b32_e32 v44, 0xffff0000, v28
	v_lshlrev_b32_e32 v2, 16, v45
	v_mul_f32_e32 v2, v44, v2
	v_and_b32_e32 v3, 0x7f800000, v2
	v_cmp_ne_u32_e64 s[0:1], s17, v3
                                        ; implicit-def: $vgpr28
	s_and_saveexec_b64 s[10:11], s[0:1]
	s_xor_b64 s[0:1], exec, s[10:11]
; %bb.107:                              ;   in Loop: Header=BB156_51 Depth=1
	v_bfe_u32 v3, v2, 16, 1
	v_add3_u32 v28, v2, v3, s18
                                        ; implicit-def: $vgpr2
; %bb.108:                              ;   in Loop: Header=BB156_51 Depth=1
	s_andn2_saveexec_b64 s[10:11], s[0:1]
; %bb.109:                              ;   in Loop: Header=BB156_51 Depth=1
	v_or_b32_e32 v3, 0x10000, v2
	v_cmp_eq_u32_sdwa s[0:1], v2, v13 src0_sel:WORD_0 src1_sel:DWORD
	s_nop 1
	v_cndmask_b32_e64 v28, v3, v2, s[0:1]
; %bb.110:                              ;   in Loop: Header=BB156_51 Depth=1
	s_or_b64 exec, exec, s[10:11]
	v_and_b32_e32 v45, 0xffff0000, v29
	v_lshlrev_b32_e32 v2, 16, v5
	v_mul_f32_e32 v2, v45, v2
	v_and_b32_e32 v3, 0x7f800000, v2
	v_cmp_ne_u32_e64 s[0:1], s17, v3
                                        ; implicit-def: $vgpr29
	s_and_saveexec_b64 s[10:11], s[0:1]
	s_xor_b64 s[0:1], exec, s[10:11]
; %bb.111:                              ;   in Loop: Header=BB156_51 Depth=1
	v_bfe_u32 v3, v2, 16, 1
	v_add3_u32 v29, v2, v3, s18
                                        ; implicit-def: $vgpr2
; %bb.112:                              ;   in Loop: Header=BB156_51 Depth=1
	s_andn2_saveexec_b64 s[10:11], s[0:1]
; %bb.113:                              ;   in Loop: Header=BB156_51 Depth=1
	v_or_b32_e32 v3, 0x10000, v2
	v_cmp_eq_u32_sdwa s[0:1], v2, v13 src0_sel:WORD_0 src1_sel:DWORD
	s_nop 1
	v_cndmask_b32_e64 v29, v3, v2, s[0:1]
; %bb.114:                              ;   in Loop: Header=BB156_51 Depth=1
	s_or_b64 exec, exec, s[10:11]
	v_and_b32_e32 v46, 0xffff0000, v38
	v_lshlrev_b32_e32 v2, 16, v47
	v_mul_f32_e32 v2, v46, v2
	v_and_b32_e32 v3, 0x7f800000, v2
	v_cmp_ne_u32_e64 s[0:1], s17, v3
                                        ; implicit-def: $vgpr38
	s_and_saveexec_b64 s[10:11], s[0:1]
	s_xor_b64 s[0:1], exec, s[10:11]
; %bb.115:                              ;   in Loop: Header=BB156_51 Depth=1
	v_bfe_u32 v3, v2, 16, 1
	v_add3_u32 v38, v2, v3, s18
                                        ; implicit-def: $vgpr2
; %bb.116:                              ;   in Loop: Header=BB156_51 Depth=1
	s_andn2_saveexec_b64 s[10:11], s[0:1]
; %bb.117:                              ;   in Loop: Header=BB156_51 Depth=1
	v_or_b32_e32 v3, 0x10000, v2
	v_cmp_eq_u32_sdwa s[0:1], v2, v13 src0_sel:WORD_0 src1_sel:DWORD
	s_nop 1
	v_cndmask_b32_e64 v38, v3, v2, s[0:1]
; %bb.118:                              ;   in Loop: Header=BB156_51 Depth=1
	s_or_b64 exec, exec, s[10:11]
	global_load_dwordx4 v[2:5], v[6:7], off offset:1024
	s_waitcnt vmcnt(0)
	v_lshrrev_b32_e32 v48, 16, v2
	v_lshrrev_b32_e32 v50, 16, v3
	;; [unrolled: 1-line block ×4, first 2 shown]
	s_and_saveexec_b64 s[10:11], vcc
	s_cbranch_execz .LBB156_120
; %bb.119:                              ;   in Loop: Header=BB156_51 Depth=1
	v_cmp_gt_i32_e64 s[0:1], s33, v30
	s_nop 1
	v_cndmask_b32_e64 v2, 0, v2, s[0:1]
	v_cmp_gt_i32_e64 s[0:1], s33, v37
	s_nop 1
	v_cndmask_b32_e64 v48, 0, v48, s[0:1]
	v_cmp_gt_i32_e64 s[0:1], s33, v36
	s_nop 1
	v_cndmask_b32_e64 v3, 0, v3, s[0:1]
	v_cmp_gt_i32_e64 s[0:1], s33, v34
	s_nop 1
	v_cndmask_b32_e64 v50, 0, v50, s[0:1]
	v_cmp_gt_i32_e64 s[0:1], s33, v33
	s_nop 1
	v_cndmask_b32_e64 v4, 0, v4, s[0:1]
	v_cmp_gt_i32_e64 s[0:1], s33, v32
	s_nop 1
	v_cndmask_b32_e64 v52, 0, v52, s[0:1]
	v_cmp_gt_i32_e64 s[0:1], s33, v31
	s_nop 1
	v_cndmask_b32_e64 v5, 0, v5, s[0:1]
	v_cmp_gt_i32_e64 s[0:1], s33, v35
	s_nop 1
	v_cndmask_b32_e64 v54, 0, v54, s[0:1]
.LBB156_120:                            ;   in Loop: Header=BB156_51 Depth=1
	s_or_b64 exec, exec, s[10:11]
	v_lshlrev_b32_e32 v2, 16, v2
	v_mul_f32_e32 v2, v39, v2
	v_and_b32_e32 v47, 0x7f800000, v2
	v_cmp_ne_u32_e64 s[0:1], s17, v47
                                        ; implicit-def: $vgpr47
	s_and_saveexec_b64 s[10:11], s[0:1]
	s_xor_b64 s[0:1], exec, s[10:11]
; %bb.121:                              ;   in Loop: Header=BB156_51 Depth=1
	v_bfe_u32 v47, v2, 16, 1
	v_add3_u32 v47, v2, v47, s18
                                        ; implicit-def: $vgpr2
; %bb.122:                              ;   in Loop: Header=BB156_51 Depth=1
	s_andn2_saveexec_b64 s[10:11], s[0:1]
; %bb.123:                              ;   in Loop: Header=BB156_51 Depth=1
	v_or_b32_e32 v47, 0x10000, v2
	v_cmp_eq_u32_sdwa s[0:1], v2, v13 src0_sel:WORD_0 src1_sel:DWORD
	s_nop 1
	v_cndmask_b32_e64 v47, v47, v2, s[0:1]
; %bb.124:                              ;   in Loop: Header=BB156_51 Depth=1
	s_or_b64 exec, exec, s[10:11]
	v_lshlrev_b32_e32 v2, 16, v48
	v_mul_f32_e32 v2, v40, v2
	v_and_b32_e32 v48, 0x7f800000, v2
	v_cmp_ne_u32_e64 s[0:1], s17, v48
                                        ; implicit-def: $vgpr48
	s_and_saveexec_b64 s[10:11], s[0:1]
	s_xor_b64 s[0:1], exec, s[10:11]
; %bb.125:                              ;   in Loop: Header=BB156_51 Depth=1
	v_bfe_u32 v48, v2, 16, 1
	v_add3_u32 v48, v2, v48, s18
                                        ; implicit-def: $vgpr2
; %bb.126:                              ;   in Loop: Header=BB156_51 Depth=1
	s_andn2_saveexec_b64 s[10:11], s[0:1]
; %bb.127:                              ;   in Loop: Header=BB156_51 Depth=1
	v_or_b32_e32 v48, 0x10000, v2
	v_cmp_eq_u32_sdwa s[0:1], v2, v13 src0_sel:WORD_0 src1_sel:DWORD
	s_nop 1
	v_cndmask_b32_e64 v48, v48, v2, s[0:1]
; %bb.128:                              ;   in Loop: Header=BB156_51 Depth=1
	s_or_b64 exec, exec, s[10:11]
	v_lshlrev_b32_e32 v2, 16, v3
	v_mul_f32_e32 v2, v41, v2
	v_and_b32_e32 v3, 0x7f800000, v2
	v_cmp_ne_u32_e64 s[0:1], s17, v3
                                        ; implicit-def: $vgpr49
	s_and_saveexec_b64 s[10:11], s[0:1]
	s_xor_b64 s[0:1], exec, s[10:11]
; %bb.129:                              ;   in Loop: Header=BB156_51 Depth=1
	v_bfe_u32 v3, v2, 16, 1
	v_add3_u32 v49, v2, v3, s18
                                        ; implicit-def: $vgpr2
; %bb.130:                              ;   in Loop: Header=BB156_51 Depth=1
	s_andn2_saveexec_b64 s[10:11], s[0:1]
; %bb.131:                              ;   in Loop: Header=BB156_51 Depth=1
	v_or_b32_e32 v3, 0x10000, v2
	v_cmp_eq_u32_sdwa s[0:1], v2, v13 src0_sel:WORD_0 src1_sel:DWORD
	s_nop 1
	v_cndmask_b32_e64 v49, v3, v2, s[0:1]
; %bb.132:                              ;   in Loop: Header=BB156_51 Depth=1
	s_or_b64 exec, exec, s[10:11]
	v_lshlrev_b32_e32 v2, 16, v50
	v_mul_f32_e32 v2, v42, v2
	v_and_b32_e32 v3, 0x7f800000, v2
	v_cmp_ne_u32_e64 s[0:1], s17, v3
                                        ; implicit-def: $vgpr50
	s_and_saveexec_b64 s[10:11], s[0:1]
	s_xor_b64 s[0:1], exec, s[10:11]
; %bb.133:                              ;   in Loop: Header=BB156_51 Depth=1
	v_bfe_u32 v3, v2, 16, 1
	v_add3_u32 v50, v2, v3, s18
                                        ; implicit-def: $vgpr2
; %bb.134:                              ;   in Loop: Header=BB156_51 Depth=1
	s_andn2_saveexec_b64 s[10:11], s[0:1]
; %bb.135:                              ;   in Loop: Header=BB156_51 Depth=1
	v_or_b32_e32 v3, 0x10000, v2
	v_cmp_eq_u32_sdwa s[0:1], v2, v13 src0_sel:WORD_0 src1_sel:DWORD
	s_nop 1
	v_cndmask_b32_e64 v50, v3, v2, s[0:1]
; %bb.136:                              ;   in Loop: Header=BB156_51 Depth=1
	s_or_b64 exec, exec, s[10:11]
	v_lshlrev_b32_e32 v2, 16, v4
	v_mul_f32_e32 v2, v43, v2
	v_and_b32_e32 v3, 0x7f800000, v2
	v_cmp_ne_u32_e64 s[0:1], s17, v3
                                        ; implicit-def: $vgpr51
	s_and_saveexec_b64 s[10:11], s[0:1]
	s_xor_b64 s[0:1], exec, s[10:11]
; %bb.137:                              ;   in Loop: Header=BB156_51 Depth=1
	v_bfe_u32 v3, v2, 16, 1
	v_add3_u32 v51, v2, v3, s18
                                        ; implicit-def: $vgpr2
; %bb.138:                              ;   in Loop: Header=BB156_51 Depth=1
	s_andn2_saveexec_b64 s[10:11], s[0:1]
; %bb.139:                              ;   in Loop: Header=BB156_51 Depth=1
	v_or_b32_e32 v3, 0x10000, v2
	v_cmp_eq_u32_sdwa s[0:1], v2, v13 src0_sel:WORD_0 src1_sel:DWORD
	s_nop 1
	v_cndmask_b32_e64 v51, v3, v2, s[0:1]
; %bb.140:                              ;   in Loop: Header=BB156_51 Depth=1
	s_or_b64 exec, exec, s[10:11]
	v_lshlrev_b32_e32 v2, 16, v52
	v_mul_f32_e32 v2, v44, v2
	v_and_b32_e32 v3, 0x7f800000, v2
	v_cmp_ne_u32_e64 s[0:1], s17, v3
                                        ; implicit-def: $vgpr52
	s_and_saveexec_b64 s[10:11], s[0:1]
	s_xor_b64 s[0:1], exec, s[10:11]
; %bb.141:                              ;   in Loop: Header=BB156_51 Depth=1
	v_bfe_u32 v3, v2, 16, 1
	v_add3_u32 v52, v2, v3, s18
                                        ; implicit-def: $vgpr2
; %bb.142:                              ;   in Loop: Header=BB156_51 Depth=1
	s_andn2_saveexec_b64 s[10:11], s[0:1]
; %bb.143:                              ;   in Loop: Header=BB156_51 Depth=1
	v_or_b32_e32 v3, 0x10000, v2
	v_cmp_eq_u32_sdwa s[0:1], v2, v13 src0_sel:WORD_0 src1_sel:DWORD
	s_nop 1
	v_cndmask_b32_e64 v52, v3, v2, s[0:1]
; %bb.144:                              ;   in Loop: Header=BB156_51 Depth=1
	s_or_b64 exec, exec, s[10:11]
	v_lshlrev_b32_e32 v2, 16, v5
	v_mul_f32_e32 v2, v45, v2
	v_and_b32_e32 v3, 0x7f800000, v2
	v_cmp_ne_u32_e64 s[0:1], s17, v3
                                        ; implicit-def: $vgpr53
	s_and_saveexec_b64 s[10:11], s[0:1]
	s_xor_b64 s[0:1], exec, s[10:11]
; %bb.145:                              ;   in Loop: Header=BB156_51 Depth=1
	v_bfe_u32 v3, v2, 16, 1
	v_add3_u32 v53, v2, v3, s18
                                        ; implicit-def: $vgpr2
; %bb.146:                              ;   in Loop: Header=BB156_51 Depth=1
	s_andn2_saveexec_b64 s[10:11], s[0:1]
; %bb.147:                              ;   in Loop: Header=BB156_51 Depth=1
	v_or_b32_e32 v3, 0x10000, v2
	v_cmp_eq_u32_sdwa s[0:1], v2, v13 src0_sel:WORD_0 src1_sel:DWORD
	s_nop 1
	v_cndmask_b32_e64 v53, v3, v2, s[0:1]
; %bb.148:                              ;   in Loop: Header=BB156_51 Depth=1
	s_or_b64 exec, exec, s[10:11]
	v_lshlrev_b32_e32 v2, 16, v54
	v_mul_f32_e32 v2, v46, v2
	v_and_b32_e32 v3, 0x7f800000, v2
	v_cmp_ne_u32_e64 s[0:1], s17, v3
                                        ; implicit-def: $vgpr54
	s_and_saveexec_b64 s[10:11], s[0:1]
	s_xor_b64 s[0:1], exec, s[10:11]
; %bb.149:                              ;   in Loop: Header=BB156_51 Depth=1
	v_bfe_u32 v3, v2, 16, 1
	v_add3_u32 v54, v2, v3, s18
                                        ; implicit-def: $vgpr2
; %bb.150:                              ;   in Loop: Header=BB156_51 Depth=1
	s_andn2_saveexec_b64 s[10:11], s[0:1]
; %bb.151:                              ;   in Loop: Header=BB156_51 Depth=1
	v_or_b32_e32 v3, 0x10000, v2
	v_cmp_eq_u32_sdwa s[0:1], v2, v13 src0_sel:WORD_0 src1_sel:DWORD
	s_nop 1
	v_cndmask_b32_e64 v54, v3, v2, s[0:1]
; %bb.152:                              ;   in Loop: Header=BB156_51 Depth=1
	s_or_b64 exec, exec, s[10:11]
	global_load_dwordx4 v[2:5], v[6:7], off offset:2048
	s_waitcnt vmcnt(0)
	v_lshrrev_b32_e32 v7, 16, v2
	v_lshrrev_b32_e32 v56, 16, v3
	;; [unrolled: 1-line block ×4, first 2 shown]
	s_and_saveexec_b64 s[0:1], vcc
	s_cbranch_execz .LBB156_154
; %bb.153:                              ;   in Loop: Header=BB156_51 Depth=1
	v_cmp_gt_i32_e32 vcc, s33, v30
	s_nop 1
	v_cndmask_b32_e32 v2, 0, v2, vcc
	v_cmp_gt_i32_e32 vcc, s33, v37
	s_nop 1
	v_cndmask_b32_e32 v7, 0, v7, vcc
	v_cmp_gt_i32_e32 vcc, s33, v36
	s_nop 1
	v_cndmask_b32_e32 v3, 0, v3, vcc
	v_cmp_gt_i32_e32 vcc, s33, v34
	s_nop 1
	v_cndmask_b32_e32 v56, 0, v56, vcc
	v_cmp_gt_i32_e32 vcc, s33, v33
	s_nop 1
	v_cndmask_b32_e32 v4, 0, v4, vcc
	v_cmp_gt_i32_e32 vcc, s33, v32
	s_nop 1
	v_cndmask_b32_e32 v55, 0, v55, vcc
	v_cmp_gt_i32_e32 vcc, s33, v31
	s_nop 1
	v_cndmask_b32_e32 v5, 0, v5, vcc
	v_cmp_gt_i32_e32 vcc, s33, v35
	s_nop 1
	v_cndmask_b32_e32 v6, 0, v6, vcc
.LBB156_154:                            ;   in Loop: Header=BB156_51 Depth=1
	s_or_b64 exec, exec, s[0:1]
	v_lshlrev_b32_e32 v2, 16, v2
	v_mul_f32_e32 v30, v39, v2
	v_and_b32_e32 v2, 0x7f800000, v30
	v_cmp_ne_u32_e32 vcc, s17, v2
                                        ; implicit-def: $vgpr2
	s_and_saveexec_b64 s[0:1], vcc
	s_xor_b64 s[0:1], exec, s[0:1]
; %bb.155:                              ;   in Loop: Header=BB156_51 Depth=1
	v_bfe_u32 v2, v30, 16, 1
	v_add3_u32 v2, v30, v2, s18
                                        ; implicit-def: $vgpr30
; %bb.156:                              ;   in Loop: Header=BB156_51 Depth=1
	s_andn2_saveexec_b64 s[0:1], s[0:1]
; %bb.157:                              ;   in Loop: Header=BB156_51 Depth=1
	v_or_b32_e32 v2, 0x10000, v30
	v_cmp_eq_u32_sdwa vcc, v30, v13 src0_sel:WORD_0 src1_sel:DWORD
	s_nop 1
	v_cndmask_b32_e32 v2, v2, v30, vcc
; %bb.158:                              ;   in Loop: Header=BB156_51 Depth=1
	s_or_b64 exec, exec, s[0:1]
	v_lshlrev_b32_e32 v7, 16, v7
	v_mul_f32_e32 v30, v40, v7
	v_and_b32_e32 v7, 0x7f800000, v30
	v_cmp_ne_u32_e32 vcc, s17, v7
                                        ; implicit-def: $vgpr7
	s_and_saveexec_b64 s[0:1], vcc
	s_xor_b64 s[0:1], exec, s[0:1]
; %bb.159:                              ;   in Loop: Header=BB156_51 Depth=1
	v_bfe_u32 v7, v30, 16, 1
	v_add3_u32 v7, v30, v7, s18
                                        ; implicit-def: $vgpr30
; %bb.160:                              ;   in Loop: Header=BB156_51 Depth=1
	s_andn2_saveexec_b64 s[0:1], s[0:1]
; %bb.161:                              ;   in Loop: Header=BB156_51 Depth=1
	v_or_b32_e32 v7, 0x10000, v30
	v_cmp_eq_u32_sdwa vcc, v30, v13 src0_sel:WORD_0 src1_sel:DWORD
	s_nop 1
	v_cndmask_b32_e32 v7, v7, v30, vcc
; %bb.162:                              ;   in Loop: Header=BB156_51 Depth=1
	s_or_b64 exec, exec, s[0:1]
	v_lshlrev_b32_e32 v3, 16, v3
	v_mul_f32_e32 v30, v41, v3
	v_and_b32_e32 v3, 0x7f800000, v30
	v_cmp_ne_u32_e32 vcc, s17, v3
                                        ; implicit-def: $vgpr3
	s_and_saveexec_b64 s[0:1], vcc
	s_xor_b64 s[0:1], exec, s[0:1]
; %bb.163:                              ;   in Loop: Header=BB156_51 Depth=1
	v_bfe_u32 v3, v30, 16, 1
	v_add3_u32 v3, v30, v3, s18
                                        ; implicit-def: $vgpr30
; %bb.164:                              ;   in Loop: Header=BB156_51 Depth=1
	s_andn2_saveexec_b64 s[0:1], s[0:1]
; %bb.165:                              ;   in Loop: Header=BB156_51 Depth=1
	v_or_b32_e32 v3, 0x10000, v30
	v_cmp_eq_u32_sdwa vcc, v30, v13 src0_sel:WORD_0 src1_sel:DWORD
	s_nop 1
	v_cndmask_b32_e32 v3, v3, v30, vcc
; %bb.166:                              ;   in Loop: Header=BB156_51 Depth=1
	s_or_b64 exec, exec, s[0:1]
	v_lshlrev_b32_e32 v30, 16, v56
	v_mul_f32_e32 v31, v42, v30
	v_and_b32_e32 v30, 0x7f800000, v31
	v_cmp_ne_u32_e32 vcc, s17, v30
                                        ; implicit-def: $vgpr30
	s_and_saveexec_b64 s[0:1], vcc
	s_xor_b64 s[0:1], exec, s[0:1]
; %bb.167:                              ;   in Loop: Header=BB156_51 Depth=1
	v_bfe_u32 v30, v31, 16, 1
	v_add3_u32 v30, v31, v30, s18
                                        ; implicit-def: $vgpr31
; %bb.168:                              ;   in Loop: Header=BB156_51 Depth=1
	s_andn2_saveexec_b64 s[0:1], s[0:1]
; %bb.169:                              ;   in Loop: Header=BB156_51 Depth=1
	v_or_b32_e32 v30, 0x10000, v31
	v_cmp_eq_u32_sdwa vcc, v31, v13 src0_sel:WORD_0 src1_sel:DWORD
	s_nop 1
	v_cndmask_b32_e32 v30, v30, v31, vcc
; %bb.170:                              ;   in Loop: Header=BB156_51 Depth=1
	s_or_b64 exec, exec, s[0:1]
	v_lshlrev_b32_e32 v4, 16, v4
	v_mul_f32_e32 v31, v43, v4
	v_and_b32_e32 v4, 0x7f800000, v31
	v_cmp_ne_u32_e32 vcc, s17, v4
                                        ; implicit-def: $vgpr4
	s_and_saveexec_b64 s[0:1], vcc
	s_xor_b64 s[0:1], exec, s[0:1]
; %bb.171:                              ;   in Loop: Header=BB156_51 Depth=1
	v_bfe_u32 v4, v31, 16, 1
	v_add3_u32 v4, v31, v4, s18
                                        ; implicit-def: $vgpr31
; %bb.172:                              ;   in Loop: Header=BB156_51 Depth=1
	s_andn2_saveexec_b64 s[0:1], s[0:1]
; %bb.173:                              ;   in Loop: Header=BB156_51 Depth=1
	v_or_b32_e32 v4, 0x10000, v31
	v_cmp_eq_u32_sdwa vcc, v31, v13 src0_sel:WORD_0 src1_sel:DWORD
	s_nop 1
	v_cndmask_b32_e32 v4, v4, v31, vcc
; %bb.174:                              ;   in Loop: Header=BB156_51 Depth=1
	s_or_b64 exec, exec, s[0:1]
	v_lshlrev_b32_e32 v31, 16, v55
	v_mul_f32_e32 v32, v44, v31
	v_and_b32_e32 v31, 0x7f800000, v32
	v_cmp_ne_u32_e32 vcc, s17, v31
                                        ; implicit-def: $vgpr31
	s_and_saveexec_b64 s[0:1], vcc
	s_xor_b64 s[0:1], exec, s[0:1]
; %bb.175:                              ;   in Loop: Header=BB156_51 Depth=1
	v_bfe_u32 v31, v32, 16, 1
	v_add3_u32 v31, v32, v31, s18
                                        ; implicit-def: $vgpr32
; %bb.176:                              ;   in Loop: Header=BB156_51 Depth=1
	s_andn2_saveexec_b64 s[0:1], s[0:1]
; %bb.177:                              ;   in Loop: Header=BB156_51 Depth=1
	v_or_b32_e32 v31, 0x10000, v32
	v_cmp_eq_u32_sdwa vcc, v32, v13 src0_sel:WORD_0 src1_sel:DWORD
	s_nop 1
	v_cndmask_b32_e32 v31, v31, v32, vcc
; %bb.178:                              ;   in Loop: Header=BB156_51 Depth=1
	s_or_b64 exec, exec, s[0:1]
	v_lshlrev_b32_e32 v5, 16, v5
	v_mul_f32_e32 v32, v45, v5
	v_and_b32_e32 v5, 0x7f800000, v32
	v_cmp_ne_u32_e32 vcc, s17, v5
                                        ; implicit-def: $vgpr5
	s_and_saveexec_b64 s[0:1], vcc
	s_xor_b64 s[0:1], exec, s[0:1]
; %bb.179:                              ;   in Loop: Header=BB156_51 Depth=1
	v_bfe_u32 v5, v32, 16, 1
	v_add3_u32 v5, v32, v5, s18
                                        ; implicit-def: $vgpr32
; %bb.180:                              ;   in Loop: Header=BB156_51 Depth=1
	s_andn2_saveexec_b64 s[0:1], s[0:1]
; %bb.181:                              ;   in Loop: Header=BB156_51 Depth=1
	v_or_b32_e32 v5, 0x10000, v32
	v_cmp_eq_u32_sdwa vcc, v32, v13 src0_sel:WORD_0 src1_sel:DWORD
	s_nop 1
	v_cndmask_b32_e32 v5, v5, v32, vcc
; %bb.182:                              ;   in Loop: Header=BB156_51 Depth=1
	s_or_b64 exec, exec, s[0:1]
	v_lshlrev_b32_e32 v6, 16, v6
	v_mul_f32_e32 v32, v46, v6
	v_and_b32_e32 v6, 0x7f800000, v32
	v_cmp_ne_u32_e32 vcc, s17, v6
                                        ; implicit-def: $vgpr6
	s_and_saveexec_b64 s[0:1], vcc
	s_xor_b64 s[0:1], exec, s[0:1]
; %bb.183:                              ;   in Loop: Header=BB156_51 Depth=1
	v_bfe_u32 v6, v32, 16, 1
	v_add3_u32 v6, v32, v6, s18
                                        ; implicit-def: $vgpr32
; %bb.184:                              ;   in Loop: Header=BB156_51 Depth=1
	s_andn2_saveexec_b64 s[0:1], s[0:1]
	s_cbranch_execz .LBB156_49
; %bb.185:                              ;   in Loop: Header=BB156_51 Depth=1
	v_or_b32_e32 v6, 0x10000, v32
	v_cmp_eq_u32_sdwa vcc, v32, v13 src0_sel:WORD_0 src1_sel:DWORD
	s_nop 1
	v_cndmask_b32_e32 v6, v6, v32, vcc
	s_branch .LBB156_49
.LBB156_186:
	s_or_b64 exec, exec, s[6:7]
.LBB156_187:
	s_or_b64 exec, exec, s[2:3]
	ds_bpermute_b32 v2, v21, v10
	ds_bpermute_b32 v3, v21, v11
	;; [unrolled: 1-line block ×3, first 2 shown]
	s_waitcnt lgkmcnt(0)
	s_barrier
	v_pk_add_f32 v[4:5], v[10:11], v[2:3]
	v_add_f32_e32 v2, v12, v1
	v_and_b32_e32 v1, 0x3c1, v0
	v_cmp_eq_u32_e32 vcc, 64, v1
	s_and_saveexec_b64 s[0:1], vcc
	s_cbranch_execz .LBB156_189
; %bb.188:
	v_mov_b32_e32 v1, 0xd0
	v_lshl_add_u32 v1, v20, 1, v1
	ds_write2_b32 v1, v4, v5 offset1:32
	ds_write_b32 v1, v2 offset:256
.LBB156_189:
	s_or_b64 exec, exec, s[0:1]
	v_cmp_gt_u32_e32 vcc, 64, v0
	v_cmp_lt_u32_e64 s[0:1], 63, v0
	s_waitcnt lgkmcnt(0)
	s_barrier
	s_and_saveexec_b64 s[2:3], s[0:1]
	s_xor_b64 s[0:1], exec, s[2:3]
	s_andn2_saveexec_b64 s[2:3], s[0:1]
	s_cbranch_execz .LBB156_195
; %bb.190:
	v_cmp_eq_u32_e64 s[0:1], 0, v22
	v_lshrrev_b32_e32 v1, 1, v0
	s_and_saveexec_b64 s[6:7], s[0:1]
	s_cbranch_execnz .LBB156_211
; %bb.191:
	s_or_b64 exec, exec, s[6:7]
	s_and_saveexec_b64 s[6:7], s[0:1]
	s_cbranch_execnz .LBB156_212
.LBB156_192:
	s_or_b64 exec, exec, s[6:7]
	s_and_saveexec_b64 s[6:7], s[0:1]
	s_cbranch_execz .LBB156_194
.LBB156_193:
	v_mov_b32_e32 v3, 0xd0
	v_lshl_add_u32 v1, v1, 2, v3
	ds_read_b32 v1, v1 offset:256
	s_waitcnt lgkmcnt(0)
	v_add_f32_e32 v2, v2, v1
.LBB156_194:
	s_or_b64 exec, exec, s[6:7]
.LBB156_195:
	s_or_b64 exec, exec, s[2:3]
	s_barrier
	s_and_saveexec_b64 s[0:1], vcc
	s_cbranch_execz .LBB156_210
; %bb.196:
	v_cmp_eq_u32_e32 vcc, 0, v22
	s_and_b64 exec, exec, vcc
	s_cbranch_execz .LBB156_210
; %bb.197:
	s_mov_b32 s0, 0x7f800000
	v_and_b32_e32 v1, 0x7f800000, v4
	v_cmp_ne_u32_e32 vcc, s0, v1
                                        ; implicit-def: $vgpr3
	s_and_saveexec_b64 s[0:1], vcc
	s_xor_b64 s[0:1], exec, s[0:1]
; %bb.198:
	v_bfe_u32 v1, v4, 16, 1
	s_movk_i32 s2, 0x7fff
	v_add3_u32 v3, v4, v1, s2
; %bb.199:
	s_andn2_saveexec_b64 s[0:1], s[0:1]
; %bb.200:
	v_mov_b32_e32 v1, 0
	v_or_b32_e32 v3, 0x10000, v4
	v_cmp_eq_u32_sdwa vcc, v4, v1 src0_sel:WORD_0 src1_sel:DWORD
	s_nop 1
	v_cndmask_b32_e32 v3, v3, v4, vcc
; %bb.201:
	s_or_b64 exec, exec, s[0:1]
	s_mul_i32 s0, s12, s24
	s_mul_i32 s0, s0, s25
	s_mulk_i32 s0, 0x60
	s_ashr_i32 s1, s0, 31
	s_lshl_b64 s[0:1], s[0:1], 1
	s_add_u32 s2, s28, s0
	s_mul_i32 s0, s12, s26
	s_addc_u32 s3, s29, s1
	s_ashr_i32 s1, s0, 31
	s_lshl_b64 s[0:1], s[0:1], 1
	s_add_u32 s2, s2, s0
	s_mul_i32 s0, s4, 0x60
	s_addc_u32 s3, s3, s1
	s_ashr_i32 s1, s0, 31
	s_lshl_b64 s[0:1], s[0:1], 1
	s_add_u32 s0, s2, s0
	s_addc_u32 s1, s3, s1
	v_and_b32_e32 v0, 0x3fe, v0
	global_store_short_d16_hi v0, v3, s[0:1]
	s_mov_b32 s2, 0x7f800000
	v_and_b32_e32 v3, 0x7f800000, v5
	v_mov_b32_e32 v1, 0
	v_cmp_ne_u32_e32 vcc, s2, v3
                                        ; implicit-def: $vgpr3
	s_and_saveexec_b64 s[2:3], vcc
	s_xor_b64 s[2:3], exec, s[2:3]
; %bb.202:
	v_bfe_u32 v3, v5, 16, 1
	s_movk_i32 s4, 0x7fff
	v_add3_u32 v3, v5, v3, s4
                                        ; implicit-def: $vgpr4_vgpr5_vgpr6
; %bb.203:
	s_or_saveexec_b64 s[2:3], s[2:3]
	v_lshl_add_u64 v[0:1], s[0:1], 0, v[0:1]
	s_xor_b64 exec, exec, s[2:3]
; %bb.204:
	v_mov_b32_e32 v3, 0
	v_or_b32_e32 v4, 0x10000, v5
	v_cmp_eq_u32_sdwa vcc, v5, v3 src0_sel:WORD_0 src1_sel:DWORD
	s_nop 1
	v_cndmask_b32_e32 v3, v4, v5, vcc
; %bb.205:
	s_or_b64 exec, exec, s[2:3]
	global_store_short_d16_hi v[0:1], v3, off offset:64
	s_mov_b32 s0, 0x7f800000
	v_and_b32_e32 v3, 0x7f800000, v2
	v_cmp_ne_u32_e32 vcc, s0, v3
                                        ; implicit-def: $vgpr3
	s_and_saveexec_b64 s[0:1], vcc
	s_xor_b64 s[0:1], exec, s[0:1]
; %bb.206:
	v_bfe_u32 v3, v2, 16, 1
	s_movk_i32 s2, 0x7fff
	v_add3_u32 v3, v2, v3, s2
                                        ; implicit-def: $vgpr2
; %bb.207:
	s_andn2_saveexec_b64 s[0:1], s[0:1]
; %bb.208:
	v_mov_b32_e32 v3, 0
	v_or_b32_e32 v4, 0x10000, v2
	v_cmp_eq_u32_sdwa vcc, v2, v3 src0_sel:WORD_0 src1_sel:DWORD
	s_nop 1
	v_cndmask_b32_e32 v3, v4, v2, vcc
; %bb.209:
	s_or_b64 exec, exec, s[0:1]
	global_store_short_d16_hi v[0:1], v3, off offset:128
.LBB156_210:
	s_endpgm
.LBB156_211:
	v_mov_b32_e32 v3, 0xd0
	v_lshl_add_u32 v3, v1, 2, v3
	ds_read_b32 v3, v3
	s_waitcnt lgkmcnt(0)
	v_add_f32_e32 v4, v4, v3
	s_or_b64 exec, exec, s[6:7]
	s_and_saveexec_b64 s[6:7], s[0:1]
	s_cbranch_execz .LBB156_192
.LBB156_212:
	v_mov_b32_e32 v3, 0xd0
	v_lshl_add_u32 v3, v1, 2, v3
	ds_read_b32 v3, v3 offset:128
	s_waitcnt lgkmcnt(0)
	v_add_f32_e32 v5, v5, v3
	s_or_b64 exec, exec, s[6:7]
	s_and_saveexec_b64 s[6:7], s[0:1]
	s_cbranch_execnz .LBB156_193
	s_branch .LBB156_194
	.section	.rodata,"a",@progbits
	.p2align	6, 0x0
	.amdhsa_kernel _ZN4vllm25paged_attention_v2_kernelI14__hip_bfloat16S1_Li96ELi16ELi128ELNS_18Fp8KVCacheDataTypeE0ELb1ELi512EEEvPfS3_PT_PKS4_PKT0_SA_ifPKiSC_iPKfiiiSE_SE_iiiii
		.amdhsa_group_segment_fixed_size 208
		.amdhsa_private_segment_fixed_size 0
		.amdhsa_kernarg_size 400
		.amdhsa_user_sgpr_count 2
		.amdhsa_user_sgpr_dispatch_ptr 0
		.amdhsa_user_sgpr_queue_ptr 0
		.amdhsa_user_sgpr_kernarg_segment_ptr 1
		.amdhsa_user_sgpr_dispatch_id 0
		.amdhsa_user_sgpr_kernarg_preload_length 0
		.amdhsa_user_sgpr_kernarg_preload_offset 0
		.amdhsa_user_sgpr_private_segment_size 0
		.amdhsa_uses_dynamic_stack 0
		.amdhsa_enable_private_segment 0
		.amdhsa_system_sgpr_workgroup_id_x 1
		.amdhsa_system_sgpr_workgroup_id_y 1
		.amdhsa_system_sgpr_workgroup_id_z 1
		.amdhsa_system_sgpr_workgroup_info 0
		.amdhsa_system_vgpr_workitem_id 0
		.amdhsa_next_free_vgpr 71
		.amdhsa_next_free_sgpr 52
		.amdhsa_accum_offset 72
		.amdhsa_reserve_vcc 1
		.amdhsa_float_round_mode_32 0
		.amdhsa_float_round_mode_16_64 0
		.amdhsa_float_denorm_mode_32 3
		.amdhsa_float_denorm_mode_16_64 3
		.amdhsa_dx10_clamp 1
		.amdhsa_ieee_mode 1
		.amdhsa_fp16_overflow 0
		.amdhsa_tg_split 0
		.amdhsa_exception_fp_ieee_invalid_op 0
		.amdhsa_exception_fp_denorm_src 0
		.amdhsa_exception_fp_ieee_div_zero 0
		.amdhsa_exception_fp_ieee_overflow 0
		.amdhsa_exception_fp_ieee_underflow 0
		.amdhsa_exception_fp_ieee_inexact 0
		.amdhsa_exception_int_div_zero 0
	.end_amdhsa_kernel
	.section	.text._ZN4vllm25paged_attention_v2_kernelI14__hip_bfloat16S1_Li96ELi16ELi128ELNS_18Fp8KVCacheDataTypeE0ELb1ELi512EEEvPfS3_PT_PKS4_PKT0_SA_ifPKiSC_iPKfiiiSE_SE_iiiii,"axG",@progbits,_ZN4vllm25paged_attention_v2_kernelI14__hip_bfloat16S1_Li96ELi16ELi128ELNS_18Fp8KVCacheDataTypeE0ELb1ELi512EEEvPfS3_PT_PKS4_PKT0_SA_ifPKiSC_iPKfiiiSE_SE_iiiii,comdat
.Lfunc_end156:
	.size	_ZN4vllm25paged_attention_v2_kernelI14__hip_bfloat16S1_Li96ELi16ELi128ELNS_18Fp8KVCacheDataTypeE0ELb1ELi512EEEvPfS3_PT_PKS4_PKT0_SA_ifPKiSC_iPKfiiiSE_SE_iiiii, .Lfunc_end156-_ZN4vllm25paged_attention_v2_kernelI14__hip_bfloat16S1_Li96ELi16ELi128ELNS_18Fp8KVCacheDataTypeE0ELb1ELi512EEEvPfS3_PT_PKS4_PKT0_SA_ifPKiSC_iPKfiiiSE_SE_iiiii
                                        ; -- End function
	.section	.AMDGPU.csdata,"",@progbits
; Kernel info:
; codeLenInByte = 8248
; NumSgprs: 58
; NumVgprs: 71
; NumAgprs: 0
; TotalNumVgprs: 71
; ScratchSize: 0
; MemoryBound: 0
; FloatMode: 240
; IeeeMode: 1
; LDSByteSize: 208 bytes/workgroup (compile time only)
; SGPRBlocks: 7
; VGPRBlocks: 8
; NumSGPRsForWavesPerEU: 58
; NumVGPRsForWavesPerEU: 71
; AccumOffset: 72
; Occupancy: 7
; WaveLimiterHint : 1
; COMPUTE_PGM_RSRC2:SCRATCH_EN: 0
; COMPUTE_PGM_RSRC2:USER_SGPR: 2
; COMPUTE_PGM_RSRC2:TRAP_HANDLER: 0
; COMPUTE_PGM_RSRC2:TGID_X_EN: 1
; COMPUTE_PGM_RSRC2:TGID_Y_EN: 1
; COMPUTE_PGM_RSRC2:TGID_Z_EN: 1
; COMPUTE_PGM_RSRC2:TIDIG_COMP_CNT: 0
; COMPUTE_PGM_RSRC3_GFX90A:ACCUM_OFFSET: 17
; COMPUTE_PGM_RSRC3_GFX90A:TG_SPLIT: 0
	.section	.text._ZN4vllm25paged_attention_v2_kernelI14__hip_bfloat16S1_Li112ELi16ELi128ELNS_18Fp8KVCacheDataTypeE0ELb1ELi512EEEvPfS3_PT_PKS4_PKT0_SA_ifPKiSC_iPKfiiiSE_SE_iiiii,"axG",@progbits,_ZN4vllm25paged_attention_v2_kernelI14__hip_bfloat16S1_Li112ELi16ELi128ELNS_18Fp8KVCacheDataTypeE0ELb1ELi512EEEvPfS3_PT_PKS4_PKT0_SA_ifPKiSC_iPKfiiiSE_SE_iiiii,comdat
	.protected	_ZN4vllm25paged_attention_v2_kernelI14__hip_bfloat16S1_Li112ELi16ELi128ELNS_18Fp8KVCacheDataTypeE0ELb1ELi512EEEvPfS3_PT_PKS4_PKT0_SA_ifPKiSC_iPKfiiiSE_SE_iiiii ; -- Begin function _ZN4vllm25paged_attention_v2_kernelI14__hip_bfloat16S1_Li112ELi16ELi128ELNS_18Fp8KVCacheDataTypeE0ELb1ELi512EEEvPfS3_PT_PKS4_PKT0_SA_ifPKiSC_iPKfiiiSE_SE_iiiii
	.globl	_ZN4vllm25paged_attention_v2_kernelI14__hip_bfloat16S1_Li112ELi16ELi128ELNS_18Fp8KVCacheDataTypeE0ELb1ELi512EEEvPfS3_PT_PKS4_PKT0_SA_ifPKiSC_iPKfiiiSE_SE_iiiii
	.p2align	8
	.type	_ZN4vllm25paged_attention_v2_kernelI14__hip_bfloat16S1_Li112ELi16ELi128ELNS_18Fp8KVCacheDataTypeE0ELb1ELi512EEEvPfS3_PT_PKS4_PKT0_SA_ifPKiSC_iPKfiiiSE_SE_iiiii,@function
_ZN4vllm25paged_attention_v2_kernelI14__hip_bfloat16S1_Li112ELi16ELi128ELNS_18Fp8KVCacheDataTypeE0ELb1ELi512EEEvPfS3_PT_PKS4_PKT0_SA_ifPKiSC_iPKfiiiSE_SE_iiiii: ; @_ZN4vllm25paged_attention_v2_kernelI14__hip_bfloat16S1_Li112ELi16ELi128ELNS_18Fp8KVCacheDataTypeE0ELb1ELi512EEEvPfS3_PT_PKS4_PKT0_SA_ifPKiSC_iPKfiiiSE_SE_iiiii
; %bb.0:
	s_load_dwordx2 s[6:7], s[0:1], 0x40
	s_mov_b32 s28, s3
	s_ashr_i32 s29, s3, 31
	s_lshl_b64 s[8:9], s[28:29], 2
	s_waitcnt lgkmcnt(0)
	s_add_u32 s6, s6, s8
	s_addc_u32 s7, s7, s9
	s_load_dword s29, s[6:7], 0x0
	s_lshl_b32 s49, s4, 9
	s_waitcnt lgkmcnt(0)
	s_cmp_ge_i32 s49, s29
	s_cbranch_scc1 .LBB157_257
; %bb.1:
	s_load_dword s5, s[0:1], 0x90
	s_load_dwordx2 s[38:39], s[0:1], 0x30
	s_mov_b32 s50, 0
	s_waitcnt lgkmcnt(0)
	s_abs_i32 s7, s5
	s_abs_i32 s3, s38
	v_cvt_f32_u32_e32 v1, s3
	s_sub_i32 s8, 0, s3
	s_xor_b32 s6, s5, s38
	s_ashr_i32 s6, s6, 31
	v_rcp_iflag_f32_e32 v1, v1
	s_nop 0
	v_mul_f32_e32 v1, 0x4f7ffffe, v1
	v_cvt_u32_f32_e32 v1, v1
	s_nop 0
	v_readfirstlane_b32 s9, v1
	s_mul_i32 s8, s8, s9
	s_mul_hi_u32 s8, s9, s8
	s_add_i32 s9, s9, s8
	s_mul_hi_u32 s8, s7, s9
	s_mul_i32 s9, s8, s3
	s_sub_i32 s7, s7, s9
	s_add_i32 s10, s8, 1
	s_sub_i32 s9, s7, s3
	s_cmp_ge_u32 s7, s3
	s_cselect_b32 s8, s10, s8
	s_cselect_b32 s7, s9, s7
	s_add_i32 s9, s8, 1
	s_cmp_ge_u32 s7, s3
	s_cselect_b32 s3, s9, s8
	s_xor_b32 s3, s3, s6
	s_sub_i32 s11, s3, s6
	s_abs_i32 s8, s11
	v_cvt_f32_u32_e32 v1, s8
	s_load_dwordx2 s[6:7], s[0:1], 0x50
	s_sub_i32 s3, 0, s8
	s_abs_i32 s9, s2
	v_rcp_iflag_f32_e32 v1, v1
	s_nop 0
	v_mul_f32_e32 v1, 0x4f7ffffe, v1
	v_cvt_u32_f32_e32 v1, v1
	s_nop 0
	v_readfirstlane_b32 s10, v1
	s_mul_i32 s3, s3, s10
	s_mul_hi_u32 s3, s10, s3
	s_add_i32 s10, s10, s3
	s_waitcnt lgkmcnt(0)
	s_cmp_eq_u64 s[6:7], 0
	s_mul_hi_u32 s10, s9, s10
	s_cbranch_scc1 .LBB157_3
; %bb.2:
	s_ashr_i32 s3, s2, 31
	s_lshl_b64 s[12:13], s[2:3], 2
	s_add_u32 s6, s6, s12
	s_addc_u32 s7, s7, s13
	s_load_dword s50, s[6:7], 0x0
.LBB157_3:
	s_load_dwordx4 s[12:15], s[0:1], 0x58
	s_ashr_i32 s3, s2, 31
	s_ashr_i32 s11, s11, 31
	v_and_b32_e32 v4, 3, v0
	s_mul_i32 s24, s2, 0x70
	v_cmp_gt_u32_e32 vcc, 56, v0
	s_and_saveexec_b64 s[6:7], vcc
	s_cbranch_execz .LBB157_5
; %bb.4:
	s_load_dwordx2 s[16:17], s[0:1], 0x18
	s_waitcnt lgkmcnt(0)
	s_mul_i32 s18, s28, s12
	s_ashr_i32 s19, s18, 31
	s_lshl_b64 s[18:19], s[18:19], 1
	v_lshlrev_b32_e32 v1, 2, v0
	s_add_u32 s12, s16, s18
	s_addc_u32 s15, s17, s19
	s_ashr_i32 s25, s24, 31
	s_lshl_b64 s[16:17], s[24:25], 1
	s_add_u32 s16, s12, s16
	s_addc_u32 s17, s15, s17
	global_load_dword v1, v1, s[16:17]
	v_and_b32_e32 v2, 0x3fc, v0
	v_mad_u32_u24 v2, v4, 56, v2
	s_waitcnt vmcnt(0)
	ds_write_b32 v2, v1
.LBB157_5:
	s_or_b64 exec, exec, s[6:7]
	s_mul_i32 s6, s10, s8
	s_sub_i32 s6, s9, s6
	s_xor_b32 s3, s3, s11
	s_add_i32 s7, s10, 1
	s_sub_i32 s9, s6, s8
	s_load_dwordx4 s[16:19], s[0:1], 0x78
	s_cmp_ge_u32 s6, s8
	s_cselect_b32 s7, s7, s10
	s_cselect_b32 s6, s9, s6
	s_add_i32 s9, s7, 1
	s_cmp_ge_u32 s6, s8
	s_cselect_b32 s6, s9, s7
	s_load_dword s9, s[0:1], 0x88
	s_waitcnt lgkmcnt(0)
	s_abs_i32 s25, s19
	v_cvt_f32_u32_e32 v1, s25
	s_xor_b32 s6, s6, s3
	s_sub_i32 s10, s6, s3
	s_sub_i32 s6, 0, s25
	v_rcp_iflag_f32_e32 v1, v1
	s_add_i32 s11, s29, -1
	s_abs_i32 s3, s11
	v_mul_f32_e32 v1, 0x4f7ffffe, v1
	v_cvt_u32_f32_e32 v1, v1
	s_barrier
	v_readfirstlane_b32 s33, v1
	s_mul_i32 s6, s6, s33
	s_mul_hi_u32 s6, s33, s6
	s_add_i32 s33, s33, s6
	s_cmp_lt_i32 s9, 0
	s_mul_hi_u32 s8, s3, s33
	s_cbranch_scc0 .LBB157_7
; %bb.6:
	s_mul_i32 s6, s16, s38
	s_add_i32 s6, s10, s6
	s_mul_i32 s6, s6, s9
	s_sub_i32 s46, 1, s6
	s_mov_b64 s[6:7], 0
	s_branch .LBB157_8
.LBB157_7:
	s_mov_b64 s[6:7], -1
                                        ; implicit-def: $sgpr46
.LBB157_8:
	s_load_dwordx2 s[30:31], s[0:1], 0x38
	s_ashr_i32 s11, s11, 31
	s_andn2_b64 vcc, exec, s[6:7]
	s_ashr_i32 s47, s19, 31
	s_cbranch_vccnz .LBB157_10
; %bb.9:
	s_mul_i32 s6, s5, s16
	s_add_i32 s6, s6, s2
	s_mul_i32 s6, s6, s9
	s_add_i32 s46, s6, 1
.LBB157_10:
	s_load_dword s6, s[0:1], 0x48
	s_load_dwordx2 s[36:37], s[0:1], 0x28
	s_load_dword s19, s[0:1], 0x98
	s_load_dwordx4 s[20:23], s[0:1], 0x0
	s_load_dwordx2 s[26:27], s[0:1], 0x10
	s_mul_i32 s7, s8, s25
	s_waitcnt lgkmcnt(0)
	s_mul_i32 s34, s28, s6
	s_sub_i32 s3, s3, s7
	s_ashr_i32 s35, s34, 31
	s_xor_b32 s6, s11, s47
	s_add_i32 s7, s8, 1
	s_sub_i32 s9, s3, s25
	s_cmp_ge_u32 s3, s25
	s_cselect_b32 s7, s7, s8
	s_cselect_b32 s3, s9, s3
	s_add_i32 s8, s7, 1
	s_cmp_ge_u32 s3, s25
	s_cselect_b32 s3, s8, s7
	s_xor_b32 s3, s3, s6
	s_sub_i32 s12, s3, s6
	s_add_i32 s3, s29, 15
	s_ashr_i32 s6, s3, 31
	s_lshr_b32 s6, s6, 28
	s_add_i32 s3, s3, s6
	s_lshl_b32 s16, s4, 5
	s_ashr_i32 s3, s3, 4
	s_add_i32 s6, s16, 32
	v_lshrrev_b32_e32 v6, 6, v0
	s_min_i32 s48, s6, s3
	v_or_b32_e32 v10, s16, v6
	v_cmp_gt_i32_e64 s[8:9], s48, v10
	v_mov_b32_e32 v12, 0xff7fffff
	s_mul_i32 s14, s10, s14
	v_ashrrev_i32_e32 v11, 31, v10
	v_lshl_add_u32 v1, v6, 4, s49
	v_mbcnt_lo_u32_b32 v7, -1, 0
	s_and_saveexec_b64 s[40:41], s[8:9]
	s_cbranch_execz .LBB157_20
; %bb.11:
	s_load_dwordx2 s[0:1], s[0:1], 0x20
	s_ashr_i32 s15, s14, 31
	s_sub_i32 s38, s12, s17
	s_lshl_b64 s[6:7], s[14:15], 1
	v_bfe_u32 v8, v0, 2, 4
	s_waitcnt lgkmcnt(0)
	s_add_u32 s0, s0, s6
	s_addc_u32 s1, s1, s7
	s_abs_i32 s15, s18
	v_cvt_f32_u32_e32 v5, s15
	v_lshlrev_b32_e32 v2, 4, v8
	v_mov_b32_e32 v3, 0
	v_lshl_add_u64 v[12:13], s[0:1], 0, v[2:3]
	v_rcp_iflag_f32_e32 v5, v5
	v_lshlrev_b32_e32 v2, 2, v0
	v_and_b32_e32 v2, 12, v2
	v_lshl_add_u64 v[2:3], v[12:13], 0, v[2:3]
	v_mul_f32_e32 v5, 0x4f7ffffe, v5
	v_cvt_u32_f32_e32 v5, v5
	s_sub_i32 s0, 0, s15
	v_lshlrev_b32_e32 v12, 2, v8
	v_cmp_eq_u32_e32 vcc, 0, v4
	v_mul_u32_u24_e32 v9, 56, v4
	v_mul_lo_u32 v4, s0, v5
	s_lshl_b64 s[0:1], s[34:35], 2
	v_lshl_or_b32 v12, v6, 6, v12
	s_add_u32 s0, s30, s0
	v_add_u32_e32 v15, 0xf0, v12
	v_subrev_u32_e32 v12, s29, v8
	v_mbcnt_hi_u32_b32 v17, -1, v7
	v_mul_hi_u32 v4, v5, v4
	s_addc_u32 s1, s31, s1
	v_add_u32_e32 v16, 1, v12
	v_and_b32_e32 v12, 64, v17
	s_mov_b32 s51, s13
	v_cmp_neq_f32_e64 s[6:7], s50, 0
	v_add_u32_e32 v13, v5, v4
	v_lshl_add_u64 v[4:5], v[10:11], 2, s[0:1]
	v_lshl_add_u32 v14, v6, 4, s49
	s_mov_b64 s[42:43], 0
	v_add_u32_e32 v18, 64, v12
	v_xor_b32_e32 v19, 2, v17
	v_xor_b32_e32 v20, 1, v17
	v_mov_b32_e32 v12, 0xff7fffff
	v_mov_b32_e32 v21, v10
	s_branch .LBB157_14
.LBB157_12:                             ;   in Loop: Header=BB157_14 Depth=1
	s_or_b64 exec, exec, s[44:45]
.LBB157_13:                             ;   in Loop: Header=BB157_14 Depth=1
	s_or_b64 exec, exec, s[10:11]
	v_add_u32_e32 v21, 2, v21
	v_cmp_le_i32_e64 s[0:1], s48, v21
	v_lshl_add_u64 v[4:5], v[4:5], 0, 8
	v_add_u32_e32 v14, 32, v14
	s_or_b64 s[42:43], s[0:1], s[42:43]
	v_add_u32_e32 v15, 0x80, v15
	s_andn2_b64 exec, exec, s[42:43]
	s_cbranch_execz .LBB157_19
.LBB157_14:                             ; =>This Inner Loop Header: Depth=1
	s_waitcnt lgkmcnt(0)
	v_sub_u32_e32 v23, 0, v14
	v_max_i32_e32 v23, v14, v23
	v_mul_hi_u32 v24, v23, s33
	v_mul_lo_u32 v25, v24, s25
	v_sub_u32_e32 v23, v23, v25
	v_add_u32_e32 v25, 1, v24
	v_cmp_le_u32_e64 s[0:1], s25, v23
	v_ashrrev_i32_e32 v22, 31, v14
	v_xor_b32_e32 v22, s47, v22
	v_cndmask_b32_e64 v24, v24, v25, s[0:1]
	v_subrev_u32_e32 v25, s25, v23
	v_cndmask_b32_e64 v23, v23, v25, s[0:1]
	v_add_u32_e32 v25, 1, v24
	v_cmp_le_u32_e64 s[0:1], s25, v23
	s_nop 1
	v_cndmask_b32_e64 v23, v24, v25, s[0:1]
	v_xor_b32_e32 v23, v23, v22
	v_sub_u32_e32 v22, v23, v22
	v_add_u32_e32 v23, s46, v22
	v_sub_u32_e32 v25, 0, v23
	v_ashrrev_i32_e32 v24, 31, v23
	v_max_i32_e32 v23, v23, v25
	v_mul_hi_u32 v25, v23, v13
	v_mul_lo_u32 v25, v25, s15
	v_sub_u32_e32 v23, v23, v25
	v_subrev_u32_e32 v25, s15, v23
	v_cmp_le_u32_e64 s[0:1], s15, v23
	v_cmp_ge_i32_e64 s[10:11], s38, v22
	s_nop 0
	v_cndmask_b32_e64 v23, v23, v25, s[0:1]
	v_subrev_u32_e32 v25, s15, v23
	v_cmp_le_u32_e64 s[0:1], s15, v23
	s_nop 1
	v_cndmask_b32_e64 v23, v23, v25, s[0:1]
	v_xor_b32_e32 v23, v23, v24
	v_sub_u32_e32 v23, v23, v24
	v_cmp_ne_u32_e64 s[0:1], 0, v23
	s_and_b64 s[0:1], s[0:1], s[10:11]
	s_and_b64 s[44:45], vcc, s[0:1]
	s_and_saveexec_b64 s[10:11], s[44:45]
	s_cbranch_execz .LBB157_16
; %bb.15:                               ;   in Loop: Header=BB157_14 Depth=1
	v_mov_b32_e32 v22, 0xff7fffff
	ds_write_b32 v15, v22
.LBB157_16:                             ;   in Loop: Header=BB157_14 Depth=1
	s_or_b64 exec, exec, s[10:11]
	s_xor_b64 s[0:1], s[0:1], -1
	s_and_saveexec_b64 s[10:11], s[0:1]
	s_cbranch_execz .LBB157_13
; %bb.17:                               ;   in Loop: Header=BB157_14 Depth=1
	global_load_dword v22, v[4:5], off
	s_waitcnt vmcnt(0)
	v_mad_i64_i32 v[22:23], s[0:1], v22, s51, 0
	v_lshl_add_u64 v[22:23], v[22:23], 1, v[2:3]
	global_load_dword v36, v[22:23], off
	global_load_dword v37, v[22:23], off offset:256
	global_load_dword v38, v[22:23], off offset:512
	global_load_dword v39, v[22:23], off offset:768
	global_load_dword v40, v[22:23], off offset:1024
	global_load_dword v41, v[22:23], off offset:1280
	global_load_dword v42, v[22:23], off offset:1536
	global_load_dword v43, v[22:23], off offset:1792
	global_load_dword v44, v[22:23], off offset:2048
	global_load_dword v45, v[22:23], off offset:2304
	global_load_dword v46, v[22:23], off offset:2560
	global_load_dword v47, v[22:23], off offset:2816
	global_load_dword v48, v[22:23], off offset:3072
	global_load_dword v49, v[22:23], off offset:3328
	ds_read2_b64 v[22:25], v9 offset1:1
	ds_read2_b64 v[26:29], v9 offset0:2 offset1:3
	ds_read2_b64 v[30:33], v9 offset0:4 offset1:5
	ds_read_b64 v[34:35], v9 offset:48
	v_cmp_lt_i32_e64 s[0:1], v19, v18
	s_waitcnt lgkmcnt(3)
	v_lshlrev_b32_e32 v52, 16, v23
	v_and_b32_e32 v23, 0xffff0000, v23
	v_lshlrev_b32_e32 v51, 16, v22
	v_and_b32_e32 v22, 0xffff0000, v22
	v_lshlrev_b32_e32 v53, 16, v24
	v_and_b32_e32 v24, 0xffff0000, v24
	v_lshlrev_b32_e32 v54, 16, v25
	v_and_b32_e32 v25, 0xffff0000, v25
	s_waitcnt lgkmcnt(2)
	v_lshlrev_b32_e32 v55, 16, v26
	v_and_b32_e32 v26, 0xffff0000, v26
	v_lshlrev_b32_e32 v56, 16, v27
	v_and_b32_e32 v27, 0xffff0000, v27
	v_lshlrev_b32_e32 v57, 16, v28
	v_and_b32_e32 v28, 0xffff0000, v28
	v_lshlrev_b32_e32 v58, 16, v29
	v_and_b32_e32 v29, 0xffff0000, v29
	;; [unrolled: 9-line block ×3, first 2 shown]
	s_waitcnt lgkmcnt(0)
	v_lshlrev_b32_e32 v63, 16, v34
	v_and_b32_e32 v34, 0xffff0000, v34
	v_lshlrev_b32_e32 v64, 16, v35
	v_and_b32_e32 v35, 0xffff0000, v35
	v_cndmask_b32_e64 v50, v17, v19, s[0:1]
	v_lshlrev_b32_e32 v50, 2, v50
	v_cmp_lt_i32_e64 s[0:1], v20, v18
	s_waitcnt vmcnt(13)
	v_lshlrev_b32_e32 v65, 16, v36
	s_waitcnt vmcnt(12)
	v_lshlrev_b32_e32 v66, 16, v37
	v_and_b32_e32 v37, 0xffff0000, v37
	v_and_b32_e32 v36, 0xffff0000, v36
	v_mul_f32_e32 v52, v52, v66
	v_mul_f32_e32 v23, v23, v37
	s_waitcnt vmcnt(11)
	v_lshlrev_b32_e32 v67, 16, v38
	v_and_b32_e32 v38, 0xffff0000, v38
	v_fmac_f32_e32 v52, v51, v65
	v_fmac_f32_e32 v23, v22, v36
	s_waitcnt vmcnt(10)
	v_lshlrev_b32_e32 v68, 16, v39
	v_and_b32_e32 v39, 0xffff0000, v39
	v_fmac_f32_e32 v52, v53, v67
	v_fmac_f32_e32 v23, v24, v38
	;; [unrolled: 5-line block ×12, first 2 shown]
	v_fmac_f32_e32 v52, v64, v78
	v_fmac_f32_e32 v23, v35, v49
	v_add_f32_e32 v22, v52, v23
	ds_bpermute_b32 v23, v50, v22
	v_cndmask_b32_e64 v24, v17, v20, s[0:1]
	v_lshlrev_b32_e32 v24, 2, v24
	s_waitcnt lgkmcnt(0)
	v_add_f32_e32 v22, v22, v23
	ds_bpermute_b32 v23, v24, v22
	s_and_saveexec_b64 s[44:45], vcc
	s_cbranch_execz .LBB157_12
; %bb.18:                               ;   in Loop: Header=BB157_14 Depth=1
	v_add_u32_e32 v24, v16, v14
	v_cvt_f32_i32_e32 v24, v24
	s_waitcnt lgkmcnt(0)
	v_add_f32_e32 v22, v22, v23
	v_add_u32_e32 v25, v8, v14
	v_cmp_gt_i32_e64 s[0:1], s29, v25
	v_mul_f32_e32 v23, s50, v24
	v_cndmask_b32_e64 v23, 0, v23, s[6:7]
	v_fmac_f32_e32 v23, s39, v22
	v_cndmask_b32_e64 v22, 0, v23, s[0:1]
	ds_write_b32 v15, v22
	v_max_f32_e32 v22, v12, v12
	v_max_f32_e32 v22, v22, v23
	v_cndmask_b32_e64 v12, v12, v22, s[0:1]
	s_branch .LBB157_12
.LBB157_19:
	s_or_b64 exec, exec, s[42:43]
.LBB157_20:
	s_or_b64 exec, exec, s[40:41]
	v_mbcnt_hi_u32_b32 v2, -1, v7
	v_and_b32_e32 v3, 64, v2
	v_add_u32_e32 v3, 64, v3
	v_xor_b32_e32 v4, 32, v2
	v_cmp_lt_i32_e32 vcc, v4, v3
	v_xor_b32_e32 v8, 16, v2
	v_max_f32_e32 v5, v12, v12
	v_cndmask_b32_e32 v4, v2, v4, vcc
	v_lshlrev_b32_e32 v7, 2, v4
	ds_bpermute_b32 v4, v7, v12
	v_cmp_lt_i32_e32 vcc, v8, v3
	v_xor_b32_e32 v9, 8, v2
	s_waitcnt lgkmcnt(0)
	v_max_f32_e32 v4, v4, v4
	v_max_f32_e32 v4, v5, v4
	v_cndmask_b32_e32 v5, v2, v8, vcc
	v_lshlrev_b32_e32 v8, 2, v5
	ds_bpermute_b32 v5, v8, v4
	v_cmp_lt_i32_e32 vcc, v9, v3
	s_waitcnt lgkmcnt(0)
	v_max_f32_e32 v5, v5, v5
	v_max_f32_e32 v4, v4, v5
	v_cndmask_b32_e32 v5, v2, v9, vcc
	v_lshlrev_b32_e32 v13, 2, v5
	ds_bpermute_b32 v5, v13, v4
	v_xor_b32_e32 v9, 4, v2
	v_cmp_lt_i32_e32 vcc, v9, v3
	s_waitcnt lgkmcnt(0)
	v_max_f32_e32 v5, v5, v5
	v_max_f32_e32 v5, v4, v5
	v_cndmask_b32_e32 v4, v2, v9, vcc
	v_lshlrev_b32_e32 v14, 2, v4
	ds_bpermute_b32 v12, v14, v5
	v_and_b32_e32 v4, 63, v0
	v_cmp_eq_u32_e32 vcc, 0, v4
	v_lshlrev_b32_e32 v9, 2, v6
	s_and_saveexec_b64 s[0:1], vcc
	s_cbranch_execz .LBB157_22
; %bb.21:
	s_waitcnt lgkmcnt(0)
	v_max_f32_e32 v12, v12, v12
	v_max_f32_e32 v5, v5, v5
	;; [unrolled: 1-line block ×3, first 2 shown]
	ds_write_b32 v9, v5 offset:224
.LBB157_22:
	s_or_b64 exec, exec, s[0:1]
	v_cmp_gt_u32_e64 s[0:1], 2, v4
	v_mov_b32_e32 v5, 0xff7fffff
	s_waitcnt lgkmcnt(0)
	v_lshlrev_b32_e32 v12, 2, v4
	s_barrier
	s_and_saveexec_b64 s[6:7], s[0:1]
	s_cbranch_execz .LBB157_24
; %bb.23:
	ds_read_b32 v5, v12 offset:224
.LBB157_24:
	s_or_b64 exec, exec, s[6:7]
	v_xor_b32_e32 v15, 1, v2
	v_cmp_lt_i32_e64 s[6:7], v15, v3
	v_mov_b32_e32 v16, 0
	s_nop 0
	v_cndmask_b32_e64 v15, v2, v15, s[6:7]
	v_lshlrev_b32_e32 v22, 2, v15
	s_waitcnt lgkmcnt(0)
	ds_bpermute_b32 v15, v22, v5
	v_max_f32_e32 v5, v5, v5
	s_sub_i32 s6, s48, s16
	s_lshl_b32 s6, s6, 4
	s_add_i32 s6, s6, s49
	s_waitcnt lgkmcnt(0)
	v_max_f32_e32 v15, v15, v15
	v_max_f32_e32 v5, v5, v15
	v_lshlrev_b32_e32 v15, 2, v2
	v_and_b32_e32 v15, 0x100, v15
	ds_bpermute_b32 v5, v15, v5
	s_min_i32 s16, s6, s29
	s_sub_i32 s15, s16, s49
	v_cmp_gt_i32_e64 s[6:7], s15, v0
	s_and_saveexec_b64 s[38:39], s[6:7]
	s_cbranch_execz .LBB157_28
; %bb.25:
	v_mov_b32_e32 v16, 0xf0
	v_lshl_add_u32 v17, v0, 2, v16
	s_mov_b64 s[40:41], 0
	v_mov_b32_e32 v16, 0
	v_mov_b32_e32 v18, v0
.LBB157_26:                             ; =>This Inner Loop Header: Depth=1
	ds_read_b32 v19, v17
	v_add_u32_e32 v18, 0x80, v18
	v_cmp_le_i32_e64 s[10:11], s15, v18
	s_or_b64 s[40:41], s[10:11], s[40:41]
	s_waitcnt lgkmcnt(0)
	v_sub_f32_e32 v19, v19, v5
	v_mul_f32_e32 v19, 0x3fb8aa3b, v19
	v_exp_f32_e32 v19, v19
	ds_write_b32 v17, v19
	v_add_f32_e32 v16, v16, v19
	v_add_u32_e32 v17, 0x200, v17
	s_andn2_b64 exec, exec, s[40:41]
	s_cbranch_execnz .LBB157_26
; %bb.27:
	s_or_b64 exec, exec, s[40:41]
.LBB157_28:
	s_or_b64 exec, exec, s[38:39]
	ds_bpermute_b32 v7, v7, v16
	s_waitcnt lgkmcnt(0)
	v_add_f32_e32 v7, v16, v7
	ds_bpermute_b32 v8, v8, v7
	s_waitcnt lgkmcnt(0)
	v_add_f32_e32 v7, v7, v8
	ds_bpermute_b32 v8, v13, v7
	v_xor_b32_e32 v13, 2, v2
	v_cmp_lt_i32_e64 s[10:11], v13, v3
	s_waitcnt lgkmcnt(0)
	v_add_f32_e32 v7, v7, v8
	ds_bpermute_b32 v8, v14, v7
	v_cndmask_b32_e64 v2, v2, v13, s[10:11]
	v_lshlrev_b32_e32 v2, 2, v2
	s_waitcnt lgkmcnt(0)
	v_add_f32_e32 v3, v7, v8
	ds_bpermute_b32 v2, v2, v3
	s_waitcnt lgkmcnt(0)
	v_add_f32_e32 v2, v3, v2
	ds_bpermute_b32 v3, v22, v2
	s_waitcnt lgkmcnt(0)
	v_add_f32_e32 v2, v2, v3
	s_and_saveexec_b64 s[10:11], vcc
	s_cbranch_execz .LBB157_30
; %bb.29:
	ds_write_b32 v9, v2 offset:232
.LBB157_30:
	s_or_b64 exec, exec, s[10:11]
	s_waitcnt lgkmcnt(0)
	s_barrier
	s_and_saveexec_b64 s[10:11], s[0:1]
	s_cbranch_execz .LBB157_32
; %bb.31:
	ds_read_b32 v2, v12 offset:232
.LBB157_32:
	s_or_b64 exec, exec, s[10:11]
	s_waitcnt lgkmcnt(0)
	ds_bpermute_b32 v3, v22, v2
	s_waitcnt lgkmcnt(0)
	v_add_f32_e32 v2, v2, v3
	ds_bpermute_b32 v7, v15, v2
	s_and_saveexec_b64 s[0:1], s[6:7]
	s_cbranch_execz .LBB157_45
; %bb.33:
	s_waitcnt lgkmcnt(0)
	v_add_f32_e32 v2, 0x358637bd, v7
	v_div_scale_f32 v3, s[6:7], v2, v2, 1.0
	v_rcp_f32_e32 v8, v3
	v_div_scale_f32 v9, vcc, 1.0, v2, 1.0
	s_movk_i32 s6, 0x7f
	v_fma_f32 v12, -v3, v8, 1.0
	v_fmac_f32_e32 v8, v12, v8
	v_mul_f32_e32 v12, v9, v8
	v_fma_f32 v13, -v3, v12, v9
	v_fmac_f32_e32 v12, v13, v8
	v_fma_f32 v3, -v3, v12, v9
	v_div_fmas_f32 v3, v3, v8, v12
	v_div_fixup_f32 v2, v3, v2, 1.0
	v_xad_u32 v3, v0, -1, s16
	v_subrev_u32_e32 v8, s49, v3
	v_cmp_lt_u32_e32 vcc, s6, v8
	s_mov_b64 s[10:11], -1
	v_mov_b32_e32 v3, v0
	s_and_saveexec_b64 s[6:7], vcc
	s_cbranch_execz .LBB157_42
; %bb.34:
	v_lshrrev_b32_e32 v8, 7, v8
	v_add_u32_e32 v12, -1, v8
	v_lshrrev_b32_e32 v9, 1, v12
	v_mov_b32_e32 v3, v2
	v_add_u32_e32 v9, 1, v9
	v_cmp_lt_u32_e32 vcc, 13, v12
	v_mov_b32_e32 v14, 0
	s_and_saveexec_b64 s[10:11], vcc
	s_cbranch_execz .LBB157_38
; %bb.35:
	v_mov_b32_e32 v13, 0xf0
	v_and_b32_e32 v12, -8, v9
	v_lshl_add_u32 v13, v0, 2, v13
	s_mov_b32 s16, 0
	s_mov_b64 s[38:39], 0
.LBB157_36:                             ; =>This Inner Loop Header: Depth=1
	ds_read2st64_b32 v[14:15], v13 offset1:2
	ds_read2st64_b32 v[16:17], v13 offset0:4 offset1:6
	ds_read2st64_b32 v[18:19], v13 offset0:8 offset1:10
	;; [unrolled: 1-line block ×3, first 2 shown]
	v_add_u32_e32 v12, -8, v12
	s_waitcnt lgkmcnt(3)
	v_pk_mul_f32 v[14:15], v[2:3], v[14:15]
	s_waitcnt lgkmcnt(2)
	v_pk_mul_f32 v[16:17], v[2:3], v[16:17]
	ds_write2st64_b32 v13, v14, v15 offset1:2
	ds_write2st64_b32 v13, v16, v17 offset0:4 offset1:6
	ds_read2st64_b32 v[16:17], v13 offset0:16 offset1:18
	s_waitcnt lgkmcnt(4)
	v_pk_mul_f32 v[14:15], v[2:3], v[18:19]
	ds_write2st64_b32 v13, v14, v15 offset0:8 offset1:10
	s_waitcnt lgkmcnt(4)
	v_pk_mul_f32 v[14:15], v[2:3], v[20:21]
	ds_write2st64_b32 v13, v14, v15 offset0:12 offset1:14
	ds_read2st64_b32 v[14:15], v13 offset0:20 offset1:22
	s_waitcnt lgkmcnt(3)
	v_pk_mul_f32 v[16:17], v[2:3], v[16:17]
	ds_read2st64_b32 v[18:19], v13 offset0:24 offset1:26
	ds_write2st64_b32 v13, v16, v17 offset0:16 offset1:18
	ds_read2st64_b32 v[16:17], v13 offset0:28 offset1:30
	s_waitcnt lgkmcnt(3)
	v_pk_mul_f32 v[14:15], v[2:3], v[14:15]
	ds_write2st64_b32 v13, v14, v15 offset0:20 offset1:22
	s_waitcnt lgkmcnt(3)
	v_pk_mul_f32 v[14:15], v[2:3], v[18:19]
	ds_write2st64_b32 v13, v14, v15 offset0:24 offset1:26
	s_waitcnt lgkmcnt(2)
	v_pk_mul_f32 v[14:15], v[2:3], v[16:17]
	s_add_i32 s16, s16, 16
	v_cmp_eq_u32_e32 vcc, 0, v12
	ds_write2st64_b32 v13, v14, v15 offset0:28 offset1:30
	v_add_u32_e32 v13, 0x2000, v13
	s_or_b64 s[38:39], vcc, s[38:39]
	v_mov_b32_e32 v14, s16
	s_andn2_b64 exec, exec, s[38:39]
	s_cbranch_execnz .LBB157_36
; %bb.37:
	s_or_b64 exec, exec, s[38:39]
.LBB157_38:
	s_or_b64 exec, exec, s[10:11]
	v_and_b32_e32 v9, 7, v9
	v_cmp_ne_u32_e32 vcc, 0, v9
	s_and_saveexec_b64 s[10:11], vcc
	s_cbranch_execz .LBB157_41
; %bb.39:
	v_lshlrev_b32_e32 v12, 9, v14
	v_lshlrev_b32_e32 v13, 2, v0
	s_movk_i32 s16, 0xf0
	v_add3_u32 v12, v12, v13, s16
	s_mov_b64 s[38:39], 0
.LBB157_40:                             ; =>This Inner Loop Header: Depth=1
	ds_read2st64_b32 v[14:15], v12 offset1:2
	v_add_u32_e32 v9, -1, v9
	v_cmp_eq_u32_e32 vcc, 0, v9
	s_or_b64 s[38:39], vcc, s[38:39]
	s_waitcnt lgkmcnt(0)
	v_pk_mul_f32 v[14:15], v[2:3], v[14:15]
	ds_write2st64_b32 v12, v14, v15 offset1:2
	v_add_u32_e32 v12, 0x400, v12
	s_andn2_b64 exec, exec, s[38:39]
	s_cbranch_execnz .LBB157_40
.LBB157_41:
	s_or_b64 exec, exec, s[10:11]
	v_add_u32_e32 v8, 1, v8
	v_and_b32_e32 v9, 0x3fffffe, v8
	v_cmp_ne_u32_e32 vcc, v8, v9
	v_lshl_add_u32 v3, v9, 7, v0
	s_orn2_b64 s[10:11], vcc, exec
.LBB157_42:
	s_or_b64 exec, exec, s[6:7]
	s_and_b64 exec, exec, s[10:11]
	s_cbranch_execz .LBB157_45
; %bb.43:
	v_mov_b32_e32 v8, 0xf0
	v_lshl_add_u32 v8, v3, 2, v8
	s_mov_b64 s[6:7], 0
.LBB157_44:                             ; =>This Inner Loop Header: Depth=1
	ds_read_b32 v9, v8
	v_add_u32_e32 v3, 0x80, v3
	v_cmp_le_i32_e32 vcc, s15, v3
	s_or_b64 s[6:7], vcc, s[6:7]
	s_waitcnt lgkmcnt(0)
	v_mul_f32_e32 v9, v2, v9
	ds_write_b32 v8, v9
	v_add_u32_e32 v8, 0x200, v8
	s_andn2_b64 exec, exec, s[6:7]
	s_cbranch_execnz .LBB157_44
.LBB157_45:
	s_or_b64 exec, exec, s[0:1]
	s_mul_i32 s0, s19, s28
	v_cmp_eq_u32_e32 vcc, 0, v0
	s_mul_i32 s6, s0, s5
	s_waitcnt lgkmcnt(0)
	s_barrier
	s_and_saveexec_b64 s[0:1], vcc
	s_cbranch_execz .LBB157_47
; %bb.46:
	s_ashr_i32 s7, s6, 31
	s_lshl_b64 s[10:11], s[6:7], 2
	s_add_u32 s5, s22, s10
	s_mul_i32 s22, s19, s2
	s_addc_u32 s7, s23, s11
	s_ashr_i32 s23, s22, 31
	s_lshl_b64 s[22:23], s[22:23], 2
	s_add_u32 s2, s5, s22
	s_addc_u32 s7, s7, s23
	s_ashr_i32 s5, s4, 31
	s_lshl_b64 s[38:39], s[4:5], 2
	s_add_u32 s40, s2, s38
	s_addc_u32 s41, s7, s39
	s_add_u32 s2, s20, s10
	s_addc_u32 s5, s21, s11
	;; [unrolled: 2-line block ×3, first 2 shown]
	s_add_u32 s10, s2, s38
	v_mov_b32_e32 v2, 0
	s_addc_u32 s11, s5, s39
	global_store_dword v2, v5, s[40:41]
	global_store_dword v2, v7, s[10:11]
.LBB157_47:
	s_or_b64 exec, exec, s[0:1]
	v_mov_b32_e32 v13, 0
	v_lshrrev_b32_e32 v24, 1, v4
	v_and_b32_e32 v23, 1, v0
	v_mov_b32_e32 v12, 0
	v_mov_b32_e32 v17, 0
	;; [unrolled: 1-line block ×3, first 2 shown]
	s_and_saveexec_b64 s[10:11], s[8:9]
	s_cbranch_execz .LBB157_223
; %bb.48:
	s_ashr_i32 s15, s14, 31
	s_sub_i32 s5, s12, s17
	s_lshl_b64 s[0:1], s[14:15], 1
	s_add_u32 s8, s36, s0
	s_addc_u32 s9, s37, s1
	s_abs_i32 s7, s18
	v_cvt_f32_u32_e32 v3, s7
	v_or_b32_e32 v4, 0x60, v24
	s_movk_i32 s0, 0x70
	v_cmp_gt_u32_e32 vcc, s0, v4
	v_rcp_iflag_f32_e32 v3, v3
	s_sub_i32 s0, 0, s7
	v_lshlrev_b32_e32 v2, 3, v0
	s_add_i32 s20, s3, -1
	v_mul_f32_e32 v3, 0x4f7ffffe, v3
	v_cvt_u32_f32_e32 v3, v3
	v_and_b32_e32 v25, 8, v2
	v_lshl_or_b32 v2, v24, 4, v25
	v_mov_b32_e32 v15, 0
	v_mul_lo_u32 v5, s0, v3
	v_mul_hi_u32 v5, v3, v5
	s_lshl_b64 s[0:1], s[34:35], 2
	v_add_u32_e32 v26, v3, v5
	s_add_u32 s0, s30, s0
	v_lshlrev_b32_e32 v3, 5, v23
	v_lshl_or_b32 v4, v4, 4, v25
	s_addc_u32 s1, s31, s1
	v_lshl_or_b32 v3, v6, 6, v3
	s_mov_b32 s18, s13
	v_lshl_add_u64 v[18:19], v[10:11], 2, s[0:1]
	v_add_u32_e32 v11, 0xf0, v3
	s_mov_b64 s[12:13], 0
	s_mov_b32 s21, 0x7f800000
	s_movk_i32 s22, 0x7fff
	v_lshlrev_b32_e32 v14, 1, v2
	v_lshlrev_b32_e32 v20, 1, v4
	v_mov_b32_e32 v16, v15
	v_mov_b32_e32 v17, v15
	;; [unrolled: 1-line block ×4, first 2 shown]
	s_branch .LBB157_52
.LBB157_49:                             ;   in Loop: Header=BB157_52 Depth=1
	s_or_b64 exec, exec, s[16:17]
	v_and_b32_e32 v39, 0xffff0000, v34
	v_and_b32_e32 v38, 0xffff0000, v7
	;; [unrolled: 1-line block ×8, first 2 shown]
	v_pk_add_f32 v[2:3], v[2:3], v[38:39]
	v_pk_add_f32 v[4:5], v[4:5], v[36:37]
	v_add_f32_e32 v2, v2, v3
	v_add_f32_e32 v2, v2, v4
	;; [unrolled: 1-line block ×4, first 2 shown]
.LBB157_50:                             ;   in Loop: Header=BB157_52 Depth=1
	s_or_b64 exec, exec, s[2:3]
	v_and_b32_e32 v7, 0xffff0000, v30
	v_and_b32_e32 v6, 0xffff0000, v28
	;; [unrolled: 1-line block ×8, first 2 shown]
	v_pk_add_f32 v[6:7], v[28:29], v[6:7]
	v_pk_add_f32 v[2:3], v[4:5], v[2:3]
	v_add_f32_e32 v4, v6, v7
	v_add_f32_e32 v2, v4, v2
	;; [unrolled: 1-line block ×3, first 2 shown]
	v_and_b32_e32 v7, 0xffff0000, v47
	v_and_b32_e32 v6, 0xffff0000, v45
	;; [unrolled: 1-line block ×4, first 2 shown]
	v_add_f32_e32 v16, v16, v2
	v_and_b32_e32 v3, 0xffff0000, v51
	v_and_b32_e32 v2, 0xffff0000, v49
	;; [unrolled: 1-line block ×4, first 2 shown]
	v_pk_add_f32 v[6:7], v[28:29], v[6:7]
	v_pk_add_f32 v[2:3], v[4:5], v[2:3]
	v_add_f32_e32 v4, v6, v7
	v_add_f32_e32 v2, v4, v2
	;; [unrolled: 1-line block ×3, first 2 shown]
	v_and_b32_e32 v7, 0xffff0000, v53
	v_and_b32_e32 v6, 0xffff0000, v9
	;; [unrolled: 1-line block ×4, first 2 shown]
	v_add_f32_e32 v17, v17, v2
	v_and_b32_e32 v3, 0xffff0000, v57
	v_and_b32_e32 v2, 0xffff0000, v55
	;; [unrolled: 1-line block ×4, first 2 shown]
	v_pk_add_f32 v[6:7], v[8:9], v[6:7]
	v_pk_add_f32 v[2:3], v[4:5], v[2:3]
	v_add_f32_e32 v4, v6, v7
	v_add_f32_e32 v2, v4, v2
	;; [unrolled: 1-line block ×4, first 2 shown]
.LBB157_51:                             ;   in Loop: Header=BB157_52 Depth=1
	s_or_b64 exec, exec, s[14:15]
	v_add_u32_e32 v10, 2, v10
	v_cmp_le_i32_e64 s[0:1], s48, v10
	v_lshl_add_u64 v[18:19], v[18:19], 0, 8
	v_add_u32_e32 v1, 32, v1
	s_or_b64 s[12:13], s[0:1], s[12:13]
	v_add_u32_e32 v11, 0x80, v11
	s_andn2_b64 exec, exec, s[12:13]
	s_cbranch_execz .LBB157_222
.LBB157_52:                             ; =>This Inner Loop Header: Depth=1
	v_sub_u32_e32 v3, 0, v1
	v_max_i32_e32 v3, v1, v3
	v_mul_hi_u32 v4, v3, s33
	v_mul_lo_u32 v5, v4, s25
	v_sub_u32_e32 v3, v3, v5
	v_add_u32_e32 v5, 1, v4
	v_cmp_le_u32_e64 s[0:1], s25, v3
	v_ashrrev_i32_e32 v2, 31, v1
	v_xor_b32_e32 v2, s47, v2
	v_cndmask_b32_e64 v4, v4, v5, s[0:1]
	v_subrev_u32_e32 v5, s25, v3
	v_cndmask_b32_e64 v3, v3, v5, s[0:1]
	v_add_u32_e32 v5, 1, v4
	v_cmp_le_u32_e64 s[0:1], s25, v3
	s_nop 1
	v_cndmask_b32_e64 v3, v4, v5, s[0:1]
	v_xor_b32_e32 v3, v3, v2
	v_sub_u32_e32 v2, v3, v2
	v_add_u32_e32 v3, s46, v2
	v_sub_u32_e32 v5, 0, v3
	v_ashrrev_i32_e32 v4, 31, v3
	v_max_i32_e32 v3, v3, v5
	v_mul_hi_u32 v5, v3, v26
	v_mul_lo_u32 v5, v5, s7
	v_sub_u32_e32 v3, v3, v5
	v_subrev_u32_e32 v5, s7, v3
	v_cmp_le_u32_e64 s[0:1], s7, v3
	v_cmp_lt_i32_e64 s[2:3], s5, v2
	s_nop 0
	v_cndmask_b32_e64 v3, v3, v5, s[0:1]
	v_subrev_u32_e32 v5, s7, v3
	v_cmp_le_u32_e64 s[0:1], s7, v3
	s_nop 1
	v_cndmask_b32_e64 v3, v3, v5, s[0:1]
	v_xor_b32_e32 v3, v3, v4
	v_sub_u32_e32 v3, v3, v4
	v_cmp_eq_u32_e64 s[0:1], 0, v3
	s_or_b64 s[0:1], s[0:1], s[2:3]
	s_and_saveexec_b64 s[14:15], s[0:1]
	s_cbranch_execz .LBB157_51
; %bb.53:                               ;   in Loop: Header=BB157_52 Depth=1
	global_load_dword v34, v[18:19], off
	ds_read2_b64 v[6:9], v11 offset1:1
	ds_read2_b64 v[2:5], v11 offset0:2 offset1:3
                                        ; implicit-def: $vgpr27
	s_waitcnt lgkmcnt(1)
	v_and_b32_e32 v21, 0x7f800000, v6
	v_cmp_ne_u32_e64 s[0:1], s21, v21
	s_and_saveexec_b64 s[2:3], s[0:1]
	s_xor_b64 s[0:1], exec, s[2:3]
; %bb.54:                               ;   in Loop: Header=BB157_52 Depth=1
	v_bfe_u32 v21, v6, 16, 1
	v_add3_u32 v27, v6, v21, s22
; %bb.55:                               ;   in Loop: Header=BB157_52 Depth=1
	s_andn2_saveexec_b64 s[2:3], s[0:1]
; %bb.56:                               ;   in Loop: Header=BB157_52 Depth=1
	v_or_b32_e32 v21, 0x10000, v6
	v_cmp_eq_u32_sdwa s[0:1], v6, v15 src0_sel:WORD_0 src1_sel:DWORD
	s_nop 1
	v_cndmask_b32_e64 v27, v21, v6, s[0:1]
; %bb.57:                               ;   in Loop: Header=BB157_52 Depth=1
	s_or_b64 exec, exec, s[2:3]
	v_and_b32_e32 v6, 0x7f800000, v7
	v_cmp_ne_u32_e64 s[0:1], s21, v6
                                        ; implicit-def: $vgpr28
	s_and_saveexec_b64 s[2:3], s[0:1]
	s_xor_b64 s[0:1], exec, s[2:3]
; %bb.58:                               ;   in Loop: Header=BB157_52 Depth=1
	v_bfe_u32 v6, v7, 16, 1
	v_add3_u32 v28, v7, v6, s22
; %bb.59:                               ;   in Loop: Header=BB157_52 Depth=1
	s_andn2_saveexec_b64 s[2:3], s[0:1]
; %bb.60:                               ;   in Loop: Header=BB157_52 Depth=1
	v_or_b32_e32 v6, 0x10000, v7
	v_cmp_eq_u32_sdwa s[0:1], v7, v15 src0_sel:WORD_0 src1_sel:DWORD
	s_nop 1
	v_cndmask_b32_e64 v28, v6, v7, s[0:1]
; %bb.61:                               ;   in Loop: Header=BB157_52 Depth=1
	s_or_b64 exec, exec, s[2:3]
	v_and_b32_e32 v6, 0x7f800000, v8
	v_cmp_ne_u32_e64 s[0:1], s21, v6
                                        ; implicit-def: $vgpr29
	s_and_saveexec_b64 s[2:3], s[0:1]
	s_xor_b64 s[0:1], exec, s[2:3]
; %bb.62:                               ;   in Loop: Header=BB157_52 Depth=1
	v_bfe_u32 v6, v8, 16, 1
	v_add3_u32 v29, v8, v6, s22
; %bb.63:                               ;   in Loop: Header=BB157_52 Depth=1
	s_andn2_saveexec_b64 s[2:3], s[0:1]
; %bb.64:                               ;   in Loop: Header=BB157_52 Depth=1
	v_or_b32_e32 v6, 0x10000, v8
	v_cmp_eq_u32_sdwa s[0:1], v8, v15 src0_sel:WORD_0 src1_sel:DWORD
	s_nop 1
	v_cndmask_b32_e64 v29, v6, v8, s[0:1]
; %bb.65:                               ;   in Loop: Header=BB157_52 Depth=1
	s_or_b64 exec, exec, s[2:3]
	v_and_b32_e32 v6, 0x7f800000, v9
	v_cmp_ne_u32_e64 s[0:1], s21, v6
                                        ; implicit-def: $vgpr30
	s_and_saveexec_b64 s[2:3], s[0:1]
	s_xor_b64 s[0:1], exec, s[2:3]
; %bb.66:                               ;   in Loop: Header=BB157_52 Depth=1
	v_bfe_u32 v6, v9, 16, 1
	v_add3_u32 v30, v9, v6, s22
                                        ; implicit-def: $vgpr6_vgpr7_vgpr8_vgpr9
; %bb.67:                               ;   in Loop: Header=BB157_52 Depth=1
	s_andn2_saveexec_b64 s[2:3], s[0:1]
; %bb.68:                               ;   in Loop: Header=BB157_52 Depth=1
	v_or_b32_e32 v6, 0x10000, v9
	v_cmp_eq_u32_sdwa s[0:1], v9, v15 src0_sel:WORD_0 src1_sel:DWORD
	s_nop 1
	v_cndmask_b32_e64 v30, v6, v9, s[0:1]
; %bb.69:                               ;   in Loop: Header=BB157_52 Depth=1
	s_or_b64 exec, exec, s[2:3]
	s_waitcnt lgkmcnt(0)
	v_and_b32_e32 v6, 0x7f800000, v2
	v_cmp_ne_u32_e64 s[0:1], s21, v6
                                        ; implicit-def: $vgpr31
	s_and_saveexec_b64 s[2:3], s[0:1]
	s_xor_b64 s[0:1], exec, s[2:3]
; %bb.70:                               ;   in Loop: Header=BB157_52 Depth=1
	v_bfe_u32 v6, v2, 16, 1
	v_add3_u32 v31, v2, v6, s22
; %bb.71:                               ;   in Loop: Header=BB157_52 Depth=1
	s_andn2_saveexec_b64 s[2:3], s[0:1]
; %bb.72:                               ;   in Loop: Header=BB157_52 Depth=1
	v_or_b32_e32 v6, 0x10000, v2
	v_cmp_eq_u32_sdwa s[0:1], v2, v15 src0_sel:WORD_0 src1_sel:DWORD
	s_nop 1
	v_cndmask_b32_e64 v31, v6, v2, s[0:1]
; %bb.73:                               ;   in Loop: Header=BB157_52 Depth=1
	s_or_b64 exec, exec, s[2:3]
	v_and_b32_e32 v2, 0x7f800000, v3
	v_cmp_ne_u32_e64 s[0:1], s21, v2
                                        ; implicit-def: $vgpr32
	s_and_saveexec_b64 s[2:3], s[0:1]
	s_xor_b64 s[0:1], exec, s[2:3]
; %bb.74:                               ;   in Loop: Header=BB157_52 Depth=1
	v_bfe_u32 v2, v3, 16, 1
	v_add3_u32 v32, v3, v2, s22
; %bb.75:                               ;   in Loop: Header=BB157_52 Depth=1
	s_andn2_saveexec_b64 s[2:3], s[0:1]
; %bb.76:                               ;   in Loop: Header=BB157_52 Depth=1
	v_or_b32_e32 v2, 0x10000, v3
	v_cmp_eq_u32_sdwa s[0:1], v3, v15 src0_sel:WORD_0 src1_sel:DWORD
	s_nop 1
	v_cndmask_b32_e64 v32, v2, v3, s[0:1]
; %bb.77:                               ;   in Loop: Header=BB157_52 Depth=1
	s_or_b64 exec, exec, s[2:3]
	v_and_b32_e32 v2, 0x7f800000, v4
	v_cmp_ne_u32_e64 s[0:1], s21, v2
                                        ; implicit-def: $vgpr33
	s_and_saveexec_b64 s[2:3], s[0:1]
	s_xor_b64 s[0:1], exec, s[2:3]
; %bb.78:                               ;   in Loop: Header=BB157_52 Depth=1
	v_bfe_u32 v2, v4, 16, 1
	v_add3_u32 v33, v4, v2, s22
; %bb.79:                               ;   in Loop: Header=BB157_52 Depth=1
	s_andn2_saveexec_b64 s[2:3], s[0:1]
; %bb.80:                               ;   in Loop: Header=BB157_52 Depth=1
	v_or_b32_e32 v2, 0x10000, v4
	v_cmp_eq_u32_sdwa s[0:1], v4, v15 src0_sel:WORD_0 src1_sel:DWORD
	s_nop 1
	v_cndmask_b32_e64 v33, v2, v4, s[0:1]
; %bb.81:                               ;   in Loop: Header=BB157_52 Depth=1
	s_or_b64 exec, exec, s[2:3]
	v_and_b32_e32 v2, 0x7f800000, v5
	v_cmp_ne_u32_e64 s[0:1], s21, v2
                                        ; implicit-def: $vgpr21
	s_and_saveexec_b64 s[2:3], s[0:1]
	s_xor_b64 s[0:1], exec, s[2:3]
; %bb.82:                               ;   in Loop: Header=BB157_52 Depth=1
	v_bfe_u32 v2, v5, 16, 1
	v_add3_u32 v21, v5, v2, s22
                                        ; implicit-def: $vgpr2_vgpr3_vgpr4_vgpr5
; %bb.83:                               ;   in Loop: Header=BB157_52 Depth=1
	s_andn2_saveexec_b64 s[2:3], s[0:1]
; %bb.84:                               ;   in Loop: Header=BB157_52 Depth=1
	v_or_b32_e32 v2, 0x10000, v5
	v_cmp_eq_u32_sdwa s[0:1], v5, v15 src0_sel:WORD_0 src1_sel:DWORD
	s_nop 1
	v_cndmask_b32_e64 v21, v2, v5, s[0:1]
; %bb.85:                               ;   in Loop: Header=BB157_52 Depth=1
	s_or_b64 exec, exec, s[2:3]
	s_waitcnt vmcnt(0)
	v_mad_i64_i32 v[2:3], s[0:1], v34, s18, 0
	v_lshl_add_u64 v[6:7], v[2:3], 1, s[8:9]
	v_lshl_add_u64 v[8:9], v[6:7], 0, v[14:15]
	global_load_dwordx4 v[2:5], v[8:9], off
	v_add_u32_e32 v34, v25, v1
	v_cmp_eq_u32_e64 s[0:1], s20, v10
	s_waitcnt vmcnt(0)
	v_lshrrev_b32_e32 v38, 16, v2
	v_lshrrev_b32_e32 v40, 16, v3
	;; [unrolled: 1-line block ×4, first 2 shown]
	s_and_saveexec_b64 s[16:17], s[0:1]
	s_cbranch_execz .LBB157_87
; %bb.86:                               ;   in Loop: Header=BB157_52 Depth=1
	v_cmp_gt_i32_e64 s[2:3], s29, v34
	v_add_u32_e32 v36, 1, v34
	s_nop 0
	v_cndmask_b32_e64 v2, 0, v2, s[2:3]
	v_cmp_gt_i32_e64 s[2:3], s29, v36
	v_add_u32_e32 v36, 2, v34
	s_nop 0
	v_cndmask_b32_e64 v38, 0, v38, s[2:3]
	;; [unrolled: 4-line block ×7, first 2 shown]
	v_cmp_gt_i32_e64 s[2:3], s29, v36
	s_nop 1
	v_cndmask_b32_e64 v35, 0, v35, s[2:3]
.LBB157_87:                             ;   in Loop: Header=BB157_52 Depth=1
	s_or_b64 exec, exec, s[16:17]
	v_and_b32_e32 v36, 0xffff0000, v27
	v_lshlrev_b32_e32 v2, 16, v2
	v_mul_f32_e32 v2, v36, v2
	v_and_b32_e32 v27, 0x7f800000, v2
	v_cmp_ne_u32_e64 s[2:3], s21, v27
                                        ; implicit-def: $vgpr27
	s_and_saveexec_b64 s[16:17], s[2:3]
	s_xor_b64 s[2:3], exec, s[16:17]
; %bb.88:                               ;   in Loop: Header=BB157_52 Depth=1
	v_bfe_u32 v27, v2, 16, 1
	v_add3_u32 v27, v2, v27, s22
                                        ; implicit-def: $vgpr2
; %bb.89:                               ;   in Loop: Header=BB157_52 Depth=1
	s_andn2_saveexec_b64 s[16:17], s[2:3]
; %bb.90:                               ;   in Loop: Header=BB157_52 Depth=1
	v_or_b32_e32 v27, 0x10000, v2
	v_cmp_eq_u32_sdwa s[2:3], v2, v15 src0_sel:WORD_0 src1_sel:DWORD
	s_nop 1
	v_cndmask_b32_e64 v27, v27, v2, s[2:3]
; %bb.91:                               ;   in Loop: Header=BB157_52 Depth=1
	s_or_b64 exec, exec, s[16:17]
	v_and_b32_e32 v37, 0xffff0000, v28
	v_lshlrev_b32_e32 v2, 16, v38
	v_mul_f32_e32 v2, v37, v2
	v_and_b32_e32 v28, 0x7f800000, v2
	v_cmp_ne_u32_e64 s[2:3], s21, v28
                                        ; implicit-def: $vgpr28
	s_and_saveexec_b64 s[16:17], s[2:3]
	s_xor_b64 s[2:3], exec, s[16:17]
; %bb.92:                               ;   in Loop: Header=BB157_52 Depth=1
	v_bfe_u32 v28, v2, 16, 1
	v_add3_u32 v28, v2, v28, s22
                                        ; implicit-def: $vgpr2
; %bb.93:                               ;   in Loop: Header=BB157_52 Depth=1
	s_andn2_saveexec_b64 s[16:17], s[2:3]
; %bb.94:                               ;   in Loop: Header=BB157_52 Depth=1
	v_or_b32_e32 v28, 0x10000, v2
	v_cmp_eq_u32_sdwa s[2:3], v2, v15 src0_sel:WORD_0 src1_sel:DWORD
	s_nop 1
	v_cndmask_b32_e64 v28, v28, v2, s[2:3]
; %bb.95:                               ;   in Loop: Header=BB157_52 Depth=1
	s_or_b64 exec, exec, s[16:17]
	v_and_b32_e32 v38, 0xffff0000, v29
	v_lshlrev_b32_e32 v2, 16, v3
	v_mul_f32_e32 v2, v38, v2
	v_and_b32_e32 v3, 0x7f800000, v2
	v_cmp_ne_u32_e64 s[2:3], s21, v3
                                        ; implicit-def: $vgpr29
	s_and_saveexec_b64 s[16:17], s[2:3]
	s_xor_b64 s[2:3], exec, s[16:17]
; %bb.96:                               ;   in Loop: Header=BB157_52 Depth=1
	v_bfe_u32 v3, v2, 16, 1
	v_add3_u32 v29, v2, v3, s22
                                        ; implicit-def: $vgpr2
; %bb.97:                               ;   in Loop: Header=BB157_52 Depth=1
	s_andn2_saveexec_b64 s[16:17], s[2:3]
; %bb.98:                               ;   in Loop: Header=BB157_52 Depth=1
	v_or_b32_e32 v3, 0x10000, v2
	v_cmp_eq_u32_sdwa s[2:3], v2, v15 src0_sel:WORD_0 src1_sel:DWORD
	s_nop 1
	v_cndmask_b32_e64 v29, v3, v2, s[2:3]
; %bb.99:                               ;   in Loop: Header=BB157_52 Depth=1
	s_or_b64 exec, exec, s[16:17]
	v_and_b32_e32 v39, 0xffff0000, v30
	v_lshlrev_b32_e32 v2, 16, v40
	v_mul_f32_e32 v2, v39, v2
	v_and_b32_e32 v3, 0x7f800000, v2
	v_cmp_ne_u32_e64 s[2:3], s21, v3
                                        ; implicit-def: $vgpr30
	s_and_saveexec_b64 s[16:17], s[2:3]
	s_xor_b64 s[2:3], exec, s[16:17]
; %bb.100:                              ;   in Loop: Header=BB157_52 Depth=1
	v_bfe_u32 v3, v2, 16, 1
	v_add3_u32 v30, v2, v3, s22
                                        ; implicit-def: $vgpr2
; %bb.101:                              ;   in Loop: Header=BB157_52 Depth=1
	s_andn2_saveexec_b64 s[16:17], s[2:3]
; %bb.102:                              ;   in Loop: Header=BB157_52 Depth=1
	v_or_b32_e32 v3, 0x10000, v2
	v_cmp_eq_u32_sdwa s[2:3], v2, v15 src0_sel:WORD_0 src1_sel:DWORD
	s_nop 1
	v_cndmask_b32_e64 v30, v3, v2, s[2:3]
; %bb.103:                              ;   in Loop: Header=BB157_52 Depth=1
	s_or_b64 exec, exec, s[16:17]
	v_and_b32_e32 v40, 0xffff0000, v31
	v_lshlrev_b32_e32 v2, 16, v4
	v_mul_f32_e32 v2, v40, v2
	v_and_b32_e32 v3, 0x7f800000, v2
	v_cmp_ne_u32_e64 s[2:3], s21, v3
                                        ; implicit-def: $vgpr31
	s_and_saveexec_b64 s[16:17], s[2:3]
	s_xor_b64 s[2:3], exec, s[16:17]
; %bb.104:                              ;   in Loop: Header=BB157_52 Depth=1
	v_bfe_u32 v3, v2, 16, 1
	v_add3_u32 v31, v2, v3, s22
                                        ; implicit-def: $vgpr2
; %bb.105:                              ;   in Loop: Header=BB157_52 Depth=1
	s_andn2_saveexec_b64 s[16:17], s[2:3]
; %bb.106:                              ;   in Loop: Header=BB157_52 Depth=1
	v_or_b32_e32 v3, 0x10000, v2
	v_cmp_eq_u32_sdwa s[2:3], v2, v15 src0_sel:WORD_0 src1_sel:DWORD
	s_nop 1
	v_cndmask_b32_e64 v31, v3, v2, s[2:3]
; %bb.107:                              ;   in Loop: Header=BB157_52 Depth=1
	s_or_b64 exec, exec, s[16:17]
	v_and_b32_e32 v41, 0xffff0000, v32
	v_lshlrev_b32_e32 v2, 16, v42
	v_mul_f32_e32 v2, v41, v2
	v_and_b32_e32 v3, 0x7f800000, v2
	v_cmp_ne_u32_e64 s[2:3], s21, v3
                                        ; implicit-def: $vgpr32
	s_and_saveexec_b64 s[16:17], s[2:3]
	s_xor_b64 s[2:3], exec, s[16:17]
; %bb.108:                              ;   in Loop: Header=BB157_52 Depth=1
	v_bfe_u32 v3, v2, 16, 1
	v_add3_u32 v32, v2, v3, s22
                                        ; implicit-def: $vgpr2
; %bb.109:                              ;   in Loop: Header=BB157_52 Depth=1
	s_andn2_saveexec_b64 s[16:17], s[2:3]
; %bb.110:                              ;   in Loop: Header=BB157_52 Depth=1
	v_or_b32_e32 v3, 0x10000, v2
	v_cmp_eq_u32_sdwa s[2:3], v2, v15 src0_sel:WORD_0 src1_sel:DWORD
	s_nop 1
	v_cndmask_b32_e64 v32, v3, v2, s[2:3]
; %bb.111:                              ;   in Loop: Header=BB157_52 Depth=1
	s_or_b64 exec, exec, s[16:17]
	v_and_b32_e32 v42, 0xffff0000, v33
	v_lshlrev_b32_e32 v2, 16, v5
	v_mul_f32_e32 v2, v42, v2
	v_and_b32_e32 v3, 0x7f800000, v2
	v_cmp_ne_u32_e64 s[2:3], s21, v3
                                        ; implicit-def: $vgpr33
	s_and_saveexec_b64 s[16:17], s[2:3]
	s_xor_b64 s[2:3], exec, s[16:17]
; %bb.112:                              ;   in Loop: Header=BB157_52 Depth=1
	v_bfe_u32 v3, v2, 16, 1
	v_add3_u32 v33, v2, v3, s22
                                        ; implicit-def: $vgpr2
; %bb.113:                              ;   in Loop: Header=BB157_52 Depth=1
	s_andn2_saveexec_b64 s[16:17], s[2:3]
; %bb.114:                              ;   in Loop: Header=BB157_52 Depth=1
	v_or_b32_e32 v3, 0x10000, v2
	v_cmp_eq_u32_sdwa s[2:3], v2, v15 src0_sel:WORD_0 src1_sel:DWORD
	s_nop 1
	v_cndmask_b32_e64 v33, v3, v2, s[2:3]
; %bb.115:                              ;   in Loop: Header=BB157_52 Depth=1
	s_or_b64 exec, exec, s[16:17]
	v_and_b32_e32 v43, 0xffff0000, v21
	v_lshlrev_b32_e32 v2, 16, v35
	v_mul_f32_e32 v2, v43, v2
	v_and_b32_e32 v3, 0x7f800000, v2
	v_cmp_ne_u32_e64 s[2:3], s21, v3
                                        ; implicit-def: $vgpr35
	s_and_saveexec_b64 s[16:17], s[2:3]
	s_xor_b64 s[2:3], exec, s[16:17]
; %bb.116:                              ;   in Loop: Header=BB157_52 Depth=1
	v_bfe_u32 v3, v2, 16, 1
	v_add3_u32 v35, v2, v3, s22
                                        ; implicit-def: $vgpr2
; %bb.117:                              ;   in Loop: Header=BB157_52 Depth=1
	s_andn2_saveexec_b64 s[16:17], s[2:3]
; %bb.118:                              ;   in Loop: Header=BB157_52 Depth=1
	v_or_b32_e32 v3, 0x10000, v2
	v_cmp_eq_u32_sdwa s[2:3], v2, v15 src0_sel:WORD_0 src1_sel:DWORD
	s_nop 1
	v_cndmask_b32_e64 v35, v3, v2, s[2:3]
; %bb.119:                              ;   in Loop: Header=BB157_52 Depth=1
	s_or_b64 exec, exec, s[16:17]
	global_load_dwordx4 v[2:5], v[8:9], off offset:1024
	s_waitcnt vmcnt(0)
	v_lshrrev_b32_e32 v45, 16, v2
	v_lshrrev_b32_e32 v47, 16, v3
	;; [unrolled: 1-line block ×4, first 2 shown]
	s_and_saveexec_b64 s[16:17], s[0:1]
	s_cbranch_execz .LBB157_121
; %bb.120:                              ;   in Loop: Header=BB157_52 Depth=1
	v_cmp_gt_i32_e64 s[2:3], s29, v34
	v_add_u32_e32 v44, 1, v34
	s_nop 0
	v_cndmask_b32_e64 v2, 0, v2, s[2:3]
	v_cmp_gt_i32_e64 s[2:3], s29, v44
	v_add_u32_e32 v44, 2, v34
	s_nop 0
	v_cndmask_b32_e64 v45, 0, v45, s[2:3]
	;; [unrolled: 4-line block ×7, first 2 shown]
	v_cmp_gt_i32_e64 s[2:3], s29, v44
	s_nop 1
	v_cndmask_b32_e64 v21, 0, v21, s[2:3]
.LBB157_121:                            ;   in Loop: Header=BB157_52 Depth=1
	s_or_b64 exec, exec, s[16:17]
	v_lshlrev_b32_e32 v2, 16, v2
	v_mul_f32_e32 v2, v36, v2
	v_and_b32_e32 v44, 0x7f800000, v2
	v_cmp_ne_u32_e64 s[2:3], s21, v44
                                        ; implicit-def: $vgpr44
	s_and_saveexec_b64 s[16:17], s[2:3]
	s_xor_b64 s[2:3], exec, s[16:17]
; %bb.122:                              ;   in Loop: Header=BB157_52 Depth=1
	v_bfe_u32 v44, v2, 16, 1
	v_add3_u32 v44, v2, v44, s22
                                        ; implicit-def: $vgpr2
; %bb.123:                              ;   in Loop: Header=BB157_52 Depth=1
	s_andn2_saveexec_b64 s[16:17], s[2:3]
; %bb.124:                              ;   in Loop: Header=BB157_52 Depth=1
	v_or_b32_e32 v44, 0x10000, v2
	v_cmp_eq_u32_sdwa s[2:3], v2, v15 src0_sel:WORD_0 src1_sel:DWORD
	s_nop 1
	v_cndmask_b32_e64 v44, v44, v2, s[2:3]
; %bb.125:                              ;   in Loop: Header=BB157_52 Depth=1
	s_or_b64 exec, exec, s[16:17]
	v_lshlrev_b32_e32 v2, 16, v45
	v_mul_f32_e32 v2, v37, v2
	v_and_b32_e32 v45, 0x7f800000, v2
	v_cmp_ne_u32_e64 s[2:3], s21, v45
                                        ; implicit-def: $vgpr45
	s_and_saveexec_b64 s[16:17], s[2:3]
	s_xor_b64 s[2:3], exec, s[16:17]
; %bb.126:                              ;   in Loop: Header=BB157_52 Depth=1
	v_bfe_u32 v45, v2, 16, 1
	v_add3_u32 v45, v2, v45, s22
                                        ; implicit-def: $vgpr2
; %bb.127:                              ;   in Loop: Header=BB157_52 Depth=1
	s_andn2_saveexec_b64 s[16:17], s[2:3]
; %bb.128:                              ;   in Loop: Header=BB157_52 Depth=1
	v_or_b32_e32 v45, 0x10000, v2
	v_cmp_eq_u32_sdwa s[2:3], v2, v15 src0_sel:WORD_0 src1_sel:DWORD
	s_nop 1
	v_cndmask_b32_e64 v45, v45, v2, s[2:3]
; %bb.129:                              ;   in Loop: Header=BB157_52 Depth=1
	s_or_b64 exec, exec, s[16:17]
	v_lshlrev_b32_e32 v2, 16, v3
	v_mul_f32_e32 v2, v38, v2
	v_and_b32_e32 v3, 0x7f800000, v2
	v_cmp_ne_u32_e64 s[2:3], s21, v3
                                        ; implicit-def: $vgpr46
	s_and_saveexec_b64 s[16:17], s[2:3]
	s_xor_b64 s[2:3], exec, s[16:17]
; %bb.130:                              ;   in Loop: Header=BB157_52 Depth=1
	v_bfe_u32 v3, v2, 16, 1
	v_add3_u32 v46, v2, v3, s22
                                        ; implicit-def: $vgpr2
; %bb.131:                              ;   in Loop: Header=BB157_52 Depth=1
	s_andn2_saveexec_b64 s[16:17], s[2:3]
; %bb.132:                              ;   in Loop: Header=BB157_52 Depth=1
	v_or_b32_e32 v3, 0x10000, v2
	v_cmp_eq_u32_sdwa s[2:3], v2, v15 src0_sel:WORD_0 src1_sel:DWORD
	s_nop 1
	v_cndmask_b32_e64 v46, v3, v2, s[2:3]
; %bb.133:                              ;   in Loop: Header=BB157_52 Depth=1
	s_or_b64 exec, exec, s[16:17]
	v_lshlrev_b32_e32 v2, 16, v47
	v_mul_f32_e32 v2, v39, v2
	v_and_b32_e32 v3, 0x7f800000, v2
	v_cmp_ne_u32_e64 s[2:3], s21, v3
                                        ; implicit-def: $vgpr47
	s_and_saveexec_b64 s[16:17], s[2:3]
	s_xor_b64 s[2:3], exec, s[16:17]
; %bb.134:                              ;   in Loop: Header=BB157_52 Depth=1
	v_bfe_u32 v3, v2, 16, 1
	v_add3_u32 v47, v2, v3, s22
                                        ; implicit-def: $vgpr2
; %bb.135:                              ;   in Loop: Header=BB157_52 Depth=1
	s_andn2_saveexec_b64 s[16:17], s[2:3]
; %bb.136:                              ;   in Loop: Header=BB157_52 Depth=1
	v_or_b32_e32 v3, 0x10000, v2
	v_cmp_eq_u32_sdwa s[2:3], v2, v15 src0_sel:WORD_0 src1_sel:DWORD
	s_nop 1
	v_cndmask_b32_e64 v47, v3, v2, s[2:3]
; %bb.137:                              ;   in Loop: Header=BB157_52 Depth=1
	s_or_b64 exec, exec, s[16:17]
	v_lshlrev_b32_e32 v2, 16, v4
	v_mul_f32_e32 v2, v40, v2
	v_and_b32_e32 v3, 0x7f800000, v2
	v_cmp_ne_u32_e64 s[2:3], s21, v3
                                        ; implicit-def: $vgpr48
	s_and_saveexec_b64 s[16:17], s[2:3]
	s_xor_b64 s[2:3], exec, s[16:17]
; %bb.138:                              ;   in Loop: Header=BB157_52 Depth=1
	v_bfe_u32 v3, v2, 16, 1
	v_add3_u32 v48, v2, v3, s22
                                        ; implicit-def: $vgpr2
; %bb.139:                              ;   in Loop: Header=BB157_52 Depth=1
	s_andn2_saveexec_b64 s[16:17], s[2:3]
; %bb.140:                              ;   in Loop: Header=BB157_52 Depth=1
	v_or_b32_e32 v3, 0x10000, v2
	v_cmp_eq_u32_sdwa s[2:3], v2, v15 src0_sel:WORD_0 src1_sel:DWORD
	s_nop 1
	v_cndmask_b32_e64 v48, v3, v2, s[2:3]
; %bb.141:                              ;   in Loop: Header=BB157_52 Depth=1
	s_or_b64 exec, exec, s[16:17]
	v_lshlrev_b32_e32 v2, 16, v49
	v_mul_f32_e32 v2, v41, v2
	v_and_b32_e32 v3, 0x7f800000, v2
	v_cmp_ne_u32_e64 s[2:3], s21, v3
                                        ; implicit-def: $vgpr49
	s_and_saveexec_b64 s[16:17], s[2:3]
	s_xor_b64 s[2:3], exec, s[16:17]
; %bb.142:                              ;   in Loop: Header=BB157_52 Depth=1
	v_bfe_u32 v3, v2, 16, 1
	v_add3_u32 v49, v2, v3, s22
                                        ; implicit-def: $vgpr2
; %bb.143:                              ;   in Loop: Header=BB157_52 Depth=1
	s_andn2_saveexec_b64 s[16:17], s[2:3]
; %bb.144:                              ;   in Loop: Header=BB157_52 Depth=1
	v_or_b32_e32 v3, 0x10000, v2
	v_cmp_eq_u32_sdwa s[2:3], v2, v15 src0_sel:WORD_0 src1_sel:DWORD
	s_nop 1
	v_cndmask_b32_e64 v49, v3, v2, s[2:3]
; %bb.145:                              ;   in Loop: Header=BB157_52 Depth=1
	s_or_b64 exec, exec, s[16:17]
	v_lshlrev_b32_e32 v2, 16, v5
	v_mul_f32_e32 v2, v42, v2
	v_and_b32_e32 v3, 0x7f800000, v2
	v_cmp_ne_u32_e64 s[2:3], s21, v3
                                        ; implicit-def: $vgpr50
	s_and_saveexec_b64 s[16:17], s[2:3]
	s_xor_b64 s[2:3], exec, s[16:17]
; %bb.146:                              ;   in Loop: Header=BB157_52 Depth=1
	v_bfe_u32 v3, v2, 16, 1
	v_add3_u32 v50, v2, v3, s22
                                        ; implicit-def: $vgpr2
; %bb.147:                              ;   in Loop: Header=BB157_52 Depth=1
	s_andn2_saveexec_b64 s[16:17], s[2:3]
; %bb.148:                              ;   in Loop: Header=BB157_52 Depth=1
	v_or_b32_e32 v3, 0x10000, v2
	v_cmp_eq_u32_sdwa s[2:3], v2, v15 src0_sel:WORD_0 src1_sel:DWORD
	s_nop 1
	v_cndmask_b32_e64 v50, v3, v2, s[2:3]
; %bb.149:                              ;   in Loop: Header=BB157_52 Depth=1
	s_or_b64 exec, exec, s[16:17]
	v_lshlrev_b32_e32 v2, 16, v21
	v_mul_f32_e32 v2, v43, v2
	v_and_b32_e32 v3, 0x7f800000, v2
	v_cmp_ne_u32_e64 s[2:3], s21, v3
                                        ; implicit-def: $vgpr51
	s_and_saveexec_b64 s[16:17], s[2:3]
	s_xor_b64 s[2:3], exec, s[16:17]
; %bb.150:                              ;   in Loop: Header=BB157_52 Depth=1
	v_bfe_u32 v3, v2, 16, 1
	v_add3_u32 v51, v2, v3, s22
                                        ; implicit-def: $vgpr2
; %bb.151:                              ;   in Loop: Header=BB157_52 Depth=1
	s_andn2_saveexec_b64 s[16:17], s[2:3]
; %bb.152:                              ;   in Loop: Header=BB157_52 Depth=1
	v_or_b32_e32 v3, 0x10000, v2
	v_cmp_eq_u32_sdwa s[2:3], v2, v15 src0_sel:WORD_0 src1_sel:DWORD
	s_nop 1
	v_cndmask_b32_e64 v51, v3, v2, s[2:3]
; %bb.153:                              ;   in Loop: Header=BB157_52 Depth=1
	s_or_b64 exec, exec, s[16:17]
	global_load_dwordx4 v[2:5], v[8:9], off offset:2048
	s_waitcnt vmcnt(0)
	v_lshrrev_b32_e32 v9, 16, v2
	v_lshrrev_b32_e32 v53, 16, v3
	;; [unrolled: 1-line block ×4, first 2 shown]
	s_and_saveexec_b64 s[16:17], s[0:1]
	s_cbranch_execz .LBB157_155
; %bb.154:                              ;   in Loop: Header=BB157_52 Depth=1
	v_cmp_gt_i32_e64 s[2:3], s29, v34
	v_add_u32_e32 v8, 1, v34
	s_nop 0
	v_cndmask_b32_e64 v2, 0, v2, s[2:3]
	v_cmp_gt_i32_e64 s[2:3], s29, v8
	v_add_u32_e32 v8, 2, v34
	s_nop 0
	v_cndmask_b32_e64 v9, 0, v9, s[2:3]
	;; [unrolled: 4-line block ×7, first 2 shown]
	v_cmp_gt_i32_e64 s[2:3], s29, v8
	s_nop 1
	v_cndmask_b32_e64 v21, 0, v21, s[2:3]
.LBB157_155:                            ;   in Loop: Header=BB157_52 Depth=1
	s_or_b64 exec, exec, s[16:17]
	v_lshlrev_b32_e32 v2, 16, v2
	v_mul_f32_e32 v2, v36, v2
	v_and_b32_e32 v8, 0x7f800000, v2
	v_cmp_ne_u32_e64 s[2:3], s21, v8
                                        ; implicit-def: $vgpr8
	s_and_saveexec_b64 s[16:17], s[2:3]
	s_xor_b64 s[2:3], exec, s[16:17]
; %bb.156:                              ;   in Loop: Header=BB157_52 Depth=1
	v_bfe_u32 v8, v2, 16, 1
	v_add3_u32 v8, v2, v8, s22
                                        ; implicit-def: $vgpr2
; %bb.157:                              ;   in Loop: Header=BB157_52 Depth=1
	s_andn2_saveexec_b64 s[16:17], s[2:3]
; %bb.158:                              ;   in Loop: Header=BB157_52 Depth=1
	v_or_b32_e32 v8, 0x10000, v2
	v_cmp_eq_u32_sdwa s[2:3], v2, v15 src0_sel:WORD_0 src1_sel:DWORD
	s_nop 1
	v_cndmask_b32_e64 v8, v8, v2, s[2:3]
; %bb.159:                              ;   in Loop: Header=BB157_52 Depth=1
	s_or_b64 exec, exec, s[16:17]
	v_lshlrev_b32_e32 v2, 16, v9
	v_mul_f32_e32 v2, v37, v2
	v_and_b32_e32 v9, 0x7f800000, v2
	v_cmp_ne_u32_e64 s[2:3], s21, v9
                                        ; implicit-def: $vgpr9
	s_and_saveexec_b64 s[16:17], s[2:3]
	s_xor_b64 s[2:3], exec, s[16:17]
; %bb.160:                              ;   in Loop: Header=BB157_52 Depth=1
	v_bfe_u32 v9, v2, 16, 1
	v_add3_u32 v9, v2, v9, s22
                                        ; implicit-def: $vgpr2
; %bb.161:                              ;   in Loop: Header=BB157_52 Depth=1
	s_andn2_saveexec_b64 s[16:17], s[2:3]
; %bb.162:                              ;   in Loop: Header=BB157_52 Depth=1
	v_or_b32_e32 v9, 0x10000, v2
	v_cmp_eq_u32_sdwa s[2:3], v2, v15 src0_sel:WORD_0 src1_sel:DWORD
	s_nop 1
	v_cndmask_b32_e64 v9, v9, v2, s[2:3]
; %bb.163:                              ;   in Loop: Header=BB157_52 Depth=1
	s_or_b64 exec, exec, s[16:17]
	v_lshlrev_b32_e32 v2, 16, v3
	v_mul_f32_e32 v2, v38, v2
	v_and_b32_e32 v3, 0x7f800000, v2
	v_cmp_ne_u32_e64 s[2:3], s21, v3
                                        ; implicit-def: $vgpr52
	s_and_saveexec_b64 s[16:17], s[2:3]
	s_xor_b64 s[2:3], exec, s[16:17]
; %bb.164:                              ;   in Loop: Header=BB157_52 Depth=1
	v_bfe_u32 v3, v2, 16, 1
	v_add3_u32 v52, v2, v3, s22
                                        ; implicit-def: $vgpr2
; %bb.165:                              ;   in Loop: Header=BB157_52 Depth=1
	s_andn2_saveexec_b64 s[16:17], s[2:3]
; %bb.166:                              ;   in Loop: Header=BB157_52 Depth=1
	v_or_b32_e32 v3, 0x10000, v2
	v_cmp_eq_u32_sdwa s[2:3], v2, v15 src0_sel:WORD_0 src1_sel:DWORD
	s_nop 1
	v_cndmask_b32_e64 v52, v3, v2, s[2:3]
; %bb.167:                              ;   in Loop: Header=BB157_52 Depth=1
	s_or_b64 exec, exec, s[16:17]
	v_lshlrev_b32_e32 v2, 16, v53
	v_mul_f32_e32 v2, v39, v2
	v_and_b32_e32 v3, 0x7f800000, v2
	v_cmp_ne_u32_e64 s[2:3], s21, v3
                                        ; implicit-def: $vgpr53
	s_and_saveexec_b64 s[16:17], s[2:3]
	s_xor_b64 s[2:3], exec, s[16:17]
; %bb.168:                              ;   in Loop: Header=BB157_52 Depth=1
	v_bfe_u32 v3, v2, 16, 1
	v_add3_u32 v53, v2, v3, s22
                                        ; implicit-def: $vgpr2
; %bb.169:                              ;   in Loop: Header=BB157_52 Depth=1
	s_andn2_saveexec_b64 s[16:17], s[2:3]
; %bb.170:                              ;   in Loop: Header=BB157_52 Depth=1
	v_or_b32_e32 v3, 0x10000, v2
	v_cmp_eq_u32_sdwa s[2:3], v2, v15 src0_sel:WORD_0 src1_sel:DWORD
	s_nop 1
	v_cndmask_b32_e64 v53, v3, v2, s[2:3]
; %bb.171:                              ;   in Loop: Header=BB157_52 Depth=1
	s_or_b64 exec, exec, s[16:17]
	v_lshlrev_b32_e32 v2, 16, v4
	v_mul_f32_e32 v2, v40, v2
	v_and_b32_e32 v3, 0x7f800000, v2
	v_cmp_ne_u32_e64 s[2:3], s21, v3
                                        ; implicit-def: $vgpr54
	s_and_saveexec_b64 s[16:17], s[2:3]
	s_xor_b64 s[2:3], exec, s[16:17]
; %bb.172:                              ;   in Loop: Header=BB157_52 Depth=1
	v_bfe_u32 v3, v2, 16, 1
	v_add3_u32 v54, v2, v3, s22
                                        ; implicit-def: $vgpr2
; %bb.173:                              ;   in Loop: Header=BB157_52 Depth=1
	s_andn2_saveexec_b64 s[16:17], s[2:3]
; %bb.174:                              ;   in Loop: Header=BB157_52 Depth=1
	v_or_b32_e32 v3, 0x10000, v2
	v_cmp_eq_u32_sdwa s[2:3], v2, v15 src0_sel:WORD_0 src1_sel:DWORD
	s_nop 1
	v_cndmask_b32_e64 v54, v3, v2, s[2:3]
; %bb.175:                              ;   in Loop: Header=BB157_52 Depth=1
	s_or_b64 exec, exec, s[16:17]
	v_lshlrev_b32_e32 v2, 16, v55
	v_mul_f32_e32 v2, v41, v2
	v_and_b32_e32 v3, 0x7f800000, v2
	v_cmp_ne_u32_e64 s[2:3], s21, v3
                                        ; implicit-def: $vgpr55
	s_and_saveexec_b64 s[16:17], s[2:3]
	s_xor_b64 s[2:3], exec, s[16:17]
; %bb.176:                              ;   in Loop: Header=BB157_52 Depth=1
	v_bfe_u32 v3, v2, 16, 1
	v_add3_u32 v55, v2, v3, s22
                                        ; implicit-def: $vgpr2
; %bb.177:                              ;   in Loop: Header=BB157_52 Depth=1
	s_andn2_saveexec_b64 s[16:17], s[2:3]
; %bb.178:                              ;   in Loop: Header=BB157_52 Depth=1
	v_or_b32_e32 v3, 0x10000, v2
	v_cmp_eq_u32_sdwa s[2:3], v2, v15 src0_sel:WORD_0 src1_sel:DWORD
	s_nop 1
	v_cndmask_b32_e64 v55, v3, v2, s[2:3]
; %bb.179:                              ;   in Loop: Header=BB157_52 Depth=1
	s_or_b64 exec, exec, s[16:17]
	v_lshlrev_b32_e32 v2, 16, v5
	v_mul_f32_e32 v2, v42, v2
	v_and_b32_e32 v3, 0x7f800000, v2
	v_cmp_ne_u32_e64 s[2:3], s21, v3
                                        ; implicit-def: $vgpr56
	s_and_saveexec_b64 s[16:17], s[2:3]
	s_xor_b64 s[2:3], exec, s[16:17]
; %bb.180:                              ;   in Loop: Header=BB157_52 Depth=1
	v_bfe_u32 v3, v2, 16, 1
	v_add3_u32 v56, v2, v3, s22
                                        ; implicit-def: $vgpr2
; %bb.181:                              ;   in Loop: Header=BB157_52 Depth=1
	s_andn2_saveexec_b64 s[16:17], s[2:3]
; %bb.182:                              ;   in Loop: Header=BB157_52 Depth=1
	v_or_b32_e32 v3, 0x10000, v2
	v_cmp_eq_u32_sdwa s[2:3], v2, v15 src0_sel:WORD_0 src1_sel:DWORD
	s_nop 1
	v_cndmask_b32_e64 v56, v3, v2, s[2:3]
; %bb.183:                              ;   in Loop: Header=BB157_52 Depth=1
	s_or_b64 exec, exec, s[16:17]
	v_lshlrev_b32_e32 v2, 16, v21
	v_mul_f32_e32 v2, v43, v2
	v_and_b32_e32 v3, 0x7f800000, v2
	v_cmp_ne_u32_e64 s[2:3], s21, v3
                                        ; implicit-def: $vgpr57
	s_and_saveexec_b64 s[16:17], s[2:3]
	s_xor_b64 s[2:3], exec, s[16:17]
	s_cbranch_execnz .LBB157_186
; %bb.184:                              ;   in Loop: Header=BB157_52 Depth=1
	s_andn2_saveexec_b64 s[16:17], s[2:3]
	s_cbranch_execnz .LBB157_187
.LBB157_185:                            ;   in Loop: Header=BB157_52 Depth=1
	s_or_b64 exec, exec, s[16:17]
	s_and_saveexec_b64 s[2:3], vcc
	s_cbranch_execz .LBB157_50
	s_branch .LBB157_188
.LBB157_186:                            ;   in Loop: Header=BB157_52 Depth=1
	v_bfe_u32 v3, v2, 16, 1
	v_add3_u32 v57, v2, v3, s22
                                        ; implicit-def: $vgpr2
	s_andn2_saveexec_b64 s[16:17], s[2:3]
	s_cbranch_execz .LBB157_185
.LBB157_187:                            ;   in Loop: Header=BB157_52 Depth=1
	v_or_b32_e32 v3, 0x10000, v2
	v_cmp_eq_u32_sdwa s[2:3], v2, v15 src0_sel:WORD_0 src1_sel:DWORD
	s_nop 1
	v_cndmask_b32_e64 v57, v3, v2, s[2:3]
	s_or_b64 exec, exec, s[16:17]
	s_and_saveexec_b64 s[2:3], vcc
	s_cbranch_execz .LBB157_50
.LBB157_188:                            ;   in Loop: Header=BB157_52 Depth=1
	v_mov_b32_e32 v21, v15
	v_lshl_add_u64 v[2:3], v[6:7], 0, v[20:21]
	global_load_dwordx4 v[2:5], v[2:3], off
	s_waitcnt vmcnt(0)
	v_lshrrev_b32_e32 v7, 16, v2
	v_lshrrev_b32_e32 v58, 16, v3
	;; [unrolled: 1-line block ×4, first 2 shown]
	s_and_saveexec_b64 s[16:17], s[0:1]
	s_cbranch_execz .LBB157_190
; %bb.189:                              ;   in Loop: Header=BB157_52 Depth=1
	v_cmp_gt_i32_e64 s[0:1], s29, v34
	v_add_u32_e32 v59, 1, v34
	s_nop 0
	v_cndmask_b32_e64 v2, 0, v2, s[0:1]
	v_cmp_gt_i32_e64 s[0:1], s29, v59
	v_add_u32_e32 v59, 2, v34
	s_nop 0
	v_cndmask_b32_e64 v7, 0, v7, s[0:1]
	;; [unrolled: 4-line block ×5, first 2 shown]
	v_cmp_gt_i32_e64 s[0:1], s29, v59
	v_add_u32_e32 v59, 6, v34
	v_add_u32_e32 v34, 7, v34
	v_cndmask_b32_e64 v21, 0, v21, s[0:1]
	v_cmp_gt_i32_e64 s[0:1], s29, v59
	s_nop 1
	v_cndmask_b32_e64 v5, 0, v5, s[0:1]
	v_cmp_gt_i32_e64 s[0:1], s29, v34
	s_nop 1
	v_cndmask_b32_e64 v6, 0, v6, s[0:1]
.LBB157_190:                            ;   in Loop: Header=BB157_52 Depth=1
	s_or_b64 exec, exec, s[16:17]
	v_lshlrev_b32_e32 v2, 16, v2
	v_mul_f32_e32 v34, v36, v2
	v_and_b32_e32 v2, 0x7f800000, v34
	v_cmp_ne_u32_e64 s[0:1], s21, v2
                                        ; implicit-def: $vgpr2
	s_and_saveexec_b64 s[16:17], s[0:1]
	s_xor_b64 s[0:1], exec, s[16:17]
; %bb.191:                              ;   in Loop: Header=BB157_52 Depth=1
	v_bfe_u32 v2, v34, 16, 1
	v_add3_u32 v2, v34, v2, s22
                                        ; implicit-def: $vgpr34
; %bb.192:                              ;   in Loop: Header=BB157_52 Depth=1
	s_andn2_saveexec_b64 s[16:17], s[0:1]
; %bb.193:                              ;   in Loop: Header=BB157_52 Depth=1
	v_or_b32_e32 v2, 0x10000, v34
	v_cmp_eq_u32_sdwa s[0:1], v34, v15 src0_sel:WORD_0 src1_sel:DWORD
	s_nop 1
	v_cndmask_b32_e64 v2, v2, v34, s[0:1]
; %bb.194:                              ;   in Loop: Header=BB157_52 Depth=1
	s_or_b64 exec, exec, s[16:17]
	v_lshlrev_b32_e32 v7, 16, v7
	v_mul_f32_e32 v34, v37, v7
	v_and_b32_e32 v7, 0x7f800000, v34
	v_cmp_ne_u32_e64 s[0:1], s21, v7
                                        ; implicit-def: $vgpr7
	s_and_saveexec_b64 s[16:17], s[0:1]
	s_xor_b64 s[0:1], exec, s[16:17]
; %bb.195:                              ;   in Loop: Header=BB157_52 Depth=1
	v_bfe_u32 v7, v34, 16, 1
	v_add3_u32 v7, v34, v7, s22
                                        ; implicit-def: $vgpr34
; %bb.196:                              ;   in Loop: Header=BB157_52 Depth=1
	s_andn2_saveexec_b64 s[16:17], s[0:1]
; %bb.197:                              ;   in Loop: Header=BB157_52 Depth=1
	v_or_b32_e32 v7, 0x10000, v34
	v_cmp_eq_u32_sdwa s[0:1], v34, v15 src0_sel:WORD_0 src1_sel:DWORD
	s_nop 1
	v_cndmask_b32_e64 v7, v7, v34, s[0:1]
; %bb.198:                              ;   in Loop: Header=BB157_52 Depth=1
	s_or_b64 exec, exec, s[16:17]
	v_lshlrev_b32_e32 v3, 16, v3
	v_mul_f32_e32 v34, v38, v3
	v_and_b32_e32 v3, 0x7f800000, v34
	v_cmp_ne_u32_e64 s[0:1], s21, v3
                                        ; implicit-def: $vgpr3
	s_and_saveexec_b64 s[16:17], s[0:1]
	s_xor_b64 s[0:1], exec, s[16:17]
; %bb.199:                              ;   in Loop: Header=BB157_52 Depth=1
	v_bfe_u32 v3, v34, 16, 1
	v_add3_u32 v3, v34, v3, s22
                                        ; implicit-def: $vgpr34
; %bb.200:                              ;   in Loop: Header=BB157_52 Depth=1
	s_andn2_saveexec_b64 s[16:17], s[0:1]
; %bb.201:                              ;   in Loop: Header=BB157_52 Depth=1
	v_or_b32_e32 v3, 0x10000, v34
	v_cmp_eq_u32_sdwa s[0:1], v34, v15 src0_sel:WORD_0 src1_sel:DWORD
	s_nop 1
	v_cndmask_b32_e64 v3, v3, v34, s[0:1]
; %bb.202:                              ;   in Loop: Header=BB157_52 Depth=1
	s_or_b64 exec, exec, s[16:17]
	v_lshlrev_b32_e32 v34, 16, v58
	v_mul_f32_e32 v36, v39, v34
	v_and_b32_e32 v34, 0x7f800000, v36
	v_cmp_ne_u32_e64 s[0:1], s21, v34
                                        ; implicit-def: $vgpr34
	s_and_saveexec_b64 s[16:17], s[0:1]
	s_xor_b64 s[0:1], exec, s[16:17]
; %bb.203:                              ;   in Loop: Header=BB157_52 Depth=1
	v_bfe_u32 v34, v36, 16, 1
	v_add3_u32 v34, v36, v34, s22
                                        ; implicit-def: $vgpr36
; %bb.204:                              ;   in Loop: Header=BB157_52 Depth=1
	s_andn2_saveexec_b64 s[16:17], s[0:1]
; %bb.205:                              ;   in Loop: Header=BB157_52 Depth=1
	v_or_b32_e32 v34, 0x10000, v36
	v_cmp_eq_u32_sdwa s[0:1], v36, v15 src0_sel:WORD_0 src1_sel:DWORD
	s_nop 1
	v_cndmask_b32_e64 v34, v34, v36, s[0:1]
; %bb.206:                              ;   in Loop: Header=BB157_52 Depth=1
	s_or_b64 exec, exec, s[16:17]
	v_lshlrev_b32_e32 v4, 16, v4
	v_mul_f32_e32 v36, v40, v4
	v_and_b32_e32 v4, 0x7f800000, v36
	v_cmp_ne_u32_e64 s[0:1], s21, v4
                                        ; implicit-def: $vgpr4
	s_and_saveexec_b64 s[16:17], s[0:1]
	s_xor_b64 s[0:1], exec, s[16:17]
; %bb.207:                              ;   in Loop: Header=BB157_52 Depth=1
	v_bfe_u32 v4, v36, 16, 1
	v_add3_u32 v4, v36, v4, s22
                                        ; implicit-def: $vgpr36
; %bb.208:                              ;   in Loop: Header=BB157_52 Depth=1
	s_andn2_saveexec_b64 s[16:17], s[0:1]
; %bb.209:                              ;   in Loop: Header=BB157_52 Depth=1
	v_or_b32_e32 v4, 0x10000, v36
	v_cmp_eq_u32_sdwa s[0:1], v36, v15 src0_sel:WORD_0 src1_sel:DWORD
	s_nop 1
	v_cndmask_b32_e64 v4, v4, v36, s[0:1]
; %bb.210:                              ;   in Loop: Header=BB157_52 Depth=1
	s_or_b64 exec, exec, s[16:17]
	v_lshlrev_b32_e32 v21, 16, v21
	v_mul_f32_e32 v36, v41, v21
	v_and_b32_e32 v21, 0x7f800000, v36
	v_cmp_ne_u32_e64 s[0:1], s21, v21
                                        ; implicit-def: $vgpr21
	s_and_saveexec_b64 s[16:17], s[0:1]
	s_xor_b64 s[0:1], exec, s[16:17]
; %bb.211:                              ;   in Loop: Header=BB157_52 Depth=1
	v_bfe_u32 v21, v36, 16, 1
	v_add3_u32 v21, v36, v21, s22
                                        ; implicit-def: $vgpr36
; %bb.212:                              ;   in Loop: Header=BB157_52 Depth=1
	s_andn2_saveexec_b64 s[16:17], s[0:1]
; %bb.213:                              ;   in Loop: Header=BB157_52 Depth=1
	v_or_b32_e32 v21, 0x10000, v36
	v_cmp_eq_u32_sdwa s[0:1], v36, v15 src0_sel:WORD_0 src1_sel:DWORD
	s_nop 1
	v_cndmask_b32_e64 v21, v21, v36, s[0:1]
; %bb.214:                              ;   in Loop: Header=BB157_52 Depth=1
	s_or_b64 exec, exec, s[16:17]
	v_lshlrev_b32_e32 v5, 16, v5
	v_mul_f32_e32 v36, v42, v5
	v_and_b32_e32 v5, 0x7f800000, v36
	v_cmp_ne_u32_e64 s[0:1], s21, v5
                                        ; implicit-def: $vgpr5
	s_and_saveexec_b64 s[16:17], s[0:1]
	s_xor_b64 s[0:1], exec, s[16:17]
; %bb.215:                              ;   in Loop: Header=BB157_52 Depth=1
	v_bfe_u32 v5, v36, 16, 1
	v_add3_u32 v5, v36, v5, s22
                                        ; implicit-def: $vgpr36
; %bb.216:                              ;   in Loop: Header=BB157_52 Depth=1
	s_andn2_saveexec_b64 s[16:17], s[0:1]
; %bb.217:                              ;   in Loop: Header=BB157_52 Depth=1
	v_or_b32_e32 v5, 0x10000, v36
	v_cmp_eq_u32_sdwa s[0:1], v36, v15 src0_sel:WORD_0 src1_sel:DWORD
	s_nop 1
	v_cndmask_b32_e64 v5, v5, v36, s[0:1]
; %bb.218:                              ;   in Loop: Header=BB157_52 Depth=1
	s_or_b64 exec, exec, s[16:17]
	v_lshlrev_b32_e32 v6, 16, v6
	v_mul_f32_e32 v6, v43, v6
	v_and_b32_e32 v36, 0x7f800000, v6
	v_cmp_ne_u32_e64 s[0:1], s21, v36
                                        ; implicit-def: $vgpr36
	s_and_saveexec_b64 s[16:17], s[0:1]
	s_xor_b64 s[0:1], exec, s[16:17]
; %bb.219:                              ;   in Loop: Header=BB157_52 Depth=1
	v_bfe_u32 v36, v6, 16, 1
	v_add3_u32 v36, v6, v36, s22
                                        ; implicit-def: $vgpr6
; %bb.220:                              ;   in Loop: Header=BB157_52 Depth=1
	s_andn2_saveexec_b64 s[16:17], s[0:1]
	s_cbranch_execz .LBB157_49
; %bb.221:                              ;   in Loop: Header=BB157_52 Depth=1
	v_or_b32_e32 v36, 0x10000, v6
	v_cmp_eq_u32_sdwa s[0:1], v6, v15 src0_sel:WORD_0 src1_sel:DWORD
	s_nop 1
	v_cndmask_b32_e64 v36, v36, v6, s[0:1]
	s_branch .LBB157_49
.LBB157_222:
	s_or_b64 exec, exec, s[12:13]
.LBB157_223:
	s_or_b64 exec, exec, s[10:11]
	ds_bpermute_b32 v2, v22, v16
	ds_bpermute_b32 v3, v22, v17
	ds_bpermute_b32 v6, v22, v12
	ds_bpermute_b32 v7, v22, v13
	v_and_b32_e32 v1, 0x3c0, v0
	v_cmp_eq_u32_e32 vcc, 64, v1
	s_waitcnt lgkmcnt(2)
	v_pk_add_f32 v[4:5], v[16:17], v[2:3]
	s_waitcnt lgkmcnt(0)
	v_pk_add_f32 v[2:3], v[12:13], v[6:7]
	s_barrier
	s_and_saveexec_b64 s[2:3], vcc
	s_cbranch_execz .LBB157_228
; %bb.224:
	v_cmp_eq_u32_e32 vcc, 0, v23
	s_and_saveexec_b64 s[0:1], vcc
	s_cbranch_execz .LBB157_226
; %bb.225:
	v_mov_b32_e32 v1, 0xf0
	v_lshl_add_u32 v1, v24, 2, v1
	ds_write2_b32 v1, v4, v5 offset1:32
	ds_write_b32 v1, v2 offset:256
.LBB157_226:
	s_or_b64 exec, exec, s[0:1]
	v_or_b32_e32 v1, 0x60, v24
	s_movk_i32 s0, 0x70
	v_cmp_gt_u32_e64 s[0:1], s0, v1
	s_and_b64 s[0:1], vcc, s[0:1]
	s_and_b64 exec, exec, s[0:1]
	s_cbranch_execz .LBB157_228
; %bb.227:
	v_mov_b32_e32 v1, 0xf0
	v_lshl_add_u32 v1, v24, 2, v1
	ds_write_b32 v1, v3 offset:384
.LBB157_228:
	s_or_b64 exec, exec, s[2:3]
	v_cmp_gt_u32_e32 vcc, 64, v0
	v_lshrrev_b32_e32 v6, 1, v0
	s_waitcnt lgkmcnt(0)
	s_barrier
	s_and_saveexec_b64 s[8:9], vcc
	s_cbranch_execz .LBB157_236
; %bb.229:
	v_cmp_eq_u32_e64 s[0:1], 0, v23
	s_and_saveexec_b64 s[2:3], s[0:1]
	s_cbranch_execnz .LBB157_258
; %bb.230:
	s_or_b64 exec, exec, s[2:3]
	s_and_saveexec_b64 s[2:3], s[0:1]
	s_cbranch_execnz .LBB157_259
.LBB157_231:
	s_or_b64 exec, exec, s[2:3]
	s_and_saveexec_b64 s[2:3], s[0:1]
	s_cbranch_execz .LBB157_233
.LBB157_232:
	v_mov_b32_e32 v0, 0xf0
	v_lshl_add_u32 v0, v6, 2, v0
	ds_read_b32 v0, v0 offset:256
	s_waitcnt lgkmcnt(0)
	v_add_f32_e32 v2, v2, v0
.LBB157_233:
	s_or_b64 exec, exec, s[2:3]
	v_or_b32_e32 v0, 0x60, v6
	s_movk_i32 s2, 0x70
	v_cmp_gt_u32_e64 s[2:3], s2, v0
	s_and_b64 s[2:3], s[0:1], s[2:3]
	s_and_saveexec_b64 s[0:1], s[2:3]
	s_cbranch_execz .LBB157_235
; %bb.234:
	v_mov_b32_e32 v0, 0xf0
	v_lshl_add_u32 v0, v6, 2, v0
	ds_read_b32 v0, v0 offset:384
	s_waitcnt lgkmcnt(0)
	v_add_f32_e32 v3, v3, v0
.LBB157_235:
	s_or_b64 exec, exec, s[0:1]
.LBB157_236:
	s_or_b64 exec, exec, s[8:9]
	s_barrier
	s_and_saveexec_b64 s[0:1], vcc
	s_cbranch_execz .LBB157_257
; %bb.237:
	s_mul_i32 s0, s6, 0x70
	s_ashr_i32 s1, s0, 31
	s_lshl_b64 s[0:1], s[0:1], 1
	s_add_u32 s2, s26, s0
	s_mul_i32 s0, s19, s24
	s_addc_u32 s3, s27, s1
	s_ashr_i32 s1, s0, 31
	s_lshl_b64 s[0:1], s[0:1], 1
	s_add_u32 s2, s2, s0
	s_mul_i32 s0, s4, 0x70
	s_addc_u32 s3, s3, s1
	s_ashr_i32 s1, s0, 31
	s_lshl_b64 s[0:1], s[0:1], 1
	s_add_u32 s2, s2, s0
	s_addc_u32 s3, s3, s1
	v_cmp_eq_u32_e32 vcc, 0, v23
	s_and_saveexec_b64 s[4:5], vcc
	s_cbranch_execz .LBB157_251
; %bb.238:
	s_mov_b32 s0, 0x7f800000
	v_and_b32_e32 v0, 0x7f800000, v4
	v_cmp_ne_u32_e64 s[0:1], s0, v0
                                        ; implicit-def: $vgpr7
	s_and_saveexec_b64 s[6:7], s[0:1]
	s_xor_b64 s[0:1], exec, s[6:7]
; %bb.239:
	v_bfe_u32 v0, v4, 16, 1
	s_movk_i32 s6, 0x7fff
	v_add3_u32 v7, v4, v0, s6
; %bb.240:
	s_andn2_saveexec_b64 s[6:7], s[0:1]
; %bb.241:
	v_mov_b32_e32 v0, 0
	v_or_b32_e32 v1, 0x10000, v4
	v_cmp_eq_u32_sdwa s[0:1], v4, v0 src0_sel:WORD_0 src1_sel:DWORD
	s_nop 1
	v_cndmask_b32_e64 v7, v1, v4, s[0:1]
; %bb.242:
	s_or_b64 exec, exec, s[6:7]
	s_mov_b32 s0, 0x7f800000
	v_and_b32_e32 v4, 0x7f800000, v5
	v_lshlrev_b32_e32 v0, 1, v6
	v_mov_b32_e32 v1, 0
	v_cmp_ne_u32_e64 s[0:1], s0, v4
	global_store_short_d16_hi v0, v7, s[2:3]
                                        ; implicit-def: $vgpr4
	s_and_saveexec_b64 s[6:7], s[0:1]
	s_xor_b64 s[0:1], exec, s[6:7]
; %bb.243:
	v_bfe_u32 v4, v5, 16, 1
	s_movk_i32 s6, 0x7fff
	v_add3_u32 v4, v5, v4, s6
; %bb.244:
	s_or_saveexec_b64 s[6:7], s[0:1]
	v_lshl_add_u64 v[0:1], s[2:3], 0, v[0:1]
	s_xor_b64 exec, exec, s[6:7]
; %bb.245:
	v_mov_b32_e32 v4, 0
	v_or_b32_e32 v7, 0x10000, v5
	v_cmp_eq_u32_sdwa s[0:1], v5, v4 src0_sel:WORD_0 src1_sel:DWORD
	s_nop 1
	v_cndmask_b32_e64 v4, v7, v5, s[0:1]
; %bb.246:
	s_or_b64 exec, exec, s[6:7]
	global_store_short_d16_hi v[0:1], v4, off offset:64
	s_mov_b32 s0, 0x7f800000
	v_and_b32_e32 v4, 0x7f800000, v2
	v_cmp_ne_u32_e64 s[0:1], s0, v4
                                        ; implicit-def: $vgpr4
	s_and_saveexec_b64 s[6:7], s[0:1]
	s_xor_b64 s[0:1], exec, s[6:7]
; %bb.247:
	v_bfe_u32 v4, v2, 16, 1
	s_movk_i32 s6, 0x7fff
	v_add3_u32 v4, v2, v4, s6
; %bb.248:
	s_andn2_saveexec_b64 s[6:7], s[0:1]
; %bb.249:
	v_mov_b32_e32 v4, 0
	v_or_b32_e32 v5, 0x10000, v2
	v_cmp_eq_u32_sdwa s[0:1], v2, v4 src0_sel:WORD_0 src1_sel:DWORD
	s_nop 1
	v_cndmask_b32_e64 v4, v5, v2, s[0:1]
; %bb.250:
	s_or_b64 exec, exec, s[6:7]
	global_store_short_d16_hi v[0:1], v4, off offset:128
.LBB157_251:
	s_or_b64 exec, exec, s[4:5]
	v_or_b32_e32 v0, 0x60, v6
	s_movk_i32 s0, 0x70
	v_cmp_gt_u32_e64 s[0:1], s0, v0
	s_and_b64 s[0:1], vcc, s[0:1]
	s_and_b64 exec, exec, s[0:1]
	s_cbranch_execz .LBB157_257
; %bb.252:
	s_mov_b32 s0, 0x7f800000
	v_and_b32_e32 v0, 0x7f800000, v3
	v_cmp_ne_u32_e32 vcc, s0, v0
                                        ; implicit-def: $vgpr4
	s_and_saveexec_b64 s[0:1], vcc
	s_xor_b64 s[0:1], exec, s[0:1]
; %bb.253:
	v_bfe_u32 v0, v3, 16, 1
	s_movk_i32 s4, 0x7fff
	v_add3_u32 v4, v3, v0, s4
                                        ; implicit-def: $vgpr0_vgpr1_vgpr2_vgpr3
; %bb.254:
	s_andn2_saveexec_b64 s[0:1], s[0:1]
; %bb.255:
	v_mov_b32_e32 v0, 0
	v_or_b32_e32 v1, 0x10000, v3
	v_cmp_eq_u32_sdwa vcc, v3, v0 src0_sel:WORD_0 src1_sel:DWORD
	s_nop 1
	v_cndmask_b32_e32 v4, v1, v3, vcc
; %bb.256:
	s_or_b64 exec, exec, s[0:1]
	v_lshlrev_b32_e32 v0, 1, v6
	global_store_short_d16_hi v0, v4, s[2:3] offset:192
.LBB157_257:
	s_endpgm
.LBB157_258:
	v_mov_b32_e32 v0, 0xf0
	v_lshl_add_u32 v0, v6, 2, v0
	ds_read_b32 v0, v0
	s_waitcnt lgkmcnt(0)
	v_add_f32_e32 v4, v4, v0
	s_or_b64 exec, exec, s[2:3]
	s_and_saveexec_b64 s[2:3], s[0:1]
	s_cbranch_execz .LBB157_231
.LBB157_259:
	v_mov_b32_e32 v0, 0xf0
	v_lshl_add_u32 v0, v6, 2, v0
	ds_read_b32 v0, v0 offset:128
	s_waitcnt lgkmcnt(0)
	v_add_f32_e32 v5, v5, v0
	s_or_b64 exec, exec, s[2:3]
	s_and_saveexec_b64 s[2:3], s[0:1]
	s_cbranch_execnz .LBB157_232
	s_branch .LBB157_233
	.section	.rodata,"a",@progbits
	.p2align	6, 0x0
	.amdhsa_kernel _ZN4vllm25paged_attention_v2_kernelI14__hip_bfloat16S1_Li112ELi16ELi128ELNS_18Fp8KVCacheDataTypeE0ELb1ELi512EEEvPfS3_PT_PKS4_PKT0_SA_ifPKiSC_iPKfiiiSE_SE_iiiii
		.amdhsa_group_segment_fixed_size 240
		.amdhsa_private_segment_fixed_size 0
		.amdhsa_kernarg_size 400
		.amdhsa_user_sgpr_count 2
		.amdhsa_user_sgpr_dispatch_ptr 0
		.amdhsa_user_sgpr_queue_ptr 0
		.amdhsa_user_sgpr_kernarg_segment_ptr 1
		.amdhsa_user_sgpr_dispatch_id 0
		.amdhsa_user_sgpr_kernarg_preload_length 0
		.amdhsa_user_sgpr_kernarg_preload_offset 0
		.amdhsa_user_sgpr_private_segment_size 0
		.amdhsa_uses_dynamic_stack 0
		.amdhsa_enable_private_segment 0
		.amdhsa_system_sgpr_workgroup_id_x 1
		.amdhsa_system_sgpr_workgroup_id_y 1
		.amdhsa_system_sgpr_workgroup_id_z 1
		.amdhsa_system_sgpr_workgroup_info 0
		.amdhsa_system_vgpr_workitem_id 0
		.amdhsa_next_free_vgpr 79
		.amdhsa_next_free_sgpr 52
		.amdhsa_accum_offset 80
		.amdhsa_reserve_vcc 1
		.amdhsa_float_round_mode_32 0
		.amdhsa_float_round_mode_16_64 0
		.amdhsa_float_denorm_mode_32 3
		.amdhsa_float_denorm_mode_16_64 3
		.amdhsa_dx10_clamp 1
		.amdhsa_ieee_mode 1
		.amdhsa_fp16_overflow 0
		.amdhsa_tg_split 0
		.amdhsa_exception_fp_ieee_invalid_op 0
		.amdhsa_exception_fp_denorm_src 0
		.amdhsa_exception_fp_ieee_div_zero 0
		.amdhsa_exception_fp_ieee_overflow 0
		.amdhsa_exception_fp_ieee_underflow 0
		.amdhsa_exception_fp_ieee_inexact 0
		.amdhsa_exception_int_div_zero 0
	.end_amdhsa_kernel
	.section	.text._ZN4vllm25paged_attention_v2_kernelI14__hip_bfloat16S1_Li112ELi16ELi128ELNS_18Fp8KVCacheDataTypeE0ELb1ELi512EEEvPfS3_PT_PKS4_PKT0_SA_ifPKiSC_iPKfiiiSE_SE_iiiii,"axG",@progbits,_ZN4vllm25paged_attention_v2_kernelI14__hip_bfloat16S1_Li112ELi16ELi128ELNS_18Fp8KVCacheDataTypeE0ELb1ELi512EEEvPfS3_PT_PKS4_PKT0_SA_ifPKiSC_iPKfiiiSE_SE_iiiii,comdat
.Lfunc_end157:
	.size	_ZN4vllm25paged_attention_v2_kernelI14__hip_bfloat16S1_Li112ELi16ELi128ELNS_18Fp8KVCacheDataTypeE0ELb1ELi512EEEvPfS3_PT_PKS4_PKT0_SA_ifPKiSC_iPKfiiiSE_SE_iiiii, .Lfunc_end157-_ZN4vllm25paged_attention_v2_kernelI14__hip_bfloat16S1_Li112ELi16ELi128ELNS_18Fp8KVCacheDataTypeE0ELb1ELi512EEEvPfS3_PT_PKS4_PKT0_SA_ifPKiSC_iPKfiiiSE_SE_iiiii
                                        ; -- End function
	.section	.AMDGPU.csdata,"",@progbits
; Kernel info:
; codeLenInByte = 10020
; NumSgprs: 58
; NumVgprs: 79
; NumAgprs: 0
; TotalNumVgprs: 79
; ScratchSize: 0
; MemoryBound: 0
; FloatMode: 240
; IeeeMode: 1
; LDSByteSize: 240 bytes/workgroup (compile time only)
; SGPRBlocks: 7
; VGPRBlocks: 9
; NumSGPRsForWavesPerEU: 58
; NumVGPRsForWavesPerEU: 79
; AccumOffset: 80
; Occupancy: 6
; WaveLimiterHint : 1
; COMPUTE_PGM_RSRC2:SCRATCH_EN: 0
; COMPUTE_PGM_RSRC2:USER_SGPR: 2
; COMPUTE_PGM_RSRC2:TRAP_HANDLER: 0
; COMPUTE_PGM_RSRC2:TGID_X_EN: 1
; COMPUTE_PGM_RSRC2:TGID_Y_EN: 1
; COMPUTE_PGM_RSRC2:TGID_Z_EN: 1
; COMPUTE_PGM_RSRC2:TIDIG_COMP_CNT: 0
; COMPUTE_PGM_RSRC3_GFX90A:ACCUM_OFFSET: 19
; COMPUTE_PGM_RSRC3_GFX90A:TG_SPLIT: 0
	.section	.text._ZN4vllm25paged_attention_v2_kernelI14__hip_bfloat16S1_Li120ELi16ELi128ELNS_18Fp8KVCacheDataTypeE0ELb1ELi512EEEvPfS3_PT_PKS4_PKT0_SA_ifPKiSC_iPKfiiiSE_SE_iiiii,"axG",@progbits,_ZN4vllm25paged_attention_v2_kernelI14__hip_bfloat16S1_Li120ELi16ELi128ELNS_18Fp8KVCacheDataTypeE0ELb1ELi512EEEvPfS3_PT_PKS4_PKT0_SA_ifPKiSC_iPKfiiiSE_SE_iiiii,comdat
	.protected	_ZN4vllm25paged_attention_v2_kernelI14__hip_bfloat16S1_Li120ELi16ELi128ELNS_18Fp8KVCacheDataTypeE0ELb1ELi512EEEvPfS3_PT_PKS4_PKT0_SA_ifPKiSC_iPKfiiiSE_SE_iiiii ; -- Begin function _ZN4vllm25paged_attention_v2_kernelI14__hip_bfloat16S1_Li120ELi16ELi128ELNS_18Fp8KVCacheDataTypeE0ELb1ELi512EEEvPfS3_PT_PKS4_PKT0_SA_ifPKiSC_iPKfiiiSE_SE_iiiii
	.globl	_ZN4vllm25paged_attention_v2_kernelI14__hip_bfloat16S1_Li120ELi16ELi128ELNS_18Fp8KVCacheDataTypeE0ELb1ELi512EEEvPfS3_PT_PKS4_PKT0_SA_ifPKiSC_iPKfiiiSE_SE_iiiii
	.p2align	8
	.type	_ZN4vllm25paged_attention_v2_kernelI14__hip_bfloat16S1_Li120ELi16ELi128ELNS_18Fp8KVCacheDataTypeE0ELb1ELi512EEEvPfS3_PT_PKS4_PKT0_SA_ifPKiSC_iPKfiiiSE_SE_iiiii,@function
_ZN4vllm25paged_attention_v2_kernelI14__hip_bfloat16S1_Li120ELi16ELi128ELNS_18Fp8KVCacheDataTypeE0ELb1ELi512EEEvPfS3_PT_PKS4_PKT0_SA_ifPKiSC_iPKfiiiSE_SE_iiiii: ; @_ZN4vllm25paged_attention_v2_kernelI14__hip_bfloat16S1_Li120ELi16ELi128ELNS_18Fp8KVCacheDataTypeE0ELb1ELi512EEEvPfS3_PT_PKS4_PKT0_SA_ifPKiSC_iPKfiiiSE_SE_iiiii
; %bb.0:
	s_load_dwordx2 s[6:7], s[0:1], 0x40
	s_mov_b32 s28, s3
	s_ashr_i32 s29, s3, 31
	s_lshl_b64 s[8:9], s[28:29], 2
	s_waitcnt lgkmcnt(0)
	s_add_u32 s6, s6, s8
	s_addc_u32 s7, s7, s9
	s_load_dword s29, s[6:7], 0x0
	s_lshl_b32 s49, s4, 9
	s_waitcnt lgkmcnt(0)
	s_cmp_ge_i32 s49, s29
	s_cbranch_scc1 .LBB158_257
; %bb.1:
	s_load_dword s5, s[0:1], 0x90
	s_load_dwordx2 s[38:39], s[0:1], 0x30
	s_mov_b32 s50, 0
	s_waitcnt lgkmcnt(0)
	s_abs_i32 s7, s5
	s_abs_i32 s3, s38
	v_cvt_f32_u32_e32 v1, s3
	s_sub_i32 s8, 0, s3
	s_xor_b32 s6, s5, s38
	s_ashr_i32 s6, s6, 31
	v_rcp_iflag_f32_e32 v1, v1
	s_nop 0
	v_mul_f32_e32 v1, 0x4f7ffffe, v1
	v_cvt_u32_f32_e32 v1, v1
	s_nop 0
	v_readfirstlane_b32 s9, v1
	s_mul_i32 s8, s8, s9
	s_mul_hi_u32 s8, s9, s8
	s_add_i32 s9, s9, s8
	s_mul_hi_u32 s8, s7, s9
	s_mul_i32 s9, s8, s3
	s_sub_i32 s7, s7, s9
	s_add_i32 s10, s8, 1
	s_sub_i32 s9, s7, s3
	s_cmp_ge_u32 s7, s3
	s_cselect_b32 s8, s10, s8
	s_cselect_b32 s7, s9, s7
	s_add_i32 s9, s8, 1
	s_cmp_ge_u32 s7, s3
	s_cselect_b32 s3, s9, s8
	s_xor_b32 s3, s3, s6
	s_sub_i32 s11, s3, s6
	s_abs_i32 s8, s11
	v_cvt_f32_u32_e32 v1, s8
	s_load_dwordx2 s[6:7], s[0:1], 0x50
	s_sub_i32 s3, 0, s8
	s_abs_i32 s9, s2
	v_rcp_iflag_f32_e32 v1, v1
	s_nop 0
	v_mul_f32_e32 v1, 0x4f7ffffe, v1
	v_cvt_u32_f32_e32 v1, v1
	s_nop 0
	v_readfirstlane_b32 s10, v1
	s_mul_i32 s3, s3, s10
	s_mul_hi_u32 s3, s10, s3
	s_add_i32 s10, s10, s3
	s_waitcnt lgkmcnt(0)
	s_cmp_eq_u64 s[6:7], 0
	s_mul_hi_u32 s10, s9, s10
	s_cbranch_scc1 .LBB158_3
; %bb.2:
	s_ashr_i32 s3, s2, 31
	s_lshl_b64 s[12:13], s[2:3], 2
	s_add_u32 s6, s6, s12
	s_addc_u32 s7, s7, s13
	s_load_dword s50, s[6:7], 0x0
.LBB158_3:
	s_load_dwordx4 s[12:15], s[0:1], 0x58
	s_ashr_i32 s3, s2, 31
	s_ashr_i32 s11, s11, 31
	v_and_b32_e32 v4, 3, v0
	s_mul_i32 s24, s2, 0x78
	v_cmp_gt_u32_e32 vcc, 60, v0
	s_and_saveexec_b64 s[6:7], vcc
	s_cbranch_execz .LBB158_5
; %bb.4:
	s_load_dwordx2 s[16:17], s[0:1], 0x18
	s_waitcnt lgkmcnt(0)
	s_mul_i32 s18, s28, s12
	s_ashr_i32 s19, s18, 31
	s_lshl_b64 s[18:19], s[18:19], 1
	v_lshlrev_b32_e32 v1, 2, v0
	s_add_u32 s12, s16, s18
	s_addc_u32 s15, s17, s19
	s_ashr_i32 s25, s24, 31
	s_lshl_b64 s[16:17], s[24:25], 1
	s_add_u32 s16, s12, s16
	s_addc_u32 s17, s15, s17
	global_load_dword v1, v1, s[16:17]
	v_and_b32_e32 v2, 0x3fc, v0
	v_mad_u32_u24 v2, v4, 60, v2
	s_waitcnt vmcnt(0)
	ds_write_b32 v2, v1
.LBB158_5:
	s_or_b64 exec, exec, s[6:7]
	s_mul_i32 s6, s10, s8
	s_sub_i32 s6, s9, s6
	s_xor_b32 s3, s3, s11
	s_add_i32 s7, s10, 1
	s_sub_i32 s9, s6, s8
	s_load_dwordx4 s[16:19], s[0:1], 0x78
	s_cmp_ge_u32 s6, s8
	s_cselect_b32 s7, s7, s10
	s_cselect_b32 s6, s9, s6
	s_add_i32 s9, s7, 1
	s_cmp_ge_u32 s6, s8
	s_cselect_b32 s6, s9, s7
	s_load_dword s9, s[0:1], 0x88
	s_waitcnt lgkmcnt(0)
	s_abs_i32 s25, s19
	v_cvt_f32_u32_e32 v1, s25
	s_xor_b32 s6, s6, s3
	s_sub_i32 s10, s6, s3
	s_sub_i32 s6, 0, s25
	v_rcp_iflag_f32_e32 v1, v1
	s_add_i32 s11, s29, -1
	s_abs_i32 s3, s11
	v_mul_f32_e32 v1, 0x4f7ffffe, v1
	v_cvt_u32_f32_e32 v1, v1
	s_barrier
	v_readfirstlane_b32 s33, v1
	s_mul_i32 s6, s6, s33
	s_mul_hi_u32 s6, s33, s6
	s_add_i32 s33, s33, s6
	s_cmp_lt_i32 s9, 0
	s_mul_hi_u32 s8, s3, s33
	s_cbranch_scc0 .LBB158_7
; %bb.6:
	s_mul_i32 s6, s16, s38
	s_add_i32 s6, s10, s6
	s_mul_i32 s6, s6, s9
	s_sub_i32 s46, 1, s6
	s_mov_b64 s[6:7], 0
	s_branch .LBB158_8
.LBB158_7:
	s_mov_b64 s[6:7], -1
                                        ; implicit-def: $sgpr46
.LBB158_8:
	s_load_dwordx2 s[30:31], s[0:1], 0x38
	s_ashr_i32 s11, s11, 31
	s_andn2_b64 vcc, exec, s[6:7]
	s_ashr_i32 s47, s19, 31
	s_cbranch_vccnz .LBB158_10
; %bb.9:
	s_mul_i32 s6, s5, s16
	s_add_i32 s6, s6, s2
	s_mul_i32 s6, s6, s9
	s_add_i32 s46, s6, 1
.LBB158_10:
	s_load_dword s6, s[0:1], 0x48
	s_load_dwordx2 s[36:37], s[0:1], 0x28
	s_load_dword s19, s[0:1], 0x98
	s_load_dwordx4 s[20:23], s[0:1], 0x0
	s_load_dwordx2 s[26:27], s[0:1], 0x10
	s_mul_i32 s7, s8, s25
	s_waitcnt lgkmcnt(0)
	s_mul_i32 s34, s28, s6
	s_sub_i32 s3, s3, s7
	s_ashr_i32 s35, s34, 31
	s_xor_b32 s6, s11, s47
	s_add_i32 s7, s8, 1
	s_sub_i32 s9, s3, s25
	s_cmp_ge_u32 s3, s25
	s_cselect_b32 s7, s7, s8
	s_cselect_b32 s3, s9, s3
	s_add_i32 s8, s7, 1
	s_cmp_ge_u32 s3, s25
	s_cselect_b32 s3, s8, s7
	s_xor_b32 s3, s3, s6
	s_sub_i32 s12, s3, s6
	s_add_i32 s3, s29, 15
	s_ashr_i32 s6, s3, 31
	s_lshr_b32 s6, s6, 28
	s_add_i32 s3, s3, s6
	s_lshl_b32 s16, s4, 5
	s_ashr_i32 s3, s3, 4
	s_add_i32 s6, s16, 32
	v_lshrrev_b32_e32 v6, 6, v0
	s_min_i32 s48, s6, s3
	v_or_b32_e32 v10, s16, v6
	v_cmp_gt_i32_e64 s[8:9], s48, v10
	v_mov_b32_e32 v12, 0xff7fffff
	s_mul_i32 s14, s10, s14
	v_ashrrev_i32_e32 v11, 31, v10
	v_lshl_add_u32 v1, v6, 4, s49
	v_mbcnt_lo_u32_b32 v7, -1, 0
	s_and_saveexec_b64 s[40:41], s[8:9]
	s_cbranch_execz .LBB158_20
; %bb.11:
	s_load_dwordx2 s[0:1], s[0:1], 0x20
	s_ashr_i32 s15, s14, 31
	s_sub_i32 s38, s12, s17
	s_lshl_b64 s[6:7], s[14:15], 1
	v_bfe_u32 v8, v0, 2, 4
	s_waitcnt lgkmcnt(0)
	s_add_u32 s0, s0, s6
	s_addc_u32 s1, s1, s7
	s_abs_i32 s15, s18
	v_cvt_f32_u32_e32 v5, s15
	v_lshlrev_b32_e32 v2, 4, v8
	v_mov_b32_e32 v3, 0
	v_lshl_add_u64 v[12:13], s[0:1], 0, v[2:3]
	v_rcp_iflag_f32_e32 v5, v5
	v_lshlrev_b32_e32 v2, 2, v0
	v_and_b32_e32 v2, 12, v2
	v_lshl_add_u64 v[2:3], v[12:13], 0, v[2:3]
	v_mul_f32_e32 v5, 0x4f7ffffe, v5
	v_cvt_u32_f32_e32 v5, v5
	s_sub_i32 s0, 0, s15
	v_lshlrev_b32_e32 v12, 2, v8
	v_cmp_eq_u32_e32 vcc, 0, v4
	v_mul_u32_u24_e32 v9, 60, v4
	v_mul_lo_u32 v4, s0, v5
	s_lshl_b64 s[0:1], s[34:35], 2
	v_lshl_or_b32 v12, v6, 6, v12
	s_add_u32 s0, s30, s0
	v_add_u32_e32 v15, 0x100, v12
	v_subrev_u32_e32 v12, s29, v8
	v_mbcnt_hi_u32_b32 v18, -1, v7
	v_mul_hi_u32 v4, v5, v4
	s_addc_u32 s1, s31, s1
	v_add_u32_e32 v16, 1, v12
	v_and_b32_e32 v12, 64, v18
	s_mov_b32 s51, s13
	v_cmp_neq_f32_e64 s[6:7], s50, 0
	v_add_u32_e32 v13, v5, v4
	v_lshl_add_u64 v[4:5], v[10:11], 2, s[0:1]
	v_lshl_add_u32 v14, v6, 4, s49
	s_mov_b64 s[42:43], 0
	v_mov_b32_e32 v17, 0xff7fffff
	v_add_u32_e32 v19, 64, v12
	v_xor_b32_e32 v20, 2, v18
	v_xor_b32_e32 v21, 1, v18
	v_mov_b32_e32 v12, 0xff7fffff
	v_mov_b32_e32 v22, v10
	s_branch .LBB158_14
.LBB158_12:                             ;   in Loop: Header=BB158_14 Depth=1
	s_or_b64 exec, exec, s[44:45]
.LBB158_13:                             ;   in Loop: Header=BB158_14 Depth=1
	s_or_b64 exec, exec, s[10:11]
	v_add_u32_e32 v22, 2, v22
	v_cmp_le_i32_e64 s[0:1], s48, v22
	v_lshl_add_u64 v[4:5], v[4:5], 0, 8
	v_add_u32_e32 v14, 32, v14
	s_or_b64 s[42:43], s[0:1], s[42:43]
	v_add_u32_e32 v15, 0x80, v15
	s_andn2_b64 exec, exec, s[42:43]
	s_cbranch_execz .LBB158_19
.LBB158_14:                             ; =>This Inner Loop Header: Depth=1
	s_waitcnt lgkmcnt(0)
	v_sub_u32_e32 v24, 0, v14
	v_max_i32_e32 v24, v14, v24
	v_mul_hi_u32 v25, v24, s33
	v_mul_lo_u32 v26, v25, s25
	v_sub_u32_e32 v24, v24, v26
	v_add_u32_e32 v26, 1, v25
	v_cmp_le_u32_e64 s[0:1], s25, v24
	v_ashrrev_i32_e32 v23, 31, v14
	v_xor_b32_e32 v23, s47, v23
	v_cndmask_b32_e64 v25, v25, v26, s[0:1]
	v_subrev_u32_e32 v26, s25, v24
	v_cndmask_b32_e64 v24, v24, v26, s[0:1]
	v_add_u32_e32 v26, 1, v25
	v_cmp_le_u32_e64 s[0:1], s25, v24
	s_nop 1
	v_cndmask_b32_e64 v24, v25, v26, s[0:1]
	v_xor_b32_e32 v24, v24, v23
	v_sub_u32_e32 v23, v24, v23
	v_add_u32_e32 v24, s46, v23
	v_sub_u32_e32 v26, 0, v24
	v_ashrrev_i32_e32 v25, 31, v24
	v_max_i32_e32 v24, v24, v26
	v_mul_hi_u32 v26, v24, v13
	v_mul_lo_u32 v26, v26, s15
	v_sub_u32_e32 v24, v24, v26
	v_subrev_u32_e32 v26, s15, v24
	v_cmp_le_u32_e64 s[0:1], s15, v24
	v_cmp_ge_i32_e64 s[10:11], s38, v23
	s_nop 0
	v_cndmask_b32_e64 v24, v24, v26, s[0:1]
	v_subrev_u32_e32 v26, s15, v24
	v_cmp_le_u32_e64 s[0:1], s15, v24
	s_nop 1
	v_cndmask_b32_e64 v24, v24, v26, s[0:1]
	v_xor_b32_e32 v24, v24, v25
	v_sub_u32_e32 v24, v24, v25
	v_cmp_ne_u32_e64 s[0:1], 0, v24
	s_and_b64 s[0:1], s[0:1], s[10:11]
	s_and_b64 s[44:45], vcc, s[0:1]
	s_and_saveexec_b64 s[10:11], s[44:45]
	s_cbranch_execz .LBB158_16
; %bb.15:                               ;   in Loop: Header=BB158_14 Depth=1
	ds_write_b32 v15, v17
.LBB158_16:                             ;   in Loop: Header=BB158_14 Depth=1
	s_or_b64 exec, exec, s[10:11]
	s_xor_b64 s[0:1], s[0:1], -1
	s_and_saveexec_b64 s[10:11], s[0:1]
	s_cbranch_execz .LBB158_13
; %bb.17:                               ;   in Loop: Header=BB158_14 Depth=1
	global_load_dword v23, v[4:5], off
	s_waitcnt vmcnt(0)
	v_mad_i64_i32 v[24:25], s[0:1], v23, s51, 0
	v_lshl_add_u64 v[24:25], v[24:25], 1, v[2:3]
	global_load_dword v23, v[24:25], off
	global_load_dword v38, v[24:25], off offset:256
	global_load_dword v39, v[24:25], off offset:512
	;; [unrolled: 1-line block ×14, first 2 shown]
	ds_read2_b32 v[24:25], v9 offset1:1
	ds_read2_b32 v[26:27], v9 offset0:2 offset1:3
	ds_read2_b32 v[28:29], v9 offset0:4 offset1:5
	;; [unrolled: 1-line block ×6, first 2 shown]
	ds_read_b32 v52, v9 offset:56
	s_waitcnt lgkmcnt(7)
	v_lshlrev_b32_e32 v55, 16, v25
	v_and_b32_e32 v25, 0xffff0000, v25
	v_lshlrev_b32_e32 v54, 16, v24
	v_and_b32_e32 v24, 0xffff0000, v24
	s_waitcnt lgkmcnt(6)
	v_lshlrev_b32_e32 v56, 16, v26
	v_and_b32_e32 v26, 0xffff0000, v26
	v_lshlrev_b32_e32 v57, 16, v27
	v_and_b32_e32 v27, 0xffff0000, v27
	;; [unrolled: 5-line block ×7, first 2 shown]
	v_cmp_lt_i32_e64 s[0:1], v20, v19
	s_waitcnt lgkmcnt(0)
	v_lshlrev_b32_e32 v68, 16, v52
	v_and_b32_e32 v52, 0xffff0000, v52
	v_cndmask_b32_e64 v53, v18, v20, s[0:1]
	v_lshlrev_b32_e32 v53, 2, v53
	v_cmp_lt_i32_e64 s[0:1], v21, v19
	s_waitcnt vmcnt(14)
	v_lshlrev_b32_e32 v69, 16, v23
	s_waitcnt vmcnt(13)
	v_lshlrev_b32_e32 v70, 16, v38
	v_and_b32_e32 v38, 0xffff0000, v38
	v_and_b32_e32 v23, 0xffff0000, v23
	v_mul_f32_e32 v55, v55, v70
	v_mul_f32_e32 v25, v25, v38
	s_waitcnt vmcnt(12)
	v_lshlrev_b32_e32 v71, 16, v39
	v_and_b32_e32 v39, 0xffff0000, v39
	v_fmac_f32_e32 v55, v54, v69
	v_fmac_f32_e32 v25, v24, v23
	s_waitcnt vmcnt(11)
	v_lshlrev_b32_e32 v72, 16, v40
	v_and_b32_e32 v40, 0xffff0000, v40
	v_fmac_f32_e32 v55, v56, v71
	v_fmac_f32_e32 v25, v26, v39
	;; [unrolled: 5-line block ×13, first 2 shown]
	v_fmac_f32_e32 v55, v68, v83
	v_fmac_f32_e32 v25, v52, v51
	v_add_f32_e32 v23, v55, v25
	ds_bpermute_b32 v24, v53, v23
	v_cndmask_b32_e64 v25, v18, v21, s[0:1]
	v_lshlrev_b32_e32 v25, 2, v25
	s_waitcnt lgkmcnt(0)
	v_add_f32_e32 v23, v23, v24
	ds_bpermute_b32 v24, v25, v23
	s_and_saveexec_b64 s[44:45], vcc
	s_cbranch_execz .LBB158_12
; %bb.18:                               ;   in Loop: Header=BB158_14 Depth=1
	v_add_u32_e32 v25, v16, v14
	v_cvt_f32_i32_e32 v25, v25
	s_waitcnt lgkmcnt(0)
	v_add_f32_e32 v23, v23, v24
	v_add_u32_e32 v26, v8, v14
	v_cmp_gt_i32_e64 s[0:1], s29, v26
	v_mul_f32_e32 v24, s50, v25
	v_cndmask_b32_e64 v24, 0, v24, s[6:7]
	v_fmac_f32_e32 v24, s39, v23
	v_cndmask_b32_e64 v23, 0, v24, s[0:1]
	ds_write_b32 v15, v23
	v_max_f32_e32 v23, v12, v12
	v_max_f32_e32 v23, v23, v24
	v_cndmask_b32_e64 v12, v12, v23, s[0:1]
	s_branch .LBB158_12
.LBB158_19:
	s_or_b64 exec, exec, s[42:43]
.LBB158_20:
	s_or_b64 exec, exec, s[40:41]
	v_mbcnt_hi_u32_b32 v2, -1, v7
	v_and_b32_e32 v3, 64, v2
	v_add_u32_e32 v3, 64, v3
	v_xor_b32_e32 v4, 32, v2
	v_cmp_lt_i32_e32 vcc, v4, v3
	v_xor_b32_e32 v8, 16, v2
	v_max_f32_e32 v5, v12, v12
	v_cndmask_b32_e32 v4, v2, v4, vcc
	v_lshlrev_b32_e32 v7, 2, v4
	ds_bpermute_b32 v4, v7, v12
	v_cmp_lt_i32_e32 vcc, v8, v3
	v_xor_b32_e32 v9, 8, v2
	s_waitcnt lgkmcnt(0)
	v_max_f32_e32 v4, v4, v4
	v_max_f32_e32 v4, v5, v4
	v_cndmask_b32_e32 v5, v2, v8, vcc
	v_lshlrev_b32_e32 v8, 2, v5
	ds_bpermute_b32 v5, v8, v4
	v_cmp_lt_i32_e32 vcc, v9, v3
	s_waitcnt lgkmcnt(0)
	v_max_f32_e32 v5, v5, v5
	v_max_f32_e32 v4, v4, v5
	v_cndmask_b32_e32 v5, v2, v9, vcc
	v_lshlrev_b32_e32 v13, 2, v5
	ds_bpermute_b32 v5, v13, v4
	v_xor_b32_e32 v9, 4, v2
	v_cmp_lt_i32_e32 vcc, v9, v3
	s_waitcnt lgkmcnt(0)
	v_max_f32_e32 v5, v5, v5
	v_max_f32_e32 v5, v4, v5
	v_cndmask_b32_e32 v4, v2, v9, vcc
	v_lshlrev_b32_e32 v14, 2, v4
	ds_bpermute_b32 v12, v14, v5
	v_and_b32_e32 v4, 63, v0
	v_cmp_eq_u32_e32 vcc, 0, v4
	v_lshlrev_b32_e32 v9, 2, v6
	s_and_saveexec_b64 s[0:1], vcc
	s_cbranch_execz .LBB158_22
; %bb.21:
	s_waitcnt lgkmcnt(0)
	v_max_f32_e32 v12, v12, v12
	v_max_f32_e32 v5, v5, v5
	;; [unrolled: 1-line block ×3, first 2 shown]
	ds_write_b32 v9, v5 offset:240
.LBB158_22:
	s_or_b64 exec, exec, s[0:1]
	v_cmp_gt_u32_e64 s[0:1], 2, v4
	v_mov_b32_e32 v5, 0xff7fffff
	s_waitcnt lgkmcnt(0)
	v_lshlrev_b32_e32 v12, 2, v4
	s_barrier
	s_and_saveexec_b64 s[6:7], s[0:1]
	s_cbranch_execz .LBB158_24
; %bb.23:
	ds_read_b32 v5, v12 offset:240
.LBB158_24:
	s_or_b64 exec, exec, s[6:7]
	v_xor_b32_e32 v15, 1, v2
	v_cmp_lt_i32_e64 s[6:7], v15, v3
	v_mov_b32_e32 v16, 0
	s_nop 0
	v_cndmask_b32_e64 v15, v2, v15, s[6:7]
	v_lshlrev_b32_e32 v22, 2, v15
	s_waitcnt lgkmcnt(0)
	ds_bpermute_b32 v15, v22, v5
	v_max_f32_e32 v5, v5, v5
	s_sub_i32 s6, s48, s16
	s_lshl_b32 s6, s6, 4
	s_add_i32 s6, s6, s49
	s_waitcnt lgkmcnt(0)
	v_max_f32_e32 v15, v15, v15
	v_max_f32_e32 v5, v5, v15
	v_lshlrev_b32_e32 v15, 2, v2
	v_and_b32_e32 v15, 0x100, v15
	ds_bpermute_b32 v5, v15, v5
	s_min_i32 s16, s6, s29
	s_sub_i32 s15, s16, s49
	v_cmp_gt_i32_e64 s[6:7], s15, v0
	s_and_saveexec_b64 s[38:39], s[6:7]
	s_cbranch_execz .LBB158_28
; %bb.25:
	v_mov_b32_e32 v16, 0x100
	v_lshl_add_u32 v17, v0, 2, v16
	s_mov_b64 s[40:41], 0
	v_mov_b32_e32 v16, 0
	v_mov_b32_e32 v18, v0
.LBB158_26:                             ; =>This Inner Loop Header: Depth=1
	ds_read_b32 v19, v17
	v_add_u32_e32 v18, 0x80, v18
	v_cmp_le_i32_e64 s[10:11], s15, v18
	s_or_b64 s[40:41], s[10:11], s[40:41]
	s_waitcnt lgkmcnt(0)
	v_sub_f32_e32 v19, v19, v5
	v_mul_f32_e32 v19, 0x3fb8aa3b, v19
	v_exp_f32_e32 v19, v19
	ds_write_b32 v17, v19
	v_add_f32_e32 v16, v16, v19
	v_add_u32_e32 v17, 0x200, v17
	s_andn2_b64 exec, exec, s[40:41]
	s_cbranch_execnz .LBB158_26
; %bb.27:
	s_or_b64 exec, exec, s[40:41]
.LBB158_28:
	s_or_b64 exec, exec, s[38:39]
	ds_bpermute_b32 v7, v7, v16
	s_waitcnt lgkmcnt(0)
	v_add_f32_e32 v7, v16, v7
	ds_bpermute_b32 v8, v8, v7
	s_waitcnt lgkmcnt(0)
	v_add_f32_e32 v7, v7, v8
	ds_bpermute_b32 v8, v13, v7
	v_xor_b32_e32 v13, 2, v2
	v_cmp_lt_i32_e64 s[10:11], v13, v3
	s_waitcnt lgkmcnt(0)
	v_add_f32_e32 v7, v7, v8
	ds_bpermute_b32 v8, v14, v7
	v_cndmask_b32_e64 v2, v2, v13, s[10:11]
	v_lshlrev_b32_e32 v2, 2, v2
	s_waitcnt lgkmcnt(0)
	v_add_f32_e32 v3, v7, v8
	ds_bpermute_b32 v2, v2, v3
	s_waitcnt lgkmcnt(0)
	v_add_f32_e32 v2, v3, v2
	ds_bpermute_b32 v3, v22, v2
	s_waitcnt lgkmcnt(0)
	v_add_f32_e32 v2, v2, v3
	s_and_saveexec_b64 s[10:11], vcc
	s_cbranch_execz .LBB158_30
; %bb.29:
	ds_write_b32 v9, v2 offset:248
.LBB158_30:
	s_or_b64 exec, exec, s[10:11]
	s_waitcnt lgkmcnt(0)
	s_barrier
	s_and_saveexec_b64 s[10:11], s[0:1]
	s_cbranch_execz .LBB158_32
; %bb.31:
	ds_read_b32 v2, v12 offset:248
.LBB158_32:
	s_or_b64 exec, exec, s[10:11]
	s_waitcnt lgkmcnt(0)
	ds_bpermute_b32 v3, v22, v2
	s_waitcnt lgkmcnt(0)
	v_add_f32_e32 v2, v2, v3
	ds_bpermute_b32 v7, v15, v2
	s_and_saveexec_b64 s[0:1], s[6:7]
	s_cbranch_execz .LBB158_45
; %bb.33:
	s_waitcnt lgkmcnt(0)
	v_add_f32_e32 v2, 0x358637bd, v7
	v_div_scale_f32 v3, s[6:7], v2, v2, 1.0
	v_rcp_f32_e32 v8, v3
	v_div_scale_f32 v9, vcc, 1.0, v2, 1.0
	s_movk_i32 s6, 0x7f
	v_fma_f32 v12, -v3, v8, 1.0
	v_fmac_f32_e32 v8, v12, v8
	v_mul_f32_e32 v12, v9, v8
	v_fma_f32 v13, -v3, v12, v9
	v_fmac_f32_e32 v12, v13, v8
	v_fma_f32 v3, -v3, v12, v9
	v_div_fmas_f32 v3, v3, v8, v12
	v_div_fixup_f32 v2, v3, v2, 1.0
	v_xad_u32 v3, v0, -1, s16
	v_subrev_u32_e32 v8, s49, v3
	v_cmp_lt_u32_e32 vcc, s6, v8
	s_mov_b64 s[10:11], -1
	v_mov_b32_e32 v3, v0
	s_and_saveexec_b64 s[6:7], vcc
	s_cbranch_execz .LBB158_42
; %bb.34:
	v_lshrrev_b32_e32 v8, 7, v8
	v_add_u32_e32 v12, -1, v8
	v_lshrrev_b32_e32 v9, 1, v12
	v_mov_b32_e32 v3, v2
	v_add_u32_e32 v9, 1, v9
	v_cmp_lt_u32_e32 vcc, 13, v12
	v_mov_b32_e32 v14, 0
	s_and_saveexec_b64 s[10:11], vcc
	s_cbranch_execz .LBB158_38
; %bb.35:
	v_mov_b32_e32 v13, 0x100
	v_and_b32_e32 v12, -8, v9
	v_lshl_add_u32 v13, v0, 2, v13
	s_mov_b32 s16, 0
	s_mov_b64 s[38:39], 0
.LBB158_36:                             ; =>This Inner Loop Header: Depth=1
	ds_read2st64_b32 v[14:15], v13 offset1:2
	ds_read2st64_b32 v[16:17], v13 offset0:4 offset1:6
	ds_read2st64_b32 v[18:19], v13 offset0:8 offset1:10
	;; [unrolled: 1-line block ×3, first 2 shown]
	v_add_u32_e32 v12, -8, v12
	s_waitcnt lgkmcnt(3)
	v_pk_mul_f32 v[14:15], v[2:3], v[14:15]
	s_waitcnt lgkmcnt(2)
	v_pk_mul_f32 v[16:17], v[2:3], v[16:17]
	ds_write2st64_b32 v13, v14, v15 offset1:2
	ds_write2st64_b32 v13, v16, v17 offset0:4 offset1:6
	ds_read2st64_b32 v[16:17], v13 offset0:16 offset1:18
	s_waitcnt lgkmcnt(4)
	v_pk_mul_f32 v[14:15], v[2:3], v[18:19]
	ds_write2st64_b32 v13, v14, v15 offset0:8 offset1:10
	s_waitcnt lgkmcnt(4)
	v_pk_mul_f32 v[14:15], v[2:3], v[20:21]
	ds_write2st64_b32 v13, v14, v15 offset0:12 offset1:14
	ds_read2st64_b32 v[14:15], v13 offset0:20 offset1:22
	s_waitcnt lgkmcnt(3)
	v_pk_mul_f32 v[16:17], v[2:3], v[16:17]
	ds_read2st64_b32 v[18:19], v13 offset0:24 offset1:26
	ds_write2st64_b32 v13, v16, v17 offset0:16 offset1:18
	ds_read2st64_b32 v[16:17], v13 offset0:28 offset1:30
	s_waitcnt lgkmcnt(3)
	v_pk_mul_f32 v[14:15], v[2:3], v[14:15]
	ds_write2st64_b32 v13, v14, v15 offset0:20 offset1:22
	s_waitcnt lgkmcnt(3)
	v_pk_mul_f32 v[14:15], v[2:3], v[18:19]
	ds_write2st64_b32 v13, v14, v15 offset0:24 offset1:26
	s_waitcnt lgkmcnt(2)
	v_pk_mul_f32 v[14:15], v[2:3], v[16:17]
	s_add_i32 s16, s16, 16
	v_cmp_eq_u32_e32 vcc, 0, v12
	ds_write2st64_b32 v13, v14, v15 offset0:28 offset1:30
	v_add_u32_e32 v13, 0x2000, v13
	s_or_b64 s[38:39], vcc, s[38:39]
	v_mov_b32_e32 v14, s16
	s_andn2_b64 exec, exec, s[38:39]
	s_cbranch_execnz .LBB158_36
; %bb.37:
	s_or_b64 exec, exec, s[38:39]
.LBB158_38:
	s_or_b64 exec, exec, s[10:11]
	v_and_b32_e32 v9, 7, v9
	v_cmp_ne_u32_e32 vcc, 0, v9
	s_and_saveexec_b64 s[10:11], vcc
	s_cbranch_execz .LBB158_41
; %bb.39:
	v_lshlrev_b32_e32 v12, 9, v14
	v_lshlrev_b32_e32 v13, 2, v0
	s_movk_i32 s16, 0x100
	v_add3_u32 v12, v12, v13, s16
	s_mov_b64 s[38:39], 0
.LBB158_40:                             ; =>This Inner Loop Header: Depth=1
	ds_read2st64_b32 v[14:15], v12 offset1:2
	v_add_u32_e32 v9, -1, v9
	v_cmp_eq_u32_e32 vcc, 0, v9
	s_or_b64 s[38:39], vcc, s[38:39]
	s_waitcnt lgkmcnt(0)
	v_pk_mul_f32 v[14:15], v[2:3], v[14:15]
	ds_write2st64_b32 v12, v14, v15 offset1:2
	v_add_u32_e32 v12, 0x400, v12
	s_andn2_b64 exec, exec, s[38:39]
	s_cbranch_execnz .LBB158_40
.LBB158_41:
	s_or_b64 exec, exec, s[10:11]
	v_add_u32_e32 v8, 1, v8
	v_and_b32_e32 v9, 0x3fffffe, v8
	v_cmp_ne_u32_e32 vcc, v8, v9
	v_lshl_add_u32 v3, v9, 7, v0
	s_orn2_b64 s[10:11], vcc, exec
.LBB158_42:
	s_or_b64 exec, exec, s[6:7]
	s_and_b64 exec, exec, s[10:11]
	s_cbranch_execz .LBB158_45
; %bb.43:
	v_mov_b32_e32 v8, 0x100
	v_lshl_add_u32 v8, v3, 2, v8
	s_mov_b64 s[6:7], 0
.LBB158_44:                             ; =>This Inner Loop Header: Depth=1
	ds_read_b32 v9, v8
	v_add_u32_e32 v3, 0x80, v3
	v_cmp_le_i32_e32 vcc, s15, v3
	s_or_b64 s[6:7], vcc, s[6:7]
	s_waitcnt lgkmcnt(0)
	v_mul_f32_e32 v9, v2, v9
	ds_write_b32 v8, v9
	v_add_u32_e32 v8, 0x200, v8
	s_andn2_b64 exec, exec, s[6:7]
	s_cbranch_execnz .LBB158_44
.LBB158_45:
	s_or_b64 exec, exec, s[0:1]
	s_mul_i32 s0, s19, s28
	v_cmp_eq_u32_e32 vcc, 0, v0
	s_mul_i32 s6, s0, s5
	s_waitcnt lgkmcnt(0)
	s_barrier
	s_and_saveexec_b64 s[0:1], vcc
	s_cbranch_execz .LBB158_47
; %bb.46:
	s_ashr_i32 s7, s6, 31
	s_lshl_b64 s[10:11], s[6:7], 2
	s_add_u32 s5, s22, s10
	s_mul_i32 s22, s19, s2
	s_addc_u32 s7, s23, s11
	s_ashr_i32 s23, s22, 31
	s_lshl_b64 s[22:23], s[22:23], 2
	s_add_u32 s2, s5, s22
	s_addc_u32 s7, s7, s23
	s_ashr_i32 s5, s4, 31
	s_lshl_b64 s[38:39], s[4:5], 2
	s_add_u32 s40, s2, s38
	s_addc_u32 s41, s7, s39
	s_add_u32 s2, s20, s10
	s_addc_u32 s5, s21, s11
	s_add_u32 s2, s2, s22
	s_addc_u32 s5, s5, s23
	s_add_u32 s10, s2, s38
	v_mov_b32_e32 v2, 0
	s_addc_u32 s11, s5, s39
	global_store_dword v2, v5, s[40:41]
	global_store_dword v2, v7, s[10:11]
.LBB158_47:
	s_or_b64 exec, exec, s[0:1]
	v_mov_b32_e32 v13, 0
	v_lshrrev_b32_e32 v24, 1, v4
	v_and_b32_e32 v23, 1, v0
	v_mov_b32_e32 v12, 0
	v_mov_b32_e32 v17, 0
	v_mov_b32_e32 v16, 0
	s_and_saveexec_b64 s[10:11], s[8:9]
	s_cbranch_execz .LBB158_223
; %bb.48:
	s_ashr_i32 s15, s14, 31
	s_sub_i32 s5, s12, s17
	s_lshl_b64 s[0:1], s[14:15], 1
	s_add_u32 s8, s36, s0
	s_addc_u32 s9, s37, s1
	s_abs_i32 s7, s18
	v_cvt_f32_u32_e32 v3, s7
	v_or_b32_e32 v4, 0x60, v24
	s_movk_i32 s0, 0x78
	v_cmp_gt_u32_e32 vcc, s0, v4
	v_rcp_iflag_f32_e32 v3, v3
	s_sub_i32 s0, 0, s7
	v_lshlrev_b32_e32 v2, 3, v0
	s_add_i32 s20, s3, -1
	v_mul_f32_e32 v3, 0x4f7ffffe, v3
	v_cvt_u32_f32_e32 v3, v3
	v_and_b32_e32 v25, 8, v2
	v_lshl_or_b32 v2, v24, 4, v25
	v_mov_b32_e32 v15, 0
	v_mul_lo_u32 v5, s0, v3
	v_mul_hi_u32 v5, v3, v5
	s_lshl_b64 s[0:1], s[34:35], 2
	v_add_u32_e32 v26, v3, v5
	s_add_u32 s0, s30, s0
	v_lshlrev_b32_e32 v3, 5, v23
	v_lshl_or_b32 v4, v4, 4, v25
	s_addc_u32 s1, s31, s1
	v_lshl_or_b32 v3, v6, 6, v3
	s_mov_b32 s18, s13
	v_lshl_add_u64 v[18:19], v[10:11], 2, s[0:1]
	v_add_u32_e32 v11, 0x100, v3
	s_mov_b64 s[12:13], 0
	s_mov_b32 s21, 0x7f800000
	s_movk_i32 s22, 0x7fff
	v_lshlrev_b32_e32 v14, 1, v2
	v_lshlrev_b32_e32 v20, 1, v4
	v_mov_b32_e32 v16, v15
	v_mov_b32_e32 v17, v15
	;; [unrolled: 1-line block ×4, first 2 shown]
	s_branch .LBB158_52
.LBB158_49:                             ;   in Loop: Header=BB158_52 Depth=1
	s_or_b64 exec, exec, s[16:17]
	v_and_b32_e32 v39, 0xffff0000, v34
	v_and_b32_e32 v38, 0xffff0000, v7
	;; [unrolled: 1-line block ×8, first 2 shown]
	v_pk_add_f32 v[2:3], v[2:3], v[38:39]
	v_pk_add_f32 v[4:5], v[4:5], v[36:37]
	v_add_f32_e32 v2, v2, v3
	v_add_f32_e32 v2, v2, v4
	;; [unrolled: 1-line block ×4, first 2 shown]
.LBB158_50:                             ;   in Loop: Header=BB158_52 Depth=1
	s_or_b64 exec, exec, s[2:3]
	v_and_b32_e32 v7, 0xffff0000, v30
	v_and_b32_e32 v6, 0xffff0000, v28
	;; [unrolled: 1-line block ×8, first 2 shown]
	v_pk_add_f32 v[6:7], v[28:29], v[6:7]
	v_pk_add_f32 v[2:3], v[4:5], v[2:3]
	v_add_f32_e32 v4, v6, v7
	v_add_f32_e32 v2, v4, v2
	;; [unrolled: 1-line block ×3, first 2 shown]
	v_and_b32_e32 v7, 0xffff0000, v47
	v_and_b32_e32 v6, 0xffff0000, v45
	;; [unrolled: 1-line block ×4, first 2 shown]
	v_add_f32_e32 v16, v16, v2
	v_and_b32_e32 v3, 0xffff0000, v51
	v_and_b32_e32 v2, 0xffff0000, v49
	;; [unrolled: 1-line block ×4, first 2 shown]
	v_pk_add_f32 v[6:7], v[28:29], v[6:7]
	v_pk_add_f32 v[2:3], v[4:5], v[2:3]
	v_add_f32_e32 v4, v6, v7
	v_add_f32_e32 v2, v4, v2
	;; [unrolled: 1-line block ×3, first 2 shown]
	v_and_b32_e32 v7, 0xffff0000, v53
	v_and_b32_e32 v6, 0xffff0000, v9
	;; [unrolled: 1-line block ×4, first 2 shown]
	v_add_f32_e32 v17, v17, v2
	v_and_b32_e32 v3, 0xffff0000, v57
	v_and_b32_e32 v2, 0xffff0000, v55
	;; [unrolled: 1-line block ×4, first 2 shown]
	v_pk_add_f32 v[6:7], v[8:9], v[6:7]
	v_pk_add_f32 v[2:3], v[4:5], v[2:3]
	v_add_f32_e32 v4, v6, v7
	v_add_f32_e32 v2, v4, v2
	;; [unrolled: 1-line block ×4, first 2 shown]
.LBB158_51:                             ;   in Loop: Header=BB158_52 Depth=1
	s_or_b64 exec, exec, s[14:15]
	v_add_u32_e32 v10, 2, v10
	v_cmp_le_i32_e64 s[0:1], s48, v10
	v_lshl_add_u64 v[18:19], v[18:19], 0, 8
	v_add_u32_e32 v1, 32, v1
	s_or_b64 s[12:13], s[0:1], s[12:13]
	v_add_u32_e32 v11, 0x80, v11
	s_andn2_b64 exec, exec, s[12:13]
	s_cbranch_execz .LBB158_222
.LBB158_52:                             ; =>This Inner Loop Header: Depth=1
	v_sub_u32_e32 v3, 0, v1
	v_max_i32_e32 v3, v1, v3
	v_mul_hi_u32 v4, v3, s33
	v_mul_lo_u32 v5, v4, s25
	v_sub_u32_e32 v3, v3, v5
	v_add_u32_e32 v5, 1, v4
	v_cmp_le_u32_e64 s[0:1], s25, v3
	v_ashrrev_i32_e32 v2, 31, v1
	v_xor_b32_e32 v2, s47, v2
	v_cndmask_b32_e64 v4, v4, v5, s[0:1]
	v_subrev_u32_e32 v5, s25, v3
	v_cndmask_b32_e64 v3, v3, v5, s[0:1]
	v_add_u32_e32 v5, 1, v4
	v_cmp_le_u32_e64 s[0:1], s25, v3
	s_nop 1
	v_cndmask_b32_e64 v3, v4, v5, s[0:1]
	v_xor_b32_e32 v3, v3, v2
	v_sub_u32_e32 v2, v3, v2
	v_add_u32_e32 v3, s46, v2
	v_sub_u32_e32 v5, 0, v3
	v_ashrrev_i32_e32 v4, 31, v3
	v_max_i32_e32 v3, v3, v5
	v_mul_hi_u32 v5, v3, v26
	v_mul_lo_u32 v5, v5, s7
	v_sub_u32_e32 v3, v3, v5
	v_subrev_u32_e32 v5, s7, v3
	v_cmp_le_u32_e64 s[0:1], s7, v3
	v_cmp_lt_i32_e64 s[2:3], s5, v2
	s_nop 0
	v_cndmask_b32_e64 v3, v3, v5, s[0:1]
	v_subrev_u32_e32 v5, s7, v3
	v_cmp_le_u32_e64 s[0:1], s7, v3
	s_nop 1
	v_cndmask_b32_e64 v3, v3, v5, s[0:1]
	v_xor_b32_e32 v3, v3, v4
	v_sub_u32_e32 v3, v3, v4
	v_cmp_eq_u32_e64 s[0:1], 0, v3
	s_or_b64 s[0:1], s[0:1], s[2:3]
	s_and_saveexec_b64 s[14:15], s[0:1]
	s_cbranch_execz .LBB158_51
; %bb.53:                               ;   in Loop: Header=BB158_52 Depth=1
	global_load_dword v34, v[18:19], off
	ds_read2_b64 v[6:9], v11 offset1:1
	ds_read2_b64 v[2:5], v11 offset0:2 offset1:3
                                        ; implicit-def: $vgpr27
	s_waitcnt lgkmcnt(1)
	v_and_b32_e32 v21, 0x7f800000, v6
	v_cmp_ne_u32_e64 s[0:1], s21, v21
	s_and_saveexec_b64 s[2:3], s[0:1]
	s_xor_b64 s[0:1], exec, s[2:3]
; %bb.54:                               ;   in Loop: Header=BB158_52 Depth=1
	v_bfe_u32 v21, v6, 16, 1
	v_add3_u32 v27, v6, v21, s22
; %bb.55:                               ;   in Loop: Header=BB158_52 Depth=1
	s_andn2_saveexec_b64 s[2:3], s[0:1]
; %bb.56:                               ;   in Loop: Header=BB158_52 Depth=1
	v_or_b32_e32 v21, 0x10000, v6
	v_cmp_eq_u32_sdwa s[0:1], v6, v15 src0_sel:WORD_0 src1_sel:DWORD
	s_nop 1
	v_cndmask_b32_e64 v27, v21, v6, s[0:1]
; %bb.57:                               ;   in Loop: Header=BB158_52 Depth=1
	s_or_b64 exec, exec, s[2:3]
	v_and_b32_e32 v6, 0x7f800000, v7
	v_cmp_ne_u32_e64 s[0:1], s21, v6
                                        ; implicit-def: $vgpr28
	s_and_saveexec_b64 s[2:3], s[0:1]
	s_xor_b64 s[0:1], exec, s[2:3]
; %bb.58:                               ;   in Loop: Header=BB158_52 Depth=1
	v_bfe_u32 v6, v7, 16, 1
	v_add3_u32 v28, v7, v6, s22
; %bb.59:                               ;   in Loop: Header=BB158_52 Depth=1
	s_andn2_saveexec_b64 s[2:3], s[0:1]
; %bb.60:                               ;   in Loop: Header=BB158_52 Depth=1
	v_or_b32_e32 v6, 0x10000, v7
	v_cmp_eq_u32_sdwa s[0:1], v7, v15 src0_sel:WORD_0 src1_sel:DWORD
	s_nop 1
	v_cndmask_b32_e64 v28, v6, v7, s[0:1]
; %bb.61:                               ;   in Loop: Header=BB158_52 Depth=1
	s_or_b64 exec, exec, s[2:3]
	v_and_b32_e32 v6, 0x7f800000, v8
	v_cmp_ne_u32_e64 s[0:1], s21, v6
                                        ; implicit-def: $vgpr29
	s_and_saveexec_b64 s[2:3], s[0:1]
	s_xor_b64 s[0:1], exec, s[2:3]
; %bb.62:                               ;   in Loop: Header=BB158_52 Depth=1
	v_bfe_u32 v6, v8, 16, 1
	v_add3_u32 v29, v8, v6, s22
; %bb.63:                               ;   in Loop: Header=BB158_52 Depth=1
	s_andn2_saveexec_b64 s[2:3], s[0:1]
; %bb.64:                               ;   in Loop: Header=BB158_52 Depth=1
	v_or_b32_e32 v6, 0x10000, v8
	v_cmp_eq_u32_sdwa s[0:1], v8, v15 src0_sel:WORD_0 src1_sel:DWORD
	s_nop 1
	v_cndmask_b32_e64 v29, v6, v8, s[0:1]
; %bb.65:                               ;   in Loop: Header=BB158_52 Depth=1
	s_or_b64 exec, exec, s[2:3]
	v_and_b32_e32 v6, 0x7f800000, v9
	v_cmp_ne_u32_e64 s[0:1], s21, v6
                                        ; implicit-def: $vgpr30
	s_and_saveexec_b64 s[2:3], s[0:1]
	s_xor_b64 s[0:1], exec, s[2:3]
; %bb.66:                               ;   in Loop: Header=BB158_52 Depth=1
	v_bfe_u32 v6, v9, 16, 1
	v_add3_u32 v30, v9, v6, s22
                                        ; implicit-def: $vgpr6_vgpr7_vgpr8_vgpr9
; %bb.67:                               ;   in Loop: Header=BB158_52 Depth=1
	s_andn2_saveexec_b64 s[2:3], s[0:1]
; %bb.68:                               ;   in Loop: Header=BB158_52 Depth=1
	v_or_b32_e32 v6, 0x10000, v9
	v_cmp_eq_u32_sdwa s[0:1], v9, v15 src0_sel:WORD_0 src1_sel:DWORD
	s_nop 1
	v_cndmask_b32_e64 v30, v6, v9, s[0:1]
; %bb.69:                               ;   in Loop: Header=BB158_52 Depth=1
	s_or_b64 exec, exec, s[2:3]
	s_waitcnt lgkmcnt(0)
	v_and_b32_e32 v6, 0x7f800000, v2
	v_cmp_ne_u32_e64 s[0:1], s21, v6
                                        ; implicit-def: $vgpr31
	s_and_saveexec_b64 s[2:3], s[0:1]
	s_xor_b64 s[0:1], exec, s[2:3]
; %bb.70:                               ;   in Loop: Header=BB158_52 Depth=1
	v_bfe_u32 v6, v2, 16, 1
	v_add3_u32 v31, v2, v6, s22
; %bb.71:                               ;   in Loop: Header=BB158_52 Depth=1
	s_andn2_saveexec_b64 s[2:3], s[0:1]
; %bb.72:                               ;   in Loop: Header=BB158_52 Depth=1
	v_or_b32_e32 v6, 0x10000, v2
	v_cmp_eq_u32_sdwa s[0:1], v2, v15 src0_sel:WORD_0 src1_sel:DWORD
	s_nop 1
	v_cndmask_b32_e64 v31, v6, v2, s[0:1]
; %bb.73:                               ;   in Loop: Header=BB158_52 Depth=1
	s_or_b64 exec, exec, s[2:3]
	v_and_b32_e32 v2, 0x7f800000, v3
	v_cmp_ne_u32_e64 s[0:1], s21, v2
                                        ; implicit-def: $vgpr32
	s_and_saveexec_b64 s[2:3], s[0:1]
	s_xor_b64 s[0:1], exec, s[2:3]
; %bb.74:                               ;   in Loop: Header=BB158_52 Depth=1
	v_bfe_u32 v2, v3, 16, 1
	v_add3_u32 v32, v3, v2, s22
; %bb.75:                               ;   in Loop: Header=BB158_52 Depth=1
	s_andn2_saveexec_b64 s[2:3], s[0:1]
; %bb.76:                               ;   in Loop: Header=BB158_52 Depth=1
	v_or_b32_e32 v2, 0x10000, v3
	v_cmp_eq_u32_sdwa s[0:1], v3, v15 src0_sel:WORD_0 src1_sel:DWORD
	s_nop 1
	v_cndmask_b32_e64 v32, v2, v3, s[0:1]
; %bb.77:                               ;   in Loop: Header=BB158_52 Depth=1
	s_or_b64 exec, exec, s[2:3]
	v_and_b32_e32 v2, 0x7f800000, v4
	v_cmp_ne_u32_e64 s[0:1], s21, v2
                                        ; implicit-def: $vgpr33
	s_and_saveexec_b64 s[2:3], s[0:1]
	s_xor_b64 s[0:1], exec, s[2:3]
; %bb.78:                               ;   in Loop: Header=BB158_52 Depth=1
	v_bfe_u32 v2, v4, 16, 1
	v_add3_u32 v33, v4, v2, s22
; %bb.79:                               ;   in Loop: Header=BB158_52 Depth=1
	s_andn2_saveexec_b64 s[2:3], s[0:1]
; %bb.80:                               ;   in Loop: Header=BB158_52 Depth=1
	v_or_b32_e32 v2, 0x10000, v4
	v_cmp_eq_u32_sdwa s[0:1], v4, v15 src0_sel:WORD_0 src1_sel:DWORD
	s_nop 1
	v_cndmask_b32_e64 v33, v2, v4, s[0:1]
; %bb.81:                               ;   in Loop: Header=BB158_52 Depth=1
	s_or_b64 exec, exec, s[2:3]
	v_and_b32_e32 v2, 0x7f800000, v5
	v_cmp_ne_u32_e64 s[0:1], s21, v2
                                        ; implicit-def: $vgpr21
	s_and_saveexec_b64 s[2:3], s[0:1]
	s_xor_b64 s[0:1], exec, s[2:3]
; %bb.82:                               ;   in Loop: Header=BB158_52 Depth=1
	v_bfe_u32 v2, v5, 16, 1
	v_add3_u32 v21, v5, v2, s22
                                        ; implicit-def: $vgpr2_vgpr3_vgpr4_vgpr5
; %bb.83:                               ;   in Loop: Header=BB158_52 Depth=1
	s_andn2_saveexec_b64 s[2:3], s[0:1]
; %bb.84:                               ;   in Loop: Header=BB158_52 Depth=1
	v_or_b32_e32 v2, 0x10000, v5
	v_cmp_eq_u32_sdwa s[0:1], v5, v15 src0_sel:WORD_0 src1_sel:DWORD
	s_nop 1
	v_cndmask_b32_e64 v21, v2, v5, s[0:1]
; %bb.85:                               ;   in Loop: Header=BB158_52 Depth=1
	s_or_b64 exec, exec, s[2:3]
	s_waitcnt vmcnt(0)
	v_mad_i64_i32 v[2:3], s[0:1], v34, s18, 0
	v_lshl_add_u64 v[6:7], v[2:3], 1, s[8:9]
	v_lshl_add_u64 v[8:9], v[6:7], 0, v[14:15]
	global_load_dwordx4 v[2:5], v[8:9], off
	v_add_u32_e32 v34, v25, v1
	v_cmp_eq_u32_e64 s[0:1], s20, v10
	s_waitcnt vmcnt(0)
	v_lshrrev_b32_e32 v38, 16, v2
	v_lshrrev_b32_e32 v40, 16, v3
	;; [unrolled: 1-line block ×4, first 2 shown]
	s_and_saveexec_b64 s[16:17], s[0:1]
	s_cbranch_execz .LBB158_87
; %bb.86:                               ;   in Loop: Header=BB158_52 Depth=1
	v_cmp_gt_i32_e64 s[2:3], s29, v34
	v_add_u32_e32 v36, 1, v34
	s_nop 0
	v_cndmask_b32_e64 v2, 0, v2, s[2:3]
	v_cmp_gt_i32_e64 s[2:3], s29, v36
	v_add_u32_e32 v36, 2, v34
	s_nop 0
	v_cndmask_b32_e64 v38, 0, v38, s[2:3]
	v_cmp_gt_i32_e64 s[2:3], s29, v36
	v_add_u32_e32 v36, 3, v34
	s_nop 0
	v_cndmask_b32_e64 v3, 0, v3, s[2:3]
	v_cmp_gt_i32_e64 s[2:3], s29, v36
	v_add_u32_e32 v36, 4, v34
	s_nop 0
	v_cndmask_b32_e64 v40, 0, v40, s[2:3]
	v_cmp_gt_i32_e64 s[2:3], s29, v36
	v_add_u32_e32 v36, 5, v34
	s_nop 0
	v_cndmask_b32_e64 v4, 0, v4, s[2:3]
	v_cmp_gt_i32_e64 s[2:3], s29, v36
	v_add_u32_e32 v36, 6, v34
	s_nop 0
	v_cndmask_b32_e64 v42, 0, v42, s[2:3]
	v_cmp_gt_i32_e64 s[2:3], s29, v36
	v_add_u32_e32 v36, 7, v34
	s_nop 0
	v_cndmask_b32_e64 v5, 0, v5, s[2:3]
	v_cmp_gt_i32_e64 s[2:3], s29, v36
	s_nop 1
	v_cndmask_b32_e64 v35, 0, v35, s[2:3]
.LBB158_87:                             ;   in Loop: Header=BB158_52 Depth=1
	s_or_b64 exec, exec, s[16:17]
	v_and_b32_e32 v36, 0xffff0000, v27
	v_lshlrev_b32_e32 v2, 16, v2
	v_mul_f32_e32 v2, v36, v2
	v_and_b32_e32 v27, 0x7f800000, v2
	v_cmp_ne_u32_e64 s[2:3], s21, v27
                                        ; implicit-def: $vgpr27
	s_and_saveexec_b64 s[16:17], s[2:3]
	s_xor_b64 s[2:3], exec, s[16:17]
; %bb.88:                               ;   in Loop: Header=BB158_52 Depth=1
	v_bfe_u32 v27, v2, 16, 1
	v_add3_u32 v27, v2, v27, s22
                                        ; implicit-def: $vgpr2
; %bb.89:                               ;   in Loop: Header=BB158_52 Depth=1
	s_andn2_saveexec_b64 s[16:17], s[2:3]
; %bb.90:                               ;   in Loop: Header=BB158_52 Depth=1
	v_or_b32_e32 v27, 0x10000, v2
	v_cmp_eq_u32_sdwa s[2:3], v2, v15 src0_sel:WORD_0 src1_sel:DWORD
	s_nop 1
	v_cndmask_b32_e64 v27, v27, v2, s[2:3]
; %bb.91:                               ;   in Loop: Header=BB158_52 Depth=1
	s_or_b64 exec, exec, s[16:17]
	v_and_b32_e32 v37, 0xffff0000, v28
	v_lshlrev_b32_e32 v2, 16, v38
	v_mul_f32_e32 v2, v37, v2
	v_and_b32_e32 v28, 0x7f800000, v2
	v_cmp_ne_u32_e64 s[2:3], s21, v28
                                        ; implicit-def: $vgpr28
	s_and_saveexec_b64 s[16:17], s[2:3]
	s_xor_b64 s[2:3], exec, s[16:17]
; %bb.92:                               ;   in Loop: Header=BB158_52 Depth=1
	v_bfe_u32 v28, v2, 16, 1
	v_add3_u32 v28, v2, v28, s22
                                        ; implicit-def: $vgpr2
; %bb.93:                               ;   in Loop: Header=BB158_52 Depth=1
	s_andn2_saveexec_b64 s[16:17], s[2:3]
; %bb.94:                               ;   in Loop: Header=BB158_52 Depth=1
	v_or_b32_e32 v28, 0x10000, v2
	v_cmp_eq_u32_sdwa s[2:3], v2, v15 src0_sel:WORD_0 src1_sel:DWORD
	s_nop 1
	v_cndmask_b32_e64 v28, v28, v2, s[2:3]
; %bb.95:                               ;   in Loop: Header=BB158_52 Depth=1
	s_or_b64 exec, exec, s[16:17]
	v_and_b32_e32 v38, 0xffff0000, v29
	v_lshlrev_b32_e32 v2, 16, v3
	v_mul_f32_e32 v2, v38, v2
	v_and_b32_e32 v3, 0x7f800000, v2
	v_cmp_ne_u32_e64 s[2:3], s21, v3
                                        ; implicit-def: $vgpr29
	s_and_saveexec_b64 s[16:17], s[2:3]
	s_xor_b64 s[2:3], exec, s[16:17]
; %bb.96:                               ;   in Loop: Header=BB158_52 Depth=1
	v_bfe_u32 v3, v2, 16, 1
	v_add3_u32 v29, v2, v3, s22
                                        ; implicit-def: $vgpr2
; %bb.97:                               ;   in Loop: Header=BB158_52 Depth=1
	s_andn2_saveexec_b64 s[16:17], s[2:3]
; %bb.98:                               ;   in Loop: Header=BB158_52 Depth=1
	v_or_b32_e32 v3, 0x10000, v2
	v_cmp_eq_u32_sdwa s[2:3], v2, v15 src0_sel:WORD_0 src1_sel:DWORD
	s_nop 1
	v_cndmask_b32_e64 v29, v3, v2, s[2:3]
; %bb.99:                               ;   in Loop: Header=BB158_52 Depth=1
	s_or_b64 exec, exec, s[16:17]
	v_and_b32_e32 v39, 0xffff0000, v30
	v_lshlrev_b32_e32 v2, 16, v40
	v_mul_f32_e32 v2, v39, v2
	v_and_b32_e32 v3, 0x7f800000, v2
	v_cmp_ne_u32_e64 s[2:3], s21, v3
                                        ; implicit-def: $vgpr30
	s_and_saveexec_b64 s[16:17], s[2:3]
	s_xor_b64 s[2:3], exec, s[16:17]
; %bb.100:                              ;   in Loop: Header=BB158_52 Depth=1
	v_bfe_u32 v3, v2, 16, 1
	v_add3_u32 v30, v2, v3, s22
                                        ; implicit-def: $vgpr2
; %bb.101:                              ;   in Loop: Header=BB158_52 Depth=1
	s_andn2_saveexec_b64 s[16:17], s[2:3]
; %bb.102:                              ;   in Loop: Header=BB158_52 Depth=1
	v_or_b32_e32 v3, 0x10000, v2
	v_cmp_eq_u32_sdwa s[2:3], v2, v15 src0_sel:WORD_0 src1_sel:DWORD
	s_nop 1
	v_cndmask_b32_e64 v30, v3, v2, s[2:3]
; %bb.103:                              ;   in Loop: Header=BB158_52 Depth=1
	s_or_b64 exec, exec, s[16:17]
	v_and_b32_e32 v40, 0xffff0000, v31
	v_lshlrev_b32_e32 v2, 16, v4
	v_mul_f32_e32 v2, v40, v2
	v_and_b32_e32 v3, 0x7f800000, v2
	v_cmp_ne_u32_e64 s[2:3], s21, v3
                                        ; implicit-def: $vgpr31
	s_and_saveexec_b64 s[16:17], s[2:3]
	s_xor_b64 s[2:3], exec, s[16:17]
; %bb.104:                              ;   in Loop: Header=BB158_52 Depth=1
	v_bfe_u32 v3, v2, 16, 1
	v_add3_u32 v31, v2, v3, s22
                                        ; implicit-def: $vgpr2
; %bb.105:                              ;   in Loop: Header=BB158_52 Depth=1
	s_andn2_saveexec_b64 s[16:17], s[2:3]
; %bb.106:                              ;   in Loop: Header=BB158_52 Depth=1
	v_or_b32_e32 v3, 0x10000, v2
	v_cmp_eq_u32_sdwa s[2:3], v2, v15 src0_sel:WORD_0 src1_sel:DWORD
	s_nop 1
	v_cndmask_b32_e64 v31, v3, v2, s[2:3]
; %bb.107:                              ;   in Loop: Header=BB158_52 Depth=1
	s_or_b64 exec, exec, s[16:17]
	v_and_b32_e32 v41, 0xffff0000, v32
	v_lshlrev_b32_e32 v2, 16, v42
	v_mul_f32_e32 v2, v41, v2
	v_and_b32_e32 v3, 0x7f800000, v2
	v_cmp_ne_u32_e64 s[2:3], s21, v3
                                        ; implicit-def: $vgpr32
	s_and_saveexec_b64 s[16:17], s[2:3]
	s_xor_b64 s[2:3], exec, s[16:17]
; %bb.108:                              ;   in Loop: Header=BB158_52 Depth=1
	v_bfe_u32 v3, v2, 16, 1
	v_add3_u32 v32, v2, v3, s22
                                        ; implicit-def: $vgpr2
; %bb.109:                              ;   in Loop: Header=BB158_52 Depth=1
	s_andn2_saveexec_b64 s[16:17], s[2:3]
; %bb.110:                              ;   in Loop: Header=BB158_52 Depth=1
	v_or_b32_e32 v3, 0x10000, v2
	v_cmp_eq_u32_sdwa s[2:3], v2, v15 src0_sel:WORD_0 src1_sel:DWORD
	s_nop 1
	v_cndmask_b32_e64 v32, v3, v2, s[2:3]
; %bb.111:                              ;   in Loop: Header=BB158_52 Depth=1
	s_or_b64 exec, exec, s[16:17]
	v_and_b32_e32 v42, 0xffff0000, v33
	v_lshlrev_b32_e32 v2, 16, v5
	v_mul_f32_e32 v2, v42, v2
	v_and_b32_e32 v3, 0x7f800000, v2
	v_cmp_ne_u32_e64 s[2:3], s21, v3
                                        ; implicit-def: $vgpr33
	s_and_saveexec_b64 s[16:17], s[2:3]
	s_xor_b64 s[2:3], exec, s[16:17]
; %bb.112:                              ;   in Loop: Header=BB158_52 Depth=1
	v_bfe_u32 v3, v2, 16, 1
	v_add3_u32 v33, v2, v3, s22
                                        ; implicit-def: $vgpr2
; %bb.113:                              ;   in Loop: Header=BB158_52 Depth=1
	s_andn2_saveexec_b64 s[16:17], s[2:3]
; %bb.114:                              ;   in Loop: Header=BB158_52 Depth=1
	v_or_b32_e32 v3, 0x10000, v2
	v_cmp_eq_u32_sdwa s[2:3], v2, v15 src0_sel:WORD_0 src1_sel:DWORD
	s_nop 1
	v_cndmask_b32_e64 v33, v3, v2, s[2:3]
; %bb.115:                              ;   in Loop: Header=BB158_52 Depth=1
	s_or_b64 exec, exec, s[16:17]
	v_and_b32_e32 v43, 0xffff0000, v21
	v_lshlrev_b32_e32 v2, 16, v35
	v_mul_f32_e32 v2, v43, v2
	v_and_b32_e32 v3, 0x7f800000, v2
	v_cmp_ne_u32_e64 s[2:3], s21, v3
                                        ; implicit-def: $vgpr35
	s_and_saveexec_b64 s[16:17], s[2:3]
	s_xor_b64 s[2:3], exec, s[16:17]
; %bb.116:                              ;   in Loop: Header=BB158_52 Depth=1
	v_bfe_u32 v3, v2, 16, 1
	v_add3_u32 v35, v2, v3, s22
                                        ; implicit-def: $vgpr2
; %bb.117:                              ;   in Loop: Header=BB158_52 Depth=1
	s_andn2_saveexec_b64 s[16:17], s[2:3]
; %bb.118:                              ;   in Loop: Header=BB158_52 Depth=1
	v_or_b32_e32 v3, 0x10000, v2
	v_cmp_eq_u32_sdwa s[2:3], v2, v15 src0_sel:WORD_0 src1_sel:DWORD
	s_nop 1
	v_cndmask_b32_e64 v35, v3, v2, s[2:3]
; %bb.119:                              ;   in Loop: Header=BB158_52 Depth=1
	s_or_b64 exec, exec, s[16:17]
	global_load_dwordx4 v[2:5], v[8:9], off offset:1024
	s_waitcnt vmcnt(0)
	v_lshrrev_b32_e32 v45, 16, v2
	v_lshrrev_b32_e32 v47, 16, v3
	;; [unrolled: 1-line block ×4, first 2 shown]
	s_and_saveexec_b64 s[16:17], s[0:1]
	s_cbranch_execz .LBB158_121
; %bb.120:                              ;   in Loop: Header=BB158_52 Depth=1
	v_cmp_gt_i32_e64 s[2:3], s29, v34
	v_add_u32_e32 v44, 1, v34
	s_nop 0
	v_cndmask_b32_e64 v2, 0, v2, s[2:3]
	v_cmp_gt_i32_e64 s[2:3], s29, v44
	v_add_u32_e32 v44, 2, v34
	s_nop 0
	v_cndmask_b32_e64 v45, 0, v45, s[2:3]
	;; [unrolled: 4-line block ×7, first 2 shown]
	v_cmp_gt_i32_e64 s[2:3], s29, v44
	s_nop 1
	v_cndmask_b32_e64 v21, 0, v21, s[2:3]
.LBB158_121:                            ;   in Loop: Header=BB158_52 Depth=1
	s_or_b64 exec, exec, s[16:17]
	v_lshlrev_b32_e32 v2, 16, v2
	v_mul_f32_e32 v2, v36, v2
	v_and_b32_e32 v44, 0x7f800000, v2
	v_cmp_ne_u32_e64 s[2:3], s21, v44
                                        ; implicit-def: $vgpr44
	s_and_saveexec_b64 s[16:17], s[2:3]
	s_xor_b64 s[2:3], exec, s[16:17]
; %bb.122:                              ;   in Loop: Header=BB158_52 Depth=1
	v_bfe_u32 v44, v2, 16, 1
	v_add3_u32 v44, v2, v44, s22
                                        ; implicit-def: $vgpr2
; %bb.123:                              ;   in Loop: Header=BB158_52 Depth=1
	s_andn2_saveexec_b64 s[16:17], s[2:3]
; %bb.124:                              ;   in Loop: Header=BB158_52 Depth=1
	v_or_b32_e32 v44, 0x10000, v2
	v_cmp_eq_u32_sdwa s[2:3], v2, v15 src0_sel:WORD_0 src1_sel:DWORD
	s_nop 1
	v_cndmask_b32_e64 v44, v44, v2, s[2:3]
; %bb.125:                              ;   in Loop: Header=BB158_52 Depth=1
	s_or_b64 exec, exec, s[16:17]
	v_lshlrev_b32_e32 v2, 16, v45
	v_mul_f32_e32 v2, v37, v2
	v_and_b32_e32 v45, 0x7f800000, v2
	v_cmp_ne_u32_e64 s[2:3], s21, v45
                                        ; implicit-def: $vgpr45
	s_and_saveexec_b64 s[16:17], s[2:3]
	s_xor_b64 s[2:3], exec, s[16:17]
; %bb.126:                              ;   in Loop: Header=BB158_52 Depth=1
	v_bfe_u32 v45, v2, 16, 1
	v_add3_u32 v45, v2, v45, s22
                                        ; implicit-def: $vgpr2
; %bb.127:                              ;   in Loop: Header=BB158_52 Depth=1
	s_andn2_saveexec_b64 s[16:17], s[2:3]
; %bb.128:                              ;   in Loop: Header=BB158_52 Depth=1
	v_or_b32_e32 v45, 0x10000, v2
	v_cmp_eq_u32_sdwa s[2:3], v2, v15 src0_sel:WORD_0 src1_sel:DWORD
	s_nop 1
	v_cndmask_b32_e64 v45, v45, v2, s[2:3]
; %bb.129:                              ;   in Loop: Header=BB158_52 Depth=1
	s_or_b64 exec, exec, s[16:17]
	v_lshlrev_b32_e32 v2, 16, v3
	v_mul_f32_e32 v2, v38, v2
	v_and_b32_e32 v3, 0x7f800000, v2
	v_cmp_ne_u32_e64 s[2:3], s21, v3
                                        ; implicit-def: $vgpr46
	s_and_saveexec_b64 s[16:17], s[2:3]
	s_xor_b64 s[2:3], exec, s[16:17]
; %bb.130:                              ;   in Loop: Header=BB158_52 Depth=1
	v_bfe_u32 v3, v2, 16, 1
	v_add3_u32 v46, v2, v3, s22
                                        ; implicit-def: $vgpr2
; %bb.131:                              ;   in Loop: Header=BB158_52 Depth=1
	s_andn2_saveexec_b64 s[16:17], s[2:3]
; %bb.132:                              ;   in Loop: Header=BB158_52 Depth=1
	v_or_b32_e32 v3, 0x10000, v2
	v_cmp_eq_u32_sdwa s[2:3], v2, v15 src0_sel:WORD_0 src1_sel:DWORD
	s_nop 1
	v_cndmask_b32_e64 v46, v3, v2, s[2:3]
; %bb.133:                              ;   in Loop: Header=BB158_52 Depth=1
	s_or_b64 exec, exec, s[16:17]
	v_lshlrev_b32_e32 v2, 16, v47
	v_mul_f32_e32 v2, v39, v2
	v_and_b32_e32 v3, 0x7f800000, v2
	v_cmp_ne_u32_e64 s[2:3], s21, v3
                                        ; implicit-def: $vgpr47
	s_and_saveexec_b64 s[16:17], s[2:3]
	s_xor_b64 s[2:3], exec, s[16:17]
; %bb.134:                              ;   in Loop: Header=BB158_52 Depth=1
	v_bfe_u32 v3, v2, 16, 1
	v_add3_u32 v47, v2, v3, s22
                                        ; implicit-def: $vgpr2
; %bb.135:                              ;   in Loop: Header=BB158_52 Depth=1
	s_andn2_saveexec_b64 s[16:17], s[2:3]
; %bb.136:                              ;   in Loop: Header=BB158_52 Depth=1
	v_or_b32_e32 v3, 0x10000, v2
	v_cmp_eq_u32_sdwa s[2:3], v2, v15 src0_sel:WORD_0 src1_sel:DWORD
	s_nop 1
	v_cndmask_b32_e64 v47, v3, v2, s[2:3]
; %bb.137:                              ;   in Loop: Header=BB158_52 Depth=1
	s_or_b64 exec, exec, s[16:17]
	v_lshlrev_b32_e32 v2, 16, v4
	v_mul_f32_e32 v2, v40, v2
	v_and_b32_e32 v3, 0x7f800000, v2
	v_cmp_ne_u32_e64 s[2:3], s21, v3
                                        ; implicit-def: $vgpr48
	s_and_saveexec_b64 s[16:17], s[2:3]
	s_xor_b64 s[2:3], exec, s[16:17]
; %bb.138:                              ;   in Loop: Header=BB158_52 Depth=1
	v_bfe_u32 v3, v2, 16, 1
	v_add3_u32 v48, v2, v3, s22
                                        ; implicit-def: $vgpr2
; %bb.139:                              ;   in Loop: Header=BB158_52 Depth=1
	s_andn2_saveexec_b64 s[16:17], s[2:3]
; %bb.140:                              ;   in Loop: Header=BB158_52 Depth=1
	v_or_b32_e32 v3, 0x10000, v2
	v_cmp_eq_u32_sdwa s[2:3], v2, v15 src0_sel:WORD_0 src1_sel:DWORD
	s_nop 1
	v_cndmask_b32_e64 v48, v3, v2, s[2:3]
; %bb.141:                              ;   in Loop: Header=BB158_52 Depth=1
	s_or_b64 exec, exec, s[16:17]
	v_lshlrev_b32_e32 v2, 16, v49
	v_mul_f32_e32 v2, v41, v2
	v_and_b32_e32 v3, 0x7f800000, v2
	v_cmp_ne_u32_e64 s[2:3], s21, v3
                                        ; implicit-def: $vgpr49
	s_and_saveexec_b64 s[16:17], s[2:3]
	s_xor_b64 s[2:3], exec, s[16:17]
; %bb.142:                              ;   in Loop: Header=BB158_52 Depth=1
	v_bfe_u32 v3, v2, 16, 1
	v_add3_u32 v49, v2, v3, s22
                                        ; implicit-def: $vgpr2
; %bb.143:                              ;   in Loop: Header=BB158_52 Depth=1
	s_andn2_saveexec_b64 s[16:17], s[2:3]
; %bb.144:                              ;   in Loop: Header=BB158_52 Depth=1
	v_or_b32_e32 v3, 0x10000, v2
	v_cmp_eq_u32_sdwa s[2:3], v2, v15 src0_sel:WORD_0 src1_sel:DWORD
	s_nop 1
	v_cndmask_b32_e64 v49, v3, v2, s[2:3]
; %bb.145:                              ;   in Loop: Header=BB158_52 Depth=1
	s_or_b64 exec, exec, s[16:17]
	v_lshlrev_b32_e32 v2, 16, v5
	v_mul_f32_e32 v2, v42, v2
	v_and_b32_e32 v3, 0x7f800000, v2
	v_cmp_ne_u32_e64 s[2:3], s21, v3
                                        ; implicit-def: $vgpr50
	s_and_saveexec_b64 s[16:17], s[2:3]
	s_xor_b64 s[2:3], exec, s[16:17]
; %bb.146:                              ;   in Loop: Header=BB158_52 Depth=1
	v_bfe_u32 v3, v2, 16, 1
	v_add3_u32 v50, v2, v3, s22
                                        ; implicit-def: $vgpr2
; %bb.147:                              ;   in Loop: Header=BB158_52 Depth=1
	s_andn2_saveexec_b64 s[16:17], s[2:3]
; %bb.148:                              ;   in Loop: Header=BB158_52 Depth=1
	v_or_b32_e32 v3, 0x10000, v2
	v_cmp_eq_u32_sdwa s[2:3], v2, v15 src0_sel:WORD_0 src1_sel:DWORD
	s_nop 1
	v_cndmask_b32_e64 v50, v3, v2, s[2:3]
; %bb.149:                              ;   in Loop: Header=BB158_52 Depth=1
	s_or_b64 exec, exec, s[16:17]
	v_lshlrev_b32_e32 v2, 16, v21
	v_mul_f32_e32 v2, v43, v2
	v_and_b32_e32 v3, 0x7f800000, v2
	v_cmp_ne_u32_e64 s[2:3], s21, v3
                                        ; implicit-def: $vgpr51
	s_and_saveexec_b64 s[16:17], s[2:3]
	s_xor_b64 s[2:3], exec, s[16:17]
; %bb.150:                              ;   in Loop: Header=BB158_52 Depth=1
	v_bfe_u32 v3, v2, 16, 1
	v_add3_u32 v51, v2, v3, s22
                                        ; implicit-def: $vgpr2
; %bb.151:                              ;   in Loop: Header=BB158_52 Depth=1
	s_andn2_saveexec_b64 s[16:17], s[2:3]
; %bb.152:                              ;   in Loop: Header=BB158_52 Depth=1
	v_or_b32_e32 v3, 0x10000, v2
	v_cmp_eq_u32_sdwa s[2:3], v2, v15 src0_sel:WORD_0 src1_sel:DWORD
	s_nop 1
	v_cndmask_b32_e64 v51, v3, v2, s[2:3]
; %bb.153:                              ;   in Loop: Header=BB158_52 Depth=1
	s_or_b64 exec, exec, s[16:17]
	global_load_dwordx4 v[2:5], v[8:9], off offset:2048
	s_waitcnt vmcnt(0)
	v_lshrrev_b32_e32 v9, 16, v2
	v_lshrrev_b32_e32 v53, 16, v3
	;; [unrolled: 1-line block ×4, first 2 shown]
	s_and_saveexec_b64 s[16:17], s[0:1]
	s_cbranch_execz .LBB158_155
; %bb.154:                              ;   in Loop: Header=BB158_52 Depth=1
	v_cmp_gt_i32_e64 s[2:3], s29, v34
	v_add_u32_e32 v8, 1, v34
	s_nop 0
	v_cndmask_b32_e64 v2, 0, v2, s[2:3]
	v_cmp_gt_i32_e64 s[2:3], s29, v8
	v_add_u32_e32 v8, 2, v34
	s_nop 0
	v_cndmask_b32_e64 v9, 0, v9, s[2:3]
	;; [unrolled: 4-line block ×7, first 2 shown]
	v_cmp_gt_i32_e64 s[2:3], s29, v8
	s_nop 1
	v_cndmask_b32_e64 v21, 0, v21, s[2:3]
.LBB158_155:                            ;   in Loop: Header=BB158_52 Depth=1
	s_or_b64 exec, exec, s[16:17]
	v_lshlrev_b32_e32 v2, 16, v2
	v_mul_f32_e32 v2, v36, v2
	v_and_b32_e32 v8, 0x7f800000, v2
	v_cmp_ne_u32_e64 s[2:3], s21, v8
                                        ; implicit-def: $vgpr8
	s_and_saveexec_b64 s[16:17], s[2:3]
	s_xor_b64 s[2:3], exec, s[16:17]
; %bb.156:                              ;   in Loop: Header=BB158_52 Depth=1
	v_bfe_u32 v8, v2, 16, 1
	v_add3_u32 v8, v2, v8, s22
                                        ; implicit-def: $vgpr2
; %bb.157:                              ;   in Loop: Header=BB158_52 Depth=1
	s_andn2_saveexec_b64 s[16:17], s[2:3]
; %bb.158:                              ;   in Loop: Header=BB158_52 Depth=1
	v_or_b32_e32 v8, 0x10000, v2
	v_cmp_eq_u32_sdwa s[2:3], v2, v15 src0_sel:WORD_0 src1_sel:DWORD
	s_nop 1
	v_cndmask_b32_e64 v8, v8, v2, s[2:3]
; %bb.159:                              ;   in Loop: Header=BB158_52 Depth=1
	s_or_b64 exec, exec, s[16:17]
	v_lshlrev_b32_e32 v2, 16, v9
	v_mul_f32_e32 v2, v37, v2
	v_and_b32_e32 v9, 0x7f800000, v2
	v_cmp_ne_u32_e64 s[2:3], s21, v9
                                        ; implicit-def: $vgpr9
	s_and_saveexec_b64 s[16:17], s[2:3]
	s_xor_b64 s[2:3], exec, s[16:17]
; %bb.160:                              ;   in Loop: Header=BB158_52 Depth=1
	v_bfe_u32 v9, v2, 16, 1
	v_add3_u32 v9, v2, v9, s22
                                        ; implicit-def: $vgpr2
; %bb.161:                              ;   in Loop: Header=BB158_52 Depth=1
	s_andn2_saveexec_b64 s[16:17], s[2:3]
; %bb.162:                              ;   in Loop: Header=BB158_52 Depth=1
	v_or_b32_e32 v9, 0x10000, v2
	v_cmp_eq_u32_sdwa s[2:3], v2, v15 src0_sel:WORD_0 src1_sel:DWORD
	s_nop 1
	v_cndmask_b32_e64 v9, v9, v2, s[2:3]
; %bb.163:                              ;   in Loop: Header=BB158_52 Depth=1
	s_or_b64 exec, exec, s[16:17]
	v_lshlrev_b32_e32 v2, 16, v3
	v_mul_f32_e32 v2, v38, v2
	v_and_b32_e32 v3, 0x7f800000, v2
	v_cmp_ne_u32_e64 s[2:3], s21, v3
                                        ; implicit-def: $vgpr52
	s_and_saveexec_b64 s[16:17], s[2:3]
	s_xor_b64 s[2:3], exec, s[16:17]
; %bb.164:                              ;   in Loop: Header=BB158_52 Depth=1
	v_bfe_u32 v3, v2, 16, 1
	v_add3_u32 v52, v2, v3, s22
                                        ; implicit-def: $vgpr2
; %bb.165:                              ;   in Loop: Header=BB158_52 Depth=1
	s_andn2_saveexec_b64 s[16:17], s[2:3]
; %bb.166:                              ;   in Loop: Header=BB158_52 Depth=1
	v_or_b32_e32 v3, 0x10000, v2
	v_cmp_eq_u32_sdwa s[2:3], v2, v15 src0_sel:WORD_0 src1_sel:DWORD
	s_nop 1
	v_cndmask_b32_e64 v52, v3, v2, s[2:3]
; %bb.167:                              ;   in Loop: Header=BB158_52 Depth=1
	s_or_b64 exec, exec, s[16:17]
	v_lshlrev_b32_e32 v2, 16, v53
	v_mul_f32_e32 v2, v39, v2
	v_and_b32_e32 v3, 0x7f800000, v2
	v_cmp_ne_u32_e64 s[2:3], s21, v3
                                        ; implicit-def: $vgpr53
	s_and_saveexec_b64 s[16:17], s[2:3]
	s_xor_b64 s[2:3], exec, s[16:17]
; %bb.168:                              ;   in Loop: Header=BB158_52 Depth=1
	v_bfe_u32 v3, v2, 16, 1
	v_add3_u32 v53, v2, v3, s22
                                        ; implicit-def: $vgpr2
; %bb.169:                              ;   in Loop: Header=BB158_52 Depth=1
	s_andn2_saveexec_b64 s[16:17], s[2:3]
; %bb.170:                              ;   in Loop: Header=BB158_52 Depth=1
	v_or_b32_e32 v3, 0x10000, v2
	v_cmp_eq_u32_sdwa s[2:3], v2, v15 src0_sel:WORD_0 src1_sel:DWORD
	s_nop 1
	v_cndmask_b32_e64 v53, v3, v2, s[2:3]
; %bb.171:                              ;   in Loop: Header=BB158_52 Depth=1
	s_or_b64 exec, exec, s[16:17]
	v_lshlrev_b32_e32 v2, 16, v4
	v_mul_f32_e32 v2, v40, v2
	v_and_b32_e32 v3, 0x7f800000, v2
	v_cmp_ne_u32_e64 s[2:3], s21, v3
                                        ; implicit-def: $vgpr54
	s_and_saveexec_b64 s[16:17], s[2:3]
	s_xor_b64 s[2:3], exec, s[16:17]
; %bb.172:                              ;   in Loop: Header=BB158_52 Depth=1
	v_bfe_u32 v3, v2, 16, 1
	v_add3_u32 v54, v2, v3, s22
                                        ; implicit-def: $vgpr2
; %bb.173:                              ;   in Loop: Header=BB158_52 Depth=1
	s_andn2_saveexec_b64 s[16:17], s[2:3]
; %bb.174:                              ;   in Loop: Header=BB158_52 Depth=1
	v_or_b32_e32 v3, 0x10000, v2
	v_cmp_eq_u32_sdwa s[2:3], v2, v15 src0_sel:WORD_0 src1_sel:DWORD
	s_nop 1
	v_cndmask_b32_e64 v54, v3, v2, s[2:3]
; %bb.175:                              ;   in Loop: Header=BB158_52 Depth=1
	s_or_b64 exec, exec, s[16:17]
	v_lshlrev_b32_e32 v2, 16, v55
	v_mul_f32_e32 v2, v41, v2
	v_and_b32_e32 v3, 0x7f800000, v2
	v_cmp_ne_u32_e64 s[2:3], s21, v3
                                        ; implicit-def: $vgpr55
	s_and_saveexec_b64 s[16:17], s[2:3]
	s_xor_b64 s[2:3], exec, s[16:17]
; %bb.176:                              ;   in Loop: Header=BB158_52 Depth=1
	v_bfe_u32 v3, v2, 16, 1
	v_add3_u32 v55, v2, v3, s22
                                        ; implicit-def: $vgpr2
; %bb.177:                              ;   in Loop: Header=BB158_52 Depth=1
	s_andn2_saveexec_b64 s[16:17], s[2:3]
; %bb.178:                              ;   in Loop: Header=BB158_52 Depth=1
	v_or_b32_e32 v3, 0x10000, v2
	v_cmp_eq_u32_sdwa s[2:3], v2, v15 src0_sel:WORD_0 src1_sel:DWORD
	s_nop 1
	v_cndmask_b32_e64 v55, v3, v2, s[2:3]
; %bb.179:                              ;   in Loop: Header=BB158_52 Depth=1
	s_or_b64 exec, exec, s[16:17]
	v_lshlrev_b32_e32 v2, 16, v5
	v_mul_f32_e32 v2, v42, v2
	v_and_b32_e32 v3, 0x7f800000, v2
	v_cmp_ne_u32_e64 s[2:3], s21, v3
                                        ; implicit-def: $vgpr56
	s_and_saveexec_b64 s[16:17], s[2:3]
	s_xor_b64 s[2:3], exec, s[16:17]
; %bb.180:                              ;   in Loop: Header=BB158_52 Depth=1
	v_bfe_u32 v3, v2, 16, 1
	v_add3_u32 v56, v2, v3, s22
                                        ; implicit-def: $vgpr2
; %bb.181:                              ;   in Loop: Header=BB158_52 Depth=1
	s_andn2_saveexec_b64 s[16:17], s[2:3]
; %bb.182:                              ;   in Loop: Header=BB158_52 Depth=1
	v_or_b32_e32 v3, 0x10000, v2
	v_cmp_eq_u32_sdwa s[2:3], v2, v15 src0_sel:WORD_0 src1_sel:DWORD
	s_nop 1
	v_cndmask_b32_e64 v56, v3, v2, s[2:3]
; %bb.183:                              ;   in Loop: Header=BB158_52 Depth=1
	s_or_b64 exec, exec, s[16:17]
	v_lshlrev_b32_e32 v2, 16, v21
	v_mul_f32_e32 v2, v43, v2
	v_and_b32_e32 v3, 0x7f800000, v2
	v_cmp_ne_u32_e64 s[2:3], s21, v3
                                        ; implicit-def: $vgpr57
	s_and_saveexec_b64 s[16:17], s[2:3]
	s_xor_b64 s[2:3], exec, s[16:17]
	s_cbranch_execnz .LBB158_186
; %bb.184:                              ;   in Loop: Header=BB158_52 Depth=1
	s_andn2_saveexec_b64 s[16:17], s[2:3]
	s_cbranch_execnz .LBB158_187
.LBB158_185:                            ;   in Loop: Header=BB158_52 Depth=1
	s_or_b64 exec, exec, s[16:17]
	s_and_saveexec_b64 s[2:3], vcc
	s_cbranch_execz .LBB158_50
	s_branch .LBB158_188
.LBB158_186:                            ;   in Loop: Header=BB158_52 Depth=1
	v_bfe_u32 v3, v2, 16, 1
	v_add3_u32 v57, v2, v3, s22
                                        ; implicit-def: $vgpr2
	s_andn2_saveexec_b64 s[16:17], s[2:3]
	s_cbranch_execz .LBB158_185
.LBB158_187:                            ;   in Loop: Header=BB158_52 Depth=1
	v_or_b32_e32 v3, 0x10000, v2
	v_cmp_eq_u32_sdwa s[2:3], v2, v15 src0_sel:WORD_0 src1_sel:DWORD
	s_nop 1
	v_cndmask_b32_e64 v57, v3, v2, s[2:3]
	s_or_b64 exec, exec, s[16:17]
	s_and_saveexec_b64 s[2:3], vcc
	s_cbranch_execz .LBB158_50
.LBB158_188:                            ;   in Loop: Header=BB158_52 Depth=1
	v_mov_b32_e32 v21, v15
	v_lshl_add_u64 v[2:3], v[6:7], 0, v[20:21]
	global_load_dwordx4 v[2:5], v[2:3], off
	s_waitcnt vmcnt(0)
	v_lshrrev_b32_e32 v7, 16, v2
	v_lshrrev_b32_e32 v58, 16, v3
	;; [unrolled: 1-line block ×4, first 2 shown]
	s_and_saveexec_b64 s[16:17], s[0:1]
	s_cbranch_execz .LBB158_190
; %bb.189:                              ;   in Loop: Header=BB158_52 Depth=1
	v_cmp_gt_i32_e64 s[0:1], s29, v34
	v_add_u32_e32 v59, 1, v34
	s_nop 0
	v_cndmask_b32_e64 v2, 0, v2, s[0:1]
	v_cmp_gt_i32_e64 s[0:1], s29, v59
	v_add_u32_e32 v59, 2, v34
	s_nop 0
	v_cndmask_b32_e64 v7, 0, v7, s[0:1]
	;; [unrolled: 4-line block ×5, first 2 shown]
	v_cmp_gt_i32_e64 s[0:1], s29, v59
	v_add_u32_e32 v59, 6, v34
	v_add_u32_e32 v34, 7, v34
	v_cndmask_b32_e64 v21, 0, v21, s[0:1]
	v_cmp_gt_i32_e64 s[0:1], s29, v59
	s_nop 1
	v_cndmask_b32_e64 v5, 0, v5, s[0:1]
	v_cmp_gt_i32_e64 s[0:1], s29, v34
	s_nop 1
	v_cndmask_b32_e64 v6, 0, v6, s[0:1]
.LBB158_190:                            ;   in Loop: Header=BB158_52 Depth=1
	s_or_b64 exec, exec, s[16:17]
	v_lshlrev_b32_e32 v2, 16, v2
	v_mul_f32_e32 v34, v36, v2
	v_and_b32_e32 v2, 0x7f800000, v34
	v_cmp_ne_u32_e64 s[0:1], s21, v2
                                        ; implicit-def: $vgpr2
	s_and_saveexec_b64 s[16:17], s[0:1]
	s_xor_b64 s[0:1], exec, s[16:17]
; %bb.191:                              ;   in Loop: Header=BB158_52 Depth=1
	v_bfe_u32 v2, v34, 16, 1
	v_add3_u32 v2, v34, v2, s22
                                        ; implicit-def: $vgpr34
; %bb.192:                              ;   in Loop: Header=BB158_52 Depth=1
	s_andn2_saveexec_b64 s[16:17], s[0:1]
; %bb.193:                              ;   in Loop: Header=BB158_52 Depth=1
	v_or_b32_e32 v2, 0x10000, v34
	v_cmp_eq_u32_sdwa s[0:1], v34, v15 src0_sel:WORD_0 src1_sel:DWORD
	s_nop 1
	v_cndmask_b32_e64 v2, v2, v34, s[0:1]
; %bb.194:                              ;   in Loop: Header=BB158_52 Depth=1
	s_or_b64 exec, exec, s[16:17]
	v_lshlrev_b32_e32 v7, 16, v7
	v_mul_f32_e32 v34, v37, v7
	v_and_b32_e32 v7, 0x7f800000, v34
	v_cmp_ne_u32_e64 s[0:1], s21, v7
                                        ; implicit-def: $vgpr7
	s_and_saveexec_b64 s[16:17], s[0:1]
	s_xor_b64 s[0:1], exec, s[16:17]
; %bb.195:                              ;   in Loop: Header=BB158_52 Depth=1
	v_bfe_u32 v7, v34, 16, 1
	v_add3_u32 v7, v34, v7, s22
                                        ; implicit-def: $vgpr34
; %bb.196:                              ;   in Loop: Header=BB158_52 Depth=1
	s_andn2_saveexec_b64 s[16:17], s[0:1]
; %bb.197:                              ;   in Loop: Header=BB158_52 Depth=1
	v_or_b32_e32 v7, 0x10000, v34
	v_cmp_eq_u32_sdwa s[0:1], v34, v15 src0_sel:WORD_0 src1_sel:DWORD
	s_nop 1
	v_cndmask_b32_e64 v7, v7, v34, s[0:1]
; %bb.198:                              ;   in Loop: Header=BB158_52 Depth=1
	s_or_b64 exec, exec, s[16:17]
	v_lshlrev_b32_e32 v3, 16, v3
	v_mul_f32_e32 v34, v38, v3
	v_and_b32_e32 v3, 0x7f800000, v34
	v_cmp_ne_u32_e64 s[0:1], s21, v3
                                        ; implicit-def: $vgpr3
	s_and_saveexec_b64 s[16:17], s[0:1]
	s_xor_b64 s[0:1], exec, s[16:17]
; %bb.199:                              ;   in Loop: Header=BB158_52 Depth=1
	v_bfe_u32 v3, v34, 16, 1
	v_add3_u32 v3, v34, v3, s22
                                        ; implicit-def: $vgpr34
; %bb.200:                              ;   in Loop: Header=BB158_52 Depth=1
	s_andn2_saveexec_b64 s[16:17], s[0:1]
; %bb.201:                              ;   in Loop: Header=BB158_52 Depth=1
	v_or_b32_e32 v3, 0x10000, v34
	v_cmp_eq_u32_sdwa s[0:1], v34, v15 src0_sel:WORD_0 src1_sel:DWORD
	s_nop 1
	v_cndmask_b32_e64 v3, v3, v34, s[0:1]
; %bb.202:                              ;   in Loop: Header=BB158_52 Depth=1
	s_or_b64 exec, exec, s[16:17]
	v_lshlrev_b32_e32 v34, 16, v58
	v_mul_f32_e32 v36, v39, v34
	v_and_b32_e32 v34, 0x7f800000, v36
	v_cmp_ne_u32_e64 s[0:1], s21, v34
                                        ; implicit-def: $vgpr34
	s_and_saveexec_b64 s[16:17], s[0:1]
	s_xor_b64 s[0:1], exec, s[16:17]
; %bb.203:                              ;   in Loop: Header=BB158_52 Depth=1
	v_bfe_u32 v34, v36, 16, 1
	v_add3_u32 v34, v36, v34, s22
                                        ; implicit-def: $vgpr36
; %bb.204:                              ;   in Loop: Header=BB158_52 Depth=1
	s_andn2_saveexec_b64 s[16:17], s[0:1]
; %bb.205:                              ;   in Loop: Header=BB158_52 Depth=1
	v_or_b32_e32 v34, 0x10000, v36
	v_cmp_eq_u32_sdwa s[0:1], v36, v15 src0_sel:WORD_0 src1_sel:DWORD
	s_nop 1
	v_cndmask_b32_e64 v34, v34, v36, s[0:1]
; %bb.206:                              ;   in Loop: Header=BB158_52 Depth=1
	s_or_b64 exec, exec, s[16:17]
	v_lshlrev_b32_e32 v4, 16, v4
	v_mul_f32_e32 v36, v40, v4
	v_and_b32_e32 v4, 0x7f800000, v36
	v_cmp_ne_u32_e64 s[0:1], s21, v4
                                        ; implicit-def: $vgpr4
	s_and_saveexec_b64 s[16:17], s[0:1]
	s_xor_b64 s[0:1], exec, s[16:17]
; %bb.207:                              ;   in Loop: Header=BB158_52 Depth=1
	v_bfe_u32 v4, v36, 16, 1
	v_add3_u32 v4, v36, v4, s22
                                        ; implicit-def: $vgpr36
; %bb.208:                              ;   in Loop: Header=BB158_52 Depth=1
	s_andn2_saveexec_b64 s[16:17], s[0:1]
; %bb.209:                              ;   in Loop: Header=BB158_52 Depth=1
	v_or_b32_e32 v4, 0x10000, v36
	v_cmp_eq_u32_sdwa s[0:1], v36, v15 src0_sel:WORD_0 src1_sel:DWORD
	s_nop 1
	v_cndmask_b32_e64 v4, v4, v36, s[0:1]
; %bb.210:                              ;   in Loop: Header=BB158_52 Depth=1
	s_or_b64 exec, exec, s[16:17]
	v_lshlrev_b32_e32 v21, 16, v21
	v_mul_f32_e32 v36, v41, v21
	v_and_b32_e32 v21, 0x7f800000, v36
	v_cmp_ne_u32_e64 s[0:1], s21, v21
                                        ; implicit-def: $vgpr21
	s_and_saveexec_b64 s[16:17], s[0:1]
	s_xor_b64 s[0:1], exec, s[16:17]
; %bb.211:                              ;   in Loop: Header=BB158_52 Depth=1
	v_bfe_u32 v21, v36, 16, 1
	v_add3_u32 v21, v36, v21, s22
                                        ; implicit-def: $vgpr36
; %bb.212:                              ;   in Loop: Header=BB158_52 Depth=1
	s_andn2_saveexec_b64 s[16:17], s[0:1]
; %bb.213:                              ;   in Loop: Header=BB158_52 Depth=1
	v_or_b32_e32 v21, 0x10000, v36
	v_cmp_eq_u32_sdwa s[0:1], v36, v15 src0_sel:WORD_0 src1_sel:DWORD
	s_nop 1
	v_cndmask_b32_e64 v21, v21, v36, s[0:1]
; %bb.214:                              ;   in Loop: Header=BB158_52 Depth=1
	s_or_b64 exec, exec, s[16:17]
	v_lshlrev_b32_e32 v5, 16, v5
	v_mul_f32_e32 v36, v42, v5
	v_and_b32_e32 v5, 0x7f800000, v36
	v_cmp_ne_u32_e64 s[0:1], s21, v5
                                        ; implicit-def: $vgpr5
	s_and_saveexec_b64 s[16:17], s[0:1]
	s_xor_b64 s[0:1], exec, s[16:17]
; %bb.215:                              ;   in Loop: Header=BB158_52 Depth=1
	v_bfe_u32 v5, v36, 16, 1
	v_add3_u32 v5, v36, v5, s22
                                        ; implicit-def: $vgpr36
; %bb.216:                              ;   in Loop: Header=BB158_52 Depth=1
	s_andn2_saveexec_b64 s[16:17], s[0:1]
; %bb.217:                              ;   in Loop: Header=BB158_52 Depth=1
	v_or_b32_e32 v5, 0x10000, v36
	v_cmp_eq_u32_sdwa s[0:1], v36, v15 src0_sel:WORD_0 src1_sel:DWORD
	s_nop 1
	v_cndmask_b32_e64 v5, v5, v36, s[0:1]
; %bb.218:                              ;   in Loop: Header=BB158_52 Depth=1
	s_or_b64 exec, exec, s[16:17]
	v_lshlrev_b32_e32 v6, 16, v6
	v_mul_f32_e32 v6, v43, v6
	v_and_b32_e32 v36, 0x7f800000, v6
	v_cmp_ne_u32_e64 s[0:1], s21, v36
                                        ; implicit-def: $vgpr36
	s_and_saveexec_b64 s[16:17], s[0:1]
	s_xor_b64 s[0:1], exec, s[16:17]
; %bb.219:                              ;   in Loop: Header=BB158_52 Depth=1
	v_bfe_u32 v36, v6, 16, 1
	v_add3_u32 v36, v6, v36, s22
                                        ; implicit-def: $vgpr6
; %bb.220:                              ;   in Loop: Header=BB158_52 Depth=1
	s_andn2_saveexec_b64 s[16:17], s[0:1]
	s_cbranch_execz .LBB158_49
; %bb.221:                              ;   in Loop: Header=BB158_52 Depth=1
	v_or_b32_e32 v36, 0x10000, v6
	v_cmp_eq_u32_sdwa s[0:1], v6, v15 src0_sel:WORD_0 src1_sel:DWORD
	s_nop 1
	v_cndmask_b32_e64 v36, v36, v6, s[0:1]
	s_branch .LBB158_49
.LBB158_222:
	s_or_b64 exec, exec, s[12:13]
.LBB158_223:
	s_or_b64 exec, exec, s[10:11]
	ds_bpermute_b32 v2, v22, v16
	ds_bpermute_b32 v3, v22, v17
	;; [unrolled: 1-line block ×4, first 2 shown]
	v_and_b32_e32 v1, 0x3c0, v0
	v_cmp_eq_u32_e32 vcc, 64, v1
	s_waitcnt lgkmcnt(2)
	v_pk_add_f32 v[4:5], v[16:17], v[2:3]
	s_waitcnt lgkmcnt(0)
	v_pk_add_f32 v[2:3], v[12:13], v[6:7]
	s_barrier
	s_and_saveexec_b64 s[2:3], vcc
	s_cbranch_execz .LBB158_228
; %bb.224:
	v_cmp_eq_u32_e32 vcc, 0, v23
	s_and_saveexec_b64 s[0:1], vcc
	s_cbranch_execz .LBB158_226
; %bb.225:
	v_mov_b32_e32 v1, 0x100
	v_lshl_add_u32 v1, v24, 2, v1
	ds_write2_b32 v1, v4, v5 offset1:32
	ds_write_b32 v1, v2 offset:256
.LBB158_226:
	s_or_b64 exec, exec, s[0:1]
	v_or_b32_e32 v1, 0x60, v24
	s_movk_i32 s0, 0x78
	v_cmp_gt_u32_e64 s[0:1], s0, v1
	s_and_b64 s[0:1], vcc, s[0:1]
	s_and_b64 exec, exec, s[0:1]
	s_cbranch_execz .LBB158_228
; %bb.227:
	v_mov_b32_e32 v1, 0x100
	v_lshl_add_u32 v1, v24, 2, v1
	ds_write_b32 v1, v3 offset:384
.LBB158_228:
	s_or_b64 exec, exec, s[2:3]
	v_cmp_gt_u32_e32 vcc, 64, v0
	v_lshrrev_b32_e32 v6, 1, v0
	s_waitcnt lgkmcnt(0)
	s_barrier
	s_and_saveexec_b64 s[8:9], vcc
	s_cbranch_execz .LBB158_236
; %bb.229:
	v_cmp_eq_u32_e64 s[0:1], 0, v23
	s_and_saveexec_b64 s[2:3], s[0:1]
	s_cbranch_execnz .LBB158_258
; %bb.230:
	s_or_b64 exec, exec, s[2:3]
	s_and_saveexec_b64 s[2:3], s[0:1]
	s_cbranch_execnz .LBB158_259
.LBB158_231:
	s_or_b64 exec, exec, s[2:3]
	s_and_saveexec_b64 s[2:3], s[0:1]
	s_cbranch_execz .LBB158_233
.LBB158_232:
	v_mov_b32_e32 v0, 0x100
	v_lshl_add_u32 v0, v6, 2, v0
	ds_read_b32 v0, v0 offset:256
	s_waitcnt lgkmcnt(0)
	v_add_f32_e32 v2, v2, v0
.LBB158_233:
	s_or_b64 exec, exec, s[2:3]
	v_or_b32_e32 v0, 0x60, v6
	s_movk_i32 s2, 0x78
	v_cmp_gt_u32_e64 s[2:3], s2, v0
	s_and_b64 s[2:3], s[0:1], s[2:3]
	s_and_saveexec_b64 s[0:1], s[2:3]
	s_cbranch_execz .LBB158_235
; %bb.234:
	v_mov_b32_e32 v0, 0x100
	v_lshl_add_u32 v0, v6, 2, v0
	ds_read_b32 v0, v0 offset:384
	s_waitcnt lgkmcnt(0)
	v_add_f32_e32 v3, v3, v0
.LBB158_235:
	s_or_b64 exec, exec, s[0:1]
.LBB158_236:
	s_or_b64 exec, exec, s[8:9]
	s_barrier
	s_and_saveexec_b64 s[0:1], vcc
	s_cbranch_execz .LBB158_257
; %bb.237:
	s_mul_i32 s0, s6, 0x78
	s_ashr_i32 s1, s0, 31
	s_lshl_b64 s[0:1], s[0:1], 1
	s_add_u32 s2, s26, s0
	s_mul_i32 s0, s19, s24
	s_addc_u32 s3, s27, s1
	s_ashr_i32 s1, s0, 31
	s_lshl_b64 s[0:1], s[0:1], 1
	s_add_u32 s2, s2, s0
	s_mul_i32 s0, s4, 0x78
	s_addc_u32 s3, s3, s1
	s_ashr_i32 s1, s0, 31
	s_lshl_b64 s[0:1], s[0:1], 1
	s_add_u32 s2, s2, s0
	s_addc_u32 s3, s3, s1
	v_cmp_eq_u32_e32 vcc, 0, v23
	s_and_saveexec_b64 s[4:5], vcc
	s_cbranch_execz .LBB158_251
; %bb.238:
	s_mov_b32 s0, 0x7f800000
	v_and_b32_e32 v0, 0x7f800000, v4
	v_cmp_ne_u32_e64 s[0:1], s0, v0
                                        ; implicit-def: $vgpr7
	s_and_saveexec_b64 s[6:7], s[0:1]
	s_xor_b64 s[0:1], exec, s[6:7]
; %bb.239:
	v_bfe_u32 v0, v4, 16, 1
	s_movk_i32 s6, 0x7fff
	v_add3_u32 v7, v4, v0, s6
; %bb.240:
	s_andn2_saveexec_b64 s[6:7], s[0:1]
; %bb.241:
	v_mov_b32_e32 v0, 0
	v_or_b32_e32 v1, 0x10000, v4
	v_cmp_eq_u32_sdwa s[0:1], v4, v0 src0_sel:WORD_0 src1_sel:DWORD
	s_nop 1
	v_cndmask_b32_e64 v7, v1, v4, s[0:1]
; %bb.242:
	s_or_b64 exec, exec, s[6:7]
	s_mov_b32 s0, 0x7f800000
	v_and_b32_e32 v4, 0x7f800000, v5
	v_lshlrev_b32_e32 v0, 1, v6
	v_mov_b32_e32 v1, 0
	v_cmp_ne_u32_e64 s[0:1], s0, v4
	global_store_short_d16_hi v0, v7, s[2:3]
                                        ; implicit-def: $vgpr4
	s_and_saveexec_b64 s[6:7], s[0:1]
	s_xor_b64 s[0:1], exec, s[6:7]
; %bb.243:
	v_bfe_u32 v4, v5, 16, 1
	s_movk_i32 s6, 0x7fff
	v_add3_u32 v4, v5, v4, s6
; %bb.244:
	s_or_saveexec_b64 s[6:7], s[0:1]
	v_lshl_add_u64 v[0:1], s[2:3], 0, v[0:1]
	s_xor_b64 exec, exec, s[6:7]
; %bb.245:
	v_mov_b32_e32 v4, 0
	v_or_b32_e32 v7, 0x10000, v5
	v_cmp_eq_u32_sdwa s[0:1], v5, v4 src0_sel:WORD_0 src1_sel:DWORD
	s_nop 1
	v_cndmask_b32_e64 v4, v7, v5, s[0:1]
; %bb.246:
	s_or_b64 exec, exec, s[6:7]
	global_store_short_d16_hi v[0:1], v4, off offset:64
	s_mov_b32 s0, 0x7f800000
	v_and_b32_e32 v4, 0x7f800000, v2
	v_cmp_ne_u32_e64 s[0:1], s0, v4
                                        ; implicit-def: $vgpr4
	s_and_saveexec_b64 s[6:7], s[0:1]
	s_xor_b64 s[0:1], exec, s[6:7]
; %bb.247:
	v_bfe_u32 v4, v2, 16, 1
	s_movk_i32 s6, 0x7fff
	v_add3_u32 v4, v2, v4, s6
; %bb.248:
	s_andn2_saveexec_b64 s[6:7], s[0:1]
; %bb.249:
	v_mov_b32_e32 v4, 0
	v_or_b32_e32 v5, 0x10000, v2
	v_cmp_eq_u32_sdwa s[0:1], v2, v4 src0_sel:WORD_0 src1_sel:DWORD
	s_nop 1
	v_cndmask_b32_e64 v4, v5, v2, s[0:1]
; %bb.250:
	s_or_b64 exec, exec, s[6:7]
	global_store_short_d16_hi v[0:1], v4, off offset:128
.LBB158_251:
	s_or_b64 exec, exec, s[4:5]
	v_or_b32_e32 v0, 0x60, v6
	s_movk_i32 s0, 0x78
	v_cmp_gt_u32_e64 s[0:1], s0, v0
	s_and_b64 s[0:1], vcc, s[0:1]
	s_and_b64 exec, exec, s[0:1]
	s_cbranch_execz .LBB158_257
; %bb.252:
	s_mov_b32 s0, 0x7f800000
	v_and_b32_e32 v0, 0x7f800000, v3
	v_cmp_ne_u32_e32 vcc, s0, v0
                                        ; implicit-def: $vgpr4
	s_and_saveexec_b64 s[0:1], vcc
	s_xor_b64 s[0:1], exec, s[0:1]
; %bb.253:
	v_bfe_u32 v0, v3, 16, 1
	s_movk_i32 s4, 0x7fff
	v_add3_u32 v4, v3, v0, s4
                                        ; implicit-def: $vgpr0_vgpr1_vgpr2_vgpr3
; %bb.254:
	s_andn2_saveexec_b64 s[0:1], s[0:1]
; %bb.255:
	v_mov_b32_e32 v0, 0
	v_or_b32_e32 v1, 0x10000, v3
	v_cmp_eq_u32_sdwa vcc, v3, v0 src0_sel:WORD_0 src1_sel:DWORD
	s_nop 1
	v_cndmask_b32_e32 v4, v1, v3, vcc
; %bb.256:
	s_or_b64 exec, exec, s[0:1]
	v_lshlrev_b32_e32 v0, 1, v6
	global_store_short_d16_hi v0, v4, s[2:3] offset:192
.LBB158_257:
	s_endpgm
.LBB158_258:
	v_mov_b32_e32 v0, 0x100
	v_lshl_add_u32 v0, v6, 2, v0
	ds_read_b32 v0, v0
	s_waitcnt lgkmcnt(0)
	v_add_f32_e32 v4, v4, v0
	s_or_b64 exec, exec, s[2:3]
	s_and_saveexec_b64 s[2:3], s[0:1]
	s_cbranch_execz .LBB158_231
.LBB158_259:
	v_mov_b32_e32 v0, 0x100
	v_lshl_add_u32 v0, v6, 2, v0
	ds_read_b32 v0, v0 offset:128
	s_waitcnt lgkmcnt(0)
	v_add_f32_e32 v5, v5, v0
	s_or_b64 exec, exec, s[2:3]
	s_and_saveexec_b64 s[2:3], s[0:1]
	s_cbranch_execnz .LBB158_232
	s_branch .LBB158_233
	.section	.rodata,"a",@progbits
	.p2align	6, 0x0
	.amdhsa_kernel _ZN4vllm25paged_attention_v2_kernelI14__hip_bfloat16S1_Li120ELi16ELi128ELNS_18Fp8KVCacheDataTypeE0ELb1ELi512EEEvPfS3_PT_PKS4_PKT0_SA_ifPKiSC_iPKfiiiSE_SE_iiiii
		.amdhsa_group_segment_fixed_size 256
		.amdhsa_private_segment_fixed_size 0
		.amdhsa_kernarg_size 400
		.amdhsa_user_sgpr_count 2
		.amdhsa_user_sgpr_dispatch_ptr 0
		.amdhsa_user_sgpr_queue_ptr 0
		.amdhsa_user_sgpr_kernarg_segment_ptr 1
		.amdhsa_user_sgpr_dispatch_id 0
		.amdhsa_user_sgpr_kernarg_preload_length 0
		.amdhsa_user_sgpr_kernarg_preload_offset 0
		.amdhsa_user_sgpr_private_segment_size 0
		.amdhsa_uses_dynamic_stack 0
		.amdhsa_enable_private_segment 0
		.amdhsa_system_sgpr_workgroup_id_x 1
		.amdhsa_system_sgpr_workgroup_id_y 1
		.amdhsa_system_sgpr_workgroup_id_z 1
		.amdhsa_system_sgpr_workgroup_info 0
		.amdhsa_system_vgpr_workitem_id 0
		.amdhsa_next_free_vgpr 84
		.amdhsa_next_free_sgpr 52
		.amdhsa_accum_offset 84
		.amdhsa_reserve_vcc 1
		.amdhsa_float_round_mode_32 0
		.amdhsa_float_round_mode_16_64 0
		.amdhsa_float_denorm_mode_32 3
		.amdhsa_float_denorm_mode_16_64 3
		.amdhsa_dx10_clamp 1
		.amdhsa_ieee_mode 1
		.amdhsa_fp16_overflow 0
		.amdhsa_tg_split 0
		.amdhsa_exception_fp_ieee_invalid_op 0
		.amdhsa_exception_fp_denorm_src 0
		.amdhsa_exception_fp_ieee_div_zero 0
		.amdhsa_exception_fp_ieee_overflow 0
		.amdhsa_exception_fp_ieee_underflow 0
		.amdhsa_exception_fp_ieee_inexact 0
		.amdhsa_exception_int_div_zero 0
	.end_amdhsa_kernel
	.section	.text._ZN4vllm25paged_attention_v2_kernelI14__hip_bfloat16S1_Li120ELi16ELi128ELNS_18Fp8KVCacheDataTypeE0ELb1ELi512EEEvPfS3_PT_PKS4_PKT0_SA_ifPKiSC_iPKfiiiSE_SE_iiiii,"axG",@progbits,_ZN4vllm25paged_attention_v2_kernelI14__hip_bfloat16S1_Li120ELi16ELi128ELNS_18Fp8KVCacheDataTypeE0ELb1ELi512EEEvPfS3_PT_PKS4_PKT0_SA_ifPKiSC_iPKfiiiSE_SE_iiiii,comdat
.Lfunc_end158:
	.size	_ZN4vllm25paged_attention_v2_kernelI14__hip_bfloat16S1_Li120ELi16ELi128ELNS_18Fp8KVCacheDataTypeE0ELb1ELi512EEEvPfS3_PT_PKS4_PKT0_SA_ifPKiSC_iPKfiiiSE_SE_iiiii, .Lfunc_end158-_ZN4vllm25paged_attention_v2_kernelI14__hip_bfloat16S1_Li120ELi16ELi128ELNS_18Fp8KVCacheDataTypeE0ELb1ELi512EEEvPfS3_PT_PKS4_PKT0_SA_ifPKiSC_iPKfiiiSE_SE_iiiii
                                        ; -- End function
	.section	.AMDGPU.csdata,"",@progbits
; Kernel info:
; codeLenInByte = 10112
; NumSgprs: 58
; NumVgprs: 84
; NumAgprs: 0
; TotalNumVgprs: 84
; ScratchSize: 0
; MemoryBound: 0
; FloatMode: 240
; IeeeMode: 1
; LDSByteSize: 256 bytes/workgroup (compile time only)
; SGPRBlocks: 7
; VGPRBlocks: 10
; NumSGPRsForWavesPerEU: 58
; NumVGPRsForWavesPerEU: 84
; AccumOffset: 84
; Occupancy: 5
; WaveLimiterHint : 1
; COMPUTE_PGM_RSRC2:SCRATCH_EN: 0
; COMPUTE_PGM_RSRC2:USER_SGPR: 2
; COMPUTE_PGM_RSRC2:TRAP_HANDLER: 0
; COMPUTE_PGM_RSRC2:TGID_X_EN: 1
; COMPUTE_PGM_RSRC2:TGID_Y_EN: 1
; COMPUTE_PGM_RSRC2:TGID_Z_EN: 1
; COMPUTE_PGM_RSRC2:TIDIG_COMP_CNT: 0
; COMPUTE_PGM_RSRC3_GFX90A:ACCUM_OFFSET: 20
; COMPUTE_PGM_RSRC3_GFX90A:TG_SPLIT: 0
	.section	.text._ZN4vllm25paged_attention_v2_kernelI14__hip_bfloat16S1_Li128ELi16ELi128ELNS_18Fp8KVCacheDataTypeE0ELb1ELi512EEEvPfS3_PT_PKS4_PKT0_SA_ifPKiSC_iPKfiiiSE_SE_iiiii,"axG",@progbits,_ZN4vllm25paged_attention_v2_kernelI14__hip_bfloat16S1_Li128ELi16ELi128ELNS_18Fp8KVCacheDataTypeE0ELb1ELi512EEEvPfS3_PT_PKS4_PKT0_SA_ifPKiSC_iPKfiiiSE_SE_iiiii,comdat
	.protected	_ZN4vllm25paged_attention_v2_kernelI14__hip_bfloat16S1_Li128ELi16ELi128ELNS_18Fp8KVCacheDataTypeE0ELb1ELi512EEEvPfS3_PT_PKS4_PKT0_SA_ifPKiSC_iPKfiiiSE_SE_iiiii ; -- Begin function _ZN4vllm25paged_attention_v2_kernelI14__hip_bfloat16S1_Li128ELi16ELi128ELNS_18Fp8KVCacheDataTypeE0ELb1ELi512EEEvPfS3_PT_PKS4_PKT0_SA_ifPKiSC_iPKfiiiSE_SE_iiiii
	.globl	_ZN4vllm25paged_attention_v2_kernelI14__hip_bfloat16S1_Li128ELi16ELi128ELNS_18Fp8KVCacheDataTypeE0ELb1ELi512EEEvPfS3_PT_PKS4_PKT0_SA_ifPKiSC_iPKfiiiSE_SE_iiiii
	.p2align	8
	.type	_ZN4vllm25paged_attention_v2_kernelI14__hip_bfloat16S1_Li128ELi16ELi128ELNS_18Fp8KVCacheDataTypeE0ELb1ELi512EEEvPfS3_PT_PKS4_PKT0_SA_ifPKiSC_iPKfiiiSE_SE_iiiii,@function
_ZN4vllm25paged_attention_v2_kernelI14__hip_bfloat16S1_Li128ELi16ELi128ELNS_18Fp8KVCacheDataTypeE0ELb1ELi512EEEvPfS3_PT_PKS4_PKT0_SA_ifPKiSC_iPKfiiiSE_SE_iiiii: ; @_ZN4vllm25paged_attention_v2_kernelI14__hip_bfloat16S1_Li128ELi16ELi128ELNS_18Fp8KVCacheDataTypeE0ELb1ELi512EEEvPfS3_PT_PKS4_PKT0_SA_ifPKiSC_iPKfiiiSE_SE_iiiii
; %bb.0:
	s_load_dwordx2 s[6:7], s[0:1], 0x40
	s_mov_b32 s14, s3
	s_ashr_i32 s15, s3, 31
	s_lshl_b64 s[8:9], s[14:15], 2
	s_waitcnt lgkmcnt(0)
	s_add_u32 s6, s6, s8
	s_addc_u32 s7, s7, s9
	s_load_dword s33, s[6:7], 0x0
	s_lshl_b32 s5, s4, 9
	s_waitcnt lgkmcnt(0)
	s_cmp_ge_i32 s5, s33
	s_cbranch_scc1 .LBB159_249
; %bb.1:
	s_load_dword s15, s[0:1], 0x90
	s_load_dwordx2 s[40:41], s[0:1], 0x30
	s_waitcnt lgkmcnt(0)
	s_abs_i32 s7, s15
	s_abs_i32 s3, s40
	v_cvt_f32_u32_e32 v1, s3
	s_sub_i32 s8, 0, s3
	s_xor_b32 s6, s15, s40
	s_ashr_i32 s6, s6, 31
	v_rcp_iflag_f32_e32 v1, v1
	s_nop 0
	v_mul_f32_e32 v1, 0x4f7ffffe, v1
	v_cvt_u32_f32_e32 v1, v1
	s_nop 0
	v_readfirstlane_b32 s9, v1
	s_mul_i32 s8, s8, s9
	s_mul_hi_u32 s8, s9, s8
	s_add_i32 s9, s9, s8
	s_mul_hi_u32 s8, s7, s9
	s_mul_i32 s9, s8, s3
	s_sub_i32 s7, s7, s9
	s_add_i32 s10, s8, 1
	s_sub_i32 s9, s7, s3
	s_cmp_ge_u32 s7, s3
	s_cselect_b32 s8, s10, s8
	s_cselect_b32 s7, s9, s7
	s_add_i32 s9, s8, 1
	s_cmp_ge_u32 s7, s3
	s_cselect_b32 s3, s9, s8
	s_xor_b32 s3, s3, s6
	s_sub_i32 s10, s3, s6
	s_abs_i32 s8, s10
	v_cvt_f32_u32_e32 v1, s8
	s_load_dwordx2 s[6:7], s[0:1], 0x50
	s_sub_i32 s11, 0, s8
	s_abs_i32 s9, s2
	v_rcp_iflag_f32_e32 v1, v1
	s_mov_b32 s3, 0
	v_mul_f32_e32 v1, 0x4f7ffffe, v1
	v_cvt_u32_f32_e32 v1, v1
	s_nop 0
	v_readfirstlane_b32 s12, v1
	s_mul_i32 s11, s11, s12
	s_mul_hi_u32 s11, s12, s11
	s_add_i32 s12, s12, s11
	s_waitcnt lgkmcnt(0)
	s_cmp_eq_u64 s[6:7], 0
	s_mul_hi_u32 s12, s9, s12
	s_cbranch_scc1 .LBB159_3
; %bb.2:
	s_ashr_i32 s3, s2, 31
	s_lshl_b64 s[16:17], s[2:3], 2
	s_add_u32 s6, s6, s16
	s_addc_u32 s7, s7, s17
	s_load_dword s3, s[6:7], 0x0
.LBB159_3:
	s_load_dwordx4 s[16:19], s[0:1], 0x58
	s_ashr_i32 s13, s2, 31
	s_waitcnt lgkmcnt(0)
	s_ashr_i32 s19, s10, 31
	v_and_b32_e32 v4, 3, v0
	s_lshl_b32 s28, s2, 7
	v_cmp_gt_u32_e64 s[10:11], 64, v0
	s_and_saveexec_b64 s[6:7], s[10:11]
	s_cbranch_execz .LBB159_5
; %bb.4:
	s_load_dwordx2 s[20:21], s[0:1], 0x18
	s_mul_i32 s22, s14, s16
	s_ashr_i32 s23, s22, 31
	s_lshl_b64 s[22:23], s[22:23], 1
	v_lshlrev_b32_e32 v1, 2, v0
	s_waitcnt lgkmcnt(0)
	s_add_u32 s16, s20, s22
	s_addc_u32 s22, s21, s23
	s_ashr_i32 s29, s28, 31
	s_lshl_b64 s[20:21], s[28:29], 1
	s_add_u32 s20, s16, s20
	s_addc_u32 s21, s22, s21
	global_load_dword v1, v1, s[20:21]
	v_and_b32_e32 v2, 0x3fc, v0
	v_lshl_add_u32 v2, v4, 6, v2
	s_waitcnt vmcnt(0)
	ds_write_b32 v2, v1
.LBB159_5:
	s_or_b64 exec, exec, s[6:7]
	s_mul_i32 s7, s12, s8
	s_sub_i32 s7, s9, s7
	s_xor_b32 s6, s13, s19
	s_add_i32 s9, s12, 1
	s_sub_i32 s13, s7, s8
	s_load_dwordx4 s[20:23], s[0:1], 0x78
	s_cmp_ge_u32 s7, s8
	s_cselect_b32 s9, s9, s12
	s_cselect_b32 s7, s13, s7
	s_load_dword s13, s[0:1], 0x88
	s_add_i32 s12, s9, 1
	s_cmp_ge_u32 s7, s8
	s_cselect_b32 s7, s12, s9
	s_waitcnt lgkmcnt(0)
	s_abs_i32 s29, s23
	v_cvt_f32_u32_e32 v1, s29
	s_xor_b32 s7, s7, s6
	s_sub_i32 s8, s7, s6
	s_sub_i32 s6, 0, s29
	v_rcp_iflag_f32_e32 v1, v1
	s_add_i32 s16, s33, -1
	s_abs_i32 s9, s16
	v_mul_f32_e32 v1, 0x4f7ffffe, v1
	v_cvt_u32_f32_e32 v1, v1
	s_barrier
	v_readfirstlane_b32 s48, v1
	s_mul_i32 s6, s6, s48
	s_mul_hi_u32 s6, s48, s6
	s_add_i32 s48, s48, s6
	s_cmp_lt_i32 s13, 0
	s_mul_hi_u32 s12, s9, s48
	s_cbranch_scc0 .LBB159_7
; %bb.6:
	s_mul_i32 s6, s20, s40
	s_add_i32 s6, s8, s6
	s_mul_i32 s6, s6, s13
	s_sub_i32 s49, 1, s6
	s_mov_b64 s[6:7], 0
	s_branch .LBB159_8
.LBB159_7:
	s_mov_b64 s[6:7], -1
                                        ; implicit-def: $sgpr49
.LBB159_8:
	s_load_dwordx2 s[34:35], s[0:1], 0x38
	s_ashr_i32 s19, s16, 31
	s_andn2_b64 vcc, exec, s[6:7]
	s_ashr_i32 s23, s23, 31
	s_cbranch_vccnz .LBB159_10
; %bb.9:
	s_mul_i32 s6, s15, s20
	s_add_i32 s6, s6, s2
	s_mul_i32 s6, s6, s13
	s_add_i32 s49, s6, 1
.LBB159_10:
	s_load_dword s6, s[0:1], 0x48
	s_load_dwordx2 s[38:39], s[0:1], 0x28
	s_load_dword s16, s[0:1], 0x98
	s_load_dwordx4 s[24:27], s[0:1], 0x0
	s_load_dwordx2 s[30:31], s[0:1], 0x10
	s_mul_i32 s7, s12, s29
	s_waitcnt lgkmcnt(0)
	s_mul_i32 s36, s14, s6
	s_sub_i32 s7, s9, s7
	s_ashr_i32 s37, s36, 31
	s_xor_b32 s6, s19, s23
	s_add_i32 s9, s12, 1
	s_sub_i32 s13, s7, s29
	s_cmp_ge_u32 s7, s29
	s_cselect_b32 s9, s9, s12
	s_cselect_b32 s7, s13, s7
	s_add_i32 s12, s9, 1
	s_cmp_ge_u32 s7, s29
	s_cselect_b32 s7, s12, s9
	s_xor_b32 s7, s7, s6
	s_sub_i32 s51, s7, s6
	s_add_i32 s6, s33, 15
	s_ashr_i32 s7, s6, 31
	s_lshr_b32 s7, s7, 28
	s_add_i32 s6, s6, s7
	s_lshl_b32 s40, s4, 5
	s_ashr_i32 s50, s6, 4
	s_add_i32 s6, s40, 32
	v_lshrrev_b32_e32 v6, 6, v0
	s_min_i32 s20, s6, s50
	v_or_b32_e32 v14, s40, v6
	v_cmp_gt_i32_e64 s[6:7], s20, v14
	v_mov_b32_e32 v10, 0xff7fffff
	s_mul_i32 s18, s8, s18
	v_ashrrev_i32_e32 v15, 31, v14
	v_lshl_add_u32 v1, v6, 4, s5
	v_mbcnt_lo_u32_b32 v7, -1, 0
	s_and_saveexec_b64 s[42:43], s[6:7]
	s_cbranch_execz .LBB159_20
; %bb.11:
	s_load_dwordx2 s[0:1], s[0:1], 0x20
	s_ashr_i32 s19, s18, 31
	s_sub_i32 s52, s51, s21
	s_lshl_b64 s[8:9], s[18:19], 1
	v_bfe_u32 v8, v0, 2, 4
	s_waitcnt lgkmcnt(0)
	s_add_u32 s0, s0, s8
	s_addc_u32 s1, s1, s9
	s_abs_i32 s19, s22
	v_cvt_f32_u32_e32 v5, s19
	v_lshlrev_b32_e32 v2, 4, v8
	v_mov_b32_e32 v3, 0
	v_lshl_add_u64 v[10:11], s[0:1], 0, v[2:3]
	v_rcp_iflag_f32_e32 v5, v5
	v_lshlrev_b32_e32 v2, 2, v0
	v_and_b32_e32 v2, 12, v2
	v_lshl_add_u64 v[2:3], v[10:11], 0, v[2:3]
	v_mul_f32_e32 v5, 0x4f7ffffe, v5
	v_cvt_u32_f32_e32 v5, v5
	s_sub_i32 s0, 0, s19
	v_lshlrev_b32_e32 v10, 2, v8
	v_cmp_eq_u32_e32 vcc, 0, v4
	v_lshlrev_b32_e32 v9, 6, v4
	v_mul_lo_u32 v4, s0, v5
	s_lshl_b64 s[0:1], s[36:37], 2
	v_lshl_or_b32 v10, v6, 6, v10
	s_add_u32 s0, s34, s0
	v_add_u32_e32 v13, 0x110, v10
	v_subrev_u32_e32 v10, s33, v8
	v_mbcnt_hi_u32_b32 v18, -1, v7
	v_mul_hi_u32 v4, v5, v4
	s_addc_u32 s1, s35, s1
	v_add_u32_e32 v16, 1, v10
	v_and_b32_e32 v10, 64, v18
	s_mov_b32 s53, s17
	v_cmp_neq_f32_e64 s[8:9], s3, 0
	v_add_u32_e32 v11, v5, v4
	v_lshl_add_u64 v[4:5], v[14:15], 2, s[0:1]
	v_lshl_add_u32 v12, v6, 4, s5
	s_mov_b64 s[44:45], 0
	v_mov_b32_e32 v17, 0xff7fffff
	v_add_u32_e32 v19, 64, v10
	v_xor_b32_e32 v20, 2, v18
	v_xor_b32_e32 v21, 1, v18
	v_mov_b32_e32 v10, 0xff7fffff
	v_mov_b32_e32 v22, v14
	s_branch .LBB159_14
.LBB159_12:                             ;   in Loop: Header=BB159_14 Depth=1
	s_or_b64 exec, exec, s[46:47]
.LBB159_13:                             ;   in Loop: Header=BB159_14 Depth=1
	s_or_b64 exec, exec, s[12:13]
	v_add_u32_e32 v22, 2, v22
	v_cmp_le_i32_e64 s[0:1], s20, v22
	v_lshl_add_u64 v[4:5], v[4:5], 0, 8
	v_add_u32_e32 v12, 32, v12
	s_or_b64 s[44:45], s[0:1], s[44:45]
	v_add_u32_e32 v13, 0x80, v13
	s_andn2_b64 exec, exec, s[44:45]
	s_cbranch_execz .LBB159_19
.LBB159_14:                             ; =>This Inner Loop Header: Depth=1
	s_waitcnt lgkmcnt(0)
	v_sub_u32_e32 v24, 0, v12
	v_max_i32_e32 v24, v12, v24
	v_mul_hi_u32 v25, v24, s48
	v_mul_lo_u32 v26, v25, s29
	v_sub_u32_e32 v24, v24, v26
	v_add_u32_e32 v26, 1, v25
	v_cmp_le_u32_e64 s[0:1], s29, v24
	v_ashrrev_i32_e32 v23, 31, v12
	v_xor_b32_e32 v23, s23, v23
	v_cndmask_b32_e64 v25, v25, v26, s[0:1]
	v_subrev_u32_e32 v26, s29, v24
	v_cndmask_b32_e64 v24, v24, v26, s[0:1]
	v_add_u32_e32 v26, 1, v25
	v_cmp_le_u32_e64 s[0:1], s29, v24
	s_nop 1
	v_cndmask_b32_e64 v24, v25, v26, s[0:1]
	v_xor_b32_e32 v24, v24, v23
	v_sub_u32_e32 v23, v24, v23
	v_add_u32_e32 v24, s49, v23
	v_sub_u32_e32 v26, 0, v24
	v_ashrrev_i32_e32 v25, 31, v24
	v_max_i32_e32 v24, v24, v26
	v_mul_hi_u32 v26, v24, v11
	v_mul_lo_u32 v26, v26, s19
	v_sub_u32_e32 v24, v24, v26
	v_subrev_u32_e32 v26, s19, v24
	v_cmp_le_u32_e64 s[0:1], s19, v24
	v_cmp_ge_i32_e64 s[12:13], s52, v23
	s_nop 0
	v_cndmask_b32_e64 v24, v24, v26, s[0:1]
	v_subrev_u32_e32 v26, s19, v24
	v_cmp_le_u32_e64 s[0:1], s19, v24
	s_nop 1
	v_cndmask_b32_e64 v24, v24, v26, s[0:1]
	v_xor_b32_e32 v24, v24, v25
	v_sub_u32_e32 v24, v24, v25
	v_cmp_ne_u32_e64 s[0:1], 0, v24
	s_and_b64 s[0:1], s[0:1], s[12:13]
	s_and_b64 s[46:47], vcc, s[0:1]
	s_and_saveexec_b64 s[12:13], s[46:47]
	s_cbranch_execz .LBB159_16
; %bb.15:                               ;   in Loop: Header=BB159_14 Depth=1
	ds_write_b32 v13, v17
.LBB159_16:                             ;   in Loop: Header=BB159_14 Depth=1
	s_or_b64 exec, exec, s[12:13]
	s_xor_b64 s[0:1], s[0:1], -1
	s_and_saveexec_b64 s[12:13], s[0:1]
	s_cbranch_execz .LBB159_13
; %bb.17:                               ;   in Loop: Header=BB159_14 Depth=1
	global_load_dword v23, v[4:5], off
	s_waitcnt vmcnt(0)
	v_mad_i64_i32 v[24:25], s[0:1], v23, s53, 0
	v_lshl_add_u64 v[24:25], v[24:25], 1, v[2:3]
	global_load_dword v23, v[24:25], off
	global_load_dword v40, v[24:25], off offset:256
	global_load_dword v41, v[24:25], off offset:512
	;; [unrolled: 1-line block ×15, first 2 shown]
	ds_read_b128 v[24:27], v9
	ds_read_b128 v[28:31], v9 offset:16
	ds_read_b128 v[32:35], v9 offset:32
	;; [unrolled: 1-line block ×3, first 2 shown]
	v_cmp_lt_i32_e64 s[0:1], v20, v19
	s_waitcnt lgkmcnt(3)
	v_lshlrev_b32_e32 v57, 16, v25
	v_and_b32_e32 v25, 0xffff0000, v25
	v_lshlrev_b32_e32 v56, 16, v24
	v_and_b32_e32 v24, 0xffff0000, v24
	v_lshlrev_b32_e32 v58, 16, v26
	v_and_b32_e32 v26, 0xffff0000, v26
	v_lshlrev_b32_e32 v59, 16, v27
	v_and_b32_e32 v27, 0xffff0000, v27
	s_waitcnt lgkmcnt(2)
	v_lshlrev_b32_e32 v60, 16, v28
	v_and_b32_e32 v28, 0xffff0000, v28
	v_lshlrev_b32_e32 v61, 16, v29
	v_and_b32_e32 v29, 0xffff0000, v29
	v_lshlrev_b32_e32 v62, 16, v30
	v_and_b32_e32 v30, 0xffff0000, v30
	v_lshlrev_b32_e32 v63, 16, v31
	v_and_b32_e32 v31, 0xffff0000, v31
	;; [unrolled: 9-line block ×4, first 2 shown]
	v_cndmask_b32_e64 v55, v18, v20, s[0:1]
	v_lshlrev_b32_e32 v55, 2, v55
	v_cmp_lt_i32_e64 s[0:1], v21, v19
	s_waitcnt vmcnt(15)
	v_lshlrev_b32_e32 v72, 16, v23
	s_waitcnt vmcnt(14)
	v_lshlrev_b32_e32 v73, 16, v40
	v_and_b32_e32 v40, 0xffff0000, v40
	v_and_b32_e32 v23, 0xffff0000, v23
	v_mul_f32_e32 v57, v57, v73
	v_mul_f32_e32 v25, v25, v40
	s_waitcnt vmcnt(13)
	v_lshlrev_b32_e32 v74, 16, v41
	v_and_b32_e32 v41, 0xffff0000, v41
	v_fmac_f32_e32 v57, v56, v72
	v_fmac_f32_e32 v25, v24, v23
	s_waitcnt vmcnt(12)
	v_lshlrev_b32_e32 v75, 16, v42
	v_and_b32_e32 v42, 0xffff0000, v42
	v_fmac_f32_e32 v57, v58, v74
	v_fmac_f32_e32 v25, v26, v41
	;; [unrolled: 5-line block ×14, first 2 shown]
	v_fmac_f32_e32 v57, v71, v87
	v_fmac_f32_e32 v25, v39, v54
	v_add_f32_e32 v23, v57, v25
	ds_bpermute_b32 v24, v55, v23
	v_cndmask_b32_e64 v25, v18, v21, s[0:1]
	v_lshlrev_b32_e32 v25, 2, v25
	s_waitcnt lgkmcnt(0)
	v_add_f32_e32 v23, v23, v24
	ds_bpermute_b32 v24, v25, v23
	s_and_saveexec_b64 s[46:47], vcc
	s_cbranch_execz .LBB159_12
; %bb.18:                               ;   in Loop: Header=BB159_14 Depth=1
	v_add_u32_e32 v25, v16, v12
	v_cvt_f32_i32_e32 v25, v25
	s_waitcnt lgkmcnt(0)
	v_add_f32_e32 v23, v23, v24
	v_add_u32_e32 v26, v8, v12
	v_cmp_gt_i32_e64 s[0:1], s33, v26
	v_mul_f32_e32 v24, s3, v25
	v_cndmask_b32_e64 v24, 0, v24, s[8:9]
	v_fmac_f32_e32 v24, s41, v23
	v_cndmask_b32_e64 v23, 0, v24, s[0:1]
	ds_write_b32 v13, v23
	v_max_f32_e32 v23, v10, v10
	v_max_f32_e32 v23, v23, v24
	v_cndmask_b32_e64 v10, v10, v23, s[0:1]
	s_branch .LBB159_12
.LBB159_19:
	s_or_b64 exec, exec, s[44:45]
.LBB159_20:
	s_or_b64 exec, exec, s[42:43]
	v_mbcnt_hi_u32_b32 v2, -1, v7
	v_and_b32_e32 v3, 64, v2
	v_add_u32_e32 v3, 64, v3
	v_xor_b32_e32 v4, 32, v2
	v_cmp_lt_i32_e32 vcc, v4, v3
	v_xor_b32_e32 v8, 16, v2
	v_max_f32_e32 v7, v10, v10
	v_cndmask_b32_e32 v4, v2, v4, vcc
	v_lshlrev_b32_e32 v5, 2, v4
	ds_bpermute_b32 v4, v5, v10
	v_cmp_lt_i32_e32 vcc, v8, v3
	v_xor_b32_e32 v9, 8, v2
	v_and_b32_e32 v22, 63, v0
	s_waitcnt lgkmcnt(0)
	v_max_f32_e32 v4, v4, v4
	v_max_f32_e32 v4, v7, v4
	v_cndmask_b32_e32 v7, v2, v8, vcc
	v_lshlrev_b32_e32 v7, 2, v7
	ds_bpermute_b32 v8, v7, v4
	v_cmp_lt_i32_e32 vcc, v9, v3
	s_waitcnt lgkmcnt(0)
	v_max_f32_e32 v8, v8, v8
	v_max_f32_e32 v4, v4, v8
	v_cndmask_b32_e32 v8, v2, v9, vcc
	v_lshlrev_b32_e32 v10, 2, v8
	ds_bpermute_b32 v8, v10, v4
	v_xor_b32_e32 v9, 4, v2
	v_cmp_lt_i32_e32 vcc, v9, v3
	s_waitcnt lgkmcnt(0)
	v_max_f32_e32 v8, v8, v8
	v_max_f32_e32 v4, v4, v8
	v_cndmask_b32_e32 v8, v2, v9, vcc
	v_lshlrev_b32_e32 v11, 2, v8
	ds_bpermute_b32 v9, v11, v4
	v_cmp_eq_u32_e32 vcc, 0, v22
	v_lshlrev_b32_e32 v8, 2, v6
	s_and_saveexec_b64 s[0:1], vcc
	s_cbranch_execz .LBB159_22
; %bb.21:
	s_waitcnt lgkmcnt(0)
	v_max_f32_e32 v9, v9, v9
	v_max_f32_e32 v4, v4, v4
	;; [unrolled: 1-line block ×3, first 2 shown]
	ds_write_b32 v8, v4 offset:256
.LBB159_22:
	s_or_b64 exec, exec, s[0:1]
	v_cmp_gt_u32_e64 s[0:1], 2, v22
	v_mov_b32_e32 v4, 0xff7fffff
	s_waitcnt lgkmcnt(0)
	v_lshlrev_b32_e32 v9, 2, v22
	s_barrier
	s_and_saveexec_b64 s[8:9], s[0:1]
	s_cbranch_execz .LBB159_24
; %bb.23:
	ds_read_b32 v4, v9 offset:256
.LBB159_24:
	s_or_b64 exec, exec, s[8:9]
	v_xor_b32_e32 v12, 1, v2
	v_cmp_lt_i32_e64 s[8:9], v12, v3
	s_sub_i32 s3, s20, s40
	s_lshl_b32 s3, s3, 4
	v_cndmask_b32_e64 v12, v2, v12, s[8:9]
	v_lshlrev_b32_e32 v23, 2, v12
	s_waitcnt lgkmcnt(0)
	ds_bpermute_b32 v12, v23, v4
	v_max_f32_e32 v4, v4, v4
	s_add_i32 s3, s3, s5
	s_min_i32 s19, s3, s33
	s_sub_i32 s3, s19, s5
	s_waitcnt lgkmcnt(0)
	v_max_f32_e32 v12, v12, v12
	v_max_f32_e32 v4, v4, v12
	v_lshlrev_b32_e32 v12, 2, v2
	v_and_b32_e32 v12, 0x100, v12
	ds_bpermute_b32 v4, v12, v4
	v_cmp_gt_i32_e64 s[8:9], s3, v0
	v_mov_b32_e32 v13, 0
	s_and_saveexec_b64 s[40:41], s[8:9]
	s_cbranch_execz .LBB159_28
; %bb.25:
	v_mov_b32_e32 v13, 0x110
	v_lshl_add_u32 v16, v0, 2, v13
	s_mov_b64 s[42:43], 0
	v_mov_b32_e32 v13, 0
	v_mov_b32_e32 v17, v0
.LBB159_26:                             ; =>This Inner Loop Header: Depth=1
	ds_read_b32 v18, v16
	v_add_u32_e32 v17, 0x80, v17
	v_cmp_le_i32_e64 s[12:13], s3, v17
	s_or_b64 s[42:43], s[12:13], s[42:43]
	s_waitcnt lgkmcnt(0)
	v_sub_f32_e32 v18, v18, v4
	v_mul_f32_e32 v18, 0x3fb8aa3b, v18
	v_exp_f32_e32 v18, v18
	ds_write_b32 v16, v18
	v_add_f32_e32 v13, v13, v18
	v_add_u32_e32 v16, 0x200, v16
	s_andn2_b64 exec, exec, s[42:43]
	s_cbranch_execnz .LBB159_26
; %bb.27:
	s_or_b64 exec, exec, s[42:43]
.LBB159_28:
	s_or_b64 exec, exec, s[40:41]
	ds_bpermute_b32 v5, v5, v13
	s_waitcnt lgkmcnt(0)
	v_add_f32_e32 v5, v13, v5
	ds_bpermute_b32 v7, v7, v5
	s_waitcnt lgkmcnt(0)
	v_add_f32_e32 v5, v5, v7
	ds_bpermute_b32 v7, v10, v5
	v_xor_b32_e32 v10, 2, v2
	v_cmp_lt_i32_e64 s[12:13], v10, v3
	s_waitcnt lgkmcnt(0)
	v_add_f32_e32 v5, v5, v7
	ds_bpermute_b32 v7, v11, v5
	v_cndmask_b32_e64 v2, v2, v10, s[12:13]
	v_lshlrev_b32_e32 v2, 2, v2
	s_waitcnt lgkmcnt(0)
	v_add_f32_e32 v3, v5, v7
	ds_bpermute_b32 v2, v2, v3
	s_waitcnt lgkmcnt(0)
	v_add_f32_e32 v2, v3, v2
	ds_bpermute_b32 v3, v23, v2
	s_waitcnt lgkmcnt(0)
	v_add_f32_e32 v2, v2, v3
	s_and_saveexec_b64 s[12:13], vcc
	s_cbranch_execz .LBB159_30
; %bb.29:
	ds_write_b32 v8, v2 offset:264
.LBB159_30:
	s_or_b64 exec, exec, s[12:13]
	s_waitcnt lgkmcnt(0)
	s_barrier
	s_and_saveexec_b64 s[12:13], s[0:1]
	s_cbranch_execz .LBB159_32
; %bb.31:
	ds_read_b32 v2, v9 offset:264
.LBB159_32:
	s_or_b64 exec, exec, s[12:13]
	s_waitcnt lgkmcnt(0)
	ds_bpermute_b32 v3, v23, v2
	s_waitcnt lgkmcnt(0)
	v_add_f32_e32 v2, v2, v3
	ds_bpermute_b32 v5, v12, v2
	s_and_saveexec_b64 s[0:1], s[8:9]
	s_cbranch_execz .LBB159_45
; %bb.33:
	s_waitcnt lgkmcnt(0)
	v_add_f32_e32 v2, 0x358637bd, v5
	v_div_scale_f32 v3, s[8:9], v2, v2, 1.0
	v_rcp_f32_e32 v7, v3
	v_div_scale_f32 v8, vcc, 1.0, v2, 1.0
	s_mov_b64 s[12:13], -1
	v_fma_f32 v9, -v3, v7, 1.0
	v_fmac_f32_e32 v7, v9, v7
	v_mul_f32_e32 v9, v8, v7
	v_fma_f32 v10, -v3, v9, v8
	v_fmac_f32_e32 v9, v10, v7
	v_fma_f32 v3, -v3, v9, v8
	v_div_fmas_f32 v3, v3, v7, v9
	v_div_fixup_f32 v2, v3, v2, 1.0
	v_xad_u32 v3, v0, -1, s19
	v_subrev_u32_e32 v7, s5, v3
	s_movk_i32 s5, 0x7f
	v_cmp_lt_u32_e32 vcc, s5, v7
	v_mov_b32_e32 v3, v0
	s_and_saveexec_b64 s[8:9], vcc
	s_cbranch_execz .LBB159_42
; %bb.34:
	v_lshrrev_b32_e32 v7, 7, v7
	v_add_u32_e32 v9, -1, v7
	v_lshrrev_b32_e32 v8, 1, v9
	v_mov_b32_e32 v3, v2
	v_add_u32_e32 v8, 1, v8
	v_cmp_lt_u32_e32 vcc, 13, v9
	v_mov_b32_e32 v11, 0
	s_and_saveexec_b64 s[12:13], vcc
	s_cbranch_execz .LBB159_38
; %bb.35:
	v_mov_b32_e32 v10, 0x110
	v_and_b32_e32 v9, -8, v8
	v_lshl_add_u32 v10, v0, 2, v10
	s_mov_b32 s5, 0
	s_mov_b64 s[40:41], 0
.LBB159_36:                             ; =>This Inner Loop Header: Depth=1
	ds_read2st64_b32 v[12:13], v10 offset1:2
	ds_read2st64_b32 v[16:17], v10 offset0:4 offset1:6
	ds_read2st64_b32 v[18:19], v10 offset0:8 offset1:10
	ds_read2st64_b32 v[20:21], v10 offset0:12 offset1:14
	v_add_u32_e32 v9, -8, v9
	s_waitcnt lgkmcnt(3)
	v_pk_mul_f32 v[12:13], v[2:3], v[12:13]
	s_waitcnt lgkmcnt(2)
	v_pk_mul_f32 v[16:17], v[2:3], v[16:17]
	ds_write2st64_b32 v10, v12, v13 offset1:2
	ds_write2st64_b32 v10, v16, v17 offset0:4 offset1:6
	ds_read2st64_b32 v[16:17], v10 offset0:16 offset1:18
	s_waitcnt lgkmcnt(4)
	v_pk_mul_f32 v[12:13], v[2:3], v[18:19]
	ds_write2st64_b32 v10, v12, v13 offset0:8 offset1:10
	s_waitcnt lgkmcnt(4)
	v_pk_mul_f32 v[12:13], v[2:3], v[20:21]
	ds_write2st64_b32 v10, v12, v13 offset0:12 offset1:14
	ds_read2st64_b32 v[12:13], v10 offset0:20 offset1:22
	s_waitcnt lgkmcnt(3)
	v_pk_mul_f32 v[16:17], v[2:3], v[16:17]
	ds_read2st64_b32 v[18:19], v10 offset0:24 offset1:26
	ds_write2st64_b32 v10, v16, v17 offset0:16 offset1:18
	ds_read2st64_b32 v[16:17], v10 offset0:28 offset1:30
	s_waitcnt lgkmcnt(3)
	v_pk_mul_f32 v[12:13], v[2:3], v[12:13]
	ds_write2st64_b32 v10, v12, v13 offset0:20 offset1:22
	s_waitcnt lgkmcnt(3)
	v_pk_mul_f32 v[12:13], v[2:3], v[18:19]
	ds_write2st64_b32 v10, v12, v13 offset0:24 offset1:26
	s_waitcnt lgkmcnt(2)
	v_pk_mul_f32 v[12:13], v[2:3], v[16:17]
	s_add_i32 s5, s5, 16
	v_cmp_eq_u32_e32 vcc, 0, v9
	ds_write2st64_b32 v10, v12, v13 offset0:28 offset1:30
	v_add_u32_e32 v10, 0x2000, v10
	s_or_b64 s[40:41], vcc, s[40:41]
	v_mov_b32_e32 v11, s5
	s_andn2_b64 exec, exec, s[40:41]
	s_cbranch_execnz .LBB159_36
; %bb.37:
	s_or_b64 exec, exec, s[40:41]
.LBB159_38:
	s_or_b64 exec, exec, s[12:13]
	v_and_b32_e32 v8, 7, v8
	v_cmp_ne_u32_e32 vcc, 0, v8
	s_and_saveexec_b64 s[12:13], vcc
	s_cbranch_execz .LBB159_41
; %bb.39:
	v_lshlrev_b32_e32 v9, 9, v11
	v_lshlrev_b32_e32 v10, 2, v0
	s_movk_i32 s5, 0x110
	v_add3_u32 v9, v9, v10, s5
	s_mov_b64 s[40:41], 0
.LBB159_40:                             ; =>This Inner Loop Header: Depth=1
	ds_read2st64_b32 v[10:11], v9 offset1:2
	v_add_u32_e32 v8, -1, v8
	v_cmp_eq_u32_e32 vcc, 0, v8
	s_or_b64 s[40:41], vcc, s[40:41]
	s_waitcnt lgkmcnt(0)
	v_pk_mul_f32 v[10:11], v[2:3], v[10:11]
	ds_write2st64_b32 v9, v10, v11 offset1:2
	v_add_u32_e32 v9, 0x400, v9
	s_andn2_b64 exec, exec, s[40:41]
	s_cbranch_execnz .LBB159_40
.LBB159_41:
	s_or_b64 exec, exec, s[12:13]
	v_add_u32_e32 v7, 1, v7
	v_and_b32_e32 v8, 0x3fffffe, v7
	v_cmp_ne_u32_e32 vcc, v7, v8
	v_lshl_add_u32 v3, v8, 7, v0
	s_orn2_b64 s[12:13], vcc, exec
.LBB159_42:
	s_or_b64 exec, exec, s[8:9]
	s_and_b64 exec, exec, s[12:13]
	s_cbranch_execz .LBB159_45
; %bb.43:
	v_mov_b32_e32 v7, 0x110
	v_lshl_add_u32 v7, v3, 2, v7
	s_mov_b64 s[8:9], 0
.LBB159_44:                             ; =>This Inner Loop Header: Depth=1
	ds_read_b32 v8, v7
	v_add_u32_e32 v3, 0x80, v3
	v_cmp_le_i32_e32 vcc, s3, v3
	s_or_b64 s[8:9], vcc, s[8:9]
	s_waitcnt lgkmcnt(0)
	v_mul_f32_e32 v8, v2, v8
	ds_write_b32 v7, v8
	v_add_u32_e32 v7, 0x200, v7
	s_andn2_b64 exec, exec, s[8:9]
	s_cbranch_execnz .LBB159_44
.LBB159_45:
	s_or_b64 exec, exec, s[0:1]
	v_cmp_eq_u32_e32 vcc, 0, v0
	s_waitcnt lgkmcnt(0)
	s_barrier
	s_and_saveexec_b64 s[0:1], vcc
	s_cbranch_execz .LBB159_47
; %bb.46:
	s_mul_i32 s3, s16, s14
	s_mul_i32 s8, s3, s15
	s_ashr_i32 s9, s8, 31
	s_lshl_b64 s[8:9], s[8:9], 2
	s_add_u32 s5, s26, s8
	s_mul_i32 s2, s16, s2
	s_addc_u32 s12, s27, s9
	s_ashr_i32 s3, s2, 31
	s_lshl_b64 s[2:3], s[2:3], 2
	s_add_u32 s19, s5, s2
	s_addc_u32 s27, s12, s3
	s_ashr_i32 s5, s4, 31
	s_lshl_b64 s[12:13], s[4:5], 2
	s_add_u32 s26, s19, s12
	s_addc_u32 s27, s27, s13
	s_add_u32 s5, s24, s8
	s_addc_u32 s8, s25, s9
	;; [unrolled: 2-line block ×3, first 2 shown]
	s_add_u32 s2, s2, s12
	v_mov_b32_e32 v2, 0
	s_addc_u32 s3, s3, s13
	global_store_dword v2, v4, s[26:27]
	global_store_dword v2, v5, s[2:3]
.LBB159_47:
	s_or_b64 exec, exec, s[0:1]
	v_mov_b32_e32 v5, 0
	v_and_b32_e32 v24, 1, v0
	v_mov_b32_e32 v4, 0
	v_mov_b32_e32 v3, 0
	;; [unrolled: 1-line block ×3, first 2 shown]
	s_and_saveexec_b64 s[2:3], s[6:7]
	s_cbranch_execz .LBB159_221
; %bb.48:
	s_ashr_i32 s19, s18, 31
	s_sub_i32 s5, s51, s21
	s_lshl_b64 s[0:1], s[18:19], 1
	s_add_u32 s0, s38, s0
	s_addc_u32 s1, s39, s1
	s_abs_i32 s18, s22
	v_cvt_f32_u32_e32 v2, s18
	v_lshlrev_b32_e32 v3, 3, v0
	s_sub_i32 s6, 0, s18
	v_and_b32_e32 v25, 8, v3
	v_rcp_iflag_f32_e32 v2, v2
	v_mov_b32_e32 v17, 0
	s_add_i32 s19, s50, -1
	s_mov_b32 s24, 0
	v_mul_f32_e32 v2, 0x4f7ffffe, v2
	v_cvt_u32_f32_e32 v2, v2
	s_mov_b32 s25, s24
	s_mov_b32 s26, s24
	;; [unrolled: 1-line block ×3, first 2 shown]
	v_mul_lo_u32 v3, s6, v2
	v_mul_hi_u32 v3, v2, v3
	v_add_u32_e32 v26, v2, v3
	v_lshlrev_b32_e32 v2, 4, v0
	v_and_b32_e32 v16, 0x3f0, v2
	v_lshl_add_u64 v[18:19], s[0:1], 0, v[16:17]
	s_lshl_b64 s[0:1], s[36:37], 2
	s_add_u32 s0, s34, s0
	v_lshlrev_b32_e32 v2, 5, v24
	s_addc_u32 s1, s35, s1
	v_lshl_or_b32 v2, v6, 6, v2
	v_lshl_add_u64 v[20:21], v[14:15], 2, s[0:1]
	v_add_u32_e32 v15, 0x110, v2
	v_mov_b64_e32 v[2:3], s[24:25]
	s_mov_b64 s[6:7], 0
	v_mov_b64_e32 v[4:5], s[26:27]
	s_mov_b32 s21, 0x7f800000
	s_movk_i32 s22, 0x7fff
	s_branch .LBB159_51
.LBB159_49:                             ;   in Loop: Header=BB159_51 Depth=1
	s_or_b64 exec, exec, s[0:1]
	v_and_b32_e32 v37, 0xffff0000, v27
	v_and_b32_e32 v36, 0xffff0000, v13
	;; [unrolled: 1-line block ×8, first 2 shown]
	v_pk_add_f32 v[12:13], v[12:13], v[36:37]
	v_pk_add_f32 v[28:29], v[28:29], v[34:35]
	v_add_f32_e32 v12, v12, v13
	v_add_f32_e32 v12, v12, v28
	;; [unrolled: 1-line block ×3, first 2 shown]
	v_and_b32_e32 v35, 0xffff0000, v51
	v_and_b32_e32 v34, 0xffff0000, v49
	;; [unrolled: 1-line block ×4, first 2 shown]
	v_add_f32_e32 v2, v2, v12
	v_and_b32_e32 v13, 0xffff0000, v55
	v_and_b32_e32 v12, 0xffff0000, v53
	v_and_b32_e32 v29, 0xffff0000, v54
	v_and_b32_e32 v28, 0xffff0000, v52
	v_pk_add_f32 v[34:35], v[36:37], v[34:35]
	v_pk_add_f32 v[12:13], v[28:29], v[12:13]
	v_add_f32_e32 v16, v34, v35
	v_add_f32_e32 v12, v16, v12
	;; [unrolled: 1-line block ×3, first 2 shown]
	v_and_b32_e32 v35, 0xffff0000, v59
	v_and_b32_e32 v34, 0xffff0000, v57
	;; [unrolled: 1-line block ×4, first 2 shown]
	v_add_f32_e32 v3, v3, v12
	v_and_b32_e32 v13, 0xffff0000, v63
	v_and_b32_e32 v12, 0xffff0000, v61
	;; [unrolled: 1-line block ×4, first 2 shown]
	v_pk_add_f32 v[34:35], v[36:37], v[34:35]
	v_pk_add_f32 v[12:13], v[28:29], v[12:13]
	v_add_f32_e32 v16, v34, v35
	v_add_f32_e32 v12, v16, v12
	;; [unrolled: 1-line block ×3, first 2 shown]
	v_and_b32_e32 v13, 0xffff0000, v11
	v_and_b32_e32 v11, 0xffff0000, v31
	;; [unrolled: 1-line block ×5, first 2 shown]
	v_add_f32_e32 v4, v4, v12
	v_and_b32_e32 v12, 0xffff0000, v32
	v_and_b32_e32 v9, 0xffff0000, v9
	;; [unrolled: 1-line block ×3, first 2 shown]
	v_pk_add_f32 v[6:7], v[6:7], v[10:11]
	v_pk_add_f32 v[8:9], v[8:9], v[12:13]
	v_add_f32_e32 v6, v6, v7
	v_add_f32_e32 v6, v6, v8
	;; [unrolled: 1-line block ×4, first 2 shown]
.LBB159_50:                             ;   in Loop: Header=BB159_51 Depth=1
	s_or_b64 exec, exec, s[8:9]
	v_add_u32_e32 v14, 2, v14
	v_cmp_le_i32_e32 vcc, s20, v14
	v_lshl_add_u64 v[20:21], v[20:21], 0, 8
	v_add_u32_e32 v1, 32, v1
	s_or_b64 s[6:7], vcc, s[6:7]
	v_add_u32_e32 v15, 0x80, v15
	s_andn2_b64 exec, exec, s[6:7]
	s_cbranch_execz .LBB159_220
.LBB159_51:                             ; =>This Inner Loop Header: Depth=1
	v_sub_u32_e32 v7, 0, v1
	v_max_i32_e32 v7, v1, v7
	v_mul_hi_u32 v8, v7, s48
	v_mul_lo_u32 v9, v8, s29
	v_sub_u32_e32 v7, v7, v9
	v_add_u32_e32 v9, 1, v8
	v_cmp_le_u32_e32 vcc, s29, v7
	v_ashrrev_i32_e32 v6, 31, v1
	v_xor_b32_e32 v6, s23, v6
	v_cndmask_b32_e32 v8, v8, v9, vcc
	v_subrev_u32_e32 v9, s29, v7
	v_cndmask_b32_e32 v7, v7, v9, vcc
	v_add_u32_e32 v9, 1, v8
	v_cmp_le_u32_e32 vcc, s29, v7
	s_nop 1
	v_cndmask_b32_e32 v7, v8, v9, vcc
	v_xor_b32_e32 v7, v7, v6
	v_sub_u32_e32 v6, v7, v6
	v_add_u32_e32 v7, s49, v6
	v_sub_u32_e32 v9, 0, v7
	v_ashrrev_i32_e32 v8, 31, v7
	v_max_i32_e32 v7, v7, v9
	v_mul_hi_u32 v9, v7, v26
	v_mul_lo_u32 v9, v9, s18
	v_sub_u32_e32 v7, v7, v9
	v_subrev_u32_e32 v9, s18, v7
	v_cmp_le_u32_e32 vcc, s18, v7
	v_cmp_lt_i32_e64 s[0:1], s5, v6
	s_nop 0
	v_cndmask_b32_e32 v7, v7, v9, vcc
	v_subrev_u32_e32 v9, s18, v7
	v_cmp_le_u32_e32 vcc, s18, v7
	s_nop 1
	v_cndmask_b32_e32 v7, v7, v9, vcc
	v_xor_b32_e32 v7, v7, v8
	v_sub_u32_e32 v7, v7, v8
	v_cmp_eq_u32_e32 vcc, 0, v7
	s_or_b64 s[0:1], vcc, s[0:1]
	s_and_saveexec_b64 s[8:9], s[0:1]
	s_cbranch_execz .LBB159_50
; %bb.52:                               ;   in Loop: Header=BB159_51 Depth=1
	global_load_dword v31, v[20:21], off
	ds_read2_b64 v[10:13], v15 offset1:1
	ds_read2_b64 v[6:9], v15 offset0:2 offset1:3
                                        ; implicit-def: $vgpr40
	s_waitcnt lgkmcnt(1)
	v_and_b32_e32 v16, 0x7f800000, v10
	v_cmp_ne_u32_e32 vcc, s21, v16
	s_and_saveexec_b64 s[0:1], vcc
	s_xor_b64 s[0:1], exec, s[0:1]
; %bb.53:                               ;   in Loop: Header=BB159_51 Depth=1
	v_bfe_u32 v16, v10, 16, 1
	v_add3_u32 v40, v10, v16, s22
; %bb.54:                               ;   in Loop: Header=BB159_51 Depth=1
	s_andn2_saveexec_b64 s[0:1], s[0:1]
; %bb.55:                               ;   in Loop: Header=BB159_51 Depth=1
	v_or_b32_e32 v16, 0x10000, v10
	v_cmp_eq_u32_sdwa vcc, v10, v17 src0_sel:WORD_0 src1_sel:DWORD
	s_nop 1
	v_cndmask_b32_e32 v40, v16, v10, vcc
; %bb.56:                               ;   in Loop: Header=BB159_51 Depth=1
	s_or_b64 exec, exec, s[0:1]
	v_and_b32_e32 v10, 0x7f800000, v11
	v_cmp_ne_u32_e32 vcc, s21, v10
                                        ; implicit-def: $vgpr41
	s_and_saveexec_b64 s[0:1], vcc
	s_xor_b64 s[0:1], exec, s[0:1]
; %bb.57:                               ;   in Loop: Header=BB159_51 Depth=1
	v_bfe_u32 v10, v11, 16, 1
	v_add3_u32 v41, v11, v10, s22
; %bb.58:                               ;   in Loop: Header=BB159_51 Depth=1
	s_andn2_saveexec_b64 s[0:1], s[0:1]
; %bb.59:                               ;   in Loop: Header=BB159_51 Depth=1
	v_or_b32_e32 v10, 0x10000, v11
	v_cmp_eq_u32_sdwa vcc, v11, v17 src0_sel:WORD_0 src1_sel:DWORD
	s_nop 1
	v_cndmask_b32_e32 v41, v10, v11, vcc
; %bb.60:                               ;   in Loop: Header=BB159_51 Depth=1
	s_or_b64 exec, exec, s[0:1]
	v_and_b32_e32 v10, 0x7f800000, v12
	v_cmp_ne_u32_e32 vcc, s21, v10
                                        ; implicit-def: $vgpr16
	s_and_saveexec_b64 s[0:1], vcc
	s_xor_b64 s[0:1], exec, s[0:1]
; %bb.61:                               ;   in Loop: Header=BB159_51 Depth=1
	v_bfe_u32 v10, v12, 16, 1
	v_add3_u32 v16, v12, v10, s22
; %bb.62:                               ;   in Loop: Header=BB159_51 Depth=1
	s_andn2_saveexec_b64 s[0:1], s[0:1]
; %bb.63:                               ;   in Loop: Header=BB159_51 Depth=1
	v_or_b32_e32 v10, 0x10000, v12
	v_cmp_eq_u32_sdwa vcc, v12, v17 src0_sel:WORD_0 src1_sel:DWORD
	s_nop 1
	v_cndmask_b32_e32 v16, v10, v12, vcc
; %bb.64:                               ;   in Loop: Header=BB159_51 Depth=1
	s_or_b64 exec, exec, s[0:1]
	v_and_b32_e32 v10, 0x7f800000, v13
	v_cmp_ne_u32_e32 vcc, s21, v10
                                        ; implicit-def: $vgpr27
	s_and_saveexec_b64 s[0:1], vcc
	s_xor_b64 s[0:1], exec, s[0:1]
; %bb.65:                               ;   in Loop: Header=BB159_51 Depth=1
	v_bfe_u32 v10, v13, 16, 1
	v_add3_u32 v27, v13, v10, s22
                                        ; implicit-def: $vgpr10_vgpr11_vgpr12_vgpr13
; %bb.66:                               ;   in Loop: Header=BB159_51 Depth=1
	s_andn2_saveexec_b64 s[0:1], s[0:1]
; %bb.67:                               ;   in Loop: Header=BB159_51 Depth=1
	v_or_b32_e32 v10, 0x10000, v13
	v_cmp_eq_u32_sdwa vcc, v13, v17 src0_sel:WORD_0 src1_sel:DWORD
	s_nop 1
	v_cndmask_b32_e32 v27, v10, v13, vcc
; %bb.68:                               ;   in Loop: Header=BB159_51 Depth=1
	s_or_b64 exec, exec, s[0:1]
	s_waitcnt lgkmcnt(0)
	v_and_b32_e32 v10, 0x7f800000, v6
	v_cmp_ne_u32_e32 vcc, s21, v10
                                        ; implicit-def: $vgpr28
	s_and_saveexec_b64 s[0:1], vcc
	s_xor_b64 s[0:1], exec, s[0:1]
; %bb.69:                               ;   in Loop: Header=BB159_51 Depth=1
	v_bfe_u32 v10, v6, 16, 1
	v_add3_u32 v28, v6, v10, s22
; %bb.70:                               ;   in Loop: Header=BB159_51 Depth=1
	s_andn2_saveexec_b64 s[0:1], s[0:1]
; %bb.71:                               ;   in Loop: Header=BB159_51 Depth=1
	v_or_b32_e32 v10, 0x10000, v6
	v_cmp_eq_u32_sdwa vcc, v6, v17 src0_sel:WORD_0 src1_sel:DWORD
	s_nop 1
	v_cndmask_b32_e32 v28, v10, v6, vcc
; %bb.72:                               ;   in Loop: Header=BB159_51 Depth=1
	s_or_b64 exec, exec, s[0:1]
	v_and_b32_e32 v6, 0x7f800000, v7
	v_cmp_ne_u32_e32 vcc, s21, v6
                                        ; implicit-def: $vgpr29
	s_and_saveexec_b64 s[0:1], vcc
	s_xor_b64 s[0:1], exec, s[0:1]
; %bb.73:                               ;   in Loop: Header=BB159_51 Depth=1
	v_bfe_u32 v6, v7, 16, 1
	v_add3_u32 v29, v7, v6, s22
; %bb.74:                               ;   in Loop: Header=BB159_51 Depth=1
	s_andn2_saveexec_b64 s[0:1], s[0:1]
; %bb.75:                               ;   in Loop: Header=BB159_51 Depth=1
	v_or_b32_e32 v6, 0x10000, v7
	v_cmp_eq_u32_sdwa vcc, v7, v17 src0_sel:WORD_0 src1_sel:DWORD
	s_nop 1
	v_cndmask_b32_e32 v29, v6, v7, vcc
; %bb.76:                               ;   in Loop: Header=BB159_51 Depth=1
	s_or_b64 exec, exec, s[0:1]
	v_and_b32_e32 v6, 0x7f800000, v8
	v_cmp_ne_u32_e32 vcc, s21, v6
                                        ; implicit-def: $vgpr30
	s_and_saveexec_b64 s[0:1], vcc
	s_xor_b64 s[0:1], exec, s[0:1]
; %bb.77:                               ;   in Loop: Header=BB159_51 Depth=1
	v_bfe_u32 v6, v8, 16, 1
	v_add3_u32 v30, v8, v6, s22
; %bb.78:                               ;   in Loop: Header=BB159_51 Depth=1
	s_andn2_saveexec_b64 s[0:1], s[0:1]
; %bb.79:                               ;   in Loop: Header=BB159_51 Depth=1
	v_or_b32_e32 v6, 0x10000, v8
	v_cmp_eq_u32_sdwa vcc, v8, v17 src0_sel:WORD_0 src1_sel:DWORD
	s_nop 1
	v_cndmask_b32_e32 v30, v6, v8, vcc
; %bb.80:                               ;   in Loop: Header=BB159_51 Depth=1
	s_or_b64 exec, exec, s[0:1]
	v_and_b32_e32 v6, 0x7f800000, v9
	v_cmp_ne_u32_e32 vcc, s21, v6
                                        ; implicit-def: $vgpr39
	s_and_saveexec_b64 s[0:1], vcc
	s_xor_b64 s[0:1], exec, s[0:1]
; %bb.81:                               ;   in Loop: Header=BB159_51 Depth=1
	v_bfe_u32 v6, v9, 16, 1
	v_add3_u32 v39, v9, v6, s22
                                        ; implicit-def: $vgpr6_vgpr7_vgpr8_vgpr9
; %bb.82:                               ;   in Loop: Header=BB159_51 Depth=1
	s_andn2_saveexec_b64 s[0:1], s[0:1]
; %bb.83:                               ;   in Loop: Header=BB159_51 Depth=1
	v_or_b32_e32 v6, 0x10000, v9
	v_cmp_eq_u32_sdwa vcc, v9, v17 src0_sel:WORD_0 src1_sel:DWORD
	s_nop 1
	v_cndmask_b32_e32 v39, v6, v9, vcc
; %bb.84:                               ;   in Loop: Header=BB159_51 Depth=1
	s_or_b64 exec, exec, s[0:1]
	s_waitcnt vmcnt(0)
	v_mad_i64_i32 v[6:7], s[0:1], v31, s17, 0
	v_lshl_add_u64 v[10:11], v[6:7], 1, v[18:19]
	global_load_dwordx4 v[6:9], v[10:11], off
	v_add_u32_e32 v31, v25, v1
	v_cmp_eq_u32_e32 vcc, s19, v14
	v_add_u32_e32 v38, 1, v31
	v_add_u32_e32 v37, 2, v31
	;; [unrolled: 1-line block ×7, first 2 shown]
	s_waitcnt vmcnt(0)
	v_lshrrev_b32_e32 v13, 16, v6
	v_lshrrev_b32_e32 v44, 16, v7
	;; [unrolled: 1-line block ×4, first 2 shown]
	s_and_saveexec_b64 s[12:13], vcc
	s_cbranch_execz .LBB159_86
; %bb.85:                               ;   in Loop: Header=BB159_51 Depth=1
	v_cmp_gt_i32_e64 s[0:1], s33, v31
	s_nop 1
	v_cndmask_b32_e64 v6, 0, v6, s[0:1]
	v_cmp_gt_i32_e64 s[0:1], s33, v38
	s_nop 1
	v_cndmask_b32_e64 v13, 0, v13, s[0:1]
	;; [unrolled: 3-line block ×8, first 2 shown]
.LBB159_86:                             ;   in Loop: Header=BB159_51 Depth=1
	s_or_b64 exec, exec, s[12:13]
	v_and_b32_e32 v40, 0xffff0000, v40
	v_lshlrev_b32_e32 v6, 16, v6
	v_mul_f32_e32 v6, v40, v6
	v_and_b32_e32 v12, 0x7f800000, v6
	v_cmp_ne_u32_e64 s[0:1], s21, v12
                                        ; implicit-def: $vgpr12
	s_and_saveexec_b64 s[12:13], s[0:1]
	s_xor_b64 s[0:1], exec, s[12:13]
; %bb.87:                               ;   in Loop: Header=BB159_51 Depth=1
	v_bfe_u32 v12, v6, 16, 1
	v_add3_u32 v12, v6, v12, s22
                                        ; implicit-def: $vgpr6
; %bb.88:                               ;   in Loop: Header=BB159_51 Depth=1
	s_andn2_saveexec_b64 s[12:13], s[0:1]
; %bb.89:                               ;   in Loop: Header=BB159_51 Depth=1
	v_or_b32_e32 v12, 0x10000, v6
	v_cmp_eq_u32_sdwa s[0:1], v6, v17 src0_sel:WORD_0 src1_sel:DWORD
	s_nop 1
	v_cndmask_b32_e64 v12, v12, v6, s[0:1]
; %bb.90:                               ;   in Loop: Header=BB159_51 Depth=1
	s_or_b64 exec, exec, s[12:13]
	v_and_b32_e32 v41, 0xffff0000, v41
	v_lshlrev_b32_e32 v6, 16, v13
	v_mul_f32_e32 v6, v41, v6
	v_and_b32_e32 v13, 0x7f800000, v6
	v_cmp_ne_u32_e64 s[0:1], s21, v13
                                        ; implicit-def: $vgpr13
	s_and_saveexec_b64 s[12:13], s[0:1]
	s_xor_b64 s[0:1], exec, s[12:13]
; %bb.91:                               ;   in Loop: Header=BB159_51 Depth=1
	v_bfe_u32 v13, v6, 16, 1
	v_add3_u32 v13, v6, v13, s22
                                        ; implicit-def: $vgpr6
; %bb.92:                               ;   in Loop: Header=BB159_51 Depth=1
	s_andn2_saveexec_b64 s[12:13], s[0:1]
; %bb.93:                               ;   in Loop: Header=BB159_51 Depth=1
	v_or_b32_e32 v13, 0x10000, v6
	v_cmp_eq_u32_sdwa s[0:1], v6, v17 src0_sel:WORD_0 src1_sel:DWORD
	s_nop 1
	v_cndmask_b32_e64 v13, v13, v6, s[0:1]
; %bb.94:                               ;   in Loop: Header=BB159_51 Depth=1
	s_or_b64 exec, exec, s[12:13]
	v_and_b32_e32 v42, 0xffff0000, v16
	v_lshlrev_b32_e32 v6, 16, v7
	v_mul_f32_e32 v6, v42, v6
	v_and_b32_e32 v7, 0x7f800000, v6
	v_cmp_ne_u32_e64 s[0:1], s21, v7
                                        ; implicit-def: $vgpr16
	s_and_saveexec_b64 s[12:13], s[0:1]
	s_xor_b64 s[0:1], exec, s[12:13]
; %bb.95:                               ;   in Loop: Header=BB159_51 Depth=1
	v_bfe_u32 v7, v6, 16, 1
	v_add3_u32 v16, v6, v7, s22
                                        ; implicit-def: $vgpr6
; %bb.96:                               ;   in Loop: Header=BB159_51 Depth=1
	s_andn2_saveexec_b64 s[12:13], s[0:1]
; %bb.97:                               ;   in Loop: Header=BB159_51 Depth=1
	v_or_b32_e32 v7, 0x10000, v6
	v_cmp_eq_u32_sdwa s[0:1], v6, v17 src0_sel:WORD_0 src1_sel:DWORD
	s_nop 1
	v_cndmask_b32_e64 v16, v7, v6, s[0:1]
; %bb.98:                               ;   in Loop: Header=BB159_51 Depth=1
	s_or_b64 exec, exec, s[12:13]
	v_and_b32_e32 v43, 0xffff0000, v27
	v_lshlrev_b32_e32 v6, 16, v44
	v_mul_f32_e32 v6, v43, v6
	v_and_b32_e32 v7, 0x7f800000, v6
	v_cmp_ne_u32_e64 s[0:1], s21, v7
                                        ; implicit-def: $vgpr27
	s_and_saveexec_b64 s[12:13], s[0:1]
	s_xor_b64 s[0:1], exec, s[12:13]
; %bb.99:                               ;   in Loop: Header=BB159_51 Depth=1
	v_bfe_u32 v7, v6, 16, 1
	v_add3_u32 v27, v6, v7, s22
                                        ; implicit-def: $vgpr6
; %bb.100:                              ;   in Loop: Header=BB159_51 Depth=1
	s_andn2_saveexec_b64 s[12:13], s[0:1]
; %bb.101:                              ;   in Loop: Header=BB159_51 Depth=1
	v_or_b32_e32 v7, 0x10000, v6
	v_cmp_eq_u32_sdwa s[0:1], v6, v17 src0_sel:WORD_0 src1_sel:DWORD
	s_nop 1
	v_cndmask_b32_e64 v27, v7, v6, s[0:1]
; %bb.102:                              ;   in Loop: Header=BB159_51 Depth=1
	s_or_b64 exec, exec, s[12:13]
	v_and_b32_e32 v44, 0xffff0000, v28
	v_lshlrev_b32_e32 v6, 16, v8
	v_mul_f32_e32 v6, v44, v6
	v_and_b32_e32 v7, 0x7f800000, v6
	v_cmp_ne_u32_e64 s[0:1], s21, v7
                                        ; implicit-def: $vgpr28
	s_and_saveexec_b64 s[12:13], s[0:1]
	s_xor_b64 s[0:1], exec, s[12:13]
; %bb.103:                              ;   in Loop: Header=BB159_51 Depth=1
	v_bfe_u32 v7, v6, 16, 1
	v_add3_u32 v28, v6, v7, s22
                                        ; implicit-def: $vgpr6
; %bb.104:                              ;   in Loop: Header=BB159_51 Depth=1
	s_andn2_saveexec_b64 s[12:13], s[0:1]
; %bb.105:                              ;   in Loop: Header=BB159_51 Depth=1
	v_or_b32_e32 v7, 0x10000, v6
	v_cmp_eq_u32_sdwa s[0:1], v6, v17 src0_sel:WORD_0 src1_sel:DWORD
	s_nop 1
	v_cndmask_b32_e64 v28, v7, v6, s[0:1]
; %bb.106:                              ;   in Loop: Header=BB159_51 Depth=1
	s_or_b64 exec, exec, s[12:13]
	v_and_b32_e32 v45, 0xffff0000, v29
	v_lshlrev_b32_e32 v6, 16, v46
	v_mul_f32_e32 v6, v45, v6
	v_and_b32_e32 v7, 0x7f800000, v6
	v_cmp_ne_u32_e64 s[0:1], s21, v7
                                        ; implicit-def: $vgpr29
	s_and_saveexec_b64 s[12:13], s[0:1]
	s_xor_b64 s[0:1], exec, s[12:13]
; %bb.107:                              ;   in Loop: Header=BB159_51 Depth=1
	v_bfe_u32 v7, v6, 16, 1
	v_add3_u32 v29, v6, v7, s22
                                        ; implicit-def: $vgpr6
; %bb.108:                              ;   in Loop: Header=BB159_51 Depth=1
	s_andn2_saveexec_b64 s[12:13], s[0:1]
; %bb.109:                              ;   in Loop: Header=BB159_51 Depth=1
	v_or_b32_e32 v7, 0x10000, v6
	v_cmp_eq_u32_sdwa s[0:1], v6, v17 src0_sel:WORD_0 src1_sel:DWORD
	s_nop 1
	v_cndmask_b32_e64 v29, v7, v6, s[0:1]
; %bb.110:                              ;   in Loop: Header=BB159_51 Depth=1
	s_or_b64 exec, exec, s[12:13]
	v_and_b32_e32 v46, 0xffff0000, v30
	v_lshlrev_b32_e32 v6, 16, v9
	v_mul_f32_e32 v6, v46, v6
	v_and_b32_e32 v7, 0x7f800000, v6
	v_cmp_ne_u32_e64 s[0:1], s21, v7
                                        ; implicit-def: $vgpr30
	s_and_saveexec_b64 s[12:13], s[0:1]
	s_xor_b64 s[0:1], exec, s[12:13]
; %bb.111:                              ;   in Loop: Header=BB159_51 Depth=1
	v_bfe_u32 v7, v6, 16, 1
	v_add3_u32 v30, v6, v7, s22
                                        ; implicit-def: $vgpr6
; %bb.112:                              ;   in Loop: Header=BB159_51 Depth=1
	s_andn2_saveexec_b64 s[12:13], s[0:1]
; %bb.113:                              ;   in Loop: Header=BB159_51 Depth=1
	v_or_b32_e32 v7, 0x10000, v6
	v_cmp_eq_u32_sdwa s[0:1], v6, v17 src0_sel:WORD_0 src1_sel:DWORD
	s_nop 1
	v_cndmask_b32_e64 v30, v7, v6, s[0:1]
; %bb.114:                              ;   in Loop: Header=BB159_51 Depth=1
	s_or_b64 exec, exec, s[12:13]
	v_and_b32_e32 v47, 0xffff0000, v39
	v_lshlrev_b32_e32 v6, 16, v48
	v_mul_f32_e32 v6, v47, v6
	v_and_b32_e32 v7, 0x7f800000, v6
	v_cmp_ne_u32_e64 s[0:1], s21, v7
                                        ; implicit-def: $vgpr39
	s_and_saveexec_b64 s[12:13], s[0:1]
	s_xor_b64 s[0:1], exec, s[12:13]
; %bb.115:                              ;   in Loop: Header=BB159_51 Depth=1
	v_bfe_u32 v7, v6, 16, 1
	v_add3_u32 v39, v6, v7, s22
                                        ; implicit-def: $vgpr6
; %bb.116:                              ;   in Loop: Header=BB159_51 Depth=1
	s_andn2_saveexec_b64 s[12:13], s[0:1]
; %bb.117:                              ;   in Loop: Header=BB159_51 Depth=1
	v_or_b32_e32 v7, 0x10000, v6
	v_cmp_eq_u32_sdwa s[0:1], v6, v17 src0_sel:WORD_0 src1_sel:DWORD
	s_nop 1
	v_cndmask_b32_e64 v39, v7, v6, s[0:1]
; %bb.118:                              ;   in Loop: Header=BB159_51 Depth=1
	s_or_b64 exec, exec, s[12:13]
	global_load_dwordx4 v[6:9], v[10:11], off offset:1024
	s_waitcnt vmcnt(0)
	v_lshrrev_b32_e32 v49, 16, v6
	v_lshrrev_b32_e32 v51, 16, v7
	;; [unrolled: 1-line block ×4, first 2 shown]
	s_and_saveexec_b64 s[12:13], vcc
	s_cbranch_execz .LBB159_120
; %bb.119:                              ;   in Loop: Header=BB159_51 Depth=1
	v_cmp_gt_i32_e64 s[0:1], s33, v31
	s_nop 1
	v_cndmask_b32_e64 v6, 0, v6, s[0:1]
	v_cmp_gt_i32_e64 s[0:1], s33, v38
	s_nop 1
	v_cndmask_b32_e64 v49, 0, v49, s[0:1]
	;; [unrolled: 3-line block ×8, first 2 shown]
.LBB159_120:                            ;   in Loop: Header=BB159_51 Depth=1
	s_or_b64 exec, exec, s[12:13]
	v_lshlrev_b32_e32 v6, 16, v6
	v_mul_f32_e32 v6, v40, v6
	v_and_b32_e32 v48, 0x7f800000, v6
	v_cmp_ne_u32_e64 s[0:1], s21, v48
                                        ; implicit-def: $vgpr48
	s_and_saveexec_b64 s[12:13], s[0:1]
	s_xor_b64 s[0:1], exec, s[12:13]
; %bb.121:                              ;   in Loop: Header=BB159_51 Depth=1
	v_bfe_u32 v48, v6, 16, 1
	v_add3_u32 v48, v6, v48, s22
                                        ; implicit-def: $vgpr6
; %bb.122:                              ;   in Loop: Header=BB159_51 Depth=1
	s_andn2_saveexec_b64 s[12:13], s[0:1]
; %bb.123:                              ;   in Loop: Header=BB159_51 Depth=1
	v_or_b32_e32 v48, 0x10000, v6
	v_cmp_eq_u32_sdwa s[0:1], v6, v17 src0_sel:WORD_0 src1_sel:DWORD
	s_nop 1
	v_cndmask_b32_e64 v48, v48, v6, s[0:1]
; %bb.124:                              ;   in Loop: Header=BB159_51 Depth=1
	s_or_b64 exec, exec, s[12:13]
	v_lshlrev_b32_e32 v6, 16, v49
	v_mul_f32_e32 v6, v41, v6
	v_and_b32_e32 v49, 0x7f800000, v6
	v_cmp_ne_u32_e64 s[0:1], s21, v49
                                        ; implicit-def: $vgpr49
	s_and_saveexec_b64 s[12:13], s[0:1]
	s_xor_b64 s[0:1], exec, s[12:13]
; %bb.125:                              ;   in Loop: Header=BB159_51 Depth=1
	v_bfe_u32 v49, v6, 16, 1
	v_add3_u32 v49, v6, v49, s22
                                        ; implicit-def: $vgpr6
; %bb.126:                              ;   in Loop: Header=BB159_51 Depth=1
	s_andn2_saveexec_b64 s[12:13], s[0:1]
; %bb.127:                              ;   in Loop: Header=BB159_51 Depth=1
	v_or_b32_e32 v49, 0x10000, v6
	v_cmp_eq_u32_sdwa s[0:1], v6, v17 src0_sel:WORD_0 src1_sel:DWORD
	s_nop 1
	v_cndmask_b32_e64 v49, v49, v6, s[0:1]
; %bb.128:                              ;   in Loop: Header=BB159_51 Depth=1
	s_or_b64 exec, exec, s[12:13]
	v_lshlrev_b32_e32 v6, 16, v7
	v_mul_f32_e32 v6, v42, v6
	v_and_b32_e32 v7, 0x7f800000, v6
	v_cmp_ne_u32_e64 s[0:1], s21, v7
                                        ; implicit-def: $vgpr50
	s_and_saveexec_b64 s[12:13], s[0:1]
	s_xor_b64 s[0:1], exec, s[12:13]
; %bb.129:                              ;   in Loop: Header=BB159_51 Depth=1
	v_bfe_u32 v7, v6, 16, 1
	v_add3_u32 v50, v6, v7, s22
                                        ; implicit-def: $vgpr6
; %bb.130:                              ;   in Loop: Header=BB159_51 Depth=1
	s_andn2_saveexec_b64 s[12:13], s[0:1]
; %bb.131:                              ;   in Loop: Header=BB159_51 Depth=1
	v_or_b32_e32 v7, 0x10000, v6
	v_cmp_eq_u32_sdwa s[0:1], v6, v17 src0_sel:WORD_0 src1_sel:DWORD
	s_nop 1
	v_cndmask_b32_e64 v50, v7, v6, s[0:1]
; %bb.132:                              ;   in Loop: Header=BB159_51 Depth=1
	s_or_b64 exec, exec, s[12:13]
	v_lshlrev_b32_e32 v6, 16, v51
	v_mul_f32_e32 v6, v43, v6
	v_and_b32_e32 v7, 0x7f800000, v6
	v_cmp_ne_u32_e64 s[0:1], s21, v7
                                        ; implicit-def: $vgpr51
	s_and_saveexec_b64 s[12:13], s[0:1]
	s_xor_b64 s[0:1], exec, s[12:13]
; %bb.133:                              ;   in Loop: Header=BB159_51 Depth=1
	v_bfe_u32 v7, v6, 16, 1
	v_add3_u32 v51, v6, v7, s22
                                        ; implicit-def: $vgpr6
; %bb.134:                              ;   in Loop: Header=BB159_51 Depth=1
	s_andn2_saveexec_b64 s[12:13], s[0:1]
; %bb.135:                              ;   in Loop: Header=BB159_51 Depth=1
	v_or_b32_e32 v7, 0x10000, v6
	v_cmp_eq_u32_sdwa s[0:1], v6, v17 src0_sel:WORD_0 src1_sel:DWORD
	s_nop 1
	v_cndmask_b32_e64 v51, v7, v6, s[0:1]
; %bb.136:                              ;   in Loop: Header=BB159_51 Depth=1
	s_or_b64 exec, exec, s[12:13]
	v_lshlrev_b32_e32 v6, 16, v8
	v_mul_f32_e32 v6, v44, v6
	v_and_b32_e32 v7, 0x7f800000, v6
	v_cmp_ne_u32_e64 s[0:1], s21, v7
                                        ; implicit-def: $vgpr52
	s_and_saveexec_b64 s[12:13], s[0:1]
	s_xor_b64 s[0:1], exec, s[12:13]
; %bb.137:                              ;   in Loop: Header=BB159_51 Depth=1
	v_bfe_u32 v7, v6, 16, 1
	v_add3_u32 v52, v6, v7, s22
                                        ; implicit-def: $vgpr6
; %bb.138:                              ;   in Loop: Header=BB159_51 Depth=1
	s_andn2_saveexec_b64 s[12:13], s[0:1]
; %bb.139:                              ;   in Loop: Header=BB159_51 Depth=1
	v_or_b32_e32 v7, 0x10000, v6
	v_cmp_eq_u32_sdwa s[0:1], v6, v17 src0_sel:WORD_0 src1_sel:DWORD
	s_nop 1
	v_cndmask_b32_e64 v52, v7, v6, s[0:1]
; %bb.140:                              ;   in Loop: Header=BB159_51 Depth=1
	s_or_b64 exec, exec, s[12:13]
	v_lshlrev_b32_e32 v6, 16, v53
	v_mul_f32_e32 v6, v45, v6
	v_and_b32_e32 v7, 0x7f800000, v6
	v_cmp_ne_u32_e64 s[0:1], s21, v7
                                        ; implicit-def: $vgpr53
	s_and_saveexec_b64 s[12:13], s[0:1]
	s_xor_b64 s[0:1], exec, s[12:13]
; %bb.141:                              ;   in Loop: Header=BB159_51 Depth=1
	v_bfe_u32 v7, v6, 16, 1
	v_add3_u32 v53, v6, v7, s22
                                        ; implicit-def: $vgpr6
; %bb.142:                              ;   in Loop: Header=BB159_51 Depth=1
	s_andn2_saveexec_b64 s[12:13], s[0:1]
; %bb.143:                              ;   in Loop: Header=BB159_51 Depth=1
	v_or_b32_e32 v7, 0x10000, v6
	v_cmp_eq_u32_sdwa s[0:1], v6, v17 src0_sel:WORD_0 src1_sel:DWORD
	s_nop 1
	v_cndmask_b32_e64 v53, v7, v6, s[0:1]
; %bb.144:                              ;   in Loop: Header=BB159_51 Depth=1
	s_or_b64 exec, exec, s[12:13]
	v_lshlrev_b32_e32 v6, 16, v9
	v_mul_f32_e32 v6, v46, v6
	v_and_b32_e32 v7, 0x7f800000, v6
	v_cmp_ne_u32_e64 s[0:1], s21, v7
                                        ; implicit-def: $vgpr54
	s_and_saveexec_b64 s[12:13], s[0:1]
	s_xor_b64 s[0:1], exec, s[12:13]
; %bb.145:                              ;   in Loop: Header=BB159_51 Depth=1
	v_bfe_u32 v7, v6, 16, 1
	v_add3_u32 v54, v6, v7, s22
                                        ; implicit-def: $vgpr6
; %bb.146:                              ;   in Loop: Header=BB159_51 Depth=1
	s_andn2_saveexec_b64 s[12:13], s[0:1]
; %bb.147:                              ;   in Loop: Header=BB159_51 Depth=1
	v_or_b32_e32 v7, 0x10000, v6
	v_cmp_eq_u32_sdwa s[0:1], v6, v17 src0_sel:WORD_0 src1_sel:DWORD
	s_nop 1
	v_cndmask_b32_e64 v54, v7, v6, s[0:1]
; %bb.148:                              ;   in Loop: Header=BB159_51 Depth=1
	s_or_b64 exec, exec, s[12:13]
	v_lshlrev_b32_e32 v6, 16, v55
	v_mul_f32_e32 v6, v47, v6
	v_and_b32_e32 v7, 0x7f800000, v6
	v_cmp_ne_u32_e64 s[0:1], s21, v7
                                        ; implicit-def: $vgpr55
	s_and_saveexec_b64 s[12:13], s[0:1]
	s_xor_b64 s[0:1], exec, s[12:13]
; %bb.149:                              ;   in Loop: Header=BB159_51 Depth=1
	v_bfe_u32 v7, v6, 16, 1
	v_add3_u32 v55, v6, v7, s22
                                        ; implicit-def: $vgpr6
; %bb.150:                              ;   in Loop: Header=BB159_51 Depth=1
	s_andn2_saveexec_b64 s[12:13], s[0:1]
; %bb.151:                              ;   in Loop: Header=BB159_51 Depth=1
	v_or_b32_e32 v7, 0x10000, v6
	v_cmp_eq_u32_sdwa s[0:1], v6, v17 src0_sel:WORD_0 src1_sel:DWORD
	s_nop 1
	v_cndmask_b32_e64 v55, v7, v6, s[0:1]
; %bb.152:                              ;   in Loop: Header=BB159_51 Depth=1
	s_or_b64 exec, exec, s[12:13]
	global_load_dwordx4 v[6:9], v[10:11], off offset:2048
	s_waitcnt vmcnt(0)
	v_lshrrev_b32_e32 v57, 16, v6
	v_lshrrev_b32_e32 v59, 16, v7
	;; [unrolled: 1-line block ×4, first 2 shown]
	s_and_saveexec_b64 s[12:13], vcc
	s_cbranch_execz .LBB159_154
; %bb.153:                              ;   in Loop: Header=BB159_51 Depth=1
	v_cmp_gt_i32_e64 s[0:1], s33, v31
	s_nop 1
	v_cndmask_b32_e64 v6, 0, v6, s[0:1]
	v_cmp_gt_i32_e64 s[0:1], s33, v38
	s_nop 1
	v_cndmask_b32_e64 v57, 0, v57, s[0:1]
	v_cmp_gt_i32_e64 s[0:1], s33, v37
	s_nop 1
	v_cndmask_b32_e64 v7, 0, v7, s[0:1]
	v_cmp_gt_i32_e64 s[0:1], s33, v35
	s_nop 1
	v_cndmask_b32_e64 v59, 0, v59, s[0:1]
	v_cmp_gt_i32_e64 s[0:1], s33, v34
	s_nop 1
	v_cndmask_b32_e64 v8, 0, v8, s[0:1]
	v_cmp_gt_i32_e64 s[0:1], s33, v33
	s_nop 1
	v_cndmask_b32_e64 v61, 0, v61, s[0:1]
	v_cmp_gt_i32_e64 s[0:1], s33, v32
	s_nop 1
	v_cndmask_b32_e64 v9, 0, v9, s[0:1]
	v_cmp_gt_i32_e64 s[0:1], s33, v36
	s_nop 1
	v_cndmask_b32_e64 v63, 0, v63, s[0:1]
.LBB159_154:                            ;   in Loop: Header=BB159_51 Depth=1
	s_or_b64 exec, exec, s[12:13]
	v_lshlrev_b32_e32 v6, 16, v6
	v_mul_f32_e32 v6, v40, v6
	v_and_b32_e32 v56, 0x7f800000, v6
	v_cmp_ne_u32_e64 s[0:1], s21, v56
                                        ; implicit-def: $vgpr56
	s_and_saveexec_b64 s[12:13], s[0:1]
	s_xor_b64 s[0:1], exec, s[12:13]
; %bb.155:                              ;   in Loop: Header=BB159_51 Depth=1
	v_bfe_u32 v56, v6, 16, 1
	v_add3_u32 v56, v6, v56, s22
                                        ; implicit-def: $vgpr6
; %bb.156:                              ;   in Loop: Header=BB159_51 Depth=1
	s_andn2_saveexec_b64 s[12:13], s[0:1]
; %bb.157:                              ;   in Loop: Header=BB159_51 Depth=1
	v_or_b32_e32 v56, 0x10000, v6
	v_cmp_eq_u32_sdwa s[0:1], v6, v17 src0_sel:WORD_0 src1_sel:DWORD
	s_nop 1
	v_cndmask_b32_e64 v56, v56, v6, s[0:1]
; %bb.158:                              ;   in Loop: Header=BB159_51 Depth=1
	s_or_b64 exec, exec, s[12:13]
	v_lshlrev_b32_e32 v6, 16, v57
	v_mul_f32_e32 v6, v41, v6
	v_and_b32_e32 v57, 0x7f800000, v6
	v_cmp_ne_u32_e64 s[0:1], s21, v57
                                        ; implicit-def: $vgpr57
	s_and_saveexec_b64 s[12:13], s[0:1]
	s_xor_b64 s[0:1], exec, s[12:13]
; %bb.159:                              ;   in Loop: Header=BB159_51 Depth=1
	v_bfe_u32 v57, v6, 16, 1
	v_add3_u32 v57, v6, v57, s22
                                        ; implicit-def: $vgpr6
; %bb.160:                              ;   in Loop: Header=BB159_51 Depth=1
	s_andn2_saveexec_b64 s[12:13], s[0:1]
; %bb.161:                              ;   in Loop: Header=BB159_51 Depth=1
	v_or_b32_e32 v57, 0x10000, v6
	v_cmp_eq_u32_sdwa s[0:1], v6, v17 src0_sel:WORD_0 src1_sel:DWORD
	s_nop 1
	v_cndmask_b32_e64 v57, v57, v6, s[0:1]
; %bb.162:                              ;   in Loop: Header=BB159_51 Depth=1
	s_or_b64 exec, exec, s[12:13]
	v_lshlrev_b32_e32 v6, 16, v7
	v_mul_f32_e32 v6, v42, v6
	v_and_b32_e32 v7, 0x7f800000, v6
	v_cmp_ne_u32_e64 s[0:1], s21, v7
                                        ; implicit-def: $vgpr58
	s_and_saveexec_b64 s[12:13], s[0:1]
	s_xor_b64 s[0:1], exec, s[12:13]
; %bb.163:                              ;   in Loop: Header=BB159_51 Depth=1
	v_bfe_u32 v7, v6, 16, 1
	v_add3_u32 v58, v6, v7, s22
                                        ; implicit-def: $vgpr6
; %bb.164:                              ;   in Loop: Header=BB159_51 Depth=1
	s_andn2_saveexec_b64 s[12:13], s[0:1]
; %bb.165:                              ;   in Loop: Header=BB159_51 Depth=1
	v_or_b32_e32 v7, 0x10000, v6
	v_cmp_eq_u32_sdwa s[0:1], v6, v17 src0_sel:WORD_0 src1_sel:DWORD
	s_nop 1
	v_cndmask_b32_e64 v58, v7, v6, s[0:1]
; %bb.166:                              ;   in Loop: Header=BB159_51 Depth=1
	s_or_b64 exec, exec, s[12:13]
	v_lshlrev_b32_e32 v6, 16, v59
	v_mul_f32_e32 v6, v43, v6
	v_and_b32_e32 v7, 0x7f800000, v6
	v_cmp_ne_u32_e64 s[0:1], s21, v7
                                        ; implicit-def: $vgpr59
	s_and_saveexec_b64 s[12:13], s[0:1]
	s_xor_b64 s[0:1], exec, s[12:13]
; %bb.167:                              ;   in Loop: Header=BB159_51 Depth=1
	v_bfe_u32 v7, v6, 16, 1
	v_add3_u32 v59, v6, v7, s22
                                        ; implicit-def: $vgpr6
; %bb.168:                              ;   in Loop: Header=BB159_51 Depth=1
	s_andn2_saveexec_b64 s[12:13], s[0:1]
; %bb.169:                              ;   in Loop: Header=BB159_51 Depth=1
	v_or_b32_e32 v7, 0x10000, v6
	v_cmp_eq_u32_sdwa s[0:1], v6, v17 src0_sel:WORD_0 src1_sel:DWORD
	s_nop 1
	v_cndmask_b32_e64 v59, v7, v6, s[0:1]
; %bb.170:                              ;   in Loop: Header=BB159_51 Depth=1
	s_or_b64 exec, exec, s[12:13]
	v_lshlrev_b32_e32 v6, 16, v8
	v_mul_f32_e32 v6, v44, v6
	v_and_b32_e32 v7, 0x7f800000, v6
	v_cmp_ne_u32_e64 s[0:1], s21, v7
                                        ; implicit-def: $vgpr60
	s_and_saveexec_b64 s[12:13], s[0:1]
	s_xor_b64 s[0:1], exec, s[12:13]
; %bb.171:                              ;   in Loop: Header=BB159_51 Depth=1
	v_bfe_u32 v7, v6, 16, 1
	v_add3_u32 v60, v6, v7, s22
                                        ; implicit-def: $vgpr6
; %bb.172:                              ;   in Loop: Header=BB159_51 Depth=1
	s_andn2_saveexec_b64 s[12:13], s[0:1]
; %bb.173:                              ;   in Loop: Header=BB159_51 Depth=1
	v_or_b32_e32 v7, 0x10000, v6
	v_cmp_eq_u32_sdwa s[0:1], v6, v17 src0_sel:WORD_0 src1_sel:DWORD
	s_nop 1
	v_cndmask_b32_e64 v60, v7, v6, s[0:1]
; %bb.174:                              ;   in Loop: Header=BB159_51 Depth=1
	s_or_b64 exec, exec, s[12:13]
	v_lshlrev_b32_e32 v6, 16, v61
	v_mul_f32_e32 v6, v45, v6
	v_and_b32_e32 v7, 0x7f800000, v6
	v_cmp_ne_u32_e64 s[0:1], s21, v7
                                        ; implicit-def: $vgpr61
	s_and_saveexec_b64 s[12:13], s[0:1]
	s_xor_b64 s[0:1], exec, s[12:13]
; %bb.175:                              ;   in Loop: Header=BB159_51 Depth=1
	v_bfe_u32 v7, v6, 16, 1
	v_add3_u32 v61, v6, v7, s22
                                        ; implicit-def: $vgpr6
; %bb.176:                              ;   in Loop: Header=BB159_51 Depth=1
	s_andn2_saveexec_b64 s[12:13], s[0:1]
; %bb.177:                              ;   in Loop: Header=BB159_51 Depth=1
	v_or_b32_e32 v7, 0x10000, v6
	v_cmp_eq_u32_sdwa s[0:1], v6, v17 src0_sel:WORD_0 src1_sel:DWORD
	s_nop 1
	v_cndmask_b32_e64 v61, v7, v6, s[0:1]
; %bb.178:                              ;   in Loop: Header=BB159_51 Depth=1
	s_or_b64 exec, exec, s[12:13]
	v_lshlrev_b32_e32 v6, 16, v9
	v_mul_f32_e32 v6, v46, v6
	v_and_b32_e32 v7, 0x7f800000, v6
	v_cmp_ne_u32_e64 s[0:1], s21, v7
                                        ; implicit-def: $vgpr62
	s_and_saveexec_b64 s[12:13], s[0:1]
	s_xor_b64 s[0:1], exec, s[12:13]
; %bb.179:                              ;   in Loop: Header=BB159_51 Depth=1
	v_bfe_u32 v7, v6, 16, 1
	v_add3_u32 v62, v6, v7, s22
                                        ; implicit-def: $vgpr6
; %bb.180:                              ;   in Loop: Header=BB159_51 Depth=1
	s_andn2_saveexec_b64 s[12:13], s[0:1]
; %bb.181:                              ;   in Loop: Header=BB159_51 Depth=1
	v_or_b32_e32 v7, 0x10000, v6
	v_cmp_eq_u32_sdwa s[0:1], v6, v17 src0_sel:WORD_0 src1_sel:DWORD
	s_nop 1
	v_cndmask_b32_e64 v62, v7, v6, s[0:1]
; %bb.182:                              ;   in Loop: Header=BB159_51 Depth=1
	s_or_b64 exec, exec, s[12:13]
	v_lshlrev_b32_e32 v6, 16, v63
	v_mul_f32_e32 v6, v47, v6
	v_and_b32_e32 v7, 0x7f800000, v6
	v_cmp_ne_u32_e64 s[0:1], s21, v7
                                        ; implicit-def: $vgpr63
	s_and_saveexec_b64 s[12:13], s[0:1]
	s_xor_b64 s[0:1], exec, s[12:13]
; %bb.183:                              ;   in Loop: Header=BB159_51 Depth=1
	v_bfe_u32 v7, v6, 16, 1
	v_add3_u32 v63, v6, v7, s22
                                        ; implicit-def: $vgpr6
; %bb.184:                              ;   in Loop: Header=BB159_51 Depth=1
	s_andn2_saveexec_b64 s[12:13], s[0:1]
; %bb.185:                              ;   in Loop: Header=BB159_51 Depth=1
	v_or_b32_e32 v7, 0x10000, v6
	v_cmp_eq_u32_sdwa s[0:1], v6, v17 src0_sel:WORD_0 src1_sel:DWORD
	s_nop 1
	v_cndmask_b32_e64 v63, v7, v6, s[0:1]
; %bb.186:                              ;   in Loop: Header=BB159_51 Depth=1
	s_or_b64 exec, exec, s[12:13]
	global_load_dwordx4 v[6:9], v[10:11], off offset:3072
	s_waitcnt vmcnt(0)
	v_lshrrev_b32_e32 v10, 16, v6
	v_lshrrev_b32_e32 v65, 16, v7
	;; [unrolled: 1-line block ×4, first 2 shown]
	s_and_saveexec_b64 s[0:1], vcc
	s_cbranch_execz .LBB159_188
; %bb.187:                              ;   in Loop: Header=BB159_51 Depth=1
	v_cmp_gt_i32_e32 vcc, s33, v31
	s_nop 1
	v_cndmask_b32_e32 v6, 0, v6, vcc
	v_cmp_gt_i32_e32 vcc, s33, v38
	s_nop 1
	v_cndmask_b32_e32 v10, 0, v10, vcc
	;; [unrolled: 3-line block ×8, first 2 shown]
.LBB159_188:                            ;   in Loop: Header=BB159_51 Depth=1
	s_or_b64 exec, exec, s[0:1]
	v_lshlrev_b32_e32 v6, 16, v6
	v_mul_f32_e32 v31, v40, v6
	v_and_b32_e32 v6, 0x7f800000, v31
	v_cmp_ne_u32_e32 vcc, s21, v6
                                        ; implicit-def: $vgpr6
	s_and_saveexec_b64 s[0:1], vcc
	s_xor_b64 s[0:1], exec, s[0:1]
; %bb.189:                              ;   in Loop: Header=BB159_51 Depth=1
	v_bfe_u32 v6, v31, 16, 1
	v_add3_u32 v6, v31, v6, s22
                                        ; implicit-def: $vgpr31
; %bb.190:                              ;   in Loop: Header=BB159_51 Depth=1
	s_andn2_saveexec_b64 s[0:1], s[0:1]
; %bb.191:                              ;   in Loop: Header=BB159_51 Depth=1
	v_or_b32_e32 v6, 0x10000, v31
	v_cmp_eq_u32_sdwa vcc, v31, v17 src0_sel:WORD_0 src1_sel:DWORD
	s_nop 1
	v_cndmask_b32_e32 v6, v6, v31, vcc
; %bb.192:                              ;   in Loop: Header=BB159_51 Depth=1
	s_or_b64 exec, exec, s[0:1]
	v_lshlrev_b32_e32 v10, 16, v10
	v_mul_f32_e32 v31, v41, v10
	v_and_b32_e32 v10, 0x7f800000, v31
	v_cmp_ne_u32_e32 vcc, s21, v10
                                        ; implicit-def: $vgpr10
	s_and_saveexec_b64 s[0:1], vcc
	s_xor_b64 s[0:1], exec, s[0:1]
; %bb.193:                              ;   in Loop: Header=BB159_51 Depth=1
	v_bfe_u32 v10, v31, 16, 1
	v_add3_u32 v10, v31, v10, s22
                                        ; implicit-def: $vgpr31
; %bb.194:                              ;   in Loop: Header=BB159_51 Depth=1
	s_andn2_saveexec_b64 s[0:1], s[0:1]
; %bb.195:                              ;   in Loop: Header=BB159_51 Depth=1
	v_or_b32_e32 v10, 0x10000, v31
	v_cmp_eq_u32_sdwa vcc, v31, v17 src0_sel:WORD_0 src1_sel:DWORD
	s_nop 1
	v_cndmask_b32_e32 v10, v10, v31, vcc
; %bb.196:                              ;   in Loop: Header=BB159_51 Depth=1
	s_or_b64 exec, exec, s[0:1]
	v_lshlrev_b32_e32 v7, 16, v7
	v_mul_f32_e32 v31, v42, v7
	v_and_b32_e32 v7, 0x7f800000, v31
	v_cmp_ne_u32_e32 vcc, s21, v7
                                        ; implicit-def: $vgpr7
	s_and_saveexec_b64 s[0:1], vcc
	s_xor_b64 s[0:1], exec, s[0:1]
; %bb.197:                              ;   in Loop: Header=BB159_51 Depth=1
	v_bfe_u32 v7, v31, 16, 1
	v_add3_u32 v7, v31, v7, s22
                                        ; implicit-def: $vgpr31
; %bb.198:                              ;   in Loop: Header=BB159_51 Depth=1
	s_andn2_saveexec_b64 s[0:1], s[0:1]
; %bb.199:                              ;   in Loop: Header=BB159_51 Depth=1
	v_or_b32_e32 v7, 0x10000, v31
	v_cmp_eq_u32_sdwa vcc, v31, v17 src0_sel:WORD_0 src1_sel:DWORD
	s_nop 1
	v_cndmask_b32_e32 v7, v7, v31, vcc
; %bb.200:                              ;   in Loop: Header=BB159_51 Depth=1
	s_or_b64 exec, exec, s[0:1]
	v_lshlrev_b32_e32 v31, 16, v65
	v_mul_f32_e32 v32, v43, v31
	v_and_b32_e32 v31, 0x7f800000, v32
	v_cmp_ne_u32_e32 vcc, s21, v31
                                        ; implicit-def: $vgpr31
	s_and_saveexec_b64 s[0:1], vcc
	s_xor_b64 s[0:1], exec, s[0:1]
; %bb.201:                              ;   in Loop: Header=BB159_51 Depth=1
	v_bfe_u32 v31, v32, 16, 1
	v_add3_u32 v31, v32, v31, s22
                                        ; implicit-def: $vgpr32
; %bb.202:                              ;   in Loop: Header=BB159_51 Depth=1
	s_andn2_saveexec_b64 s[0:1], s[0:1]
; %bb.203:                              ;   in Loop: Header=BB159_51 Depth=1
	v_or_b32_e32 v31, 0x10000, v32
	v_cmp_eq_u32_sdwa vcc, v32, v17 src0_sel:WORD_0 src1_sel:DWORD
	s_nop 1
	v_cndmask_b32_e32 v31, v31, v32, vcc
; %bb.204:                              ;   in Loop: Header=BB159_51 Depth=1
	s_or_b64 exec, exec, s[0:1]
	v_lshlrev_b32_e32 v8, 16, v8
	v_mul_f32_e32 v32, v44, v8
	v_and_b32_e32 v8, 0x7f800000, v32
	v_cmp_ne_u32_e32 vcc, s21, v8
                                        ; implicit-def: $vgpr8
	s_and_saveexec_b64 s[0:1], vcc
	s_xor_b64 s[0:1], exec, s[0:1]
; %bb.205:                              ;   in Loop: Header=BB159_51 Depth=1
	v_bfe_u32 v8, v32, 16, 1
	v_add3_u32 v8, v32, v8, s22
                                        ; implicit-def: $vgpr32
; %bb.206:                              ;   in Loop: Header=BB159_51 Depth=1
	s_andn2_saveexec_b64 s[0:1], s[0:1]
; %bb.207:                              ;   in Loop: Header=BB159_51 Depth=1
	v_or_b32_e32 v8, 0x10000, v32
	v_cmp_eq_u32_sdwa vcc, v32, v17 src0_sel:WORD_0 src1_sel:DWORD
	s_nop 1
	v_cndmask_b32_e32 v8, v8, v32, vcc
; %bb.208:                              ;   in Loop: Header=BB159_51 Depth=1
	s_or_b64 exec, exec, s[0:1]
	v_lshlrev_b32_e32 v32, 16, v64
	v_mul_f32_e32 v33, v45, v32
	v_and_b32_e32 v32, 0x7f800000, v33
	v_cmp_ne_u32_e32 vcc, s21, v32
                                        ; implicit-def: $vgpr32
	s_and_saveexec_b64 s[0:1], vcc
	s_xor_b64 s[0:1], exec, s[0:1]
; %bb.209:                              ;   in Loop: Header=BB159_51 Depth=1
	v_bfe_u32 v32, v33, 16, 1
	v_add3_u32 v32, v33, v32, s22
                                        ; implicit-def: $vgpr33
; %bb.210:                              ;   in Loop: Header=BB159_51 Depth=1
	s_andn2_saveexec_b64 s[0:1], s[0:1]
; %bb.211:                              ;   in Loop: Header=BB159_51 Depth=1
	v_or_b32_e32 v32, 0x10000, v33
	v_cmp_eq_u32_sdwa vcc, v33, v17 src0_sel:WORD_0 src1_sel:DWORD
	s_nop 1
	v_cndmask_b32_e32 v32, v32, v33, vcc
; %bb.212:                              ;   in Loop: Header=BB159_51 Depth=1
	s_or_b64 exec, exec, s[0:1]
	v_lshlrev_b32_e32 v9, 16, v9
	v_mul_f32_e32 v33, v46, v9
	v_and_b32_e32 v9, 0x7f800000, v33
	v_cmp_ne_u32_e32 vcc, s21, v9
                                        ; implicit-def: $vgpr9
	s_and_saveexec_b64 s[0:1], vcc
	s_xor_b64 s[0:1], exec, s[0:1]
; %bb.213:                              ;   in Loop: Header=BB159_51 Depth=1
	v_bfe_u32 v9, v33, 16, 1
	v_add3_u32 v9, v33, v9, s22
                                        ; implicit-def: $vgpr33
; %bb.214:                              ;   in Loop: Header=BB159_51 Depth=1
	s_andn2_saveexec_b64 s[0:1], s[0:1]
; %bb.215:                              ;   in Loop: Header=BB159_51 Depth=1
	v_or_b32_e32 v9, 0x10000, v33
	v_cmp_eq_u32_sdwa vcc, v33, v17 src0_sel:WORD_0 src1_sel:DWORD
	s_nop 1
	v_cndmask_b32_e32 v9, v9, v33, vcc
; %bb.216:                              ;   in Loop: Header=BB159_51 Depth=1
	s_or_b64 exec, exec, s[0:1]
	v_lshlrev_b32_e32 v11, 16, v11
	v_mul_f32_e32 v33, v47, v11
	v_and_b32_e32 v11, 0x7f800000, v33
	v_cmp_ne_u32_e32 vcc, s21, v11
                                        ; implicit-def: $vgpr11
	s_and_saveexec_b64 s[0:1], vcc
	s_xor_b64 s[0:1], exec, s[0:1]
; %bb.217:                              ;   in Loop: Header=BB159_51 Depth=1
	v_bfe_u32 v11, v33, 16, 1
	v_add3_u32 v11, v33, v11, s22
                                        ; implicit-def: $vgpr33
; %bb.218:                              ;   in Loop: Header=BB159_51 Depth=1
	s_andn2_saveexec_b64 s[0:1], s[0:1]
	s_cbranch_execz .LBB159_49
; %bb.219:                              ;   in Loop: Header=BB159_51 Depth=1
	v_or_b32_e32 v11, 0x10000, v33
	v_cmp_eq_u32_sdwa vcc, v33, v17 src0_sel:WORD_0 src1_sel:DWORD
	s_nop 1
	v_cndmask_b32_e32 v11, v11, v33, vcc
	s_branch .LBB159_49
.LBB159_220:
	s_or_b64 exec, exec, s[6:7]
.LBB159_221:
	s_or_b64 exec, exec, s[2:3]
	ds_bpermute_b32 v6, v23, v2
	ds_bpermute_b32 v7, v23, v3
	;; [unrolled: 1-line block ×4, first 2 shown]
	v_and_b32_e32 v1, 0x3c1, v0
	v_cmp_eq_u32_e32 vcc, 64, v1
	s_waitcnt lgkmcnt(2)
	v_pk_add_f32 v[6:7], v[2:3], v[6:7]
	s_waitcnt lgkmcnt(0)
	v_pk_add_f32 v[2:3], v[4:5], v[8:9]
	s_barrier
	s_and_saveexec_b64 s[0:1], vcc
	s_cbranch_execz .LBB159_223
; %bb.222:
	v_mov_b32_e32 v1, 0x110
	v_lshl_add_u32 v1, v22, 1, v1
	ds_write2_b32 v1, v6, v7 offset1:32
	ds_write2_b32 v1, v2, v3 offset0:64 offset1:96
.LBB159_223:
	s_or_b64 exec, exec, s[0:1]
	s_waitcnt lgkmcnt(0)
	s_barrier
	s_and_saveexec_b64 s[0:1], s[10:11]
	s_cbranch_execz .LBB159_230
; %bb.224:
	v_cmp_eq_u32_e32 vcc, 0, v24
	v_lshrrev_b32_e32 v1, 1, v0
	s_and_saveexec_b64 s[2:3], vcc
	s_cbranch_execnz .LBB159_250
; %bb.225:
	s_or_b64 exec, exec, s[2:3]
	s_and_saveexec_b64 s[2:3], vcc
	s_cbranch_execnz .LBB159_251
.LBB159_226:
	s_or_b64 exec, exec, s[2:3]
	s_and_saveexec_b64 s[2:3], vcc
	s_cbranch_execnz .LBB159_252
.LBB159_227:
	s_or_b64 exec, exec, s[2:3]
	s_and_saveexec_b64 s[2:3], vcc
	s_cbranch_execz .LBB159_229
.LBB159_228:
	v_mov_b32_e32 v4, 0x110
	v_lshl_add_u32 v1, v1, 2, v4
	ds_read_b32 v1, v1 offset:384
	s_waitcnt lgkmcnt(0)
	v_add_f32_e32 v3, v3, v1
.LBB159_229:
	s_or_b64 exec, exec, s[2:3]
.LBB159_230:
	s_or_b64 exec, exec, s[0:1]
	s_barrier
	s_and_saveexec_b64 s[0:1], s[10:11]
	s_cbranch_execz .LBB159_249
; %bb.231:
	v_cmp_eq_u32_e32 vcc, 0, v24
	s_and_b64 exec, exec, vcc
	s_cbranch_execz .LBB159_249
; %bb.232:
	s_mov_b32 s0, 0x7f800000
	v_and_b32_e32 v1, 0x7f800000, v6
	v_cmp_ne_u32_e32 vcc, s0, v1
                                        ; implicit-def: $vgpr4
	s_and_saveexec_b64 s[0:1], vcc
	s_xor_b64 s[0:1], exec, s[0:1]
; %bb.233:
	v_bfe_u32 v1, v6, 16, 1
	s_movk_i32 s2, 0x7fff
	v_add3_u32 v4, v6, v1, s2
; %bb.234:
	s_andn2_saveexec_b64 s[0:1], s[0:1]
; %bb.235:
	v_mov_b32_e32 v1, 0
	v_or_b32_e32 v4, 0x10000, v6
	v_cmp_eq_u32_sdwa vcc, v6, v1 src0_sel:WORD_0 src1_sel:DWORD
	s_nop 1
	v_cndmask_b32_e32 v4, v4, v6, vcc
; %bb.236:
	s_or_b64 exec, exec, s[0:1]
	s_mul_i32 s0, s16, s14
	s_mul_i32 s0, s0, s15
	s_lshl_b32 s0, s0, 7
	s_ashr_i32 s1, s0, 31
	s_lshl_b64 s[0:1], s[0:1], 1
	s_add_u32 s2, s30, s0
	s_mul_i32 s0, s16, s28
	s_addc_u32 s3, s31, s1
	s_ashr_i32 s1, s0, 31
	s_lshl_b64 s[0:1], s[0:1], 1
	s_add_u32 s2, s2, s0
	s_addc_u32 s3, s3, s1
	s_lshl_b32 s0, s4, 7
	s_ashr_i32 s1, s0, 31
	s_lshl_b64 s[0:1], s[0:1], 1
	s_add_u32 s0, s2, s0
	s_addc_u32 s1, s3, s1
	v_and_b32_e32 v0, 0x3fe, v0
	global_store_short_d16_hi v0, v4, s[0:1]
	s_mov_b32 s2, 0x7f800000
	v_and_b32_e32 v4, 0x7f800000, v7
	v_mov_b32_e32 v1, 0
	v_cmp_ne_u32_e32 vcc, s2, v4
                                        ; implicit-def: $vgpr6
	s_and_saveexec_b64 s[2:3], vcc
	s_xor_b64 s[2:3], exec, s[2:3]
; %bb.237:
	v_bfe_u32 v4, v7, 16, 1
	s_movk_i32 s4, 0x7fff
	v_add3_u32 v6, v7, v4, s4
; %bb.238:
	s_or_saveexec_b64 s[2:3], s[2:3]
	v_lshl_add_u64 v[4:5], s[0:1], 0, v[0:1]
	s_xor_b64 exec, exec, s[2:3]
; %bb.239:
	v_mov_b32_e32 v0, 0
	v_or_b32_e32 v1, 0x10000, v7
	v_cmp_eq_u32_sdwa vcc, v7, v0 src0_sel:WORD_0 src1_sel:DWORD
	s_nop 1
	v_cndmask_b32_e32 v6, v1, v7, vcc
; %bb.240:
	s_or_b64 exec, exec, s[2:3]
	s_mov_b32 s0, 0x7f800000
	v_and_b32_e32 v0, 0x7f800000, v2
	v_cmp_ne_u32_e32 vcc, s0, v0
	global_store_short_d16_hi v[4:5], v6, off offset:64
                                        ; implicit-def: $vgpr0
	s_and_saveexec_b64 s[0:1], vcc
	s_xor_b64 s[0:1], exec, s[0:1]
; %bb.241:
	v_bfe_u32 v0, v2, 16, 1
	s_movk_i32 s2, 0x7fff
	v_add3_u32 v0, v2, v0, s2
; %bb.242:
	s_andn2_saveexec_b64 s[0:1], s[0:1]
; %bb.243:
	v_mov_b32_e32 v0, 0
	v_or_b32_e32 v1, 0x10000, v2
	v_cmp_eq_u32_sdwa vcc, v2, v0 src0_sel:WORD_0 src1_sel:DWORD
	s_nop 1
	v_cndmask_b32_e32 v0, v1, v2, vcc
; %bb.244:
	s_or_b64 exec, exec, s[0:1]
	global_store_short_d16_hi v[4:5], v0, off offset:128
	s_mov_b32 s0, 0x7f800000
	v_and_b32_e32 v0, 0x7f800000, v3
	v_cmp_ne_u32_e32 vcc, s0, v0
                                        ; implicit-def: $vgpr6
	s_and_saveexec_b64 s[0:1], vcc
	s_xor_b64 s[0:1], exec, s[0:1]
; %bb.245:
	v_bfe_u32 v0, v3, 16, 1
	s_movk_i32 s2, 0x7fff
	v_add3_u32 v6, v3, v0, s2
                                        ; implicit-def: $vgpr0_vgpr1_vgpr2_vgpr3
; %bb.246:
	s_andn2_saveexec_b64 s[0:1], s[0:1]
; %bb.247:
	v_mov_b32_e32 v0, 0
	v_or_b32_e32 v1, 0x10000, v3
	v_cmp_eq_u32_sdwa vcc, v3, v0 src0_sel:WORD_0 src1_sel:DWORD
	s_nop 1
	v_cndmask_b32_e32 v6, v1, v3, vcc
; %bb.248:
	s_or_b64 exec, exec, s[0:1]
	global_store_short_d16_hi v[4:5], v6, off offset:192
.LBB159_249:
	s_endpgm
.LBB159_250:
	v_mov_b32_e32 v4, 0x110
	v_lshl_add_u32 v4, v1, 2, v4
	ds_read_b32 v4, v4
	s_waitcnt lgkmcnt(0)
	v_add_f32_e32 v6, v6, v4
	s_or_b64 exec, exec, s[2:3]
	s_and_saveexec_b64 s[2:3], vcc
	s_cbranch_execz .LBB159_226
.LBB159_251:
	v_mov_b32_e32 v4, 0x110
	v_lshl_add_u32 v4, v1, 2, v4
	ds_read_b32 v4, v4 offset:128
	s_waitcnt lgkmcnt(0)
	v_add_f32_e32 v7, v7, v4
	s_or_b64 exec, exec, s[2:3]
	s_and_saveexec_b64 s[2:3], vcc
	s_cbranch_execz .LBB159_227
.LBB159_252:
	v_mov_b32_e32 v4, 0x110
	v_lshl_add_u32 v4, v1, 2, v4
	ds_read_b32 v4, v4 offset:256
	s_waitcnt lgkmcnt(0)
	v_add_f32_e32 v2, v2, v4
	s_or_b64 exec, exec, s[2:3]
	s_and_saveexec_b64 s[2:3], vcc
	s_cbranch_execnz .LBB159_228
	s_branch .LBB159_229
	.section	.rodata,"a",@progbits
	.p2align	6, 0x0
	.amdhsa_kernel _ZN4vllm25paged_attention_v2_kernelI14__hip_bfloat16S1_Li128ELi16ELi128ELNS_18Fp8KVCacheDataTypeE0ELb1ELi512EEEvPfS3_PT_PKS4_PKT0_SA_ifPKiSC_iPKfiiiSE_SE_iiiii
		.amdhsa_group_segment_fixed_size 272
		.amdhsa_private_segment_fixed_size 0
		.amdhsa_kernarg_size 400
		.amdhsa_user_sgpr_count 2
		.amdhsa_user_sgpr_dispatch_ptr 0
		.amdhsa_user_sgpr_queue_ptr 0
		.amdhsa_user_sgpr_kernarg_segment_ptr 1
		.amdhsa_user_sgpr_dispatch_id 0
		.amdhsa_user_sgpr_kernarg_preload_length 0
		.amdhsa_user_sgpr_kernarg_preload_offset 0
		.amdhsa_user_sgpr_private_segment_size 0
		.amdhsa_uses_dynamic_stack 0
		.amdhsa_enable_private_segment 0
		.amdhsa_system_sgpr_workgroup_id_x 1
		.amdhsa_system_sgpr_workgroup_id_y 1
		.amdhsa_system_sgpr_workgroup_id_z 1
		.amdhsa_system_sgpr_workgroup_info 0
		.amdhsa_system_vgpr_workitem_id 0
		.amdhsa_next_free_vgpr 88
		.amdhsa_next_free_sgpr 54
		.amdhsa_accum_offset 88
		.amdhsa_reserve_vcc 1
		.amdhsa_float_round_mode_32 0
		.amdhsa_float_round_mode_16_64 0
		.amdhsa_float_denorm_mode_32 3
		.amdhsa_float_denorm_mode_16_64 3
		.amdhsa_dx10_clamp 1
		.amdhsa_ieee_mode 1
		.amdhsa_fp16_overflow 0
		.amdhsa_tg_split 0
		.amdhsa_exception_fp_ieee_invalid_op 0
		.amdhsa_exception_fp_denorm_src 0
		.amdhsa_exception_fp_ieee_div_zero 0
		.amdhsa_exception_fp_ieee_overflow 0
		.amdhsa_exception_fp_ieee_underflow 0
		.amdhsa_exception_fp_ieee_inexact 0
		.amdhsa_exception_int_div_zero 0
	.end_amdhsa_kernel
	.section	.text._ZN4vllm25paged_attention_v2_kernelI14__hip_bfloat16S1_Li128ELi16ELi128ELNS_18Fp8KVCacheDataTypeE0ELb1ELi512EEEvPfS3_PT_PKS4_PKT0_SA_ifPKiSC_iPKfiiiSE_SE_iiiii,"axG",@progbits,_ZN4vllm25paged_attention_v2_kernelI14__hip_bfloat16S1_Li128ELi16ELi128ELNS_18Fp8KVCacheDataTypeE0ELb1ELi512EEEvPfS3_PT_PKS4_PKT0_SA_ifPKiSC_iPKfiiiSE_SE_iiiii,comdat
.Lfunc_end159:
	.size	_ZN4vllm25paged_attention_v2_kernelI14__hip_bfloat16S1_Li128ELi16ELi128ELNS_18Fp8KVCacheDataTypeE0ELb1ELi512EEEvPfS3_PT_PKS4_PKT0_SA_ifPKiSC_iPKfiiiSE_SE_iiiii, .Lfunc_end159-_ZN4vllm25paged_attention_v2_kernelI14__hip_bfloat16S1_Li128ELi16ELi128ELNS_18Fp8KVCacheDataTypeE0ELb1ELi512EEEvPfS3_PT_PKS4_PKT0_SA_ifPKiSC_iPKfiiiSE_SE_iiiii
                                        ; -- End function
	.section	.AMDGPU.csdata,"",@progbits
; Kernel info:
; codeLenInByte = 9548
; NumSgprs: 60
; NumVgprs: 88
; NumAgprs: 0
; TotalNumVgprs: 88
; ScratchSize: 0
; MemoryBound: 0
; FloatMode: 240
; IeeeMode: 1
; LDSByteSize: 272 bytes/workgroup (compile time only)
; SGPRBlocks: 7
; VGPRBlocks: 10
; NumSGPRsForWavesPerEU: 60
; NumVGPRsForWavesPerEU: 88
; AccumOffset: 88
; Occupancy: 5
; WaveLimiterHint : 1
; COMPUTE_PGM_RSRC2:SCRATCH_EN: 0
; COMPUTE_PGM_RSRC2:USER_SGPR: 2
; COMPUTE_PGM_RSRC2:TRAP_HANDLER: 0
; COMPUTE_PGM_RSRC2:TGID_X_EN: 1
; COMPUTE_PGM_RSRC2:TGID_Y_EN: 1
; COMPUTE_PGM_RSRC2:TGID_Z_EN: 1
; COMPUTE_PGM_RSRC2:TIDIG_COMP_CNT: 0
; COMPUTE_PGM_RSRC3_GFX90A:ACCUM_OFFSET: 21
; COMPUTE_PGM_RSRC3_GFX90A:TG_SPLIT: 0
	.section	.text._ZN4vllm25paged_attention_v2_kernelI14__hip_bfloat16S1_Li192ELi16ELi128ELNS_18Fp8KVCacheDataTypeE0ELb1ELi512EEEvPfS3_PT_PKS4_PKT0_SA_ifPKiSC_iPKfiiiSE_SE_iiiii,"axG",@progbits,_ZN4vllm25paged_attention_v2_kernelI14__hip_bfloat16S1_Li192ELi16ELi128ELNS_18Fp8KVCacheDataTypeE0ELb1ELi512EEEvPfS3_PT_PKS4_PKT0_SA_ifPKiSC_iPKfiiiSE_SE_iiiii,comdat
	.protected	_ZN4vllm25paged_attention_v2_kernelI14__hip_bfloat16S1_Li192ELi16ELi128ELNS_18Fp8KVCacheDataTypeE0ELb1ELi512EEEvPfS3_PT_PKS4_PKT0_SA_ifPKiSC_iPKfiiiSE_SE_iiiii ; -- Begin function _ZN4vllm25paged_attention_v2_kernelI14__hip_bfloat16S1_Li192ELi16ELi128ELNS_18Fp8KVCacheDataTypeE0ELb1ELi512EEEvPfS3_PT_PKS4_PKT0_SA_ifPKiSC_iPKfiiiSE_SE_iiiii
	.globl	_ZN4vllm25paged_attention_v2_kernelI14__hip_bfloat16S1_Li192ELi16ELi128ELNS_18Fp8KVCacheDataTypeE0ELb1ELi512EEEvPfS3_PT_PKS4_PKT0_SA_ifPKiSC_iPKfiiiSE_SE_iiiii
	.p2align	8
	.type	_ZN4vllm25paged_attention_v2_kernelI14__hip_bfloat16S1_Li192ELi16ELi128ELNS_18Fp8KVCacheDataTypeE0ELb1ELi512EEEvPfS3_PT_PKS4_PKT0_SA_ifPKiSC_iPKfiiiSE_SE_iiiii,@function
_ZN4vllm25paged_attention_v2_kernelI14__hip_bfloat16S1_Li192ELi16ELi128ELNS_18Fp8KVCacheDataTypeE0ELb1ELi512EEEvPfS3_PT_PKS4_PKT0_SA_ifPKiSC_iPKfiiiSE_SE_iiiii: ; @_ZN4vllm25paged_attention_v2_kernelI14__hip_bfloat16S1_Li192ELi16ELi128ELNS_18Fp8KVCacheDataTypeE0ELb1ELi512EEEvPfS3_PT_PKS4_PKT0_SA_ifPKiSC_iPKfiiiSE_SE_iiiii
; %bb.0:
	s_load_dwordx2 s[6:7], s[0:1], 0x40
	s_mov_b32 s24, s3
	s_ashr_i32 s25, s3, 31
	s_lshl_b64 s[8:9], s[24:25], 2
	s_waitcnt lgkmcnt(0)
	s_add_u32 s6, s6, s8
	s_addc_u32 s7, s7, s9
	s_load_dword s33, s[6:7], 0x0
	s_lshl_b32 s5, s4, 9
	s_waitcnt lgkmcnt(0)
	s_cmp_ge_i32 s5, s33
	s_cbranch_scc1 .LBB160_327
; %bb.1:
	s_load_dword s25, s[0:1], 0x90
	s_load_dwordx2 s[38:39], s[0:1], 0x30
	s_waitcnt lgkmcnt(0)
	s_abs_i32 s7, s25
	s_abs_i32 s3, s38
	v_cvt_f32_u32_e32 v1, s3
	s_sub_i32 s8, 0, s3
	s_xor_b32 s6, s25, s38
	s_ashr_i32 s6, s6, 31
	v_rcp_iflag_f32_e32 v1, v1
	s_nop 0
	v_mul_f32_e32 v1, 0x4f7ffffe, v1
	v_cvt_u32_f32_e32 v1, v1
	s_nop 0
	v_readfirstlane_b32 s9, v1
	s_mul_i32 s8, s8, s9
	s_mul_hi_u32 s8, s9, s8
	s_add_i32 s9, s9, s8
	s_mul_hi_u32 s8, s7, s9
	s_mul_i32 s9, s8, s3
	s_sub_i32 s7, s7, s9
	s_add_i32 s10, s8, 1
	s_sub_i32 s9, s7, s3
	s_cmp_ge_u32 s7, s3
	s_cselect_b32 s8, s10, s8
	s_cselect_b32 s7, s9, s7
	s_add_i32 s9, s8, 1
	s_cmp_ge_u32 s7, s3
	s_cselect_b32 s3, s9, s8
	s_xor_b32 s3, s3, s6
	s_sub_i32 s12, s3, s6
	s_abs_i32 s8, s12
	v_cvt_f32_u32_e32 v1, s8
	s_load_dwordx2 s[6:7], s[0:1], 0x50
	s_sub_i32 s10, 0, s8
	s_abs_i32 s9, s2
	v_rcp_iflag_f32_e32 v1, v1
	s_mov_b32 s3, 0
	v_mul_f32_e32 v1, 0x4f7ffffe, v1
	v_cvt_u32_f32_e32 v1, v1
	s_nop 0
	v_readfirstlane_b32 s11, v1
	s_mul_i32 s10, s10, s11
	s_mul_hi_u32 s10, s11, s10
	s_add_i32 s11, s11, s10
	s_waitcnt lgkmcnt(0)
	s_cmp_eq_u64 s[6:7], 0
	s_mul_hi_u32 s10, s9, s11
	s_cbranch_scc1 .LBB160_3
; %bb.2:
	s_ashr_i32 s3, s2, 31
	s_lshl_b64 s[14:15], s[2:3], 2
	s_add_u32 s6, s6, s14
	s_addc_u32 s7, s7, s15
	s_load_dword s3, s[6:7], 0x0
.LBB160_3:
	s_ashr_i32 s16, s12, 31
	s_load_dwordx4 s[12:15], s[0:1], 0x58
	s_waitcnt lgkmcnt(0)
	s_movk_i32 s15, 0x60
	s_ashr_i32 s11, s2, 31
	v_and_b32_e32 v2, 3, v0
	s_mul_i32 s26, s2, 0xc0
	v_cmp_gt_u32_e32 vcc, s15, v0
	s_and_saveexec_b64 s[6:7], vcc
	s_cbranch_execz .LBB160_5
; %bb.4:
	s_load_dwordx2 s[18:19], s[0:1], 0x18
	s_mul_i32 s20, s24, s12
	s_ashr_i32 s21, s20, 31
	s_lshl_b64 s[20:21], s[20:21], 1
	v_lshlrev_b32_e32 v1, 2, v0
	s_waitcnt lgkmcnt(0)
	s_add_u32 s12, s18, s20
	s_addc_u32 s17, s19, s21
	s_ashr_i32 s27, s26, 31
	s_lshl_b64 s[18:19], s[26:27], 1
	s_add_u32 s18, s12, s18
	s_addc_u32 s19, s17, s19
	global_load_dword v1, v1, s[18:19]
	v_and_b32_e32 v3, 0x3fc, v0
	v_mad_u32_u24 v3, v2, s15, v3
	s_waitcnt vmcnt(0)
	ds_write_b32 v3, v1
.LBB160_5:
	s_or_b64 exec, exec, s[6:7]
	s_mul_i32 s7, s10, s8
	s_sub_i32 s7, s9, s7
	s_xor_b32 s6, s11, s16
	s_add_i32 s9, s10, 1
	s_sub_i32 s11, s7, s8
	s_load_dwordx4 s[16:19], s[0:1], 0x78
	s_cmp_ge_u32 s7, s8
	s_cselect_b32 s9, s9, s10
	s_cselect_b32 s7, s11, s7
	s_load_dword s11, s[0:1], 0x88
	s_add_i32 s10, s9, 1
	s_cmp_ge_u32 s7, s8
	s_cselect_b32 s7, s10, s9
	s_waitcnt lgkmcnt(0)
	s_abs_i32 s27, s19
	v_cvt_f32_u32_e32 v1, s27
	s_xor_b32 s7, s7, s6
	s_sub_i32 s10, s7, s6
	s_sub_i32 s6, 0, s27
	v_rcp_iflag_f32_e32 v1, v1
	s_add_i32 s12, s33, -1
	s_abs_i32 s8, s12
	v_mul_f32_e32 v1, 0x4f7ffffe, v1
	v_cvt_u32_f32_e32 v1, v1
	s_barrier
	v_readfirstlane_b32 s46, v1
	s_mul_i32 s6, s6, s46
	s_mul_hi_u32 s6, s46, s6
	s_add_i32 s46, s46, s6
	s_cmp_lt_i32 s11, 0
	s_mul_hi_u32 s9, s8, s46
	s_cbranch_scc0 .LBB160_7
; %bb.6:
	s_mul_i32 s6, s16, s38
	s_add_i32 s6, s10, s6
	s_mul_i32 s6, s6, s11
	s_sub_i32 s47, 1, s6
	s_mov_b64 s[6:7], 0
	s_branch .LBB160_8
.LBB160_7:
	s_mov_b64 s[6:7], -1
                                        ; implicit-def: $sgpr47
.LBB160_8:
	s_load_dwordx2 s[30:31], s[0:1], 0x38
	s_ashr_i32 s12, s12, 31
	s_andn2_b64 vcc, exec, s[6:7]
	s_ashr_i32 s19, s19, 31
	s_cbranch_vccnz .LBB160_10
; %bb.9:
	s_mul_i32 s6, s25, s16
	s_add_i32 s6, s6, s2
	s_mul_i32 s6, s6, s11
	s_add_i32 s47, s6, 1
.LBB160_10:
	s_load_dword s6, s[0:1], 0x48
	s_load_dwordx2 s[36:37], s[0:1], 0x28
	s_load_dword s16, s[0:1], 0x98
	s_load_dwordx4 s[20:23], s[0:1], 0x0
	s_load_dwordx2 s[28:29], s[0:1], 0x10
	s_mul_i32 s7, s9, s27
	s_waitcnt lgkmcnt(0)
	s_mul_i32 s34, s24, s6
	s_sub_i32 s7, s8, s7
	s_ashr_i32 s35, s34, 31
	s_xor_b32 s6, s12, s19
	s_add_i32 s8, s9, 1
	s_sub_i32 s11, s7, s27
	s_cmp_ge_u32 s7, s27
	s_cselect_b32 s8, s8, s9
	s_cselect_b32 s7, s11, s7
	s_add_i32 s9, s8, 1
	s_cmp_ge_u32 s7, s27
	s_cselect_b32 s7, s9, s8
	s_xor_b32 s7, s7, s6
	s_sub_i32 s49, s7, s6
	s_add_i32 s6, s33, 15
	s_ashr_i32 s7, s6, 31
	s_lshr_b32 s7, s7, 28
	s_add_i32 s6, s6, s7
	s_lshl_b32 s38, s4, 5
	s_ashr_i32 s12, s6, 4
	s_add_i32 s6, s38, 32
	v_lshrrev_b32_e32 v34, 6, v0
	s_min_i32 s48, s6, s12
	v_or_b32_e32 v26, s38, v34
	v_cmp_gt_i32_e64 s[8:9], s48, v26
	v_mov_b32_e32 v38, 0xff7fffff
	s_mul_i32 s14, s10, s14
	v_ashrrev_i32_e32 v27, 31, v26
	v_lshl_add_u32 v1, v34, 4, s5
	v_mbcnt_lo_u32_b32 v35, -1, 0
	s_and_saveexec_b64 s[40:41], s[8:9]
	s_cbranch_execz .LBB160_20
; %bb.11:
	s_load_dwordx2 s[0:1], s[0:1], 0x20
	s_ashr_i32 s15, s14, 31
	s_sub_i32 s50, s49, s17
	s_lshl_b64 s[6:7], s[14:15], 1
	v_bfe_u32 v36, v0, 2, 4
	s_waitcnt lgkmcnt(0)
	s_add_u32 s0, s0, s6
	s_addc_u32 s1, s1, s7
	s_abs_i32 s15, s18
	v_cvt_f32_u32_e32 v3, s15
	v_lshlrev_b32_e32 v4, 4, v36
	v_mov_b32_e32 v5, 0
	v_lshl_add_u64 v[6:7], s[0:1], 0, v[4:5]
	v_rcp_iflag_f32_e32 v3, v3
	s_sub_i32 s0, 0, s15
	v_cmp_eq_u32_e32 vcc, 0, v2
	v_mul_u32_u24_e32 v37, 0x60, v2
	v_mul_f32_e32 v3, 0x4f7ffffe, v3
	v_cvt_u32_f32_e32 v3, v3
	v_lshlrev_b32_e32 v4, 2, v0
	v_mbcnt_hi_u32_b32 v44, -1, v35
	v_and_b32_e32 v4, 12, v4
	v_mul_lo_u32 v2, s0, v3
	v_mul_hi_u32 v2, v3, v2
	v_add_u32_e32 v39, v3, v2
	v_lshlrev_b32_e32 v2, 2, v36
	s_lshl_b64 s[0:1], s[34:35], 2
	v_lshl_or_b32 v2, v34, 6, v2
	s_add_u32 s0, s30, s0
	v_add_u32_e32 v41, 0x190, v2
	v_subrev_u32_e32 v2, s33, v36
	s_addc_u32 s1, s31, s1
	v_add_u32_e32 v42, 1, v2
	v_and_b32_e32 v2, 64, v44
	s_mov_b32 s51, s13
	v_lshl_add_u64 v[28:29], v[6:7], 0, v[4:5]
	v_cmp_neq_f32_e64 s[6:7], s3, 0
	v_lshl_add_u64 v[30:31], v[26:27], 2, s[0:1]
	v_lshl_add_u32 v40, v34, 4, s5
	s_mov_b64 s[42:43], 0
	v_mov_b32_e32 v43, 0xff7fffff
	s_movk_i32 s52, 0x1000
	v_add_u32_e32 v45, 64, v2
	v_xor_b32_e32 v46, 2, v44
	v_xor_b32_e32 v47, 1, v44
	v_mov_b32_e32 v38, 0xff7fffff
	v_mov_b32_e32 v48, v26
	s_branch .LBB160_14
.LBB160_12:                             ;   in Loop: Header=BB160_14 Depth=1
	s_or_b64 exec, exec, s[44:45]
.LBB160_13:                             ;   in Loop: Header=BB160_14 Depth=1
	s_or_b64 exec, exec, s[10:11]
	v_add_u32_e32 v48, 2, v48
	v_cmp_le_i32_e64 s[0:1], s48, v48
	v_lshl_add_u64 v[30:31], v[30:31], 0, 8
	v_add_u32_e32 v40, 32, v40
	s_or_b64 s[42:43], s[0:1], s[42:43]
	v_add_u32_e32 v41, 0x80, v41
	s_andn2_b64 exec, exec, s[42:43]
	s_cbranch_execz .LBB160_19
.LBB160_14:                             ; =>This Inner Loop Header: Depth=1
	s_waitcnt lgkmcnt(0)
	v_sub_u32_e32 v3, 0, v40
	v_max_i32_e32 v3, v40, v3
	v_mul_hi_u32 v4, v3, s46
	v_mul_lo_u32 v5, v4, s27
	v_sub_u32_e32 v3, v3, v5
	v_add_u32_e32 v5, 1, v4
	v_cmp_le_u32_e64 s[0:1], s27, v3
	v_ashrrev_i32_e32 v2, 31, v40
	v_xor_b32_e32 v2, s19, v2
	v_cndmask_b32_e64 v4, v4, v5, s[0:1]
	v_subrev_u32_e32 v5, s27, v3
	v_cndmask_b32_e64 v3, v3, v5, s[0:1]
	v_add_u32_e32 v5, 1, v4
	v_cmp_le_u32_e64 s[0:1], s27, v3
	s_nop 1
	v_cndmask_b32_e64 v3, v4, v5, s[0:1]
	v_xor_b32_e32 v3, v3, v2
	v_sub_u32_e32 v2, v3, v2
	v_add_u32_e32 v3, s47, v2
	v_sub_u32_e32 v5, 0, v3
	v_ashrrev_i32_e32 v4, 31, v3
	v_max_i32_e32 v3, v3, v5
	v_mul_hi_u32 v5, v3, v39
	v_mul_lo_u32 v5, v5, s15
	v_sub_u32_e32 v3, v3, v5
	v_subrev_u32_e32 v5, s15, v3
	v_cmp_le_u32_e64 s[0:1], s15, v3
	v_cmp_ge_i32_e64 s[10:11], s50, v2
	s_nop 0
	v_cndmask_b32_e64 v3, v3, v5, s[0:1]
	v_subrev_u32_e32 v5, s15, v3
	v_cmp_le_u32_e64 s[0:1], s15, v3
	s_nop 1
	v_cndmask_b32_e64 v3, v3, v5, s[0:1]
	v_xor_b32_e32 v3, v3, v4
	v_sub_u32_e32 v3, v3, v4
	v_cmp_ne_u32_e64 s[0:1], 0, v3
	s_and_b64 s[0:1], s[0:1], s[10:11]
	s_and_b64 s[44:45], vcc, s[0:1]
	s_and_saveexec_b64 s[10:11], s[44:45]
	s_cbranch_execz .LBB160_16
; %bb.15:                               ;   in Loop: Header=BB160_14 Depth=1
	ds_write_b32 v41, v43
.LBB160_16:                             ;   in Loop: Header=BB160_14 Depth=1
	s_or_b64 exec, exec, s[10:11]
	s_xor_b64 s[0:1], s[0:1], -1
	s_and_saveexec_b64 s[10:11], s[0:1]
	s_cbranch_execz .LBB160_13
; %bb.17:                               ;   in Loop: Header=BB160_14 Depth=1
	global_load_dword v2, v[30:31], off
	s_waitcnt vmcnt(0)
	v_mad_i64_i32 v[2:3], s[0:1], v2, s51, 0
	v_lshl_add_u64 v[32:33], v[2:3], 1, v[28:29]
	global_load_dword v49, v[32:33], off offset:512
	global_load_dword v50, v[32:33], off offset:768
	;; [unrolled: 1-line block ×7, first 2 shown]
	global_load_dword v56, v[32:33], off
	ds_read_b128 v[22:25], v37
	ds_read_b128 v[18:21], v37 offset:16
	ds_read_b128 v[14:17], v37 offset:32
	;; [unrolled: 1-line block ×5, first 2 shown]
	global_load_dword v62, v[32:33], off offset:2048
	global_load_dword v64, v[32:33], off offset:2304
	;; [unrolled: 1-line block ×6, first 2 shown]
	v_cmp_lt_i32_e64 s[0:1], v46, v45
	global_load_dword v77, v[32:33], off offset:3584
	global_load_dword v78, v[32:33], off offset:3840
	v_cndmask_b32_e64 v57, v44, v46, s[0:1]
	v_add_co_u32_e64 v32, s[0:1], s52, v32
	s_waitcnt lgkmcnt(5)
	v_lshlrev_b32_e32 v59, 16, v23
	v_addc_co_u32_e64 v33, s[0:1], 0, v33, s[0:1]
	global_load_dword v79, v[32:33], off
	global_load_dword v81, v[32:33], off offset:256
	global_load_dword v84, v[32:33], off offset:512
	;; [unrolled: 1-line block ×6, first 2 shown]
	v_and_b32_e32 v23, 0xffff0000, v23
	global_load_dword v32, v[32:33], off offset:1792
	v_lshlrev_b32_e32 v58, 16, v22
	v_and_b32_e32 v22, 0xffff0000, v22
	v_lshlrev_b32_e32 v60, 16, v24
	v_and_b32_e32 v24, 0xffff0000, v24
	v_lshlrev_b32_e32 v61, 16, v25
	v_and_b32_e32 v25, 0xffff0000, v25
	s_waitcnt lgkmcnt(4)
	v_lshlrev_b32_e32 v63, 16, v18
	v_and_b32_e32 v18, 0xffff0000, v18
	v_lshlrev_b32_e32 v65, 16, v19
	v_and_b32_e32 v19, 0xffff0000, v19
	v_lshlrev_b32_e32 v66, 16, v20
	v_and_b32_e32 v20, 0xffff0000, v20
	v_lshlrev_b32_e32 v68, 16, v21
	v_and_b32_e32 v21, 0xffff0000, v21
	s_waitcnt lgkmcnt(3)
	v_lshlrev_b32_e32 v69, 16, v14
	v_and_b32_e32 v14, 0xffff0000, v14
	;; [unrolled: 9-line block ×5, first 2 shown]
	v_lshlrev_b32_e32 v93, 16, v3
	v_and_b32_e32 v3, 0xffff0000, v3
	v_lshlrev_b32_e32 v95, 16, v4
	v_and_b32_e32 v4, 0xffff0000, v4
	;; [unrolled: 2-line block ×3, first 2 shown]
	v_lshlrev_b32_e32 v57, 2, v57
	v_cmp_lt_i32_e64 s[0:1], v47, v45
	s_waitcnt vmcnt(23)
	v_lshlrev_b32_e32 v98, 16, v49
	v_and_b32_e32 v49, 0xffff0000, v49
	s_waitcnt vmcnt(22)
	v_lshlrev_b32_e32 v99, 16, v50
	v_and_b32_e32 v50, 0xffff0000, v50
	;; [unrolled: 3-line block ×5, first 2 shown]
	v_mul_f32_e32 v59, v59, v96
	v_mul_f32_e32 v23, v23, v55
	v_fmac_f32_e32 v59, v58, v97
	v_fmac_f32_e32 v23, v22, v56
	;; [unrolled: 1-line block ×6, first 2 shown]
	v_lshlrev_b32_e32 v101, 16, v52
	v_and_b32_e32 v52, 0xffff0000, v52
	v_fmac_f32_e32 v59, v63, v100
	v_fmac_f32_e32 v23, v18, v51
	v_lshlrev_b32_e32 v102, 16, v53
	v_and_b32_e32 v53, 0xffff0000, v53
	v_fmac_f32_e32 v59, v65, v101
	v_fmac_f32_e32 v23, v19, v52
	;; [unrolled: 4-line block ×3, first 2 shown]
	s_waitcnt vmcnt(15)
	v_lshlrev_b32_e32 v104, 16, v62
	v_and_b32_e32 v62, 0xffff0000, v62
	v_fmac_f32_e32 v59, v68, v103
	v_fmac_f32_e32 v23, v21, v54
	s_waitcnt vmcnt(14)
	v_lshlrev_b32_e32 v105, 16, v64
	v_and_b32_e32 v64, 0xffff0000, v64
	v_fmac_f32_e32 v59, v69, v104
	v_fmac_f32_e32 v23, v14, v62
	;; [unrolled: 5-line block ×16, first 2 shown]
	v_fmac_f32_e32 v59, v33, v94
	v_fmac_f32_e32 v23, v5, v32
	v_add_f32_e32 v2, v59, v23
	ds_bpermute_b32 v3, v57, v2
	v_cndmask_b32_e64 v4, v44, v47, s[0:1]
	v_lshlrev_b32_e32 v4, 2, v4
	s_waitcnt lgkmcnt(0)
	v_add_f32_e32 v2, v2, v3
	ds_bpermute_b32 v3, v4, v2
	s_and_saveexec_b64 s[44:45], vcc
	s_cbranch_execz .LBB160_12
; %bb.18:                               ;   in Loop: Header=BB160_14 Depth=1
	v_add_u32_e32 v4, v42, v40
	v_cvt_f32_i32_e32 v4, v4
	s_waitcnt lgkmcnt(0)
	v_add_f32_e32 v2, v2, v3
	v_add_u32_e32 v5, v36, v40
	v_cmp_gt_i32_e64 s[0:1], s33, v5
	v_mul_f32_e32 v3, s3, v4
	v_cndmask_b32_e64 v3, 0, v3, s[6:7]
	v_fmac_f32_e32 v3, s39, v2
	v_cndmask_b32_e64 v2, 0, v3, s[0:1]
	ds_write_b32 v41, v2
	v_max_f32_e32 v2, v38, v38
	v_max_f32_e32 v2, v2, v3
	v_cndmask_b32_e64 v38, v38, v2, s[0:1]
	s_branch .LBB160_12
.LBB160_19:
	s_or_b64 exec, exec, s[42:43]
.LBB160_20:
	s_or_b64 exec, exec, s[40:41]
	v_mbcnt_hi_u32_b32 v2, -1, v35
	s_waitcnt lgkmcnt(0)
	v_and_b32_e32 v3, 64, v2
	v_add_u32_e32 v3, 64, v3
	v_xor_b32_e32 v4, 32, v2
	v_cmp_lt_i32_e32 vcc, v4, v3
	v_xor_b32_e32 v7, 16, v2
	v_max_f32_e32 v6, v38, v38
	v_cndmask_b32_e32 v4, v2, v4, vcc
	v_lshlrev_b32_e32 v5, 2, v4
	ds_bpermute_b32 v4, v5, v38
	v_cmp_lt_i32_e32 vcc, v7, v3
	v_xor_b32_e32 v8, 8, v2
	v_and_b32_e32 v24, 63, v0
	s_waitcnt lgkmcnt(0)
	v_max_f32_e32 v4, v4, v4
	v_max_f32_e32 v4, v6, v4
	v_cndmask_b32_e32 v6, v2, v7, vcc
	v_lshlrev_b32_e32 v6, 2, v6
	ds_bpermute_b32 v7, v6, v4
	v_cmp_lt_i32_e32 vcc, v8, v3
	s_waitcnt lgkmcnt(0)
	v_max_f32_e32 v7, v7, v7
	v_max_f32_e32 v4, v4, v7
	v_cndmask_b32_e32 v7, v2, v8, vcc
	v_lshlrev_b32_e32 v9, 2, v7
	ds_bpermute_b32 v7, v9, v4
	v_xor_b32_e32 v8, 4, v2
	v_cmp_lt_i32_e32 vcc, v8, v3
	s_waitcnt lgkmcnt(0)
	v_max_f32_e32 v7, v7, v7
	v_max_f32_e32 v4, v4, v7
	v_cndmask_b32_e32 v7, v2, v8, vcc
	v_lshlrev_b32_e32 v10, 2, v7
	ds_bpermute_b32 v8, v10, v4
	v_cmp_eq_u32_e32 vcc, 0, v24
	v_lshlrev_b32_e32 v7, 2, v34
	s_and_saveexec_b64 s[0:1], vcc
	s_cbranch_execz .LBB160_22
; %bb.21:
	s_waitcnt lgkmcnt(0)
	v_max_f32_e32 v8, v8, v8
	v_max_f32_e32 v4, v4, v4
	;; [unrolled: 1-line block ×3, first 2 shown]
	ds_write_b32 v7, v4 offset:384
.LBB160_22:
	s_or_b64 exec, exec, s[0:1]
	v_cmp_gt_u32_e64 s[0:1], 2, v24
	v_mov_b32_e32 v4, 0xff7fffff
	s_waitcnt lgkmcnt(0)
	v_lshlrev_b32_e32 v8, 2, v24
	s_barrier
	s_and_saveexec_b64 s[6:7], s[0:1]
	s_cbranch_execz .LBB160_24
; %bb.23:
	ds_read_b32 v4, v8 offset:384
.LBB160_24:
	s_or_b64 exec, exec, s[6:7]
	v_xor_b32_e32 v11, 1, v2
	v_cmp_lt_i32_e64 s[6:7], v11, v3
	s_sub_i32 s3, s48, s38
	s_lshl_b32 s3, s3, 4
	v_cndmask_b32_e64 v11, v2, v11, s[6:7]
	v_lshlrev_b32_e32 v25, 2, v11
	s_waitcnt lgkmcnt(0)
	ds_bpermute_b32 v11, v25, v4
	v_max_f32_e32 v4, v4, v4
	s_add_i32 s3, s3, s5
	s_min_i32 s15, s3, s33
	s_sub_i32 s3, s15, s5
	s_waitcnt lgkmcnt(0)
	v_max_f32_e32 v11, v11, v11
	v_max_f32_e32 v4, v4, v11
	v_lshlrev_b32_e32 v11, 2, v2
	v_and_b32_e32 v11, 0x100, v11
	ds_bpermute_b32 v4, v11, v4
	v_cmp_gt_i32_e64 s[6:7], s3, v0
	v_mov_b32_e32 v12, 0
	s_and_saveexec_b64 s[38:39], s[6:7]
	s_cbranch_execz .LBB160_28
; %bb.25:
	v_mov_b32_e32 v12, 0x190
	v_lshl_add_u32 v13, v0, 2, v12
	s_mov_b64 s[40:41], 0
	v_mov_b32_e32 v12, 0
	v_mov_b32_e32 v14, v0
.LBB160_26:                             ; =>This Inner Loop Header: Depth=1
	ds_read_b32 v15, v13
	v_add_u32_e32 v14, 0x80, v14
	v_cmp_le_i32_e64 s[10:11], s3, v14
	s_or_b64 s[40:41], s[10:11], s[40:41]
	s_waitcnt lgkmcnt(0)
	v_sub_f32_e32 v15, v15, v4
	v_mul_f32_e32 v15, 0x3fb8aa3b, v15
	v_exp_f32_e32 v15, v15
	ds_write_b32 v13, v15
	v_add_f32_e32 v12, v12, v15
	v_add_u32_e32 v13, 0x200, v13
	s_andn2_b64 exec, exec, s[40:41]
	s_cbranch_execnz .LBB160_26
; %bb.27:
	s_or_b64 exec, exec, s[40:41]
.LBB160_28:
	s_or_b64 exec, exec, s[38:39]
	ds_bpermute_b32 v5, v5, v12
	s_waitcnt lgkmcnt(0)
	v_add_f32_e32 v5, v12, v5
	ds_bpermute_b32 v6, v6, v5
	s_waitcnt lgkmcnt(0)
	v_add_f32_e32 v5, v5, v6
	ds_bpermute_b32 v6, v9, v5
	v_xor_b32_e32 v9, 2, v2
	v_cmp_lt_i32_e64 s[10:11], v9, v3
	s_waitcnt lgkmcnt(0)
	v_add_f32_e32 v5, v5, v6
	ds_bpermute_b32 v6, v10, v5
	v_cndmask_b32_e64 v2, v2, v9, s[10:11]
	v_lshlrev_b32_e32 v2, 2, v2
	s_waitcnt lgkmcnt(0)
	v_add_f32_e32 v3, v5, v6
	ds_bpermute_b32 v2, v2, v3
	s_waitcnt lgkmcnt(0)
	v_add_f32_e32 v2, v3, v2
	ds_bpermute_b32 v3, v25, v2
	s_waitcnt lgkmcnt(0)
	v_add_f32_e32 v2, v2, v3
	s_and_saveexec_b64 s[10:11], vcc
	s_cbranch_execz .LBB160_30
; %bb.29:
	ds_write_b32 v7, v2 offset:392
.LBB160_30:
	s_or_b64 exec, exec, s[10:11]
	s_waitcnt lgkmcnt(0)
	s_barrier
	s_and_saveexec_b64 s[10:11], s[0:1]
	s_cbranch_execz .LBB160_32
; %bb.31:
	ds_read_b32 v2, v8 offset:392
.LBB160_32:
	s_or_b64 exec, exec, s[10:11]
	s_waitcnt lgkmcnt(0)
	ds_bpermute_b32 v3, v25, v2
	s_waitcnt lgkmcnt(0)
	v_add_f32_e32 v2, v2, v3
	ds_bpermute_b32 v5, v11, v2
	s_and_saveexec_b64 s[0:1], s[6:7]
	s_cbranch_execz .LBB160_45
; %bb.33:
	s_waitcnt lgkmcnt(0)
	v_add_f32_e32 v2, 0x358637bd, v5
	v_div_scale_f32 v3, s[6:7], v2, v2, 1.0
	v_rcp_f32_e32 v6, v3
	v_div_scale_f32 v7, vcc, 1.0, v2, 1.0
	s_mov_b64 s[10:11], -1
	v_fma_f32 v8, -v3, v6, 1.0
	v_fmac_f32_e32 v6, v8, v6
	v_mul_f32_e32 v8, v7, v6
	v_fma_f32 v9, -v3, v8, v7
	v_fmac_f32_e32 v8, v9, v6
	v_fma_f32 v3, -v3, v8, v7
	v_div_fmas_f32 v3, v3, v6, v8
	v_div_fixup_f32 v2, v3, v2, 1.0
	v_xad_u32 v3, v0, -1, s15
	v_subrev_u32_e32 v6, s5, v3
	s_movk_i32 s5, 0x7f
	v_cmp_lt_u32_e32 vcc, s5, v6
	v_mov_b32_e32 v3, v0
	s_and_saveexec_b64 s[6:7], vcc
	s_cbranch_execz .LBB160_42
; %bb.34:
	v_lshrrev_b32_e32 v6, 7, v6
	v_add_u32_e32 v8, -1, v6
	v_lshrrev_b32_e32 v7, 1, v8
	v_mov_b32_e32 v3, v2
	v_add_u32_e32 v7, 1, v7
	v_cmp_lt_u32_e32 vcc, 13, v8
	v_mov_b32_e32 v10, 0
	s_and_saveexec_b64 s[10:11], vcc
	s_cbranch_execz .LBB160_38
; %bb.35:
	v_mov_b32_e32 v9, 0x190
	v_and_b32_e32 v8, -8, v7
	v_lshl_add_u32 v9, v0, 2, v9
	s_mov_b32 s5, 0
	s_mov_b64 s[38:39], 0
.LBB160_36:                             ; =>This Inner Loop Header: Depth=1
	ds_read2st64_b32 v[10:11], v9 offset1:2
	ds_read2st64_b32 v[12:13], v9 offset0:4 offset1:6
	ds_read2st64_b32 v[14:15], v9 offset0:8 offset1:10
	;; [unrolled: 1-line block ×3, first 2 shown]
	v_add_u32_e32 v8, -8, v8
	s_waitcnt lgkmcnt(3)
	v_pk_mul_f32 v[10:11], v[2:3], v[10:11]
	s_waitcnt lgkmcnt(2)
	v_pk_mul_f32 v[12:13], v[2:3], v[12:13]
	ds_write2st64_b32 v9, v10, v11 offset1:2
	ds_write2st64_b32 v9, v12, v13 offset0:4 offset1:6
	ds_read2st64_b32 v[12:13], v9 offset0:16 offset1:18
	s_waitcnt lgkmcnt(4)
	v_pk_mul_f32 v[10:11], v[2:3], v[14:15]
	ds_write2st64_b32 v9, v10, v11 offset0:8 offset1:10
	s_waitcnt lgkmcnt(4)
	v_pk_mul_f32 v[10:11], v[2:3], v[16:17]
	ds_write2st64_b32 v9, v10, v11 offset0:12 offset1:14
	ds_read2st64_b32 v[10:11], v9 offset0:20 offset1:22
	s_waitcnt lgkmcnt(3)
	v_pk_mul_f32 v[12:13], v[2:3], v[12:13]
	ds_read2st64_b32 v[14:15], v9 offset0:24 offset1:26
	ds_write2st64_b32 v9, v12, v13 offset0:16 offset1:18
	ds_read2st64_b32 v[12:13], v9 offset0:28 offset1:30
	s_waitcnt lgkmcnt(3)
	v_pk_mul_f32 v[10:11], v[2:3], v[10:11]
	ds_write2st64_b32 v9, v10, v11 offset0:20 offset1:22
	s_waitcnt lgkmcnt(3)
	v_pk_mul_f32 v[10:11], v[2:3], v[14:15]
	ds_write2st64_b32 v9, v10, v11 offset0:24 offset1:26
	s_waitcnt lgkmcnt(2)
	v_pk_mul_f32 v[10:11], v[2:3], v[12:13]
	s_add_i32 s5, s5, 16
	v_cmp_eq_u32_e32 vcc, 0, v8
	ds_write2st64_b32 v9, v10, v11 offset0:28 offset1:30
	v_add_u32_e32 v9, 0x2000, v9
	s_or_b64 s[38:39], vcc, s[38:39]
	v_mov_b32_e32 v10, s5
	s_andn2_b64 exec, exec, s[38:39]
	s_cbranch_execnz .LBB160_36
; %bb.37:
	s_or_b64 exec, exec, s[38:39]
.LBB160_38:
	s_or_b64 exec, exec, s[10:11]
	v_and_b32_e32 v7, 7, v7
	v_cmp_ne_u32_e32 vcc, 0, v7
	s_and_saveexec_b64 s[10:11], vcc
	s_cbranch_execz .LBB160_41
; %bb.39:
	v_lshlrev_b32_e32 v8, 9, v10
	v_lshlrev_b32_e32 v9, 2, v0
	s_movk_i32 s5, 0x190
	v_add3_u32 v8, v8, v9, s5
	s_mov_b64 s[38:39], 0
.LBB160_40:                             ; =>This Inner Loop Header: Depth=1
	ds_read2st64_b32 v[10:11], v8 offset1:2
	v_add_u32_e32 v7, -1, v7
	v_cmp_eq_u32_e32 vcc, 0, v7
	s_or_b64 s[38:39], vcc, s[38:39]
	s_waitcnt lgkmcnt(0)
	v_pk_mul_f32 v[10:11], v[2:3], v[10:11]
	ds_write2st64_b32 v8, v10, v11 offset1:2
	v_add_u32_e32 v8, 0x400, v8
	s_andn2_b64 exec, exec, s[38:39]
	s_cbranch_execnz .LBB160_40
.LBB160_41:
	s_or_b64 exec, exec, s[10:11]
	v_add_u32_e32 v6, 1, v6
	v_and_b32_e32 v7, 0x3fffffe, v6
	v_cmp_ne_u32_e32 vcc, v6, v7
	v_lshl_add_u32 v3, v7, 7, v0
	s_orn2_b64 s[10:11], vcc, exec
.LBB160_42:
	s_or_b64 exec, exec, s[6:7]
	s_and_b64 exec, exec, s[10:11]
	s_cbranch_execz .LBB160_45
; %bb.43:
	v_mov_b32_e32 v6, 0x190
	v_lshl_add_u32 v6, v3, 2, v6
	s_mov_b64 s[6:7], 0
.LBB160_44:                             ; =>This Inner Loop Header: Depth=1
	ds_read_b32 v7, v6
	v_add_u32_e32 v3, 0x80, v3
	v_cmp_le_i32_e32 vcc, s3, v3
	s_or_b64 s[6:7], vcc, s[6:7]
	s_waitcnt lgkmcnt(0)
	v_mul_f32_e32 v7, v2, v7
	ds_write_b32 v6, v7
	v_add_u32_e32 v6, 0x200, v6
	s_andn2_b64 exec, exec, s[6:7]
	s_cbranch_execnz .LBB160_44
.LBB160_45:
	s_or_b64 exec, exec, s[0:1]
	v_cmp_eq_u32_e32 vcc, 0, v0
	s_waitcnt lgkmcnt(0)
	s_barrier
	s_and_saveexec_b64 s[0:1], vcc
	s_cbranch_execz .LBB160_47
; %bb.46:
	s_mul_i32 s3, s16, s24
	s_mul_i32 s6, s3, s25
	s_ashr_i32 s7, s6, 31
	s_lshl_b64 s[6:7], s[6:7], 2
	s_add_u32 s5, s22, s6
	s_mul_i32 s2, s16, s2
	s_addc_u32 s10, s23, s7
	s_ashr_i32 s3, s2, 31
	s_lshl_b64 s[2:3], s[2:3], 2
	s_add_u32 s15, s5, s2
	s_addc_u32 s23, s10, s3
	s_ashr_i32 s5, s4, 31
	s_lshl_b64 s[10:11], s[4:5], 2
	s_add_u32 s22, s15, s10
	s_addc_u32 s23, s23, s11
	s_add_u32 s5, s20, s6
	s_addc_u32 s6, s21, s7
	;; [unrolled: 2-line block ×3, first 2 shown]
	s_add_u32 s2, s2, s10
	v_mov_b32_e32 v2, 0
	s_addc_u32 s3, s3, s11
	global_store_dword v2, v4, s[22:23]
	global_store_dword v2, v5, s[2:3]
.LBB160_47:
	s_or_b64 exec, exec, s[0:1]
	v_mov_b32_e32 v11, 0
	v_and_b32_e32 v28, 1, v0
	v_mov_b32_e32 v10, 0
	v_mov_b32_e32 v13, 0
	;; [unrolled: 1-line block ×5, first 2 shown]
	s_and_saveexec_b64 s[2:3], s[8:9]
	s_cbranch_execz .LBB160_289
; %bb.48:
	s_ashr_i32 s15, s14, 31
	s_sub_i32 s5, s49, s17
	s_lshl_b64 s[0:1], s[14:15], 1
	s_add_u32 s6, s36, s0
	s_addc_u32 s7, s37, s1
	s_abs_i32 s14, s18
	v_cvt_f32_u32_e32 v2, s14
	v_lshlrev_b32_e32 v3, 3, v0
	v_and_b32_e32 v29, 8, v3
	s_sub_i32 s0, 0, s14
	v_rcp_iflag_f32_e32 v4, v2
	v_and_b32_e32 v2, 0x1f8, v3
	s_add_i32 s17, s12, -1
	v_mov_b32_e32 v17, 0
	v_mul_f32_e32 v3, 0x4f7ffffe, v4
	v_cvt_u32_f32_e32 v3, v3
	v_or_b32_e32 v4, 0x800, v2
	v_or_b32_e32 v6, 0xa00, v2
	s_mov_b32 s15, s13
	v_mul_lo_u32 v5, s0, v3
	v_mul_hi_u32 v5, v3, v5
	s_lshl_b64 s[0:1], s[34:35], 2
	v_add_u32_e32 v30, v3, v5
	s_add_u32 s0, s30, s0
	v_lshlrev_b32_e32 v3, 5, v28
	s_addc_u32 s1, s31, s1
	v_lshl_or_b32 v3, v34, 6, v3
	v_lshl_add_u64 v[18:19], v[26:27], 2, s[0:1]
	v_add_u32_e32 v27, 0x190, v3
	s_mov_b64 s[8:9], 0
	s_mov_b32 s18, 0x7f800000
	s_movk_i32 s20, 0x7fff
	v_lshlrev_b32_e32 v16, 1, v2
	v_lshlrev_b32_e32 v20, 1, v4
	;; [unrolled: 1-line block ×3, first 2 shown]
	v_mov_b32_e32 v14, v17
	v_mov_b32_e32 v15, v17
	v_mov_b32_e32 v12, v17
	v_mov_b32_e32 v13, v17
	v_mov_b32_e32 v10, v17
	v_mov_b32_e32 v11, v17
	s_branch .LBB160_51
.LBB160_49:                             ;   in Loop: Header=BB160_51 Depth=1
	s_or_b64 exec, exec, s[0:1]
	v_and_b32_e32 v45, 0xffff0000, v79
	v_and_b32_e32 v44, 0xffff0000, v77
	;; [unrolled: 1-line block ×8, first 2 shown]
	v_pk_add_f32 v[44:45], v[46:47], v[44:45]
	v_pk_add_f32 v[40:41], v[42:43], v[40:41]
	v_add_f32_e32 v21, v44, v45
	v_add_f32_e32 v21, v21, v40
	v_and_b32_e32 v45, 0xffff0000, v72
	v_and_b32_e32 v44, 0xffff0000, v9
	;; [unrolled: 1-line block ×4, first 2 shown]
	v_add_f32_e32 v21, v21, v41
	v_and_b32_e32 v41, 0xffff0000, v76
	v_and_b32_e32 v40, 0xffff0000, v74
	;; [unrolled: 1-line block ×4, first 2 shown]
	v_pk_add_f32 v[8:9], v[8:9], v[44:45]
	v_pk_add_f32 v[40:41], v[42:43], v[40:41]
	v_add_f32_e32 v8, v8, v9
	v_add_f32_e32 v8, v8, v40
	;; [unrolled: 1-line block ×3, first 2 shown]
	v_and_b32_e32 v43, 0xffff0000, v66
	v_and_b32_e32 v42, 0xffff0000, v64
	;; [unrolled: 1-line block ×4, first 2 shown]
	v_add_f32_e32 v13, v13, v8
	v_and_b32_e32 v9, 0xffff0000, v70
	v_and_b32_e32 v8, 0xffff0000, v68
	v_and_b32_e32 v41, 0xffff0000, v69
	v_and_b32_e32 v40, 0xffff0000, v67
	v_pk_add_f32 v[42:43], v[44:45], v[42:43]
	v_add_f32_e32 v10, v10, v21
	v_pk_add_f32 v[8:9], v[40:41], v[8:9]
	v_add_f32_e32 v21, v42, v43
	v_add_f32_e32 v8, v21, v8
	;; [unrolled: 1-line block ×3, first 2 shown]
	v_and_b32_e32 v43, 0xffff0000, v58
	v_and_b32_e32 v42, 0xffff0000, v56
	;; [unrolled: 1-line block ×4, first 2 shown]
	v_add_f32_e32 v12, v12, v8
	v_and_b32_e32 v9, 0xffff0000, v62
	v_and_b32_e32 v8, 0xffff0000, v60
	;; [unrolled: 1-line block ×4, first 2 shown]
	v_pk_add_f32 v[42:43], v[44:45], v[42:43]
	v_pk_add_f32 v[8:9], v[40:41], v[8:9]
	v_add_f32_e32 v21, v42, v43
	v_add_f32_e32 v8, v21, v8
	;; [unrolled: 1-line block ×4, first 2 shown]
	v_and_b32_e32 v8, 0xffff0000, v36
	v_and_b32_e32 v36, 0xffff0000, v35
	;; [unrolled: 1-line block ×8, first 2 shown]
	v_pk_add_f32 v[32:33], v[32:33], v[34:35]
	v_pk_add_f32 v[8:9], v[36:37], v[8:9]
	v_add_f32_e32 v21, v32, v33
	v_add_f32_e32 v8, v21, v8
	;; [unrolled: 1-line block ×3, first 2 shown]
	v_and_b32_e32 v9, 0xffff0000, v7
	v_and_b32_e32 v7, 0xffff0000, v23
	;; [unrolled: 1-line block ×5, first 2 shown]
	v_add_f32_e32 v14, v14, v8
	v_and_b32_e32 v8, 0xffff0000, v39
	v_and_b32_e32 v5, 0xffff0000, v5
	;; [unrolled: 1-line block ×3, first 2 shown]
	v_pk_add_f32 v[2:3], v[2:3], v[6:7]
	v_pk_add_f32 v[4:5], v[4:5], v[8:9]
	v_add_f32_e32 v2, v2, v3
	v_add_f32_e32 v2, v2, v4
	;; [unrolled: 1-line block ×4, first 2 shown]
.LBB160_50:                             ;   in Loop: Header=BB160_51 Depth=1
	s_or_b64 exec, exec, s[10:11]
	v_add_u32_e32 v26, 2, v26
	v_cmp_le_i32_e32 vcc, s48, v26
	v_lshl_add_u64 v[18:19], v[18:19], 0, 8
	v_add_u32_e32 v1, 32, v1
	s_or_b64 s[8:9], vcc, s[8:9]
	v_add_u32_e32 v27, 0x80, v27
	s_andn2_b64 exec, exec, s[8:9]
	s_cbranch_execz .LBB160_288
.LBB160_51:                             ; =>This Inner Loop Header: Depth=1
	v_sub_u32_e32 v3, 0, v1
	v_max_i32_e32 v3, v1, v3
	v_mul_hi_u32 v4, v3, s46
	v_mul_lo_u32 v5, v4, s27
	v_sub_u32_e32 v3, v3, v5
	v_add_u32_e32 v5, 1, v4
	v_cmp_le_u32_e32 vcc, s27, v3
	v_ashrrev_i32_e32 v2, 31, v1
	v_xor_b32_e32 v2, s19, v2
	v_cndmask_b32_e32 v4, v4, v5, vcc
	v_subrev_u32_e32 v5, s27, v3
	v_cndmask_b32_e32 v3, v3, v5, vcc
	v_add_u32_e32 v5, 1, v4
	v_cmp_le_u32_e32 vcc, s27, v3
	s_nop 1
	v_cndmask_b32_e32 v3, v4, v5, vcc
	v_xor_b32_e32 v3, v3, v2
	v_sub_u32_e32 v2, v3, v2
	v_add_u32_e32 v3, s47, v2
	v_sub_u32_e32 v5, 0, v3
	v_ashrrev_i32_e32 v4, 31, v3
	v_max_i32_e32 v3, v3, v5
	v_mul_hi_u32 v5, v3, v30
	v_mul_lo_u32 v5, v5, s14
	v_sub_u32_e32 v3, v3, v5
	v_subrev_u32_e32 v5, s14, v3
	v_cmp_le_u32_e32 vcc, s14, v3
	v_cmp_lt_i32_e64 s[0:1], s5, v2
	s_nop 0
	v_cndmask_b32_e32 v3, v3, v5, vcc
	v_subrev_u32_e32 v5, s14, v3
	v_cmp_le_u32_e32 vcc, s14, v3
	s_nop 1
	v_cndmask_b32_e32 v3, v3, v5, vcc
	v_xor_b32_e32 v3, v3, v4
	v_sub_u32_e32 v3, v3, v4
	v_cmp_eq_u32_e32 vcc, 0, v3
	s_or_b64 s[0:1], vcc, s[0:1]
	s_and_saveexec_b64 s[10:11], s[0:1]
	s_cbranch_execz .LBB160_50
; %bb.52:                               ;   in Loop: Header=BB160_51 Depth=1
	global_load_dword v37, v[18:19], off
	ds_read2_b64 v[6:9], v27 offset1:1
	ds_read2_b64 v[2:5], v27 offset0:2 offset1:3
                                        ; implicit-def: $vgpr31
	s_waitcnt lgkmcnt(1)
	v_and_b32_e32 v21, 0x7f800000, v6
	v_cmp_ne_u32_e32 vcc, s18, v21
	s_and_saveexec_b64 s[0:1], vcc
	s_xor_b64 s[0:1], exec, s[0:1]
; %bb.53:                               ;   in Loop: Header=BB160_51 Depth=1
	v_bfe_u32 v21, v6, 16, 1
	v_add3_u32 v31, v6, v21, s20
; %bb.54:                               ;   in Loop: Header=BB160_51 Depth=1
	s_andn2_saveexec_b64 s[0:1], s[0:1]
; %bb.55:                               ;   in Loop: Header=BB160_51 Depth=1
	v_or_b32_e32 v21, 0x10000, v6
	v_cmp_eq_u32_sdwa vcc, v6, v17 src0_sel:WORD_0 src1_sel:DWORD
	s_nop 1
	v_cndmask_b32_e32 v31, v21, v6, vcc
; %bb.56:                               ;   in Loop: Header=BB160_51 Depth=1
	s_or_b64 exec, exec, s[0:1]
	v_and_b32_e32 v6, 0x7f800000, v7
	v_cmp_ne_u32_e32 vcc, s18, v6
                                        ; implicit-def: $vgpr32
	s_and_saveexec_b64 s[0:1], vcc
	s_xor_b64 s[0:1], exec, s[0:1]
; %bb.57:                               ;   in Loop: Header=BB160_51 Depth=1
	v_bfe_u32 v6, v7, 16, 1
	v_add3_u32 v32, v7, v6, s20
; %bb.58:                               ;   in Loop: Header=BB160_51 Depth=1
	s_andn2_saveexec_b64 s[0:1], s[0:1]
; %bb.59:                               ;   in Loop: Header=BB160_51 Depth=1
	v_or_b32_e32 v6, 0x10000, v7
	v_cmp_eq_u32_sdwa vcc, v7, v17 src0_sel:WORD_0 src1_sel:DWORD
	s_nop 1
	v_cndmask_b32_e32 v32, v6, v7, vcc
; %bb.60:                               ;   in Loop: Header=BB160_51 Depth=1
	s_or_b64 exec, exec, s[0:1]
	v_and_b32_e32 v6, 0x7f800000, v8
	v_cmp_ne_u32_e32 vcc, s18, v6
                                        ; implicit-def: $vgpr33
	s_and_saveexec_b64 s[0:1], vcc
	s_xor_b64 s[0:1], exec, s[0:1]
; %bb.61:                               ;   in Loop: Header=BB160_51 Depth=1
	v_bfe_u32 v6, v8, 16, 1
	v_add3_u32 v33, v8, v6, s20
; %bb.62:                               ;   in Loop: Header=BB160_51 Depth=1
	s_andn2_saveexec_b64 s[0:1], s[0:1]
; %bb.63:                               ;   in Loop: Header=BB160_51 Depth=1
	v_or_b32_e32 v6, 0x10000, v8
	v_cmp_eq_u32_sdwa vcc, v8, v17 src0_sel:WORD_0 src1_sel:DWORD
	s_nop 1
	v_cndmask_b32_e32 v33, v6, v8, vcc
; %bb.64:                               ;   in Loop: Header=BB160_51 Depth=1
	s_or_b64 exec, exec, s[0:1]
	v_and_b32_e32 v6, 0x7f800000, v9
	v_cmp_ne_u32_e32 vcc, s18, v6
                                        ; implicit-def: $vgpr34
	s_and_saveexec_b64 s[0:1], vcc
	s_xor_b64 s[0:1], exec, s[0:1]
; %bb.65:                               ;   in Loop: Header=BB160_51 Depth=1
	v_bfe_u32 v6, v9, 16, 1
	v_add3_u32 v34, v9, v6, s20
                                        ; implicit-def: $vgpr6_vgpr7_vgpr8_vgpr9
; %bb.66:                               ;   in Loop: Header=BB160_51 Depth=1
	s_andn2_saveexec_b64 s[0:1], s[0:1]
; %bb.67:                               ;   in Loop: Header=BB160_51 Depth=1
	v_or_b32_e32 v6, 0x10000, v9
	v_cmp_eq_u32_sdwa vcc, v9, v17 src0_sel:WORD_0 src1_sel:DWORD
	s_nop 1
	v_cndmask_b32_e32 v34, v6, v9, vcc
; %bb.68:                               ;   in Loop: Header=BB160_51 Depth=1
	s_or_b64 exec, exec, s[0:1]
	s_waitcnt lgkmcnt(0)
	v_and_b32_e32 v6, 0x7f800000, v2
	v_cmp_ne_u32_e32 vcc, s18, v6
                                        ; implicit-def: $vgpr35
	s_and_saveexec_b64 s[0:1], vcc
	s_xor_b64 s[0:1], exec, s[0:1]
; %bb.69:                               ;   in Loop: Header=BB160_51 Depth=1
	v_bfe_u32 v6, v2, 16, 1
	v_add3_u32 v35, v2, v6, s20
; %bb.70:                               ;   in Loop: Header=BB160_51 Depth=1
	s_andn2_saveexec_b64 s[0:1], s[0:1]
; %bb.71:                               ;   in Loop: Header=BB160_51 Depth=1
	v_or_b32_e32 v6, 0x10000, v2
	v_cmp_eq_u32_sdwa vcc, v2, v17 src0_sel:WORD_0 src1_sel:DWORD
	s_nop 1
	v_cndmask_b32_e32 v35, v6, v2, vcc
; %bb.72:                               ;   in Loop: Header=BB160_51 Depth=1
	s_or_b64 exec, exec, s[0:1]
	v_and_b32_e32 v2, 0x7f800000, v3
	v_cmp_ne_u32_e32 vcc, s18, v2
                                        ; implicit-def: $vgpr36
	s_and_saveexec_b64 s[0:1], vcc
	s_xor_b64 s[0:1], exec, s[0:1]
; %bb.73:                               ;   in Loop: Header=BB160_51 Depth=1
	v_bfe_u32 v2, v3, 16, 1
	v_add3_u32 v36, v3, v2, s20
; %bb.74:                               ;   in Loop: Header=BB160_51 Depth=1
	s_andn2_saveexec_b64 s[0:1], s[0:1]
; %bb.75:                               ;   in Loop: Header=BB160_51 Depth=1
	v_or_b32_e32 v2, 0x10000, v3
	v_cmp_eq_u32_sdwa vcc, v3, v17 src0_sel:WORD_0 src1_sel:DWORD
	s_nop 1
	v_cndmask_b32_e32 v36, v2, v3, vcc
; %bb.76:                               ;   in Loop: Header=BB160_51 Depth=1
	s_or_b64 exec, exec, s[0:1]
	v_and_b32_e32 v2, 0x7f800000, v4
	v_cmp_ne_u32_e32 vcc, s18, v2
                                        ; implicit-def: $vgpr23
	s_and_saveexec_b64 s[0:1], vcc
	s_xor_b64 s[0:1], exec, s[0:1]
; %bb.77:                               ;   in Loop: Header=BB160_51 Depth=1
	v_bfe_u32 v2, v4, 16, 1
	v_add3_u32 v23, v4, v2, s20
; %bb.78:                               ;   in Loop: Header=BB160_51 Depth=1
	s_andn2_saveexec_b64 s[0:1], s[0:1]
; %bb.79:                               ;   in Loop: Header=BB160_51 Depth=1
	v_or_b32_e32 v2, 0x10000, v4
	v_cmp_eq_u32_sdwa vcc, v4, v17 src0_sel:WORD_0 src1_sel:DWORD
	s_nop 1
	v_cndmask_b32_e32 v23, v2, v4, vcc
; %bb.80:                               ;   in Loop: Header=BB160_51 Depth=1
	s_or_b64 exec, exec, s[0:1]
	v_and_b32_e32 v2, 0x7f800000, v5
	v_cmp_ne_u32_e32 vcc, s18, v2
                                        ; implicit-def: $vgpr21
	s_and_saveexec_b64 s[0:1], vcc
	s_xor_b64 s[0:1], exec, s[0:1]
; %bb.81:                               ;   in Loop: Header=BB160_51 Depth=1
	v_bfe_u32 v2, v5, 16, 1
	v_add3_u32 v21, v5, v2, s20
                                        ; implicit-def: $vgpr2_vgpr3_vgpr4_vgpr5
; %bb.82:                               ;   in Loop: Header=BB160_51 Depth=1
	s_andn2_saveexec_b64 s[0:1], s[0:1]
; %bb.83:                               ;   in Loop: Header=BB160_51 Depth=1
	v_or_b32_e32 v2, 0x10000, v5
	v_cmp_eq_u32_sdwa vcc, v5, v17 src0_sel:WORD_0 src1_sel:DWORD
	s_nop 1
	v_cndmask_b32_e32 v21, v2, v5, vcc
; %bb.84:                               ;   in Loop: Header=BB160_51 Depth=1
	s_or_b64 exec, exec, s[0:1]
	s_waitcnt vmcnt(0)
	v_mad_i64_i32 v[2:3], s[0:1], v37, s15, 0
	v_lshl_add_u64 v[6:7], v[2:3], 1, s[6:7]
	v_lshl_add_u64 v[8:9], v[6:7], 0, v[16:17]
	global_load_dwordx4 v[2:5], v[8:9], off
	v_add_u32_e32 v39, v29, v1
	v_cmp_eq_u32_e32 vcc, s17, v26
	v_add_u32_e32 v46, 1, v39
	v_add_u32_e32 v45, 2, v39
	;; [unrolled: 1-line block ×7, first 2 shown]
	s_waitcnt vmcnt(0)
	v_lshrrev_b32_e32 v49, 16, v2
	v_lshrrev_b32_e32 v51, 16, v3
	;; [unrolled: 1-line block ×4, first 2 shown]
	s_and_saveexec_b64 s[12:13], vcc
	s_cbranch_execz .LBB160_86
; %bb.85:                               ;   in Loop: Header=BB160_51 Depth=1
	v_cmp_gt_i32_e64 s[0:1], s33, v39
	s_nop 1
	v_cndmask_b32_e64 v2, 0, v2, s[0:1]
	v_cmp_gt_i32_e64 s[0:1], s33, v46
	s_nop 1
	v_cndmask_b32_e64 v49, 0, v49, s[0:1]
	;; [unrolled: 3-line block ×8, first 2 shown]
.LBB160_86:                             ;   in Loop: Header=BB160_51 Depth=1
	s_or_b64 exec, exec, s[12:13]
	v_and_b32_e32 v47, 0xffff0000, v31
	v_lshlrev_b32_e32 v2, 16, v2
	v_mul_f32_e32 v2, v47, v2
	v_and_b32_e32 v31, 0x7f800000, v2
	v_cmp_ne_u32_e64 s[0:1], s18, v31
                                        ; implicit-def: $vgpr31
	s_and_saveexec_b64 s[12:13], s[0:1]
	s_xor_b64 s[0:1], exec, s[12:13]
; %bb.87:                               ;   in Loop: Header=BB160_51 Depth=1
	v_bfe_u32 v31, v2, 16, 1
	v_add3_u32 v31, v2, v31, s20
                                        ; implicit-def: $vgpr2
; %bb.88:                               ;   in Loop: Header=BB160_51 Depth=1
	s_andn2_saveexec_b64 s[12:13], s[0:1]
; %bb.89:                               ;   in Loop: Header=BB160_51 Depth=1
	v_or_b32_e32 v31, 0x10000, v2
	v_cmp_eq_u32_sdwa s[0:1], v2, v17 src0_sel:WORD_0 src1_sel:DWORD
	s_nop 1
	v_cndmask_b32_e64 v31, v31, v2, s[0:1]
; %bb.90:                               ;   in Loop: Header=BB160_51 Depth=1
	s_or_b64 exec, exec, s[12:13]
	v_and_b32_e32 v48, 0xffff0000, v32
	v_lshlrev_b32_e32 v2, 16, v49
	v_mul_f32_e32 v2, v48, v2
	v_and_b32_e32 v32, 0x7f800000, v2
	v_cmp_ne_u32_e64 s[0:1], s18, v32
                                        ; implicit-def: $vgpr32
	s_and_saveexec_b64 s[12:13], s[0:1]
	s_xor_b64 s[0:1], exec, s[12:13]
; %bb.91:                               ;   in Loop: Header=BB160_51 Depth=1
	v_bfe_u32 v32, v2, 16, 1
	v_add3_u32 v32, v2, v32, s20
                                        ; implicit-def: $vgpr2
; %bb.92:                               ;   in Loop: Header=BB160_51 Depth=1
	s_andn2_saveexec_b64 s[12:13], s[0:1]
; %bb.93:                               ;   in Loop: Header=BB160_51 Depth=1
	v_or_b32_e32 v32, 0x10000, v2
	v_cmp_eq_u32_sdwa s[0:1], v2, v17 src0_sel:WORD_0 src1_sel:DWORD
	s_nop 1
	v_cndmask_b32_e64 v32, v32, v2, s[0:1]
; %bb.94:                               ;   in Loop: Header=BB160_51 Depth=1
	s_or_b64 exec, exec, s[12:13]
	v_and_b32_e32 v49, 0xffff0000, v33
	v_lshlrev_b32_e32 v2, 16, v3
	v_mul_f32_e32 v2, v49, v2
	v_and_b32_e32 v3, 0x7f800000, v2
	v_cmp_ne_u32_e64 s[0:1], s18, v3
                                        ; implicit-def: $vgpr33
	s_and_saveexec_b64 s[12:13], s[0:1]
	s_xor_b64 s[0:1], exec, s[12:13]
; %bb.95:                               ;   in Loop: Header=BB160_51 Depth=1
	v_bfe_u32 v3, v2, 16, 1
	v_add3_u32 v33, v2, v3, s20
                                        ; implicit-def: $vgpr2
; %bb.96:                               ;   in Loop: Header=BB160_51 Depth=1
	s_andn2_saveexec_b64 s[12:13], s[0:1]
; %bb.97:                               ;   in Loop: Header=BB160_51 Depth=1
	v_or_b32_e32 v3, 0x10000, v2
	v_cmp_eq_u32_sdwa s[0:1], v2, v17 src0_sel:WORD_0 src1_sel:DWORD
	s_nop 1
	v_cndmask_b32_e64 v33, v3, v2, s[0:1]
; %bb.98:                               ;   in Loop: Header=BB160_51 Depth=1
	s_or_b64 exec, exec, s[12:13]
	v_and_b32_e32 v50, 0xffff0000, v34
	v_lshlrev_b32_e32 v2, 16, v51
	v_mul_f32_e32 v2, v50, v2
	v_and_b32_e32 v3, 0x7f800000, v2
	v_cmp_ne_u32_e64 s[0:1], s18, v3
                                        ; implicit-def: $vgpr34
	s_and_saveexec_b64 s[12:13], s[0:1]
	s_xor_b64 s[0:1], exec, s[12:13]
; %bb.99:                               ;   in Loop: Header=BB160_51 Depth=1
	v_bfe_u32 v3, v2, 16, 1
	v_add3_u32 v34, v2, v3, s20
                                        ; implicit-def: $vgpr2
; %bb.100:                              ;   in Loop: Header=BB160_51 Depth=1
	s_andn2_saveexec_b64 s[12:13], s[0:1]
; %bb.101:                              ;   in Loop: Header=BB160_51 Depth=1
	v_or_b32_e32 v3, 0x10000, v2
	v_cmp_eq_u32_sdwa s[0:1], v2, v17 src0_sel:WORD_0 src1_sel:DWORD
	s_nop 1
	v_cndmask_b32_e64 v34, v3, v2, s[0:1]
; %bb.102:                              ;   in Loop: Header=BB160_51 Depth=1
	s_or_b64 exec, exec, s[12:13]
	v_and_b32_e32 v51, 0xffff0000, v35
	v_lshlrev_b32_e32 v2, 16, v4
	v_mul_f32_e32 v2, v51, v2
	v_and_b32_e32 v3, 0x7f800000, v2
	v_cmp_ne_u32_e64 s[0:1], s18, v3
                                        ; implicit-def: $vgpr35
	s_and_saveexec_b64 s[12:13], s[0:1]
	s_xor_b64 s[0:1], exec, s[12:13]
; %bb.103:                              ;   in Loop: Header=BB160_51 Depth=1
	v_bfe_u32 v3, v2, 16, 1
	v_add3_u32 v35, v2, v3, s20
                                        ; implicit-def: $vgpr2
; %bb.104:                              ;   in Loop: Header=BB160_51 Depth=1
	s_andn2_saveexec_b64 s[12:13], s[0:1]
; %bb.105:                              ;   in Loop: Header=BB160_51 Depth=1
	v_or_b32_e32 v3, 0x10000, v2
	v_cmp_eq_u32_sdwa s[0:1], v2, v17 src0_sel:WORD_0 src1_sel:DWORD
	s_nop 1
	v_cndmask_b32_e64 v35, v3, v2, s[0:1]
; %bb.106:                              ;   in Loop: Header=BB160_51 Depth=1
	s_or_b64 exec, exec, s[12:13]
	v_and_b32_e32 v52, 0xffff0000, v36
	v_lshlrev_b32_e32 v2, 16, v37
	v_mul_f32_e32 v2, v52, v2
	v_and_b32_e32 v3, 0x7f800000, v2
	v_cmp_ne_u32_e64 s[0:1], s18, v3
                                        ; implicit-def: $vgpr36
	s_and_saveexec_b64 s[12:13], s[0:1]
	s_xor_b64 s[0:1], exec, s[12:13]
; %bb.107:                              ;   in Loop: Header=BB160_51 Depth=1
	v_bfe_u32 v3, v2, 16, 1
	v_add3_u32 v36, v2, v3, s20
                                        ; implicit-def: $vgpr2
; %bb.108:                              ;   in Loop: Header=BB160_51 Depth=1
	s_andn2_saveexec_b64 s[12:13], s[0:1]
; %bb.109:                              ;   in Loop: Header=BB160_51 Depth=1
	v_or_b32_e32 v3, 0x10000, v2
	v_cmp_eq_u32_sdwa s[0:1], v2, v17 src0_sel:WORD_0 src1_sel:DWORD
	s_nop 1
	v_cndmask_b32_e64 v36, v3, v2, s[0:1]
; %bb.110:                              ;   in Loop: Header=BB160_51 Depth=1
	s_or_b64 exec, exec, s[12:13]
	v_and_b32_e32 v53, 0xffff0000, v23
	v_lshlrev_b32_e32 v2, 16, v5
	v_mul_f32_e32 v2, v53, v2
	v_and_b32_e32 v3, 0x7f800000, v2
	v_cmp_ne_u32_e64 s[0:1], s18, v3
                                        ; implicit-def: $vgpr37
	s_and_saveexec_b64 s[12:13], s[0:1]
	s_xor_b64 s[0:1], exec, s[12:13]
; %bb.111:                              ;   in Loop: Header=BB160_51 Depth=1
	v_bfe_u32 v3, v2, 16, 1
	v_add3_u32 v37, v2, v3, s20
                                        ; implicit-def: $vgpr2
; %bb.112:                              ;   in Loop: Header=BB160_51 Depth=1
	s_andn2_saveexec_b64 s[12:13], s[0:1]
; %bb.113:                              ;   in Loop: Header=BB160_51 Depth=1
	v_or_b32_e32 v3, 0x10000, v2
	v_cmp_eq_u32_sdwa s[0:1], v2, v17 src0_sel:WORD_0 src1_sel:DWORD
	s_nop 1
	v_cndmask_b32_e64 v37, v3, v2, s[0:1]
; %bb.114:                              ;   in Loop: Header=BB160_51 Depth=1
	s_or_b64 exec, exec, s[12:13]
	v_and_b32_e32 v54, 0xffff0000, v21
	v_lshlrev_b32_e32 v2, 16, v38
	v_mul_f32_e32 v2, v54, v2
	v_and_b32_e32 v3, 0x7f800000, v2
	v_cmp_ne_u32_e64 s[0:1], s18, v3
                                        ; implicit-def: $vgpr38
	s_and_saveexec_b64 s[12:13], s[0:1]
	s_xor_b64 s[0:1], exec, s[12:13]
; %bb.115:                              ;   in Loop: Header=BB160_51 Depth=1
	v_bfe_u32 v3, v2, 16, 1
	v_add3_u32 v38, v2, v3, s20
                                        ; implicit-def: $vgpr2
; %bb.116:                              ;   in Loop: Header=BB160_51 Depth=1
	s_andn2_saveexec_b64 s[12:13], s[0:1]
; %bb.117:                              ;   in Loop: Header=BB160_51 Depth=1
	v_or_b32_e32 v3, 0x10000, v2
	v_cmp_eq_u32_sdwa s[0:1], v2, v17 src0_sel:WORD_0 src1_sel:DWORD
	s_nop 1
	v_cndmask_b32_e64 v38, v3, v2, s[0:1]
; %bb.118:                              ;   in Loop: Header=BB160_51 Depth=1
	s_or_b64 exec, exec, s[12:13]
	global_load_dwordx4 v[2:5], v[8:9], off offset:1024
	s_waitcnt vmcnt(0)
	v_lshrrev_b32_e32 v56, 16, v2
	v_lshrrev_b32_e32 v58, 16, v3
	;; [unrolled: 1-line block ×4, first 2 shown]
	s_and_saveexec_b64 s[12:13], vcc
	s_cbranch_execz .LBB160_120
; %bb.119:                              ;   in Loop: Header=BB160_51 Depth=1
	v_cmp_gt_i32_e64 s[0:1], s33, v39
	s_nop 1
	v_cndmask_b32_e64 v2, 0, v2, s[0:1]
	v_cmp_gt_i32_e64 s[0:1], s33, v46
	s_nop 1
	v_cndmask_b32_e64 v56, 0, v56, s[0:1]
	;; [unrolled: 3-line block ×8, first 2 shown]
.LBB160_120:                            ;   in Loop: Header=BB160_51 Depth=1
	s_or_b64 exec, exec, s[12:13]
	v_lshlrev_b32_e32 v2, 16, v2
	v_mul_f32_e32 v2, v47, v2
	v_and_b32_e32 v55, 0x7f800000, v2
	v_cmp_ne_u32_e64 s[0:1], s18, v55
                                        ; implicit-def: $vgpr55
	s_and_saveexec_b64 s[12:13], s[0:1]
	s_xor_b64 s[0:1], exec, s[12:13]
; %bb.121:                              ;   in Loop: Header=BB160_51 Depth=1
	v_bfe_u32 v55, v2, 16, 1
	v_add3_u32 v55, v2, v55, s20
                                        ; implicit-def: $vgpr2
; %bb.122:                              ;   in Loop: Header=BB160_51 Depth=1
	s_andn2_saveexec_b64 s[12:13], s[0:1]
; %bb.123:                              ;   in Loop: Header=BB160_51 Depth=1
	v_or_b32_e32 v55, 0x10000, v2
	v_cmp_eq_u32_sdwa s[0:1], v2, v17 src0_sel:WORD_0 src1_sel:DWORD
	s_nop 1
	v_cndmask_b32_e64 v55, v55, v2, s[0:1]
; %bb.124:                              ;   in Loop: Header=BB160_51 Depth=1
	s_or_b64 exec, exec, s[12:13]
	v_lshlrev_b32_e32 v2, 16, v56
	v_mul_f32_e32 v2, v48, v2
	v_and_b32_e32 v56, 0x7f800000, v2
	v_cmp_ne_u32_e64 s[0:1], s18, v56
                                        ; implicit-def: $vgpr56
	s_and_saveexec_b64 s[12:13], s[0:1]
	s_xor_b64 s[0:1], exec, s[12:13]
; %bb.125:                              ;   in Loop: Header=BB160_51 Depth=1
	v_bfe_u32 v56, v2, 16, 1
	v_add3_u32 v56, v2, v56, s20
                                        ; implicit-def: $vgpr2
; %bb.126:                              ;   in Loop: Header=BB160_51 Depth=1
	s_andn2_saveexec_b64 s[12:13], s[0:1]
; %bb.127:                              ;   in Loop: Header=BB160_51 Depth=1
	v_or_b32_e32 v56, 0x10000, v2
	v_cmp_eq_u32_sdwa s[0:1], v2, v17 src0_sel:WORD_0 src1_sel:DWORD
	s_nop 1
	v_cndmask_b32_e64 v56, v56, v2, s[0:1]
; %bb.128:                              ;   in Loop: Header=BB160_51 Depth=1
	s_or_b64 exec, exec, s[12:13]
	v_lshlrev_b32_e32 v2, 16, v3
	v_mul_f32_e32 v2, v49, v2
	v_and_b32_e32 v3, 0x7f800000, v2
	v_cmp_ne_u32_e64 s[0:1], s18, v3
                                        ; implicit-def: $vgpr57
	s_and_saveexec_b64 s[12:13], s[0:1]
	s_xor_b64 s[0:1], exec, s[12:13]
; %bb.129:                              ;   in Loop: Header=BB160_51 Depth=1
	v_bfe_u32 v3, v2, 16, 1
	v_add3_u32 v57, v2, v3, s20
                                        ; implicit-def: $vgpr2
; %bb.130:                              ;   in Loop: Header=BB160_51 Depth=1
	s_andn2_saveexec_b64 s[12:13], s[0:1]
; %bb.131:                              ;   in Loop: Header=BB160_51 Depth=1
	v_or_b32_e32 v3, 0x10000, v2
	v_cmp_eq_u32_sdwa s[0:1], v2, v17 src0_sel:WORD_0 src1_sel:DWORD
	s_nop 1
	v_cndmask_b32_e64 v57, v3, v2, s[0:1]
; %bb.132:                              ;   in Loop: Header=BB160_51 Depth=1
	s_or_b64 exec, exec, s[12:13]
	v_lshlrev_b32_e32 v2, 16, v58
	v_mul_f32_e32 v2, v50, v2
	v_and_b32_e32 v3, 0x7f800000, v2
	v_cmp_ne_u32_e64 s[0:1], s18, v3
                                        ; implicit-def: $vgpr58
	s_and_saveexec_b64 s[12:13], s[0:1]
	s_xor_b64 s[0:1], exec, s[12:13]
; %bb.133:                              ;   in Loop: Header=BB160_51 Depth=1
	v_bfe_u32 v3, v2, 16, 1
	v_add3_u32 v58, v2, v3, s20
                                        ; implicit-def: $vgpr2
; %bb.134:                              ;   in Loop: Header=BB160_51 Depth=1
	s_andn2_saveexec_b64 s[12:13], s[0:1]
; %bb.135:                              ;   in Loop: Header=BB160_51 Depth=1
	v_or_b32_e32 v3, 0x10000, v2
	v_cmp_eq_u32_sdwa s[0:1], v2, v17 src0_sel:WORD_0 src1_sel:DWORD
	s_nop 1
	v_cndmask_b32_e64 v58, v3, v2, s[0:1]
; %bb.136:                              ;   in Loop: Header=BB160_51 Depth=1
	s_or_b64 exec, exec, s[12:13]
	v_lshlrev_b32_e32 v2, 16, v4
	v_mul_f32_e32 v2, v51, v2
	v_and_b32_e32 v3, 0x7f800000, v2
	v_cmp_ne_u32_e64 s[0:1], s18, v3
                                        ; implicit-def: $vgpr59
	s_and_saveexec_b64 s[12:13], s[0:1]
	s_xor_b64 s[0:1], exec, s[12:13]
; %bb.137:                              ;   in Loop: Header=BB160_51 Depth=1
	v_bfe_u32 v3, v2, 16, 1
	v_add3_u32 v59, v2, v3, s20
                                        ; implicit-def: $vgpr2
; %bb.138:                              ;   in Loop: Header=BB160_51 Depth=1
	s_andn2_saveexec_b64 s[12:13], s[0:1]
; %bb.139:                              ;   in Loop: Header=BB160_51 Depth=1
	v_or_b32_e32 v3, 0x10000, v2
	v_cmp_eq_u32_sdwa s[0:1], v2, v17 src0_sel:WORD_0 src1_sel:DWORD
	s_nop 1
	v_cndmask_b32_e64 v59, v3, v2, s[0:1]
; %bb.140:                              ;   in Loop: Header=BB160_51 Depth=1
	s_or_b64 exec, exec, s[12:13]
	v_lshlrev_b32_e32 v2, 16, v23
	v_mul_f32_e32 v2, v52, v2
	v_and_b32_e32 v3, 0x7f800000, v2
	v_cmp_ne_u32_e64 s[0:1], s18, v3
                                        ; implicit-def: $vgpr60
	s_and_saveexec_b64 s[12:13], s[0:1]
	s_xor_b64 s[0:1], exec, s[12:13]
; %bb.141:                              ;   in Loop: Header=BB160_51 Depth=1
	v_bfe_u32 v3, v2, 16, 1
	v_add3_u32 v60, v2, v3, s20
                                        ; implicit-def: $vgpr2
; %bb.142:                              ;   in Loop: Header=BB160_51 Depth=1
	s_andn2_saveexec_b64 s[12:13], s[0:1]
; %bb.143:                              ;   in Loop: Header=BB160_51 Depth=1
	v_or_b32_e32 v3, 0x10000, v2
	v_cmp_eq_u32_sdwa s[0:1], v2, v17 src0_sel:WORD_0 src1_sel:DWORD
	s_nop 1
	v_cndmask_b32_e64 v60, v3, v2, s[0:1]
; %bb.144:                              ;   in Loop: Header=BB160_51 Depth=1
	s_or_b64 exec, exec, s[12:13]
	v_lshlrev_b32_e32 v2, 16, v5
	v_mul_f32_e32 v2, v53, v2
	v_and_b32_e32 v3, 0x7f800000, v2
	v_cmp_ne_u32_e64 s[0:1], s18, v3
                                        ; implicit-def: $vgpr61
	s_and_saveexec_b64 s[12:13], s[0:1]
	s_xor_b64 s[0:1], exec, s[12:13]
; %bb.145:                              ;   in Loop: Header=BB160_51 Depth=1
	v_bfe_u32 v3, v2, 16, 1
	v_add3_u32 v61, v2, v3, s20
                                        ; implicit-def: $vgpr2
; %bb.146:                              ;   in Loop: Header=BB160_51 Depth=1
	s_andn2_saveexec_b64 s[12:13], s[0:1]
; %bb.147:                              ;   in Loop: Header=BB160_51 Depth=1
	v_or_b32_e32 v3, 0x10000, v2
	v_cmp_eq_u32_sdwa s[0:1], v2, v17 src0_sel:WORD_0 src1_sel:DWORD
	s_nop 1
	v_cndmask_b32_e64 v61, v3, v2, s[0:1]
; %bb.148:                              ;   in Loop: Header=BB160_51 Depth=1
	s_or_b64 exec, exec, s[12:13]
	v_lshlrev_b32_e32 v2, 16, v21
	v_mul_f32_e32 v2, v54, v2
	v_and_b32_e32 v3, 0x7f800000, v2
	v_cmp_ne_u32_e64 s[0:1], s18, v3
                                        ; implicit-def: $vgpr62
	s_and_saveexec_b64 s[12:13], s[0:1]
	s_xor_b64 s[0:1], exec, s[12:13]
; %bb.149:                              ;   in Loop: Header=BB160_51 Depth=1
	v_bfe_u32 v3, v2, 16, 1
	v_add3_u32 v62, v2, v3, s20
                                        ; implicit-def: $vgpr2
; %bb.150:                              ;   in Loop: Header=BB160_51 Depth=1
	s_andn2_saveexec_b64 s[12:13], s[0:1]
; %bb.151:                              ;   in Loop: Header=BB160_51 Depth=1
	v_or_b32_e32 v3, 0x10000, v2
	v_cmp_eq_u32_sdwa s[0:1], v2, v17 src0_sel:WORD_0 src1_sel:DWORD
	s_nop 1
	v_cndmask_b32_e64 v62, v3, v2, s[0:1]
; %bb.152:                              ;   in Loop: Header=BB160_51 Depth=1
	s_or_b64 exec, exec, s[12:13]
	global_load_dwordx4 v[2:5], v[8:9], off offset:2048
	s_waitcnt vmcnt(0)
	v_lshrrev_b32_e32 v64, 16, v2
	v_lshrrev_b32_e32 v66, 16, v3
	;; [unrolled: 1-line block ×4, first 2 shown]
	s_and_saveexec_b64 s[12:13], vcc
	s_cbranch_execz .LBB160_154
; %bb.153:                              ;   in Loop: Header=BB160_51 Depth=1
	v_cmp_gt_i32_e64 s[0:1], s33, v39
	s_nop 1
	v_cndmask_b32_e64 v2, 0, v2, s[0:1]
	v_cmp_gt_i32_e64 s[0:1], s33, v46
	s_nop 1
	v_cndmask_b32_e64 v64, 0, v64, s[0:1]
	;; [unrolled: 3-line block ×8, first 2 shown]
.LBB160_154:                            ;   in Loop: Header=BB160_51 Depth=1
	s_or_b64 exec, exec, s[12:13]
	v_lshlrev_b32_e32 v2, 16, v2
	v_mul_f32_e32 v2, v47, v2
	v_and_b32_e32 v63, 0x7f800000, v2
	v_cmp_ne_u32_e64 s[0:1], s18, v63
                                        ; implicit-def: $vgpr63
	s_and_saveexec_b64 s[12:13], s[0:1]
	s_xor_b64 s[0:1], exec, s[12:13]
; %bb.155:                              ;   in Loop: Header=BB160_51 Depth=1
	v_bfe_u32 v63, v2, 16, 1
	v_add3_u32 v63, v2, v63, s20
                                        ; implicit-def: $vgpr2
; %bb.156:                              ;   in Loop: Header=BB160_51 Depth=1
	s_andn2_saveexec_b64 s[12:13], s[0:1]
; %bb.157:                              ;   in Loop: Header=BB160_51 Depth=1
	v_or_b32_e32 v63, 0x10000, v2
	v_cmp_eq_u32_sdwa s[0:1], v2, v17 src0_sel:WORD_0 src1_sel:DWORD
	s_nop 1
	v_cndmask_b32_e64 v63, v63, v2, s[0:1]
; %bb.158:                              ;   in Loop: Header=BB160_51 Depth=1
	s_or_b64 exec, exec, s[12:13]
	v_lshlrev_b32_e32 v2, 16, v64
	v_mul_f32_e32 v2, v48, v2
	v_and_b32_e32 v64, 0x7f800000, v2
	v_cmp_ne_u32_e64 s[0:1], s18, v64
                                        ; implicit-def: $vgpr64
	s_and_saveexec_b64 s[12:13], s[0:1]
	s_xor_b64 s[0:1], exec, s[12:13]
; %bb.159:                              ;   in Loop: Header=BB160_51 Depth=1
	v_bfe_u32 v64, v2, 16, 1
	v_add3_u32 v64, v2, v64, s20
                                        ; implicit-def: $vgpr2
; %bb.160:                              ;   in Loop: Header=BB160_51 Depth=1
	s_andn2_saveexec_b64 s[12:13], s[0:1]
; %bb.161:                              ;   in Loop: Header=BB160_51 Depth=1
	v_or_b32_e32 v64, 0x10000, v2
	v_cmp_eq_u32_sdwa s[0:1], v2, v17 src0_sel:WORD_0 src1_sel:DWORD
	s_nop 1
	v_cndmask_b32_e64 v64, v64, v2, s[0:1]
; %bb.162:                              ;   in Loop: Header=BB160_51 Depth=1
	s_or_b64 exec, exec, s[12:13]
	v_lshlrev_b32_e32 v2, 16, v3
	v_mul_f32_e32 v2, v49, v2
	v_and_b32_e32 v3, 0x7f800000, v2
	v_cmp_ne_u32_e64 s[0:1], s18, v3
                                        ; implicit-def: $vgpr65
	s_and_saveexec_b64 s[12:13], s[0:1]
	s_xor_b64 s[0:1], exec, s[12:13]
; %bb.163:                              ;   in Loop: Header=BB160_51 Depth=1
	v_bfe_u32 v3, v2, 16, 1
	v_add3_u32 v65, v2, v3, s20
                                        ; implicit-def: $vgpr2
; %bb.164:                              ;   in Loop: Header=BB160_51 Depth=1
	s_andn2_saveexec_b64 s[12:13], s[0:1]
; %bb.165:                              ;   in Loop: Header=BB160_51 Depth=1
	v_or_b32_e32 v3, 0x10000, v2
	v_cmp_eq_u32_sdwa s[0:1], v2, v17 src0_sel:WORD_0 src1_sel:DWORD
	s_nop 1
	v_cndmask_b32_e64 v65, v3, v2, s[0:1]
; %bb.166:                              ;   in Loop: Header=BB160_51 Depth=1
	s_or_b64 exec, exec, s[12:13]
	v_lshlrev_b32_e32 v2, 16, v66
	v_mul_f32_e32 v2, v50, v2
	v_and_b32_e32 v3, 0x7f800000, v2
	v_cmp_ne_u32_e64 s[0:1], s18, v3
                                        ; implicit-def: $vgpr66
	s_and_saveexec_b64 s[12:13], s[0:1]
	s_xor_b64 s[0:1], exec, s[12:13]
; %bb.167:                              ;   in Loop: Header=BB160_51 Depth=1
	v_bfe_u32 v3, v2, 16, 1
	v_add3_u32 v66, v2, v3, s20
                                        ; implicit-def: $vgpr2
; %bb.168:                              ;   in Loop: Header=BB160_51 Depth=1
	s_andn2_saveexec_b64 s[12:13], s[0:1]
; %bb.169:                              ;   in Loop: Header=BB160_51 Depth=1
	v_or_b32_e32 v3, 0x10000, v2
	v_cmp_eq_u32_sdwa s[0:1], v2, v17 src0_sel:WORD_0 src1_sel:DWORD
	s_nop 1
	v_cndmask_b32_e64 v66, v3, v2, s[0:1]
; %bb.170:                              ;   in Loop: Header=BB160_51 Depth=1
	s_or_b64 exec, exec, s[12:13]
	v_lshlrev_b32_e32 v2, 16, v4
	v_mul_f32_e32 v2, v51, v2
	v_and_b32_e32 v3, 0x7f800000, v2
	v_cmp_ne_u32_e64 s[0:1], s18, v3
                                        ; implicit-def: $vgpr67
	s_and_saveexec_b64 s[12:13], s[0:1]
	s_xor_b64 s[0:1], exec, s[12:13]
; %bb.171:                              ;   in Loop: Header=BB160_51 Depth=1
	v_bfe_u32 v3, v2, 16, 1
	v_add3_u32 v67, v2, v3, s20
                                        ; implicit-def: $vgpr2
; %bb.172:                              ;   in Loop: Header=BB160_51 Depth=1
	s_andn2_saveexec_b64 s[12:13], s[0:1]
; %bb.173:                              ;   in Loop: Header=BB160_51 Depth=1
	v_or_b32_e32 v3, 0x10000, v2
	v_cmp_eq_u32_sdwa s[0:1], v2, v17 src0_sel:WORD_0 src1_sel:DWORD
	s_nop 1
	v_cndmask_b32_e64 v67, v3, v2, s[0:1]
; %bb.174:                              ;   in Loop: Header=BB160_51 Depth=1
	s_or_b64 exec, exec, s[12:13]
	v_lshlrev_b32_e32 v2, 16, v23
	v_mul_f32_e32 v2, v52, v2
	v_and_b32_e32 v3, 0x7f800000, v2
	v_cmp_ne_u32_e64 s[0:1], s18, v3
                                        ; implicit-def: $vgpr68
	s_and_saveexec_b64 s[12:13], s[0:1]
	s_xor_b64 s[0:1], exec, s[12:13]
; %bb.175:                              ;   in Loop: Header=BB160_51 Depth=1
	v_bfe_u32 v3, v2, 16, 1
	v_add3_u32 v68, v2, v3, s20
                                        ; implicit-def: $vgpr2
; %bb.176:                              ;   in Loop: Header=BB160_51 Depth=1
	s_andn2_saveexec_b64 s[12:13], s[0:1]
; %bb.177:                              ;   in Loop: Header=BB160_51 Depth=1
	v_or_b32_e32 v3, 0x10000, v2
	v_cmp_eq_u32_sdwa s[0:1], v2, v17 src0_sel:WORD_0 src1_sel:DWORD
	s_nop 1
	v_cndmask_b32_e64 v68, v3, v2, s[0:1]
; %bb.178:                              ;   in Loop: Header=BB160_51 Depth=1
	s_or_b64 exec, exec, s[12:13]
	v_lshlrev_b32_e32 v2, 16, v5
	v_mul_f32_e32 v2, v53, v2
	v_and_b32_e32 v3, 0x7f800000, v2
	v_cmp_ne_u32_e64 s[0:1], s18, v3
                                        ; implicit-def: $vgpr69
	s_and_saveexec_b64 s[12:13], s[0:1]
	s_xor_b64 s[0:1], exec, s[12:13]
; %bb.179:                              ;   in Loop: Header=BB160_51 Depth=1
	v_bfe_u32 v3, v2, 16, 1
	v_add3_u32 v69, v2, v3, s20
                                        ; implicit-def: $vgpr2
; %bb.180:                              ;   in Loop: Header=BB160_51 Depth=1
	s_andn2_saveexec_b64 s[12:13], s[0:1]
; %bb.181:                              ;   in Loop: Header=BB160_51 Depth=1
	v_or_b32_e32 v3, 0x10000, v2
	v_cmp_eq_u32_sdwa s[0:1], v2, v17 src0_sel:WORD_0 src1_sel:DWORD
	s_nop 1
	v_cndmask_b32_e64 v69, v3, v2, s[0:1]
; %bb.182:                              ;   in Loop: Header=BB160_51 Depth=1
	s_or_b64 exec, exec, s[12:13]
	v_lshlrev_b32_e32 v2, 16, v21
	v_mul_f32_e32 v2, v54, v2
	v_and_b32_e32 v3, 0x7f800000, v2
	v_cmp_ne_u32_e64 s[0:1], s18, v3
                                        ; implicit-def: $vgpr70
	s_and_saveexec_b64 s[12:13], s[0:1]
	s_xor_b64 s[0:1], exec, s[12:13]
; %bb.183:                              ;   in Loop: Header=BB160_51 Depth=1
	v_bfe_u32 v3, v2, 16, 1
	v_add3_u32 v70, v2, v3, s20
                                        ; implicit-def: $vgpr2
; %bb.184:                              ;   in Loop: Header=BB160_51 Depth=1
	s_andn2_saveexec_b64 s[12:13], s[0:1]
; %bb.185:                              ;   in Loop: Header=BB160_51 Depth=1
	v_or_b32_e32 v3, 0x10000, v2
	v_cmp_eq_u32_sdwa s[0:1], v2, v17 src0_sel:WORD_0 src1_sel:DWORD
	s_nop 1
	v_cndmask_b32_e64 v70, v3, v2, s[0:1]
; %bb.186:                              ;   in Loop: Header=BB160_51 Depth=1
	s_or_b64 exec, exec, s[12:13]
	global_load_dwordx4 v[2:5], v[8:9], off offset:3072
	s_waitcnt vmcnt(0)
	v_lshrrev_b32_e32 v9, 16, v2
	v_lshrrev_b32_e32 v72, 16, v3
	;; [unrolled: 1-line block ×4, first 2 shown]
	s_and_saveexec_b64 s[12:13], vcc
	s_cbranch_execz .LBB160_188
; %bb.187:                              ;   in Loop: Header=BB160_51 Depth=1
	v_cmp_gt_i32_e64 s[0:1], s33, v39
	s_nop 1
	v_cndmask_b32_e64 v2, 0, v2, s[0:1]
	v_cmp_gt_i32_e64 s[0:1], s33, v46
	s_nop 1
	v_cndmask_b32_e64 v9, 0, v9, s[0:1]
	;; [unrolled: 3-line block ×8, first 2 shown]
.LBB160_188:                            ;   in Loop: Header=BB160_51 Depth=1
	s_or_b64 exec, exec, s[12:13]
	v_lshlrev_b32_e32 v2, 16, v2
	v_mul_f32_e32 v2, v47, v2
	v_and_b32_e32 v8, 0x7f800000, v2
	v_cmp_ne_u32_e64 s[0:1], s18, v8
                                        ; implicit-def: $vgpr8
	s_and_saveexec_b64 s[12:13], s[0:1]
	s_xor_b64 s[0:1], exec, s[12:13]
; %bb.189:                              ;   in Loop: Header=BB160_51 Depth=1
	v_bfe_u32 v8, v2, 16, 1
	v_add3_u32 v8, v2, v8, s20
                                        ; implicit-def: $vgpr2
; %bb.190:                              ;   in Loop: Header=BB160_51 Depth=1
	s_andn2_saveexec_b64 s[12:13], s[0:1]
; %bb.191:                              ;   in Loop: Header=BB160_51 Depth=1
	v_or_b32_e32 v8, 0x10000, v2
	v_cmp_eq_u32_sdwa s[0:1], v2, v17 src0_sel:WORD_0 src1_sel:DWORD
	s_nop 1
	v_cndmask_b32_e64 v8, v8, v2, s[0:1]
; %bb.192:                              ;   in Loop: Header=BB160_51 Depth=1
	s_or_b64 exec, exec, s[12:13]
	v_lshlrev_b32_e32 v2, 16, v9
	v_mul_f32_e32 v2, v48, v2
	v_and_b32_e32 v9, 0x7f800000, v2
	v_cmp_ne_u32_e64 s[0:1], s18, v9
                                        ; implicit-def: $vgpr9
	s_and_saveexec_b64 s[12:13], s[0:1]
	s_xor_b64 s[0:1], exec, s[12:13]
; %bb.193:                              ;   in Loop: Header=BB160_51 Depth=1
	v_bfe_u32 v9, v2, 16, 1
	v_add3_u32 v9, v2, v9, s20
                                        ; implicit-def: $vgpr2
; %bb.194:                              ;   in Loop: Header=BB160_51 Depth=1
	s_andn2_saveexec_b64 s[12:13], s[0:1]
; %bb.195:                              ;   in Loop: Header=BB160_51 Depth=1
	v_or_b32_e32 v9, 0x10000, v2
	v_cmp_eq_u32_sdwa s[0:1], v2, v17 src0_sel:WORD_0 src1_sel:DWORD
	s_nop 1
	v_cndmask_b32_e64 v9, v9, v2, s[0:1]
; %bb.196:                              ;   in Loop: Header=BB160_51 Depth=1
	s_or_b64 exec, exec, s[12:13]
	v_lshlrev_b32_e32 v2, 16, v3
	v_mul_f32_e32 v2, v49, v2
	v_and_b32_e32 v3, 0x7f800000, v2
	v_cmp_ne_u32_e64 s[0:1], s18, v3
                                        ; implicit-def: $vgpr71
	s_and_saveexec_b64 s[12:13], s[0:1]
	s_xor_b64 s[0:1], exec, s[12:13]
; %bb.197:                              ;   in Loop: Header=BB160_51 Depth=1
	v_bfe_u32 v3, v2, 16, 1
	v_add3_u32 v71, v2, v3, s20
                                        ; implicit-def: $vgpr2
; %bb.198:                              ;   in Loop: Header=BB160_51 Depth=1
	s_andn2_saveexec_b64 s[12:13], s[0:1]
; %bb.199:                              ;   in Loop: Header=BB160_51 Depth=1
	v_or_b32_e32 v3, 0x10000, v2
	v_cmp_eq_u32_sdwa s[0:1], v2, v17 src0_sel:WORD_0 src1_sel:DWORD
	s_nop 1
	v_cndmask_b32_e64 v71, v3, v2, s[0:1]
; %bb.200:                              ;   in Loop: Header=BB160_51 Depth=1
	s_or_b64 exec, exec, s[12:13]
	v_lshlrev_b32_e32 v2, 16, v72
	v_mul_f32_e32 v2, v50, v2
	v_and_b32_e32 v3, 0x7f800000, v2
	v_cmp_ne_u32_e64 s[0:1], s18, v3
                                        ; implicit-def: $vgpr72
	s_and_saveexec_b64 s[12:13], s[0:1]
	s_xor_b64 s[0:1], exec, s[12:13]
; %bb.201:                              ;   in Loop: Header=BB160_51 Depth=1
	v_bfe_u32 v3, v2, 16, 1
	v_add3_u32 v72, v2, v3, s20
                                        ; implicit-def: $vgpr2
; %bb.202:                              ;   in Loop: Header=BB160_51 Depth=1
	s_andn2_saveexec_b64 s[12:13], s[0:1]
; %bb.203:                              ;   in Loop: Header=BB160_51 Depth=1
	v_or_b32_e32 v3, 0x10000, v2
	v_cmp_eq_u32_sdwa s[0:1], v2, v17 src0_sel:WORD_0 src1_sel:DWORD
	s_nop 1
	v_cndmask_b32_e64 v72, v3, v2, s[0:1]
; %bb.204:                              ;   in Loop: Header=BB160_51 Depth=1
	s_or_b64 exec, exec, s[12:13]
	v_lshlrev_b32_e32 v2, 16, v4
	v_mul_f32_e32 v2, v51, v2
	v_and_b32_e32 v3, 0x7f800000, v2
	v_cmp_ne_u32_e64 s[0:1], s18, v3
                                        ; implicit-def: $vgpr73
	s_and_saveexec_b64 s[12:13], s[0:1]
	s_xor_b64 s[0:1], exec, s[12:13]
; %bb.205:                              ;   in Loop: Header=BB160_51 Depth=1
	v_bfe_u32 v3, v2, 16, 1
	v_add3_u32 v73, v2, v3, s20
                                        ; implicit-def: $vgpr2
; %bb.206:                              ;   in Loop: Header=BB160_51 Depth=1
	s_andn2_saveexec_b64 s[12:13], s[0:1]
; %bb.207:                              ;   in Loop: Header=BB160_51 Depth=1
	v_or_b32_e32 v3, 0x10000, v2
	v_cmp_eq_u32_sdwa s[0:1], v2, v17 src0_sel:WORD_0 src1_sel:DWORD
	s_nop 1
	v_cndmask_b32_e64 v73, v3, v2, s[0:1]
; %bb.208:                              ;   in Loop: Header=BB160_51 Depth=1
	s_or_b64 exec, exec, s[12:13]
	v_lshlrev_b32_e32 v2, 16, v23
	v_mul_f32_e32 v2, v52, v2
	v_and_b32_e32 v3, 0x7f800000, v2
	v_cmp_ne_u32_e64 s[0:1], s18, v3
                                        ; implicit-def: $vgpr74
	s_and_saveexec_b64 s[12:13], s[0:1]
	s_xor_b64 s[0:1], exec, s[12:13]
; %bb.209:                              ;   in Loop: Header=BB160_51 Depth=1
	v_bfe_u32 v3, v2, 16, 1
	v_add3_u32 v74, v2, v3, s20
                                        ; implicit-def: $vgpr2
; %bb.210:                              ;   in Loop: Header=BB160_51 Depth=1
	s_andn2_saveexec_b64 s[12:13], s[0:1]
; %bb.211:                              ;   in Loop: Header=BB160_51 Depth=1
	v_or_b32_e32 v3, 0x10000, v2
	v_cmp_eq_u32_sdwa s[0:1], v2, v17 src0_sel:WORD_0 src1_sel:DWORD
	s_nop 1
	v_cndmask_b32_e64 v74, v3, v2, s[0:1]
; %bb.212:                              ;   in Loop: Header=BB160_51 Depth=1
	s_or_b64 exec, exec, s[12:13]
	v_lshlrev_b32_e32 v2, 16, v5
	v_mul_f32_e32 v2, v53, v2
	v_and_b32_e32 v3, 0x7f800000, v2
	v_cmp_ne_u32_e64 s[0:1], s18, v3
                                        ; implicit-def: $vgpr75
	s_and_saveexec_b64 s[12:13], s[0:1]
	s_xor_b64 s[0:1], exec, s[12:13]
; %bb.213:                              ;   in Loop: Header=BB160_51 Depth=1
	v_bfe_u32 v3, v2, 16, 1
	v_add3_u32 v75, v2, v3, s20
                                        ; implicit-def: $vgpr2
; %bb.214:                              ;   in Loop: Header=BB160_51 Depth=1
	s_andn2_saveexec_b64 s[12:13], s[0:1]
; %bb.215:                              ;   in Loop: Header=BB160_51 Depth=1
	v_or_b32_e32 v3, 0x10000, v2
	v_cmp_eq_u32_sdwa s[0:1], v2, v17 src0_sel:WORD_0 src1_sel:DWORD
	s_nop 1
	v_cndmask_b32_e64 v75, v3, v2, s[0:1]
; %bb.216:                              ;   in Loop: Header=BB160_51 Depth=1
	s_or_b64 exec, exec, s[12:13]
	v_lshlrev_b32_e32 v2, 16, v21
	v_mul_f32_e32 v2, v54, v2
	v_and_b32_e32 v3, 0x7f800000, v2
	v_cmp_ne_u32_e64 s[0:1], s18, v3
                                        ; implicit-def: $vgpr76
	s_and_saveexec_b64 s[12:13], s[0:1]
	s_xor_b64 s[0:1], exec, s[12:13]
; %bb.217:                              ;   in Loop: Header=BB160_51 Depth=1
	v_bfe_u32 v3, v2, 16, 1
	v_add3_u32 v76, v2, v3, s20
                                        ; implicit-def: $vgpr2
; %bb.218:                              ;   in Loop: Header=BB160_51 Depth=1
	s_andn2_saveexec_b64 s[12:13], s[0:1]
; %bb.219:                              ;   in Loop: Header=BB160_51 Depth=1
	v_or_b32_e32 v3, 0x10000, v2
	v_cmp_eq_u32_sdwa s[0:1], v2, v17 src0_sel:WORD_0 src1_sel:DWORD
	s_nop 1
	v_cndmask_b32_e64 v76, v3, v2, s[0:1]
; %bb.220:                              ;   in Loop: Header=BB160_51 Depth=1
	s_or_b64 exec, exec, s[12:13]
	v_mov_b32_e32 v21, v17
	v_lshl_add_u64 v[2:3], v[6:7], 0, v[20:21]
	global_load_dwordx4 v[2:5], v[2:3], off
	s_waitcnt vmcnt(0)
	v_lshrrev_b32_e32 v77, 16, v2
	v_lshrrev_b32_e32 v79, 16, v3
	;; [unrolled: 1-line block ×4, first 2 shown]
	s_and_saveexec_b64 s[12:13], vcc
	s_cbranch_execz .LBB160_222
; %bb.221:                              ;   in Loop: Header=BB160_51 Depth=1
	v_cmp_gt_i32_e64 s[0:1], s33, v39
	s_nop 1
	v_cndmask_b32_e64 v2, 0, v2, s[0:1]
	v_cmp_gt_i32_e64 s[0:1], s33, v46
	s_nop 1
	v_cndmask_b32_e64 v77, 0, v77, s[0:1]
	;; [unrolled: 3-line block ×8, first 2 shown]
.LBB160_222:                            ;   in Loop: Header=BB160_51 Depth=1
	s_or_b64 exec, exec, s[12:13]
	v_lshlrev_b32_e32 v2, 16, v2
	v_mul_f32_e32 v2, v47, v2
	v_and_b32_e32 v21, 0x7f800000, v2
	v_cmp_ne_u32_e64 s[0:1], s18, v21
                                        ; implicit-def: $vgpr21
	s_and_saveexec_b64 s[12:13], s[0:1]
	s_xor_b64 s[0:1], exec, s[12:13]
; %bb.223:                              ;   in Loop: Header=BB160_51 Depth=1
	v_bfe_u32 v21, v2, 16, 1
	v_add3_u32 v21, v2, v21, s20
                                        ; implicit-def: $vgpr2
; %bb.224:                              ;   in Loop: Header=BB160_51 Depth=1
	s_andn2_saveexec_b64 s[12:13], s[0:1]
; %bb.225:                              ;   in Loop: Header=BB160_51 Depth=1
	v_or_b32_e32 v21, 0x10000, v2
	v_cmp_eq_u32_sdwa s[0:1], v2, v17 src0_sel:WORD_0 src1_sel:DWORD
	s_nop 1
	v_cndmask_b32_e64 v21, v21, v2, s[0:1]
; %bb.226:                              ;   in Loop: Header=BB160_51 Depth=1
	s_or_b64 exec, exec, s[12:13]
	v_lshlrev_b32_e32 v2, 16, v77
	v_mul_f32_e32 v2, v48, v2
	v_and_b32_e32 v77, 0x7f800000, v2
	v_cmp_ne_u32_e64 s[0:1], s18, v77
                                        ; implicit-def: $vgpr77
	s_and_saveexec_b64 s[12:13], s[0:1]
	s_xor_b64 s[0:1], exec, s[12:13]
; %bb.227:                              ;   in Loop: Header=BB160_51 Depth=1
	v_bfe_u32 v77, v2, 16, 1
	v_add3_u32 v77, v2, v77, s20
                                        ; implicit-def: $vgpr2
; %bb.228:                              ;   in Loop: Header=BB160_51 Depth=1
	s_andn2_saveexec_b64 s[12:13], s[0:1]
; %bb.229:                              ;   in Loop: Header=BB160_51 Depth=1
	v_or_b32_e32 v77, 0x10000, v2
	v_cmp_eq_u32_sdwa s[0:1], v2, v17 src0_sel:WORD_0 src1_sel:DWORD
	s_nop 1
	v_cndmask_b32_e64 v77, v77, v2, s[0:1]
; %bb.230:                              ;   in Loop: Header=BB160_51 Depth=1
	s_or_b64 exec, exec, s[12:13]
	v_lshlrev_b32_e32 v2, 16, v3
	v_mul_f32_e32 v2, v49, v2
	v_and_b32_e32 v3, 0x7f800000, v2
	v_cmp_ne_u32_e64 s[0:1], s18, v3
                                        ; implicit-def: $vgpr78
	s_and_saveexec_b64 s[12:13], s[0:1]
	s_xor_b64 s[0:1], exec, s[12:13]
; %bb.231:                              ;   in Loop: Header=BB160_51 Depth=1
	v_bfe_u32 v3, v2, 16, 1
	v_add3_u32 v78, v2, v3, s20
                                        ; implicit-def: $vgpr2
; %bb.232:                              ;   in Loop: Header=BB160_51 Depth=1
	s_andn2_saveexec_b64 s[12:13], s[0:1]
; %bb.233:                              ;   in Loop: Header=BB160_51 Depth=1
	v_or_b32_e32 v3, 0x10000, v2
	v_cmp_eq_u32_sdwa s[0:1], v2, v17 src0_sel:WORD_0 src1_sel:DWORD
	s_nop 1
	v_cndmask_b32_e64 v78, v3, v2, s[0:1]
; %bb.234:                              ;   in Loop: Header=BB160_51 Depth=1
	s_or_b64 exec, exec, s[12:13]
	v_lshlrev_b32_e32 v2, 16, v79
	v_mul_f32_e32 v2, v50, v2
	v_and_b32_e32 v3, 0x7f800000, v2
	v_cmp_ne_u32_e64 s[0:1], s18, v3
                                        ; implicit-def: $vgpr79
	s_and_saveexec_b64 s[12:13], s[0:1]
	s_xor_b64 s[0:1], exec, s[12:13]
; %bb.235:                              ;   in Loop: Header=BB160_51 Depth=1
	v_bfe_u32 v3, v2, 16, 1
	v_add3_u32 v79, v2, v3, s20
                                        ; implicit-def: $vgpr2
; %bb.236:                              ;   in Loop: Header=BB160_51 Depth=1
	s_andn2_saveexec_b64 s[12:13], s[0:1]
; %bb.237:                              ;   in Loop: Header=BB160_51 Depth=1
	v_or_b32_e32 v3, 0x10000, v2
	v_cmp_eq_u32_sdwa s[0:1], v2, v17 src0_sel:WORD_0 src1_sel:DWORD
	s_nop 1
	v_cndmask_b32_e64 v79, v3, v2, s[0:1]
; %bb.238:                              ;   in Loop: Header=BB160_51 Depth=1
	s_or_b64 exec, exec, s[12:13]
	v_lshlrev_b32_e32 v2, 16, v4
	v_mul_f32_e32 v2, v51, v2
	v_and_b32_e32 v3, 0x7f800000, v2
	v_cmp_ne_u32_e64 s[0:1], s18, v3
                                        ; implicit-def: $vgpr80
	s_and_saveexec_b64 s[12:13], s[0:1]
	s_xor_b64 s[0:1], exec, s[12:13]
; %bb.239:                              ;   in Loop: Header=BB160_51 Depth=1
	v_bfe_u32 v3, v2, 16, 1
	v_add3_u32 v80, v2, v3, s20
                                        ; implicit-def: $vgpr2
; %bb.240:                              ;   in Loop: Header=BB160_51 Depth=1
	s_andn2_saveexec_b64 s[12:13], s[0:1]
; %bb.241:                              ;   in Loop: Header=BB160_51 Depth=1
	v_or_b32_e32 v3, 0x10000, v2
	v_cmp_eq_u32_sdwa s[0:1], v2, v17 src0_sel:WORD_0 src1_sel:DWORD
	s_nop 1
	v_cndmask_b32_e64 v80, v3, v2, s[0:1]
; %bb.242:                              ;   in Loop: Header=BB160_51 Depth=1
	s_or_b64 exec, exec, s[12:13]
	v_lshlrev_b32_e32 v2, 16, v81
	v_mul_f32_e32 v2, v52, v2
	v_and_b32_e32 v3, 0x7f800000, v2
	v_cmp_ne_u32_e64 s[0:1], s18, v3
                                        ; implicit-def: $vgpr81
	s_and_saveexec_b64 s[12:13], s[0:1]
	s_xor_b64 s[0:1], exec, s[12:13]
; %bb.243:                              ;   in Loop: Header=BB160_51 Depth=1
	v_bfe_u32 v3, v2, 16, 1
	v_add3_u32 v81, v2, v3, s20
                                        ; implicit-def: $vgpr2
; %bb.244:                              ;   in Loop: Header=BB160_51 Depth=1
	s_andn2_saveexec_b64 s[12:13], s[0:1]
; %bb.245:                              ;   in Loop: Header=BB160_51 Depth=1
	v_or_b32_e32 v3, 0x10000, v2
	v_cmp_eq_u32_sdwa s[0:1], v2, v17 src0_sel:WORD_0 src1_sel:DWORD
	s_nop 1
	v_cndmask_b32_e64 v81, v3, v2, s[0:1]
; %bb.246:                              ;   in Loop: Header=BB160_51 Depth=1
	s_or_b64 exec, exec, s[12:13]
	v_lshlrev_b32_e32 v2, 16, v5
	v_mul_f32_e32 v2, v53, v2
	v_and_b32_e32 v3, 0x7f800000, v2
	v_cmp_ne_u32_e64 s[0:1], s18, v3
                                        ; implicit-def: $vgpr82
	s_and_saveexec_b64 s[12:13], s[0:1]
	s_xor_b64 s[0:1], exec, s[12:13]
; %bb.247:                              ;   in Loop: Header=BB160_51 Depth=1
	v_bfe_u32 v3, v2, 16, 1
	v_add3_u32 v82, v2, v3, s20
                                        ; implicit-def: $vgpr2
; %bb.248:                              ;   in Loop: Header=BB160_51 Depth=1
	s_andn2_saveexec_b64 s[12:13], s[0:1]
; %bb.249:                              ;   in Loop: Header=BB160_51 Depth=1
	v_or_b32_e32 v3, 0x10000, v2
	v_cmp_eq_u32_sdwa s[0:1], v2, v17 src0_sel:WORD_0 src1_sel:DWORD
	s_nop 1
	v_cndmask_b32_e64 v82, v3, v2, s[0:1]
; %bb.250:                              ;   in Loop: Header=BB160_51 Depth=1
	s_or_b64 exec, exec, s[12:13]
	v_lshlrev_b32_e32 v2, 16, v23
	v_mul_f32_e32 v2, v54, v2
	v_and_b32_e32 v3, 0x7f800000, v2
	v_cmp_ne_u32_e64 s[0:1], s18, v3
                                        ; implicit-def: $vgpr83
	s_and_saveexec_b64 s[12:13], s[0:1]
	s_xor_b64 s[0:1], exec, s[12:13]
; %bb.251:                              ;   in Loop: Header=BB160_51 Depth=1
	v_bfe_u32 v3, v2, 16, 1
	v_add3_u32 v83, v2, v3, s20
                                        ; implicit-def: $vgpr2
; %bb.252:                              ;   in Loop: Header=BB160_51 Depth=1
	s_andn2_saveexec_b64 s[12:13], s[0:1]
; %bb.253:                              ;   in Loop: Header=BB160_51 Depth=1
	v_or_b32_e32 v3, 0x10000, v2
	v_cmp_eq_u32_sdwa s[0:1], v2, v17 src0_sel:WORD_0 src1_sel:DWORD
	s_nop 1
	v_cndmask_b32_e64 v83, v3, v2, s[0:1]
; %bb.254:                              ;   in Loop: Header=BB160_51 Depth=1
	s_or_b64 exec, exec, s[12:13]
	v_mov_b32_e32 v23, v17
	v_lshl_add_u64 v[2:3], v[6:7], 0, v[22:23]
	global_load_dwordx4 v[2:5], v[2:3], off
	s_waitcnt vmcnt(0)
	v_lshrrev_b32_e32 v6, 16, v2
	v_lshrrev_b32_e32 v23, 16, v3
	;; [unrolled: 1-line block ×4, first 2 shown]
	s_and_saveexec_b64 s[0:1], vcc
	s_cbranch_execz .LBB160_256
; %bb.255:                              ;   in Loop: Header=BB160_51 Depth=1
	v_cmp_gt_i32_e32 vcc, s33, v39
	s_nop 1
	v_cndmask_b32_e32 v2, 0, v2, vcc
	v_cmp_gt_i32_e32 vcc, s33, v46
	s_nop 1
	v_cndmask_b32_e32 v6, 0, v6, vcc
	;; [unrolled: 3-line block ×8, first 2 shown]
.LBB160_256:                            ;   in Loop: Header=BB160_51 Depth=1
	s_or_b64 exec, exec, s[0:1]
	v_lshlrev_b32_e32 v2, 16, v2
	v_mul_f32_e32 v39, v47, v2
	v_and_b32_e32 v2, 0x7f800000, v39
	v_cmp_ne_u32_e32 vcc, s18, v2
                                        ; implicit-def: $vgpr2
	s_and_saveexec_b64 s[0:1], vcc
	s_xor_b64 s[0:1], exec, s[0:1]
; %bb.257:                              ;   in Loop: Header=BB160_51 Depth=1
	v_bfe_u32 v2, v39, 16, 1
	v_add3_u32 v2, v39, v2, s20
                                        ; implicit-def: $vgpr39
; %bb.258:                              ;   in Loop: Header=BB160_51 Depth=1
	s_andn2_saveexec_b64 s[0:1], s[0:1]
; %bb.259:                              ;   in Loop: Header=BB160_51 Depth=1
	v_or_b32_e32 v2, 0x10000, v39
	v_cmp_eq_u32_sdwa vcc, v39, v17 src0_sel:WORD_0 src1_sel:DWORD
	s_nop 1
	v_cndmask_b32_e32 v2, v2, v39, vcc
; %bb.260:                              ;   in Loop: Header=BB160_51 Depth=1
	s_or_b64 exec, exec, s[0:1]
	v_lshlrev_b32_e32 v6, 16, v6
	v_mul_f32_e32 v39, v48, v6
	v_and_b32_e32 v6, 0x7f800000, v39
	v_cmp_ne_u32_e32 vcc, s18, v6
                                        ; implicit-def: $vgpr6
	s_and_saveexec_b64 s[0:1], vcc
	s_xor_b64 s[0:1], exec, s[0:1]
; %bb.261:                              ;   in Loop: Header=BB160_51 Depth=1
	v_bfe_u32 v6, v39, 16, 1
	v_add3_u32 v6, v39, v6, s20
                                        ; implicit-def: $vgpr39
; %bb.262:                              ;   in Loop: Header=BB160_51 Depth=1
	s_andn2_saveexec_b64 s[0:1], s[0:1]
; %bb.263:                              ;   in Loop: Header=BB160_51 Depth=1
	v_or_b32_e32 v6, 0x10000, v39
	v_cmp_eq_u32_sdwa vcc, v39, v17 src0_sel:WORD_0 src1_sel:DWORD
	s_nop 1
	v_cndmask_b32_e32 v6, v6, v39, vcc
; %bb.264:                              ;   in Loop: Header=BB160_51 Depth=1
	s_or_b64 exec, exec, s[0:1]
	v_lshlrev_b32_e32 v3, 16, v3
	v_mul_f32_e32 v39, v49, v3
	v_and_b32_e32 v3, 0x7f800000, v39
	v_cmp_ne_u32_e32 vcc, s18, v3
                                        ; implicit-def: $vgpr3
	s_and_saveexec_b64 s[0:1], vcc
	s_xor_b64 s[0:1], exec, s[0:1]
; %bb.265:                              ;   in Loop: Header=BB160_51 Depth=1
	v_bfe_u32 v3, v39, 16, 1
	v_add3_u32 v3, v39, v3, s20
                                        ; implicit-def: $vgpr39
; %bb.266:                              ;   in Loop: Header=BB160_51 Depth=1
	s_andn2_saveexec_b64 s[0:1], s[0:1]
; %bb.267:                              ;   in Loop: Header=BB160_51 Depth=1
	v_or_b32_e32 v3, 0x10000, v39
	v_cmp_eq_u32_sdwa vcc, v39, v17 src0_sel:WORD_0 src1_sel:DWORD
	s_nop 1
	v_cndmask_b32_e32 v3, v3, v39, vcc
; %bb.268:                              ;   in Loop: Header=BB160_51 Depth=1
	s_or_b64 exec, exec, s[0:1]
	v_lshlrev_b32_e32 v23, 16, v23
	v_mul_f32_e32 v39, v50, v23
	v_and_b32_e32 v23, 0x7f800000, v39
	v_cmp_ne_u32_e32 vcc, s18, v23
                                        ; implicit-def: $vgpr23
	s_and_saveexec_b64 s[0:1], vcc
	s_xor_b64 s[0:1], exec, s[0:1]
; %bb.269:                              ;   in Loop: Header=BB160_51 Depth=1
	v_bfe_u32 v23, v39, 16, 1
	v_add3_u32 v23, v39, v23, s20
                                        ; implicit-def: $vgpr39
; %bb.270:                              ;   in Loop: Header=BB160_51 Depth=1
	s_andn2_saveexec_b64 s[0:1], s[0:1]
; %bb.271:                              ;   in Loop: Header=BB160_51 Depth=1
	v_or_b32_e32 v23, 0x10000, v39
	v_cmp_eq_u32_sdwa vcc, v39, v17 src0_sel:WORD_0 src1_sel:DWORD
	s_nop 1
	v_cndmask_b32_e32 v23, v23, v39, vcc
; %bb.272:                              ;   in Loop: Header=BB160_51 Depth=1
	s_or_b64 exec, exec, s[0:1]
	v_lshlrev_b32_e32 v4, 16, v4
	v_mul_f32_e32 v39, v51, v4
	v_and_b32_e32 v4, 0x7f800000, v39
	v_cmp_ne_u32_e32 vcc, s18, v4
                                        ; implicit-def: $vgpr4
	s_and_saveexec_b64 s[0:1], vcc
	s_xor_b64 s[0:1], exec, s[0:1]
; %bb.273:                              ;   in Loop: Header=BB160_51 Depth=1
	v_bfe_u32 v4, v39, 16, 1
	v_add3_u32 v4, v39, v4, s20
                                        ; implicit-def: $vgpr39
; %bb.274:                              ;   in Loop: Header=BB160_51 Depth=1
	s_andn2_saveexec_b64 s[0:1], s[0:1]
; %bb.275:                              ;   in Loop: Header=BB160_51 Depth=1
	v_or_b32_e32 v4, 0x10000, v39
	v_cmp_eq_u32_sdwa vcc, v39, v17 src0_sel:WORD_0 src1_sel:DWORD
	s_nop 1
	v_cndmask_b32_e32 v4, v4, v39, vcc
; %bb.276:                              ;   in Loop: Header=BB160_51 Depth=1
	s_or_b64 exec, exec, s[0:1]
	v_lshlrev_b32_e32 v39, 16, v84
	v_mul_f32_e32 v40, v52, v39
	v_and_b32_e32 v39, 0x7f800000, v40
	v_cmp_ne_u32_e32 vcc, s18, v39
                                        ; implicit-def: $vgpr39
	s_and_saveexec_b64 s[0:1], vcc
	s_xor_b64 s[0:1], exec, s[0:1]
; %bb.277:                              ;   in Loop: Header=BB160_51 Depth=1
	v_bfe_u32 v39, v40, 16, 1
	v_add3_u32 v39, v40, v39, s20
                                        ; implicit-def: $vgpr40
; %bb.278:                              ;   in Loop: Header=BB160_51 Depth=1
	s_andn2_saveexec_b64 s[0:1], s[0:1]
; %bb.279:                              ;   in Loop: Header=BB160_51 Depth=1
	v_or_b32_e32 v39, 0x10000, v40
	v_cmp_eq_u32_sdwa vcc, v40, v17 src0_sel:WORD_0 src1_sel:DWORD
	s_nop 1
	v_cndmask_b32_e32 v39, v39, v40, vcc
; %bb.280:                              ;   in Loop: Header=BB160_51 Depth=1
	s_or_b64 exec, exec, s[0:1]
	v_lshlrev_b32_e32 v5, 16, v5
	v_mul_f32_e32 v40, v53, v5
	v_and_b32_e32 v5, 0x7f800000, v40
	v_cmp_ne_u32_e32 vcc, s18, v5
                                        ; implicit-def: $vgpr5
	s_and_saveexec_b64 s[0:1], vcc
	s_xor_b64 s[0:1], exec, s[0:1]
; %bb.281:                              ;   in Loop: Header=BB160_51 Depth=1
	v_bfe_u32 v5, v40, 16, 1
	v_add3_u32 v5, v40, v5, s20
                                        ; implicit-def: $vgpr40
; %bb.282:                              ;   in Loop: Header=BB160_51 Depth=1
	s_andn2_saveexec_b64 s[0:1], s[0:1]
; %bb.283:                              ;   in Loop: Header=BB160_51 Depth=1
	v_or_b32_e32 v5, 0x10000, v40
	v_cmp_eq_u32_sdwa vcc, v40, v17 src0_sel:WORD_0 src1_sel:DWORD
	s_nop 1
	v_cndmask_b32_e32 v5, v5, v40, vcc
; %bb.284:                              ;   in Loop: Header=BB160_51 Depth=1
	s_or_b64 exec, exec, s[0:1]
	v_lshlrev_b32_e32 v7, 16, v7
	v_mul_f32_e32 v40, v54, v7
	v_and_b32_e32 v7, 0x7f800000, v40
	v_cmp_ne_u32_e32 vcc, s18, v7
                                        ; implicit-def: $vgpr7
	s_and_saveexec_b64 s[0:1], vcc
	s_xor_b64 s[0:1], exec, s[0:1]
; %bb.285:                              ;   in Loop: Header=BB160_51 Depth=1
	v_bfe_u32 v7, v40, 16, 1
	v_add3_u32 v7, v40, v7, s20
                                        ; implicit-def: $vgpr40
; %bb.286:                              ;   in Loop: Header=BB160_51 Depth=1
	s_andn2_saveexec_b64 s[0:1], s[0:1]
	s_cbranch_execz .LBB160_49
; %bb.287:                              ;   in Loop: Header=BB160_51 Depth=1
	v_or_b32_e32 v7, 0x10000, v40
	v_cmp_eq_u32_sdwa vcc, v40, v17 src0_sel:WORD_0 src1_sel:DWORD
	s_nop 1
	v_cndmask_b32_e32 v7, v7, v40, vcc
	s_branch .LBB160_49
.LBB160_288:
	s_or_b64 exec, exec, s[8:9]
.LBB160_289:
	s_or_b64 exec, exec, s[2:3]
	ds_bpermute_b32 v2, v25, v14
	ds_bpermute_b32 v3, v25, v15
	;; [unrolled: 1-line block ×6, first 2 shown]
	v_and_b32_e32 v1, 0x3c1, v0
	s_waitcnt lgkmcnt(4)
	v_pk_add_f32 v[6:7], v[14:15], v[2:3]
	s_waitcnt lgkmcnt(2)
	v_pk_add_f32 v[2:3], v[12:13], v[4:5]
	v_cmp_eq_u32_e32 vcc, 64, v1
	s_waitcnt lgkmcnt(0)
	v_pk_add_f32 v[4:5], v[10:11], v[8:9]
	s_barrier
	s_and_saveexec_b64 s[0:1], vcc
	s_cbranch_execz .LBB160_291
; %bb.290:
	v_mov_b32_e32 v1, 0x190
	v_lshl_add_u32 v1, v24, 1, v1
	ds_write2_b32 v1, v6, v7 offset1:32
	ds_write2_b32 v1, v2, v3 offset0:64 offset1:96
	ds_write2_b32 v1, v4, v5 offset0:128 offset1:160
.LBB160_291:
	s_or_b64 exec, exec, s[0:1]
	v_cmp_gt_u32_e32 vcc, 64, v0
	s_waitcnt lgkmcnt(0)
	s_barrier
	s_and_saveexec_b64 s[2:3], vcc
	s_cbranch_execz .LBB160_300
; %bb.292:
	v_cmp_eq_u32_e64 s[0:1], 0, v28
	v_lshrrev_b32_e32 v1, 1, v0
	s_and_saveexec_b64 s[6:7], s[0:1]
	s_cbranch_execnz .LBB160_328
; %bb.293:
	s_or_b64 exec, exec, s[6:7]
	s_and_saveexec_b64 s[6:7], s[0:1]
	s_cbranch_execnz .LBB160_329
.LBB160_294:
	s_or_b64 exec, exec, s[6:7]
	s_and_saveexec_b64 s[6:7], s[0:1]
	s_cbranch_execnz .LBB160_330
.LBB160_295:
	s_or_b64 exec, exec, s[6:7]
	s_and_saveexec_b64 s[6:7], s[0:1]
	s_cbranch_execnz .LBB160_331
.LBB160_296:
	s_or_b64 exec, exec, s[6:7]
	s_and_saveexec_b64 s[6:7], s[0:1]
	s_cbranch_execnz .LBB160_332
.LBB160_297:
	s_or_b64 exec, exec, s[6:7]
	s_and_saveexec_b64 s[6:7], s[0:1]
	s_cbranch_execz .LBB160_299
.LBB160_298:
	v_mov_b32_e32 v8, 0x190
	v_lshl_add_u32 v1, v1, 2, v8
	ds_read_b32 v1, v1 offset:640
	s_waitcnt lgkmcnt(0)
	v_add_f32_e32 v5, v5, v1
.LBB160_299:
	s_or_b64 exec, exec, s[6:7]
.LBB160_300:
	s_or_b64 exec, exec, s[2:3]
	s_barrier
	s_and_saveexec_b64 s[0:1], vcc
	s_cbranch_execz .LBB160_327
; %bb.301:
	v_cmp_eq_u32_e32 vcc, 0, v28
	s_and_b64 exec, exec, vcc
	s_cbranch_execz .LBB160_327
; %bb.302:
	s_mov_b32 s0, 0x7f800000
	v_and_b32_e32 v1, 0x7f800000, v6
	v_cmp_ne_u32_e32 vcc, s0, v1
                                        ; implicit-def: $vgpr8
	s_and_saveexec_b64 s[0:1], vcc
	s_xor_b64 s[0:1], exec, s[0:1]
; %bb.303:
	v_bfe_u32 v1, v6, 16, 1
	s_movk_i32 s2, 0x7fff
	v_add3_u32 v8, v6, v1, s2
; %bb.304:
	s_andn2_saveexec_b64 s[0:1], s[0:1]
; %bb.305:
	v_mov_b32_e32 v1, 0
	v_or_b32_e32 v8, 0x10000, v6
	v_cmp_eq_u32_sdwa vcc, v6, v1 src0_sel:WORD_0 src1_sel:DWORD
	s_nop 1
	v_cndmask_b32_e32 v8, v8, v6, vcc
; %bb.306:
	s_or_b64 exec, exec, s[0:1]
	s_mul_i32 s0, s16, s24
	s_mul_i32 s0, s0, s25
	s_mulk_i32 s0, 0xc0
	s_ashr_i32 s1, s0, 31
	s_lshl_b64 s[0:1], s[0:1], 1
	s_add_u32 s2, s28, s0
	s_mul_i32 s0, s16, s26
	s_addc_u32 s3, s29, s1
	s_ashr_i32 s1, s0, 31
	s_lshl_b64 s[0:1], s[0:1], 1
	s_add_u32 s2, s2, s0
	s_mul_i32 s0, s4, 0xc0
	s_addc_u32 s3, s3, s1
	s_ashr_i32 s1, s0, 31
	s_lshl_b64 s[0:1], s[0:1], 1
	s_add_u32 s0, s2, s0
	s_mov_b32 s2, 0x7f800000
	v_and_b32_e32 v6, 0x7f800000, v7
	s_addc_u32 s1, s3, s1
	v_and_b32_e32 v0, 0x3fe, v0
	v_mov_b32_e32 v1, 0
	v_cmp_ne_u32_e32 vcc, s2, v6
	global_store_short_d16_hi v0, v8, s[0:1]
                                        ; implicit-def: $vgpr6
	s_and_saveexec_b64 s[2:3], vcc
	s_xor_b64 s[2:3], exec, s[2:3]
; %bb.307:
	v_bfe_u32 v6, v7, 16, 1
	s_movk_i32 s4, 0x7fff
	v_add3_u32 v6, v7, v6, s4
; %bb.308:
	s_or_saveexec_b64 s[2:3], s[2:3]
	v_lshl_add_u64 v[8:9], s[0:1], 0, v[0:1]
	s_xor_b64 exec, exec, s[2:3]
; %bb.309:
	v_mov_b32_e32 v0, 0
	v_or_b32_e32 v1, 0x10000, v7
	v_cmp_eq_u32_sdwa vcc, v7, v0 src0_sel:WORD_0 src1_sel:DWORD
	s_nop 1
	v_cndmask_b32_e32 v6, v1, v7, vcc
; %bb.310:
	s_or_b64 exec, exec, s[2:3]
	s_mov_b32 s0, 0x7f800000
	v_and_b32_e32 v0, 0x7f800000, v2
	v_cmp_ne_u32_e32 vcc, s0, v0
	global_store_short_d16_hi v[8:9], v6, off offset:64
                                        ; implicit-def: $vgpr0
	s_and_saveexec_b64 s[0:1], vcc
	s_xor_b64 s[0:1], exec, s[0:1]
; %bb.311:
	v_bfe_u32 v0, v2, 16, 1
	s_movk_i32 s2, 0x7fff
	v_add3_u32 v0, v2, v0, s2
; %bb.312:
	s_andn2_saveexec_b64 s[0:1], s[0:1]
; %bb.313:
	v_mov_b32_e32 v0, 0
	v_or_b32_e32 v1, 0x10000, v2
	v_cmp_eq_u32_sdwa vcc, v2, v0 src0_sel:WORD_0 src1_sel:DWORD
	s_nop 1
	v_cndmask_b32_e32 v0, v1, v2, vcc
; %bb.314:
	s_or_b64 exec, exec, s[0:1]
	global_store_short_d16_hi v[8:9], v0, off offset:128
	s_mov_b32 s0, 0x7f800000
	v_and_b32_e32 v0, 0x7f800000, v3
	v_cmp_ne_u32_e32 vcc, s0, v0
                                        ; implicit-def: $vgpr0
	s_and_saveexec_b64 s[0:1], vcc
	s_xor_b64 s[0:1], exec, s[0:1]
; %bb.315:
	v_bfe_u32 v0, v3, 16, 1
	s_movk_i32 s2, 0x7fff
	v_add3_u32 v0, v3, v0, s2
; %bb.316:
	s_andn2_saveexec_b64 s[0:1], s[0:1]
; %bb.317:
	v_mov_b32_e32 v0, 0
	v_or_b32_e32 v1, 0x10000, v3
	v_cmp_eq_u32_sdwa vcc, v3, v0 src0_sel:WORD_0 src1_sel:DWORD
	s_nop 1
	v_cndmask_b32_e32 v0, v1, v3, vcc
; %bb.318:
	s_or_b64 exec, exec, s[0:1]
	global_store_short_d16_hi v[8:9], v0, off offset:192
	s_mov_b32 s0, 0x7f800000
	v_and_b32_e32 v0, 0x7f800000, v4
	v_cmp_ne_u32_e32 vcc, s0, v0
	;; [unrolled: 21-line block ×3, first 2 shown]
                                        ; implicit-def: $vgpr6
	s_and_saveexec_b64 s[0:1], vcc
	s_xor_b64 s[0:1], exec, s[0:1]
; %bb.323:
	v_bfe_u32 v0, v5, 16, 1
	s_movk_i32 s2, 0x7fff
	v_add3_u32 v6, v5, v0, s2
                                        ; implicit-def: $vgpr0_vgpr1_vgpr2_vgpr3_vgpr4_vgpr5
; %bb.324:
	s_andn2_saveexec_b64 s[0:1], s[0:1]
; %bb.325:
	v_mov_b32_e32 v0, 0
	v_or_b32_e32 v1, 0x10000, v5
	v_cmp_eq_u32_sdwa vcc, v5, v0 src0_sel:WORD_0 src1_sel:DWORD
	s_nop 1
	v_cndmask_b32_e32 v6, v1, v5, vcc
; %bb.326:
	s_or_b64 exec, exec, s[0:1]
	global_store_short_d16_hi v[8:9], v6, off offset:320
.LBB160_327:
	s_endpgm
.LBB160_328:
	v_mov_b32_e32 v8, 0x190
	v_lshl_add_u32 v8, v1, 2, v8
	ds_read_b32 v8, v8
	s_waitcnt lgkmcnt(0)
	v_add_f32_e32 v6, v6, v8
	s_or_b64 exec, exec, s[6:7]
	s_and_saveexec_b64 s[6:7], s[0:1]
	s_cbranch_execz .LBB160_294
.LBB160_329:
	v_mov_b32_e32 v8, 0x190
	v_lshl_add_u32 v8, v1, 2, v8
	ds_read_b32 v8, v8 offset:128
	s_waitcnt lgkmcnt(0)
	v_add_f32_e32 v7, v7, v8
	s_or_b64 exec, exec, s[6:7]
	s_and_saveexec_b64 s[6:7], s[0:1]
	s_cbranch_execz .LBB160_295
.LBB160_330:
	v_mov_b32_e32 v8, 0x190
	v_lshl_add_u32 v8, v1, 2, v8
	ds_read_b32 v8, v8 offset:256
	s_waitcnt lgkmcnt(0)
	v_add_f32_e32 v2, v2, v8
	s_or_b64 exec, exec, s[6:7]
	s_and_saveexec_b64 s[6:7], s[0:1]
	s_cbranch_execz .LBB160_296
.LBB160_331:
	v_mov_b32_e32 v8, 0x190
	v_lshl_add_u32 v8, v1, 2, v8
	ds_read_b32 v8, v8 offset:384
	s_waitcnt lgkmcnt(0)
	v_add_f32_e32 v3, v3, v8
	s_or_b64 exec, exec, s[6:7]
	s_and_saveexec_b64 s[6:7], s[0:1]
	s_cbranch_execz .LBB160_297
.LBB160_332:
	v_mov_b32_e32 v8, 0x190
	v_lshl_add_u32 v8, v1, 2, v8
	ds_read_b32 v8, v8 offset:512
	s_waitcnt lgkmcnt(0)
	v_add_f32_e32 v4, v4, v8
	s_or_b64 exec, exec, s[6:7]
	s_and_saveexec_b64 s[6:7], s[0:1]
	s_cbranch_execnz .LBB160_298
	s_branch .LBB160_299
	.section	.rodata,"a",@progbits
	.p2align	6, 0x0
	.amdhsa_kernel _ZN4vllm25paged_attention_v2_kernelI14__hip_bfloat16S1_Li192ELi16ELi128ELNS_18Fp8KVCacheDataTypeE0ELb1ELi512EEEvPfS3_PT_PKS4_PKT0_SA_ifPKiSC_iPKfiiiSE_SE_iiiii
		.amdhsa_group_segment_fixed_size 400
		.amdhsa_private_segment_fixed_size 0
		.amdhsa_kernarg_size 400
		.amdhsa_user_sgpr_count 2
		.amdhsa_user_sgpr_dispatch_ptr 0
		.amdhsa_user_sgpr_queue_ptr 0
		.amdhsa_user_sgpr_kernarg_segment_ptr 1
		.amdhsa_user_sgpr_dispatch_id 0
		.amdhsa_user_sgpr_kernarg_preload_length 0
		.amdhsa_user_sgpr_kernarg_preload_offset 0
		.amdhsa_user_sgpr_private_segment_size 0
		.amdhsa_uses_dynamic_stack 0
		.amdhsa_enable_private_segment 0
		.amdhsa_system_sgpr_workgroup_id_x 1
		.amdhsa_system_sgpr_workgroup_id_y 1
		.amdhsa_system_sgpr_workgroup_id_z 1
		.amdhsa_system_sgpr_workgroup_info 0
		.amdhsa_system_vgpr_workitem_id 0
		.amdhsa_next_free_vgpr 106
		.amdhsa_next_free_sgpr 53
		.amdhsa_accum_offset 108
		.amdhsa_reserve_vcc 1
		.amdhsa_float_round_mode_32 0
		.amdhsa_float_round_mode_16_64 0
		.amdhsa_float_denorm_mode_32 3
		.amdhsa_float_denorm_mode_16_64 3
		.amdhsa_dx10_clamp 1
		.amdhsa_ieee_mode 1
		.amdhsa_fp16_overflow 0
		.amdhsa_tg_split 0
		.amdhsa_exception_fp_ieee_invalid_op 0
		.amdhsa_exception_fp_denorm_src 0
		.amdhsa_exception_fp_ieee_div_zero 0
		.amdhsa_exception_fp_ieee_overflow 0
		.amdhsa_exception_fp_ieee_underflow 0
		.amdhsa_exception_fp_ieee_inexact 0
		.amdhsa_exception_int_div_zero 0
	.end_amdhsa_kernel
	.section	.text._ZN4vllm25paged_attention_v2_kernelI14__hip_bfloat16S1_Li192ELi16ELi128ELNS_18Fp8KVCacheDataTypeE0ELb1ELi512EEEvPfS3_PT_PKS4_PKT0_SA_ifPKiSC_iPKfiiiSE_SE_iiiii,"axG",@progbits,_ZN4vllm25paged_attention_v2_kernelI14__hip_bfloat16S1_Li192ELi16ELi128ELNS_18Fp8KVCacheDataTypeE0ELb1ELi512EEEvPfS3_PT_PKS4_PKT0_SA_ifPKiSC_iPKfiiiSE_SE_iiiii,comdat
.Lfunc_end160:
	.size	_ZN4vllm25paged_attention_v2_kernelI14__hip_bfloat16S1_Li192ELi16ELi128ELNS_18Fp8KVCacheDataTypeE0ELb1ELi512EEEvPfS3_PT_PKS4_PKT0_SA_ifPKiSC_iPKfiiiSE_SE_iiiii, .Lfunc_end160-_ZN4vllm25paged_attention_v2_kernelI14__hip_bfloat16S1_Li192ELi16ELi128ELNS_18Fp8KVCacheDataTypeE0ELb1ELi512EEEvPfS3_PT_PKS4_PKT0_SA_ifPKiSC_iPKfiiiSE_SE_iiiii
                                        ; -- End function
	.section	.AMDGPU.csdata,"",@progbits
; Kernel info:
; codeLenInByte = 12284
; NumSgprs: 59
; NumVgprs: 106
; NumAgprs: 0
; TotalNumVgprs: 106
; ScratchSize: 0
; MemoryBound: 0
; FloatMode: 240
; IeeeMode: 1
; LDSByteSize: 400 bytes/workgroup (compile time only)
; SGPRBlocks: 7
; VGPRBlocks: 13
; NumSGPRsForWavesPerEU: 59
; NumVGPRsForWavesPerEU: 106
; AccumOffset: 108
; Occupancy: 4
; WaveLimiterHint : 1
; COMPUTE_PGM_RSRC2:SCRATCH_EN: 0
; COMPUTE_PGM_RSRC2:USER_SGPR: 2
; COMPUTE_PGM_RSRC2:TRAP_HANDLER: 0
; COMPUTE_PGM_RSRC2:TGID_X_EN: 1
; COMPUTE_PGM_RSRC2:TGID_Y_EN: 1
; COMPUTE_PGM_RSRC2:TGID_Z_EN: 1
; COMPUTE_PGM_RSRC2:TIDIG_COMP_CNT: 0
; COMPUTE_PGM_RSRC3_GFX90A:ACCUM_OFFSET: 26
; COMPUTE_PGM_RSRC3_GFX90A:TG_SPLIT: 0
	.section	.text._ZN4vllm25paged_attention_v2_kernelI14__hip_bfloat16S1_Li256ELi16ELi128ELNS_18Fp8KVCacheDataTypeE0ELb1ELi512EEEvPfS3_PT_PKS4_PKT0_SA_ifPKiSC_iPKfiiiSE_SE_iiiii,"axG",@progbits,_ZN4vllm25paged_attention_v2_kernelI14__hip_bfloat16S1_Li256ELi16ELi128ELNS_18Fp8KVCacheDataTypeE0ELb1ELi512EEEvPfS3_PT_PKS4_PKT0_SA_ifPKiSC_iPKfiiiSE_SE_iiiii,comdat
	.protected	_ZN4vllm25paged_attention_v2_kernelI14__hip_bfloat16S1_Li256ELi16ELi128ELNS_18Fp8KVCacheDataTypeE0ELb1ELi512EEEvPfS3_PT_PKS4_PKT0_SA_ifPKiSC_iPKfiiiSE_SE_iiiii ; -- Begin function _ZN4vllm25paged_attention_v2_kernelI14__hip_bfloat16S1_Li256ELi16ELi128ELNS_18Fp8KVCacheDataTypeE0ELb1ELi512EEEvPfS3_PT_PKS4_PKT0_SA_ifPKiSC_iPKfiiiSE_SE_iiiii
	.globl	_ZN4vllm25paged_attention_v2_kernelI14__hip_bfloat16S1_Li256ELi16ELi128ELNS_18Fp8KVCacheDataTypeE0ELb1ELi512EEEvPfS3_PT_PKS4_PKT0_SA_ifPKiSC_iPKfiiiSE_SE_iiiii
	.p2align	8
	.type	_ZN4vllm25paged_attention_v2_kernelI14__hip_bfloat16S1_Li256ELi16ELi128ELNS_18Fp8KVCacheDataTypeE0ELb1ELi512EEEvPfS3_PT_PKS4_PKT0_SA_ifPKiSC_iPKfiiiSE_SE_iiiii,@function
_ZN4vllm25paged_attention_v2_kernelI14__hip_bfloat16S1_Li256ELi16ELi128ELNS_18Fp8KVCacheDataTypeE0ELb1ELi512EEEvPfS3_PT_PKS4_PKT0_SA_ifPKiSC_iPKfiiiSE_SE_iiiii: ; @_ZN4vllm25paged_attention_v2_kernelI14__hip_bfloat16S1_Li256ELi16ELi128ELNS_18Fp8KVCacheDataTypeE0ELb1ELi512EEEvPfS3_PT_PKS4_PKT0_SA_ifPKiSC_iPKfiiiSE_SE_iiiii
; %bb.0:
	s_load_dwordx2 s[6:7], s[0:1], 0x40
	s_mov_b32 s24, s3
	s_ashr_i32 s25, s3, 31
	s_lshl_b64 s[8:9], s[24:25], 2
	s_waitcnt lgkmcnt(0)
	s_add_u32 s6, s6, s8
	s_addc_u32 s7, s7, s9
	s_load_dword s33, s[6:7], 0x0
	s_lshl_b32 s5, s4, 9
	s_waitcnt lgkmcnt(0)
	s_cmp_ge_i32 s5, s33
	s_cbranch_scc1 .LBB161_405
; %bb.1:
	s_load_dword s25, s[0:1], 0x90
	s_load_dwordx2 s[38:39], s[0:1], 0x30
	s_waitcnt lgkmcnt(0)
	s_abs_i32 s7, s25
	s_abs_i32 s3, s38
	v_cvt_f32_u32_e32 v1, s3
	s_sub_i32 s8, 0, s3
	s_xor_b32 s6, s25, s38
	s_ashr_i32 s6, s6, 31
	v_rcp_iflag_f32_e32 v1, v1
	s_nop 0
	v_mul_f32_e32 v1, 0x4f7ffffe, v1
	v_cvt_u32_f32_e32 v1, v1
	s_nop 0
	v_readfirstlane_b32 s9, v1
	s_mul_i32 s8, s8, s9
	s_mul_hi_u32 s8, s9, s8
	s_add_i32 s9, s9, s8
	s_mul_hi_u32 s8, s7, s9
	s_mul_i32 s9, s8, s3
	s_sub_i32 s7, s7, s9
	s_add_i32 s10, s8, 1
	s_sub_i32 s9, s7, s3
	s_cmp_ge_u32 s7, s3
	s_cselect_b32 s8, s10, s8
	s_cselect_b32 s7, s9, s7
	s_add_i32 s9, s8, 1
	s_cmp_ge_u32 s7, s3
	s_cselect_b32 s3, s9, s8
	s_xor_b32 s3, s3, s6
	s_sub_i32 s12, s3, s6
	s_abs_i32 s8, s12
	v_cvt_f32_u32_e32 v1, s8
	s_load_dwordx2 s[6:7], s[0:1], 0x50
	s_sub_i32 s10, 0, s8
	s_abs_i32 s9, s2
	v_rcp_iflag_f32_e32 v1, v1
	s_mov_b32 s3, 0
	v_mul_f32_e32 v1, 0x4f7ffffe, v1
	v_cvt_u32_f32_e32 v1, v1
	s_nop 0
	v_readfirstlane_b32 s11, v1
	s_mul_i32 s10, s10, s11
	s_mul_hi_u32 s10, s11, s10
	s_add_i32 s11, s11, s10
	s_waitcnt lgkmcnt(0)
	s_cmp_eq_u64 s[6:7], 0
	s_mul_hi_u32 s10, s9, s11
	s_cbranch_scc1 .LBB161_3
; %bb.2:
	s_ashr_i32 s3, s2, 31
	s_lshl_b64 s[14:15], s[2:3], 2
	s_add_u32 s6, s6, s14
	s_addc_u32 s7, s7, s15
	s_load_dword s3, s[6:7], 0x0
.LBB161_3:
	s_ashr_i32 s16, s12, 31
	s_load_dwordx4 s[12:15], s[0:1], 0x58
	s_movk_i32 s6, 0x80
	s_ashr_i32 s11, s2, 31
	v_and_b32_e32 v2, 3, v0
	s_lshl_b32 s26, s2, 8
	v_cmp_gt_u32_e32 vcc, s6, v0
	s_and_saveexec_b64 s[6:7], vcc
	s_cbranch_execz .LBB161_5
; %bb.4:
	s_load_dwordx2 s[18:19], s[0:1], 0x18
	s_waitcnt lgkmcnt(0)
	s_mul_i32 s20, s24, s12
	s_ashr_i32 s21, s20, 31
	s_lshl_b64 s[20:21], s[20:21], 1
	v_lshlrev_b32_e32 v1, 2, v0
	s_add_u32 s12, s18, s20
	s_addc_u32 s15, s19, s21
	s_ashr_i32 s27, s26, 31
	s_lshl_b64 s[18:19], s[26:27], 1
	s_add_u32 s18, s12, s18
	s_addc_u32 s19, s15, s19
	global_load_dword v1, v1, s[18:19]
	v_and_b32_e32 v3, 0x3fc, v0
	v_lshl_add_u32 v3, v2, 7, v3
	s_waitcnt vmcnt(0)
	ds_write_b32 v3, v1
.LBB161_5:
	s_or_b64 exec, exec, s[6:7]
	s_mul_i32 s7, s10, s8
	s_sub_i32 s7, s9, s7
	s_xor_b32 s6, s11, s16
	s_add_i32 s9, s10, 1
	s_sub_i32 s11, s7, s8
	s_load_dwordx4 s[16:19], s[0:1], 0x78
	s_cmp_ge_u32 s7, s8
	s_cselect_b32 s9, s9, s10
	s_cselect_b32 s7, s11, s7
	s_load_dword s11, s[0:1], 0x88
	s_add_i32 s10, s9, 1
	s_cmp_ge_u32 s7, s8
	s_cselect_b32 s7, s10, s9
	s_waitcnt lgkmcnt(0)
	s_abs_i32 s27, s19
	v_cvt_f32_u32_e32 v1, s27
	s_xor_b32 s7, s7, s6
	s_sub_i32 s10, s7, s6
	s_sub_i32 s6, 0, s27
	v_rcp_iflag_f32_e32 v1, v1
	s_add_i32 s12, s33, -1
	s_abs_i32 s8, s12
	v_mul_f32_e32 v1, 0x4f7ffffe, v1
	v_cvt_u32_f32_e32 v1, v1
	s_barrier
	v_readfirstlane_b32 s46, v1
	s_mul_i32 s6, s6, s46
	s_mul_hi_u32 s6, s46, s6
	s_add_i32 s46, s46, s6
	s_cmp_lt_i32 s11, 0
	s_mul_hi_u32 s9, s8, s46
	s_cbranch_scc0 .LBB161_7
; %bb.6:
	s_mul_i32 s6, s16, s38
	s_add_i32 s6, s10, s6
	s_mul_i32 s6, s6, s11
	s_sub_i32 s47, 1, s6
	s_mov_b64 s[6:7], 0
	s_branch .LBB161_8
.LBB161_7:
	s_mov_b64 s[6:7], -1
                                        ; implicit-def: $sgpr47
.LBB161_8:
	s_load_dwordx2 s[30:31], s[0:1], 0x38
	s_ashr_i32 s12, s12, 31
	s_andn2_b64 vcc, exec, s[6:7]
	s_ashr_i32 s19, s19, 31
	s_cbranch_vccnz .LBB161_10
; %bb.9:
	s_mul_i32 s6, s25, s16
	s_add_i32 s6, s6, s2
	s_mul_i32 s6, s6, s11
	s_add_i32 s47, s6, 1
.LBB161_10:
	s_load_dword s6, s[0:1], 0x48
	s_load_dwordx2 s[36:37], s[0:1], 0x28
	s_load_dword s16, s[0:1], 0x98
	s_load_dwordx4 s[20:23], s[0:1], 0x0
	s_load_dwordx2 s[28:29], s[0:1], 0x10
	s_mul_i32 s7, s9, s27
	s_waitcnt lgkmcnt(0)
	s_mul_i32 s34, s24, s6
	s_sub_i32 s7, s8, s7
	s_ashr_i32 s35, s34, 31
	s_xor_b32 s6, s12, s19
	s_add_i32 s8, s9, 1
	s_sub_i32 s11, s7, s27
	s_cmp_ge_u32 s7, s27
	s_cselect_b32 s8, s8, s9
	s_cselect_b32 s7, s11, s7
	s_add_i32 s9, s8, 1
	s_cmp_ge_u32 s7, s27
	s_cselect_b32 s7, s9, s8
	s_xor_b32 s7, s7, s6
	s_sub_i32 s49, s7, s6
	s_add_i32 s6, s33, 15
	s_ashr_i32 s7, s6, 31
	s_lshr_b32 s7, s7, 28
	s_add_i32 s6, s6, s7
	s_lshl_b32 s38, s4, 5
	s_ashr_i32 s12, s6, 4
	s_add_i32 s6, s38, 32
	v_lshrrev_b32_e32 v20, 6, v0
	s_min_i32 s48, s6, s12
	v_or_b32_e32 v10, s38, v20
	v_cmp_gt_i32_e64 s[8:9], s48, v10
	v_mov_b32_e32 v22, 0xff7fffff
	s_mul_i32 s14, s10, s14
	v_ashrrev_i32_e32 v11, 31, v10
	v_lshl_add_u32 v1, v20, 4, s5
	v_mbcnt_lo_u32_b32 v18, -1, 0
	s_and_saveexec_b64 s[40:41], s[8:9]
	s_cbranch_execz .LBB161_20
; %bb.11:
	s_load_dwordx2 s[0:1], s[0:1], 0x20
	s_ashr_i32 s15, s14, 31
	s_sub_i32 s50, s49, s17
	s_lshl_b64 s[6:7], s[14:15], 1
	v_bfe_u32 v19, v0, 2, 4
	s_waitcnt lgkmcnt(0)
	s_add_u32 s0, s0, s6
	s_addc_u32 s1, s1, s7
	s_abs_i32 s15, s18
	v_cvt_f32_u32_e32 v3, s15
	v_lshlrev_b32_e32 v4, 4, v19
	v_mov_b32_e32 v5, 0
	v_lshl_add_u64 v[6:7], s[0:1], 0, v[4:5]
	v_rcp_iflag_f32_e32 v3, v3
	s_sub_i32 s0, 0, s15
	v_cmp_eq_u32_e32 vcc, 0, v2
	v_lshlrev_b32_e32 v21, 7, v2
	v_mul_f32_e32 v3, 0x4f7ffffe, v3
	v_cvt_u32_f32_e32 v3, v3
	v_lshlrev_b32_e32 v4, 2, v0
	v_mbcnt_hi_u32_b32 v28, -1, v18
	v_and_b32_e32 v4, 12, v4
	v_mul_lo_u32 v2, s0, v3
	v_mul_hi_u32 v2, v3, v2
	v_add_u32_e32 v23, v3, v2
	v_lshlrev_b32_e32 v2, 2, v19
	s_lshl_b64 s[0:1], s[34:35], 2
	v_lshl_or_b32 v2, v20, 6, v2
	s_add_u32 s0, s30, s0
	v_add_u32_e32 v25, 0x210, v2
	v_subrev_u32_e32 v2, s33, v19
	s_addc_u32 s1, s31, s1
	v_add_u32_e32 v26, 1, v2
	v_and_b32_e32 v2, 64, v28
	s_mov_b32 s51, s13
	v_lshl_add_u64 v[12:13], v[6:7], 0, v[4:5]
	v_cmp_neq_f32_e64 s[6:7], s3, 0
	v_lshl_add_u64 v[14:15], v[10:11], 2, s[0:1]
	v_lshl_add_u32 v24, v20, 4, s5
	s_mov_b64 s[42:43], 0
	v_mov_b32_e32 v27, 0xff7fffff
	s_movk_i32 s52, 0x1000
	v_add_u32_e32 v29, 64, v2
	v_xor_b32_e32 v30, 2, v28
	v_xor_b32_e32 v31, 1, v28
	v_mov_b32_e32 v22, 0xff7fffff
	v_mov_b32_e32 v32, v10
	s_branch .LBB161_14
.LBB161_12:                             ;   in Loop: Header=BB161_14 Depth=1
	s_or_b64 exec, exec, s[44:45]
.LBB161_13:                             ;   in Loop: Header=BB161_14 Depth=1
	s_or_b64 exec, exec, s[10:11]
	v_add_u32_e32 v32, 2, v32
	v_cmp_le_i32_e64 s[0:1], s48, v32
	v_lshl_add_u64 v[14:15], v[14:15], 0, 8
	v_add_u32_e32 v24, 32, v24
	s_or_b64 s[42:43], s[0:1], s[42:43]
	v_add_u32_e32 v25, 0x80, v25
	s_andn2_b64 exec, exec, s[42:43]
	s_cbranch_execz .LBB161_19
.LBB161_14:                             ; =>This Inner Loop Header: Depth=1
	s_waitcnt lgkmcnt(0)
	v_sub_u32_e32 v3, 0, v24
	v_max_i32_e32 v3, v24, v3
	v_mul_hi_u32 v4, v3, s46
	v_mul_lo_u32 v5, v4, s27
	v_sub_u32_e32 v3, v3, v5
	v_add_u32_e32 v5, 1, v4
	v_cmp_le_u32_e64 s[0:1], s27, v3
	v_ashrrev_i32_e32 v2, 31, v24
	v_xor_b32_e32 v2, s19, v2
	v_cndmask_b32_e64 v4, v4, v5, s[0:1]
	v_subrev_u32_e32 v5, s27, v3
	v_cndmask_b32_e64 v3, v3, v5, s[0:1]
	v_add_u32_e32 v5, 1, v4
	v_cmp_le_u32_e64 s[0:1], s27, v3
	s_nop 1
	v_cndmask_b32_e64 v3, v4, v5, s[0:1]
	v_xor_b32_e32 v3, v3, v2
	v_sub_u32_e32 v2, v3, v2
	v_add_u32_e32 v3, s47, v2
	v_sub_u32_e32 v5, 0, v3
	v_ashrrev_i32_e32 v4, 31, v3
	v_max_i32_e32 v3, v3, v5
	v_mul_hi_u32 v5, v3, v23
	v_mul_lo_u32 v5, v5, s15
	v_sub_u32_e32 v3, v3, v5
	v_subrev_u32_e32 v5, s15, v3
	v_cmp_le_u32_e64 s[0:1], s15, v3
	v_cmp_ge_i32_e64 s[10:11], s50, v2
	s_nop 0
	v_cndmask_b32_e64 v3, v3, v5, s[0:1]
	v_subrev_u32_e32 v5, s15, v3
	v_cmp_le_u32_e64 s[0:1], s15, v3
	s_nop 1
	v_cndmask_b32_e64 v3, v3, v5, s[0:1]
	v_xor_b32_e32 v3, v3, v4
	v_sub_u32_e32 v3, v3, v4
	v_cmp_ne_u32_e64 s[0:1], 0, v3
	s_and_b64 s[0:1], s[0:1], s[10:11]
	s_and_b64 s[44:45], vcc, s[0:1]
	s_and_saveexec_b64 s[10:11], s[44:45]
	s_cbranch_execz .LBB161_16
; %bb.15:                               ;   in Loop: Header=BB161_14 Depth=1
	ds_write_b32 v25, v27
.LBB161_16:                             ;   in Loop: Header=BB161_14 Depth=1
	s_or_b64 exec, exec, s[10:11]
	s_xor_b64 s[0:1], s[0:1], -1
	s_and_saveexec_b64 s[10:11], s[0:1]
	s_cbranch_execz .LBB161_13
; %bb.17:                               ;   in Loop: Header=BB161_14 Depth=1
	ds_read_b128 v[6:9], v21
	ds_read_b128 v[42:45], v21 offset:16
	ds_read_b128 v[50:53], v21 offset:32
	;; [unrolled: 1-line block ×3, first 2 shown]
	global_load_dword v16, v[14:15], off
	ds_read_b128 v[62:65], v21 offset:64
	ds_read_b128 v[66:69], v21 offset:80
	s_waitcnt lgkmcnt(5)
	v_lshlrev_b32_e32 v55, 16, v6
	s_waitcnt lgkmcnt(2)
	v_lshlrev_b32_e32 v2, 16, v56
	v_lshlrev_b32_e32 v3, 16, v57
	v_and_b32_e32 v78, 0xffff0000, v6
	v_and_b32_e32 v6, 0xffff0000, v56
	v_and_b32_e32 v61, 0xffff0000, v57
	v_lshlrev_b32_e32 v76, 16, v50
	v_lshlrev_b32_e32 v77, 16, v51
	;; [unrolled: 1-line block ×4, first 2 shown]
	s_waitcnt lgkmcnt(1)
	v_lshlrev_b32_e32 v40, 16, v62
	v_lshlrev_b32_e32 v39, 16, v63
	s_waitcnt lgkmcnt(0)
	v_lshlrev_b32_e32 v33, 16, v69
	v_and_b32_e32 v85, 0xffff0000, v50
	v_and_b32_e32 v86, 0xffff0000, v51
	;; [unrolled: 1-line block ×7, first 2 shown]
	v_lshlrev_b32_e32 v60, 16, v7
	v_lshlrev_b32_e32 v70, 16, v8
	;; [unrolled: 1-line block ×3, first 2 shown]
	v_and_b32_e32 v80, 0xffff0000, v8
	v_and_b32_e32 v8, 0xffff0000, v52
	v_lshlrev_b32_e32 v4, 16, v53
	v_and_b32_e32 v79, 0xffff0000, v7
	v_and_b32_e32 v7, 0xffff0000, v53
	v_lshlrev_b32_e32 v71, 16, v9
	v_and_b32_e32 v9, 0xffff0000, v9
	v_lshlrev_b32_e32 v72, 16, v42
	v_lshlrev_b32_e32 v75, 16, v45
	;; [unrolled: 1-line block ×3, first 2 shown]
	v_and_b32_e32 v84, 0xffff0000, v45
	v_and_b32_e32 v45, 0xffff0000, v65
	;; [unrolled: 1-line block ×3, first 2 shown]
	v_lshlrev_b32_e32 v73, 16, v43
	v_and_b32_e32 v82, 0xffff0000, v43
	v_lshlrev_b32_e32 v34, 16, v68
	v_and_b32_e32 v42, 0xffff0000, v68
	v_lshlrev_b32_e32 v74, 16, v44
	v_lshlrev_b32_e32 v36, 16, v66
	v_and_b32_e32 v83, 0xffff0000, v44
	v_and_b32_e32 v44, 0xffff0000, v66
	v_lshlrev_b32_e32 v35, 16, v67
	v_and_b32_e32 v43, 0xffff0000, v67
	v_lshlrev_b32_e32 v38, 16, v64
	v_and_b32_e32 v46, 0xffff0000, v64
	s_waitcnt vmcnt(0)
	v_mad_i64_i32 v[16:17], s[0:1], v16, s51, 0
	v_lshl_add_u64 v[56:57], v[16:17], 1, v[12:13]
	global_load_dword v16, v[56:57], off offset:256
	global_load_dword v17, v[56:57], off offset:512
	;; [unrolled: 1-line block ×7, first 2 shown]
	s_waitcnt vmcnt(6)
	v_lshlrev_b32_e32 v52, 16, v16
	v_mul_f32_e32 v52, v60, v52
	global_load_dword v60, v[56:57], off
	v_and_b32_e32 v16, 0xffff0000, v16
	s_waitcnt vmcnt(0)
	v_lshlrev_b32_e32 v53, 16, v60
	v_fmac_f32_e32 v52, v55, v53
	v_mul_f32_e32 v53, v79, v16
	v_and_b32_e32 v16, 0xffff0000, v60
	v_fmac_f32_e32 v53, v78, v16
	v_lshlrev_b32_e32 v16, 16, v17
	v_fmac_f32_e32 v52, v70, v16
	v_and_b32_e32 v16, 0xffff0000, v17
	v_fmac_f32_e32 v53, v80, v16
	v_lshlrev_b32_e32 v16, 16, v58
	v_fmac_f32_e32 v52, v71, v16
	global_load_dword v55, v[56:57], off offset:2048
	v_and_b32_e32 v16, 0xffff0000, v58
	v_fmac_f32_e32 v53, v9, v16
	global_load_dword v9, v[56:57], off offset:2304
	global_load_dword v70, v[56:57], off offset:2560
	;; [unrolled: 1-line block ×4, first 2 shown]
	v_lshlrev_b32_e32 v16, 16, v59
	v_fmac_f32_e32 v52, v72, v16
	global_load_dword v72, v[56:57], off offset:3328
	global_load_dword v65, v[56:57], off offset:3584
	v_and_b32_e32 v16, 0xffff0000, v59
	v_fmac_f32_e32 v53, v81, v16
	v_lshlrev_b32_e32 v16, 16, v62
	v_fmac_f32_e32 v52, v73, v16
	v_and_b32_e32 v16, 0xffff0000, v62
	v_fmac_f32_e32 v53, v82, v16
	v_add_co_u32_e64 v16, s[0:1], s52, v56
	global_load_dword v68, v[56:57], off offset:3840
	s_nop 0
	v_addc_co_u32_e64 v17, s[0:1], 0, v57, s[0:1]
	global_load_dword v66, v[16:17], off
	global_load_dword v67, v[16:17], off offset:256
	v_lshlrev_b32_e32 v56, 16, v63
	v_fmac_f32_e32 v52, v74, v56
	v_and_b32_e32 v56, 0xffff0000, v63
	global_load_dword v63, v[16:17], off offset:512
	global_load_dword v64, v[16:17], off offset:768
	;; [unrolled: 1-line block ×4, first 2 shown]
	v_fmac_f32_e32 v53, v83, v56
	v_lshlrev_b32_e32 v56, 16, v69
	v_fmac_f32_e32 v52, v75, v56
	v_and_b32_e32 v56, 0xffff0000, v69
	global_load_dword v59, v[16:17], off offset:1536
	global_load_dword v58, v[16:17], off offset:1792
	v_fmac_f32_e32 v53, v84, v56
	global_load_dword v57, v[16:17], off offset:2048
	v_cmp_lt_i32_e64 s[0:1], v30, v29
	s_waitcnt vmcnt(16)
	v_lshlrev_b32_e32 v56, 16, v55
	v_and_b32_e32 v55, 0xffff0000, v55
	v_fmac_f32_e32 v52, v76, v56
	v_fmac_f32_e32 v53, v85, v55
	s_waitcnt vmcnt(15)
	v_lshlrev_b32_e32 v55, 16, v9
	v_and_b32_e32 v9, 0xffff0000, v9
	v_fmac_f32_e32 v52, v77, v55
	global_load_dword v56, v[16:17], off offset:2304
	global_load_dword v55, v[16:17], off offset:2560
	v_fmac_f32_e32 v53, v86, v9
	s_waitcnt vmcnt(16)
	v_lshlrev_b32_e32 v9, 16, v70
	v_and_b32_e32 v69, 0xffff0000, v70
	v_fmac_f32_e32 v52, v5, v9
	v_fmac_f32_e32 v53, v8, v69
	s_waitcnt vmcnt(15)
	v_lshlrev_b32_e32 v5, 16, v78
	v_and_b32_e32 v8, 0xffff0000, v78
	v_fmac_f32_e32 v52, v4, v5
	s_waitcnt vmcnt(14)
	v_lshlrev_b32_e32 v4, 16, v79
	v_and_b32_e32 v5, 0xffff0000, v79
	v_fmac_f32_e32 v53, v7, v8
	global_load_dword v71, v[16:17], off offset:2816
	global_load_dword v70, v[16:17], off offset:3072
	global_load_dword v69, v[16:17], off offset:3328
	s_waitcnt vmcnt(16)
	v_lshlrev_b32_e32 v9, 16, v72
	v_fmac_f32_e32 v52, v2, v4
	v_fmac_f32_e32 v53, v6, v5
	v_and_b32_e32 v72, 0xffff0000, v72
	v_fmac_f32_e32 v52, v3, v9
	ds_read_b128 v[2:5], v21 offset:96
	ds_read_b128 v[6:9], v21 offset:112
	v_fmac_f32_e32 v53, v61, v72
	global_load_dword v61, v[16:17], off offset:3584
	s_waitcnt vmcnt(16)
	v_lshlrev_b32_e32 v72, 16, v65
	global_load_dword v16, v[16:17], off offset:3840
	v_and_b32_e32 v17, 0xffff0000, v65
	v_fmac_f32_e32 v52, v54, v72
	s_waitcnt vmcnt(16)
	v_lshlrev_b32_e32 v65, 16, v68
	v_and_b32_e32 v68, 0xffff0000, v68
	v_fmac_f32_e32 v53, v51, v17
	s_waitcnt vmcnt(15)
	v_lshlrev_b32_e32 v17, 16, v66
	v_and_b32_e32 v51, 0xffff0000, v66
	v_fmac_f32_e32 v52, v49, v65
	v_fmac_f32_e32 v53, v50, v68
	s_waitcnt vmcnt(14)
	v_lshlrev_b32_e32 v66, 16, v67
	v_and_b32_e32 v67, 0xffff0000, v67
	v_fmac_f32_e32 v52, v40, v17
	;; [unrolled: 5-line block ×5, first 2 shown]
	v_fmac_f32_e32 v53, v45, v64
	v_fmac_f32_e32 v52, v36, v50
	;; [unrolled: 1-line block ×3, first 2 shown]
	s_waitcnt vmcnt(10)
	v_lshlrev_b32_e32 v17, 16, v60
	v_and_b32_e32 v36, 0xffff0000, v60
	v_fmac_f32_e32 v52, v35, v17
	v_fmac_f32_e32 v53, v43, v36
	s_waitcnt vmcnt(9)
	v_lshlrev_b32_e32 v17, 16, v59
	v_and_b32_e32 v35, 0xffff0000, v59
	v_fmac_f32_e32 v52, v34, v17
	v_fmac_f32_e32 v53, v42, v35
	s_waitcnt vmcnt(8)
	v_lshlrev_b32_e32 v17, 16, v58
	v_and_b32_e32 v34, 0xffff0000, v58
	s_waitcnt lgkmcnt(1)
	v_lshlrev_b32_e32 v54, 16, v2
	v_and_b32_e32 v2, 0xffff0000, v2
	v_fmac_f32_e32 v52, v33, v17
	v_fmac_f32_e32 v53, v41, v34
	s_waitcnt vmcnt(7)
	v_lshlrev_b32_e32 v17, 16, v57
	v_and_b32_e32 v33, 0xffff0000, v57
	v_fmac_f32_e32 v52, v54, v17
	v_fmac_f32_e32 v53, v2, v33
	v_lshlrev_b32_e32 v2, 16, v3
	v_and_b32_e32 v3, 0xffff0000, v3
	v_cndmask_b32_e64 v73, v28, v30, s[0:1]
	v_lshlrev_b32_e32 v73, 2, v73
	v_cmp_lt_i32_e64 s[0:1], v31, v29
	s_waitcnt vmcnt(6)
	v_lshlrev_b32_e32 v17, 16, v56
	v_and_b32_e32 v33, 0xffff0000, v56
	v_fmac_f32_e32 v52, v17, v2
	v_fmac_f32_e32 v53, v33, v3
	v_lshlrev_b32_e32 v2, 16, v4
	v_and_b32_e32 v3, 0xffff0000, v4
	s_waitcnt vmcnt(5)
	v_lshlrev_b32_e32 v4, 16, v55
	v_and_b32_e32 v17, 0xffff0000, v55
	v_fmac_f32_e32 v52, v4, v2
	v_fmac_f32_e32 v53, v17, v3
	v_lshlrev_b32_e32 v2, 16, v5
	v_and_b32_e32 v3, 0xffff0000, v5
	s_waitcnt vmcnt(4)
	v_lshlrev_b32_e32 v4, 16, v71
	v_and_b32_e32 v5, 0xffff0000, v71
	v_fmac_f32_e32 v52, v4, v2
	v_fmac_f32_e32 v53, v5, v3
	s_waitcnt lgkmcnt(0)
	v_lshlrev_b32_e32 v2, 16, v6
	v_and_b32_e32 v3, 0xffff0000, v6
	s_waitcnt vmcnt(3)
	v_lshlrev_b32_e32 v4, 16, v70
	v_and_b32_e32 v5, 0xffff0000, v70
	v_fmac_f32_e32 v52, v4, v2
	v_fmac_f32_e32 v53, v5, v3
	v_lshlrev_b32_e32 v2, 16, v7
	v_and_b32_e32 v3, 0xffff0000, v7
	s_waitcnt vmcnt(2)
	v_lshlrev_b32_e32 v4, 16, v69
	v_and_b32_e32 v5, 0xffff0000, v69
	v_fmac_f32_e32 v52, v4, v2
	v_fmac_f32_e32 v53, v5, v3
	;; [unrolled: 7-line block ×4, first 2 shown]
	v_add_f32_e32 v2, v52, v53
	ds_bpermute_b32 v3, v73, v2
	v_cndmask_b32_e64 v4, v28, v31, s[0:1]
	v_lshlrev_b32_e32 v4, 2, v4
	s_waitcnt lgkmcnt(0)
	v_add_f32_e32 v2, v2, v3
	ds_bpermute_b32 v3, v4, v2
	s_and_saveexec_b64 s[44:45], vcc
	s_cbranch_execz .LBB161_12
; %bb.18:                               ;   in Loop: Header=BB161_14 Depth=1
	v_add_u32_e32 v4, v26, v24
	v_cvt_f32_i32_e32 v4, v4
	s_waitcnt lgkmcnt(0)
	v_add_f32_e32 v2, v2, v3
	v_add_u32_e32 v5, v19, v24
	v_cmp_gt_i32_e64 s[0:1], s33, v5
	v_mul_f32_e32 v3, s3, v4
	v_cndmask_b32_e64 v3, 0, v3, s[6:7]
	v_fmac_f32_e32 v3, s39, v2
	v_cndmask_b32_e64 v2, 0, v3, s[0:1]
	ds_write_b32 v25, v2
	v_max_f32_e32 v2, v22, v22
	v_max_f32_e32 v2, v2, v3
	v_cndmask_b32_e64 v22, v22, v2, s[0:1]
	s_branch .LBB161_12
.LBB161_19:
	s_or_b64 exec, exec, s[42:43]
.LBB161_20:
	s_or_b64 exec, exec, s[40:41]
	v_mbcnt_hi_u32_b32 v2, -1, v18
	s_waitcnt lgkmcnt(0)
	v_and_b32_e32 v3, 64, v2
	v_add_u32_e32 v3, 64, v3
	v_xor_b32_e32 v4, 32, v2
	v_cmp_lt_i32_e32 vcc, v4, v3
	v_xor_b32_e32 v7, 16, v2
	v_max_f32_e32 v6, v22, v22
	v_cndmask_b32_e32 v4, v2, v4, vcc
	v_lshlrev_b32_e32 v5, 2, v4
	ds_bpermute_b32 v4, v5, v22
	v_cmp_lt_i32_e32 vcc, v7, v3
	v_xor_b32_e32 v8, 8, v2
	v_and_b32_e32 v32, 63, v0
	s_waitcnt lgkmcnt(0)
	v_max_f32_e32 v4, v4, v4
	v_max_f32_e32 v4, v6, v4
	v_cndmask_b32_e32 v6, v2, v7, vcc
	v_lshlrev_b32_e32 v6, 2, v6
	ds_bpermute_b32 v7, v6, v4
	v_cmp_lt_i32_e32 vcc, v8, v3
	s_waitcnt lgkmcnt(0)
	v_max_f32_e32 v7, v7, v7
	v_max_f32_e32 v4, v4, v7
	v_cndmask_b32_e32 v7, v2, v8, vcc
	v_lshlrev_b32_e32 v9, 2, v7
	ds_bpermute_b32 v7, v9, v4
	v_xor_b32_e32 v8, 4, v2
	v_cmp_lt_i32_e32 vcc, v8, v3
	s_waitcnt lgkmcnt(0)
	v_max_f32_e32 v7, v7, v7
	v_max_f32_e32 v4, v4, v7
	v_cndmask_b32_e32 v7, v2, v8, vcc
	v_lshlrev_b32_e32 v12, 2, v7
	ds_bpermute_b32 v8, v12, v4
	v_cmp_eq_u32_e32 vcc, 0, v32
	v_lshlrev_b32_e32 v7, 2, v20
	s_and_saveexec_b64 s[0:1], vcc
	s_cbranch_execz .LBB161_22
; %bb.21:
	s_waitcnt lgkmcnt(0)
	v_max_f32_e32 v8, v8, v8
	v_max_f32_e32 v4, v4, v4
	;; [unrolled: 1-line block ×3, first 2 shown]
	ds_write_b32 v7, v4 offset:512
.LBB161_22:
	s_or_b64 exec, exec, s[0:1]
	v_cmp_gt_u32_e64 s[0:1], 2, v32
	v_mov_b32_e32 v4, 0xff7fffff
	s_waitcnt lgkmcnt(0)
	v_lshlrev_b32_e32 v8, 2, v32
	s_barrier
	s_and_saveexec_b64 s[6:7], s[0:1]
	s_cbranch_execz .LBB161_24
; %bb.23:
	ds_read_b32 v4, v8 offset:512
.LBB161_24:
	s_or_b64 exec, exec, s[6:7]
	v_xor_b32_e32 v13, 1, v2
	v_cmp_lt_i32_e64 s[6:7], v13, v3
	s_sub_i32 s3, s48, s38
	s_lshl_b32 s3, s3, 4
	v_cndmask_b32_e64 v13, v2, v13, s[6:7]
	v_lshlrev_b32_e32 v33, 2, v13
	s_waitcnt lgkmcnt(0)
	ds_bpermute_b32 v13, v33, v4
	v_max_f32_e32 v4, v4, v4
	s_add_i32 s3, s3, s5
	s_min_i32 s15, s3, s33
	s_sub_i32 s3, s15, s5
	s_waitcnt lgkmcnt(0)
	v_max_f32_e32 v13, v13, v13
	v_max_f32_e32 v4, v4, v13
	v_lshlrev_b32_e32 v13, 2, v2
	v_and_b32_e32 v13, 0x100, v13
	ds_bpermute_b32 v4, v13, v4
	v_cmp_gt_i32_e64 s[6:7], s3, v0
	v_mov_b32_e32 v14, 0
	s_and_saveexec_b64 s[38:39], s[6:7]
	s_cbranch_execz .LBB161_28
; %bb.25:
	v_mov_b32_e32 v14, 0x210
	v_lshl_add_u32 v15, v0, 2, v14
	s_mov_b64 s[40:41], 0
	v_mov_b32_e32 v14, 0
	v_mov_b32_e32 v16, v0
.LBB161_26:                             ; =>This Inner Loop Header: Depth=1
	ds_read_b32 v17, v15
	v_add_u32_e32 v16, 0x80, v16
	v_cmp_le_i32_e64 s[10:11], s3, v16
	s_or_b64 s[40:41], s[10:11], s[40:41]
	s_waitcnt lgkmcnt(0)
	v_sub_f32_e32 v17, v17, v4
	v_mul_f32_e32 v17, 0x3fb8aa3b, v17
	v_exp_f32_e32 v17, v17
	ds_write_b32 v15, v17
	v_add_f32_e32 v14, v14, v17
	v_add_u32_e32 v15, 0x200, v15
	s_andn2_b64 exec, exec, s[40:41]
	s_cbranch_execnz .LBB161_26
; %bb.27:
	s_or_b64 exec, exec, s[40:41]
.LBB161_28:
	s_or_b64 exec, exec, s[38:39]
	ds_bpermute_b32 v5, v5, v14
	s_waitcnt lgkmcnt(0)
	v_add_f32_e32 v5, v14, v5
	ds_bpermute_b32 v6, v6, v5
	s_waitcnt lgkmcnt(0)
	v_add_f32_e32 v5, v5, v6
	ds_bpermute_b32 v6, v9, v5
	v_xor_b32_e32 v9, 2, v2
	v_cmp_lt_i32_e64 s[10:11], v9, v3
	s_waitcnt lgkmcnt(0)
	v_add_f32_e32 v5, v5, v6
	ds_bpermute_b32 v6, v12, v5
	v_cndmask_b32_e64 v2, v2, v9, s[10:11]
	v_lshlrev_b32_e32 v2, 2, v2
	s_waitcnt lgkmcnt(0)
	v_add_f32_e32 v3, v5, v6
	ds_bpermute_b32 v2, v2, v3
	s_waitcnt lgkmcnt(0)
	v_add_f32_e32 v2, v3, v2
	ds_bpermute_b32 v3, v33, v2
	s_waitcnt lgkmcnt(0)
	v_add_f32_e32 v2, v2, v3
	s_and_saveexec_b64 s[10:11], vcc
	s_cbranch_execz .LBB161_30
; %bb.29:
	ds_write_b32 v7, v2 offset:520
.LBB161_30:
	s_or_b64 exec, exec, s[10:11]
	s_waitcnt lgkmcnt(0)
	s_barrier
	s_and_saveexec_b64 s[10:11], s[0:1]
	s_cbranch_execz .LBB161_32
; %bb.31:
	ds_read_b32 v2, v8 offset:520
.LBB161_32:
	s_or_b64 exec, exec, s[10:11]
	s_waitcnt lgkmcnt(0)
	ds_bpermute_b32 v3, v33, v2
	s_waitcnt lgkmcnt(0)
	v_add_f32_e32 v2, v2, v3
	ds_bpermute_b32 v5, v13, v2
	s_and_saveexec_b64 s[0:1], s[6:7]
	s_cbranch_execz .LBB161_45
; %bb.33:
	s_waitcnt lgkmcnt(0)
	v_add_f32_e32 v2, 0x358637bd, v5
	v_div_scale_f32 v3, s[6:7], v2, v2, 1.0
	v_rcp_f32_e32 v6, v3
	v_div_scale_f32 v7, vcc, 1.0, v2, 1.0
	s_mov_b64 s[10:11], -1
	v_fma_f32 v8, -v3, v6, 1.0
	v_fmac_f32_e32 v6, v8, v6
	v_mul_f32_e32 v8, v7, v6
	v_fma_f32 v9, -v3, v8, v7
	v_fmac_f32_e32 v8, v9, v6
	v_fma_f32 v3, -v3, v8, v7
	v_div_fmas_f32 v3, v3, v6, v8
	v_div_fixup_f32 v2, v3, v2, 1.0
	v_xad_u32 v3, v0, -1, s15
	v_subrev_u32_e32 v6, s5, v3
	s_movk_i32 s5, 0x7f
	v_cmp_lt_u32_e32 vcc, s5, v6
	v_mov_b32_e32 v3, v0
	s_and_saveexec_b64 s[6:7], vcc
	s_cbranch_execz .LBB161_42
; %bb.34:
	v_lshrrev_b32_e32 v6, 7, v6
	v_add_u32_e32 v8, -1, v6
	v_lshrrev_b32_e32 v7, 1, v8
	v_mov_b32_e32 v3, v2
	v_add_u32_e32 v7, 1, v7
	v_cmp_lt_u32_e32 vcc, 13, v8
	v_mov_b32_e32 v12, 0
	s_and_saveexec_b64 s[10:11], vcc
	s_cbranch_execz .LBB161_38
; %bb.35:
	v_mov_b32_e32 v9, 0x210
	v_and_b32_e32 v8, -8, v7
	v_lshl_add_u32 v9, v0, 2, v9
	s_mov_b32 s5, 0
	s_mov_b64 s[38:39], 0
.LBB161_36:                             ; =>This Inner Loop Header: Depth=1
	ds_read2st64_b32 v[12:13], v9 offset1:2
	ds_read2st64_b32 v[14:15], v9 offset0:4 offset1:6
	ds_read2st64_b32 v[16:17], v9 offset0:8 offset1:10
	;; [unrolled: 1-line block ×3, first 2 shown]
	v_add_u32_e32 v8, -8, v8
	s_waitcnt lgkmcnt(3)
	v_pk_mul_f32 v[12:13], v[2:3], v[12:13]
	s_waitcnt lgkmcnt(2)
	v_pk_mul_f32 v[14:15], v[2:3], v[14:15]
	ds_write2st64_b32 v9, v12, v13 offset1:2
	ds_write2st64_b32 v9, v14, v15 offset0:4 offset1:6
	ds_read2st64_b32 v[14:15], v9 offset0:16 offset1:18
	s_waitcnt lgkmcnt(4)
	v_pk_mul_f32 v[12:13], v[2:3], v[16:17]
	ds_write2st64_b32 v9, v12, v13 offset0:8 offset1:10
	s_waitcnt lgkmcnt(4)
	v_pk_mul_f32 v[12:13], v[2:3], v[18:19]
	ds_write2st64_b32 v9, v12, v13 offset0:12 offset1:14
	ds_read2st64_b32 v[12:13], v9 offset0:20 offset1:22
	s_waitcnt lgkmcnt(3)
	v_pk_mul_f32 v[14:15], v[2:3], v[14:15]
	ds_read2st64_b32 v[16:17], v9 offset0:24 offset1:26
	ds_write2st64_b32 v9, v14, v15 offset0:16 offset1:18
	ds_read2st64_b32 v[14:15], v9 offset0:28 offset1:30
	s_waitcnt lgkmcnt(3)
	v_pk_mul_f32 v[12:13], v[2:3], v[12:13]
	ds_write2st64_b32 v9, v12, v13 offset0:20 offset1:22
	s_waitcnt lgkmcnt(3)
	v_pk_mul_f32 v[12:13], v[2:3], v[16:17]
	ds_write2st64_b32 v9, v12, v13 offset0:24 offset1:26
	s_waitcnt lgkmcnt(2)
	v_pk_mul_f32 v[12:13], v[2:3], v[14:15]
	s_add_i32 s5, s5, 16
	v_cmp_eq_u32_e32 vcc, 0, v8
	ds_write2st64_b32 v9, v12, v13 offset0:28 offset1:30
	v_add_u32_e32 v9, 0x2000, v9
	s_or_b64 s[38:39], vcc, s[38:39]
	v_mov_b32_e32 v12, s5
	s_andn2_b64 exec, exec, s[38:39]
	s_cbranch_execnz .LBB161_36
; %bb.37:
	s_or_b64 exec, exec, s[38:39]
.LBB161_38:
	s_or_b64 exec, exec, s[10:11]
	v_and_b32_e32 v7, 7, v7
	v_cmp_ne_u32_e32 vcc, 0, v7
	s_and_saveexec_b64 s[10:11], vcc
	s_cbranch_execz .LBB161_41
; %bb.39:
	v_lshlrev_b32_e32 v8, 9, v12
	v_lshlrev_b32_e32 v9, 2, v0
	s_movk_i32 s5, 0x210
	v_add3_u32 v8, v8, v9, s5
	s_mov_b64 s[38:39], 0
.LBB161_40:                             ; =>This Inner Loop Header: Depth=1
	ds_read2st64_b32 v[12:13], v8 offset1:2
	v_add_u32_e32 v7, -1, v7
	v_cmp_eq_u32_e32 vcc, 0, v7
	s_or_b64 s[38:39], vcc, s[38:39]
	s_waitcnt lgkmcnt(0)
	v_pk_mul_f32 v[12:13], v[2:3], v[12:13]
	ds_write2st64_b32 v8, v12, v13 offset1:2
	v_add_u32_e32 v8, 0x400, v8
	s_andn2_b64 exec, exec, s[38:39]
	s_cbranch_execnz .LBB161_40
.LBB161_41:
	s_or_b64 exec, exec, s[10:11]
	v_add_u32_e32 v6, 1, v6
	v_and_b32_e32 v7, 0x3fffffe, v6
	v_cmp_ne_u32_e32 vcc, v6, v7
	v_lshl_add_u32 v3, v7, 7, v0
	s_orn2_b64 s[10:11], vcc, exec
.LBB161_42:
	s_or_b64 exec, exec, s[6:7]
	s_and_b64 exec, exec, s[10:11]
	s_cbranch_execz .LBB161_45
; %bb.43:
	v_mov_b32_e32 v6, 0x210
	v_lshl_add_u32 v6, v3, 2, v6
	s_mov_b64 s[6:7], 0
.LBB161_44:                             ; =>This Inner Loop Header: Depth=1
	ds_read_b32 v7, v6
	v_add_u32_e32 v3, 0x80, v3
	v_cmp_le_i32_e32 vcc, s3, v3
	s_or_b64 s[6:7], vcc, s[6:7]
	s_waitcnt lgkmcnt(0)
	v_mul_f32_e32 v7, v2, v7
	ds_write_b32 v6, v7
	v_add_u32_e32 v6, 0x200, v6
	s_andn2_b64 exec, exec, s[6:7]
	s_cbranch_execnz .LBB161_44
.LBB161_45:
	s_or_b64 exec, exec, s[0:1]
	v_cmp_eq_u32_e32 vcc, 0, v0
	s_waitcnt lgkmcnt(0)
	s_barrier
	s_and_saveexec_b64 s[0:1], vcc
	s_cbranch_execz .LBB161_47
; %bb.46:
	s_mul_i32 s3, s16, s24
	s_mul_i32 s6, s3, s25
	s_ashr_i32 s7, s6, 31
	s_lshl_b64 s[6:7], s[6:7], 2
	s_add_u32 s5, s22, s6
	s_mul_i32 s2, s16, s2
	s_addc_u32 s10, s23, s7
	s_ashr_i32 s3, s2, 31
	s_lshl_b64 s[2:3], s[2:3], 2
	s_add_u32 s15, s5, s2
	s_addc_u32 s23, s10, s3
	s_ashr_i32 s5, s4, 31
	s_lshl_b64 s[10:11], s[4:5], 2
	s_add_u32 s22, s15, s10
	s_addc_u32 s23, s23, s11
	s_add_u32 s5, s20, s6
	s_addc_u32 s6, s21, s7
	s_add_u32 s2, s5, s2
	s_addc_u32 s3, s6, s3
	s_add_u32 s2, s2, s10
	v_mov_b32_e32 v2, 0
	s_addc_u32 s3, s3, s11
	global_store_dword v2, v4, s[22:23]
	global_store_dword v2, v5, s[2:3]
.LBB161_47:
	s_or_b64 exec, exec, s[0:1]
	v_mov_b32_e32 v13, 0
	v_and_b32_e32 v34, 1, v0
	v_mov_b32_e32 v12, 0
	v_mov_b32_e32 v15, 0
	;; [unrolled: 1-line block ×7, first 2 shown]
	s_and_saveexec_b64 s[2:3], s[8:9]
	s_cbranch_execz .LBB161_357
; %bb.48:
	s_ashr_i32 s15, s14, 31
	s_sub_i32 s5, s49, s17
	s_lshl_b64 s[0:1], s[14:15], 1
	s_add_u32 s6, s36, s0
	s_addc_u32 s7, s37, s1
	s_abs_i32 s14, s18
	v_cvt_f32_u32_e32 v3, s14
	s_sub_i32 s0, 0, s14
	v_lshlrev_b32_e32 v2, 3, v0
	s_add_i32 s17, s12, -1
	v_rcp_iflag_f32_e32 v3, v3
	v_and_b32_e32 v35, 8, v2
	v_and_b32_e32 v2, 0x1f8, v2
	v_mov_b32_e32 v21, 0
	v_mul_f32_e32 v3, 0x4f7ffffe, v3
	v_cvt_u32_f32_e32 v3, v3
	v_or_b32_e32 v4, 0x800, v2
	v_or_b32_e32 v6, 0xa00, v2
	;; [unrolled: 1-line block ×3, first 2 shown]
	v_mul_lo_u32 v5, s0, v3
	v_mul_hi_u32 v5, v3, v5
	s_lshl_b64 s[0:1], s[34:35], 2
	v_add_u32_e32 v36, v3, v5
	s_add_u32 s0, s30, s0
	v_lshlrev_b32_e32 v3, 5, v34
	v_or_b32_e32 v12, 0xe00, v2
	s_addc_u32 s1, s31, s1
	v_lshl_or_b32 v3, v20, 6, v3
	s_mov_b32 s15, s13
	v_lshl_add_u64 v[22:23], v[10:11], 2, s[0:1]
	v_add_u32_e32 v11, 0x210, v3
	s_mov_b64 s[8:9], 0
	s_mov_b32 s18, 0x7f800000
	s_movk_i32 s20, 0x7fff
	v_lshlrev_b32_e32 v20, 1, v2
	v_lshlrev_b32_e32 v24, 1, v4
	;; [unrolled: 1-line block ×5, first 2 shown]
	v_mov_b32_e32 v18, v21
	v_mov_b32_e32 v19, v21
	v_mov_b32_e32 v16, v21
	v_mov_b32_e32 v17, v21
	v_mov_b32_e32 v14, v21
	v_mov_b32_e32 v15, v21
	v_mov_b32_e32 v12, v21
	v_mov_b32_e32 v13, v21
	s_branch .LBB161_51
.LBB161_49:                             ;   in Loop: Header=BB161_51 Depth=1
	s_or_b64 exec, exec, s[0:1]
	v_and_b32_e32 v53, 0xffff0000, v99
	v_and_b32_e32 v52, 0xffff0000, v97
	;; [unrolled: 1-line block ×8, first 2 shown]
	v_pk_add_f32 v[52:53], v[56:57], v[52:53]
	v_pk_add_f32 v[48:49], v[50:51], v[48:49]
	v_add_f32_e32 v29, v52, v53
	v_add_f32_e32 v29, v29, v48
	v_and_b32_e32 v53, 0xffff0000, v92
	v_and_b32_e32 v52, 0xffff0000, v90
	v_and_b32_e32 v57, 0xffff0000, v91
	v_and_b32_e32 v56, 0xffff0000, v27
	v_add_f32_e32 v29, v29, v49
	v_and_b32_e32 v49, 0xffff0000, v96
	v_and_b32_e32 v48, 0xffff0000, v94
	v_and_b32_e32 v51, 0xffff0000, v95
	v_and_b32_e32 v50, 0xffff0000, v93
	v_pk_add_f32 v[52:53], v[56:57], v[52:53]
	v_pk_add_f32 v[48:49], v[50:51], v[48:49]
	v_add_f32_e32 v27, v52, v53
	v_add_f32_e32 v27, v27, v48
	v_and_b32_e32 v53, 0xffff0000, v85
	v_and_b32_e32 v52, 0xffff0000, v83
	v_and_b32_e32 v57, 0xffff0000, v84
	v_and_b32_e32 v56, 0xffff0000, v25
	v_add_f32_e32 v27, v27, v49
	v_and_b32_e32 v49, 0xffff0000, v89
	v_and_b32_e32 v48, 0xffff0000, v87
	v_and_b32_e32 v51, 0xffff0000, v88
	v_and_b32_e32 v50, 0xffff0000, v86
	;; [unrolled: 13-line block ×3, first 2 shown]
	v_pk_add_f32 v[8:9], v[8:9], v[52:53]
	v_pk_add_f32 v[48:49], v[50:51], v[48:49]
	v_add_f32_e32 v8, v8, v9
	v_add_f32_e32 v8, v8, v48
	;; [unrolled: 1-line block ×3, first 2 shown]
	v_and_b32_e32 v51, 0xffff0000, v72
	v_and_b32_e32 v50, 0xffff0000, v70
	;; [unrolled: 1-line block ×4, first 2 shown]
	v_add_f32_e32 v17, v17, v8
	v_and_b32_e32 v9, 0xffff0000, v76
	v_and_b32_e32 v8, 0xffff0000, v74
	;; [unrolled: 1-line block ×4, first 2 shown]
	v_pk_add_f32 v[50:51], v[52:53], v[50:51]
	v_add_f32_e32 v14, v14, v25
	v_pk_add_f32 v[8:9], v[48:49], v[8:9]
	v_add_f32_e32 v25, v50, v51
	v_add_f32_e32 v8, v25, v8
	;; [unrolled: 1-line block ×3, first 2 shown]
	v_and_b32_e32 v51, 0xffff0000, v64
	v_and_b32_e32 v50, 0xffff0000, v55
	;; [unrolled: 1-line block ×4, first 2 shown]
	v_add_f32_e32 v16, v16, v8
	v_and_b32_e32 v9, 0xffff0000, v68
	v_and_b32_e32 v8, 0xffff0000, v66
	;; [unrolled: 1-line block ×4, first 2 shown]
	v_pk_add_f32 v[46:47], v[46:47], v[50:51]
	v_pk_add_f32 v[8:9], v[48:49], v[8:9]
	v_add_f32_e32 v25, v46, v47
	v_add_f32_e32 v8, v25, v8
	;; [unrolled: 1-line block ×4, first 2 shown]
	v_and_b32_e32 v8, 0xffff0000, v42
	v_and_b32_e32 v42, 0xffff0000, v41
	;; [unrolled: 1-line block ×8, first 2 shown]
	v_pk_add_f32 v[38:39], v[38:39], v[40:41]
	v_pk_add_f32 v[8:9], v[42:43], v[8:9]
	v_add_f32_e32 v25, v38, v39
	v_add_f32_e32 v8, v25, v8
	;; [unrolled: 1-line block ×3, first 2 shown]
	v_and_b32_e32 v7, 0xffff0000, v7
	v_and_b32_e32 v6, 0xffff0000, v6
	;; [unrolled: 1-line block ×4, first 2 shown]
	v_add_f32_e32 v18, v18, v8
	v_and_b32_e32 v9, 0xffff0000, v31
	v_and_b32_e32 v8, 0xffff0000, v45
	;; [unrolled: 1-line block ×4, first 2 shown]
	v_pk_add_f32 v[2:3], v[2:3], v[6:7]
	v_pk_add_f32 v[4:5], v[4:5], v[8:9]
	v_add_f32_e32 v2, v2, v3
	v_add_f32_e32 v2, v2, v4
	;; [unrolled: 1-line block ×6, first 2 shown]
.LBB161_50:                             ;   in Loop: Header=BB161_51 Depth=1
	s_or_b64 exec, exec, s[10:11]
	v_add_u32_e32 v10, 2, v10
	v_cmp_le_i32_e32 vcc, s48, v10
	v_lshl_add_u64 v[22:23], v[22:23], 0, 8
	v_add_u32_e32 v1, 32, v1
	s_or_b64 s[8:9], vcc, s[8:9]
	v_add_u32_e32 v11, 0x80, v11
	s_andn2_b64 exec, exec, s[8:9]
	s_cbranch_execz .LBB161_356
.LBB161_51:                             ; =>This Inner Loop Header: Depth=1
	v_sub_u32_e32 v3, 0, v1
	v_max_i32_e32 v3, v1, v3
	v_mul_hi_u32 v4, v3, s46
	v_mul_lo_u32 v5, v4, s27
	v_sub_u32_e32 v3, v3, v5
	v_add_u32_e32 v5, 1, v4
	v_cmp_le_u32_e32 vcc, s27, v3
	v_ashrrev_i32_e32 v2, 31, v1
	v_xor_b32_e32 v2, s19, v2
	v_cndmask_b32_e32 v4, v4, v5, vcc
	v_subrev_u32_e32 v5, s27, v3
	v_cndmask_b32_e32 v3, v3, v5, vcc
	v_add_u32_e32 v5, 1, v4
	v_cmp_le_u32_e32 vcc, s27, v3
	s_nop 1
	v_cndmask_b32_e32 v3, v4, v5, vcc
	v_xor_b32_e32 v3, v3, v2
	v_sub_u32_e32 v2, v3, v2
	v_add_u32_e32 v3, s47, v2
	v_sub_u32_e32 v5, 0, v3
	v_ashrrev_i32_e32 v4, 31, v3
	v_max_i32_e32 v3, v3, v5
	v_mul_hi_u32 v5, v3, v36
	v_mul_lo_u32 v5, v5, s14
	v_sub_u32_e32 v3, v3, v5
	v_subrev_u32_e32 v5, s14, v3
	v_cmp_le_u32_e32 vcc, s14, v3
	v_cmp_lt_i32_e64 s[0:1], s5, v2
	s_nop 0
	v_cndmask_b32_e32 v3, v3, v5, vcc
	v_subrev_u32_e32 v5, s14, v3
	v_cmp_le_u32_e32 vcc, s14, v3
	s_nop 1
	v_cndmask_b32_e32 v3, v3, v5, vcc
	v_xor_b32_e32 v3, v3, v4
	v_sub_u32_e32 v3, v3, v4
	v_cmp_eq_u32_e32 vcc, 0, v3
	s_or_b64 s[0:1], vcc, s[0:1]
	s_and_saveexec_b64 s[10:11], s[0:1]
	s_cbranch_execz .LBB161_50
; %bb.52:                               ;   in Loop: Header=BB161_51 Depth=1
	global_load_dword v41, v[22:23], off
	ds_read2_b64 v[6:9], v11 offset1:1
	ds_read2_b64 v[2:5], v11 offset0:2 offset1:3
                                        ; implicit-def: $vgpr37
	s_waitcnt lgkmcnt(1)
	v_and_b32_e32 v25, 0x7f800000, v6
	v_cmp_ne_u32_e32 vcc, s18, v25
	s_and_saveexec_b64 s[0:1], vcc
	s_xor_b64 s[0:1], exec, s[0:1]
; %bb.53:                               ;   in Loop: Header=BB161_51 Depth=1
	v_bfe_u32 v25, v6, 16, 1
	v_add3_u32 v37, v6, v25, s20
; %bb.54:                               ;   in Loop: Header=BB161_51 Depth=1
	s_andn2_saveexec_b64 s[0:1], s[0:1]
; %bb.55:                               ;   in Loop: Header=BB161_51 Depth=1
	v_or_b32_e32 v25, 0x10000, v6
	v_cmp_eq_u32_sdwa vcc, v6, v21 src0_sel:WORD_0 src1_sel:DWORD
	s_nop 1
	v_cndmask_b32_e32 v37, v25, v6, vcc
; %bb.56:                               ;   in Loop: Header=BB161_51 Depth=1
	s_or_b64 exec, exec, s[0:1]
	v_and_b32_e32 v6, 0x7f800000, v7
	v_cmp_ne_u32_e32 vcc, s18, v6
                                        ; implicit-def: $vgpr38
	s_and_saveexec_b64 s[0:1], vcc
	s_xor_b64 s[0:1], exec, s[0:1]
; %bb.57:                               ;   in Loop: Header=BB161_51 Depth=1
	v_bfe_u32 v6, v7, 16, 1
	v_add3_u32 v38, v7, v6, s20
; %bb.58:                               ;   in Loop: Header=BB161_51 Depth=1
	s_andn2_saveexec_b64 s[0:1], s[0:1]
; %bb.59:                               ;   in Loop: Header=BB161_51 Depth=1
	v_or_b32_e32 v6, 0x10000, v7
	v_cmp_eq_u32_sdwa vcc, v7, v21 src0_sel:WORD_0 src1_sel:DWORD
	s_nop 1
	v_cndmask_b32_e32 v38, v6, v7, vcc
; %bb.60:                               ;   in Loop: Header=BB161_51 Depth=1
	s_or_b64 exec, exec, s[0:1]
	v_and_b32_e32 v6, 0x7f800000, v8
	v_cmp_ne_u32_e32 vcc, s18, v6
                                        ; implicit-def: $vgpr39
	s_and_saveexec_b64 s[0:1], vcc
	s_xor_b64 s[0:1], exec, s[0:1]
; %bb.61:                               ;   in Loop: Header=BB161_51 Depth=1
	v_bfe_u32 v6, v8, 16, 1
	v_add3_u32 v39, v8, v6, s20
; %bb.62:                               ;   in Loop: Header=BB161_51 Depth=1
	s_andn2_saveexec_b64 s[0:1], s[0:1]
; %bb.63:                               ;   in Loop: Header=BB161_51 Depth=1
	v_or_b32_e32 v6, 0x10000, v8
	v_cmp_eq_u32_sdwa vcc, v8, v21 src0_sel:WORD_0 src1_sel:DWORD
	s_nop 1
	v_cndmask_b32_e32 v39, v6, v8, vcc
; %bb.64:                               ;   in Loop: Header=BB161_51 Depth=1
	s_or_b64 exec, exec, s[0:1]
	v_and_b32_e32 v6, 0x7f800000, v9
	v_cmp_ne_u32_e32 vcc, s18, v6
                                        ; implicit-def: $vgpr40
	s_and_saveexec_b64 s[0:1], vcc
	s_xor_b64 s[0:1], exec, s[0:1]
; %bb.65:                               ;   in Loop: Header=BB161_51 Depth=1
	v_bfe_u32 v6, v9, 16, 1
	v_add3_u32 v40, v9, v6, s20
                                        ; implicit-def: $vgpr6_vgpr7_vgpr8_vgpr9
; %bb.66:                               ;   in Loop: Header=BB161_51 Depth=1
	s_andn2_saveexec_b64 s[0:1], s[0:1]
; %bb.67:                               ;   in Loop: Header=BB161_51 Depth=1
	v_or_b32_e32 v6, 0x10000, v9
	v_cmp_eq_u32_sdwa vcc, v9, v21 src0_sel:WORD_0 src1_sel:DWORD
	s_nop 1
	v_cndmask_b32_e32 v40, v6, v9, vcc
; %bb.68:                               ;   in Loop: Header=BB161_51 Depth=1
	s_or_b64 exec, exec, s[0:1]
	s_waitcnt lgkmcnt(0)
	v_and_b32_e32 v6, 0x7f800000, v2
	v_cmp_ne_u32_e32 vcc, s18, v6
                                        ; implicit-def: $vgpr31
	s_and_saveexec_b64 s[0:1], vcc
	s_xor_b64 s[0:1], exec, s[0:1]
; %bb.69:                               ;   in Loop: Header=BB161_51 Depth=1
	v_bfe_u32 v6, v2, 16, 1
	v_add3_u32 v31, v2, v6, s20
; %bb.70:                               ;   in Loop: Header=BB161_51 Depth=1
	s_andn2_saveexec_b64 s[0:1], s[0:1]
; %bb.71:                               ;   in Loop: Header=BB161_51 Depth=1
	v_or_b32_e32 v6, 0x10000, v2
	v_cmp_eq_u32_sdwa vcc, v2, v21 src0_sel:WORD_0 src1_sel:DWORD
	s_nop 1
	v_cndmask_b32_e32 v31, v6, v2, vcc
; %bb.72:                               ;   in Loop: Header=BB161_51 Depth=1
	s_or_b64 exec, exec, s[0:1]
	v_and_b32_e32 v2, 0x7f800000, v3
	v_cmp_ne_u32_e32 vcc, s18, v2
                                        ; implicit-def: $vgpr29
	s_and_saveexec_b64 s[0:1], vcc
	s_xor_b64 s[0:1], exec, s[0:1]
; %bb.73:                               ;   in Loop: Header=BB161_51 Depth=1
	v_bfe_u32 v2, v3, 16, 1
	v_add3_u32 v29, v3, v2, s20
; %bb.74:                               ;   in Loop: Header=BB161_51 Depth=1
	s_andn2_saveexec_b64 s[0:1], s[0:1]
; %bb.75:                               ;   in Loop: Header=BB161_51 Depth=1
	v_or_b32_e32 v2, 0x10000, v3
	v_cmp_eq_u32_sdwa vcc, v3, v21 src0_sel:WORD_0 src1_sel:DWORD
	s_nop 1
	v_cndmask_b32_e32 v29, v2, v3, vcc
; %bb.76:                               ;   in Loop: Header=BB161_51 Depth=1
	s_or_b64 exec, exec, s[0:1]
	v_and_b32_e32 v2, 0x7f800000, v4
	v_cmp_ne_u32_e32 vcc, s18, v2
                                        ; implicit-def: $vgpr27
	s_and_saveexec_b64 s[0:1], vcc
	s_xor_b64 s[0:1], exec, s[0:1]
; %bb.77:                               ;   in Loop: Header=BB161_51 Depth=1
	v_bfe_u32 v2, v4, 16, 1
	v_add3_u32 v27, v4, v2, s20
; %bb.78:                               ;   in Loop: Header=BB161_51 Depth=1
	s_andn2_saveexec_b64 s[0:1], s[0:1]
; %bb.79:                               ;   in Loop: Header=BB161_51 Depth=1
	v_or_b32_e32 v2, 0x10000, v4
	v_cmp_eq_u32_sdwa vcc, v4, v21 src0_sel:WORD_0 src1_sel:DWORD
	s_nop 1
	v_cndmask_b32_e32 v27, v2, v4, vcc
; %bb.80:                               ;   in Loop: Header=BB161_51 Depth=1
	s_or_b64 exec, exec, s[0:1]
	v_and_b32_e32 v2, 0x7f800000, v5
	v_cmp_ne_u32_e32 vcc, s18, v2
                                        ; implicit-def: $vgpr25
	s_and_saveexec_b64 s[0:1], vcc
	s_xor_b64 s[0:1], exec, s[0:1]
; %bb.81:                               ;   in Loop: Header=BB161_51 Depth=1
	v_bfe_u32 v2, v5, 16, 1
	v_add3_u32 v25, v5, v2, s20
                                        ; implicit-def: $vgpr2_vgpr3_vgpr4_vgpr5
; %bb.82:                               ;   in Loop: Header=BB161_51 Depth=1
	s_andn2_saveexec_b64 s[0:1], s[0:1]
; %bb.83:                               ;   in Loop: Header=BB161_51 Depth=1
	v_or_b32_e32 v2, 0x10000, v5
	v_cmp_eq_u32_sdwa vcc, v5, v21 src0_sel:WORD_0 src1_sel:DWORD
	s_nop 1
	v_cndmask_b32_e32 v25, v2, v5, vcc
; %bb.84:                               ;   in Loop: Header=BB161_51 Depth=1
	s_or_b64 exec, exec, s[0:1]
	s_waitcnt vmcnt(0)
	v_mad_i64_i32 v[2:3], s[0:1], v41, s15, 0
	v_lshl_add_u64 v[6:7], v[2:3], 1, s[6:7]
	v_lshl_add_u64 v[8:9], v[6:7], 0, v[20:21]
	global_load_dwordx4 v[2:5], v[8:9], off
	v_add_u32_e32 v45, v35, v1
	v_cmp_eq_u32_e32 vcc, s17, v10
	v_add_u32_e32 v53, 1, v45
	v_add_u32_e32 v52, 2, v45
	;; [unrolled: 1-line block ×7, first 2 shown]
	s_waitcnt vmcnt(0)
	v_lshrrev_b32_e32 v43, 16, v2
	v_lshrrev_b32_e32 v41, 16, v3
	;; [unrolled: 1-line block ×4, first 2 shown]
	s_and_saveexec_b64 s[12:13], vcc
	s_cbranch_execz .LBB161_86
; %bb.85:                               ;   in Loop: Header=BB161_51 Depth=1
	v_cmp_gt_i32_e64 s[0:1], s33, v45
	s_nop 1
	v_cndmask_b32_e64 v2, 0, v2, s[0:1]
	v_cmp_gt_i32_e64 s[0:1], s33, v53
	s_nop 1
	v_cndmask_b32_e64 v43, 0, v43, s[0:1]
	;; [unrolled: 3-line block ×8, first 2 shown]
.LBB161_86:                             ;   in Loop: Header=BB161_51 Depth=1
	s_or_b64 exec, exec, s[12:13]
	v_and_b32_e32 v54, 0xffff0000, v37
	v_lshlrev_b32_e32 v2, 16, v2
	v_mul_f32_e32 v2, v54, v2
	v_and_b32_e32 v37, 0x7f800000, v2
	v_cmp_ne_u32_e64 s[0:1], s18, v37
                                        ; implicit-def: $vgpr37
	s_and_saveexec_b64 s[12:13], s[0:1]
	s_xor_b64 s[0:1], exec, s[12:13]
; %bb.87:                               ;   in Loop: Header=BB161_51 Depth=1
	v_bfe_u32 v37, v2, 16, 1
	v_add3_u32 v37, v2, v37, s20
                                        ; implicit-def: $vgpr2
; %bb.88:                               ;   in Loop: Header=BB161_51 Depth=1
	s_andn2_saveexec_b64 s[12:13], s[0:1]
; %bb.89:                               ;   in Loop: Header=BB161_51 Depth=1
	v_or_b32_e32 v37, 0x10000, v2
	v_cmp_eq_u32_sdwa s[0:1], v2, v21 src0_sel:WORD_0 src1_sel:DWORD
	s_nop 1
	v_cndmask_b32_e64 v37, v37, v2, s[0:1]
; %bb.90:                               ;   in Loop: Header=BB161_51 Depth=1
	s_or_b64 exec, exec, s[12:13]
	v_and_b32_e32 v56, 0xffff0000, v38
	v_lshlrev_b32_e32 v2, 16, v43
	v_mul_f32_e32 v2, v56, v2
	v_and_b32_e32 v38, 0x7f800000, v2
	v_cmp_ne_u32_e64 s[0:1], s18, v38
                                        ; implicit-def: $vgpr38
	s_and_saveexec_b64 s[12:13], s[0:1]
	s_xor_b64 s[0:1], exec, s[12:13]
; %bb.91:                               ;   in Loop: Header=BB161_51 Depth=1
	v_bfe_u32 v38, v2, 16, 1
	v_add3_u32 v38, v2, v38, s20
                                        ; implicit-def: $vgpr2
; %bb.92:                               ;   in Loop: Header=BB161_51 Depth=1
	s_andn2_saveexec_b64 s[12:13], s[0:1]
; %bb.93:                               ;   in Loop: Header=BB161_51 Depth=1
	v_or_b32_e32 v38, 0x10000, v2
	v_cmp_eq_u32_sdwa s[0:1], v2, v21 src0_sel:WORD_0 src1_sel:DWORD
	s_nop 1
	v_cndmask_b32_e64 v38, v38, v2, s[0:1]
; %bb.94:                               ;   in Loop: Header=BB161_51 Depth=1
	s_or_b64 exec, exec, s[12:13]
	v_and_b32_e32 v57, 0xffff0000, v39
	v_lshlrev_b32_e32 v2, 16, v3
	v_mul_f32_e32 v2, v57, v2
	v_and_b32_e32 v3, 0x7f800000, v2
	v_cmp_ne_u32_e64 s[0:1], s18, v3
                                        ; implicit-def: $vgpr39
	s_and_saveexec_b64 s[12:13], s[0:1]
	s_xor_b64 s[0:1], exec, s[12:13]
; %bb.95:                               ;   in Loop: Header=BB161_51 Depth=1
	v_bfe_u32 v3, v2, 16, 1
	v_add3_u32 v39, v2, v3, s20
                                        ; implicit-def: $vgpr2
; %bb.96:                               ;   in Loop: Header=BB161_51 Depth=1
	s_andn2_saveexec_b64 s[12:13], s[0:1]
; %bb.97:                               ;   in Loop: Header=BB161_51 Depth=1
	v_or_b32_e32 v3, 0x10000, v2
	v_cmp_eq_u32_sdwa s[0:1], v2, v21 src0_sel:WORD_0 src1_sel:DWORD
	s_nop 1
	v_cndmask_b32_e64 v39, v3, v2, s[0:1]
; %bb.98:                               ;   in Loop: Header=BB161_51 Depth=1
	s_or_b64 exec, exec, s[12:13]
	v_and_b32_e32 v58, 0xffff0000, v40
	v_lshlrev_b32_e32 v2, 16, v41
	v_mul_f32_e32 v2, v58, v2
	v_and_b32_e32 v3, 0x7f800000, v2
	v_cmp_ne_u32_e64 s[0:1], s18, v3
                                        ; implicit-def: $vgpr40
	s_and_saveexec_b64 s[12:13], s[0:1]
	s_xor_b64 s[0:1], exec, s[12:13]
; %bb.99:                               ;   in Loop: Header=BB161_51 Depth=1
	v_bfe_u32 v3, v2, 16, 1
	v_add3_u32 v40, v2, v3, s20
                                        ; implicit-def: $vgpr2
; %bb.100:                              ;   in Loop: Header=BB161_51 Depth=1
	s_andn2_saveexec_b64 s[12:13], s[0:1]
; %bb.101:                              ;   in Loop: Header=BB161_51 Depth=1
	v_or_b32_e32 v3, 0x10000, v2
	v_cmp_eq_u32_sdwa s[0:1], v2, v21 src0_sel:WORD_0 src1_sel:DWORD
	s_nop 1
	v_cndmask_b32_e64 v40, v3, v2, s[0:1]
; %bb.102:                              ;   in Loop: Header=BB161_51 Depth=1
	s_or_b64 exec, exec, s[12:13]
	v_and_b32_e32 v59, 0xffff0000, v31
	v_lshlrev_b32_e32 v2, 16, v4
	v_mul_f32_e32 v2, v59, v2
	v_and_b32_e32 v3, 0x7f800000, v2
	v_cmp_ne_u32_e64 s[0:1], s18, v3
                                        ; implicit-def: $vgpr41
	s_and_saveexec_b64 s[12:13], s[0:1]
	s_xor_b64 s[0:1], exec, s[12:13]
; %bb.103:                              ;   in Loop: Header=BB161_51 Depth=1
	v_bfe_u32 v3, v2, 16, 1
	v_add3_u32 v41, v2, v3, s20
                                        ; implicit-def: $vgpr2
; %bb.104:                              ;   in Loop: Header=BB161_51 Depth=1
	s_andn2_saveexec_b64 s[12:13], s[0:1]
; %bb.105:                              ;   in Loop: Header=BB161_51 Depth=1
	v_or_b32_e32 v3, 0x10000, v2
	v_cmp_eq_u32_sdwa s[0:1], v2, v21 src0_sel:WORD_0 src1_sel:DWORD
	s_nop 1
	v_cndmask_b32_e64 v41, v3, v2, s[0:1]
; %bb.106:                              ;   in Loop: Header=BB161_51 Depth=1
	s_or_b64 exec, exec, s[12:13]
	v_and_b32_e32 v60, 0xffff0000, v29
	v_lshlrev_b32_e32 v2, 16, v42
	v_mul_f32_e32 v2, v60, v2
	v_and_b32_e32 v3, 0x7f800000, v2
	v_cmp_ne_u32_e64 s[0:1], s18, v3
                                        ; implicit-def: $vgpr42
	s_and_saveexec_b64 s[12:13], s[0:1]
	s_xor_b64 s[0:1], exec, s[12:13]
; %bb.107:                              ;   in Loop: Header=BB161_51 Depth=1
	v_bfe_u32 v3, v2, 16, 1
	v_add3_u32 v42, v2, v3, s20
                                        ; implicit-def: $vgpr2
; %bb.108:                              ;   in Loop: Header=BB161_51 Depth=1
	s_andn2_saveexec_b64 s[12:13], s[0:1]
; %bb.109:                              ;   in Loop: Header=BB161_51 Depth=1
	v_or_b32_e32 v3, 0x10000, v2
	v_cmp_eq_u32_sdwa s[0:1], v2, v21 src0_sel:WORD_0 src1_sel:DWORD
	s_nop 1
	v_cndmask_b32_e64 v42, v3, v2, s[0:1]
; %bb.110:                              ;   in Loop: Header=BB161_51 Depth=1
	s_or_b64 exec, exec, s[12:13]
	v_and_b32_e32 v61, 0xffff0000, v27
	v_lshlrev_b32_e32 v2, 16, v5
	v_mul_f32_e32 v2, v61, v2
	v_and_b32_e32 v3, 0x7f800000, v2
	v_cmp_ne_u32_e64 s[0:1], s18, v3
                                        ; implicit-def: $vgpr43
	s_and_saveexec_b64 s[12:13], s[0:1]
	s_xor_b64 s[0:1], exec, s[12:13]
; %bb.111:                              ;   in Loop: Header=BB161_51 Depth=1
	v_bfe_u32 v3, v2, 16, 1
	v_add3_u32 v43, v2, v3, s20
                                        ; implicit-def: $vgpr2
; %bb.112:                              ;   in Loop: Header=BB161_51 Depth=1
	s_andn2_saveexec_b64 s[12:13], s[0:1]
; %bb.113:                              ;   in Loop: Header=BB161_51 Depth=1
	v_or_b32_e32 v3, 0x10000, v2
	v_cmp_eq_u32_sdwa s[0:1], v2, v21 src0_sel:WORD_0 src1_sel:DWORD
	s_nop 1
	v_cndmask_b32_e64 v43, v3, v2, s[0:1]
; %bb.114:                              ;   in Loop: Header=BB161_51 Depth=1
	s_or_b64 exec, exec, s[12:13]
	v_and_b32_e32 v62, 0xffff0000, v25
	v_lshlrev_b32_e32 v2, 16, v44
	v_mul_f32_e32 v2, v62, v2
	v_and_b32_e32 v3, 0x7f800000, v2
	v_cmp_ne_u32_e64 s[0:1], s18, v3
                                        ; implicit-def: $vgpr44
	s_and_saveexec_b64 s[12:13], s[0:1]
	s_xor_b64 s[0:1], exec, s[12:13]
; %bb.115:                              ;   in Loop: Header=BB161_51 Depth=1
	v_bfe_u32 v3, v2, 16, 1
	v_add3_u32 v44, v2, v3, s20
                                        ; implicit-def: $vgpr2
; %bb.116:                              ;   in Loop: Header=BB161_51 Depth=1
	s_andn2_saveexec_b64 s[12:13], s[0:1]
; %bb.117:                              ;   in Loop: Header=BB161_51 Depth=1
	v_or_b32_e32 v3, 0x10000, v2
	v_cmp_eq_u32_sdwa s[0:1], v2, v21 src0_sel:WORD_0 src1_sel:DWORD
	s_nop 1
	v_cndmask_b32_e64 v44, v3, v2, s[0:1]
; %bb.118:                              ;   in Loop: Header=BB161_51 Depth=1
	s_or_b64 exec, exec, s[12:13]
	global_load_dwordx4 v[2:5], v[8:9], off offset:1024
	s_waitcnt vmcnt(0)
	v_lshrrev_b32_e32 v31, 16, v2
	v_lshrrev_b32_e32 v29, 16, v3
	;; [unrolled: 1-line block ×4, first 2 shown]
	s_and_saveexec_b64 s[12:13], vcc
	s_cbranch_execz .LBB161_120
; %bb.119:                              ;   in Loop: Header=BB161_51 Depth=1
	v_cmp_gt_i32_e64 s[0:1], s33, v45
	s_nop 1
	v_cndmask_b32_e64 v2, 0, v2, s[0:1]
	v_cmp_gt_i32_e64 s[0:1], s33, v53
	s_nop 1
	v_cndmask_b32_e64 v31, 0, v31, s[0:1]
	v_cmp_gt_i32_e64 s[0:1], s33, v52
	s_nop 1
	v_cndmask_b32_e64 v3, 0, v3, s[0:1]
	v_cmp_gt_i32_e64 s[0:1], s33, v50
	s_nop 1
	v_cndmask_b32_e64 v29, 0, v29, s[0:1]
	v_cmp_gt_i32_e64 s[0:1], s33, v49
	s_nop 1
	v_cndmask_b32_e64 v4, 0, v4, s[0:1]
	v_cmp_gt_i32_e64 s[0:1], s33, v48
	s_nop 1
	v_cndmask_b32_e64 v27, 0, v27, s[0:1]
	v_cmp_gt_i32_e64 s[0:1], s33, v47
	s_nop 1
	v_cndmask_b32_e64 v5, 0, v5, s[0:1]
	v_cmp_gt_i32_e64 s[0:1], s33, v51
	s_nop 1
	v_cndmask_b32_e64 v25, 0, v25, s[0:1]
.LBB161_120:                            ;   in Loop: Header=BB161_51 Depth=1
	s_or_b64 exec, exec, s[12:13]
	v_lshlrev_b32_e32 v2, 16, v2
	v_mul_f32_e32 v2, v54, v2
	v_and_b32_e32 v46, 0x7f800000, v2
	v_cmp_ne_u32_e64 s[0:1], s18, v46
                                        ; implicit-def: $vgpr46
	s_and_saveexec_b64 s[12:13], s[0:1]
	s_xor_b64 s[0:1], exec, s[12:13]
; %bb.121:                              ;   in Loop: Header=BB161_51 Depth=1
	v_bfe_u32 v46, v2, 16, 1
	v_add3_u32 v46, v2, v46, s20
                                        ; implicit-def: $vgpr2
; %bb.122:                              ;   in Loop: Header=BB161_51 Depth=1
	s_andn2_saveexec_b64 s[12:13], s[0:1]
; %bb.123:                              ;   in Loop: Header=BB161_51 Depth=1
	v_or_b32_e32 v46, 0x10000, v2
	v_cmp_eq_u32_sdwa s[0:1], v2, v21 src0_sel:WORD_0 src1_sel:DWORD
	s_nop 1
	v_cndmask_b32_e64 v46, v46, v2, s[0:1]
; %bb.124:                              ;   in Loop: Header=BB161_51 Depth=1
	s_or_b64 exec, exec, s[12:13]
	v_lshlrev_b32_e32 v2, 16, v31
	v_mul_f32_e32 v2, v56, v2
	v_and_b32_e32 v31, 0x7f800000, v2
	v_cmp_ne_u32_e64 s[0:1], s18, v31
                                        ; implicit-def: $vgpr55
	s_and_saveexec_b64 s[12:13], s[0:1]
	s_xor_b64 s[0:1], exec, s[12:13]
; %bb.125:                              ;   in Loop: Header=BB161_51 Depth=1
	v_bfe_u32 v31, v2, 16, 1
	v_add3_u32 v55, v2, v31, s20
                                        ; implicit-def: $vgpr2
; %bb.126:                              ;   in Loop: Header=BB161_51 Depth=1
	s_andn2_saveexec_b64 s[12:13], s[0:1]
; %bb.127:                              ;   in Loop: Header=BB161_51 Depth=1
	v_or_b32_e32 v31, 0x10000, v2
	v_cmp_eq_u32_sdwa s[0:1], v2, v21 src0_sel:WORD_0 src1_sel:DWORD
	s_nop 1
	v_cndmask_b32_e64 v55, v31, v2, s[0:1]
; %bb.128:                              ;   in Loop: Header=BB161_51 Depth=1
	s_or_b64 exec, exec, s[12:13]
	v_lshlrev_b32_e32 v2, 16, v3
	v_mul_f32_e32 v2, v57, v2
	v_and_b32_e32 v3, 0x7f800000, v2
	v_cmp_ne_u32_e64 s[0:1], s18, v3
                                        ; implicit-def: $vgpr63
	s_and_saveexec_b64 s[12:13], s[0:1]
	s_xor_b64 s[0:1], exec, s[12:13]
; %bb.129:                              ;   in Loop: Header=BB161_51 Depth=1
	v_bfe_u32 v3, v2, 16, 1
	v_add3_u32 v63, v2, v3, s20
                                        ; implicit-def: $vgpr2
; %bb.130:                              ;   in Loop: Header=BB161_51 Depth=1
	s_andn2_saveexec_b64 s[12:13], s[0:1]
; %bb.131:                              ;   in Loop: Header=BB161_51 Depth=1
	v_or_b32_e32 v3, 0x10000, v2
	v_cmp_eq_u32_sdwa s[0:1], v2, v21 src0_sel:WORD_0 src1_sel:DWORD
	s_nop 1
	v_cndmask_b32_e64 v63, v3, v2, s[0:1]
; %bb.132:                              ;   in Loop: Header=BB161_51 Depth=1
	s_or_b64 exec, exec, s[12:13]
	v_lshlrev_b32_e32 v2, 16, v29
	v_mul_f32_e32 v2, v58, v2
	v_and_b32_e32 v3, 0x7f800000, v2
	v_cmp_ne_u32_e64 s[0:1], s18, v3
                                        ; implicit-def: $vgpr64
	s_and_saveexec_b64 s[12:13], s[0:1]
	s_xor_b64 s[0:1], exec, s[12:13]
; %bb.133:                              ;   in Loop: Header=BB161_51 Depth=1
	v_bfe_u32 v3, v2, 16, 1
	v_add3_u32 v64, v2, v3, s20
                                        ; implicit-def: $vgpr2
; %bb.134:                              ;   in Loop: Header=BB161_51 Depth=1
	s_andn2_saveexec_b64 s[12:13], s[0:1]
; %bb.135:                              ;   in Loop: Header=BB161_51 Depth=1
	v_or_b32_e32 v3, 0x10000, v2
	v_cmp_eq_u32_sdwa s[0:1], v2, v21 src0_sel:WORD_0 src1_sel:DWORD
	s_nop 1
	v_cndmask_b32_e64 v64, v3, v2, s[0:1]
; %bb.136:                              ;   in Loop: Header=BB161_51 Depth=1
	s_or_b64 exec, exec, s[12:13]
	v_lshlrev_b32_e32 v2, 16, v4
	v_mul_f32_e32 v2, v59, v2
	v_and_b32_e32 v3, 0x7f800000, v2
	v_cmp_ne_u32_e64 s[0:1], s18, v3
                                        ; implicit-def: $vgpr65
	s_and_saveexec_b64 s[12:13], s[0:1]
	s_xor_b64 s[0:1], exec, s[12:13]
; %bb.137:                              ;   in Loop: Header=BB161_51 Depth=1
	v_bfe_u32 v3, v2, 16, 1
	v_add3_u32 v65, v2, v3, s20
                                        ; implicit-def: $vgpr2
; %bb.138:                              ;   in Loop: Header=BB161_51 Depth=1
	s_andn2_saveexec_b64 s[12:13], s[0:1]
; %bb.139:                              ;   in Loop: Header=BB161_51 Depth=1
	v_or_b32_e32 v3, 0x10000, v2
	v_cmp_eq_u32_sdwa s[0:1], v2, v21 src0_sel:WORD_0 src1_sel:DWORD
	s_nop 1
	v_cndmask_b32_e64 v65, v3, v2, s[0:1]
; %bb.140:                              ;   in Loop: Header=BB161_51 Depth=1
	s_or_b64 exec, exec, s[12:13]
	v_lshlrev_b32_e32 v2, 16, v27
	v_mul_f32_e32 v2, v60, v2
	v_and_b32_e32 v3, 0x7f800000, v2
	v_cmp_ne_u32_e64 s[0:1], s18, v3
                                        ; implicit-def: $vgpr66
	s_and_saveexec_b64 s[12:13], s[0:1]
	s_xor_b64 s[0:1], exec, s[12:13]
; %bb.141:                              ;   in Loop: Header=BB161_51 Depth=1
	v_bfe_u32 v3, v2, 16, 1
	v_add3_u32 v66, v2, v3, s20
                                        ; implicit-def: $vgpr2
; %bb.142:                              ;   in Loop: Header=BB161_51 Depth=1
	s_andn2_saveexec_b64 s[12:13], s[0:1]
; %bb.143:                              ;   in Loop: Header=BB161_51 Depth=1
	v_or_b32_e32 v3, 0x10000, v2
	v_cmp_eq_u32_sdwa s[0:1], v2, v21 src0_sel:WORD_0 src1_sel:DWORD
	s_nop 1
	v_cndmask_b32_e64 v66, v3, v2, s[0:1]
; %bb.144:                              ;   in Loop: Header=BB161_51 Depth=1
	s_or_b64 exec, exec, s[12:13]
	v_lshlrev_b32_e32 v2, 16, v5
	v_mul_f32_e32 v2, v61, v2
	v_and_b32_e32 v3, 0x7f800000, v2
	v_cmp_ne_u32_e64 s[0:1], s18, v3
                                        ; implicit-def: $vgpr67
	s_and_saveexec_b64 s[12:13], s[0:1]
	s_xor_b64 s[0:1], exec, s[12:13]
; %bb.145:                              ;   in Loop: Header=BB161_51 Depth=1
	v_bfe_u32 v3, v2, 16, 1
	v_add3_u32 v67, v2, v3, s20
                                        ; implicit-def: $vgpr2
; %bb.146:                              ;   in Loop: Header=BB161_51 Depth=1
	s_andn2_saveexec_b64 s[12:13], s[0:1]
; %bb.147:                              ;   in Loop: Header=BB161_51 Depth=1
	v_or_b32_e32 v3, 0x10000, v2
	v_cmp_eq_u32_sdwa s[0:1], v2, v21 src0_sel:WORD_0 src1_sel:DWORD
	s_nop 1
	v_cndmask_b32_e64 v67, v3, v2, s[0:1]
; %bb.148:                              ;   in Loop: Header=BB161_51 Depth=1
	s_or_b64 exec, exec, s[12:13]
	v_lshlrev_b32_e32 v2, 16, v25
	v_mul_f32_e32 v2, v62, v2
	v_and_b32_e32 v3, 0x7f800000, v2
	v_cmp_ne_u32_e64 s[0:1], s18, v3
                                        ; implicit-def: $vgpr68
	s_and_saveexec_b64 s[12:13], s[0:1]
	s_xor_b64 s[0:1], exec, s[12:13]
; %bb.149:                              ;   in Loop: Header=BB161_51 Depth=1
	v_bfe_u32 v3, v2, 16, 1
	v_add3_u32 v68, v2, v3, s20
                                        ; implicit-def: $vgpr2
; %bb.150:                              ;   in Loop: Header=BB161_51 Depth=1
	s_andn2_saveexec_b64 s[12:13], s[0:1]
; %bb.151:                              ;   in Loop: Header=BB161_51 Depth=1
	v_or_b32_e32 v3, 0x10000, v2
	v_cmp_eq_u32_sdwa s[0:1], v2, v21 src0_sel:WORD_0 src1_sel:DWORD
	s_nop 1
	v_cndmask_b32_e64 v68, v3, v2, s[0:1]
; %bb.152:                              ;   in Loop: Header=BB161_51 Depth=1
	s_or_b64 exec, exec, s[12:13]
	global_load_dwordx4 v[2:5], v[8:9], off offset:2048
	s_waitcnt vmcnt(0)
	v_lshrrev_b32_e32 v31, 16, v2
	v_lshrrev_b32_e32 v29, 16, v3
	;; [unrolled: 1-line block ×4, first 2 shown]
	s_and_saveexec_b64 s[12:13], vcc
	s_cbranch_execz .LBB161_154
; %bb.153:                              ;   in Loop: Header=BB161_51 Depth=1
	v_cmp_gt_i32_e64 s[0:1], s33, v45
	s_nop 1
	v_cndmask_b32_e64 v2, 0, v2, s[0:1]
	v_cmp_gt_i32_e64 s[0:1], s33, v53
	s_nop 1
	v_cndmask_b32_e64 v31, 0, v31, s[0:1]
	;; [unrolled: 3-line block ×8, first 2 shown]
.LBB161_154:                            ;   in Loop: Header=BB161_51 Depth=1
	s_or_b64 exec, exec, s[12:13]
	v_lshlrev_b32_e32 v2, 16, v2
	v_mul_f32_e32 v2, v54, v2
	v_and_b32_e32 v69, 0x7f800000, v2
	v_cmp_ne_u32_e64 s[0:1], s18, v69
                                        ; implicit-def: $vgpr69
	s_and_saveexec_b64 s[12:13], s[0:1]
	s_xor_b64 s[0:1], exec, s[12:13]
; %bb.155:                              ;   in Loop: Header=BB161_51 Depth=1
	v_bfe_u32 v69, v2, 16, 1
	v_add3_u32 v69, v2, v69, s20
                                        ; implicit-def: $vgpr2
; %bb.156:                              ;   in Loop: Header=BB161_51 Depth=1
	s_andn2_saveexec_b64 s[12:13], s[0:1]
; %bb.157:                              ;   in Loop: Header=BB161_51 Depth=1
	v_or_b32_e32 v69, 0x10000, v2
	v_cmp_eq_u32_sdwa s[0:1], v2, v21 src0_sel:WORD_0 src1_sel:DWORD
	s_nop 1
	v_cndmask_b32_e64 v69, v69, v2, s[0:1]
; %bb.158:                              ;   in Loop: Header=BB161_51 Depth=1
	s_or_b64 exec, exec, s[12:13]
	v_lshlrev_b32_e32 v2, 16, v31
	v_mul_f32_e32 v2, v56, v2
	v_and_b32_e32 v31, 0x7f800000, v2
	v_cmp_ne_u32_e64 s[0:1], s18, v31
                                        ; implicit-def: $vgpr70
	s_and_saveexec_b64 s[12:13], s[0:1]
	s_xor_b64 s[0:1], exec, s[12:13]
; %bb.159:                              ;   in Loop: Header=BB161_51 Depth=1
	v_bfe_u32 v31, v2, 16, 1
	v_add3_u32 v70, v2, v31, s20
                                        ; implicit-def: $vgpr2
; %bb.160:                              ;   in Loop: Header=BB161_51 Depth=1
	s_andn2_saveexec_b64 s[12:13], s[0:1]
; %bb.161:                              ;   in Loop: Header=BB161_51 Depth=1
	v_or_b32_e32 v31, 0x10000, v2
	v_cmp_eq_u32_sdwa s[0:1], v2, v21 src0_sel:WORD_0 src1_sel:DWORD
	s_nop 1
	v_cndmask_b32_e64 v70, v31, v2, s[0:1]
; %bb.162:                              ;   in Loop: Header=BB161_51 Depth=1
	s_or_b64 exec, exec, s[12:13]
	v_lshlrev_b32_e32 v2, 16, v3
	v_mul_f32_e32 v2, v57, v2
	v_and_b32_e32 v3, 0x7f800000, v2
	v_cmp_ne_u32_e64 s[0:1], s18, v3
                                        ; implicit-def: $vgpr71
	s_and_saveexec_b64 s[12:13], s[0:1]
	s_xor_b64 s[0:1], exec, s[12:13]
; %bb.163:                              ;   in Loop: Header=BB161_51 Depth=1
	v_bfe_u32 v3, v2, 16, 1
	v_add3_u32 v71, v2, v3, s20
                                        ; implicit-def: $vgpr2
; %bb.164:                              ;   in Loop: Header=BB161_51 Depth=1
	s_andn2_saveexec_b64 s[12:13], s[0:1]
; %bb.165:                              ;   in Loop: Header=BB161_51 Depth=1
	v_or_b32_e32 v3, 0x10000, v2
	v_cmp_eq_u32_sdwa s[0:1], v2, v21 src0_sel:WORD_0 src1_sel:DWORD
	s_nop 1
	v_cndmask_b32_e64 v71, v3, v2, s[0:1]
; %bb.166:                              ;   in Loop: Header=BB161_51 Depth=1
	s_or_b64 exec, exec, s[12:13]
	v_lshlrev_b32_e32 v2, 16, v29
	v_mul_f32_e32 v2, v58, v2
	v_and_b32_e32 v3, 0x7f800000, v2
	v_cmp_ne_u32_e64 s[0:1], s18, v3
                                        ; implicit-def: $vgpr72
	s_and_saveexec_b64 s[12:13], s[0:1]
	s_xor_b64 s[0:1], exec, s[12:13]
; %bb.167:                              ;   in Loop: Header=BB161_51 Depth=1
	v_bfe_u32 v3, v2, 16, 1
	v_add3_u32 v72, v2, v3, s20
                                        ; implicit-def: $vgpr2
; %bb.168:                              ;   in Loop: Header=BB161_51 Depth=1
	s_andn2_saveexec_b64 s[12:13], s[0:1]
; %bb.169:                              ;   in Loop: Header=BB161_51 Depth=1
	v_or_b32_e32 v3, 0x10000, v2
	v_cmp_eq_u32_sdwa s[0:1], v2, v21 src0_sel:WORD_0 src1_sel:DWORD
	s_nop 1
	v_cndmask_b32_e64 v72, v3, v2, s[0:1]
; %bb.170:                              ;   in Loop: Header=BB161_51 Depth=1
	s_or_b64 exec, exec, s[12:13]
	v_lshlrev_b32_e32 v2, 16, v4
	v_mul_f32_e32 v2, v59, v2
	v_and_b32_e32 v3, 0x7f800000, v2
	v_cmp_ne_u32_e64 s[0:1], s18, v3
                                        ; implicit-def: $vgpr73
	s_and_saveexec_b64 s[12:13], s[0:1]
	s_xor_b64 s[0:1], exec, s[12:13]
; %bb.171:                              ;   in Loop: Header=BB161_51 Depth=1
	v_bfe_u32 v3, v2, 16, 1
	v_add3_u32 v73, v2, v3, s20
                                        ; implicit-def: $vgpr2
; %bb.172:                              ;   in Loop: Header=BB161_51 Depth=1
	s_andn2_saveexec_b64 s[12:13], s[0:1]
; %bb.173:                              ;   in Loop: Header=BB161_51 Depth=1
	v_or_b32_e32 v3, 0x10000, v2
	v_cmp_eq_u32_sdwa s[0:1], v2, v21 src0_sel:WORD_0 src1_sel:DWORD
	s_nop 1
	v_cndmask_b32_e64 v73, v3, v2, s[0:1]
; %bb.174:                              ;   in Loop: Header=BB161_51 Depth=1
	s_or_b64 exec, exec, s[12:13]
	v_lshlrev_b32_e32 v2, 16, v27
	v_mul_f32_e32 v2, v60, v2
	v_and_b32_e32 v3, 0x7f800000, v2
	v_cmp_ne_u32_e64 s[0:1], s18, v3
                                        ; implicit-def: $vgpr74
	s_and_saveexec_b64 s[12:13], s[0:1]
	s_xor_b64 s[0:1], exec, s[12:13]
; %bb.175:                              ;   in Loop: Header=BB161_51 Depth=1
	v_bfe_u32 v3, v2, 16, 1
	v_add3_u32 v74, v2, v3, s20
                                        ; implicit-def: $vgpr2
; %bb.176:                              ;   in Loop: Header=BB161_51 Depth=1
	s_andn2_saveexec_b64 s[12:13], s[0:1]
; %bb.177:                              ;   in Loop: Header=BB161_51 Depth=1
	v_or_b32_e32 v3, 0x10000, v2
	v_cmp_eq_u32_sdwa s[0:1], v2, v21 src0_sel:WORD_0 src1_sel:DWORD
	s_nop 1
	v_cndmask_b32_e64 v74, v3, v2, s[0:1]
; %bb.178:                              ;   in Loop: Header=BB161_51 Depth=1
	s_or_b64 exec, exec, s[12:13]
	v_lshlrev_b32_e32 v2, 16, v5
	v_mul_f32_e32 v2, v61, v2
	v_and_b32_e32 v3, 0x7f800000, v2
	v_cmp_ne_u32_e64 s[0:1], s18, v3
                                        ; implicit-def: $vgpr75
	s_and_saveexec_b64 s[12:13], s[0:1]
	s_xor_b64 s[0:1], exec, s[12:13]
; %bb.179:                              ;   in Loop: Header=BB161_51 Depth=1
	v_bfe_u32 v3, v2, 16, 1
	v_add3_u32 v75, v2, v3, s20
                                        ; implicit-def: $vgpr2
; %bb.180:                              ;   in Loop: Header=BB161_51 Depth=1
	s_andn2_saveexec_b64 s[12:13], s[0:1]
; %bb.181:                              ;   in Loop: Header=BB161_51 Depth=1
	v_or_b32_e32 v3, 0x10000, v2
	v_cmp_eq_u32_sdwa s[0:1], v2, v21 src0_sel:WORD_0 src1_sel:DWORD
	s_nop 1
	v_cndmask_b32_e64 v75, v3, v2, s[0:1]
; %bb.182:                              ;   in Loop: Header=BB161_51 Depth=1
	s_or_b64 exec, exec, s[12:13]
	v_lshlrev_b32_e32 v2, 16, v25
	v_mul_f32_e32 v2, v62, v2
	v_and_b32_e32 v3, 0x7f800000, v2
	v_cmp_ne_u32_e64 s[0:1], s18, v3
                                        ; implicit-def: $vgpr76
	s_and_saveexec_b64 s[12:13], s[0:1]
	s_xor_b64 s[0:1], exec, s[12:13]
; %bb.183:                              ;   in Loop: Header=BB161_51 Depth=1
	v_bfe_u32 v3, v2, 16, 1
	v_add3_u32 v76, v2, v3, s20
                                        ; implicit-def: $vgpr2
; %bb.184:                              ;   in Loop: Header=BB161_51 Depth=1
	s_andn2_saveexec_b64 s[12:13], s[0:1]
; %bb.185:                              ;   in Loop: Header=BB161_51 Depth=1
	v_or_b32_e32 v3, 0x10000, v2
	v_cmp_eq_u32_sdwa s[0:1], v2, v21 src0_sel:WORD_0 src1_sel:DWORD
	s_nop 1
	v_cndmask_b32_e64 v76, v3, v2, s[0:1]
; %bb.186:                              ;   in Loop: Header=BB161_51 Depth=1
	s_or_b64 exec, exec, s[12:13]
	global_load_dwordx4 v[2:5], v[8:9], off offset:3072
	s_waitcnt vmcnt(0)
	v_lshrrev_b32_e32 v9, 16, v2
	v_lshrrev_b32_e32 v29, 16, v3
	;; [unrolled: 1-line block ×4, first 2 shown]
	s_and_saveexec_b64 s[12:13], vcc
	s_cbranch_execz .LBB161_188
; %bb.187:                              ;   in Loop: Header=BB161_51 Depth=1
	v_cmp_gt_i32_e64 s[0:1], s33, v45
	s_nop 1
	v_cndmask_b32_e64 v2, 0, v2, s[0:1]
	v_cmp_gt_i32_e64 s[0:1], s33, v53
	s_nop 1
	v_cndmask_b32_e64 v9, 0, v9, s[0:1]
	;; [unrolled: 3-line block ×8, first 2 shown]
.LBB161_188:                            ;   in Loop: Header=BB161_51 Depth=1
	s_or_b64 exec, exec, s[12:13]
	v_lshlrev_b32_e32 v2, 16, v2
	v_mul_f32_e32 v2, v54, v2
	v_and_b32_e32 v8, 0x7f800000, v2
	v_cmp_ne_u32_e64 s[0:1], s18, v8
                                        ; implicit-def: $vgpr8
	s_and_saveexec_b64 s[12:13], s[0:1]
	s_xor_b64 s[0:1], exec, s[12:13]
; %bb.189:                              ;   in Loop: Header=BB161_51 Depth=1
	v_bfe_u32 v8, v2, 16, 1
	v_add3_u32 v8, v2, v8, s20
                                        ; implicit-def: $vgpr2
; %bb.190:                              ;   in Loop: Header=BB161_51 Depth=1
	s_andn2_saveexec_b64 s[12:13], s[0:1]
; %bb.191:                              ;   in Loop: Header=BB161_51 Depth=1
	v_or_b32_e32 v8, 0x10000, v2
	v_cmp_eq_u32_sdwa s[0:1], v2, v21 src0_sel:WORD_0 src1_sel:DWORD
	s_nop 1
	v_cndmask_b32_e64 v8, v8, v2, s[0:1]
; %bb.192:                              ;   in Loop: Header=BB161_51 Depth=1
	s_or_b64 exec, exec, s[12:13]
	v_lshlrev_b32_e32 v2, 16, v9
	v_mul_f32_e32 v2, v56, v2
	v_and_b32_e32 v9, 0x7f800000, v2
	v_cmp_ne_u32_e64 s[0:1], s18, v9
                                        ; implicit-def: $vgpr9
	s_and_saveexec_b64 s[12:13], s[0:1]
	s_xor_b64 s[0:1], exec, s[12:13]
; %bb.193:                              ;   in Loop: Header=BB161_51 Depth=1
	v_bfe_u32 v9, v2, 16, 1
	v_add3_u32 v9, v2, v9, s20
                                        ; implicit-def: $vgpr2
; %bb.194:                              ;   in Loop: Header=BB161_51 Depth=1
	s_andn2_saveexec_b64 s[12:13], s[0:1]
; %bb.195:                              ;   in Loop: Header=BB161_51 Depth=1
	v_or_b32_e32 v9, 0x10000, v2
	v_cmp_eq_u32_sdwa s[0:1], v2, v21 src0_sel:WORD_0 src1_sel:DWORD
	s_nop 1
	v_cndmask_b32_e64 v9, v9, v2, s[0:1]
; %bb.196:                              ;   in Loop: Header=BB161_51 Depth=1
	s_or_b64 exec, exec, s[12:13]
	v_lshlrev_b32_e32 v2, 16, v3
	v_mul_f32_e32 v2, v57, v2
	v_and_b32_e32 v3, 0x7f800000, v2
	v_cmp_ne_u32_e64 s[0:1], s18, v3
                                        ; implicit-def: $vgpr77
	s_and_saveexec_b64 s[12:13], s[0:1]
	s_xor_b64 s[0:1], exec, s[12:13]
; %bb.197:                              ;   in Loop: Header=BB161_51 Depth=1
	v_bfe_u32 v3, v2, 16, 1
	v_add3_u32 v77, v2, v3, s20
                                        ; implicit-def: $vgpr2
; %bb.198:                              ;   in Loop: Header=BB161_51 Depth=1
	s_andn2_saveexec_b64 s[12:13], s[0:1]
; %bb.199:                              ;   in Loop: Header=BB161_51 Depth=1
	v_or_b32_e32 v3, 0x10000, v2
	v_cmp_eq_u32_sdwa s[0:1], v2, v21 src0_sel:WORD_0 src1_sel:DWORD
	s_nop 1
	v_cndmask_b32_e64 v77, v3, v2, s[0:1]
; %bb.200:                              ;   in Loop: Header=BB161_51 Depth=1
	s_or_b64 exec, exec, s[12:13]
	v_lshlrev_b32_e32 v2, 16, v29
	v_mul_f32_e32 v2, v58, v2
	v_and_b32_e32 v3, 0x7f800000, v2
	v_cmp_ne_u32_e64 s[0:1], s18, v3
                                        ; implicit-def: $vgpr78
	s_and_saveexec_b64 s[12:13], s[0:1]
	s_xor_b64 s[0:1], exec, s[12:13]
; %bb.201:                              ;   in Loop: Header=BB161_51 Depth=1
	v_bfe_u32 v3, v2, 16, 1
	v_add3_u32 v78, v2, v3, s20
                                        ; implicit-def: $vgpr2
; %bb.202:                              ;   in Loop: Header=BB161_51 Depth=1
	s_andn2_saveexec_b64 s[12:13], s[0:1]
; %bb.203:                              ;   in Loop: Header=BB161_51 Depth=1
	v_or_b32_e32 v3, 0x10000, v2
	v_cmp_eq_u32_sdwa s[0:1], v2, v21 src0_sel:WORD_0 src1_sel:DWORD
	s_nop 1
	v_cndmask_b32_e64 v78, v3, v2, s[0:1]
; %bb.204:                              ;   in Loop: Header=BB161_51 Depth=1
	s_or_b64 exec, exec, s[12:13]
	v_lshlrev_b32_e32 v2, 16, v4
	v_mul_f32_e32 v2, v59, v2
	v_and_b32_e32 v3, 0x7f800000, v2
	v_cmp_ne_u32_e64 s[0:1], s18, v3
                                        ; implicit-def: $vgpr79
	s_and_saveexec_b64 s[12:13], s[0:1]
	s_xor_b64 s[0:1], exec, s[12:13]
; %bb.205:                              ;   in Loop: Header=BB161_51 Depth=1
	v_bfe_u32 v3, v2, 16, 1
	v_add3_u32 v79, v2, v3, s20
                                        ; implicit-def: $vgpr2
; %bb.206:                              ;   in Loop: Header=BB161_51 Depth=1
	s_andn2_saveexec_b64 s[12:13], s[0:1]
; %bb.207:                              ;   in Loop: Header=BB161_51 Depth=1
	v_or_b32_e32 v3, 0x10000, v2
	v_cmp_eq_u32_sdwa s[0:1], v2, v21 src0_sel:WORD_0 src1_sel:DWORD
	s_nop 1
	v_cndmask_b32_e64 v79, v3, v2, s[0:1]
; %bb.208:                              ;   in Loop: Header=BB161_51 Depth=1
	s_or_b64 exec, exec, s[12:13]
	v_lshlrev_b32_e32 v2, 16, v27
	v_mul_f32_e32 v2, v60, v2
	v_and_b32_e32 v3, 0x7f800000, v2
	v_cmp_ne_u32_e64 s[0:1], s18, v3
                                        ; implicit-def: $vgpr80
	s_and_saveexec_b64 s[12:13], s[0:1]
	s_xor_b64 s[0:1], exec, s[12:13]
; %bb.209:                              ;   in Loop: Header=BB161_51 Depth=1
	v_bfe_u32 v3, v2, 16, 1
	v_add3_u32 v80, v2, v3, s20
                                        ; implicit-def: $vgpr2
; %bb.210:                              ;   in Loop: Header=BB161_51 Depth=1
	s_andn2_saveexec_b64 s[12:13], s[0:1]
; %bb.211:                              ;   in Loop: Header=BB161_51 Depth=1
	v_or_b32_e32 v3, 0x10000, v2
	v_cmp_eq_u32_sdwa s[0:1], v2, v21 src0_sel:WORD_0 src1_sel:DWORD
	s_nop 1
	v_cndmask_b32_e64 v80, v3, v2, s[0:1]
; %bb.212:                              ;   in Loop: Header=BB161_51 Depth=1
	s_or_b64 exec, exec, s[12:13]
	v_lshlrev_b32_e32 v2, 16, v5
	v_mul_f32_e32 v2, v61, v2
	v_and_b32_e32 v3, 0x7f800000, v2
	v_cmp_ne_u32_e64 s[0:1], s18, v3
                                        ; implicit-def: $vgpr81
	s_and_saveexec_b64 s[12:13], s[0:1]
	s_xor_b64 s[0:1], exec, s[12:13]
; %bb.213:                              ;   in Loop: Header=BB161_51 Depth=1
	v_bfe_u32 v3, v2, 16, 1
	v_add3_u32 v81, v2, v3, s20
                                        ; implicit-def: $vgpr2
; %bb.214:                              ;   in Loop: Header=BB161_51 Depth=1
	s_andn2_saveexec_b64 s[12:13], s[0:1]
; %bb.215:                              ;   in Loop: Header=BB161_51 Depth=1
	v_or_b32_e32 v3, 0x10000, v2
	v_cmp_eq_u32_sdwa s[0:1], v2, v21 src0_sel:WORD_0 src1_sel:DWORD
	s_nop 1
	v_cndmask_b32_e64 v81, v3, v2, s[0:1]
; %bb.216:                              ;   in Loop: Header=BB161_51 Depth=1
	s_or_b64 exec, exec, s[12:13]
	v_lshlrev_b32_e32 v2, 16, v25
	v_mul_f32_e32 v2, v62, v2
	v_and_b32_e32 v3, 0x7f800000, v2
	v_cmp_ne_u32_e64 s[0:1], s18, v3
                                        ; implicit-def: $vgpr82
	s_and_saveexec_b64 s[12:13], s[0:1]
	s_xor_b64 s[0:1], exec, s[12:13]
; %bb.217:                              ;   in Loop: Header=BB161_51 Depth=1
	v_bfe_u32 v3, v2, 16, 1
	v_add3_u32 v82, v2, v3, s20
                                        ; implicit-def: $vgpr2
; %bb.218:                              ;   in Loop: Header=BB161_51 Depth=1
	s_andn2_saveexec_b64 s[12:13], s[0:1]
; %bb.219:                              ;   in Loop: Header=BB161_51 Depth=1
	v_or_b32_e32 v3, 0x10000, v2
	v_cmp_eq_u32_sdwa s[0:1], v2, v21 src0_sel:WORD_0 src1_sel:DWORD
	s_nop 1
	v_cndmask_b32_e64 v82, v3, v2, s[0:1]
; %bb.220:                              ;   in Loop: Header=BB161_51 Depth=1
	s_or_b64 exec, exec, s[12:13]
	v_mov_b32_e32 v25, v21
	v_lshl_add_u64 v[2:3], v[6:7], 0, v[24:25]
	global_load_dwordx4 v[2:5], v[2:3], off
	s_waitcnt vmcnt(0)
	v_lshrrev_b32_e32 v83, 16, v2
	v_lshrrev_b32_e32 v31, 16, v3
	;; [unrolled: 1-line block ×4, first 2 shown]
	s_and_saveexec_b64 s[12:13], vcc
	s_cbranch_execz .LBB161_222
; %bb.221:                              ;   in Loop: Header=BB161_51 Depth=1
	v_cmp_gt_i32_e64 s[0:1], s33, v45
	s_nop 1
	v_cndmask_b32_e64 v2, 0, v2, s[0:1]
	v_cmp_gt_i32_e64 s[0:1], s33, v53
	s_nop 1
	v_cndmask_b32_e64 v83, 0, v83, s[0:1]
	;; [unrolled: 3-line block ×8, first 2 shown]
.LBB161_222:                            ;   in Loop: Header=BB161_51 Depth=1
	s_or_b64 exec, exec, s[12:13]
	v_lshlrev_b32_e32 v2, 16, v2
	v_mul_f32_e32 v2, v54, v2
	v_and_b32_e32 v25, 0x7f800000, v2
	v_cmp_ne_u32_e64 s[0:1], s18, v25
                                        ; implicit-def: $vgpr25
	s_and_saveexec_b64 s[12:13], s[0:1]
	s_xor_b64 s[0:1], exec, s[12:13]
; %bb.223:                              ;   in Loop: Header=BB161_51 Depth=1
	v_bfe_u32 v25, v2, 16, 1
	v_add3_u32 v25, v2, v25, s20
                                        ; implicit-def: $vgpr2
; %bb.224:                              ;   in Loop: Header=BB161_51 Depth=1
	s_andn2_saveexec_b64 s[12:13], s[0:1]
; %bb.225:                              ;   in Loop: Header=BB161_51 Depth=1
	v_or_b32_e32 v25, 0x10000, v2
	v_cmp_eq_u32_sdwa s[0:1], v2, v21 src0_sel:WORD_0 src1_sel:DWORD
	s_nop 1
	v_cndmask_b32_e64 v25, v25, v2, s[0:1]
; %bb.226:                              ;   in Loop: Header=BB161_51 Depth=1
	s_or_b64 exec, exec, s[12:13]
	v_lshlrev_b32_e32 v2, 16, v83
	v_mul_f32_e32 v2, v56, v2
	v_and_b32_e32 v83, 0x7f800000, v2
	v_cmp_ne_u32_e64 s[0:1], s18, v83
                                        ; implicit-def: $vgpr83
	s_and_saveexec_b64 s[12:13], s[0:1]
	s_xor_b64 s[0:1], exec, s[12:13]
; %bb.227:                              ;   in Loop: Header=BB161_51 Depth=1
	v_bfe_u32 v83, v2, 16, 1
	v_add3_u32 v83, v2, v83, s20
                                        ; implicit-def: $vgpr2
; %bb.228:                              ;   in Loop: Header=BB161_51 Depth=1
	s_andn2_saveexec_b64 s[12:13], s[0:1]
; %bb.229:                              ;   in Loop: Header=BB161_51 Depth=1
	v_or_b32_e32 v83, 0x10000, v2
	v_cmp_eq_u32_sdwa s[0:1], v2, v21 src0_sel:WORD_0 src1_sel:DWORD
	s_nop 1
	v_cndmask_b32_e64 v83, v83, v2, s[0:1]
; %bb.230:                              ;   in Loop: Header=BB161_51 Depth=1
	s_or_b64 exec, exec, s[12:13]
	v_lshlrev_b32_e32 v2, 16, v3
	v_mul_f32_e32 v2, v57, v2
	v_and_b32_e32 v3, 0x7f800000, v2
	v_cmp_ne_u32_e64 s[0:1], s18, v3
                                        ; implicit-def: $vgpr84
	s_and_saveexec_b64 s[12:13], s[0:1]
	s_xor_b64 s[0:1], exec, s[12:13]
; %bb.231:                              ;   in Loop: Header=BB161_51 Depth=1
	v_bfe_u32 v3, v2, 16, 1
	v_add3_u32 v84, v2, v3, s20
                                        ; implicit-def: $vgpr2
; %bb.232:                              ;   in Loop: Header=BB161_51 Depth=1
	s_andn2_saveexec_b64 s[12:13], s[0:1]
; %bb.233:                              ;   in Loop: Header=BB161_51 Depth=1
	v_or_b32_e32 v3, 0x10000, v2
	v_cmp_eq_u32_sdwa s[0:1], v2, v21 src0_sel:WORD_0 src1_sel:DWORD
	s_nop 1
	v_cndmask_b32_e64 v84, v3, v2, s[0:1]
; %bb.234:                              ;   in Loop: Header=BB161_51 Depth=1
	s_or_b64 exec, exec, s[12:13]
	v_lshlrev_b32_e32 v2, 16, v31
	v_mul_f32_e32 v2, v58, v2
	v_and_b32_e32 v3, 0x7f800000, v2
	v_cmp_ne_u32_e64 s[0:1], s18, v3
                                        ; implicit-def: $vgpr85
	s_and_saveexec_b64 s[12:13], s[0:1]
	s_xor_b64 s[0:1], exec, s[12:13]
; %bb.235:                              ;   in Loop: Header=BB161_51 Depth=1
	v_bfe_u32 v3, v2, 16, 1
	v_add3_u32 v85, v2, v3, s20
                                        ; implicit-def: $vgpr2
; %bb.236:                              ;   in Loop: Header=BB161_51 Depth=1
	s_andn2_saveexec_b64 s[12:13], s[0:1]
; %bb.237:                              ;   in Loop: Header=BB161_51 Depth=1
	v_or_b32_e32 v3, 0x10000, v2
	v_cmp_eq_u32_sdwa s[0:1], v2, v21 src0_sel:WORD_0 src1_sel:DWORD
	s_nop 1
	v_cndmask_b32_e64 v85, v3, v2, s[0:1]
; %bb.238:                              ;   in Loop: Header=BB161_51 Depth=1
	s_or_b64 exec, exec, s[12:13]
	v_lshlrev_b32_e32 v2, 16, v4
	v_mul_f32_e32 v2, v59, v2
	v_and_b32_e32 v3, 0x7f800000, v2
	v_cmp_ne_u32_e64 s[0:1], s18, v3
                                        ; implicit-def: $vgpr86
	s_and_saveexec_b64 s[12:13], s[0:1]
	s_xor_b64 s[0:1], exec, s[12:13]
; %bb.239:                              ;   in Loop: Header=BB161_51 Depth=1
	v_bfe_u32 v3, v2, 16, 1
	v_add3_u32 v86, v2, v3, s20
                                        ; implicit-def: $vgpr2
; %bb.240:                              ;   in Loop: Header=BB161_51 Depth=1
	s_andn2_saveexec_b64 s[12:13], s[0:1]
; %bb.241:                              ;   in Loop: Header=BB161_51 Depth=1
	v_or_b32_e32 v3, 0x10000, v2
	v_cmp_eq_u32_sdwa s[0:1], v2, v21 src0_sel:WORD_0 src1_sel:DWORD
	s_nop 1
	v_cndmask_b32_e64 v86, v3, v2, s[0:1]
; %bb.242:                              ;   in Loop: Header=BB161_51 Depth=1
	s_or_b64 exec, exec, s[12:13]
	v_lshlrev_b32_e32 v2, 16, v29
	v_mul_f32_e32 v2, v60, v2
	v_and_b32_e32 v3, 0x7f800000, v2
	v_cmp_ne_u32_e64 s[0:1], s18, v3
                                        ; implicit-def: $vgpr87
	s_and_saveexec_b64 s[12:13], s[0:1]
	s_xor_b64 s[0:1], exec, s[12:13]
; %bb.243:                              ;   in Loop: Header=BB161_51 Depth=1
	v_bfe_u32 v3, v2, 16, 1
	v_add3_u32 v87, v2, v3, s20
                                        ; implicit-def: $vgpr2
; %bb.244:                              ;   in Loop: Header=BB161_51 Depth=1
	s_andn2_saveexec_b64 s[12:13], s[0:1]
; %bb.245:                              ;   in Loop: Header=BB161_51 Depth=1
	v_or_b32_e32 v3, 0x10000, v2
	v_cmp_eq_u32_sdwa s[0:1], v2, v21 src0_sel:WORD_0 src1_sel:DWORD
	s_nop 1
	v_cndmask_b32_e64 v87, v3, v2, s[0:1]
; %bb.246:                              ;   in Loop: Header=BB161_51 Depth=1
	s_or_b64 exec, exec, s[12:13]
	v_lshlrev_b32_e32 v2, 16, v5
	v_mul_f32_e32 v2, v61, v2
	v_and_b32_e32 v3, 0x7f800000, v2
	v_cmp_ne_u32_e64 s[0:1], s18, v3
                                        ; implicit-def: $vgpr88
	s_and_saveexec_b64 s[12:13], s[0:1]
	s_xor_b64 s[0:1], exec, s[12:13]
; %bb.247:                              ;   in Loop: Header=BB161_51 Depth=1
	v_bfe_u32 v3, v2, 16, 1
	v_add3_u32 v88, v2, v3, s20
                                        ; implicit-def: $vgpr2
; %bb.248:                              ;   in Loop: Header=BB161_51 Depth=1
	s_andn2_saveexec_b64 s[12:13], s[0:1]
; %bb.249:                              ;   in Loop: Header=BB161_51 Depth=1
	v_or_b32_e32 v3, 0x10000, v2
	v_cmp_eq_u32_sdwa s[0:1], v2, v21 src0_sel:WORD_0 src1_sel:DWORD
	s_nop 1
	v_cndmask_b32_e64 v88, v3, v2, s[0:1]
; %bb.250:                              ;   in Loop: Header=BB161_51 Depth=1
	s_or_b64 exec, exec, s[12:13]
	v_lshlrev_b32_e32 v2, 16, v27
	v_mul_f32_e32 v2, v62, v2
	v_and_b32_e32 v3, 0x7f800000, v2
	v_cmp_ne_u32_e64 s[0:1], s18, v3
                                        ; implicit-def: $vgpr89
	s_and_saveexec_b64 s[12:13], s[0:1]
	s_xor_b64 s[0:1], exec, s[12:13]
; %bb.251:                              ;   in Loop: Header=BB161_51 Depth=1
	v_bfe_u32 v3, v2, 16, 1
	v_add3_u32 v89, v2, v3, s20
                                        ; implicit-def: $vgpr2
; %bb.252:                              ;   in Loop: Header=BB161_51 Depth=1
	s_andn2_saveexec_b64 s[12:13], s[0:1]
; %bb.253:                              ;   in Loop: Header=BB161_51 Depth=1
	v_or_b32_e32 v3, 0x10000, v2
	v_cmp_eq_u32_sdwa s[0:1], v2, v21 src0_sel:WORD_0 src1_sel:DWORD
	s_nop 1
	v_cndmask_b32_e64 v89, v3, v2, s[0:1]
; %bb.254:                              ;   in Loop: Header=BB161_51 Depth=1
	s_or_b64 exec, exec, s[12:13]
	v_mov_b32_e32 v27, v21
	v_lshl_add_u64 v[2:3], v[6:7], 0, v[26:27]
	global_load_dwordx4 v[2:5], v[2:3], off
	s_waitcnt vmcnt(0)
	v_lshrrev_b32_e32 v90, 16, v2
	v_lshrrev_b32_e32 v92, 16, v3
	;; [unrolled: 1-line block ×4, first 2 shown]
	s_and_saveexec_b64 s[12:13], vcc
	s_cbranch_execz .LBB161_256
; %bb.255:                              ;   in Loop: Header=BB161_51 Depth=1
	v_cmp_gt_i32_e64 s[0:1], s33, v45
	s_nop 1
	v_cndmask_b32_e64 v2, 0, v2, s[0:1]
	v_cmp_gt_i32_e64 s[0:1], s33, v53
	s_nop 1
	v_cndmask_b32_e64 v90, 0, v90, s[0:1]
	;; [unrolled: 3-line block ×8, first 2 shown]
.LBB161_256:                            ;   in Loop: Header=BB161_51 Depth=1
	s_or_b64 exec, exec, s[12:13]
	v_lshlrev_b32_e32 v2, 16, v2
	v_mul_f32_e32 v2, v54, v2
	v_and_b32_e32 v27, 0x7f800000, v2
	v_cmp_ne_u32_e64 s[0:1], s18, v27
                                        ; implicit-def: $vgpr27
	s_and_saveexec_b64 s[12:13], s[0:1]
	s_xor_b64 s[0:1], exec, s[12:13]
; %bb.257:                              ;   in Loop: Header=BB161_51 Depth=1
	v_bfe_u32 v27, v2, 16, 1
	v_add3_u32 v27, v2, v27, s20
                                        ; implicit-def: $vgpr2
; %bb.258:                              ;   in Loop: Header=BB161_51 Depth=1
	s_andn2_saveexec_b64 s[12:13], s[0:1]
; %bb.259:                              ;   in Loop: Header=BB161_51 Depth=1
	v_or_b32_e32 v27, 0x10000, v2
	v_cmp_eq_u32_sdwa s[0:1], v2, v21 src0_sel:WORD_0 src1_sel:DWORD
	s_nop 1
	v_cndmask_b32_e64 v27, v27, v2, s[0:1]
; %bb.260:                              ;   in Loop: Header=BB161_51 Depth=1
	s_or_b64 exec, exec, s[12:13]
	v_lshlrev_b32_e32 v2, 16, v90
	v_mul_f32_e32 v2, v56, v2
	v_and_b32_e32 v90, 0x7f800000, v2
	v_cmp_ne_u32_e64 s[0:1], s18, v90
                                        ; implicit-def: $vgpr90
	s_and_saveexec_b64 s[12:13], s[0:1]
	s_xor_b64 s[0:1], exec, s[12:13]
; %bb.261:                              ;   in Loop: Header=BB161_51 Depth=1
	v_bfe_u32 v90, v2, 16, 1
	v_add3_u32 v90, v2, v90, s20
                                        ; implicit-def: $vgpr2
; %bb.262:                              ;   in Loop: Header=BB161_51 Depth=1
	s_andn2_saveexec_b64 s[12:13], s[0:1]
; %bb.263:                              ;   in Loop: Header=BB161_51 Depth=1
	v_or_b32_e32 v90, 0x10000, v2
	v_cmp_eq_u32_sdwa s[0:1], v2, v21 src0_sel:WORD_0 src1_sel:DWORD
	s_nop 1
	v_cndmask_b32_e64 v90, v90, v2, s[0:1]
; %bb.264:                              ;   in Loop: Header=BB161_51 Depth=1
	s_or_b64 exec, exec, s[12:13]
	v_lshlrev_b32_e32 v2, 16, v3
	v_mul_f32_e32 v2, v57, v2
	v_and_b32_e32 v3, 0x7f800000, v2
	v_cmp_ne_u32_e64 s[0:1], s18, v3
                                        ; implicit-def: $vgpr91
	s_and_saveexec_b64 s[12:13], s[0:1]
	s_xor_b64 s[0:1], exec, s[12:13]
; %bb.265:                              ;   in Loop: Header=BB161_51 Depth=1
	v_bfe_u32 v3, v2, 16, 1
	v_add3_u32 v91, v2, v3, s20
                                        ; implicit-def: $vgpr2
; %bb.266:                              ;   in Loop: Header=BB161_51 Depth=1
	s_andn2_saveexec_b64 s[12:13], s[0:1]
; %bb.267:                              ;   in Loop: Header=BB161_51 Depth=1
	v_or_b32_e32 v3, 0x10000, v2
	v_cmp_eq_u32_sdwa s[0:1], v2, v21 src0_sel:WORD_0 src1_sel:DWORD
	s_nop 1
	v_cndmask_b32_e64 v91, v3, v2, s[0:1]
; %bb.268:                              ;   in Loop: Header=BB161_51 Depth=1
	s_or_b64 exec, exec, s[12:13]
	v_lshlrev_b32_e32 v2, 16, v92
	v_mul_f32_e32 v2, v58, v2
	v_and_b32_e32 v3, 0x7f800000, v2
	v_cmp_ne_u32_e64 s[0:1], s18, v3
                                        ; implicit-def: $vgpr92
	s_and_saveexec_b64 s[12:13], s[0:1]
	s_xor_b64 s[0:1], exec, s[12:13]
; %bb.269:                              ;   in Loop: Header=BB161_51 Depth=1
	v_bfe_u32 v3, v2, 16, 1
	v_add3_u32 v92, v2, v3, s20
                                        ; implicit-def: $vgpr2
; %bb.270:                              ;   in Loop: Header=BB161_51 Depth=1
	s_andn2_saveexec_b64 s[12:13], s[0:1]
; %bb.271:                              ;   in Loop: Header=BB161_51 Depth=1
	v_or_b32_e32 v3, 0x10000, v2
	v_cmp_eq_u32_sdwa s[0:1], v2, v21 src0_sel:WORD_0 src1_sel:DWORD
	s_nop 1
	v_cndmask_b32_e64 v92, v3, v2, s[0:1]
; %bb.272:                              ;   in Loop: Header=BB161_51 Depth=1
	s_or_b64 exec, exec, s[12:13]
	v_lshlrev_b32_e32 v2, 16, v4
	v_mul_f32_e32 v2, v59, v2
	v_and_b32_e32 v3, 0x7f800000, v2
	v_cmp_ne_u32_e64 s[0:1], s18, v3
                                        ; implicit-def: $vgpr93
	s_and_saveexec_b64 s[12:13], s[0:1]
	s_xor_b64 s[0:1], exec, s[12:13]
; %bb.273:                              ;   in Loop: Header=BB161_51 Depth=1
	v_bfe_u32 v3, v2, 16, 1
	v_add3_u32 v93, v2, v3, s20
                                        ; implicit-def: $vgpr2
; %bb.274:                              ;   in Loop: Header=BB161_51 Depth=1
	s_andn2_saveexec_b64 s[12:13], s[0:1]
; %bb.275:                              ;   in Loop: Header=BB161_51 Depth=1
	v_or_b32_e32 v3, 0x10000, v2
	v_cmp_eq_u32_sdwa s[0:1], v2, v21 src0_sel:WORD_0 src1_sel:DWORD
	s_nop 1
	v_cndmask_b32_e64 v93, v3, v2, s[0:1]
; %bb.276:                              ;   in Loop: Header=BB161_51 Depth=1
	s_or_b64 exec, exec, s[12:13]
	v_lshlrev_b32_e32 v2, 16, v31
	v_mul_f32_e32 v2, v60, v2
	v_and_b32_e32 v3, 0x7f800000, v2
	v_cmp_ne_u32_e64 s[0:1], s18, v3
                                        ; implicit-def: $vgpr94
	s_and_saveexec_b64 s[12:13], s[0:1]
	s_xor_b64 s[0:1], exec, s[12:13]
; %bb.277:                              ;   in Loop: Header=BB161_51 Depth=1
	v_bfe_u32 v3, v2, 16, 1
	v_add3_u32 v94, v2, v3, s20
                                        ; implicit-def: $vgpr2
; %bb.278:                              ;   in Loop: Header=BB161_51 Depth=1
	s_andn2_saveexec_b64 s[12:13], s[0:1]
; %bb.279:                              ;   in Loop: Header=BB161_51 Depth=1
	v_or_b32_e32 v3, 0x10000, v2
	v_cmp_eq_u32_sdwa s[0:1], v2, v21 src0_sel:WORD_0 src1_sel:DWORD
	s_nop 1
	v_cndmask_b32_e64 v94, v3, v2, s[0:1]
; %bb.280:                              ;   in Loop: Header=BB161_51 Depth=1
	s_or_b64 exec, exec, s[12:13]
	v_lshlrev_b32_e32 v2, 16, v5
	v_mul_f32_e32 v2, v61, v2
	v_and_b32_e32 v3, 0x7f800000, v2
	v_cmp_ne_u32_e64 s[0:1], s18, v3
                                        ; implicit-def: $vgpr95
	s_and_saveexec_b64 s[12:13], s[0:1]
	s_xor_b64 s[0:1], exec, s[12:13]
; %bb.281:                              ;   in Loop: Header=BB161_51 Depth=1
	v_bfe_u32 v3, v2, 16, 1
	v_add3_u32 v95, v2, v3, s20
                                        ; implicit-def: $vgpr2
; %bb.282:                              ;   in Loop: Header=BB161_51 Depth=1
	s_andn2_saveexec_b64 s[12:13], s[0:1]
; %bb.283:                              ;   in Loop: Header=BB161_51 Depth=1
	v_or_b32_e32 v3, 0x10000, v2
	v_cmp_eq_u32_sdwa s[0:1], v2, v21 src0_sel:WORD_0 src1_sel:DWORD
	s_nop 1
	v_cndmask_b32_e64 v95, v3, v2, s[0:1]
; %bb.284:                              ;   in Loop: Header=BB161_51 Depth=1
	s_or_b64 exec, exec, s[12:13]
	v_lshlrev_b32_e32 v2, 16, v29
	v_mul_f32_e32 v2, v62, v2
	v_and_b32_e32 v3, 0x7f800000, v2
	v_cmp_ne_u32_e64 s[0:1], s18, v3
                                        ; implicit-def: $vgpr96
	s_and_saveexec_b64 s[12:13], s[0:1]
	s_xor_b64 s[0:1], exec, s[12:13]
; %bb.285:                              ;   in Loop: Header=BB161_51 Depth=1
	v_bfe_u32 v3, v2, 16, 1
	v_add3_u32 v96, v2, v3, s20
                                        ; implicit-def: $vgpr2
; %bb.286:                              ;   in Loop: Header=BB161_51 Depth=1
	s_andn2_saveexec_b64 s[12:13], s[0:1]
; %bb.287:                              ;   in Loop: Header=BB161_51 Depth=1
	v_or_b32_e32 v3, 0x10000, v2
	v_cmp_eq_u32_sdwa s[0:1], v2, v21 src0_sel:WORD_0 src1_sel:DWORD
	s_nop 1
	v_cndmask_b32_e64 v96, v3, v2, s[0:1]
; %bb.288:                              ;   in Loop: Header=BB161_51 Depth=1
	s_or_b64 exec, exec, s[12:13]
	v_mov_b32_e32 v29, v21
	v_lshl_add_u64 v[2:3], v[6:7], 0, v[28:29]
	global_load_dwordx4 v[2:5], v[2:3], off
	s_waitcnt vmcnt(0)
	v_lshrrev_b32_e32 v97, 16, v2
	v_lshrrev_b32_e32 v99, 16, v3
	;; [unrolled: 1-line block ×4, first 2 shown]
	s_and_saveexec_b64 s[12:13], vcc
	s_cbranch_execz .LBB161_290
; %bb.289:                              ;   in Loop: Header=BB161_51 Depth=1
	v_cmp_gt_i32_e64 s[0:1], s33, v45
	s_nop 1
	v_cndmask_b32_e64 v2, 0, v2, s[0:1]
	v_cmp_gt_i32_e64 s[0:1], s33, v53
	s_nop 1
	v_cndmask_b32_e64 v97, 0, v97, s[0:1]
	;; [unrolled: 3-line block ×8, first 2 shown]
.LBB161_290:                            ;   in Loop: Header=BB161_51 Depth=1
	s_or_b64 exec, exec, s[12:13]
	v_lshlrev_b32_e32 v2, 16, v2
	v_mul_f32_e32 v2, v54, v2
	v_and_b32_e32 v29, 0x7f800000, v2
	v_cmp_ne_u32_e64 s[0:1], s18, v29
                                        ; implicit-def: $vgpr29
	s_and_saveexec_b64 s[12:13], s[0:1]
	s_xor_b64 s[0:1], exec, s[12:13]
; %bb.291:                              ;   in Loop: Header=BB161_51 Depth=1
	v_bfe_u32 v29, v2, 16, 1
	v_add3_u32 v29, v2, v29, s20
                                        ; implicit-def: $vgpr2
; %bb.292:                              ;   in Loop: Header=BB161_51 Depth=1
	s_andn2_saveexec_b64 s[12:13], s[0:1]
; %bb.293:                              ;   in Loop: Header=BB161_51 Depth=1
	v_or_b32_e32 v29, 0x10000, v2
	v_cmp_eq_u32_sdwa s[0:1], v2, v21 src0_sel:WORD_0 src1_sel:DWORD
	s_nop 1
	v_cndmask_b32_e64 v29, v29, v2, s[0:1]
; %bb.294:                              ;   in Loop: Header=BB161_51 Depth=1
	s_or_b64 exec, exec, s[12:13]
	v_lshlrev_b32_e32 v2, 16, v97
	v_mul_f32_e32 v2, v56, v2
	v_and_b32_e32 v97, 0x7f800000, v2
	v_cmp_ne_u32_e64 s[0:1], s18, v97
                                        ; implicit-def: $vgpr97
	s_and_saveexec_b64 s[12:13], s[0:1]
	s_xor_b64 s[0:1], exec, s[12:13]
; %bb.295:                              ;   in Loop: Header=BB161_51 Depth=1
	v_bfe_u32 v97, v2, 16, 1
	v_add3_u32 v97, v2, v97, s20
                                        ; implicit-def: $vgpr2
; %bb.296:                              ;   in Loop: Header=BB161_51 Depth=1
	s_andn2_saveexec_b64 s[12:13], s[0:1]
; %bb.297:                              ;   in Loop: Header=BB161_51 Depth=1
	v_or_b32_e32 v97, 0x10000, v2
	v_cmp_eq_u32_sdwa s[0:1], v2, v21 src0_sel:WORD_0 src1_sel:DWORD
	s_nop 1
	v_cndmask_b32_e64 v97, v97, v2, s[0:1]
; %bb.298:                              ;   in Loop: Header=BB161_51 Depth=1
	s_or_b64 exec, exec, s[12:13]
	v_lshlrev_b32_e32 v2, 16, v3
	v_mul_f32_e32 v2, v57, v2
	v_and_b32_e32 v3, 0x7f800000, v2
	v_cmp_ne_u32_e64 s[0:1], s18, v3
                                        ; implicit-def: $vgpr98
	s_and_saveexec_b64 s[12:13], s[0:1]
	s_xor_b64 s[0:1], exec, s[12:13]
; %bb.299:                              ;   in Loop: Header=BB161_51 Depth=1
	v_bfe_u32 v3, v2, 16, 1
	v_add3_u32 v98, v2, v3, s20
                                        ; implicit-def: $vgpr2
; %bb.300:                              ;   in Loop: Header=BB161_51 Depth=1
	s_andn2_saveexec_b64 s[12:13], s[0:1]
; %bb.301:                              ;   in Loop: Header=BB161_51 Depth=1
	v_or_b32_e32 v3, 0x10000, v2
	v_cmp_eq_u32_sdwa s[0:1], v2, v21 src0_sel:WORD_0 src1_sel:DWORD
	s_nop 1
	v_cndmask_b32_e64 v98, v3, v2, s[0:1]
; %bb.302:                              ;   in Loop: Header=BB161_51 Depth=1
	s_or_b64 exec, exec, s[12:13]
	v_lshlrev_b32_e32 v2, 16, v99
	v_mul_f32_e32 v2, v58, v2
	v_and_b32_e32 v3, 0x7f800000, v2
	v_cmp_ne_u32_e64 s[0:1], s18, v3
                                        ; implicit-def: $vgpr99
	s_and_saveexec_b64 s[12:13], s[0:1]
	s_xor_b64 s[0:1], exec, s[12:13]
; %bb.303:                              ;   in Loop: Header=BB161_51 Depth=1
	v_bfe_u32 v3, v2, 16, 1
	v_add3_u32 v99, v2, v3, s20
                                        ; implicit-def: $vgpr2
; %bb.304:                              ;   in Loop: Header=BB161_51 Depth=1
	s_andn2_saveexec_b64 s[12:13], s[0:1]
; %bb.305:                              ;   in Loop: Header=BB161_51 Depth=1
	v_or_b32_e32 v3, 0x10000, v2
	v_cmp_eq_u32_sdwa s[0:1], v2, v21 src0_sel:WORD_0 src1_sel:DWORD
	s_nop 1
	v_cndmask_b32_e64 v99, v3, v2, s[0:1]
; %bb.306:                              ;   in Loop: Header=BB161_51 Depth=1
	s_or_b64 exec, exec, s[12:13]
	v_lshlrev_b32_e32 v2, 16, v4
	v_mul_f32_e32 v2, v59, v2
	v_and_b32_e32 v3, 0x7f800000, v2
	v_cmp_ne_u32_e64 s[0:1], s18, v3
                                        ; implicit-def: $vgpr100
	s_and_saveexec_b64 s[12:13], s[0:1]
	s_xor_b64 s[0:1], exec, s[12:13]
; %bb.307:                              ;   in Loop: Header=BB161_51 Depth=1
	v_bfe_u32 v3, v2, 16, 1
	v_add3_u32 v100, v2, v3, s20
                                        ; implicit-def: $vgpr2
; %bb.308:                              ;   in Loop: Header=BB161_51 Depth=1
	s_andn2_saveexec_b64 s[12:13], s[0:1]
; %bb.309:                              ;   in Loop: Header=BB161_51 Depth=1
	v_or_b32_e32 v3, 0x10000, v2
	v_cmp_eq_u32_sdwa s[0:1], v2, v21 src0_sel:WORD_0 src1_sel:DWORD
	s_nop 1
	v_cndmask_b32_e64 v100, v3, v2, s[0:1]
; %bb.310:                              ;   in Loop: Header=BB161_51 Depth=1
	s_or_b64 exec, exec, s[12:13]
	v_lshlrev_b32_e32 v2, 16, v101
	v_mul_f32_e32 v2, v60, v2
	v_and_b32_e32 v3, 0x7f800000, v2
	v_cmp_ne_u32_e64 s[0:1], s18, v3
                                        ; implicit-def: $vgpr101
	s_and_saveexec_b64 s[12:13], s[0:1]
	s_xor_b64 s[0:1], exec, s[12:13]
; %bb.311:                              ;   in Loop: Header=BB161_51 Depth=1
	v_bfe_u32 v3, v2, 16, 1
	v_add3_u32 v101, v2, v3, s20
                                        ; implicit-def: $vgpr2
; %bb.312:                              ;   in Loop: Header=BB161_51 Depth=1
	s_andn2_saveexec_b64 s[12:13], s[0:1]
; %bb.313:                              ;   in Loop: Header=BB161_51 Depth=1
	v_or_b32_e32 v3, 0x10000, v2
	v_cmp_eq_u32_sdwa s[0:1], v2, v21 src0_sel:WORD_0 src1_sel:DWORD
	s_nop 1
	v_cndmask_b32_e64 v101, v3, v2, s[0:1]
; %bb.314:                              ;   in Loop: Header=BB161_51 Depth=1
	s_or_b64 exec, exec, s[12:13]
	v_lshlrev_b32_e32 v2, 16, v5
	v_mul_f32_e32 v2, v61, v2
	v_and_b32_e32 v3, 0x7f800000, v2
	v_cmp_ne_u32_e64 s[0:1], s18, v3
                                        ; implicit-def: $vgpr102
	s_and_saveexec_b64 s[12:13], s[0:1]
	s_xor_b64 s[0:1], exec, s[12:13]
; %bb.315:                              ;   in Loop: Header=BB161_51 Depth=1
	v_bfe_u32 v3, v2, 16, 1
	v_add3_u32 v102, v2, v3, s20
                                        ; implicit-def: $vgpr2
; %bb.316:                              ;   in Loop: Header=BB161_51 Depth=1
	s_andn2_saveexec_b64 s[12:13], s[0:1]
; %bb.317:                              ;   in Loop: Header=BB161_51 Depth=1
	v_or_b32_e32 v3, 0x10000, v2
	v_cmp_eq_u32_sdwa s[0:1], v2, v21 src0_sel:WORD_0 src1_sel:DWORD
	s_nop 1
	v_cndmask_b32_e64 v102, v3, v2, s[0:1]
; %bb.318:                              ;   in Loop: Header=BB161_51 Depth=1
	s_or_b64 exec, exec, s[12:13]
	v_lshlrev_b32_e32 v2, 16, v31
	v_mul_f32_e32 v2, v62, v2
	v_and_b32_e32 v3, 0x7f800000, v2
	v_cmp_ne_u32_e64 s[0:1], s18, v3
                                        ; implicit-def: $vgpr103
	s_and_saveexec_b64 s[12:13], s[0:1]
	s_xor_b64 s[0:1], exec, s[12:13]
; %bb.319:                              ;   in Loop: Header=BB161_51 Depth=1
	v_bfe_u32 v3, v2, 16, 1
	v_add3_u32 v103, v2, v3, s20
                                        ; implicit-def: $vgpr2
; %bb.320:                              ;   in Loop: Header=BB161_51 Depth=1
	s_andn2_saveexec_b64 s[12:13], s[0:1]
; %bb.321:                              ;   in Loop: Header=BB161_51 Depth=1
	v_or_b32_e32 v3, 0x10000, v2
	v_cmp_eq_u32_sdwa s[0:1], v2, v21 src0_sel:WORD_0 src1_sel:DWORD
	s_nop 1
	v_cndmask_b32_e64 v103, v3, v2, s[0:1]
; %bb.322:                              ;   in Loop: Header=BB161_51 Depth=1
	s_or_b64 exec, exec, s[12:13]
	v_mov_b32_e32 v31, v21
	v_lshl_add_u64 v[2:3], v[6:7], 0, v[30:31]
	global_load_dwordx4 v[2:5], v[2:3], off
	s_waitcnt vmcnt(0)
	v_lshrrev_b32_e32 v6, 16, v2
	v_lshrrev_b32_e32 v7, 16, v3
	;; [unrolled: 1-line block ×4, first 2 shown]
	s_and_saveexec_b64 s[0:1], vcc
	s_cbranch_execz .LBB161_324
; %bb.323:                              ;   in Loop: Header=BB161_51 Depth=1
	v_cmp_gt_i32_e32 vcc, s33, v45
	s_nop 1
	v_cndmask_b32_e32 v2, 0, v2, vcc
	v_cmp_gt_i32_e32 vcc, s33, v53
	s_nop 1
	v_cndmask_b32_e32 v6, 0, v6, vcc
	;; [unrolled: 3-line block ×8, first 2 shown]
.LBB161_324:                            ;   in Loop: Header=BB161_51 Depth=1
	s_or_b64 exec, exec, s[0:1]
	v_lshlrev_b32_e32 v2, 16, v2
	v_mul_f32_e32 v45, v54, v2
	v_and_b32_e32 v2, 0x7f800000, v45
	v_cmp_ne_u32_e32 vcc, s18, v2
                                        ; implicit-def: $vgpr2
	s_and_saveexec_b64 s[0:1], vcc
	s_xor_b64 s[0:1], exec, s[0:1]
; %bb.325:                              ;   in Loop: Header=BB161_51 Depth=1
	v_bfe_u32 v2, v45, 16, 1
	v_add3_u32 v2, v45, v2, s20
                                        ; implicit-def: $vgpr45
; %bb.326:                              ;   in Loop: Header=BB161_51 Depth=1
	s_andn2_saveexec_b64 s[0:1], s[0:1]
; %bb.327:                              ;   in Loop: Header=BB161_51 Depth=1
	v_or_b32_e32 v2, 0x10000, v45
	v_cmp_eq_u32_sdwa vcc, v45, v21 src0_sel:WORD_0 src1_sel:DWORD
	s_nop 1
	v_cndmask_b32_e32 v2, v2, v45, vcc
; %bb.328:                              ;   in Loop: Header=BB161_51 Depth=1
	s_or_b64 exec, exec, s[0:1]
	v_lshlrev_b32_e32 v6, 16, v6
	v_mul_f32_e32 v45, v56, v6
	v_and_b32_e32 v6, 0x7f800000, v45
	v_cmp_ne_u32_e32 vcc, s18, v6
                                        ; implicit-def: $vgpr6
	s_and_saveexec_b64 s[0:1], vcc
	s_xor_b64 s[0:1], exec, s[0:1]
; %bb.329:                              ;   in Loop: Header=BB161_51 Depth=1
	v_bfe_u32 v6, v45, 16, 1
	v_add3_u32 v6, v45, v6, s20
                                        ; implicit-def: $vgpr45
; %bb.330:                              ;   in Loop: Header=BB161_51 Depth=1
	s_andn2_saveexec_b64 s[0:1], s[0:1]
; %bb.331:                              ;   in Loop: Header=BB161_51 Depth=1
	v_or_b32_e32 v6, 0x10000, v45
	v_cmp_eq_u32_sdwa vcc, v45, v21 src0_sel:WORD_0 src1_sel:DWORD
	s_nop 1
	v_cndmask_b32_e32 v6, v6, v45, vcc
; %bb.332:                              ;   in Loop: Header=BB161_51 Depth=1
	s_or_b64 exec, exec, s[0:1]
	v_lshlrev_b32_e32 v3, 16, v3
	v_mul_f32_e32 v45, v57, v3
	v_and_b32_e32 v3, 0x7f800000, v45
	v_cmp_ne_u32_e32 vcc, s18, v3
                                        ; implicit-def: $vgpr3
	s_and_saveexec_b64 s[0:1], vcc
	s_xor_b64 s[0:1], exec, s[0:1]
; %bb.333:                              ;   in Loop: Header=BB161_51 Depth=1
	v_bfe_u32 v3, v45, 16, 1
	v_add3_u32 v3, v45, v3, s20
                                        ; implicit-def: $vgpr45
; %bb.334:                              ;   in Loop: Header=BB161_51 Depth=1
	s_andn2_saveexec_b64 s[0:1], s[0:1]
; %bb.335:                              ;   in Loop: Header=BB161_51 Depth=1
	v_or_b32_e32 v3, 0x10000, v45
	v_cmp_eq_u32_sdwa vcc, v45, v21 src0_sel:WORD_0 src1_sel:DWORD
	s_nop 1
	v_cndmask_b32_e32 v3, v3, v45, vcc
; %bb.336:                              ;   in Loop: Header=BB161_51 Depth=1
	s_or_b64 exec, exec, s[0:1]
	v_lshlrev_b32_e32 v7, 16, v7
	v_mul_f32_e32 v45, v58, v7
	v_and_b32_e32 v7, 0x7f800000, v45
	v_cmp_ne_u32_e32 vcc, s18, v7
                                        ; implicit-def: $vgpr7
	s_and_saveexec_b64 s[0:1], vcc
	s_xor_b64 s[0:1], exec, s[0:1]
; %bb.337:                              ;   in Loop: Header=BB161_51 Depth=1
	v_bfe_u32 v7, v45, 16, 1
	v_add3_u32 v7, v45, v7, s20
                                        ; implicit-def: $vgpr45
; %bb.338:                              ;   in Loop: Header=BB161_51 Depth=1
	s_andn2_saveexec_b64 s[0:1], s[0:1]
; %bb.339:                              ;   in Loop: Header=BB161_51 Depth=1
	v_or_b32_e32 v7, 0x10000, v45
	v_cmp_eq_u32_sdwa vcc, v45, v21 src0_sel:WORD_0 src1_sel:DWORD
	s_nop 1
	v_cndmask_b32_e32 v7, v7, v45, vcc
; %bb.340:                              ;   in Loop: Header=BB161_51 Depth=1
	s_or_b64 exec, exec, s[0:1]
	v_lshlrev_b32_e32 v4, 16, v4
	v_mul_f32_e32 v45, v59, v4
	v_and_b32_e32 v4, 0x7f800000, v45
	v_cmp_ne_u32_e32 vcc, s18, v4
                                        ; implicit-def: $vgpr4
	s_and_saveexec_b64 s[0:1], vcc
	s_xor_b64 s[0:1], exec, s[0:1]
; %bb.341:                              ;   in Loop: Header=BB161_51 Depth=1
	v_bfe_u32 v4, v45, 16, 1
	v_add3_u32 v4, v45, v4, s20
                                        ; implicit-def: $vgpr45
; %bb.342:                              ;   in Loop: Header=BB161_51 Depth=1
	s_andn2_saveexec_b64 s[0:1], s[0:1]
; %bb.343:                              ;   in Loop: Header=BB161_51 Depth=1
	v_or_b32_e32 v4, 0x10000, v45
	v_cmp_eq_u32_sdwa vcc, v45, v21 src0_sel:WORD_0 src1_sel:DWORD
	s_nop 1
	v_cndmask_b32_e32 v4, v4, v45, vcc
; %bb.344:                              ;   in Loop: Header=BB161_51 Depth=1
	s_or_b64 exec, exec, s[0:1]
	v_lshlrev_b32_e32 v45, 16, v104
	v_mul_f32_e32 v47, v60, v45
	v_and_b32_e32 v45, 0x7f800000, v47
	v_cmp_ne_u32_e32 vcc, s18, v45
                                        ; implicit-def: $vgpr45
	s_and_saveexec_b64 s[0:1], vcc
	s_xor_b64 s[0:1], exec, s[0:1]
; %bb.345:                              ;   in Loop: Header=BB161_51 Depth=1
	v_bfe_u32 v45, v47, 16, 1
	v_add3_u32 v45, v47, v45, s20
                                        ; implicit-def: $vgpr47
; %bb.346:                              ;   in Loop: Header=BB161_51 Depth=1
	s_andn2_saveexec_b64 s[0:1], s[0:1]
; %bb.347:                              ;   in Loop: Header=BB161_51 Depth=1
	v_or_b32_e32 v45, 0x10000, v47
	v_cmp_eq_u32_sdwa vcc, v47, v21 src0_sel:WORD_0 src1_sel:DWORD
	s_nop 1
	v_cndmask_b32_e32 v45, v45, v47, vcc
; %bb.348:                              ;   in Loop: Header=BB161_51 Depth=1
	s_or_b64 exec, exec, s[0:1]
	v_lshlrev_b32_e32 v5, 16, v5
	v_mul_f32_e32 v47, v61, v5
	v_and_b32_e32 v5, 0x7f800000, v47
	v_cmp_ne_u32_e32 vcc, s18, v5
                                        ; implicit-def: $vgpr5
	s_and_saveexec_b64 s[0:1], vcc
	s_xor_b64 s[0:1], exec, s[0:1]
; %bb.349:                              ;   in Loop: Header=BB161_51 Depth=1
	v_bfe_u32 v5, v47, 16, 1
	v_add3_u32 v5, v47, v5, s20
                                        ; implicit-def: $vgpr47
; %bb.350:                              ;   in Loop: Header=BB161_51 Depth=1
	s_andn2_saveexec_b64 s[0:1], s[0:1]
; %bb.351:                              ;   in Loop: Header=BB161_51 Depth=1
	v_or_b32_e32 v5, 0x10000, v47
	v_cmp_eq_u32_sdwa vcc, v47, v21 src0_sel:WORD_0 src1_sel:DWORD
	s_nop 1
	v_cndmask_b32_e32 v5, v5, v47, vcc
; %bb.352:                              ;   in Loop: Header=BB161_51 Depth=1
	s_or_b64 exec, exec, s[0:1]
	v_lshlrev_b32_e32 v31, 16, v31
	v_mul_f32_e32 v47, v62, v31
	v_and_b32_e32 v31, 0x7f800000, v47
	v_cmp_ne_u32_e32 vcc, s18, v31
                                        ; implicit-def: $vgpr31
	s_and_saveexec_b64 s[0:1], vcc
	s_xor_b64 s[0:1], exec, s[0:1]
; %bb.353:                              ;   in Loop: Header=BB161_51 Depth=1
	v_bfe_u32 v31, v47, 16, 1
	v_add3_u32 v31, v47, v31, s20
                                        ; implicit-def: $vgpr47
; %bb.354:                              ;   in Loop: Header=BB161_51 Depth=1
	s_andn2_saveexec_b64 s[0:1], s[0:1]
	s_cbranch_execz .LBB161_49
; %bb.355:                              ;   in Loop: Header=BB161_51 Depth=1
	v_or_b32_e32 v31, 0x10000, v47
	v_cmp_eq_u32_sdwa vcc, v47, v21 src0_sel:WORD_0 src1_sel:DWORD
	s_nop 1
	v_cndmask_b32_e32 v31, v31, v47, vcc
	s_branch .LBB161_49
.LBB161_356:
	s_or_b64 exec, exec, s[8:9]
.LBB161_357:
	s_or_b64 exec, exec, s[2:3]
	ds_bpermute_b32 v2, v33, v18
	ds_bpermute_b32 v3, v33, v19
	;; [unrolled: 1-line block ×8, first 2 shown]
	v_and_b32_e32 v1, 0x3c1, v0
	s_waitcnt lgkmcnt(6)
	v_pk_add_f32 v[8:9], v[18:19], v[2:3]
	s_waitcnt lgkmcnt(4)
	v_pk_add_f32 v[4:5], v[16:17], v[4:5]
	;; [unrolled: 2-line block ×4, first 2 shown]
	v_cmp_eq_u32_e32 vcc, 64, v1
	s_barrier
	s_and_saveexec_b64 s[0:1], vcc
	s_cbranch_execz .LBB161_359
; %bb.358:
	v_mov_b32_e32 v1, 0x210
	v_lshl_add_u32 v1, v32, 1, v1
	ds_write2_b32 v1, v8, v9 offset1:32
	ds_write2_b32 v1, v4, v5 offset0:64 offset1:96
	ds_write2_b32 v1, v2, v3 offset0:128 offset1:160
	;; [unrolled: 1-line block ×3, first 2 shown]
.LBB161_359:
	s_or_b64 exec, exec, s[0:1]
	v_cmp_gt_u32_e32 vcc, 64, v0
	s_waitcnt lgkmcnt(0)
	s_barrier
	s_and_saveexec_b64 s[2:3], vcc
	s_cbranch_execz .LBB161_370
; %bb.360:
	v_cmp_eq_u32_e64 s[0:1], 0, v34
	v_lshrrev_b32_e32 v1, 1, v0
	s_and_saveexec_b64 s[6:7], s[0:1]
	s_cbranch_execnz .LBB161_406
; %bb.361:
	s_or_b64 exec, exec, s[6:7]
	s_and_saveexec_b64 s[6:7], s[0:1]
	s_cbranch_execnz .LBB161_407
.LBB161_362:
	s_or_b64 exec, exec, s[6:7]
	s_and_saveexec_b64 s[6:7], s[0:1]
	s_cbranch_execnz .LBB161_408
.LBB161_363:
	s_or_b64 exec, exec, s[6:7]
	s_and_saveexec_b64 s[6:7], s[0:1]
	s_cbranch_execnz .LBB161_409
.LBB161_364:
	s_or_b64 exec, exec, s[6:7]
	s_and_saveexec_b64 s[6:7], s[0:1]
	s_cbranch_execnz .LBB161_410
.LBB161_365:
	s_or_b64 exec, exec, s[6:7]
	s_and_saveexec_b64 s[6:7], s[0:1]
	s_cbranch_execnz .LBB161_411
.LBB161_366:
	s_or_b64 exec, exec, s[6:7]
	s_and_saveexec_b64 s[6:7], s[0:1]
	s_cbranch_execnz .LBB161_412
.LBB161_367:
	s_or_b64 exec, exec, s[6:7]
	s_and_saveexec_b64 s[6:7], s[0:1]
	s_cbranch_execz .LBB161_369
.LBB161_368:
	v_mov_b32_e32 v10, 0x210
	v_lshl_add_u32 v1, v1, 2, v10
	ds_read_b32 v1, v1 offset:896
	s_waitcnt lgkmcnt(0)
	v_add_f32_e32 v7, v7, v1
.LBB161_369:
	s_or_b64 exec, exec, s[6:7]
.LBB161_370:
	s_or_b64 exec, exec, s[2:3]
	s_barrier
	s_and_saveexec_b64 s[0:1], vcc
	s_cbranch_execz .LBB161_405
; %bb.371:
	v_cmp_eq_u32_e32 vcc, 0, v34
	s_and_b64 exec, exec, vcc
	s_cbranch_execz .LBB161_405
; %bb.372:
	s_mov_b32 s0, 0x7f800000
	v_and_b32_e32 v1, 0x7f800000, v8
	v_cmp_ne_u32_e32 vcc, s0, v1
                                        ; implicit-def: $vgpr10
	s_and_saveexec_b64 s[0:1], vcc
	s_xor_b64 s[0:1], exec, s[0:1]
; %bb.373:
	v_bfe_u32 v1, v8, 16, 1
	s_movk_i32 s2, 0x7fff
	v_add3_u32 v10, v8, v1, s2
; %bb.374:
	s_andn2_saveexec_b64 s[0:1], s[0:1]
; %bb.375:
	v_mov_b32_e32 v1, 0
	v_or_b32_e32 v10, 0x10000, v8
	v_cmp_eq_u32_sdwa vcc, v8, v1 src0_sel:WORD_0 src1_sel:DWORD
	s_nop 1
	v_cndmask_b32_e32 v10, v10, v8, vcc
; %bb.376:
	s_or_b64 exec, exec, s[0:1]
	s_mul_i32 s0, s16, s24
	s_mul_i32 s0, s0, s25
	s_lshl_b32 s0, s0, 8
	s_ashr_i32 s1, s0, 31
	s_lshl_b64 s[0:1], s[0:1], 1
	s_add_u32 s2, s28, s0
	s_mul_i32 s0, s16, s26
	s_addc_u32 s3, s29, s1
	s_ashr_i32 s1, s0, 31
	s_lshl_b64 s[0:1], s[0:1], 1
	s_add_u32 s2, s2, s0
	s_addc_u32 s3, s3, s1
	s_lshl_b32 s0, s4, 8
	s_ashr_i32 s1, s0, 31
	s_lshl_b64 s[0:1], s[0:1], 1
	s_add_u32 s0, s2, s0
	s_mov_b32 s2, 0x7f800000
	v_and_b32_e32 v8, 0x7f800000, v9
	s_addc_u32 s1, s3, s1
	v_and_b32_e32 v0, 0x3fe, v0
	v_mov_b32_e32 v1, 0
	v_cmp_ne_u32_e32 vcc, s2, v8
	global_store_short_d16_hi v0, v10, s[0:1]
                                        ; implicit-def: $vgpr8
	s_and_saveexec_b64 s[2:3], vcc
	s_xor_b64 s[2:3], exec, s[2:3]
; %bb.377:
	v_bfe_u32 v8, v9, 16, 1
	s_movk_i32 s4, 0x7fff
	v_add3_u32 v8, v9, v8, s4
; %bb.378:
	s_or_saveexec_b64 s[2:3], s[2:3]
	v_lshl_add_u64 v[10:11], s[0:1], 0, v[0:1]
	s_xor_b64 exec, exec, s[2:3]
; %bb.379:
	v_mov_b32_e32 v0, 0
	v_or_b32_e32 v1, 0x10000, v9
	v_cmp_eq_u32_sdwa vcc, v9, v0 src0_sel:WORD_0 src1_sel:DWORD
	s_nop 1
	v_cndmask_b32_e32 v8, v1, v9, vcc
; %bb.380:
	s_or_b64 exec, exec, s[2:3]
	s_mov_b32 s0, 0x7f800000
	v_and_b32_e32 v0, 0x7f800000, v4
	v_cmp_ne_u32_e32 vcc, s0, v0
	global_store_short_d16_hi v[10:11], v8, off offset:64
                                        ; implicit-def: $vgpr0
	s_and_saveexec_b64 s[0:1], vcc
	s_xor_b64 s[0:1], exec, s[0:1]
; %bb.381:
	v_bfe_u32 v0, v4, 16, 1
	s_movk_i32 s2, 0x7fff
	v_add3_u32 v0, v4, v0, s2
; %bb.382:
	s_andn2_saveexec_b64 s[0:1], s[0:1]
; %bb.383:
	v_mov_b32_e32 v0, 0
	v_or_b32_e32 v1, 0x10000, v4
	v_cmp_eq_u32_sdwa vcc, v4, v0 src0_sel:WORD_0 src1_sel:DWORD
	s_nop 1
	v_cndmask_b32_e32 v0, v1, v4, vcc
; %bb.384:
	s_or_b64 exec, exec, s[0:1]
	global_store_short_d16_hi v[10:11], v0, off offset:128
	s_mov_b32 s0, 0x7f800000
	v_and_b32_e32 v0, 0x7f800000, v5
	v_cmp_ne_u32_e32 vcc, s0, v0
                                        ; implicit-def: $vgpr0
	s_and_saveexec_b64 s[0:1], vcc
	s_xor_b64 s[0:1], exec, s[0:1]
; %bb.385:
	v_bfe_u32 v0, v5, 16, 1
	s_movk_i32 s2, 0x7fff
	v_add3_u32 v0, v5, v0, s2
; %bb.386:
	s_andn2_saveexec_b64 s[0:1], s[0:1]
; %bb.387:
	v_mov_b32_e32 v0, 0
	v_or_b32_e32 v1, 0x10000, v5
	v_cmp_eq_u32_sdwa vcc, v5, v0 src0_sel:WORD_0 src1_sel:DWORD
	s_nop 1
	v_cndmask_b32_e32 v0, v1, v5, vcc
; %bb.388:
	s_or_b64 exec, exec, s[0:1]
	global_store_short_d16_hi v[10:11], v0, off offset:192
	s_mov_b32 s0, 0x7f800000
	v_and_b32_e32 v0, 0x7f800000, v2
	v_cmp_ne_u32_e32 vcc, s0, v0
	;; [unrolled: 21-line block ×5, first 2 shown]
                                        ; implicit-def: $vgpr8
	s_and_saveexec_b64 s[0:1], vcc
	s_xor_b64 s[0:1], exec, s[0:1]
; %bb.401:
	v_bfe_u32 v0, v7, 16, 1
	s_movk_i32 s2, 0x7fff
	v_add3_u32 v8, v7, v0, s2
                                        ; implicit-def: $vgpr0_vgpr1_vgpr2_vgpr3_vgpr4_vgpr5_vgpr6_vgpr7
; %bb.402:
	s_andn2_saveexec_b64 s[0:1], s[0:1]
; %bb.403:
	v_mov_b32_e32 v0, 0
	v_or_b32_e32 v1, 0x10000, v7
	v_cmp_eq_u32_sdwa vcc, v7, v0 src0_sel:WORD_0 src1_sel:DWORD
	s_nop 1
	v_cndmask_b32_e32 v8, v1, v7, vcc
; %bb.404:
	s_or_b64 exec, exec, s[0:1]
	global_store_short_d16_hi v[10:11], v8, off offset:448
.LBB161_405:
	s_endpgm
.LBB161_406:
	v_mov_b32_e32 v10, 0x210
	v_lshl_add_u32 v10, v1, 2, v10
	ds_read_b32 v10, v10
	s_waitcnt lgkmcnt(0)
	v_add_f32_e32 v8, v8, v10
	s_or_b64 exec, exec, s[6:7]
	s_and_saveexec_b64 s[6:7], s[0:1]
	s_cbranch_execz .LBB161_362
.LBB161_407:
	v_mov_b32_e32 v10, 0x210
	v_lshl_add_u32 v10, v1, 2, v10
	ds_read_b32 v10, v10 offset:128
	s_waitcnt lgkmcnt(0)
	v_add_f32_e32 v9, v9, v10
	s_or_b64 exec, exec, s[6:7]
	s_and_saveexec_b64 s[6:7], s[0:1]
	s_cbranch_execz .LBB161_363
.LBB161_408:
	v_mov_b32_e32 v10, 0x210
	v_lshl_add_u32 v10, v1, 2, v10
	ds_read_b32 v10, v10 offset:256
	s_waitcnt lgkmcnt(0)
	v_add_f32_e32 v4, v4, v10
	s_or_b64 exec, exec, s[6:7]
	s_and_saveexec_b64 s[6:7], s[0:1]
	s_cbranch_execz .LBB161_364
.LBB161_409:
	v_mov_b32_e32 v10, 0x210
	v_lshl_add_u32 v10, v1, 2, v10
	ds_read_b32 v10, v10 offset:384
	s_waitcnt lgkmcnt(0)
	v_add_f32_e32 v5, v5, v10
	s_or_b64 exec, exec, s[6:7]
	s_and_saveexec_b64 s[6:7], s[0:1]
	s_cbranch_execz .LBB161_365
.LBB161_410:
	v_mov_b32_e32 v10, 0x210
	v_lshl_add_u32 v10, v1, 2, v10
	ds_read_b32 v10, v10 offset:512
	s_waitcnt lgkmcnt(0)
	v_add_f32_e32 v2, v2, v10
	s_or_b64 exec, exec, s[6:7]
	s_and_saveexec_b64 s[6:7], s[0:1]
	s_cbranch_execz .LBB161_366
.LBB161_411:
	v_mov_b32_e32 v10, 0x210
	v_lshl_add_u32 v10, v1, 2, v10
	ds_read_b32 v10, v10 offset:640
	s_waitcnt lgkmcnt(0)
	v_add_f32_e32 v3, v3, v10
	s_or_b64 exec, exec, s[6:7]
	s_and_saveexec_b64 s[6:7], s[0:1]
	s_cbranch_execz .LBB161_367
.LBB161_412:
	v_mov_b32_e32 v10, 0x210
	v_lshl_add_u32 v10, v1, 2, v10
	ds_read_b32 v10, v10 offset:768
	s_waitcnt lgkmcnt(0)
	v_add_f32_e32 v6, v6, v10
	s_or_b64 exec, exec, s[6:7]
	s_and_saveexec_b64 s[6:7], s[0:1]
	s_cbranch_execnz .LBB161_368
	s_branch .LBB161_369
	.section	.rodata,"a",@progbits
	.p2align	6, 0x0
	.amdhsa_kernel _ZN4vllm25paged_attention_v2_kernelI14__hip_bfloat16S1_Li256ELi16ELi128ELNS_18Fp8KVCacheDataTypeE0ELb1ELi512EEEvPfS3_PT_PKS4_PKT0_SA_ifPKiSC_iPKfiiiSE_SE_iiiii
		.amdhsa_group_segment_fixed_size 528
		.amdhsa_private_segment_fixed_size 0
		.amdhsa_kernarg_size 400
		.amdhsa_user_sgpr_count 2
		.amdhsa_user_sgpr_dispatch_ptr 0
		.amdhsa_user_sgpr_queue_ptr 0
		.amdhsa_user_sgpr_kernarg_segment_ptr 1
		.amdhsa_user_sgpr_dispatch_id 0
		.amdhsa_user_sgpr_kernarg_preload_length 0
		.amdhsa_user_sgpr_kernarg_preload_offset 0
		.amdhsa_user_sgpr_private_segment_size 0
		.amdhsa_uses_dynamic_stack 0
		.amdhsa_enable_private_segment 0
		.amdhsa_system_sgpr_workgroup_id_x 1
		.amdhsa_system_sgpr_workgroup_id_y 1
		.amdhsa_system_sgpr_workgroup_id_z 1
		.amdhsa_system_sgpr_workgroup_info 0
		.amdhsa_system_vgpr_workitem_id 0
		.amdhsa_next_free_vgpr 105
		.amdhsa_next_free_sgpr 53
		.amdhsa_accum_offset 108
		.amdhsa_reserve_vcc 1
		.amdhsa_float_round_mode_32 0
		.amdhsa_float_round_mode_16_64 0
		.amdhsa_float_denorm_mode_32 3
		.amdhsa_float_denorm_mode_16_64 3
		.amdhsa_dx10_clamp 1
		.amdhsa_ieee_mode 1
		.amdhsa_fp16_overflow 0
		.amdhsa_tg_split 0
		.amdhsa_exception_fp_ieee_invalid_op 0
		.amdhsa_exception_fp_denorm_src 0
		.amdhsa_exception_fp_ieee_div_zero 0
		.amdhsa_exception_fp_ieee_overflow 0
		.amdhsa_exception_fp_ieee_underflow 0
		.amdhsa_exception_fp_ieee_inexact 0
		.amdhsa_exception_int_div_zero 0
	.end_amdhsa_kernel
	.section	.text._ZN4vllm25paged_attention_v2_kernelI14__hip_bfloat16S1_Li256ELi16ELi128ELNS_18Fp8KVCacheDataTypeE0ELb1ELi512EEEvPfS3_PT_PKS4_PKT0_SA_ifPKiSC_iPKfiiiSE_SE_iiiii,"axG",@progbits,_ZN4vllm25paged_attention_v2_kernelI14__hip_bfloat16S1_Li256ELi16ELi128ELNS_18Fp8KVCacheDataTypeE0ELb1ELi512EEEvPfS3_PT_PKS4_PKT0_SA_ifPKiSC_iPKfiiiSE_SE_iiiii,comdat
.Lfunc_end161:
	.size	_ZN4vllm25paged_attention_v2_kernelI14__hip_bfloat16S1_Li256ELi16ELi128ELNS_18Fp8KVCacheDataTypeE0ELb1ELi512EEEvPfS3_PT_PKS4_PKT0_SA_ifPKiSC_iPKfiiiSE_SE_iiiii, .Lfunc_end161-_ZN4vllm25paged_attention_v2_kernelI14__hip_bfloat16S1_Li256ELi16ELi128ELNS_18Fp8KVCacheDataTypeE0ELb1ELi512EEEvPfS3_PT_PKS4_PKT0_SA_ifPKiSC_iPKfiiiSE_SE_iiiii
                                        ; -- End function
	.section	.AMDGPU.csdata,"",@progbits
; Kernel info:
; codeLenInByte = 14960
; NumSgprs: 59
; NumVgprs: 105
; NumAgprs: 0
; TotalNumVgprs: 105
; ScratchSize: 0
; MemoryBound: 0
; FloatMode: 240
; IeeeMode: 1
; LDSByteSize: 528 bytes/workgroup (compile time only)
; SGPRBlocks: 7
; VGPRBlocks: 13
; NumSGPRsForWavesPerEU: 59
; NumVGPRsForWavesPerEU: 105
; AccumOffset: 108
; Occupancy: 4
; WaveLimiterHint : 1
; COMPUTE_PGM_RSRC2:SCRATCH_EN: 0
; COMPUTE_PGM_RSRC2:USER_SGPR: 2
; COMPUTE_PGM_RSRC2:TRAP_HANDLER: 0
; COMPUTE_PGM_RSRC2:TGID_X_EN: 1
; COMPUTE_PGM_RSRC2:TGID_Y_EN: 1
; COMPUTE_PGM_RSRC2:TGID_Z_EN: 1
; COMPUTE_PGM_RSRC2:TIDIG_COMP_CNT: 0
; COMPUTE_PGM_RSRC3_GFX90A:ACCUM_OFFSET: 26
; COMPUTE_PGM_RSRC3_GFX90A:TG_SPLIT: 0
	.section	.text._ZN4vllm25paged_attention_v2_kernelI14__hip_bfloat16S1_Li32ELi16ELi128ELNS_18Fp8KVCacheDataTypeE0ELb0ELi512EEEvPfS3_PT_PKS4_PKT0_SA_ifPKiSC_iPKfiiiSE_SE_iiiii,"axG",@progbits,_ZN4vllm25paged_attention_v2_kernelI14__hip_bfloat16S1_Li32ELi16ELi128ELNS_18Fp8KVCacheDataTypeE0ELb0ELi512EEEvPfS3_PT_PKS4_PKT0_SA_ifPKiSC_iPKfiiiSE_SE_iiiii,comdat
	.protected	_ZN4vllm25paged_attention_v2_kernelI14__hip_bfloat16S1_Li32ELi16ELi128ELNS_18Fp8KVCacheDataTypeE0ELb0ELi512EEEvPfS3_PT_PKS4_PKT0_SA_ifPKiSC_iPKfiiiSE_SE_iiiii ; -- Begin function _ZN4vllm25paged_attention_v2_kernelI14__hip_bfloat16S1_Li32ELi16ELi128ELNS_18Fp8KVCacheDataTypeE0ELb0ELi512EEEvPfS3_PT_PKS4_PKT0_SA_ifPKiSC_iPKfiiiSE_SE_iiiii
	.globl	_ZN4vllm25paged_attention_v2_kernelI14__hip_bfloat16S1_Li32ELi16ELi128ELNS_18Fp8KVCacheDataTypeE0ELb0ELi512EEEvPfS3_PT_PKS4_PKT0_SA_ifPKiSC_iPKfiiiSE_SE_iiiii
	.p2align	8
	.type	_ZN4vllm25paged_attention_v2_kernelI14__hip_bfloat16S1_Li32ELi16ELi128ELNS_18Fp8KVCacheDataTypeE0ELb0ELi512EEEvPfS3_PT_PKS4_PKT0_SA_ifPKiSC_iPKfiiiSE_SE_iiiii,@function
_ZN4vllm25paged_attention_v2_kernelI14__hip_bfloat16S1_Li32ELi16ELi128ELNS_18Fp8KVCacheDataTypeE0ELb0ELi512EEEvPfS3_PT_PKS4_PKT0_SA_ifPKiSC_iPKfiiiSE_SE_iiiii: ; @_ZN4vllm25paged_attention_v2_kernelI14__hip_bfloat16S1_Li32ELi16ELi128ELNS_18Fp8KVCacheDataTypeE0ELb0ELi512EEEvPfS3_PT_PKS4_PKT0_SA_ifPKiSC_iPKfiiiSE_SE_iiiii
; %bb.0:
	s_load_dwordx2 s[6:7], s[0:1], 0x40
	s_mov_b32 s24, s3
	s_ashr_i32 s25, s3, 31
	s_lshl_b64 s[8:9], s[24:25], 2
	s_waitcnt lgkmcnt(0)
	s_add_u32 s6, s6, s8
	s_addc_u32 s7, s7, s9
	s_load_dword s25, s[6:7], 0x0
	s_lshl_b32 s40, s4, 9
	s_waitcnt lgkmcnt(0)
	s_cmp_ge_i32 s40, s25
	s_cbranch_scc1 .LBB162_120
; %bb.1:
	s_load_dword s5, s[0:1], 0x90
	s_load_dwordx2 s[10:11], s[0:1], 0x30
	s_waitcnt lgkmcnt(0)
	s_abs_i32 s7, s5
	s_abs_i32 s3, s10
	v_cvt_f32_u32_e32 v1, s3
	s_sub_i32 s8, 0, s3
	s_xor_b32 s6, s5, s10
	s_ashr_i32 s6, s6, 31
	v_rcp_iflag_f32_e32 v1, v1
	s_nop 0
	v_mul_f32_e32 v1, 0x4f7ffffe, v1
	v_cvt_u32_f32_e32 v1, v1
	s_nop 0
	v_readfirstlane_b32 s9, v1
	s_mul_i32 s8, s8, s9
	s_mul_hi_u32 s8, s9, s8
	s_add_i32 s9, s9, s8
	s_mul_hi_u32 s8, s7, s9
	s_mul_i32 s9, s8, s3
	s_sub_i32 s7, s7, s9
	s_add_i32 s10, s8, 1
	s_sub_i32 s9, s7, s3
	s_cmp_ge_u32 s7, s3
	s_cselect_b32 s8, s10, s8
	s_cselect_b32 s7, s9, s7
	s_add_i32 s9, s8, 1
	s_cmp_ge_u32 s7, s3
	s_cselect_b32 s3, s9, s8
	s_xor_b32 s3, s3, s6
	s_sub_i32 s17, s3, s6
	s_abs_i32 s8, s17
	v_cvt_f32_u32_e32 v1, s8
	s_load_dwordx2 s[6:7], s[0:1], 0x50
	s_sub_i32 s10, 0, s8
	s_abs_i32 s9, s2
	v_rcp_iflag_f32_e32 v1, v1
	s_mov_b32 s3, 0
	v_mul_f32_e32 v1, 0x4f7ffffe, v1
	v_cvt_u32_f32_e32 v1, v1
	s_nop 0
	v_readfirstlane_b32 s12, v1
	s_mul_i32 s10, s10, s12
	s_mul_hi_u32 s10, s12, s10
	s_add_i32 s12, s12, s10
	s_waitcnt lgkmcnt(0)
	s_cmp_eq_u64 s[6:7], 0
	s_mul_hi_u32 s10, s9, s12
	s_cbranch_scc1 .LBB162_3
; %bb.2:
	s_ashr_i32 s3, s2, 31
	s_lshl_b64 s[12:13], s[2:3], 2
	s_add_u32 s6, s6, s12
	s_addc_u32 s7, s7, s13
	s_load_dword s3, s[6:7], 0x0
.LBB162_3:
	s_load_dwordx4 s[12:15], s[0:1], 0x58
	s_ashr_i32 s16, s2, 31
	s_waitcnt lgkmcnt(0)
	s_ashr_i32 s15, s17, 31
	v_and_b32_e32 v1, 3, v0
	s_lshl_b32 s20, s2, 5
	v_cmp_gt_u32_e32 vcc, 16, v0
	s_and_saveexec_b64 s[6:7], vcc
	s_cbranch_execz .LBB162_5
; %bb.4:
	s_load_dwordx2 s[18:19], s[0:1], 0x18
	s_mul_i32 s22, s24, s12
	s_ashr_i32 s23, s22, 31
	s_lshl_b64 s[22:23], s[22:23], 1
	v_lshlrev_b32_e32 v2, 2, v0
	s_waitcnt lgkmcnt(0)
	s_add_u32 s12, s18, s22
	s_addc_u32 s17, s19, s23
	s_ashr_i32 s21, s20, 31
	s_lshl_b64 s[18:19], s[20:21], 1
	s_add_u32 s18, s12, s18
	s_addc_u32 s19, s17, s19
	global_load_dword v2, v2, s[18:19]
	v_and_b32_e32 v3, 0x3fc, v0
	v_lshl_add_u32 v3, v1, 4, v3
	s_waitcnt vmcnt(0)
	ds_write_b32 v3, v2
.LBB162_5:
	s_or_b64 exec, exec, s[6:7]
	s_add_i32 s6, s25, 15
	s_ashr_i32 s7, s6, 31
	s_lshr_b32 s7, s7, 28
	s_add_i32 s6, s6, s7
	s_lshl_b32 s12, s4, 5
	s_mul_i32 s7, s10, s8
	s_ashr_i32 s41, s6, 4
	s_add_i32 s6, s12, 32
	s_sub_i32 s7, s9, s7
	s_min_i32 s33, s6, s41
	s_xor_b32 s6, s16, s15
	s_add_i32 s9, s10, 1
	s_sub_i32 s15, s7, s8
	s_cmp_ge_u32 s7, s8
	s_cselect_b32 s9, s9, s10
	s_cselect_b32 s7, s15, s7
	s_add_i32 s10, s9, 1
	s_cmp_ge_u32 s7, s8
	s_load_dwordx2 s[26:27], s[0:1], 0x38
	s_load_dword s8, s[0:1], 0x48
	v_lshrrev_b32_e32 v6, 6, v0
	s_cselect_b32 s7, s10, s9
	s_xor_b32 s7, s7, s6
	v_or_b32_e32 v10, s12, v6
	s_waitcnt lgkmcnt(0)
	s_mul_i32 s28, s24, s8
	s_sub_i32 s10, s7, s6
	s_ashr_i32 s29, s28, 31
	v_cmp_gt_i32_e64 s[6:7], s33, v10
	v_cmp_le_i32_e32 vcc, s33, v10
	v_mbcnt_lo_u32_b32 v4, -1, 0
	s_barrier
	s_waitcnt lgkmcnt(0)
                                        ; implicit-def: $sgpr15
                                        ; implicit-def: $vgpr7
                                        ; implicit-def: $vgpr8
	s_and_saveexec_b64 s[8:9], vcc
	s_xor_b64 s[8:9], exec, s[8:9]
; %bb.6:
	v_mbcnt_hi_u32_b32 v7, -1, v4
	v_and_b32_e32 v1, 64, v7
	v_add_u32_e32 v8, 64, v1
	s_mov_b32 s15, 0xff7fffff
                                        ; implicit-def: $vgpr1
                                        ; implicit-def: $vgpr4
; %bb.7:
	s_or_saveexec_b64 s[34:35], s[8:9]
	s_load_dwordx4 s[16:19], s[0:1], 0x0
	s_load_dwordx2 s[22:23], s[0:1], 0x10
	s_load_dwordx2 s[30:31], s[0:1], 0x28
	s_load_dword s21, s[0:1], 0x98
	v_mov_b32_e32 v16, s15
	s_mul_i32 s14, s10, s14
	v_ashrrev_i32_e32 v11, 31, v10
	s_xor_b64 exec, exec, s[34:35]
	s_cbranch_execz .LBB162_13
; %bb.8:
	s_load_dwordx2 s[0:1], s[0:1], 0x20
	s_ashr_i32 s15, s14, 31
	s_lshl_b64 s[8:9], s[14:15], 1
	v_bfe_u32 v5, v0, 2, 4
	v_lshlrev_b32_e32 v2, 4, v5
	s_waitcnt lgkmcnt(0)
	s_add_u32 s0, s0, s8
	s_addc_u32 s1, s1, s9
	v_mov_b32_e32 v3, 0
	v_lshlrev_b32_e32 v7, 4, v1
	ds_read_b128 v[16:19], v7
	v_lshl_add_u64 v[8:9], s[0:1], 0, v[2:3]
	v_lshlrev_b32_e32 v2, 2, v0
	v_mbcnt_hi_u32_b32 v7, -1, v4
	v_and_b32_e32 v2, 12, v2
	v_and_b32_e32 v4, 64, v7
	v_lshl_add_u64 v[2:3], v[8:9], 0, v[2:3]
	v_add_u32_e32 v8, 64, v4
	v_xor_b32_e32 v4, 2, v7
	v_cmp_lt_i32_e32 vcc, v4, v8
	s_sub_i32 s15, 1, s25
	s_lshl_b64 s[8:9], s[28:29], 2
	v_cndmask_b32_e32 v4, v7, v4, vcc
	v_lshlrev_b32_e32 v20, 2, v4
	v_xor_b32_e32 v4, 1, v7
	v_cmp_lt_i32_e32 vcc, v4, v8
	s_add_u32 s8, s26, s8
	s_addc_u32 s9, s27, s9
	v_cndmask_b32_e32 v4, v7, v4, vcc
	v_lshlrev_b32_e32 v21, 2, v4
	v_lshlrev_b32_e32 v4, 2, v5
	v_cmp_eq_u32_e32 vcc, 0, v1
	v_lshlrev_b32_e32 v1, 4, v6
	v_lshl_or_b32 v4, v6, 6, v4
	s_mov_b32 s10, s13
	s_waitcnt lgkmcnt(0)
	v_lshlrev_b32_e32 v9, 16, v16
	v_and_b32_e32 v12, 0xffff0000, v16
	v_lshlrev_b32_e32 v13, 16, v17
	v_and_b32_e32 v14, 0xffff0000, v17
	;; [unrolled: 2-line block ×4, first 2 shown]
	v_cmp_neq_f32_e64 s[0:1], s3, 0
	v_add3_u32 v1, s40, v1, v5
	v_add_u32_e32 v22, 0x50, v4
	v_lshl_add_u64 v[4:5], v[10:11], 2, s[8:9]
	s_mov_b64 s[36:37], 0
	v_mov_b32_e32 v16, 0xff7fffff
	v_mov_b32_e32 v23, v10
	s_branch .LBB162_10
.LBB162_9:                              ;   in Loop: Header=BB162_10 Depth=1
	s_or_b64 exec, exec, s[38:39]
	v_add_u32_e32 v23, 2, v23
	v_cmp_le_i32_e64 s[8:9], s33, v23
	v_add_u32_e32 v1, 32, v1
	v_add_u32_e32 v22, 0x80, v22
	s_or_b64 s[36:37], s[8:9], s[36:37]
	v_lshl_add_u64 v[4:5], v[4:5], 0, 8
	s_andn2_b64 exec, exec, s[36:37]
	s_cbranch_execz .LBB162_12
.LBB162_10:                             ; =>This Inner Loop Header: Depth=1
	global_load_dword v24, v[4:5], off
	s_waitcnt vmcnt(0) lgkmcnt(0)
	v_mad_i64_i32 v[24:25], s[8:9], v24, s10, 0
	v_lshl_add_u64 v[24:25], v[24:25], 1, v[2:3]
	global_load_dword v26, v[24:25], off
	global_load_dword v27, v[24:25], off offset:256
	global_load_dword v28, v[24:25], off offset:512
	;; [unrolled: 1-line block ×3, first 2 shown]
	s_waitcnt vmcnt(3)
	v_lshlrev_b32_e32 v24, 16, v26
	v_and_b32_e32 v25, 0xffff0000, v26
	s_waitcnt vmcnt(2)
	v_lshlrev_b32_e32 v26, 16, v27
	v_and_b32_e32 v27, 0xffff0000, v27
	v_mul_f32_e32 v26, v13, v26
	v_mul_f32_e32 v27, v14, v27
	s_waitcnt vmcnt(1)
	v_lshlrev_b32_e32 v30, 16, v28
	v_and_b32_e32 v28, 0xffff0000, v28
	v_fmac_f32_e32 v26, v9, v24
	v_fmac_f32_e32 v27, v12, v25
	s_waitcnt vmcnt(0)
	v_lshlrev_b32_e32 v31, 16, v29
	v_and_b32_e32 v29, 0xffff0000, v29
	v_fmac_f32_e32 v26, v15, v30
	v_fmac_f32_e32 v27, v17, v28
	;; [unrolled: 1-line block ×4, first 2 shown]
	v_add_f32_e32 v24, v26, v27
	ds_bpermute_b32 v25, v20, v24
	s_waitcnt lgkmcnt(0)
	v_add_f32_e32 v24, v24, v25
	ds_bpermute_b32 v25, v21, v24
	s_and_saveexec_b64 s[38:39], vcc
	s_cbranch_execz .LBB162_9
; %bb.11:                               ;   in Loop: Header=BB162_10 Depth=1
	v_add_u32_e32 v26, s15, v1
	v_cvt_f32_i32_e32 v26, v26
	s_waitcnt lgkmcnt(0)
	v_add_f32_e32 v24, v24, v25
	v_cmp_gt_i32_e64 s[8:9], s25, v1
	v_max_f32_e32 v25, v16, v16
	v_mul_f32_e32 v26, s3, v26
	v_cndmask_b32_e64 v26, 0, v26, s[0:1]
	v_fmac_f32_e32 v26, s11, v24
	v_cndmask_b32_e64 v24, 0, v26, s[8:9]
	ds_write_b32 v22, v24
	v_max_f32_e32 v24, v25, v26
	v_cndmask_b32_e64 v16, v16, v24, s[8:9]
	s_branch .LBB162_9
.LBB162_12:
	s_or_b64 exec, exec, s[36:37]
.LBB162_13:
	s_or_b64 exec, exec, s[34:35]
	v_xor_b32_e32 v1, 32, v7
	v_cmp_lt_i32_e32 vcc, v1, v8
	v_xor_b32_e32 v4, 16, v7
	v_max_f32_e32 v3, v16, v16
	v_cndmask_b32_e32 v1, v7, v1, vcc
	v_lshlrev_b32_e32 v2, 2, v1
	ds_bpermute_b32 v1, v2, v16
	v_cmp_lt_i32_e32 vcc, v4, v8
	v_xor_b32_e32 v5, 8, v7
	s_waitcnt lgkmcnt(0)
	v_max_f32_e32 v1, v1, v1
	v_max_f32_e32 v1, v3, v1
	v_cndmask_b32_e32 v3, v7, v4, vcc
	v_lshlrev_b32_e32 v3, 2, v3
	ds_bpermute_b32 v4, v3, v1
	v_cmp_lt_i32_e32 vcc, v5, v8
	s_waitcnt lgkmcnt(0)
	v_max_f32_e32 v4, v4, v4
	v_max_f32_e32 v1, v1, v4
	v_cndmask_b32_e32 v4, v7, v5, vcc
	v_lshlrev_b32_e32 v12, 2, v4
	ds_bpermute_b32 v4, v12, v1
	v_xor_b32_e32 v5, 4, v7
	v_cmp_lt_i32_e32 vcc, v5, v8
	s_waitcnt lgkmcnt(0)
	v_max_f32_e32 v4, v4, v4
	v_max_f32_e32 v4, v1, v4
	v_cndmask_b32_e32 v1, v7, v5, vcc
	v_lshlrev_b32_e32 v13, 2, v1
	ds_bpermute_b32 v9, v13, v4
	v_and_b32_e32 v1, 63, v0
	v_cmp_eq_u32_e32 vcc, 0, v1
	v_lshlrev_b32_e32 v5, 2, v6
	s_and_saveexec_b64 s[0:1], vcc
	s_cbranch_execz .LBB162_15
; %bb.14:
	s_waitcnt lgkmcnt(0)
	v_max_f32_e32 v9, v9, v9
	v_max_f32_e32 v4, v4, v4
	v_max_f32_e32 v4, v4, v9
	ds_write_b32 v5, v4 offset:64
.LBB162_15:
	s_or_b64 exec, exec, s[0:1]
	v_cmp_gt_u32_e64 s[0:1], 2, v1
	v_mov_b32_e32 v4, 0xff7fffff
	s_waitcnt lgkmcnt(0)
	v_lshlrev_b32_e32 v9, 2, v1
	s_barrier
	s_and_saveexec_b64 s[8:9], s[0:1]
	s_cbranch_execz .LBB162_17
; %bb.16:
	ds_read_b32 v4, v9 offset:64
.LBB162_17:
	s_or_b64 exec, exec, s[8:9]
	v_xor_b32_e32 v14, 1, v7
	v_cmp_lt_i32_e64 s[8:9], v14, v8
	s_sub_i32 s3, s33, s12
	s_lshl_b32 s3, s3, 4
	v_cndmask_b32_e64 v14, v7, v14, s[8:9]
	v_lshlrev_b32_e32 v18, 2, v14
	s_waitcnt lgkmcnt(0)
	ds_bpermute_b32 v14, v18, v4
	v_max_f32_e32 v4, v4, v4
	s_add_i32 s3, s3, s40
	s_min_i32 s15, s3, s25
	s_sub_i32 s3, s15, s40
	s_waitcnt lgkmcnt(0)
	v_max_f32_e32 v14, v14, v14
	v_max_f32_e32 v4, v4, v14
	v_lshlrev_b32_e32 v14, 2, v7
	v_and_b32_e32 v14, 0xffffff00, v14
	ds_bpermute_b32 v4, v14, v4
	v_cmp_gt_i32_e64 s[8:9], s3, v0
	v_mov_b32_e32 v15, 0
	s_and_saveexec_b64 s[34:35], s[8:9]
	s_cbranch_execz .LBB162_21
; %bb.18:
	v_mov_b32_e32 v15, 0x50
	v_lshl_add_u32 v16, v0, 2, v15
	s_mov_b64 s[36:37], 0
	v_mov_b32_e32 v15, 0
	v_mov_b32_e32 v17, v0
.LBB162_19:                             ; =>This Inner Loop Header: Depth=1
	ds_read_b32 v19, v16
	v_add_u32_e32 v17, 0x80, v17
	v_cmp_le_i32_e64 s[10:11], s3, v17
	s_or_b64 s[36:37], s[10:11], s[36:37]
	s_waitcnt lgkmcnt(0)
	v_sub_f32_e32 v19, v19, v4
	v_mul_f32_e32 v19, 0x3fb8aa3b, v19
	v_exp_f32_e32 v19, v19
	ds_write_b32 v16, v19
	v_add_f32_e32 v15, v15, v19
	v_add_u32_e32 v16, 0x200, v16
	s_andn2_b64 exec, exec, s[36:37]
	s_cbranch_execnz .LBB162_19
; %bb.20:
	s_or_b64 exec, exec, s[36:37]
.LBB162_21:
	s_or_b64 exec, exec, s[34:35]
	ds_bpermute_b32 v2, v2, v15
	s_waitcnt lgkmcnt(0)
	v_add_f32_e32 v2, v15, v2
	ds_bpermute_b32 v3, v3, v2
	s_waitcnt lgkmcnt(0)
	v_add_f32_e32 v2, v2, v3
	ds_bpermute_b32 v3, v12, v2
	v_xor_b32_e32 v12, 2, v7
	v_cmp_lt_i32_e64 s[10:11], v12, v8
	s_waitcnt lgkmcnt(0)
	v_add_f32_e32 v2, v2, v3
	ds_bpermute_b32 v3, v13, v2
	v_cndmask_b32_e64 v7, v7, v12, s[10:11]
	s_waitcnt lgkmcnt(0)
	v_add_f32_e32 v2, v2, v3
	v_lshlrev_b32_e32 v3, 2, v7
	ds_bpermute_b32 v3, v3, v2
	s_waitcnt lgkmcnt(0)
	v_add_f32_e32 v2, v2, v3
	ds_bpermute_b32 v3, v18, v2
	s_waitcnt lgkmcnt(0)
	v_add_f32_e32 v2, v2, v3
	s_and_saveexec_b64 s[10:11], vcc
	s_cbranch_execz .LBB162_23
; %bb.22:
	ds_write_b32 v5, v2 offset:72
.LBB162_23:
	s_or_b64 exec, exec, s[10:11]
	s_waitcnt lgkmcnt(0)
	s_barrier
	s_and_saveexec_b64 s[10:11], s[0:1]
	s_cbranch_execz .LBB162_25
; %bb.24:
	ds_read_b32 v2, v9 offset:72
.LBB162_25:
	s_or_b64 exec, exec, s[10:11]
	s_waitcnt lgkmcnt(0)
	ds_bpermute_b32 v3, v18, v2
	s_waitcnt lgkmcnt(0)
	v_add_f32_e32 v2, v2, v3
	ds_bpermute_b32 v5, v14, v2
	s_and_saveexec_b64 s[0:1], s[8:9]
	s_cbranch_execz .LBB162_38
; %bb.26:
	s_waitcnt lgkmcnt(0)
	v_add_f32_e32 v2, 0x358637bd, v5
	v_div_scale_f32 v3, s[8:9], v2, v2, 1.0
	v_rcp_f32_e32 v7, v3
	v_div_scale_f32 v8, vcc, 1.0, v2, 1.0
	s_movk_i32 s8, 0x7f
	v_fma_f32 v9, -v3, v7, 1.0
	v_fmac_f32_e32 v7, v9, v7
	v_mul_f32_e32 v9, v8, v7
	v_fma_f32 v12, -v3, v9, v8
	v_fmac_f32_e32 v9, v12, v7
	v_fma_f32 v3, -v3, v9, v8
	v_div_fmas_f32 v3, v3, v7, v9
	v_div_fixup_f32 v2, v3, v2, 1.0
	v_xad_u32 v3, v0, -1, s15
	v_subrev_u32_e32 v7, s40, v3
	v_cmp_lt_u32_e32 vcc, s8, v7
	s_mov_b64 s[10:11], -1
	v_mov_b32_e32 v3, v0
	s_and_saveexec_b64 s[8:9], vcc
	s_cbranch_execz .LBB162_35
; %bb.27:
	v_lshrrev_b32_e32 v7, 7, v7
	v_add_u32_e32 v9, -1, v7
	v_lshrrev_b32_e32 v8, 1, v9
	v_mov_b32_e32 v3, v2
	v_add_u32_e32 v8, 1, v8
	v_cmp_lt_u32_e32 vcc, 13, v9
	v_mov_b32_e32 v13, 0
	s_and_saveexec_b64 s[10:11], vcc
	s_cbranch_execz .LBB162_31
; %bb.28:
	v_mov_b32_e32 v12, 0x50
	v_and_b32_e32 v9, -8, v8
	v_lshl_add_u32 v12, v0, 2, v12
	s_mov_b32 s15, 0
	s_mov_b64 s[34:35], 0
.LBB162_29:                             ; =>This Inner Loop Header: Depth=1
	ds_read2st64_b32 v[14:15], v12 offset1:2
	ds_read2st64_b32 v[16:17], v12 offset0:4 offset1:6
	ds_read2st64_b32 v[20:21], v12 offset0:8 offset1:10
	;; [unrolled: 1-line block ×3, first 2 shown]
	v_add_u32_e32 v9, -8, v9
	s_waitcnt lgkmcnt(3)
	v_pk_mul_f32 v[14:15], v[2:3], v[14:15]
	s_waitcnt lgkmcnt(2)
	v_pk_mul_f32 v[16:17], v[2:3], v[16:17]
	ds_write2st64_b32 v12, v14, v15 offset1:2
	ds_write2st64_b32 v12, v16, v17 offset0:4 offset1:6
	ds_read2st64_b32 v[16:17], v12 offset0:16 offset1:18
	s_waitcnt lgkmcnt(4)
	v_pk_mul_f32 v[14:15], v[2:3], v[20:21]
	ds_write2st64_b32 v12, v14, v15 offset0:8 offset1:10
	s_waitcnt lgkmcnt(4)
	v_pk_mul_f32 v[14:15], v[2:3], v[22:23]
	ds_write2st64_b32 v12, v14, v15 offset0:12 offset1:14
	ds_read2st64_b32 v[14:15], v12 offset0:20 offset1:22
	s_waitcnt lgkmcnt(3)
	v_pk_mul_f32 v[16:17], v[2:3], v[16:17]
	ds_read2st64_b32 v[20:21], v12 offset0:24 offset1:26
	ds_write2st64_b32 v12, v16, v17 offset0:16 offset1:18
	ds_read2st64_b32 v[16:17], v12 offset0:28 offset1:30
	s_waitcnt lgkmcnt(3)
	v_pk_mul_f32 v[14:15], v[2:3], v[14:15]
	ds_write2st64_b32 v12, v14, v15 offset0:20 offset1:22
	s_waitcnt lgkmcnt(3)
	v_pk_mul_f32 v[14:15], v[2:3], v[20:21]
	ds_write2st64_b32 v12, v14, v15 offset0:24 offset1:26
	s_waitcnt lgkmcnt(2)
	v_pk_mul_f32 v[14:15], v[2:3], v[16:17]
	s_add_i32 s15, s15, 16
	v_cmp_eq_u32_e32 vcc, 0, v9
	ds_write2st64_b32 v12, v14, v15 offset0:28 offset1:30
	v_add_u32_e32 v12, 0x2000, v12
	s_or_b64 s[34:35], vcc, s[34:35]
	v_mov_b32_e32 v13, s15
	s_andn2_b64 exec, exec, s[34:35]
	s_cbranch_execnz .LBB162_29
; %bb.30:
	s_or_b64 exec, exec, s[34:35]
.LBB162_31:
	s_or_b64 exec, exec, s[10:11]
	v_and_b32_e32 v8, 7, v8
	v_cmp_ne_u32_e32 vcc, 0, v8
	s_and_saveexec_b64 s[10:11], vcc
	s_cbranch_execz .LBB162_34
; %bb.32:
	v_lshlrev_b32_e32 v9, 9, v13
	v_lshlrev_b32_e32 v12, 2, v0
	s_movk_i32 s15, 0x50
	v_add3_u32 v9, v9, v12, s15
	s_mov_b64 s[34:35], 0
.LBB162_33:                             ; =>This Inner Loop Header: Depth=1
	ds_read2st64_b32 v[12:13], v9 offset1:2
	v_add_u32_e32 v8, -1, v8
	v_cmp_eq_u32_e32 vcc, 0, v8
	s_or_b64 s[34:35], vcc, s[34:35]
	s_waitcnt lgkmcnt(0)
	v_pk_mul_f32 v[12:13], v[2:3], v[12:13]
	ds_write2st64_b32 v9, v12, v13 offset1:2
	v_add_u32_e32 v9, 0x400, v9
	s_andn2_b64 exec, exec, s[34:35]
	s_cbranch_execnz .LBB162_33
.LBB162_34:
	s_or_b64 exec, exec, s[10:11]
	v_add_u32_e32 v7, 1, v7
	v_and_b32_e32 v8, 0x3fffffe, v7
	v_cmp_ne_u32_e32 vcc, v7, v8
	v_lshl_add_u32 v3, v8, 7, v0
	s_orn2_b64 s[10:11], vcc, exec
.LBB162_35:
	s_or_b64 exec, exec, s[8:9]
	s_and_b64 exec, exec, s[10:11]
	s_cbranch_execz .LBB162_38
; %bb.36:
	v_mov_b32_e32 v7, 0x50
	v_lshl_add_u32 v7, v3, 2, v7
	s_mov_b64 s[8:9], 0
.LBB162_37:                             ; =>This Inner Loop Header: Depth=1
	ds_read_b32 v8, v7
	v_add_u32_e32 v3, 0x80, v3
	v_cmp_le_i32_e32 vcc, s3, v3
	s_or_b64 s[8:9], vcc, s[8:9]
	s_waitcnt lgkmcnt(0)
	v_mul_f32_e32 v8, v2, v8
	ds_write_b32 v7, v8
	v_add_u32_e32 v7, 0x200, v7
	s_andn2_b64 exec, exec, s[8:9]
	s_cbranch_execnz .LBB162_37
.LBB162_38:
	s_or_b64 exec, exec, s[0:1]
	s_mul_i32 s0, s21, s24
	v_cmp_eq_u32_e32 vcc, 0, v0
	s_mul_i32 s0, s0, s5
	s_waitcnt lgkmcnt(0)
	s_barrier
	s_and_saveexec_b64 s[8:9], vcc
	s_cbranch_execz .LBB162_40
; %bb.39:
	s_ashr_i32 s1, s0, 31
	s_lshl_b64 s[10:11], s[0:1], 2
	s_add_u32 s1, s18, s10
	s_mul_i32 s2, s21, s2
	s_addc_u32 s5, s19, s11
	s_ashr_i32 s3, s2, 31
	s_lshl_b64 s[2:3], s[2:3], 2
	s_add_u32 s1, s1, s2
	s_addc_u32 s15, s5, s3
	s_ashr_i32 s5, s4, 31
	s_lshl_b64 s[4:5], s[4:5], 2
	s_add_u32 s18, s1, s4
	s_addc_u32 s19, s15, s5
	s_add_u32 s1, s16, s10
	s_addc_u32 s10, s17, s11
	;; [unrolled: 2-line block ×3, first 2 shown]
	s_add_u32 s2, s1, s4
	v_mov_b32_e32 v2, 0
	s_addc_u32 s3, s3, s5
	global_store_dword v2, v4, s[18:19]
	global_store_dword v2, v5, s[2:3]
.LBB162_40:
	s_or_b64 exec, exec, s[8:9]
	v_mov_b32_e32 v12, 0
	s_and_saveexec_b64 s[2:3], s[6:7]
	s_cbranch_execz .LBB162_110
; %bb.41:
	s_ashr_i32 s15, s14, 31
	s_lshl_b64 s[4:5], s[14:15], 1
	v_lshlrev_b32_e32 v2, 3, v0
	s_add_u32 s4, s30, s4
	v_lshlrev_b32_e32 v3, 4, v0
	v_and_b32_e32 v2, 8, v2
	s_addc_u32 s5, s31, s5
	v_and_b32_e32 v12, 0x3f0, v3
	v_mov_b32_e32 v13, 0
	v_lshl_add_u32 v3, v6, 4, s40
	v_lshl_add_u64 v[14:15], s[4:5], 0, v[12:13]
	s_add_i32 s41, s41, -1
	v_add3_u32 v19, v3, v2, 7
	v_and_b32_e32 v2, 1, v0
	s_lshl_b64 s[4:5], s[28:29], 2
	v_lshlrev_b32_e32 v2, 5, v2
	s_add_u32 s4, s26, s4
	v_lshl_or_b32 v2, v6, 6, v2
	s_addc_u32 s5, s27, s5
	s_mov_b32 s1, s13
	v_add_u32_e32 v20, 0x50, v2
	v_lshl_add_u64 v[16:17], v[10:11], 2, s[4:5]
	s_mov_b64 s[4:5], 0
	s_mov_b32 s8, 0x7f800000
	s_movk_i32 s9, 0x7fff
	v_mov_b32_e32 v12, 0
	s_branch .LBB162_43
.LBB162_42:                             ;   in Loop: Header=BB162_43 Depth=1
	s_or_b64 exec, exec, s[6:7]
	v_and_b32_e32 v6, 0xffff0000, v8
	v_and_b32_e32 v9, 0xffff0000, v11
	;; [unrolled: 1-line block ×5, first 2 shown]
	v_pk_add_f32 v[2:3], v[2:3], v[8:9]
	v_and_b32_e32 v7, 0xffff0000, v7
	v_and_b32_e32 v5, 0xffff0000, v5
	;; [unrolled: 1-line block ×3, first 2 shown]
	v_mov_b32_e32 v8, v3
	v_pk_add_f32 v[2:3], v[2:3], v[8:9]
	v_pk_add_f32 v[4:5], v[4:5], v[6:7]
	v_add_u32_e32 v10, 2, v10
	v_pk_add_f32 v[2:3], v[2:3], v[4:5]
	v_mov_b32_e32 v4, v5
	v_pk_add_f32 v[2:3], v[2:3], v[4:5]
	v_cmp_le_i32_e32 vcc, s33, v10
	v_add_f32_e32 v12, v12, v2
	v_add_u32_e32 v19, 32, v19
	v_add_u32_e32 v20, 0x80, v20
	s_or_b64 s[4:5], vcc, s[4:5]
	v_lshl_add_u64 v[16:17], v[16:17], 0, 8
	s_andn2_b64 exec, exec, s[4:5]
	s_cbranch_execz .LBB162_109
.LBB162_43:                             ; =>This Inner Loop Header: Depth=1
	global_load_dword v23, v[16:17], off
	ds_read2_b64 v[6:9], v20 offset1:1
	ds_read2_b64 v[2:5], v20 offset0:2 offset1:3
                                        ; implicit-def: $vgpr24
	s_waitcnt lgkmcnt(1)
	v_and_b32_e32 v11, 0x7f800000, v6
	v_cmp_ne_u32_e32 vcc, s8, v11
	s_and_saveexec_b64 s[6:7], vcc
	s_xor_b64 s[6:7], exec, s[6:7]
; %bb.44:                               ;   in Loop: Header=BB162_43 Depth=1
	v_bfe_u32 v11, v6, 16, 1
	v_add3_u32 v24, v6, v11, s9
; %bb.45:                               ;   in Loop: Header=BB162_43 Depth=1
	s_andn2_saveexec_b64 s[6:7], s[6:7]
; %bb.46:                               ;   in Loop: Header=BB162_43 Depth=1
	v_or_b32_e32 v11, 0x10000, v6
	v_cmp_eq_u32_sdwa vcc, v6, v13 src0_sel:WORD_0 src1_sel:DWORD
	s_nop 1
	v_cndmask_b32_e32 v24, v11, v6, vcc
; %bb.47:                               ;   in Loop: Header=BB162_43 Depth=1
	s_or_b64 exec, exec, s[6:7]
	v_and_b32_e32 v6, 0x7f800000, v7
	v_cmp_ne_u32_e32 vcc, s8, v6
                                        ; implicit-def: $vgpr22
	s_and_saveexec_b64 s[6:7], vcc
	s_xor_b64 s[6:7], exec, s[6:7]
; %bb.48:                               ;   in Loop: Header=BB162_43 Depth=1
	v_bfe_u32 v6, v7, 16, 1
	v_add3_u32 v22, v7, v6, s9
; %bb.49:                               ;   in Loop: Header=BB162_43 Depth=1
	s_andn2_saveexec_b64 s[6:7], s[6:7]
; %bb.50:                               ;   in Loop: Header=BB162_43 Depth=1
	v_or_b32_e32 v6, 0x10000, v7
	v_cmp_eq_u32_sdwa vcc, v7, v13 src0_sel:WORD_0 src1_sel:DWORD
	s_nop 1
	v_cndmask_b32_e32 v22, v6, v7, vcc
; %bb.51:                               ;   in Loop: Header=BB162_43 Depth=1
	s_or_b64 exec, exec, s[6:7]
	v_and_b32_e32 v6, 0x7f800000, v8
	v_cmp_ne_u32_e32 vcc, s8, v6
                                        ; implicit-def: $vgpr21
	s_and_saveexec_b64 s[6:7], vcc
	s_xor_b64 s[6:7], exec, s[6:7]
; %bb.52:                               ;   in Loop: Header=BB162_43 Depth=1
	v_bfe_u32 v6, v8, 16, 1
	v_add3_u32 v21, v8, v6, s9
; %bb.53:                               ;   in Loop: Header=BB162_43 Depth=1
	s_andn2_saveexec_b64 s[6:7], s[6:7]
; %bb.54:                               ;   in Loop: Header=BB162_43 Depth=1
	v_or_b32_e32 v6, 0x10000, v8
	v_cmp_eq_u32_sdwa vcc, v8, v13 src0_sel:WORD_0 src1_sel:DWORD
	s_nop 1
	v_cndmask_b32_e32 v21, v6, v8, vcc
; %bb.55:                               ;   in Loop: Header=BB162_43 Depth=1
	s_or_b64 exec, exec, s[6:7]
	v_and_b32_e32 v6, 0x7f800000, v9
	v_cmp_ne_u32_e32 vcc, s8, v6
                                        ; implicit-def: $vgpr11
	s_and_saveexec_b64 s[6:7], vcc
	s_xor_b64 s[6:7], exec, s[6:7]
; %bb.56:                               ;   in Loop: Header=BB162_43 Depth=1
	v_bfe_u32 v6, v9, 16, 1
	v_add3_u32 v11, v9, v6, s9
                                        ; implicit-def: $vgpr6_vgpr7_vgpr8_vgpr9
; %bb.57:                               ;   in Loop: Header=BB162_43 Depth=1
	s_andn2_saveexec_b64 s[6:7], s[6:7]
; %bb.58:                               ;   in Loop: Header=BB162_43 Depth=1
	v_or_b32_e32 v6, 0x10000, v9
	v_cmp_eq_u32_sdwa vcc, v9, v13 src0_sel:WORD_0 src1_sel:DWORD
	s_nop 1
	v_cndmask_b32_e32 v11, v6, v9, vcc
; %bb.59:                               ;   in Loop: Header=BB162_43 Depth=1
	s_or_b64 exec, exec, s[6:7]
	s_waitcnt lgkmcnt(0)
	v_and_b32_e32 v6, 0x7f800000, v2
	v_cmp_ne_u32_e32 vcc, s8, v6
                                        ; implicit-def: $vgpr9
	s_and_saveexec_b64 s[6:7], vcc
	s_xor_b64 s[6:7], exec, s[6:7]
; %bb.60:                               ;   in Loop: Header=BB162_43 Depth=1
	v_bfe_u32 v6, v2, 16, 1
	v_add3_u32 v9, v2, v6, s9
; %bb.61:                               ;   in Loop: Header=BB162_43 Depth=1
	s_andn2_saveexec_b64 s[6:7], s[6:7]
; %bb.62:                               ;   in Loop: Header=BB162_43 Depth=1
	v_or_b32_e32 v6, 0x10000, v2
	v_cmp_eq_u32_sdwa vcc, v2, v13 src0_sel:WORD_0 src1_sel:DWORD
	s_nop 1
	v_cndmask_b32_e32 v9, v6, v2, vcc
; %bb.63:                               ;   in Loop: Header=BB162_43 Depth=1
	s_or_b64 exec, exec, s[6:7]
	v_and_b32_e32 v2, 0x7f800000, v3
	v_cmp_ne_u32_e32 vcc, s8, v2
                                        ; implicit-def: $vgpr8
	s_and_saveexec_b64 s[6:7], vcc
	s_xor_b64 s[6:7], exec, s[6:7]
; %bb.64:                               ;   in Loop: Header=BB162_43 Depth=1
	v_bfe_u32 v2, v3, 16, 1
	v_add3_u32 v8, v3, v2, s9
; %bb.65:                               ;   in Loop: Header=BB162_43 Depth=1
	s_andn2_saveexec_b64 s[6:7], s[6:7]
; %bb.66:                               ;   in Loop: Header=BB162_43 Depth=1
	v_or_b32_e32 v2, 0x10000, v3
	v_cmp_eq_u32_sdwa vcc, v3, v13 src0_sel:WORD_0 src1_sel:DWORD
	s_nop 1
	v_cndmask_b32_e32 v8, v2, v3, vcc
; %bb.67:                               ;   in Loop: Header=BB162_43 Depth=1
	s_or_b64 exec, exec, s[6:7]
	v_and_b32_e32 v2, 0x7f800000, v4
	v_cmp_ne_u32_e32 vcc, s8, v2
                                        ; implicit-def: $vgpr7
	s_and_saveexec_b64 s[6:7], vcc
	s_xor_b64 s[6:7], exec, s[6:7]
; %bb.68:                               ;   in Loop: Header=BB162_43 Depth=1
	v_bfe_u32 v2, v4, 16, 1
	v_add3_u32 v7, v4, v2, s9
; %bb.69:                               ;   in Loop: Header=BB162_43 Depth=1
	s_andn2_saveexec_b64 s[6:7], s[6:7]
; %bb.70:                               ;   in Loop: Header=BB162_43 Depth=1
	v_or_b32_e32 v2, 0x10000, v4
	v_cmp_eq_u32_sdwa vcc, v4, v13 src0_sel:WORD_0 src1_sel:DWORD
	s_nop 1
	v_cndmask_b32_e32 v7, v2, v4, vcc
; %bb.71:                               ;   in Loop: Header=BB162_43 Depth=1
	s_or_b64 exec, exec, s[6:7]
	v_and_b32_e32 v2, 0x7f800000, v5
	v_cmp_ne_u32_e32 vcc, s8, v2
                                        ; implicit-def: $vgpr6
	s_and_saveexec_b64 s[6:7], vcc
	s_xor_b64 s[6:7], exec, s[6:7]
; %bb.72:                               ;   in Loop: Header=BB162_43 Depth=1
	v_bfe_u32 v2, v5, 16, 1
	v_add3_u32 v6, v5, v2, s9
                                        ; implicit-def: $vgpr2_vgpr3_vgpr4_vgpr5
; %bb.73:                               ;   in Loop: Header=BB162_43 Depth=1
	s_andn2_saveexec_b64 s[6:7], s[6:7]
; %bb.74:                               ;   in Loop: Header=BB162_43 Depth=1
	v_or_b32_e32 v2, 0x10000, v5
	v_cmp_eq_u32_sdwa vcc, v5, v13 src0_sel:WORD_0 src1_sel:DWORD
	s_nop 1
	v_cndmask_b32_e32 v6, v2, v5, vcc
; %bb.75:                               ;   in Loop: Header=BB162_43 Depth=1
	s_or_b64 exec, exec, s[6:7]
	s_waitcnt vmcnt(0)
	v_mad_i64_i32 v[2:3], s[6:7], v23, s1, 0
	v_lshl_add_u64 v[2:3], v[2:3], 1, v[14:15]
	global_load_dwordx4 v[2:5], v[2:3], off
	v_cmp_eq_u32_e32 vcc, s41, v10
	s_waitcnt vmcnt(0)
	v_lshrrev_b32_e32 v27, 16, v2
	v_lshrrev_b32_e32 v26, 16, v3
	;; [unrolled: 1-line block ×4, first 2 shown]
	s_and_saveexec_b64 s[6:7], vcc
	s_cbranch_execz .LBB162_77
; %bb.76:                               ;   in Loop: Header=BB162_43 Depth=1
	v_add_u32_e32 v28, -7, v19
	v_cmp_gt_i32_e32 vcc, s25, v28
	v_add_u32_e32 v28, -6, v19
	s_nop 0
	v_cndmask_b32_e32 v2, 0, v2, vcc
	v_cmp_gt_i32_e32 vcc, s25, v28
	v_add_u32_e32 v28, -5, v19
	s_nop 0
	v_cndmask_b32_e32 v27, 0, v27, vcc
	v_cmp_gt_i32_e32 vcc, s25, v28
	v_add_u32_e32 v28, -4, v19
	s_nop 0
	v_cndmask_b32_e32 v3, 0, v3, vcc
	v_cmp_gt_i32_e32 vcc, s25, v28
	v_add_u32_e32 v28, -3, v19
	s_nop 0
	v_cndmask_b32_e32 v26, 0, v26, vcc
	v_cmp_gt_i32_e32 vcc, s25, v28
	v_add_u32_e32 v28, -2, v19
	s_nop 0
	v_cndmask_b32_e32 v4, 0, v4, vcc
	v_cmp_gt_i32_e32 vcc, s25, v28
	v_add_u32_e32 v28, -1, v19
	s_nop 0
	v_cndmask_b32_e32 v25, 0, v25, vcc
	v_cmp_gt_i32_e32 vcc, s25, v28
	s_nop 1
	v_cndmask_b32_e32 v5, 0, v5, vcc
	v_cmp_gt_i32_e32 vcc, s25, v19
	s_nop 1
	v_cndmask_b32_e32 v23, 0, v23, vcc
.LBB162_77:                             ;   in Loop: Header=BB162_43 Depth=1
	s_or_b64 exec, exec, s[6:7]
	v_and_b32_e32 v24, 0xffff0000, v24
	v_lshlrev_b32_e32 v2, 16, v2
	v_mul_f32_e32 v24, v24, v2
	v_and_b32_e32 v2, 0x7f800000, v24
	v_cmp_ne_u32_e32 vcc, s8, v2
                                        ; implicit-def: $vgpr2
	s_and_saveexec_b64 s[6:7], vcc
	s_xor_b64 s[6:7], exec, s[6:7]
; %bb.78:                               ;   in Loop: Header=BB162_43 Depth=1
	v_bfe_u32 v2, v24, 16, 1
	v_add3_u32 v2, v24, v2, s9
                                        ; implicit-def: $vgpr24
; %bb.79:                               ;   in Loop: Header=BB162_43 Depth=1
	s_andn2_saveexec_b64 s[6:7], s[6:7]
; %bb.80:                               ;   in Loop: Header=BB162_43 Depth=1
	v_or_b32_e32 v2, 0x10000, v24
	v_cmp_eq_u32_sdwa vcc, v24, v13 src0_sel:WORD_0 src1_sel:DWORD
	s_nop 1
	v_cndmask_b32_e32 v2, v2, v24, vcc
; %bb.81:                               ;   in Loop: Header=BB162_43 Depth=1
	s_or_b64 exec, exec, s[6:7]
	v_and_b32_e32 v22, 0xffff0000, v22
	v_lshlrev_b32_e32 v24, 16, v27
	v_mul_f32_e32 v24, v22, v24
	v_and_b32_e32 v22, 0x7f800000, v24
	v_cmp_ne_u32_e32 vcc, s8, v22
                                        ; implicit-def: $vgpr22
	s_and_saveexec_b64 s[6:7], vcc
	s_xor_b64 s[6:7], exec, s[6:7]
; %bb.82:                               ;   in Loop: Header=BB162_43 Depth=1
	v_bfe_u32 v22, v24, 16, 1
	v_add3_u32 v22, v24, v22, s9
                                        ; implicit-def: $vgpr24
; %bb.83:                               ;   in Loop: Header=BB162_43 Depth=1
	s_andn2_saveexec_b64 s[6:7], s[6:7]
; %bb.84:                               ;   in Loop: Header=BB162_43 Depth=1
	v_or_b32_e32 v22, 0x10000, v24
	v_cmp_eq_u32_sdwa vcc, v24, v13 src0_sel:WORD_0 src1_sel:DWORD
	s_nop 1
	v_cndmask_b32_e32 v22, v22, v24, vcc
; %bb.85:                               ;   in Loop: Header=BB162_43 Depth=1
	s_or_b64 exec, exec, s[6:7]
	v_and_b32_e32 v21, 0xffff0000, v21
	v_lshlrev_b32_e32 v3, 16, v3
	v_mul_f32_e32 v21, v21, v3
	v_and_b32_e32 v3, 0x7f800000, v21
	v_cmp_ne_u32_e32 vcc, s8, v3
                                        ; implicit-def: $vgpr3
	s_and_saveexec_b64 s[6:7], vcc
	s_xor_b64 s[6:7], exec, s[6:7]
; %bb.86:                               ;   in Loop: Header=BB162_43 Depth=1
	v_bfe_u32 v3, v21, 16, 1
	v_add3_u32 v3, v21, v3, s9
                                        ; implicit-def: $vgpr21
; %bb.87:                               ;   in Loop: Header=BB162_43 Depth=1
	s_andn2_saveexec_b64 s[6:7], s[6:7]
; %bb.88:                               ;   in Loop: Header=BB162_43 Depth=1
	v_or_b32_e32 v3, 0x10000, v21
	v_cmp_eq_u32_sdwa vcc, v21, v13 src0_sel:WORD_0 src1_sel:DWORD
	s_nop 1
	v_cndmask_b32_e32 v3, v3, v21, vcc
; %bb.89:                               ;   in Loop: Header=BB162_43 Depth=1
	s_or_b64 exec, exec, s[6:7]
	v_and_b32_e32 v11, 0xffff0000, v11
	v_lshlrev_b32_e32 v21, 16, v26
	v_mul_f32_e32 v21, v11, v21
	v_and_b32_e32 v11, 0x7f800000, v21
	v_cmp_ne_u32_e32 vcc, s8, v11
                                        ; implicit-def: $vgpr11
	s_and_saveexec_b64 s[6:7], vcc
	s_xor_b64 s[6:7], exec, s[6:7]
; %bb.90:                               ;   in Loop: Header=BB162_43 Depth=1
	v_bfe_u32 v11, v21, 16, 1
	v_add3_u32 v11, v21, v11, s9
                                        ; implicit-def: $vgpr21
; %bb.91:                               ;   in Loop: Header=BB162_43 Depth=1
	s_andn2_saveexec_b64 s[6:7], s[6:7]
; %bb.92:                               ;   in Loop: Header=BB162_43 Depth=1
	v_or_b32_e32 v11, 0x10000, v21
	v_cmp_eq_u32_sdwa vcc, v21, v13 src0_sel:WORD_0 src1_sel:DWORD
	s_nop 1
	v_cndmask_b32_e32 v11, v11, v21, vcc
; %bb.93:                               ;   in Loop: Header=BB162_43 Depth=1
	s_or_b64 exec, exec, s[6:7]
	v_and_b32_e32 v9, 0xffff0000, v9
	v_lshlrev_b32_e32 v4, 16, v4
	v_mul_f32_e32 v9, v9, v4
	v_and_b32_e32 v4, 0x7f800000, v9
	v_cmp_ne_u32_e32 vcc, s8, v4
                                        ; implicit-def: $vgpr4
	s_and_saveexec_b64 s[6:7], vcc
	s_xor_b64 s[6:7], exec, s[6:7]
; %bb.94:                               ;   in Loop: Header=BB162_43 Depth=1
	v_bfe_u32 v4, v9, 16, 1
	v_add3_u32 v4, v9, v4, s9
                                        ; implicit-def: $vgpr9
; %bb.95:                               ;   in Loop: Header=BB162_43 Depth=1
	s_andn2_saveexec_b64 s[6:7], s[6:7]
; %bb.96:                               ;   in Loop: Header=BB162_43 Depth=1
	v_or_b32_e32 v4, 0x10000, v9
	v_cmp_eq_u32_sdwa vcc, v9, v13 src0_sel:WORD_0 src1_sel:DWORD
	s_nop 1
	v_cndmask_b32_e32 v4, v4, v9, vcc
; %bb.97:                               ;   in Loop: Header=BB162_43 Depth=1
	s_or_b64 exec, exec, s[6:7]
	v_and_b32_e32 v8, 0xffff0000, v8
	v_lshlrev_b32_e32 v9, 16, v25
	v_mul_f32_e32 v9, v8, v9
	v_and_b32_e32 v8, 0x7f800000, v9
	v_cmp_ne_u32_e32 vcc, s8, v8
                                        ; implicit-def: $vgpr8
	s_and_saveexec_b64 s[6:7], vcc
	s_xor_b64 s[6:7], exec, s[6:7]
; %bb.98:                               ;   in Loop: Header=BB162_43 Depth=1
	v_bfe_u32 v8, v9, 16, 1
	v_add3_u32 v8, v9, v8, s9
                                        ; implicit-def: $vgpr9
; %bb.99:                               ;   in Loop: Header=BB162_43 Depth=1
	s_andn2_saveexec_b64 s[6:7], s[6:7]
; %bb.100:                              ;   in Loop: Header=BB162_43 Depth=1
	v_or_b32_e32 v8, 0x10000, v9
	v_cmp_eq_u32_sdwa vcc, v9, v13 src0_sel:WORD_0 src1_sel:DWORD
	s_nop 1
	v_cndmask_b32_e32 v8, v8, v9, vcc
; %bb.101:                              ;   in Loop: Header=BB162_43 Depth=1
	s_or_b64 exec, exec, s[6:7]
	v_and_b32_e32 v7, 0xffff0000, v7
	v_lshlrev_b32_e32 v5, 16, v5
	v_mul_f32_e32 v7, v7, v5
	v_and_b32_e32 v5, 0x7f800000, v7
	v_cmp_ne_u32_e32 vcc, s8, v5
                                        ; implicit-def: $vgpr5
	s_and_saveexec_b64 s[6:7], vcc
	s_xor_b64 s[6:7], exec, s[6:7]
; %bb.102:                              ;   in Loop: Header=BB162_43 Depth=1
	v_bfe_u32 v5, v7, 16, 1
	v_add3_u32 v5, v7, v5, s9
                                        ; implicit-def: $vgpr7
; %bb.103:                              ;   in Loop: Header=BB162_43 Depth=1
	s_andn2_saveexec_b64 s[6:7], s[6:7]
; %bb.104:                              ;   in Loop: Header=BB162_43 Depth=1
	v_or_b32_e32 v5, 0x10000, v7
	v_cmp_eq_u32_sdwa vcc, v7, v13 src0_sel:WORD_0 src1_sel:DWORD
	s_nop 1
	v_cndmask_b32_e32 v5, v5, v7, vcc
; %bb.105:                              ;   in Loop: Header=BB162_43 Depth=1
	s_or_b64 exec, exec, s[6:7]
	v_and_b32_e32 v6, 0xffff0000, v6
	v_lshlrev_b32_e32 v7, 16, v23
	v_mul_f32_e32 v6, v6, v7
	v_and_b32_e32 v7, 0x7f800000, v6
	v_cmp_ne_u32_e32 vcc, s8, v7
                                        ; implicit-def: $vgpr7
	s_and_saveexec_b64 s[6:7], vcc
	s_xor_b64 s[6:7], exec, s[6:7]
; %bb.106:                              ;   in Loop: Header=BB162_43 Depth=1
	v_bfe_u32 v7, v6, 16, 1
	v_add3_u32 v7, v6, v7, s9
                                        ; implicit-def: $vgpr6
; %bb.107:                              ;   in Loop: Header=BB162_43 Depth=1
	s_andn2_saveexec_b64 s[6:7], s[6:7]
	s_cbranch_execz .LBB162_42
; %bb.108:                              ;   in Loop: Header=BB162_43 Depth=1
	v_or_b32_e32 v7, 0x10000, v6
	v_cmp_eq_u32_sdwa vcc, v6, v13 src0_sel:WORD_0 src1_sel:DWORD
	s_nop 1
	v_cndmask_b32_e32 v7, v7, v6, vcc
	s_branch .LBB162_42
.LBB162_109:
	s_or_b64 exec, exec, s[4:5]
.LBB162_110:
	s_or_b64 exec, exec, s[2:3]
	ds_bpermute_b32 v2, v18, v12
	v_and_b32_e32 v3, 0x3c1, v0
	v_cmp_eq_u32_e32 vcc, 64, v3
	s_waitcnt lgkmcnt(0)
	s_barrier
	v_add_f32_e32 v2, v12, v2
	s_and_saveexec_b64 s[2:3], vcc
	s_cbranch_execz .LBB162_112
; %bb.111:
	v_mov_b32_e32 v4, 0x50
	v_lshl_add_u32 v1, v1, 1, v4
	ds_write_b32 v1, v2
.LBB162_112:
	s_or_b64 exec, exec, s[2:3]
	v_cmp_eq_u32_e32 vcc, 0, v3
	s_waitcnt lgkmcnt(0)
	s_barrier
	s_and_saveexec_b64 s[2:3], vcc
	s_cbranch_execz .LBB162_114
; %bb.113:
	v_mov_b32_e32 v1, 0x50
	v_lshl_add_u32 v1, v0, 1, v1
	ds_read_b32 v1, v1
	s_waitcnt lgkmcnt(0)
	v_add_f32_e32 v2, v2, v1
.LBB162_114:
	s_or_b64 exec, exec, s[2:3]
	s_barrier
	s_and_saveexec_b64 s[2:3], vcc
	s_cbranch_execz .LBB162_120
; %bb.115:
	s_mov_b32 s1, 0x7f800000
	v_and_b32_e32 v1, 0x7f800000, v2
	v_cmp_ne_u32_e32 vcc, s1, v1
                                        ; implicit-def: $vgpr1
	s_and_saveexec_b64 s[2:3], vcc
	s_xor_b64 s[2:3], exec, s[2:3]
; %bb.116:
	v_bfe_u32 v1, v2, 16, 1
	s_movk_i32 s1, 0x7fff
	v_add3_u32 v1, v2, v1, s1
                                        ; implicit-def: $vgpr2
; %bb.117:
	s_andn2_saveexec_b64 s[2:3], s[2:3]
; %bb.118:
	v_mov_b32_e32 v1, 0
	v_or_b32_e32 v3, 0x10000, v2
	v_cmp_eq_u32_sdwa vcc, v2, v1 src0_sel:WORD_0 src1_sel:DWORD
	s_nop 1
	v_cndmask_b32_e32 v1, v3, v2, vcc
; %bb.119:
	s_or_b64 exec, exec, s[2:3]
	s_lshl_b32 s0, s0, 5
	s_ashr_i32 s1, s0, 31
	s_lshl_b64 s[0:1], s[0:1], 1
	s_add_u32 s2, s22, s0
	s_mul_i32 s0, s21, s20
	s_addc_u32 s3, s23, s1
	s_ashr_i32 s1, s0, 31
	s_lshl_b64 s[0:1], s[0:1], 1
	s_add_u32 s2, s2, s0
	s_addc_u32 s3, s3, s1
	s_ashr_i32 s13, s12, 31
	s_lshl_b64 s[0:1], s[12:13], 1
	s_add_u32 s0, s2, s0
	s_addc_u32 s1, s3, s1
	global_store_short_d16_hi v0, v1, s[0:1]
.LBB162_120:
	s_endpgm
	.section	.rodata,"a",@progbits
	.p2align	6, 0x0
	.amdhsa_kernel _ZN4vllm25paged_attention_v2_kernelI14__hip_bfloat16S1_Li32ELi16ELi128ELNS_18Fp8KVCacheDataTypeE0ELb0ELi512EEEvPfS3_PT_PKS4_PKT0_SA_ifPKiSC_iPKfiiiSE_SE_iiiii
		.amdhsa_group_segment_fixed_size 80
		.amdhsa_private_segment_fixed_size 0
		.amdhsa_kernarg_size 400
		.amdhsa_user_sgpr_count 2
		.amdhsa_user_sgpr_dispatch_ptr 0
		.amdhsa_user_sgpr_queue_ptr 0
		.amdhsa_user_sgpr_kernarg_segment_ptr 1
		.amdhsa_user_sgpr_dispatch_id 0
		.amdhsa_user_sgpr_kernarg_preload_length 0
		.amdhsa_user_sgpr_kernarg_preload_offset 0
		.amdhsa_user_sgpr_private_segment_size 0
		.amdhsa_uses_dynamic_stack 0
		.amdhsa_enable_private_segment 0
		.amdhsa_system_sgpr_workgroup_id_x 1
		.amdhsa_system_sgpr_workgroup_id_y 1
		.amdhsa_system_sgpr_workgroup_id_z 1
		.amdhsa_system_sgpr_workgroup_info 0
		.amdhsa_system_vgpr_workitem_id 0
		.amdhsa_next_free_vgpr 32
		.amdhsa_next_free_sgpr 42
		.amdhsa_accum_offset 32
		.amdhsa_reserve_vcc 1
		.amdhsa_float_round_mode_32 0
		.amdhsa_float_round_mode_16_64 0
		.amdhsa_float_denorm_mode_32 3
		.amdhsa_float_denorm_mode_16_64 3
		.amdhsa_dx10_clamp 1
		.amdhsa_ieee_mode 1
		.amdhsa_fp16_overflow 0
		.amdhsa_tg_split 0
		.amdhsa_exception_fp_ieee_invalid_op 0
		.amdhsa_exception_fp_denorm_src 0
		.amdhsa_exception_fp_ieee_div_zero 0
		.amdhsa_exception_fp_ieee_overflow 0
		.amdhsa_exception_fp_ieee_underflow 0
		.amdhsa_exception_fp_ieee_inexact 0
		.amdhsa_exception_int_div_zero 0
	.end_amdhsa_kernel
	.section	.text._ZN4vllm25paged_attention_v2_kernelI14__hip_bfloat16S1_Li32ELi16ELi128ELNS_18Fp8KVCacheDataTypeE0ELb0ELi512EEEvPfS3_PT_PKS4_PKT0_SA_ifPKiSC_iPKfiiiSE_SE_iiiii,"axG",@progbits,_ZN4vllm25paged_attention_v2_kernelI14__hip_bfloat16S1_Li32ELi16ELi128ELNS_18Fp8KVCacheDataTypeE0ELb0ELi512EEEvPfS3_PT_PKS4_PKT0_SA_ifPKiSC_iPKfiiiSE_SE_iiiii,comdat
.Lfunc_end162:
	.size	_ZN4vllm25paged_attention_v2_kernelI14__hip_bfloat16S1_Li32ELi16ELi128ELNS_18Fp8KVCacheDataTypeE0ELb0ELi512EEEvPfS3_PT_PKS4_PKT0_SA_ifPKiSC_iPKfiiiSE_SE_iiiii, .Lfunc_end162-_ZN4vllm25paged_attention_v2_kernelI14__hip_bfloat16S1_Li32ELi16ELi128ELNS_18Fp8KVCacheDataTypeE0ELb0ELi512EEEvPfS3_PT_PKS4_PKT0_SA_ifPKiSC_iPKfiiiSE_SE_iiiii
                                        ; -- End function
	.section	.AMDGPU.csdata,"",@progbits
; Kernel info:
; codeLenInByte = 4768
; NumSgprs: 48
; NumVgprs: 32
; NumAgprs: 0
; TotalNumVgprs: 32
; ScratchSize: 0
; MemoryBound: 0
; FloatMode: 240
; IeeeMode: 1
; LDSByteSize: 80 bytes/workgroup (compile time only)
; SGPRBlocks: 5
; VGPRBlocks: 3
; NumSGPRsForWavesPerEU: 48
; NumVGPRsForWavesPerEU: 32
; AccumOffset: 32
; Occupancy: 8
; WaveLimiterHint : 1
; COMPUTE_PGM_RSRC2:SCRATCH_EN: 0
; COMPUTE_PGM_RSRC2:USER_SGPR: 2
; COMPUTE_PGM_RSRC2:TRAP_HANDLER: 0
; COMPUTE_PGM_RSRC2:TGID_X_EN: 1
; COMPUTE_PGM_RSRC2:TGID_Y_EN: 1
; COMPUTE_PGM_RSRC2:TGID_Z_EN: 1
; COMPUTE_PGM_RSRC2:TIDIG_COMP_CNT: 0
; COMPUTE_PGM_RSRC3_GFX90A:ACCUM_OFFSET: 7
; COMPUTE_PGM_RSRC3_GFX90A:TG_SPLIT: 0
	.section	.text._ZN4vllm25paged_attention_v2_kernelI14__hip_bfloat16S1_Li64ELi16ELi128ELNS_18Fp8KVCacheDataTypeE0ELb0ELi512EEEvPfS3_PT_PKS4_PKT0_SA_ifPKiSC_iPKfiiiSE_SE_iiiii,"axG",@progbits,_ZN4vllm25paged_attention_v2_kernelI14__hip_bfloat16S1_Li64ELi16ELi128ELNS_18Fp8KVCacheDataTypeE0ELb0ELi512EEEvPfS3_PT_PKS4_PKT0_SA_ifPKiSC_iPKfiiiSE_SE_iiiii,comdat
	.protected	_ZN4vllm25paged_attention_v2_kernelI14__hip_bfloat16S1_Li64ELi16ELi128ELNS_18Fp8KVCacheDataTypeE0ELb0ELi512EEEvPfS3_PT_PKS4_PKT0_SA_ifPKiSC_iPKfiiiSE_SE_iiiii ; -- Begin function _ZN4vllm25paged_attention_v2_kernelI14__hip_bfloat16S1_Li64ELi16ELi128ELNS_18Fp8KVCacheDataTypeE0ELb0ELi512EEEvPfS3_PT_PKS4_PKT0_SA_ifPKiSC_iPKfiiiSE_SE_iiiii
	.globl	_ZN4vllm25paged_attention_v2_kernelI14__hip_bfloat16S1_Li64ELi16ELi128ELNS_18Fp8KVCacheDataTypeE0ELb0ELi512EEEvPfS3_PT_PKS4_PKT0_SA_ifPKiSC_iPKfiiiSE_SE_iiiii
	.p2align	8
	.type	_ZN4vllm25paged_attention_v2_kernelI14__hip_bfloat16S1_Li64ELi16ELi128ELNS_18Fp8KVCacheDataTypeE0ELb0ELi512EEEvPfS3_PT_PKS4_PKT0_SA_ifPKiSC_iPKfiiiSE_SE_iiiii,@function
_ZN4vllm25paged_attention_v2_kernelI14__hip_bfloat16S1_Li64ELi16ELi128ELNS_18Fp8KVCacheDataTypeE0ELb0ELi512EEEvPfS3_PT_PKS4_PKT0_SA_ifPKiSC_iPKfiiiSE_SE_iiiii: ; @_ZN4vllm25paged_attention_v2_kernelI14__hip_bfloat16S1_Li64ELi16ELi128ELNS_18Fp8KVCacheDataTypeE0ELb0ELi512EEEvPfS3_PT_PKS4_PKT0_SA_ifPKiSC_iPKfiiiSE_SE_iiiii
; %bb.0:
	s_load_dwordx2 s[6:7], s[0:1], 0x40
	s_mov_b32 s20, s3
	s_ashr_i32 s21, s3, 31
	s_lshl_b64 s[8:9], s[20:21], 2
	s_waitcnt lgkmcnt(0)
	s_add_u32 s6, s6, s8
	s_addc_u32 s7, s7, s9
	s_load_dword s33, s[6:7], 0x0
	s_lshl_b32 s40, s4, 9
	s_waitcnt lgkmcnt(0)
	s_cmp_ge_i32 s40, s33
	s_cbranch_scc1 .LBB163_163
; %bb.1:
	s_load_dword s21, s[0:1], 0x90
	s_load_dwordx2 s[10:11], s[0:1], 0x30
	s_waitcnt lgkmcnt(0)
	s_abs_i32 s6, s21
	s_abs_i32 s3, s10
	v_cvt_f32_u32_e32 v1, s3
	s_sub_i32 s7, 0, s3
	s_xor_b32 s5, s21, s10
	s_ashr_i32 s5, s5, 31
	v_rcp_iflag_f32_e32 v1, v1
	s_nop 0
	v_mul_f32_e32 v1, 0x4f7ffffe, v1
	v_cvt_u32_f32_e32 v1, v1
	s_nop 0
	v_readfirstlane_b32 s8, v1
	s_mul_i32 s7, s7, s8
	s_mul_hi_u32 s7, s8, s7
	s_add_i32 s8, s8, s7
	s_mul_hi_u32 s7, s6, s8
	s_mul_i32 s8, s7, s3
	s_sub_i32 s6, s6, s8
	s_add_i32 s9, s7, 1
	s_sub_i32 s8, s6, s3
	s_cmp_ge_u32 s6, s3
	s_cselect_b32 s7, s9, s7
	s_cselect_b32 s6, s8, s6
	s_add_i32 s8, s7, 1
	s_cmp_ge_u32 s6, s3
	s_cselect_b32 s3, s8, s7
	s_xor_b32 s3, s3, s5
	s_sub_i32 s17, s3, s5
	s_abs_i32 s8, s17
	v_cvt_f32_u32_e32 v1, s8
	s_load_dwordx2 s[6:7], s[0:1], 0x50
	s_sub_i32 s3, 0, s8
	s_abs_i32 s9, s2
	v_rcp_iflag_f32_e32 v1, v1
	s_mov_b32 s5, 0
	v_mul_f32_e32 v1, 0x4f7ffffe, v1
	v_cvt_u32_f32_e32 v1, v1
	s_nop 0
	v_readfirstlane_b32 s10, v1
	s_mul_i32 s3, s3, s10
	s_mul_hi_u32 s3, s10, s3
	s_add_i32 s10, s10, s3
	s_waitcnt lgkmcnt(0)
	s_cmp_eq_u64 s[6:7], 0
	s_mul_hi_u32 s10, s9, s10
	s_cbranch_scc1 .LBB163_3
; %bb.2:
	s_ashr_i32 s3, s2, 31
	s_lshl_b64 s[12:13], s[2:3], 2
	s_add_u32 s6, s6, s12
	s_addc_u32 s7, s7, s13
	s_load_dword s5, s[6:7], 0x0
.LBB163_3:
	s_load_dwordx4 s[12:15], s[0:1], 0x58
	s_ashr_i32 s16, s2, 31
	s_waitcnt lgkmcnt(0)
	s_ashr_i32 s15, s17, 31
	v_and_b32_e32 v4, 3, v0
	s_lshl_b32 s22, s2, 6
	v_cmp_gt_u32_e32 vcc, 32, v0
	s_and_saveexec_b64 s[6:7], vcc
	s_cbranch_execz .LBB163_5
; %bb.4:
	s_load_dwordx2 s[18:19], s[0:1], 0x18
	s_mul_i32 s24, s20, s12
	s_ashr_i32 s25, s24, 31
	s_lshl_b64 s[24:25], s[24:25], 1
	v_lshlrev_b32_e32 v1, 2, v0
	s_waitcnt lgkmcnt(0)
	s_add_u32 s3, s18, s24
	s_addc_u32 s12, s19, s25
	s_ashr_i32 s23, s22, 31
	s_lshl_b64 s[18:19], s[22:23], 1
	s_add_u32 s18, s3, s18
	s_addc_u32 s19, s12, s19
	global_load_dword v1, v1, s[18:19]
	v_and_b32_e32 v2, 0x3fc, v0
	v_lshl_add_u32 v2, v4, 5, v2
	s_waitcnt vmcnt(0)
	ds_write_b32 v2, v1
.LBB163_5:
	s_or_b64 exec, exec, s[6:7]
	s_add_i32 s3, s33, 15
	s_ashr_i32 s6, s3, 31
	s_lshr_b32 s6, s6, 28
	s_add_i32 s3, s3, s6
	s_ashr_i32 s41, s3, 4
	s_lshl_b32 s3, s4, 5
	s_mul_i32 s7, s10, s8
	s_add_i32 s6, s3, 32
	s_sub_i32 s7, s9, s7
	s_min_i32 s23, s6, s41
	s_xor_b32 s6, s16, s15
	s_add_i32 s9, s10, 1
	s_sub_i32 s12, s7, s8
	s_cmp_ge_u32 s7, s8
	s_cselect_b32 s9, s9, s10
	s_cselect_b32 s7, s12, s7
	s_add_i32 s10, s9, 1
	s_cmp_ge_u32 s7, s8
	s_load_dwordx2 s[26:27], s[0:1], 0x38
	s_load_dword s8, s[0:1], 0x48
	v_lshrrev_b32_e32 v6, 6, v0
	s_cselect_b32 s7, s10, s9
	s_xor_b32 s7, s7, s6
	v_or_b32_e32 v10, s3, v6
	s_waitcnt lgkmcnt(0)
	s_mul_i32 s28, s20, s8
	s_sub_i32 s10, s7, s6
	s_ashr_i32 s29, s28, 31
	v_cmp_gt_i32_e64 s[6:7], s23, v10
	v_cmp_le_i32_e32 vcc, s23, v10
	v_mbcnt_lo_u32_b32 v5, -1, 0
	s_barrier
	s_waitcnt lgkmcnt(0)
                                        ; implicit-def: $sgpr15
                                        ; implicit-def: $vgpr7
                                        ; implicit-def: $vgpr8
	s_and_saveexec_b64 s[8:9], vcc
	s_xor_b64 s[8:9], exec, s[8:9]
; %bb.6:
	v_mbcnt_hi_u32_b32 v7, -1, v5
	v_and_b32_e32 v1, 64, v7
	v_add_u32_e32 v8, 64, v1
	s_mov_b32 s15, 0xff7fffff
                                        ; implicit-def: $vgpr4
                                        ; implicit-def: $vgpr5
; %bb.7:
	s_or_saveexec_b64 s[34:35], s[8:9]
	s_load_dwordx4 s[16:19], s[0:1], 0x0
	s_load_dwordx2 s[24:25], s[0:1], 0x10
	s_load_dwordx2 s[30:31], s[0:1], 0x28
	s_load_dword s12, s[0:1], 0x98
	v_mov_b32_e32 v23, s15
	s_mul_i32 s14, s10, s14
	v_ashrrev_i32_e32 v11, 31, v10
	s_xor_b64 exec, exec, s[34:35]
	s_cbranch_execz .LBB163_13
; %bb.8:
	s_load_dwordx2 s[0:1], s[0:1], 0x20
	s_ashr_i32 s15, s14, 31
	s_lshl_b64 s[8:9], s[14:15], 1
	v_bfe_u32 v23, v0, 2, 4
	v_lshlrev_b32_e32 v2, 4, v23
	s_waitcnt lgkmcnt(0)
	s_add_u32 s0, s0, s8
	s_addc_u32 s1, s1, s9
	v_mov_b32_e32 v3, 0
	v_lshlrev_b32_e32 v1, 5, v4
	v_lshl_add_u64 v[8:9], s[0:1], 0, v[2:3]
	ds_read_b128 v[14:17], v1
	ds_read_b128 v[24:27], v1 offset:16
	v_lshlrev_b32_e32 v2, 2, v0
	v_mbcnt_hi_u32_b32 v7, -1, v5
	v_and_b32_e32 v2, 12, v2
	v_and_b32_e32 v5, 64, v7
	v_lshl_add_u64 v[2:3], v[8:9], 0, v[2:3]
	v_add_u32_e32 v8, 64, v5
	v_xor_b32_e32 v5, 2, v7
	v_cmp_lt_i32_e32 vcc, v5, v8
	s_waitcnt lgkmcnt(0)
	v_lshlrev_b32_e32 v18, 16, v24
	v_and_b32_e32 v19, 0xffff0000, v24
	v_cndmask_b32_e32 v5, v7, v5, vcc
	v_lshlrev_b32_e32 v20, 16, v25
	v_and_b32_e32 v21, 0xffff0000, v25
	v_lshlrev_b32_e32 v22, 16, v26
	v_and_b32_e32 v24, 0xffff0000, v26
	;; [unrolled: 2-line block ×3, first 2 shown]
	v_lshlrev_b32_e32 v27, 2, v5
	v_xor_b32_e32 v5, 1, v7
	v_cmp_lt_i32_e32 vcc, v5, v8
	s_sub_i32 s15, 1, s33
	s_lshl_b64 s[8:9], s[28:29], 2
	v_cndmask_b32_e32 v5, v7, v5, vcc
	v_cmp_eq_u32_e32 vcc, 0, v4
	v_lshlrev_b32_e32 v4, 4, v6
	v_add3_u32 v29, s40, v4, v23
	v_lshlrev_b32_e32 v4, 2, v23
	s_add_u32 s8, s26, s8
	v_lshl_or_b32 v4, v6, 6, v4
	s_addc_u32 s9, s27, s9
	s_mov_b32 s10, s13
	v_lshlrev_b32_e32 v1, 16, v14
	v_and_b32_e32 v9, 0xffff0000, v14
	v_lshlrev_b32_e32 v12, 16, v15
	v_and_b32_e32 v13, 0xffff0000, v15
	;; [unrolled: 2-line block ×4, first 2 shown]
	v_lshlrev_b32_e32 v28, 2, v5
	v_cmp_neq_f32_e64 s[0:1], s5, 0
	v_add_u32_e32 v30, 0x90, v4
	v_lshl_add_u64 v[4:5], v[10:11], 2, s[8:9]
	s_mov_b64 s[36:37], 0
	v_mov_b32_e32 v23, 0xff7fffff
	v_mov_b32_e32 v31, v10
	s_branch .LBB163_10
.LBB163_9:                              ;   in Loop: Header=BB163_10 Depth=1
	s_or_b64 exec, exec, s[38:39]
	v_add_u32_e32 v31, 2, v31
	v_cmp_le_i32_e64 s[8:9], s23, v31
	v_add_u32_e32 v29, 32, v29
	v_add_u32_e32 v30, 0x80, v30
	s_or_b64 s[36:37], s[8:9], s[36:37]
	v_lshl_add_u64 v[4:5], v[4:5], 0, 8
	s_andn2_b64 exec, exec, s[36:37]
	s_cbranch_execz .LBB163_12
.LBB163_10:                             ; =>This Inner Loop Header: Depth=1
	global_load_dword v32, v[4:5], off
	s_waitcnt vmcnt(0) lgkmcnt(0)
	v_mad_i64_i32 v[32:33], s[8:9], v32, s10, 0
	v_lshl_add_u64 v[32:33], v[32:33], 1, v[2:3]
	global_load_dword v34, v[32:33], off
	global_load_dword v35, v[32:33], off offset:256
	global_load_dword v36, v[32:33], off offset:512
	;; [unrolled: 1-line block ×7, first 2 shown]
	s_waitcnt vmcnt(7)
	v_lshlrev_b32_e32 v32, 16, v34
	v_and_b32_e32 v33, 0xffff0000, v34
	s_waitcnt vmcnt(6)
	v_lshlrev_b32_e32 v34, 16, v35
	v_and_b32_e32 v35, 0xffff0000, v35
	v_mul_f32_e32 v34, v12, v34
	v_mul_f32_e32 v35, v13, v35
	s_waitcnt vmcnt(5)
	v_lshlrev_b32_e32 v42, 16, v36
	v_and_b32_e32 v36, 0xffff0000, v36
	v_fmac_f32_e32 v34, v1, v32
	v_fmac_f32_e32 v35, v9, v33
	s_waitcnt vmcnt(4)
	v_lshlrev_b32_e32 v43, 16, v37
	v_and_b32_e32 v37, 0xffff0000, v37
	v_fmac_f32_e32 v34, v14, v42
	v_fmac_f32_e32 v35, v15, v36
	;; [unrolled: 5-line block ×6, first 2 shown]
	v_fmac_f32_e32 v34, v25, v47
	v_fmac_f32_e32 v35, v26, v41
	v_add_f32_e32 v32, v34, v35
	ds_bpermute_b32 v33, v27, v32
	s_waitcnt lgkmcnt(0)
	v_add_f32_e32 v32, v32, v33
	ds_bpermute_b32 v33, v28, v32
	s_and_saveexec_b64 s[38:39], vcc
	s_cbranch_execz .LBB163_9
; %bb.11:                               ;   in Loop: Header=BB163_10 Depth=1
	v_add_u32_e32 v34, s15, v29
	v_cvt_f32_i32_e32 v34, v34
	s_waitcnt lgkmcnt(0)
	v_add_f32_e32 v32, v32, v33
	v_cmp_gt_i32_e64 s[8:9], s33, v29
	v_max_f32_e32 v33, v23, v23
	v_mul_f32_e32 v34, s5, v34
	v_cndmask_b32_e64 v34, 0, v34, s[0:1]
	v_fmac_f32_e32 v34, s11, v32
	v_cndmask_b32_e64 v32, 0, v34, s[8:9]
	ds_write_b32 v30, v32
	v_max_f32_e32 v32, v33, v34
	v_cndmask_b32_e64 v23, v23, v32, s[8:9]
	s_branch .LBB163_9
.LBB163_12:
	s_or_b64 exec, exec, s[36:37]
.LBB163_13:
	s_or_b64 exec, exec, s[34:35]
	v_xor_b32_e32 v1, 32, v7
	v_cmp_lt_i32_e32 vcc, v1, v8
	v_xor_b32_e32 v4, 16, v7
	v_max_f32_e32 v3, v23, v23
	v_cndmask_b32_e32 v1, v7, v1, vcc
	v_lshlrev_b32_e32 v2, 2, v1
	ds_bpermute_b32 v1, v2, v23
	v_cmp_lt_i32_e32 vcc, v4, v8
	v_xor_b32_e32 v5, 8, v7
	s_waitcnt lgkmcnt(0)
	v_max_f32_e32 v1, v1, v1
	v_max_f32_e32 v1, v3, v1
	v_cndmask_b32_e32 v3, v7, v4, vcc
	v_lshlrev_b32_e32 v3, 2, v3
	ds_bpermute_b32 v4, v3, v1
	v_cmp_lt_i32_e32 vcc, v5, v8
	s_waitcnt lgkmcnt(0)
	v_max_f32_e32 v4, v4, v4
	v_max_f32_e32 v1, v1, v4
	v_cndmask_b32_e32 v4, v7, v5, vcc
	v_lshlrev_b32_e32 v12, 2, v4
	ds_bpermute_b32 v4, v12, v1
	v_xor_b32_e32 v5, 4, v7
	v_cmp_lt_i32_e32 vcc, v5, v8
	s_waitcnt lgkmcnt(0)
	v_max_f32_e32 v4, v4, v4
	v_max_f32_e32 v4, v1, v4
	v_cndmask_b32_e32 v1, v7, v5, vcc
	v_lshlrev_b32_e32 v13, 2, v1
	ds_bpermute_b32 v9, v13, v4
	v_and_b32_e32 v1, 63, v0
	v_cmp_eq_u32_e32 vcc, 0, v1
	v_lshlrev_b32_e32 v5, 2, v6
	s_and_saveexec_b64 s[0:1], vcc
	s_cbranch_execz .LBB163_15
; %bb.14:
	s_waitcnt lgkmcnt(0)
	v_max_f32_e32 v9, v9, v9
	v_max_f32_e32 v4, v4, v4
	;; [unrolled: 1-line block ×3, first 2 shown]
	ds_write_b32 v5, v4 offset:128
.LBB163_15:
	s_or_b64 exec, exec, s[0:1]
	v_cmp_gt_u32_e64 s[0:1], 2, v1
	v_mov_b32_e32 v4, 0xff7fffff
	s_waitcnt lgkmcnt(0)
	v_lshlrev_b32_e32 v9, 2, v1
	s_barrier
	s_and_saveexec_b64 s[8:9], s[0:1]
	s_cbranch_execz .LBB163_17
; %bb.16:
	ds_read_b32 v4, v9 offset:128
.LBB163_17:
	s_or_b64 exec, exec, s[8:9]
	v_xor_b32_e32 v14, 1, v7
	v_cmp_lt_i32_e64 s[8:9], v14, v8
	s_sub_i32 s3, s23, s3
	s_lshl_b32 s3, s3, 4
	v_cndmask_b32_e64 v14, v7, v14, s[8:9]
	v_lshlrev_b32_e32 v20, 2, v14
	s_waitcnt lgkmcnt(0)
	ds_bpermute_b32 v14, v20, v4
	v_max_f32_e32 v4, v4, v4
	s_add_i32 s3, s3, s40
	s_min_i32 s5, s3, s33
	s_sub_i32 s3, s5, s40
	s_waitcnt lgkmcnt(0)
	v_max_f32_e32 v14, v14, v14
	v_max_f32_e32 v4, v4, v14
	v_lshlrev_b32_e32 v14, 2, v7
	v_and_b32_e32 v14, 0xffffff00, v14
	ds_bpermute_b32 v4, v14, v4
	v_cmp_gt_i32_e64 s[8:9], s3, v0
	v_mov_b32_e32 v15, 0
	s_and_saveexec_b64 s[34:35], s[8:9]
	s_cbranch_execz .LBB163_21
; %bb.18:
	v_mov_b32_e32 v15, 0x90
	v_lshl_add_u32 v16, v0, 2, v15
	s_mov_b64 s[36:37], 0
	v_mov_b32_e32 v15, 0
	v_mov_b32_e32 v17, v0
.LBB163_19:                             ; =>This Inner Loop Header: Depth=1
	ds_read_b32 v18, v16
	v_add_u32_e32 v17, 0x80, v17
	v_cmp_le_i32_e64 s[10:11], s3, v17
	s_or_b64 s[36:37], s[10:11], s[36:37]
	s_waitcnt lgkmcnt(0)
	v_sub_f32_e32 v18, v18, v4
	v_mul_f32_e32 v18, 0x3fb8aa3b, v18
	v_exp_f32_e32 v18, v18
	ds_write_b32 v16, v18
	v_add_f32_e32 v15, v15, v18
	v_add_u32_e32 v16, 0x200, v16
	s_andn2_b64 exec, exec, s[36:37]
	s_cbranch_execnz .LBB163_19
; %bb.20:
	s_or_b64 exec, exec, s[36:37]
.LBB163_21:
	s_or_b64 exec, exec, s[34:35]
	ds_bpermute_b32 v2, v2, v15
	s_waitcnt lgkmcnt(0)
	v_add_f32_e32 v2, v15, v2
	ds_bpermute_b32 v3, v3, v2
	s_waitcnt lgkmcnt(0)
	v_add_f32_e32 v2, v2, v3
	ds_bpermute_b32 v3, v12, v2
	v_xor_b32_e32 v12, 2, v7
	v_cmp_lt_i32_e64 s[10:11], v12, v8
	s_waitcnt lgkmcnt(0)
	v_add_f32_e32 v2, v2, v3
	ds_bpermute_b32 v3, v13, v2
	v_cndmask_b32_e64 v7, v7, v12, s[10:11]
	s_waitcnt lgkmcnt(0)
	v_add_f32_e32 v2, v2, v3
	v_lshlrev_b32_e32 v3, 2, v7
	ds_bpermute_b32 v3, v3, v2
	s_waitcnt lgkmcnt(0)
	v_add_f32_e32 v2, v2, v3
	ds_bpermute_b32 v3, v20, v2
	s_waitcnt lgkmcnt(0)
	v_add_f32_e32 v2, v2, v3
	s_and_saveexec_b64 s[10:11], vcc
	s_cbranch_execz .LBB163_23
; %bb.22:
	ds_write_b32 v5, v2 offset:136
.LBB163_23:
	s_or_b64 exec, exec, s[10:11]
	s_waitcnt lgkmcnt(0)
	s_barrier
	s_and_saveexec_b64 s[10:11], s[0:1]
	s_cbranch_execz .LBB163_25
; %bb.24:
	ds_read_b32 v2, v9 offset:136
.LBB163_25:
	s_or_b64 exec, exec, s[10:11]
	s_waitcnt lgkmcnt(0)
	ds_bpermute_b32 v3, v20, v2
	s_waitcnt lgkmcnt(0)
	v_add_f32_e32 v2, v2, v3
	ds_bpermute_b32 v5, v14, v2
	s_and_saveexec_b64 s[0:1], s[8:9]
	s_cbranch_execz .LBB163_38
; %bb.26:
	s_waitcnt lgkmcnt(0)
	v_add_f32_e32 v2, 0x358637bd, v5
	v_div_scale_f32 v3, s[8:9], v2, v2, 1.0
	v_rcp_f32_e32 v7, v3
	v_div_scale_f32 v8, vcc, 1.0, v2, 1.0
	s_mov_b64 s[10:11], -1
	v_fma_f32 v9, -v3, v7, 1.0
	v_fmac_f32_e32 v7, v9, v7
	v_mul_f32_e32 v9, v8, v7
	v_fma_f32 v12, -v3, v9, v8
	v_fmac_f32_e32 v9, v12, v7
	v_fma_f32 v3, -v3, v9, v8
	v_div_fmas_f32 v3, v3, v7, v9
	v_div_fixup_f32 v2, v3, v2, 1.0
	v_xad_u32 v3, v0, -1, s5
	v_subrev_u32_e32 v7, s40, v3
	s_movk_i32 s5, 0x7f
	v_cmp_lt_u32_e32 vcc, s5, v7
	v_mov_b32_e32 v3, v0
	s_and_saveexec_b64 s[8:9], vcc
	s_cbranch_execz .LBB163_35
; %bb.27:
	v_lshrrev_b32_e32 v7, 7, v7
	v_add_u32_e32 v9, -1, v7
	v_lshrrev_b32_e32 v8, 1, v9
	v_mov_b32_e32 v3, v2
	v_add_u32_e32 v8, 1, v8
	v_cmp_lt_u32_e32 vcc, 13, v9
	v_mov_b32_e32 v13, 0
	s_and_saveexec_b64 s[10:11], vcc
	s_cbranch_execz .LBB163_31
; %bb.28:
	v_mov_b32_e32 v12, 0x90
	v_and_b32_e32 v9, -8, v8
	v_lshl_add_u32 v12, v0, 2, v12
	s_mov_b32 s5, 0
	s_mov_b64 s[34:35], 0
.LBB163_29:                             ; =>This Inner Loop Header: Depth=1
	ds_read2st64_b32 v[14:15], v12 offset1:2
	ds_read2st64_b32 v[16:17], v12 offset0:4 offset1:6
	ds_read2st64_b32 v[18:19], v12 offset0:8 offset1:10
	;; [unrolled: 1-line block ×3, first 2 shown]
	v_add_u32_e32 v9, -8, v9
	s_waitcnt lgkmcnt(3)
	v_pk_mul_f32 v[14:15], v[2:3], v[14:15]
	s_waitcnt lgkmcnt(2)
	v_pk_mul_f32 v[16:17], v[2:3], v[16:17]
	ds_write2st64_b32 v12, v14, v15 offset1:2
	ds_write2st64_b32 v12, v16, v17 offset0:4 offset1:6
	ds_read2st64_b32 v[16:17], v12 offset0:16 offset1:18
	s_waitcnt lgkmcnt(4)
	v_pk_mul_f32 v[14:15], v[2:3], v[18:19]
	ds_write2st64_b32 v12, v14, v15 offset0:8 offset1:10
	s_waitcnt lgkmcnt(4)
	v_pk_mul_f32 v[14:15], v[2:3], v[22:23]
	ds_write2st64_b32 v12, v14, v15 offset0:12 offset1:14
	ds_read2st64_b32 v[14:15], v12 offset0:20 offset1:22
	s_waitcnt lgkmcnt(3)
	v_pk_mul_f32 v[16:17], v[2:3], v[16:17]
	ds_read2st64_b32 v[18:19], v12 offset0:24 offset1:26
	ds_write2st64_b32 v12, v16, v17 offset0:16 offset1:18
	ds_read2st64_b32 v[16:17], v12 offset0:28 offset1:30
	s_waitcnt lgkmcnt(3)
	v_pk_mul_f32 v[14:15], v[2:3], v[14:15]
	ds_write2st64_b32 v12, v14, v15 offset0:20 offset1:22
	s_waitcnt lgkmcnt(3)
	v_pk_mul_f32 v[14:15], v[2:3], v[18:19]
	ds_write2st64_b32 v12, v14, v15 offset0:24 offset1:26
	s_waitcnt lgkmcnt(2)
	v_pk_mul_f32 v[14:15], v[2:3], v[16:17]
	s_add_i32 s5, s5, 16
	v_cmp_eq_u32_e32 vcc, 0, v9
	ds_write2st64_b32 v12, v14, v15 offset0:28 offset1:30
	v_add_u32_e32 v12, 0x2000, v12
	s_or_b64 s[34:35], vcc, s[34:35]
	v_mov_b32_e32 v13, s5
	s_andn2_b64 exec, exec, s[34:35]
	s_cbranch_execnz .LBB163_29
; %bb.30:
	s_or_b64 exec, exec, s[34:35]
.LBB163_31:
	s_or_b64 exec, exec, s[10:11]
	v_and_b32_e32 v8, 7, v8
	v_cmp_ne_u32_e32 vcc, 0, v8
	s_and_saveexec_b64 s[10:11], vcc
	s_cbranch_execz .LBB163_34
; %bb.32:
	v_lshlrev_b32_e32 v9, 9, v13
	v_lshlrev_b32_e32 v12, 2, v0
	s_movk_i32 s5, 0x90
	v_add3_u32 v9, v9, v12, s5
	s_mov_b64 s[34:35], 0
.LBB163_33:                             ; =>This Inner Loop Header: Depth=1
	ds_read2st64_b32 v[12:13], v9 offset1:2
	v_add_u32_e32 v8, -1, v8
	v_cmp_eq_u32_e32 vcc, 0, v8
	s_or_b64 s[34:35], vcc, s[34:35]
	s_waitcnt lgkmcnt(0)
	v_pk_mul_f32 v[12:13], v[2:3], v[12:13]
	ds_write2st64_b32 v9, v12, v13 offset1:2
	v_add_u32_e32 v9, 0x400, v9
	s_andn2_b64 exec, exec, s[34:35]
	s_cbranch_execnz .LBB163_33
.LBB163_34:
	s_or_b64 exec, exec, s[10:11]
	v_add_u32_e32 v7, 1, v7
	v_and_b32_e32 v8, 0x3fffffe, v7
	v_cmp_ne_u32_e32 vcc, v7, v8
	v_lshl_add_u32 v3, v8, 7, v0
	s_orn2_b64 s[10:11], vcc, exec
.LBB163_35:
	s_or_b64 exec, exec, s[8:9]
	s_and_b64 exec, exec, s[10:11]
	s_cbranch_execz .LBB163_38
; %bb.36:
	v_mov_b32_e32 v7, 0x90
	v_lshl_add_u32 v7, v3, 2, v7
	s_mov_b64 s[8:9], 0
.LBB163_37:                             ; =>This Inner Loop Header: Depth=1
	ds_read_b32 v8, v7
	v_add_u32_e32 v3, 0x80, v3
	v_cmp_le_i32_e32 vcc, s3, v3
	s_or_b64 s[8:9], vcc, s[8:9]
	s_waitcnt lgkmcnt(0)
	v_mul_f32_e32 v8, v2, v8
	ds_write_b32 v7, v8
	v_add_u32_e32 v7, 0x200, v7
	s_andn2_b64 exec, exec, s[8:9]
	s_cbranch_execnz .LBB163_37
.LBB163_38:
	s_or_b64 exec, exec, s[0:1]
	v_cmp_eq_u32_e32 vcc, 0, v0
	s_waitcnt lgkmcnt(0)
	s_barrier
	s_and_saveexec_b64 s[0:1], vcc
	s_cbranch_execz .LBB163_40
; %bb.39:
	s_mul_i32 s3, s12, s20
	s_mul_i32 s8, s3, s21
	s_ashr_i32 s9, s8, 31
	s_lshl_b64 s[8:9], s[8:9], 2
	s_add_u32 s5, s18, s8
	s_mul_i32 s2, s12, s2
	s_addc_u32 s10, s19, s9
	s_ashr_i32 s3, s2, 31
	s_lshl_b64 s[2:3], s[2:3], 2
	s_add_u32 s15, s5, s2
	s_addc_u32 s19, s10, s3
	s_ashr_i32 s5, s4, 31
	s_lshl_b64 s[10:11], s[4:5], 2
	s_add_u32 s18, s15, s10
	s_addc_u32 s19, s19, s11
	s_add_u32 s5, s16, s8
	s_addc_u32 s8, s17, s9
	;; [unrolled: 2-line block ×3, first 2 shown]
	s_add_u32 s2, s2, s10
	v_mov_b32_e32 v2, 0
	s_addc_u32 s3, s3, s11
	global_store_dword v2, v4, s[18:19]
	global_store_dword v2, v5, s[2:3]
.LBB163_40:
	s_or_b64 exec, exec, s[0:1]
	v_mov_b32_e32 v13, 0
	v_and_b32_e32 v21, 1, v0
	v_mov_b32_e32 v12, v13
	s_and_saveexec_b64 s[2:3], s[6:7]
	s_cbranch_execz .LBB163_144
; %bb.41:
	s_ashr_i32 s15, s14, 31
	s_lshl_b64 s[0:1], s[14:15], 1
	s_add_u32 s0, s30, s0
	v_lshlrev_b32_e32 v3, 4, v0
	v_lshlrev_b32_e32 v2, 3, v0
	s_addc_u32 s1, s31, s1
	v_and_b32_e32 v14, 0x3f0, v3
	v_mov_b32_e32 v15, 0
	v_and_b32_e32 v2, 8, v2
	s_add_i32 s10, s41, -1
	v_lshl_add_u64 v[16:17], s[0:1], 0, v[14:15]
	v_lshl_add_u32 v3, v6, 4, s40
	s_lshl_b64 s[0:1], s[28:29], 2
	v_add3_u32 v14, v3, v2, 7
	v_lshlrev_b32_e32 v2, 5, v21
	s_add_u32 s0, s26, s0
	v_lshl_or_b32 v2, v6, 6, v2
	s_addc_u32 s1, s27, s1
	s_mov_b32 s5, s13
	v_add_u32_e32 v22, 0x90, v2
	v_lshl_add_u64 v[18:19], v[10:11], 2, s[0:1]
	s_mov_b64 s[6:7], 0
	s_mov_b32 s11, 0x7f800000
	s_movk_i32 s13, 0x7fff
	v_mov_b32_e32 v12, 0
	v_mov_b32_e32 v13, v15
	s_branch .LBB163_43
.LBB163_42:                             ;   in Loop: Header=BB163_43 Depth=1
	s_or_b64 exec, exec, s[0:1]
	v_and_b32_e32 v33, 0xffff0000, v23
	v_and_b32_e32 v32, 0xffff0000, v9
	;; [unrolled: 1-line block ×4, first 2 shown]
	v_pk_add_f32 v[8:9], v[8:9], v[32:33]
	v_and_b32_e32 v31, 0xffff0000, v34
	v_and_b32_e32 v30, 0xffff0000, v25
	;; [unrolled: 1-line block ×4, first 2 shown]
	v_mov_b32_e32 v26, v9
	v_pk_add_f32 v[8:9], v[8:9], v[26:27]
	v_pk_add_f32 v[24:25], v[24:25], v[30:31]
	v_and_b32_e32 v27, 0xffff0000, v27
	v_and_b32_e32 v26, 0xffff0000, v7
	;; [unrolled: 1-line block ×4, first 2 shown]
	v_pk_add_f32 v[8:9], v[8:9], v[24:25]
	v_mov_b32_e32 v24, v25
	v_pk_add_f32 v[2:3], v[2:3], v[26:27]
	v_pk_add_f32 v[8:9], v[8:9], v[24:25]
	v_and_b32_e32 v25, 0xffff0000, v6
	v_and_b32_e32 v24, 0xffff0000, v28
	;; [unrolled: 1-line block ×4, first 2 shown]
	v_mov_b32_e32 v6, v3
	v_pk_add_f32 v[2:3], v[2:3], v[6:7]
	v_pk_add_f32 v[4:5], v[4:5], v[24:25]
	v_add_u32_e32 v10, 2, v10
	v_pk_add_f32 v[2:3], v[2:3], v[4:5]
	v_mov_b32_e32 v4, v5
	v_pk_add_f32 v[2:3], v[2:3], v[4:5]
	v_pk_add_f32 v[8:9], v[12:13], v[8:9]
	v_mov_b32_e32 v3, v2
	v_pk_add_f32 v[12:13], v[12:13], v[2:3]
	v_cmp_le_i32_e32 vcc, s23, v10
	v_mov_b32_e32 v12, v8
	v_add_u32_e32 v14, 32, v14
	v_add_u32_e32 v22, 0x80, v22
	s_or_b64 s[6:7], vcc, s[6:7]
	v_lshl_add_u64 v[18:19], v[18:19], 0, 8
	s_andn2_b64 exec, exec, s[6:7]
	s_cbranch_execz .LBB163_143
.LBB163_43:                             ; =>This Inner Loop Header: Depth=1
	global_load_dword v27, v[18:19], off
	ds_read2_b64 v[6:9], v22 offset1:1
	ds_read2_b64 v[2:5], v22 offset0:2 offset1:3
                                        ; implicit-def: $vgpr35
	s_waitcnt lgkmcnt(1)
	v_and_b32_e32 v11, 0x7f800000, v6
	v_cmp_ne_u32_e32 vcc, s11, v11
	s_and_saveexec_b64 s[0:1], vcc
	s_xor_b64 s[0:1], exec, s[0:1]
; %bb.44:                               ;   in Loop: Header=BB163_43 Depth=1
	v_bfe_u32 v11, v6, 16, 1
	v_add3_u32 v35, v6, v11, s13
; %bb.45:                               ;   in Loop: Header=BB163_43 Depth=1
	s_andn2_saveexec_b64 s[0:1], s[0:1]
; %bb.46:                               ;   in Loop: Header=BB163_43 Depth=1
	v_or_b32_e32 v11, 0x10000, v6
	v_cmp_eq_u32_sdwa vcc, v6, v15 src0_sel:WORD_0 src1_sel:DWORD
	s_nop 1
	v_cndmask_b32_e32 v35, v11, v6, vcc
; %bb.47:                               ;   in Loop: Header=BB163_43 Depth=1
	s_or_b64 exec, exec, s[0:1]
	v_and_b32_e32 v6, 0x7f800000, v7
	v_cmp_ne_u32_e32 vcc, s11, v6
                                        ; implicit-def: $vgpr36
	s_and_saveexec_b64 s[0:1], vcc
	s_xor_b64 s[0:1], exec, s[0:1]
; %bb.48:                               ;   in Loop: Header=BB163_43 Depth=1
	v_bfe_u32 v6, v7, 16, 1
	v_add3_u32 v36, v7, v6, s13
; %bb.49:                               ;   in Loop: Header=BB163_43 Depth=1
	s_andn2_saveexec_b64 s[0:1], s[0:1]
; %bb.50:                               ;   in Loop: Header=BB163_43 Depth=1
	v_or_b32_e32 v6, 0x10000, v7
	v_cmp_eq_u32_sdwa vcc, v7, v15 src0_sel:WORD_0 src1_sel:DWORD
	s_nop 1
	v_cndmask_b32_e32 v36, v6, v7, vcc
; %bb.51:                               ;   in Loop: Header=BB163_43 Depth=1
	s_or_b64 exec, exec, s[0:1]
	v_and_b32_e32 v6, 0x7f800000, v8
	v_cmp_ne_u32_e32 vcc, s11, v6
                                        ; implicit-def: $vgpr11
	s_and_saveexec_b64 s[0:1], vcc
	s_xor_b64 s[0:1], exec, s[0:1]
; %bb.52:                               ;   in Loop: Header=BB163_43 Depth=1
	v_bfe_u32 v6, v8, 16, 1
	v_add3_u32 v11, v8, v6, s13
; %bb.53:                               ;   in Loop: Header=BB163_43 Depth=1
	s_andn2_saveexec_b64 s[0:1], s[0:1]
; %bb.54:                               ;   in Loop: Header=BB163_43 Depth=1
	v_or_b32_e32 v6, 0x10000, v8
	v_cmp_eq_u32_sdwa vcc, v8, v15 src0_sel:WORD_0 src1_sel:DWORD
	s_nop 1
	v_cndmask_b32_e32 v11, v6, v8, vcc
; %bb.55:                               ;   in Loop: Header=BB163_43 Depth=1
	s_or_b64 exec, exec, s[0:1]
	v_and_b32_e32 v6, 0x7f800000, v9
	v_cmp_ne_u32_e32 vcc, s11, v6
                                        ; implicit-def: $vgpr23
	s_and_saveexec_b64 s[0:1], vcc
	s_xor_b64 s[0:1], exec, s[0:1]
; %bb.56:                               ;   in Loop: Header=BB163_43 Depth=1
	v_bfe_u32 v6, v9, 16, 1
	v_add3_u32 v23, v9, v6, s13
                                        ; implicit-def: $vgpr6_vgpr7_vgpr8_vgpr9
; %bb.57:                               ;   in Loop: Header=BB163_43 Depth=1
	s_andn2_saveexec_b64 s[0:1], s[0:1]
; %bb.58:                               ;   in Loop: Header=BB163_43 Depth=1
	v_or_b32_e32 v6, 0x10000, v9
	v_cmp_eq_u32_sdwa vcc, v9, v15 src0_sel:WORD_0 src1_sel:DWORD
	s_nop 1
	v_cndmask_b32_e32 v23, v6, v9, vcc
; %bb.59:                               ;   in Loop: Header=BB163_43 Depth=1
	s_or_b64 exec, exec, s[0:1]
	s_waitcnt lgkmcnt(0)
	v_and_b32_e32 v6, 0x7f800000, v2
	v_cmp_ne_u32_e32 vcc, s11, v6
                                        ; implicit-def: $vgpr24
	s_and_saveexec_b64 s[0:1], vcc
	s_xor_b64 s[0:1], exec, s[0:1]
; %bb.60:                               ;   in Loop: Header=BB163_43 Depth=1
	v_bfe_u32 v6, v2, 16, 1
	v_add3_u32 v24, v2, v6, s13
; %bb.61:                               ;   in Loop: Header=BB163_43 Depth=1
	s_andn2_saveexec_b64 s[0:1], s[0:1]
; %bb.62:                               ;   in Loop: Header=BB163_43 Depth=1
	v_or_b32_e32 v6, 0x10000, v2
	v_cmp_eq_u32_sdwa vcc, v2, v15 src0_sel:WORD_0 src1_sel:DWORD
	s_nop 1
	v_cndmask_b32_e32 v24, v6, v2, vcc
; %bb.63:                               ;   in Loop: Header=BB163_43 Depth=1
	s_or_b64 exec, exec, s[0:1]
	v_and_b32_e32 v2, 0x7f800000, v3
	v_cmp_ne_u32_e32 vcc, s11, v2
                                        ; implicit-def: $vgpr25
	s_and_saveexec_b64 s[0:1], vcc
	s_xor_b64 s[0:1], exec, s[0:1]
; %bb.64:                               ;   in Loop: Header=BB163_43 Depth=1
	v_bfe_u32 v2, v3, 16, 1
	v_add3_u32 v25, v3, v2, s13
; %bb.65:                               ;   in Loop: Header=BB163_43 Depth=1
	s_andn2_saveexec_b64 s[0:1], s[0:1]
; %bb.66:                               ;   in Loop: Header=BB163_43 Depth=1
	v_or_b32_e32 v2, 0x10000, v3
	v_cmp_eq_u32_sdwa vcc, v3, v15 src0_sel:WORD_0 src1_sel:DWORD
	s_nop 1
	v_cndmask_b32_e32 v25, v2, v3, vcc
; %bb.67:                               ;   in Loop: Header=BB163_43 Depth=1
	s_or_b64 exec, exec, s[0:1]
	v_and_b32_e32 v2, 0x7f800000, v4
	v_cmp_ne_u32_e32 vcc, s11, v2
                                        ; implicit-def: $vgpr26
	s_and_saveexec_b64 s[0:1], vcc
	s_xor_b64 s[0:1], exec, s[0:1]
; %bb.68:                               ;   in Loop: Header=BB163_43 Depth=1
	v_bfe_u32 v2, v4, 16, 1
	v_add3_u32 v26, v4, v2, s13
; %bb.69:                               ;   in Loop: Header=BB163_43 Depth=1
	s_andn2_saveexec_b64 s[0:1], s[0:1]
; %bb.70:                               ;   in Loop: Header=BB163_43 Depth=1
	v_or_b32_e32 v2, 0x10000, v4
	v_cmp_eq_u32_sdwa vcc, v4, v15 src0_sel:WORD_0 src1_sel:DWORD
	s_nop 1
	v_cndmask_b32_e32 v26, v2, v4, vcc
; %bb.71:                               ;   in Loop: Header=BB163_43 Depth=1
	s_or_b64 exec, exec, s[0:1]
	v_and_b32_e32 v2, 0x7f800000, v5
	v_cmp_ne_u32_e32 vcc, s11, v2
                                        ; implicit-def: $vgpr34
	s_and_saveexec_b64 s[0:1], vcc
	s_xor_b64 s[0:1], exec, s[0:1]
; %bb.72:                               ;   in Loop: Header=BB163_43 Depth=1
	v_bfe_u32 v2, v5, 16, 1
	v_add3_u32 v34, v5, v2, s13
                                        ; implicit-def: $vgpr2_vgpr3_vgpr4_vgpr5
; %bb.73:                               ;   in Loop: Header=BB163_43 Depth=1
	s_andn2_saveexec_b64 s[0:1], s[0:1]
; %bb.74:                               ;   in Loop: Header=BB163_43 Depth=1
	v_or_b32_e32 v2, 0x10000, v5
	v_cmp_eq_u32_sdwa vcc, v5, v15 src0_sel:WORD_0 src1_sel:DWORD
	s_nop 1
	v_cndmask_b32_e32 v34, v2, v5, vcc
; %bb.75:                               ;   in Loop: Header=BB163_43 Depth=1
	s_or_b64 exec, exec, s[0:1]
	s_waitcnt vmcnt(0)
	v_mad_i64_i32 v[2:3], s[0:1], v27, s5, 0
	v_lshl_add_u64 v[6:7], v[2:3], 1, v[16:17]
	global_load_dwordx4 v[2:5], v[6:7], off
	v_add_u32_e32 v27, -7, v14
	v_cmp_eq_u32_e32 vcc, s10, v10
	v_add_u32_e32 v33, -6, v14
	v_add_u32_e32 v31, -5, v14
	;; [unrolled: 1-line block ×6, first 2 shown]
	s_waitcnt vmcnt(0)
	v_lshrrev_b32_e32 v9, 16, v2
	v_lshrrev_b32_e32 v39, 16, v3
	;; [unrolled: 1-line block ×4, first 2 shown]
	s_and_saveexec_b64 s[8:9], vcc
	s_cbranch_execz .LBB163_77
; %bb.76:                               ;   in Loop: Header=BB163_43 Depth=1
	v_cmp_gt_i32_e64 s[0:1], s33, v27
	s_nop 1
	v_cndmask_b32_e64 v2, 0, v2, s[0:1]
	v_cmp_gt_i32_e64 s[0:1], s33, v33
	s_nop 1
	v_cndmask_b32_e64 v9, 0, v9, s[0:1]
	;; [unrolled: 3-line block ×8, first 2 shown]
.LBB163_77:                             ;   in Loop: Header=BB163_43 Depth=1
	s_or_b64 exec, exec, s[8:9]
	v_and_b32_e32 v35, 0xffff0000, v35
	v_lshlrev_b32_e32 v2, 16, v2
	v_mul_f32_e32 v2, v35, v2
	v_and_b32_e32 v8, 0x7f800000, v2
	v_cmp_ne_u32_e64 s[0:1], s11, v8
                                        ; implicit-def: $vgpr8
	s_and_saveexec_b64 s[8:9], s[0:1]
	s_xor_b64 s[0:1], exec, s[8:9]
; %bb.78:                               ;   in Loop: Header=BB163_43 Depth=1
	v_bfe_u32 v8, v2, 16, 1
	v_add3_u32 v8, v2, v8, s13
                                        ; implicit-def: $vgpr2
; %bb.79:                               ;   in Loop: Header=BB163_43 Depth=1
	s_andn2_saveexec_b64 s[8:9], s[0:1]
; %bb.80:                               ;   in Loop: Header=BB163_43 Depth=1
	v_or_b32_e32 v8, 0x10000, v2
	v_cmp_eq_u32_sdwa s[0:1], v2, v15 src0_sel:WORD_0 src1_sel:DWORD
	s_nop 1
	v_cndmask_b32_e64 v8, v8, v2, s[0:1]
; %bb.81:                               ;   in Loop: Header=BB163_43 Depth=1
	s_or_b64 exec, exec, s[8:9]
	v_and_b32_e32 v36, 0xffff0000, v36
	v_lshlrev_b32_e32 v2, 16, v9
	v_mul_f32_e32 v2, v36, v2
	v_and_b32_e32 v9, 0x7f800000, v2
	v_cmp_ne_u32_e64 s[0:1], s11, v9
                                        ; implicit-def: $vgpr9
	s_and_saveexec_b64 s[8:9], s[0:1]
	s_xor_b64 s[0:1], exec, s[8:9]
; %bb.82:                               ;   in Loop: Header=BB163_43 Depth=1
	v_bfe_u32 v9, v2, 16, 1
	v_add3_u32 v9, v2, v9, s13
                                        ; implicit-def: $vgpr2
; %bb.83:                               ;   in Loop: Header=BB163_43 Depth=1
	s_andn2_saveexec_b64 s[8:9], s[0:1]
; %bb.84:                               ;   in Loop: Header=BB163_43 Depth=1
	v_or_b32_e32 v9, 0x10000, v2
	v_cmp_eq_u32_sdwa s[0:1], v2, v15 src0_sel:WORD_0 src1_sel:DWORD
	s_nop 1
	v_cndmask_b32_e64 v9, v9, v2, s[0:1]
; %bb.85:                               ;   in Loop: Header=BB163_43 Depth=1
	s_or_b64 exec, exec, s[8:9]
	v_and_b32_e32 v37, 0xffff0000, v11
	v_lshlrev_b32_e32 v2, 16, v3
	v_mul_f32_e32 v2, v37, v2
	v_and_b32_e32 v3, 0x7f800000, v2
	v_cmp_ne_u32_e64 s[0:1], s11, v3
                                        ; implicit-def: $vgpr11
	s_and_saveexec_b64 s[8:9], s[0:1]
	s_xor_b64 s[0:1], exec, s[8:9]
; %bb.86:                               ;   in Loop: Header=BB163_43 Depth=1
	v_bfe_u32 v3, v2, 16, 1
	v_add3_u32 v11, v2, v3, s13
                                        ; implicit-def: $vgpr2
; %bb.87:                               ;   in Loop: Header=BB163_43 Depth=1
	s_andn2_saveexec_b64 s[8:9], s[0:1]
; %bb.88:                               ;   in Loop: Header=BB163_43 Depth=1
	v_or_b32_e32 v3, 0x10000, v2
	v_cmp_eq_u32_sdwa s[0:1], v2, v15 src0_sel:WORD_0 src1_sel:DWORD
	s_nop 1
	v_cndmask_b32_e64 v11, v3, v2, s[0:1]
; %bb.89:                               ;   in Loop: Header=BB163_43 Depth=1
	s_or_b64 exec, exec, s[8:9]
	v_and_b32_e32 v38, 0xffff0000, v23
	v_lshlrev_b32_e32 v2, 16, v39
	v_mul_f32_e32 v2, v38, v2
	v_and_b32_e32 v3, 0x7f800000, v2
	v_cmp_ne_u32_e64 s[0:1], s11, v3
                                        ; implicit-def: $vgpr23
	s_and_saveexec_b64 s[8:9], s[0:1]
	s_xor_b64 s[0:1], exec, s[8:9]
; %bb.90:                               ;   in Loop: Header=BB163_43 Depth=1
	v_bfe_u32 v3, v2, 16, 1
	v_add3_u32 v23, v2, v3, s13
                                        ; implicit-def: $vgpr2
; %bb.91:                               ;   in Loop: Header=BB163_43 Depth=1
	s_andn2_saveexec_b64 s[8:9], s[0:1]
; %bb.92:                               ;   in Loop: Header=BB163_43 Depth=1
	v_or_b32_e32 v3, 0x10000, v2
	v_cmp_eq_u32_sdwa s[0:1], v2, v15 src0_sel:WORD_0 src1_sel:DWORD
	s_nop 1
	v_cndmask_b32_e64 v23, v3, v2, s[0:1]
; %bb.93:                               ;   in Loop: Header=BB163_43 Depth=1
	s_or_b64 exec, exec, s[8:9]
	v_and_b32_e32 v39, 0xffff0000, v24
	v_lshlrev_b32_e32 v2, 16, v4
	v_mul_f32_e32 v2, v39, v2
	v_and_b32_e32 v3, 0x7f800000, v2
	v_cmp_ne_u32_e64 s[0:1], s11, v3
                                        ; implicit-def: $vgpr24
	s_and_saveexec_b64 s[8:9], s[0:1]
	s_xor_b64 s[0:1], exec, s[8:9]
; %bb.94:                               ;   in Loop: Header=BB163_43 Depth=1
	v_bfe_u32 v3, v2, 16, 1
	v_add3_u32 v24, v2, v3, s13
                                        ; implicit-def: $vgpr2
; %bb.95:                               ;   in Loop: Header=BB163_43 Depth=1
	s_andn2_saveexec_b64 s[8:9], s[0:1]
; %bb.96:                               ;   in Loop: Header=BB163_43 Depth=1
	v_or_b32_e32 v3, 0x10000, v2
	v_cmp_eq_u32_sdwa s[0:1], v2, v15 src0_sel:WORD_0 src1_sel:DWORD
	s_nop 1
	v_cndmask_b32_e64 v24, v3, v2, s[0:1]
; %bb.97:                               ;   in Loop: Header=BB163_43 Depth=1
	s_or_b64 exec, exec, s[8:9]
	v_and_b32_e32 v40, 0xffff0000, v25
	v_lshlrev_b32_e32 v2, 16, v41
	v_mul_f32_e32 v2, v40, v2
	v_and_b32_e32 v3, 0x7f800000, v2
	v_cmp_ne_u32_e64 s[0:1], s11, v3
                                        ; implicit-def: $vgpr25
	s_and_saveexec_b64 s[8:9], s[0:1]
	s_xor_b64 s[0:1], exec, s[8:9]
; %bb.98:                               ;   in Loop: Header=BB163_43 Depth=1
	v_bfe_u32 v3, v2, 16, 1
	v_add3_u32 v25, v2, v3, s13
                                        ; implicit-def: $vgpr2
; %bb.99:                               ;   in Loop: Header=BB163_43 Depth=1
	s_andn2_saveexec_b64 s[8:9], s[0:1]
; %bb.100:                              ;   in Loop: Header=BB163_43 Depth=1
	v_or_b32_e32 v3, 0x10000, v2
	v_cmp_eq_u32_sdwa s[0:1], v2, v15 src0_sel:WORD_0 src1_sel:DWORD
	s_nop 1
	v_cndmask_b32_e64 v25, v3, v2, s[0:1]
; %bb.101:                              ;   in Loop: Header=BB163_43 Depth=1
	s_or_b64 exec, exec, s[8:9]
	v_and_b32_e32 v41, 0xffff0000, v26
	v_lshlrev_b32_e32 v2, 16, v5
	v_mul_f32_e32 v2, v41, v2
	v_and_b32_e32 v3, 0x7f800000, v2
	v_cmp_ne_u32_e64 s[0:1], s11, v3
                                        ; implicit-def: $vgpr26
	s_and_saveexec_b64 s[8:9], s[0:1]
	s_xor_b64 s[0:1], exec, s[8:9]
; %bb.102:                              ;   in Loop: Header=BB163_43 Depth=1
	v_bfe_u32 v3, v2, 16, 1
	v_add3_u32 v26, v2, v3, s13
                                        ; implicit-def: $vgpr2
; %bb.103:                              ;   in Loop: Header=BB163_43 Depth=1
	s_andn2_saveexec_b64 s[8:9], s[0:1]
; %bb.104:                              ;   in Loop: Header=BB163_43 Depth=1
	v_or_b32_e32 v3, 0x10000, v2
	v_cmp_eq_u32_sdwa s[0:1], v2, v15 src0_sel:WORD_0 src1_sel:DWORD
	s_nop 1
	v_cndmask_b32_e64 v26, v3, v2, s[0:1]
; %bb.105:                              ;   in Loop: Header=BB163_43 Depth=1
	s_or_b64 exec, exec, s[8:9]
	v_and_b32_e32 v42, 0xffff0000, v34
	v_lshlrev_b32_e32 v2, 16, v43
	v_mul_f32_e32 v2, v42, v2
	v_and_b32_e32 v3, 0x7f800000, v2
	v_cmp_ne_u32_e64 s[0:1], s11, v3
                                        ; implicit-def: $vgpr34
	s_and_saveexec_b64 s[8:9], s[0:1]
	s_xor_b64 s[0:1], exec, s[8:9]
; %bb.106:                              ;   in Loop: Header=BB163_43 Depth=1
	v_bfe_u32 v3, v2, 16, 1
	v_add3_u32 v34, v2, v3, s13
                                        ; implicit-def: $vgpr2
; %bb.107:                              ;   in Loop: Header=BB163_43 Depth=1
	s_andn2_saveexec_b64 s[8:9], s[0:1]
; %bb.108:                              ;   in Loop: Header=BB163_43 Depth=1
	v_or_b32_e32 v3, 0x10000, v2
	v_cmp_eq_u32_sdwa s[0:1], v2, v15 src0_sel:WORD_0 src1_sel:DWORD
	s_nop 1
	v_cndmask_b32_e64 v34, v3, v2, s[0:1]
; %bb.109:                              ;   in Loop: Header=BB163_43 Depth=1
	s_or_b64 exec, exec, s[8:9]
	global_load_dwordx4 v[2:5], v[6:7], off offset:1024
	s_waitcnt vmcnt(0)
	v_lshrrev_b32_e32 v7, 16, v2
	v_lshrrev_b32_e32 v44, 16, v3
	;; [unrolled: 1-line block ×4, first 2 shown]
	s_and_saveexec_b64 s[0:1], vcc
	s_cbranch_execz .LBB163_111
; %bb.110:                              ;   in Loop: Header=BB163_43 Depth=1
	v_cmp_gt_i32_e32 vcc, s33, v27
	s_nop 1
	v_cndmask_b32_e32 v2, 0, v2, vcc
	v_cmp_gt_i32_e32 vcc, s33, v33
	s_nop 1
	v_cndmask_b32_e32 v7, 0, v7, vcc
	;; [unrolled: 3-line block ×8, first 2 shown]
.LBB163_111:                            ;   in Loop: Header=BB163_43 Depth=1
	s_or_b64 exec, exec, s[0:1]
	v_lshlrev_b32_e32 v2, 16, v2
	v_mul_f32_e32 v27, v35, v2
	v_and_b32_e32 v2, 0x7f800000, v27
	v_cmp_ne_u32_e32 vcc, s11, v2
                                        ; implicit-def: $vgpr2
	s_and_saveexec_b64 s[0:1], vcc
	s_xor_b64 s[0:1], exec, s[0:1]
; %bb.112:                              ;   in Loop: Header=BB163_43 Depth=1
	v_bfe_u32 v2, v27, 16, 1
	v_add3_u32 v2, v27, v2, s13
                                        ; implicit-def: $vgpr27
; %bb.113:                              ;   in Loop: Header=BB163_43 Depth=1
	s_andn2_saveexec_b64 s[0:1], s[0:1]
; %bb.114:                              ;   in Loop: Header=BB163_43 Depth=1
	v_or_b32_e32 v2, 0x10000, v27
	v_cmp_eq_u32_sdwa vcc, v27, v15 src0_sel:WORD_0 src1_sel:DWORD
	s_nop 1
	v_cndmask_b32_e32 v2, v2, v27, vcc
; %bb.115:                              ;   in Loop: Header=BB163_43 Depth=1
	s_or_b64 exec, exec, s[0:1]
	v_lshlrev_b32_e32 v7, 16, v7
	v_mul_f32_e32 v27, v36, v7
	v_and_b32_e32 v7, 0x7f800000, v27
	v_cmp_ne_u32_e32 vcc, s11, v7
                                        ; implicit-def: $vgpr7
	s_and_saveexec_b64 s[0:1], vcc
	s_xor_b64 s[0:1], exec, s[0:1]
; %bb.116:                              ;   in Loop: Header=BB163_43 Depth=1
	v_bfe_u32 v7, v27, 16, 1
	v_add3_u32 v7, v27, v7, s13
                                        ; implicit-def: $vgpr27
; %bb.117:                              ;   in Loop: Header=BB163_43 Depth=1
	s_andn2_saveexec_b64 s[0:1], s[0:1]
; %bb.118:                              ;   in Loop: Header=BB163_43 Depth=1
	v_or_b32_e32 v7, 0x10000, v27
	v_cmp_eq_u32_sdwa vcc, v27, v15 src0_sel:WORD_0 src1_sel:DWORD
	s_nop 1
	v_cndmask_b32_e32 v7, v7, v27, vcc
; %bb.119:                              ;   in Loop: Header=BB163_43 Depth=1
	s_or_b64 exec, exec, s[0:1]
	v_lshlrev_b32_e32 v3, 16, v3
	v_mul_f32_e32 v27, v37, v3
	v_and_b32_e32 v3, 0x7f800000, v27
	v_cmp_ne_u32_e32 vcc, s11, v3
                                        ; implicit-def: $vgpr3
	s_and_saveexec_b64 s[0:1], vcc
	s_xor_b64 s[0:1], exec, s[0:1]
; %bb.120:                              ;   in Loop: Header=BB163_43 Depth=1
	v_bfe_u32 v3, v27, 16, 1
	v_add3_u32 v3, v27, v3, s13
                                        ; implicit-def: $vgpr27
; %bb.121:                              ;   in Loop: Header=BB163_43 Depth=1
	s_andn2_saveexec_b64 s[0:1], s[0:1]
; %bb.122:                              ;   in Loop: Header=BB163_43 Depth=1
	v_or_b32_e32 v3, 0x10000, v27
	v_cmp_eq_u32_sdwa vcc, v27, v15 src0_sel:WORD_0 src1_sel:DWORD
	s_nop 1
	v_cndmask_b32_e32 v3, v3, v27, vcc
; %bb.123:                              ;   in Loop: Header=BB163_43 Depth=1
	s_or_b64 exec, exec, s[0:1]
	v_lshlrev_b32_e32 v27, 16, v44
	v_mul_f32_e32 v28, v38, v27
	v_and_b32_e32 v27, 0x7f800000, v28
	v_cmp_ne_u32_e32 vcc, s11, v27
                                        ; implicit-def: $vgpr27
	s_and_saveexec_b64 s[0:1], vcc
	s_xor_b64 s[0:1], exec, s[0:1]
; %bb.124:                              ;   in Loop: Header=BB163_43 Depth=1
	v_bfe_u32 v27, v28, 16, 1
	v_add3_u32 v27, v28, v27, s13
                                        ; implicit-def: $vgpr28
; %bb.125:                              ;   in Loop: Header=BB163_43 Depth=1
	s_andn2_saveexec_b64 s[0:1], s[0:1]
; %bb.126:                              ;   in Loop: Header=BB163_43 Depth=1
	v_or_b32_e32 v27, 0x10000, v28
	v_cmp_eq_u32_sdwa vcc, v28, v15 src0_sel:WORD_0 src1_sel:DWORD
	s_nop 1
	v_cndmask_b32_e32 v27, v27, v28, vcc
; %bb.127:                              ;   in Loop: Header=BB163_43 Depth=1
	s_or_b64 exec, exec, s[0:1]
	v_lshlrev_b32_e32 v4, 16, v4
	v_mul_f32_e32 v28, v39, v4
	v_and_b32_e32 v4, 0x7f800000, v28
	v_cmp_ne_u32_e32 vcc, s11, v4
                                        ; implicit-def: $vgpr4
	s_and_saveexec_b64 s[0:1], vcc
	s_xor_b64 s[0:1], exec, s[0:1]
; %bb.128:                              ;   in Loop: Header=BB163_43 Depth=1
	v_bfe_u32 v4, v28, 16, 1
	v_add3_u32 v4, v28, v4, s13
                                        ; implicit-def: $vgpr28
; %bb.129:                              ;   in Loop: Header=BB163_43 Depth=1
	s_andn2_saveexec_b64 s[0:1], s[0:1]
; %bb.130:                              ;   in Loop: Header=BB163_43 Depth=1
	v_or_b32_e32 v4, 0x10000, v28
	v_cmp_eq_u32_sdwa vcc, v28, v15 src0_sel:WORD_0 src1_sel:DWORD
	s_nop 1
	v_cndmask_b32_e32 v4, v4, v28, vcc
; %bb.131:                              ;   in Loop: Header=BB163_43 Depth=1
	s_or_b64 exec, exec, s[0:1]
	v_lshlrev_b32_e32 v28, 16, v43
	v_mul_f32_e32 v29, v40, v28
	v_and_b32_e32 v28, 0x7f800000, v29
	v_cmp_ne_u32_e32 vcc, s11, v28
                                        ; implicit-def: $vgpr28
	s_and_saveexec_b64 s[0:1], vcc
	s_xor_b64 s[0:1], exec, s[0:1]
; %bb.132:                              ;   in Loop: Header=BB163_43 Depth=1
	v_bfe_u32 v28, v29, 16, 1
	v_add3_u32 v28, v29, v28, s13
                                        ; implicit-def: $vgpr29
; %bb.133:                              ;   in Loop: Header=BB163_43 Depth=1
	s_andn2_saveexec_b64 s[0:1], s[0:1]
; %bb.134:                              ;   in Loop: Header=BB163_43 Depth=1
	v_or_b32_e32 v28, 0x10000, v29
	v_cmp_eq_u32_sdwa vcc, v29, v15 src0_sel:WORD_0 src1_sel:DWORD
	s_nop 1
	v_cndmask_b32_e32 v28, v28, v29, vcc
; %bb.135:                              ;   in Loop: Header=BB163_43 Depth=1
	s_or_b64 exec, exec, s[0:1]
	v_lshlrev_b32_e32 v5, 16, v5
	v_mul_f32_e32 v29, v41, v5
	v_and_b32_e32 v5, 0x7f800000, v29
	v_cmp_ne_u32_e32 vcc, s11, v5
                                        ; implicit-def: $vgpr5
	s_and_saveexec_b64 s[0:1], vcc
	s_xor_b64 s[0:1], exec, s[0:1]
; %bb.136:                              ;   in Loop: Header=BB163_43 Depth=1
	v_bfe_u32 v5, v29, 16, 1
	v_add3_u32 v5, v29, v5, s13
                                        ; implicit-def: $vgpr29
; %bb.137:                              ;   in Loop: Header=BB163_43 Depth=1
	s_andn2_saveexec_b64 s[0:1], s[0:1]
; %bb.138:                              ;   in Loop: Header=BB163_43 Depth=1
	v_or_b32_e32 v5, 0x10000, v29
	v_cmp_eq_u32_sdwa vcc, v29, v15 src0_sel:WORD_0 src1_sel:DWORD
	s_nop 1
	v_cndmask_b32_e32 v5, v5, v29, vcc
; %bb.139:                              ;   in Loop: Header=BB163_43 Depth=1
	s_or_b64 exec, exec, s[0:1]
	v_lshlrev_b32_e32 v6, 16, v6
	v_mul_f32_e32 v29, v42, v6
	v_and_b32_e32 v6, 0x7f800000, v29
	v_cmp_ne_u32_e32 vcc, s11, v6
                                        ; implicit-def: $vgpr6
	s_and_saveexec_b64 s[0:1], vcc
	s_xor_b64 s[0:1], exec, s[0:1]
; %bb.140:                              ;   in Loop: Header=BB163_43 Depth=1
	v_bfe_u32 v6, v29, 16, 1
	v_add3_u32 v6, v29, v6, s13
                                        ; implicit-def: $vgpr29
; %bb.141:                              ;   in Loop: Header=BB163_43 Depth=1
	s_andn2_saveexec_b64 s[0:1], s[0:1]
	s_cbranch_execz .LBB163_42
; %bb.142:                              ;   in Loop: Header=BB163_43 Depth=1
	v_or_b32_e32 v6, 0x10000, v29
	v_cmp_eq_u32_sdwa vcc, v29, v15 src0_sel:WORD_0 src1_sel:DWORD
	s_nop 1
	v_cndmask_b32_e32 v6, v6, v29, vcc
	s_branch .LBB163_42
.LBB163_143:
	s_or_b64 exec, exec, s[6:7]
.LBB163_144:
	s_or_b64 exec, exec, s[2:3]
	ds_bpermute_b32 v2, v20, v12
	ds_bpermute_b32 v3, v20, v13
	v_and_b32_e32 v4, 0x3c1, v0
	v_cmp_eq_u32_e32 vcc, 64, v4
	s_waitcnt lgkmcnt(0)
	s_barrier
	v_pk_add_f32 v[2:3], v[12:13], v[2:3]
	s_and_saveexec_b64 s[0:1], vcc
	s_cbranch_execz .LBB163_146
; %bb.145:
	v_mov_b32_e32 v4, 0x90
	v_lshl_add_u32 v1, v1, 1, v4
	ds_write2_b32 v1, v2, v3 offset1:32
.LBB163_146:
	s_or_b64 exec, exec, s[0:1]
	v_cmp_gt_u32_e32 vcc, 64, v0
	s_waitcnt lgkmcnt(0)
	s_barrier
	s_and_saveexec_b64 s[2:3], vcc
	s_cbranch_execz .LBB163_152
; %bb.147:
	v_cmp_eq_u32_e64 s[0:1], 0, v21
	v_lshrrev_b32_e32 v1, 1, v0
	s_and_saveexec_b64 s[6:7], s[0:1]
	s_cbranch_execz .LBB163_149
; %bb.148:
	v_mov_b32_e32 v4, 0x90
	v_lshl_add_u32 v4, v1, 2, v4
	ds_read_b32 v4, v4
	s_waitcnt lgkmcnt(0)
	v_add_f32_e32 v2, v2, v4
.LBB163_149:
	s_or_b64 exec, exec, s[6:7]
	s_and_saveexec_b64 s[6:7], s[0:1]
	s_cbranch_execz .LBB163_151
; %bb.150:
	v_mov_b32_e32 v4, 0x90
	v_lshl_add_u32 v1, v1, 2, v4
	ds_read_b32 v1, v1 offset:128
	s_waitcnt lgkmcnt(0)
	v_add_f32_e32 v3, v3, v1
.LBB163_151:
	s_or_b64 exec, exec, s[6:7]
.LBB163_152:
	s_or_b64 exec, exec, s[2:3]
	s_barrier
	s_and_saveexec_b64 s[0:1], vcc
	s_cbranch_execz .LBB163_163
; %bb.153:
	v_cmp_eq_u32_e32 vcc, 0, v21
	s_and_b64 exec, exec, vcc
	s_cbranch_execz .LBB163_163
; %bb.154:
	s_mov_b32 s0, 0x7f800000
	v_and_b32_e32 v1, 0x7f800000, v2
	v_cmp_ne_u32_e32 vcc, s0, v1
                                        ; implicit-def: $vgpr4
	s_and_saveexec_b64 s[0:1], vcc
	s_xor_b64 s[0:1], exec, s[0:1]
; %bb.155:
	v_bfe_u32 v1, v2, 16, 1
	s_movk_i32 s2, 0x7fff
	v_add3_u32 v4, v2, v1, s2
; %bb.156:
	s_andn2_saveexec_b64 s[0:1], s[0:1]
; %bb.157:
	v_mov_b32_e32 v1, 0
	v_or_b32_e32 v4, 0x10000, v2
	v_cmp_eq_u32_sdwa vcc, v2, v1 src0_sel:WORD_0 src1_sel:DWORD
	s_nop 1
	v_cndmask_b32_e32 v4, v4, v2, vcc
; %bb.158:
	s_or_b64 exec, exec, s[0:1]
	s_mul_i32 s0, s12, s20
	s_mul_i32 s0, s0, s21
	s_lshl_b32 s0, s0, 6
	s_ashr_i32 s1, s0, 31
	s_lshl_b64 s[0:1], s[0:1], 1
	s_add_u32 s2, s24, s0
	s_mul_i32 s0, s12, s22
	s_addc_u32 s3, s25, s1
	s_ashr_i32 s1, s0, 31
	s_lshl_b64 s[0:1], s[0:1], 1
	s_add_u32 s2, s2, s0
	s_addc_u32 s3, s3, s1
	s_lshl_b32 s0, s4, 6
	s_ashr_i32 s1, s0, 31
	s_lshl_b64 s[0:1], s[0:1], 1
	s_add_u32 s0, s2, s0
	s_mov_b32 s2, 0x7f800000
	v_and_b32_e32 v2, 0x7f800000, v3
	s_addc_u32 s1, s3, s1
	v_and_b32_e32 v0, 0x3fe, v0
	v_mov_b32_e32 v1, 0
	v_cmp_ne_u32_e32 vcc, s2, v2
	global_store_short_d16_hi v0, v4, s[0:1]
                                        ; implicit-def: $vgpr4
	s_and_saveexec_b64 s[2:3], vcc
	s_xor_b64 s[2:3], exec, s[2:3]
; %bb.159:
	v_bfe_u32 v2, v3, 16, 1
	s_movk_i32 s4, 0x7fff
	v_add3_u32 v4, v3, v2, s4
                                        ; implicit-def: $vgpr2_vgpr3
; %bb.160:
	s_or_saveexec_b64 s[2:3], s[2:3]
	v_lshl_add_u64 v[0:1], s[0:1], 0, v[0:1]
	s_xor_b64 exec, exec, s[2:3]
; %bb.161:
	v_mov_b32_e32 v2, 0
	v_or_b32_e32 v4, 0x10000, v3
	v_cmp_eq_u32_sdwa vcc, v3, v2 src0_sel:WORD_0 src1_sel:DWORD
	s_nop 1
	v_cndmask_b32_e32 v4, v4, v3, vcc
; %bb.162:
	s_or_b64 exec, exec, s[2:3]
	global_store_short_d16_hi v[0:1], v4, off offset:64
.LBB163_163:
	s_endpgm
	.section	.rodata,"a",@progbits
	.p2align	6, 0x0
	.amdhsa_kernel _ZN4vllm25paged_attention_v2_kernelI14__hip_bfloat16S1_Li64ELi16ELi128ELNS_18Fp8KVCacheDataTypeE0ELb0ELi512EEEvPfS3_PT_PKS4_PKT0_SA_ifPKiSC_iPKfiiiSE_SE_iiiii
		.amdhsa_group_segment_fixed_size 144
		.amdhsa_private_segment_fixed_size 0
		.amdhsa_kernarg_size 400
		.amdhsa_user_sgpr_count 2
		.amdhsa_user_sgpr_dispatch_ptr 0
		.amdhsa_user_sgpr_queue_ptr 0
		.amdhsa_user_sgpr_kernarg_segment_ptr 1
		.amdhsa_user_sgpr_dispatch_id 0
		.amdhsa_user_sgpr_kernarg_preload_length 0
		.amdhsa_user_sgpr_kernarg_preload_offset 0
		.amdhsa_user_sgpr_private_segment_size 0
		.amdhsa_uses_dynamic_stack 0
		.amdhsa_enable_private_segment 0
		.amdhsa_system_sgpr_workgroup_id_x 1
		.amdhsa_system_sgpr_workgroup_id_y 1
		.amdhsa_system_sgpr_workgroup_id_z 1
		.amdhsa_system_sgpr_workgroup_info 0
		.amdhsa_system_vgpr_workitem_id 0
		.amdhsa_next_free_vgpr 48
		.amdhsa_next_free_sgpr 42
		.amdhsa_accum_offset 48
		.amdhsa_reserve_vcc 1
		.amdhsa_float_round_mode_32 0
		.amdhsa_float_round_mode_16_64 0
		.amdhsa_float_denorm_mode_32 3
		.amdhsa_float_denorm_mode_16_64 3
		.amdhsa_dx10_clamp 1
		.amdhsa_ieee_mode 1
		.amdhsa_fp16_overflow 0
		.amdhsa_tg_split 0
		.amdhsa_exception_fp_ieee_invalid_op 0
		.amdhsa_exception_fp_denorm_src 0
		.amdhsa_exception_fp_ieee_div_zero 0
		.amdhsa_exception_fp_ieee_overflow 0
		.amdhsa_exception_fp_ieee_underflow 0
		.amdhsa_exception_fp_ieee_inexact 0
		.amdhsa_exception_int_div_zero 0
	.end_amdhsa_kernel
	.section	.text._ZN4vllm25paged_attention_v2_kernelI14__hip_bfloat16S1_Li64ELi16ELi128ELNS_18Fp8KVCacheDataTypeE0ELb0ELi512EEEvPfS3_PT_PKS4_PKT0_SA_ifPKiSC_iPKfiiiSE_SE_iiiii,"axG",@progbits,_ZN4vllm25paged_attention_v2_kernelI14__hip_bfloat16S1_Li64ELi16ELi128ELNS_18Fp8KVCacheDataTypeE0ELb0ELi512EEEvPfS3_PT_PKS4_PKT0_SA_ifPKiSC_iPKfiiiSE_SE_iiiii,comdat
.Lfunc_end163:
	.size	_ZN4vllm25paged_attention_v2_kernelI14__hip_bfloat16S1_Li64ELi16ELi128ELNS_18Fp8KVCacheDataTypeE0ELb0ELi512EEEvPfS3_PT_PKS4_PKT0_SA_ifPKiSC_iPKfiiiSE_SE_iiiii, .Lfunc_end163-_ZN4vllm25paged_attention_v2_kernelI14__hip_bfloat16S1_Li64ELi16ELi128ELNS_18Fp8KVCacheDataTypeE0ELb0ELi512EEEvPfS3_PT_PKS4_PKT0_SA_ifPKiSC_iPKfiiiSE_SE_iiiii
                                        ; -- End function
	.section	.AMDGPU.csdata,"",@progbits
; Kernel info:
; codeLenInByte = 6184
; NumSgprs: 48
; NumVgprs: 48
; NumAgprs: 0
; TotalNumVgprs: 48
; ScratchSize: 0
; MemoryBound: 0
; FloatMode: 240
; IeeeMode: 1
; LDSByteSize: 144 bytes/workgroup (compile time only)
; SGPRBlocks: 5
; VGPRBlocks: 5
; NumSGPRsForWavesPerEU: 48
; NumVGPRsForWavesPerEU: 48
; AccumOffset: 48
; Occupancy: 8
; WaveLimiterHint : 1
; COMPUTE_PGM_RSRC2:SCRATCH_EN: 0
; COMPUTE_PGM_RSRC2:USER_SGPR: 2
; COMPUTE_PGM_RSRC2:TRAP_HANDLER: 0
; COMPUTE_PGM_RSRC2:TGID_X_EN: 1
; COMPUTE_PGM_RSRC2:TGID_Y_EN: 1
; COMPUTE_PGM_RSRC2:TGID_Z_EN: 1
; COMPUTE_PGM_RSRC2:TIDIG_COMP_CNT: 0
; COMPUTE_PGM_RSRC3_GFX90A:ACCUM_OFFSET: 11
; COMPUTE_PGM_RSRC3_GFX90A:TG_SPLIT: 0
	.section	.text._ZN4vllm25paged_attention_v2_kernelI14__hip_bfloat16S1_Li80ELi16ELi128ELNS_18Fp8KVCacheDataTypeE0ELb0ELi512EEEvPfS3_PT_PKS4_PKT0_SA_ifPKiSC_iPKfiiiSE_SE_iiiii,"axG",@progbits,_ZN4vllm25paged_attention_v2_kernelI14__hip_bfloat16S1_Li80ELi16ELi128ELNS_18Fp8KVCacheDataTypeE0ELb0ELi512EEEvPfS3_PT_PKS4_PKT0_SA_ifPKiSC_iPKfiiiSE_SE_iiiii,comdat
	.protected	_ZN4vllm25paged_attention_v2_kernelI14__hip_bfloat16S1_Li80ELi16ELi128ELNS_18Fp8KVCacheDataTypeE0ELb0ELi512EEEvPfS3_PT_PKS4_PKT0_SA_ifPKiSC_iPKfiiiSE_SE_iiiii ; -- Begin function _ZN4vllm25paged_attention_v2_kernelI14__hip_bfloat16S1_Li80ELi16ELi128ELNS_18Fp8KVCacheDataTypeE0ELb0ELi512EEEvPfS3_PT_PKS4_PKT0_SA_ifPKiSC_iPKfiiiSE_SE_iiiii
	.globl	_ZN4vllm25paged_attention_v2_kernelI14__hip_bfloat16S1_Li80ELi16ELi128ELNS_18Fp8KVCacheDataTypeE0ELb0ELi512EEEvPfS3_PT_PKS4_PKT0_SA_ifPKiSC_iPKfiiiSE_SE_iiiii
	.p2align	8
	.type	_ZN4vllm25paged_attention_v2_kernelI14__hip_bfloat16S1_Li80ELi16ELi128ELNS_18Fp8KVCacheDataTypeE0ELb0ELi512EEEvPfS3_PT_PKS4_PKT0_SA_ifPKiSC_iPKfiiiSE_SE_iiiii,@function
_ZN4vllm25paged_attention_v2_kernelI14__hip_bfloat16S1_Li80ELi16ELi128ELNS_18Fp8KVCacheDataTypeE0ELb0ELi512EEEvPfS3_PT_PKS4_PKT0_SA_ifPKiSC_iPKfiiiSE_SE_iiiii: ; @_ZN4vllm25paged_attention_v2_kernelI14__hip_bfloat16S1_Li80ELi16ELi128ELNS_18Fp8KVCacheDataTypeE0ELb0ELi512EEEvPfS3_PT_PKS4_PKT0_SA_ifPKiSC_iPKfiiiSE_SE_iiiii
; %bb.0:
	s_load_dwordx2 s[6:7], s[0:1], 0x40
	s_mov_b32 s24, s3
	s_ashr_i32 s25, s3, 31
	s_lshl_b64 s[8:9], s[24:25], 2
	s_waitcnt lgkmcnt(0)
	s_add_u32 s6, s6, s8
	s_addc_u32 s7, s7, s9
	s_load_dword s25, s[6:7], 0x0
	s_lshl_b32 s40, s4, 9
	s_waitcnt lgkmcnt(0)
	s_cmp_ge_i32 s40, s25
	s_cbranch_scc1 .LBB164_210
; %bb.1:
	s_load_dword s5, s[0:1], 0x90
	s_load_dwordx2 s[10:11], s[0:1], 0x30
	s_mov_b32 s41, 0
	s_waitcnt lgkmcnt(0)
	s_abs_i32 s7, s5
	s_abs_i32 s3, s10
	v_cvt_f32_u32_e32 v1, s3
	s_sub_i32 s8, 0, s3
	s_xor_b32 s6, s5, s10
	s_ashr_i32 s6, s6, 31
	v_rcp_iflag_f32_e32 v1, v1
	s_nop 0
	v_mul_f32_e32 v1, 0x4f7ffffe, v1
	v_cvt_u32_f32_e32 v1, v1
	s_nop 0
	v_readfirstlane_b32 s9, v1
	s_mul_i32 s8, s8, s9
	s_mul_hi_u32 s8, s9, s8
	s_add_i32 s9, s9, s8
	s_mul_hi_u32 s8, s7, s9
	s_mul_i32 s9, s8, s3
	s_sub_i32 s7, s7, s9
	s_add_i32 s10, s8, 1
	s_sub_i32 s9, s7, s3
	s_cmp_ge_u32 s7, s3
	s_cselect_b32 s8, s10, s8
	s_cselect_b32 s7, s9, s7
	s_add_i32 s9, s8, 1
	s_cmp_ge_u32 s7, s3
	s_cselect_b32 s3, s9, s8
	s_xor_b32 s3, s3, s6
	s_sub_i32 s10, s3, s6
	s_abs_i32 s8, s10
	v_cvt_f32_u32_e32 v1, s8
	s_load_dwordx2 s[6:7], s[0:1], 0x50
	s_sub_i32 s3, 0, s8
	s_abs_i32 s9, s2
	v_rcp_iflag_f32_e32 v1, v1
	s_nop 0
	v_mul_f32_e32 v1, 0x4f7ffffe, v1
	v_cvt_u32_f32_e32 v1, v1
	s_nop 0
	v_readfirstlane_b32 s12, v1
	s_mul_i32 s3, s3, s12
	s_mul_hi_u32 s3, s12, s3
	s_add_i32 s12, s12, s3
	s_waitcnt lgkmcnt(0)
	s_cmp_eq_u64 s[6:7], 0
	s_mul_hi_u32 s16, s9, s12
	s_cbranch_scc1 .LBB164_3
; %bb.2:
	s_ashr_i32 s3, s2, 31
	s_lshl_b64 s[12:13], s[2:3], 2
	s_add_u32 s6, s6, s12
	s_addc_u32 s7, s7, s13
	s_load_dword s41, s[6:7], 0x0
.LBB164_3:
	s_load_dwordx4 s[12:15], s[0:1], 0x58
	s_ashr_i32 s17, s2, 31
	s_waitcnt lgkmcnt(0)
	s_ashr_i32 s15, s10, 31
	v_and_b32_e32 v4, 3, v0
	s_mul_i32 s20, s2, 0x50
	v_cmp_gt_u32_e32 vcc, 40, v0
	s_and_saveexec_b64 s[6:7], vcc
	s_cbranch_execz .LBB164_5
; %bb.4:
	s_load_dwordx2 s[18:19], s[0:1], 0x18
	s_mul_i32 s22, s24, s12
	s_ashr_i32 s23, s22, 31
	s_lshl_b64 s[22:23], s[22:23], 1
	v_lshlrev_b32_e32 v1, 2, v0
	s_waitcnt lgkmcnt(0)
	s_add_u32 s3, s18, s22
	s_addc_u32 s10, s19, s23
	s_ashr_i32 s21, s20, 31
	s_lshl_b64 s[18:19], s[20:21], 1
	s_add_u32 s18, s3, s18
	s_addc_u32 s19, s10, s19
	global_load_dword v1, v1, s[18:19]
	v_and_b32_e32 v2, 0x3fc, v0
	v_mad_u32_u24 v2, v4, 40, v2
	s_waitcnt vmcnt(0)
	ds_write_b32 v2, v1
.LBB164_5:
	s_or_b64 exec, exec, s[6:7]
	s_add_i32 s3, s25, 15
	s_ashr_i32 s6, s3, 31
	s_lshr_b32 s6, s6, 28
	s_add_i32 s3, s3, s6
	s_lshl_b32 s10, s4, 5
	s_mul_i32 s7, s16, s8
	s_ashr_i32 s3, s3, 4
	s_add_i32 s6, s10, 32
	s_sub_i32 s7, s9, s7
	s_min_i32 s33, s6, s3
	s_xor_b32 s6, s17, s15
	s_add_i32 s9, s16, 1
	s_sub_i32 s12, s7, s8
	s_cmp_ge_u32 s7, s8
	s_cselect_b32 s9, s9, s16
	s_cselect_b32 s7, s12, s7
	s_add_i32 s12, s9, 1
	s_cmp_ge_u32 s7, s8
	s_load_dwordx2 s[26:27], s[0:1], 0x38
	s_load_dword s8, s[0:1], 0x48
	v_lshrrev_b32_e32 v6, 6, v0
	s_cselect_b32 s7, s12, s9
	s_xor_b32 s7, s7, s6
	v_or_b32_e32 v12, s10, v6
	s_waitcnt lgkmcnt(0)
	s_mul_i32 s28, s24, s8
	s_sub_i32 s12, s7, s6
	s_ashr_i32 s29, s28, 31
	v_cmp_gt_i32_e64 s[6:7], s33, v12
	v_cmp_le_i32_e32 vcc, s33, v12
	v_mbcnt_lo_u32_b32 v5, -1, 0
	s_barrier
	s_waitcnt lgkmcnt(0)
                                        ; implicit-def: $sgpr15
                                        ; implicit-def: $vgpr7
                                        ; implicit-def: $vgpr8
	s_and_saveexec_b64 s[8:9], vcc
	s_xor_b64 s[8:9], exec, s[8:9]
; %bb.6:
	v_mbcnt_hi_u32_b32 v7, -1, v5
	v_and_b32_e32 v1, 64, v7
	v_add_u32_e32 v8, 64, v1
	s_mov_b32 s15, 0xff7fffff
                                        ; implicit-def: $vgpr4
                                        ; implicit-def: $vgpr5
; %bb.7:
	s_or_saveexec_b64 s[34:35], s[8:9]
	s_load_dwordx4 s[16:19], s[0:1], 0x0
	s_load_dwordx2 s[22:23], s[0:1], 0x10
	s_load_dwordx2 s[30:31], s[0:1], 0x28
	s_load_dword s21, s[0:1], 0x98
	v_mov_b32_e32 v27, s15
	s_mul_i32 s14, s12, s14
	v_ashrrev_i32_e32 v13, 31, v12
	s_xor_b64 exec, exec, s[34:35]
	s_cbranch_execz .LBB164_13
; %bb.8:
	s_load_dwordx2 s[0:1], s[0:1], 0x20
	s_ashr_i32 s15, s14, 31
	s_lshl_b64 s[8:9], s[14:15], 1
	v_bfe_u32 v27, v0, 2, 4
	v_mul_u32_u24_e32 v7, 40, v4
	s_waitcnt lgkmcnt(0)
	s_add_u32 s0, s0, s8
	s_addc_u32 s1, s1, s9
	v_lshlrev_b32_e32 v2, 4, v27
	v_mov_b32_e32 v3, 0
	ds_read2_b64 v[14:17], v7 offset1:1
	ds_read2_b64 v[22:25], v7 offset0:2 offset1:3
	v_lshlrev_b32_e32 v1, 2, v0
	ds_read_b64 v[30:31], v7 offset:32
	v_mbcnt_hi_u32_b32 v7, -1, v5
	v_lshl_add_u64 v[8:9], s[0:1], 0, v[2:3]
	v_and_b32_e32 v2, 12, v1
	v_and_b32_e32 v5, 64, v7
	v_lshl_add_u64 v[2:3], v[8:9], 0, v[2:3]
	v_add_u32_e32 v8, 64, v5
	v_xor_b32_e32 v5, 2, v7
	v_cmp_lt_i32_e32 vcc, v5, v8
	s_waitcnt lgkmcnt(0)
	v_lshlrev_b32_e32 v26, 16, v30
	v_and_b32_e32 v28, 0xffff0000, v30
	v_cndmask_b32_e32 v5, v7, v5, vcc
	v_lshlrev_b32_e32 v29, 16, v31
	v_and_b32_e32 v30, 0xffff0000, v31
	v_lshlrev_b32_e32 v31, 2, v5
	v_xor_b32_e32 v5, 1, v7
	v_cmp_lt_i32_e32 vcc, v5, v8
	s_sub_i32 s15, 1, s25
	s_lshl_b64 s[8:9], s[28:29], 2
	v_cndmask_b32_e32 v5, v7, v5, vcc
	v_cmp_eq_u32_e32 vcc, 0, v4
	v_lshlrev_b32_e32 v4, 4, v6
	v_add3_u32 v33, s40, v4, v27
	v_lshlrev_b32_e32 v4, 2, v27
	s_add_u32 s8, s26, s8
	v_lshl_or_b32 v4, v6, 6, v4
	s_addc_u32 s9, s27, s9
	s_mov_b32 s12, s13
	v_lshlrev_b32_e32 v1, 16, v14
	v_and_b32_e32 v9, 0xffff0000, v14
	v_lshlrev_b32_e32 v10, 16, v15
	v_and_b32_e32 v11, 0xffff0000, v15
	;; [unrolled: 2-line block ×8, first 2 shown]
	v_lshlrev_b32_e32 v32, 2, v5
	v_cmp_neq_f32_e64 s[0:1], s41, 0
	v_add_u32_e32 v34, 0xb0, v4
	v_lshl_add_u64 v[4:5], v[12:13], 2, s[8:9]
	s_mov_b64 s[36:37], 0
	v_mov_b32_e32 v27, 0xff7fffff
	v_mov_b32_e32 v35, v12
	s_branch .LBB164_10
.LBB164_9:                              ;   in Loop: Header=BB164_10 Depth=1
	s_or_b64 exec, exec, s[38:39]
	v_add_u32_e32 v35, 2, v35
	v_cmp_le_i32_e64 s[8:9], s33, v35
	v_add_u32_e32 v33, 32, v33
	v_add_u32_e32 v34, 0x80, v34
	s_or_b64 s[36:37], s[8:9], s[36:37]
	v_lshl_add_u64 v[4:5], v[4:5], 0, 8
	s_andn2_b64 exec, exec, s[36:37]
	s_cbranch_execz .LBB164_12
.LBB164_10:                             ; =>This Inner Loop Header: Depth=1
	global_load_dword v36, v[4:5], off
	s_waitcnt vmcnt(0) lgkmcnt(0)
	v_mad_i64_i32 v[36:37], s[8:9], v36, s12, 0
	v_lshl_add_u64 v[36:37], v[36:37], 1, v[2:3]
	global_load_dword v38, v[36:37], off
	global_load_dword v39, v[36:37], off offset:256
	global_load_dword v40, v[36:37], off offset:512
	;; [unrolled: 1-line block ×9, first 2 shown]
	s_waitcnt vmcnt(9)
	v_lshlrev_b32_e32 v36, 16, v38
	v_and_b32_e32 v37, 0xffff0000, v38
	s_waitcnt vmcnt(8)
	v_lshlrev_b32_e32 v38, 16, v39
	v_and_b32_e32 v39, 0xffff0000, v39
	v_mul_f32_e32 v38, v10, v38
	v_mul_f32_e32 v39, v11, v39
	s_waitcnt vmcnt(7)
	v_lshlrev_b32_e32 v48, 16, v40
	v_and_b32_e32 v40, 0xffff0000, v40
	v_fmac_f32_e32 v38, v1, v36
	v_fmac_f32_e32 v39, v9, v37
	s_waitcnt vmcnt(6)
	v_lshlrev_b32_e32 v49, 16, v41
	v_and_b32_e32 v41, 0xffff0000, v41
	v_fmac_f32_e32 v38, v14, v48
	v_fmac_f32_e32 v39, v15, v40
	;; [unrolled: 5-line block ×8, first 2 shown]
	v_fmac_f32_e32 v38, v29, v55
	v_fmac_f32_e32 v39, v30, v47
	v_add_f32_e32 v36, v38, v39
	ds_bpermute_b32 v37, v31, v36
	s_waitcnt lgkmcnt(0)
	v_add_f32_e32 v36, v36, v37
	ds_bpermute_b32 v37, v32, v36
	s_and_saveexec_b64 s[38:39], vcc
	s_cbranch_execz .LBB164_9
; %bb.11:                               ;   in Loop: Header=BB164_10 Depth=1
	v_add_u32_e32 v38, s15, v33
	v_cvt_f32_i32_e32 v38, v38
	s_waitcnt lgkmcnt(0)
	v_add_f32_e32 v36, v36, v37
	v_cmp_gt_i32_e64 s[8:9], s25, v33
	v_max_f32_e32 v37, v27, v27
	v_mul_f32_e32 v38, s41, v38
	v_cndmask_b32_e64 v38, 0, v38, s[0:1]
	v_fmac_f32_e32 v38, s11, v36
	v_cndmask_b32_e64 v36, 0, v38, s[8:9]
	ds_write_b32 v34, v36
	v_max_f32_e32 v36, v37, v38
	v_cndmask_b32_e64 v27, v27, v36, s[8:9]
	s_branch .LBB164_9
.LBB164_12:
	s_or_b64 exec, exec, s[36:37]
.LBB164_13:
	s_or_b64 exec, exec, s[34:35]
	v_xor_b32_e32 v1, 32, v7
	v_cmp_lt_i32_e32 vcc, v1, v8
	v_xor_b32_e32 v4, 16, v7
	v_max_f32_e32 v3, v27, v27
	v_cndmask_b32_e32 v1, v7, v1, vcc
	v_lshlrev_b32_e32 v2, 2, v1
	ds_bpermute_b32 v1, v2, v27
	v_cmp_lt_i32_e32 vcc, v4, v8
	v_xor_b32_e32 v5, 8, v7
	v_lshlrev_b32_e32 v9, 2, v6
	s_waitcnt lgkmcnt(0)
	v_max_f32_e32 v1, v1, v1
	v_max_f32_e32 v1, v3, v1
	v_cndmask_b32_e32 v3, v7, v4, vcc
	v_lshlrev_b32_e32 v3, 2, v3
	ds_bpermute_b32 v4, v3, v1
	v_cmp_lt_i32_e32 vcc, v5, v8
	s_waitcnt lgkmcnt(0)
	v_max_f32_e32 v4, v4, v4
	v_max_f32_e32 v1, v1, v4
	v_cndmask_b32_e32 v4, v7, v5, vcc
	v_lshlrev_b32_e32 v11, 2, v4
	ds_bpermute_b32 v4, v11, v1
	v_xor_b32_e32 v5, 4, v7
	v_cmp_lt_i32_e32 vcc, v5, v8
	s_waitcnt lgkmcnt(0)
	v_max_f32_e32 v4, v4, v4
	v_max_f32_e32 v1, v1, v4
	v_cndmask_b32_e32 v4, v7, v5, vcc
	v_lshlrev_b32_e32 v14, 2, v4
	ds_bpermute_b32 v5, v14, v1
	v_and_b32_e32 v4, 63, v0
	v_cmp_eq_u32_e32 vcc, 0, v4
	s_and_saveexec_b64 s[0:1], vcc
	s_cbranch_execz .LBB164_15
; %bb.14:
	s_waitcnt lgkmcnt(0)
	v_max_f32_e32 v5, v5, v5
	v_max_f32_e32 v1, v1, v1
	;; [unrolled: 1-line block ×3, first 2 shown]
	ds_write_b32 v9, v1 offset:160
.LBB164_15:
	s_or_b64 exec, exec, s[0:1]
	v_cmp_gt_u32_e64 s[0:1], 2, v4
	s_waitcnt lgkmcnt(0)
	v_mov_b32_e32 v5, 0xff7fffff
	v_lshlrev_b32_e32 v10, 2, v4
	s_barrier
	s_and_saveexec_b64 s[8:9], s[0:1]
	s_cbranch_execz .LBB164_17
; %bb.16:
	ds_read_b32 v5, v10 offset:160
.LBB164_17:
	s_or_b64 exec, exec, s[8:9]
	v_xor_b32_e32 v1, 1, v7
	v_cmp_lt_i32_e64 s[8:9], v1, v8
	v_mov_b32_e32 v16, 0
	s_nop 0
	v_cndmask_b32_e64 v1, v7, v1, s[8:9]
	v_lshlrev_b32_e32 v1, 2, v1
	s_waitcnt lgkmcnt(0)
	ds_bpermute_b32 v15, v1, v5
	v_max_f32_e32 v5, v5, v5
	s_sub_i32 s8, s33, s10
	s_lshl_b32 s8, s8, 4
	s_add_i32 s8, s8, s40
	s_waitcnt lgkmcnt(0)
	v_max_f32_e32 v15, v15, v15
	v_max_f32_e32 v5, v5, v15
	v_lshlrev_b32_e32 v15, 2, v7
	v_and_b32_e32 v15, 0xffffff00, v15
	ds_bpermute_b32 v5, v15, v5
	s_min_i32 s15, s8, s25
	s_sub_i32 s12, s15, s40
	v_cmp_gt_i32_e64 s[8:9], s12, v0
	s_and_saveexec_b64 s[34:35], s[8:9]
	s_cbranch_execz .LBB164_21
; %bb.18:
	v_mov_b32_e32 v16, 0xb0
	v_lshl_add_u32 v17, v0, 2, v16
	s_mov_b64 s[36:37], 0
	v_mov_b32_e32 v16, 0
	v_mov_b32_e32 v18, v0
.LBB164_19:                             ; =>This Inner Loop Header: Depth=1
	ds_read_b32 v19, v17
	v_add_u32_e32 v18, 0x80, v18
	v_cmp_le_i32_e64 s[10:11], s12, v18
	s_or_b64 s[36:37], s[10:11], s[36:37]
	s_waitcnt lgkmcnt(0)
	v_sub_f32_e32 v19, v19, v5
	v_mul_f32_e32 v19, 0x3fb8aa3b, v19
	v_exp_f32_e32 v19, v19
	ds_write_b32 v17, v19
	v_add_f32_e32 v16, v16, v19
	v_add_u32_e32 v17, 0x200, v17
	s_andn2_b64 exec, exec, s[36:37]
	s_cbranch_execnz .LBB164_19
; %bb.20:
	s_or_b64 exec, exec, s[36:37]
.LBB164_21:
	s_or_b64 exec, exec, s[34:35]
	ds_bpermute_b32 v2, v2, v16
	s_waitcnt lgkmcnt(0)
	v_add_f32_e32 v2, v16, v2
	ds_bpermute_b32 v3, v3, v2
	s_waitcnt lgkmcnt(0)
	v_add_f32_e32 v2, v2, v3
	ds_bpermute_b32 v3, v11, v2
	v_xor_b32_e32 v11, 2, v7
	v_cmp_lt_i32_e64 s[10:11], v11, v8
	s_waitcnt lgkmcnt(0)
	v_add_f32_e32 v2, v2, v3
	ds_bpermute_b32 v3, v14, v2
	v_cndmask_b32_e64 v7, v7, v11, s[10:11]
	s_waitcnt lgkmcnt(0)
	v_add_f32_e32 v2, v2, v3
	v_lshlrev_b32_e32 v3, 2, v7
	ds_bpermute_b32 v3, v3, v2
	s_waitcnt lgkmcnt(0)
	v_add_f32_e32 v2, v2, v3
	ds_bpermute_b32 v3, v1, v2
	s_waitcnt lgkmcnt(0)
	v_add_f32_e32 v2, v2, v3
	s_and_saveexec_b64 s[10:11], vcc
	s_cbranch_execz .LBB164_23
; %bb.22:
	ds_write_b32 v9, v2 offset:168
.LBB164_23:
	s_or_b64 exec, exec, s[10:11]
	s_waitcnt lgkmcnt(0)
	s_barrier
	s_and_saveexec_b64 s[10:11], s[0:1]
	s_cbranch_execz .LBB164_25
; %bb.24:
	ds_read_b32 v2, v10 offset:168
.LBB164_25:
	s_or_b64 exec, exec, s[10:11]
	s_waitcnt lgkmcnt(0)
	ds_bpermute_b32 v3, v1, v2
	s_waitcnt lgkmcnt(0)
	v_add_f32_e32 v2, v2, v3
	ds_bpermute_b32 v7, v15, v2
	s_and_saveexec_b64 s[0:1], s[8:9]
	s_cbranch_execz .LBB164_38
; %bb.26:
	s_waitcnt lgkmcnt(0)
	v_add_f32_e32 v2, 0x358637bd, v7
	v_div_scale_f32 v3, s[8:9], v2, v2, 1.0
	v_rcp_f32_e32 v8, v3
	v_div_scale_f32 v9, vcc, 1.0, v2, 1.0
	s_movk_i32 s8, 0x7f
	v_fma_f32 v10, -v3, v8, 1.0
	v_fmac_f32_e32 v8, v10, v8
	v_mul_f32_e32 v10, v9, v8
	v_fma_f32 v11, -v3, v10, v9
	v_fmac_f32_e32 v10, v11, v8
	v_fma_f32 v3, -v3, v10, v9
	v_div_fmas_f32 v3, v3, v8, v10
	v_div_fixup_f32 v2, v3, v2, 1.0
	v_xad_u32 v3, v0, -1, s15
	v_subrev_u32_e32 v8, s40, v3
	v_cmp_lt_u32_e32 vcc, s8, v8
	s_mov_b64 s[10:11], -1
	v_mov_b32_e32 v3, v0
	s_and_saveexec_b64 s[8:9], vcc
	s_cbranch_execz .LBB164_35
; %bb.27:
	v_lshrrev_b32_e32 v8, 7, v8
	v_add_u32_e32 v10, -1, v8
	v_lshrrev_b32_e32 v9, 1, v10
	v_mov_b32_e32 v3, v2
	v_add_u32_e32 v9, 1, v9
	v_cmp_lt_u32_e32 vcc, 13, v10
	v_mov_b32_e32 v14, 0
	s_and_saveexec_b64 s[10:11], vcc
	s_cbranch_execz .LBB164_31
; %bb.28:
	v_mov_b32_e32 v11, 0xb0
	v_and_b32_e32 v10, -8, v9
	v_lshl_add_u32 v11, v0, 2, v11
	s_mov_b32 s15, 0
	s_mov_b64 s[34:35], 0
.LBB164_29:                             ; =>This Inner Loop Header: Depth=1
	ds_read2st64_b32 v[14:15], v11 offset1:2
	ds_read2st64_b32 v[16:17], v11 offset0:4 offset1:6
	ds_read2st64_b32 v[18:19], v11 offset0:8 offset1:10
	;; [unrolled: 1-line block ×3, first 2 shown]
	v_add_u32_e32 v10, -8, v10
	s_waitcnt lgkmcnt(3)
	v_pk_mul_f32 v[14:15], v[2:3], v[14:15]
	s_waitcnt lgkmcnt(2)
	v_pk_mul_f32 v[16:17], v[2:3], v[16:17]
	ds_write2st64_b32 v11, v14, v15 offset1:2
	ds_write2st64_b32 v11, v16, v17 offset0:4 offset1:6
	ds_read2st64_b32 v[16:17], v11 offset0:16 offset1:18
	s_waitcnt lgkmcnt(4)
	v_pk_mul_f32 v[14:15], v[2:3], v[18:19]
	ds_write2st64_b32 v11, v14, v15 offset0:8 offset1:10
	s_waitcnt lgkmcnt(4)
	v_pk_mul_f32 v[14:15], v[2:3], v[20:21]
	ds_write2st64_b32 v11, v14, v15 offset0:12 offset1:14
	ds_read2st64_b32 v[14:15], v11 offset0:20 offset1:22
	s_waitcnt lgkmcnt(3)
	v_pk_mul_f32 v[16:17], v[2:3], v[16:17]
	ds_read2st64_b32 v[18:19], v11 offset0:24 offset1:26
	ds_write2st64_b32 v11, v16, v17 offset0:16 offset1:18
	ds_read2st64_b32 v[16:17], v11 offset0:28 offset1:30
	s_waitcnt lgkmcnt(3)
	v_pk_mul_f32 v[14:15], v[2:3], v[14:15]
	ds_write2st64_b32 v11, v14, v15 offset0:20 offset1:22
	s_waitcnt lgkmcnt(3)
	v_pk_mul_f32 v[14:15], v[2:3], v[18:19]
	ds_write2st64_b32 v11, v14, v15 offset0:24 offset1:26
	s_waitcnt lgkmcnt(2)
	v_pk_mul_f32 v[14:15], v[2:3], v[16:17]
	s_add_i32 s15, s15, 16
	v_cmp_eq_u32_e32 vcc, 0, v10
	ds_write2st64_b32 v11, v14, v15 offset0:28 offset1:30
	v_add_u32_e32 v11, 0x2000, v11
	s_or_b64 s[34:35], vcc, s[34:35]
	v_mov_b32_e32 v14, s15
	s_andn2_b64 exec, exec, s[34:35]
	s_cbranch_execnz .LBB164_29
; %bb.30:
	s_or_b64 exec, exec, s[34:35]
.LBB164_31:
	s_or_b64 exec, exec, s[10:11]
	v_and_b32_e32 v9, 7, v9
	v_cmp_ne_u32_e32 vcc, 0, v9
	s_and_saveexec_b64 s[10:11], vcc
	s_cbranch_execz .LBB164_34
; %bb.32:
	v_lshlrev_b32_e32 v10, 9, v14
	v_lshlrev_b32_e32 v11, 2, v0
	s_movk_i32 s15, 0xb0
	v_add3_u32 v10, v10, v11, s15
	s_mov_b64 s[34:35], 0
.LBB164_33:                             ; =>This Inner Loop Header: Depth=1
	ds_read2st64_b32 v[14:15], v10 offset1:2
	v_add_u32_e32 v9, -1, v9
	v_cmp_eq_u32_e32 vcc, 0, v9
	s_or_b64 s[34:35], vcc, s[34:35]
	s_waitcnt lgkmcnt(0)
	v_pk_mul_f32 v[14:15], v[2:3], v[14:15]
	ds_write2st64_b32 v10, v14, v15 offset1:2
	v_add_u32_e32 v10, 0x400, v10
	s_andn2_b64 exec, exec, s[34:35]
	s_cbranch_execnz .LBB164_33
.LBB164_34:
	s_or_b64 exec, exec, s[10:11]
	v_add_u32_e32 v8, 1, v8
	v_and_b32_e32 v9, 0x3fffffe, v8
	v_cmp_ne_u32_e32 vcc, v8, v9
	v_lshl_add_u32 v3, v9, 7, v0
	s_orn2_b64 s[10:11], vcc, exec
.LBB164_35:
	s_or_b64 exec, exec, s[8:9]
	s_and_b64 exec, exec, s[10:11]
	s_cbranch_execz .LBB164_38
; %bb.36:
	v_mov_b32_e32 v8, 0xb0
	v_lshl_add_u32 v8, v3, 2, v8
	s_mov_b64 s[8:9], 0
.LBB164_37:                             ; =>This Inner Loop Header: Depth=1
	ds_read_b32 v9, v8
	v_add_u32_e32 v3, 0x80, v3
	v_cmp_le_i32_e32 vcc, s12, v3
	s_or_b64 s[8:9], vcc, s[8:9]
	s_waitcnt lgkmcnt(0)
	v_mul_f32_e32 v9, v2, v9
	ds_write_b32 v8, v9
	v_add_u32_e32 v8, 0x200, v8
	s_andn2_b64 exec, exec, s[8:9]
	s_cbranch_execnz .LBB164_37
.LBB164_38:
	s_or_b64 exec, exec, s[0:1]
	s_mul_i32 s0, s21, s24
	v_cmp_eq_u32_e32 vcc, 0, v0
	s_mul_i32 s8, s0, s5
	s_waitcnt lgkmcnt(0)
	s_barrier
	s_and_saveexec_b64 s[0:1], vcc
	s_cbranch_execz .LBB164_40
; %bb.39:
	s_ashr_i32 s9, s8, 31
	s_lshl_b64 s[10:11], s[8:9], 2
	s_add_u32 s5, s18, s10
	s_mul_i32 s18, s21, s2
	s_addc_u32 s9, s19, s11
	s_ashr_i32 s19, s18, 31
	s_lshl_b64 s[18:19], s[18:19], 2
	s_add_u32 s2, s5, s18
	s_addc_u32 s9, s9, s19
	s_ashr_i32 s5, s4, 31
	s_lshl_b64 s[34:35], s[4:5], 2
	s_add_u32 s36, s2, s34
	s_addc_u32 s37, s9, s35
	s_add_u32 s2, s16, s10
	s_addc_u32 s5, s17, s11
	;; [unrolled: 2-line block ×3, first 2 shown]
	s_add_u32 s10, s2, s34
	v_mov_b32_e32 v2, 0
	s_addc_u32 s11, s5, s35
	global_store_dword v2, v5, s[36:37]
	global_store_dword v2, v7, s[10:11]
.LBB164_40:
	s_or_b64 exec, exec, s[0:1]
	v_mov_b32_e32 v10, 0
	v_lshrrev_b32_e32 v22, 1, v4
	v_and_b32_e32 v11, 1, v0
	v_mov_b32_e32 v17, v10
	v_mov_b32_e32 v16, v10
	s_and_saveexec_b64 s[10:11], s[6:7]
	s_cbranch_execz .LBB164_180
; %bb.41:
	s_ashr_i32 s15, s14, 31
	s_lshl_b64 s[0:1], s[14:15], 1
	v_lshlrev_b32_e32 v2, 3, v0
	s_add_u32 s6, s30, s0
	v_or_b32_e32 v4, 64, v22
	s_movk_i32 s0, 0x50
	v_and_b32_e32 v3, 8, v2
	s_addc_u32 s7, s31, s1
	s_add_i32 s9, s3, -1
	v_cmp_gt_u32_e32 vcc, s0, v4
	v_lshl_add_u32 v5, v6, 4, s40
	s_lshl_b64 s[0:1], s[28:29], 2
	v_lshl_or_b32 v2, v22, 4, v3
	v_lshl_or_b32 v4, v4, 4, v3
	v_add3_u32 v23, v5, v3, 7
	v_lshlrev_b32_e32 v3, 5, v11
	s_add_u32 s0, s26, s0
	v_mov_b32_e32 v15, 0
	v_lshl_or_b32 v3, v6, 6, v3
	s_addc_u32 s1, s27, s1
	s_mov_b32 s5, s13
	v_add_u32_e32 v24, 0xb0, v3
	v_lshl_add_u64 v[18:19], v[12:13], 2, s[0:1]
	s_mov_b64 s[12:13], 0
	s_mov_b32 s16, 0x7f800000
	s_movk_i32 s17, 0x7fff
	v_lshlrev_b32_e32 v14, 1, v2
	v_lshlrev_b32_e32 v20, 1, v4
	v_mov_b32_e32 v16, v15
	v_mov_b32_e32 v17, v15
	;; [unrolled: 1-line block ×3, first 2 shown]
	s_branch .LBB164_44
.LBB164_42:                             ;   in Loop: Header=BB164_44 Depth=1
	s_or_b64 exec, exec, s[14:15]
	v_and_b32_e32 v26, 0xffff0000, v8
	v_and_b32_e32 v9, 0xffff0000, v9
	;; [unrolled: 1-line block ×8, first 2 shown]
	v_pk_add_f32 v[2:3], v[2:3], v[8:9]
	v_pk_add_f32 v[4:5], v[4:5], v[26:27]
	v_add_f32_e32 v2, v2, v3
	v_add_f32_e32 v2, v2, v4
	v_add_f32_e32 v2, v2, v5
	v_add_f32_e32 v10, v10, v2
.LBB164_43:                             ;   in Loop: Header=BB164_44 Depth=1
	s_or_b64 exec, exec, s[2:3]
	v_add_u32_e32 v12, 2, v12
	v_cmp_le_i32_e64 s[0:1], s33, v12
	v_add_u32_e32 v23, 32, v23
	v_add_u32_e32 v24, 0x80, v24
	s_or_b64 s[12:13], s[0:1], s[12:13]
	v_lshl_add_u64 v[18:19], v[18:19], 0, 8
	s_andn2_b64 exec, exec, s[12:13]
	s_cbranch_execz .LBB164_179
.LBB164_44:                             ; =>This Inner Loop Header: Depth=1
	global_load_dword v13, v[18:19], off
	ds_read2_b64 v[6:9], v24 offset1:1
	ds_read2_b64 v[2:5], v24 offset0:2 offset1:3
	s_waitcnt lgkmcnt(1)
	v_and_b32_e32 v21, 0x7f800000, v6
	v_cmp_ne_u32_e64 s[0:1], s16, v21
                                        ; implicit-def: $vgpr21
	s_and_saveexec_b64 s[2:3], s[0:1]
	s_xor_b64 s[0:1], exec, s[2:3]
; %bb.45:                               ;   in Loop: Header=BB164_44 Depth=1
	v_bfe_u32 v21, v6, 16, 1
	v_add3_u32 v21, v6, v21, s17
; %bb.46:                               ;   in Loop: Header=BB164_44 Depth=1
	s_andn2_saveexec_b64 s[2:3], s[0:1]
; %bb.47:                               ;   in Loop: Header=BB164_44 Depth=1
	v_or_b32_e32 v21, 0x10000, v6
	v_cmp_eq_u32_sdwa s[0:1], v6, v15 src0_sel:WORD_0 src1_sel:DWORD
	s_nop 1
	v_cndmask_b32_e64 v21, v21, v6, s[0:1]
; %bb.48:                               ;   in Loop: Header=BB164_44 Depth=1
	s_or_b64 exec, exec, s[2:3]
	v_and_b32_e32 v6, 0x7f800000, v7
	v_cmp_ne_u32_e64 s[0:1], s16, v6
                                        ; implicit-def: $vgpr26
	s_and_saveexec_b64 s[2:3], s[0:1]
	s_xor_b64 s[0:1], exec, s[2:3]
; %bb.49:                               ;   in Loop: Header=BB164_44 Depth=1
	v_bfe_u32 v6, v7, 16, 1
	v_add3_u32 v26, v7, v6, s17
; %bb.50:                               ;   in Loop: Header=BB164_44 Depth=1
	s_andn2_saveexec_b64 s[2:3], s[0:1]
; %bb.51:                               ;   in Loop: Header=BB164_44 Depth=1
	v_or_b32_e32 v6, 0x10000, v7
	v_cmp_eq_u32_sdwa s[0:1], v7, v15 src0_sel:WORD_0 src1_sel:DWORD
	s_nop 1
	v_cndmask_b32_e64 v26, v6, v7, s[0:1]
; %bb.52:                               ;   in Loop: Header=BB164_44 Depth=1
	s_or_b64 exec, exec, s[2:3]
	v_and_b32_e32 v6, 0x7f800000, v8
	v_cmp_ne_u32_e64 s[0:1], s16, v6
                                        ; implicit-def: $vgpr27
	s_and_saveexec_b64 s[2:3], s[0:1]
	s_xor_b64 s[0:1], exec, s[2:3]
; %bb.53:                               ;   in Loop: Header=BB164_44 Depth=1
	v_bfe_u32 v6, v8, 16, 1
	v_add3_u32 v27, v8, v6, s17
; %bb.54:                               ;   in Loop: Header=BB164_44 Depth=1
	s_andn2_saveexec_b64 s[2:3], s[0:1]
; %bb.55:                               ;   in Loop: Header=BB164_44 Depth=1
	v_or_b32_e32 v6, 0x10000, v8
	v_cmp_eq_u32_sdwa s[0:1], v8, v15 src0_sel:WORD_0 src1_sel:DWORD
	s_nop 1
	v_cndmask_b32_e64 v27, v6, v8, s[0:1]
; %bb.56:                               ;   in Loop: Header=BB164_44 Depth=1
	s_or_b64 exec, exec, s[2:3]
	v_and_b32_e32 v6, 0x7f800000, v9
	v_cmp_ne_u32_e64 s[0:1], s16, v6
                                        ; implicit-def: $vgpr28
	s_and_saveexec_b64 s[2:3], s[0:1]
	s_xor_b64 s[0:1], exec, s[2:3]
; %bb.57:                               ;   in Loop: Header=BB164_44 Depth=1
	v_bfe_u32 v6, v9, 16, 1
	v_add3_u32 v28, v9, v6, s17
                                        ; implicit-def: $vgpr6_vgpr7_vgpr8_vgpr9
; %bb.58:                               ;   in Loop: Header=BB164_44 Depth=1
	s_andn2_saveexec_b64 s[2:3], s[0:1]
; %bb.59:                               ;   in Loop: Header=BB164_44 Depth=1
	v_or_b32_e32 v6, 0x10000, v9
	v_cmp_eq_u32_sdwa s[0:1], v9, v15 src0_sel:WORD_0 src1_sel:DWORD
	s_nop 1
	v_cndmask_b32_e64 v28, v6, v9, s[0:1]
; %bb.60:                               ;   in Loop: Header=BB164_44 Depth=1
	s_or_b64 exec, exec, s[2:3]
	s_waitcnt lgkmcnt(0)
	v_and_b32_e32 v6, 0x7f800000, v2
	v_cmp_ne_u32_e64 s[0:1], s16, v6
                                        ; implicit-def: $vgpr29
	s_and_saveexec_b64 s[2:3], s[0:1]
	s_xor_b64 s[0:1], exec, s[2:3]
; %bb.61:                               ;   in Loop: Header=BB164_44 Depth=1
	v_bfe_u32 v6, v2, 16, 1
	v_add3_u32 v29, v2, v6, s17
; %bb.62:                               ;   in Loop: Header=BB164_44 Depth=1
	s_andn2_saveexec_b64 s[2:3], s[0:1]
; %bb.63:                               ;   in Loop: Header=BB164_44 Depth=1
	v_or_b32_e32 v6, 0x10000, v2
	v_cmp_eq_u32_sdwa s[0:1], v2, v15 src0_sel:WORD_0 src1_sel:DWORD
	s_nop 1
	v_cndmask_b32_e64 v29, v6, v2, s[0:1]
; %bb.64:                               ;   in Loop: Header=BB164_44 Depth=1
	s_or_b64 exec, exec, s[2:3]
	v_and_b32_e32 v2, 0x7f800000, v3
	v_cmp_ne_u32_e64 s[0:1], s16, v2
                                        ; implicit-def: $vgpr30
	s_and_saveexec_b64 s[2:3], s[0:1]
	s_xor_b64 s[0:1], exec, s[2:3]
; %bb.65:                               ;   in Loop: Header=BB164_44 Depth=1
	v_bfe_u32 v2, v3, 16, 1
	v_add3_u32 v30, v3, v2, s17
; %bb.66:                               ;   in Loop: Header=BB164_44 Depth=1
	s_andn2_saveexec_b64 s[2:3], s[0:1]
; %bb.67:                               ;   in Loop: Header=BB164_44 Depth=1
	v_or_b32_e32 v2, 0x10000, v3
	v_cmp_eq_u32_sdwa s[0:1], v3, v15 src0_sel:WORD_0 src1_sel:DWORD
	s_nop 1
	v_cndmask_b32_e64 v30, v2, v3, s[0:1]
; %bb.68:                               ;   in Loop: Header=BB164_44 Depth=1
	s_or_b64 exec, exec, s[2:3]
	v_and_b32_e32 v2, 0x7f800000, v4
	v_cmp_ne_u32_e64 s[0:1], s16, v2
                                        ; implicit-def: $vgpr31
	s_and_saveexec_b64 s[2:3], s[0:1]
	s_xor_b64 s[0:1], exec, s[2:3]
; %bb.69:                               ;   in Loop: Header=BB164_44 Depth=1
	v_bfe_u32 v2, v4, 16, 1
	v_add3_u32 v31, v4, v2, s17
; %bb.70:                               ;   in Loop: Header=BB164_44 Depth=1
	s_andn2_saveexec_b64 s[2:3], s[0:1]
; %bb.71:                               ;   in Loop: Header=BB164_44 Depth=1
	v_or_b32_e32 v2, 0x10000, v4
	v_cmp_eq_u32_sdwa s[0:1], v4, v15 src0_sel:WORD_0 src1_sel:DWORD
	s_nop 1
	v_cndmask_b32_e64 v31, v2, v4, s[0:1]
; %bb.72:                               ;   in Loop: Header=BB164_44 Depth=1
	s_or_b64 exec, exec, s[2:3]
	v_and_b32_e32 v2, 0x7f800000, v5
	v_cmp_ne_u32_e64 s[0:1], s16, v2
                                        ; implicit-def: $vgpr32
	s_and_saveexec_b64 s[2:3], s[0:1]
	s_xor_b64 s[0:1], exec, s[2:3]
; %bb.73:                               ;   in Loop: Header=BB164_44 Depth=1
	v_bfe_u32 v2, v5, 16, 1
	v_add3_u32 v32, v5, v2, s17
                                        ; implicit-def: $vgpr2_vgpr3_vgpr4_vgpr5
; %bb.74:                               ;   in Loop: Header=BB164_44 Depth=1
	s_andn2_saveexec_b64 s[2:3], s[0:1]
; %bb.75:                               ;   in Loop: Header=BB164_44 Depth=1
	v_or_b32_e32 v2, 0x10000, v5
	v_cmp_eq_u32_sdwa s[0:1], v5, v15 src0_sel:WORD_0 src1_sel:DWORD
	s_nop 1
	v_cndmask_b32_e64 v32, v2, v5, s[0:1]
; %bb.76:                               ;   in Loop: Header=BB164_44 Depth=1
	s_or_b64 exec, exec, s[2:3]
	s_waitcnt vmcnt(0)
	v_mad_i64_i32 v[2:3], s[0:1], v13, s5, 0
	v_lshl_add_u64 v[6:7], v[2:3], 1, s[6:7]
	v_lshl_add_u64 v[8:9], v[6:7], 0, v[14:15]
	global_load_dwordx4 v[2:5], v[8:9], off
	v_add_u32_e32 v13, -7, v23
	v_cmp_eq_u32_e64 s[0:1], s9, v12
	s_waitcnt vmcnt(0)
	v_lshrrev_b32_e32 v33, 16, v2
	v_lshrrev_b32_e32 v35, 16, v3
	;; [unrolled: 1-line block ×4, first 2 shown]
	s_and_saveexec_b64 s[14:15], s[0:1]
	s_cbranch_execz .LBB164_78
; %bb.77:                               ;   in Loop: Header=BB164_44 Depth=1
	v_cmp_gt_i32_e64 s[2:3], s25, v13
	v_add_u32_e32 v25, -6, v23
	s_nop 0
	v_cndmask_b32_e64 v2, 0, v2, s[2:3]
	v_cmp_gt_i32_e64 s[2:3], s25, v25
	v_add_u32_e32 v25, -5, v23
	s_nop 0
	v_cndmask_b32_e64 v33, 0, v33, s[2:3]
	;; [unrolled: 4-line block ×6, first 2 shown]
	v_cmp_gt_i32_e64 s[2:3], s25, v25
	s_nop 1
	v_cndmask_b32_e64 v5, 0, v5, s[2:3]
	v_cmp_gt_i32_e64 s[2:3], s25, v23
	s_nop 1
	v_cndmask_b32_e64 v39, 0, v39, s[2:3]
.LBB164_78:                             ;   in Loop: Header=BB164_44 Depth=1
	s_or_b64 exec, exec, s[14:15]
	v_and_b32_e32 v25, 0xffff0000, v21
	v_lshlrev_b32_e32 v2, 16, v2
	v_mul_f32_e32 v2, v25, v2
	v_and_b32_e32 v21, 0x7f800000, v2
	v_cmp_ne_u32_e64 s[2:3], s16, v21
                                        ; implicit-def: $vgpr21
	s_and_saveexec_b64 s[14:15], s[2:3]
	s_xor_b64 s[2:3], exec, s[14:15]
; %bb.79:                               ;   in Loop: Header=BB164_44 Depth=1
	v_bfe_u32 v21, v2, 16, 1
	v_add3_u32 v21, v2, v21, s17
                                        ; implicit-def: $vgpr2
; %bb.80:                               ;   in Loop: Header=BB164_44 Depth=1
	s_andn2_saveexec_b64 s[14:15], s[2:3]
; %bb.81:                               ;   in Loop: Header=BB164_44 Depth=1
	v_or_b32_e32 v21, 0x10000, v2
	v_cmp_eq_u32_sdwa s[2:3], v2, v15 src0_sel:WORD_0 src1_sel:DWORD
	s_nop 1
	v_cndmask_b32_e64 v21, v21, v2, s[2:3]
; %bb.82:                               ;   in Loop: Header=BB164_44 Depth=1
	s_or_b64 exec, exec, s[14:15]
	v_and_b32_e32 v26, 0xffff0000, v26
	v_lshlrev_b32_e32 v2, 16, v33
	v_mul_f32_e32 v2, v26, v2
	v_and_b32_e32 v33, 0x7f800000, v2
	v_cmp_ne_u32_e64 s[2:3], s16, v33
                                        ; implicit-def: $vgpr33
	s_and_saveexec_b64 s[14:15], s[2:3]
	s_xor_b64 s[2:3], exec, s[14:15]
; %bb.83:                               ;   in Loop: Header=BB164_44 Depth=1
	v_bfe_u32 v33, v2, 16, 1
	v_add3_u32 v33, v2, v33, s17
                                        ; implicit-def: $vgpr2
; %bb.84:                               ;   in Loop: Header=BB164_44 Depth=1
	s_andn2_saveexec_b64 s[14:15], s[2:3]
; %bb.85:                               ;   in Loop: Header=BB164_44 Depth=1
	v_or_b32_e32 v33, 0x10000, v2
	v_cmp_eq_u32_sdwa s[2:3], v2, v15 src0_sel:WORD_0 src1_sel:DWORD
	s_nop 1
	v_cndmask_b32_e64 v33, v33, v2, s[2:3]
; %bb.86:                               ;   in Loop: Header=BB164_44 Depth=1
	s_or_b64 exec, exec, s[14:15]
	v_and_b32_e32 v27, 0xffff0000, v27
	v_lshlrev_b32_e32 v2, 16, v3
	v_mul_f32_e32 v2, v27, v2
	v_and_b32_e32 v3, 0x7f800000, v2
	v_cmp_ne_u32_e64 s[2:3], s16, v3
                                        ; implicit-def: $vgpr34
	s_and_saveexec_b64 s[14:15], s[2:3]
	s_xor_b64 s[2:3], exec, s[14:15]
; %bb.87:                               ;   in Loop: Header=BB164_44 Depth=1
	v_bfe_u32 v3, v2, 16, 1
	v_add3_u32 v34, v2, v3, s17
                                        ; implicit-def: $vgpr2
; %bb.88:                               ;   in Loop: Header=BB164_44 Depth=1
	s_andn2_saveexec_b64 s[14:15], s[2:3]
; %bb.89:                               ;   in Loop: Header=BB164_44 Depth=1
	v_or_b32_e32 v3, 0x10000, v2
	v_cmp_eq_u32_sdwa s[2:3], v2, v15 src0_sel:WORD_0 src1_sel:DWORD
	s_nop 1
	v_cndmask_b32_e64 v34, v3, v2, s[2:3]
; %bb.90:                               ;   in Loop: Header=BB164_44 Depth=1
	s_or_b64 exec, exec, s[14:15]
	v_and_b32_e32 v28, 0xffff0000, v28
	v_lshlrev_b32_e32 v2, 16, v35
	v_mul_f32_e32 v2, v28, v2
	v_and_b32_e32 v3, 0x7f800000, v2
	v_cmp_ne_u32_e64 s[2:3], s16, v3
                                        ; implicit-def: $vgpr35
	s_and_saveexec_b64 s[14:15], s[2:3]
	s_xor_b64 s[2:3], exec, s[14:15]
; %bb.91:                               ;   in Loop: Header=BB164_44 Depth=1
	v_bfe_u32 v3, v2, 16, 1
	v_add3_u32 v35, v2, v3, s17
                                        ; implicit-def: $vgpr2
; %bb.92:                               ;   in Loop: Header=BB164_44 Depth=1
	s_andn2_saveexec_b64 s[14:15], s[2:3]
; %bb.93:                               ;   in Loop: Header=BB164_44 Depth=1
	v_or_b32_e32 v3, 0x10000, v2
	v_cmp_eq_u32_sdwa s[2:3], v2, v15 src0_sel:WORD_0 src1_sel:DWORD
	s_nop 1
	v_cndmask_b32_e64 v35, v3, v2, s[2:3]
; %bb.94:                               ;   in Loop: Header=BB164_44 Depth=1
	s_or_b64 exec, exec, s[14:15]
	v_and_b32_e32 v29, 0xffff0000, v29
	v_lshlrev_b32_e32 v2, 16, v4
	v_mul_f32_e32 v2, v29, v2
	v_and_b32_e32 v3, 0x7f800000, v2
	v_cmp_ne_u32_e64 s[2:3], s16, v3
                                        ; implicit-def: $vgpr36
	s_and_saveexec_b64 s[14:15], s[2:3]
	s_xor_b64 s[2:3], exec, s[14:15]
; %bb.95:                               ;   in Loop: Header=BB164_44 Depth=1
	v_bfe_u32 v3, v2, 16, 1
	v_add3_u32 v36, v2, v3, s17
                                        ; implicit-def: $vgpr2
; %bb.96:                               ;   in Loop: Header=BB164_44 Depth=1
	s_andn2_saveexec_b64 s[14:15], s[2:3]
; %bb.97:                               ;   in Loop: Header=BB164_44 Depth=1
	v_or_b32_e32 v3, 0x10000, v2
	v_cmp_eq_u32_sdwa s[2:3], v2, v15 src0_sel:WORD_0 src1_sel:DWORD
	s_nop 1
	v_cndmask_b32_e64 v36, v3, v2, s[2:3]
; %bb.98:                               ;   in Loop: Header=BB164_44 Depth=1
	s_or_b64 exec, exec, s[14:15]
	v_and_b32_e32 v30, 0xffff0000, v30
	v_lshlrev_b32_e32 v2, 16, v37
	v_mul_f32_e32 v2, v30, v2
	v_and_b32_e32 v3, 0x7f800000, v2
	v_cmp_ne_u32_e64 s[2:3], s16, v3
                                        ; implicit-def: $vgpr37
	s_and_saveexec_b64 s[14:15], s[2:3]
	s_xor_b64 s[2:3], exec, s[14:15]
; %bb.99:                               ;   in Loop: Header=BB164_44 Depth=1
	v_bfe_u32 v3, v2, 16, 1
	v_add3_u32 v37, v2, v3, s17
                                        ; implicit-def: $vgpr2
; %bb.100:                              ;   in Loop: Header=BB164_44 Depth=1
	s_andn2_saveexec_b64 s[14:15], s[2:3]
; %bb.101:                              ;   in Loop: Header=BB164_44 Depth=1
	v_or_b32_e32 v3, 0x10000, v2
	v_cmp_eq_u32_sdwa s[2:3], v2, v15 src0_sel:WORD_0 src1_sel:DWORD
	s_nop 1
	v_cndmask_b32_e64 v37, v3, v2, s[2:3]
; %bb.102:                              ;   in Loop: Header=BB164_44 Depth=1
	s_or_b64 exec, exec, s[14:15]
	v_and_b32_e32 v31, 0xffff0000, v31
	v_lshlrev_b32_e32 v2, 16, v5
	v_mul_f32_e32 v2, v31, v2
	v_and_b32_e32 v3, 0x7f800000, v2
	v_cmp_ne_u32_e64 s[2:3], s16, v3
                                        ; implicit-def: $vgpr38
	s_and_saveexec_b64 s[14:15], s[2:3]
	s_xor_b64 s[2:3], exec, s[14:15]
; %bb.103:                              ;   in Loop: Header=BB164_44 Depth=1
	v_bfe_u32 v3, v2, 16, 1
	v_add3_u32 v38, v2, v3, s17
                                        ; implicit-def: $vgpr2
; %bb.104:                              ;   in Loop: Header=BB164_44 Depth=1
	s_andn2_saveexec_b64 s[14:15], s[2:3]
; %bb.105:                              ;   in Loop: Header=BB164_44 Depth=1
	v_or_b32_e32 v3, 0x10000, v2
	v_cmp_eq_u32_sdwa s[2:3], v2, v15 src0_sel:WORD_0 src1_sel:DWORD
	s_nop 1
	v_cndmask_b32_e64 v38, v3, v2, s[2:3]
; %bb.106:                              ;   in Loop: Header=BB164_44 Depth=1
	s_or_b64 exec, exec, s[14:15]
	v_and_b32_e32 v32, 0xffff0000, v32
	v_lshlrev_b32_e32 v2, 16, v39
	v_mul_f32_e32 v2, v32, v2
	v_and_b32_e32 v3, 0x7f800000, v2
	v_cmp_ne_u32_e64 s[2:3], s16, v3
                                        ; implicit-def: $vgpr39
	s_and_saveexec_b64 s[14:15], s[2:3]
	s_xor_b64 s[2:3], exec, s[14:15]
; %bb.107:                              ;   in Loop: Header=BB164_44 Depth=1
	v_bfe_u32 v3, v2, 16, 1
	v_add3_u32 v39, v2, v3, s17
                                        ; implicit-def: $vgpr2
; %bb.108:                              ;   in Loop: Header=BB164_44 Depth=1
	s_andn2_saveexec_b64 s[14:15], s[2:3]
; %bb.109:                              ;   in Loop: Header=BB164_44 Depth=1
	v_or_b32_e32 v3, 0x10000, v2
	v_cmp_eq_u32_sdwa s[2:3], v2, v15 src0_sel:WORD_0 src1_sel:DWORD
	s_nop 1
	v_cndmask_b32_e64 v39, v3, v2, s[2:3]
; %bb.110:                              ;   in Loop: Header=BB164_44 Depth=1
	s_or_b64 exec, exec, s[14:15]
	global_load_dwordx4 v[2:5], v[8:9], off offset:1024
	s_waitcnt vmcnt(0)
	v_lshrrev_b32_e32 v9, 16, v2
	v_lshrrev_b32_e32 v41, 16, v3
	;; [unrolled: 1-line block ×4, first 2 shown]
	s_and_saveexec_b64 s[14:15], s[0:1]
	s_cbranch_execz .LBB164_112
; %bb.111:                              ;   in Loop: Header=BB164_44 Depth=1
	v_cmp_gt_i32_e64 s[2:3], s25, v13
	v_add_u32_e32 v42, -6, v23
	s_nop 0
	v_cndmask_b32_e64 v2, 0, v2, s[2:3]
	v_cmp_gt_i32_e64 s[2:3], s25, v42
	v_add_u32_e32 v42, -5, v23
	s_nop 0
	v_cndmask_b32_e64 v9, 0, v9, s[2:3]
	;; [unrolled: 4-line block ×6, first 2 shown]
	v_cmp_gt_i32_e64 s[2:3], s25, v42
	s_nop 1
	v_cndmask_b32_e64 v5, 0, v5, s[2:3]
	v_cmp_gt_i32_e64 s[2:3], s25, v23
	s_nop 1
	v_cndmask_b32_e64 v8, 0, v8, s[2:3]
.LBB164_112:                            ;   in Loop: Header=BB164_44 Depth=1
	s_or_b64 exec, exec, s[14:15]
	v_lshlrev_b32_e32 v2, 16, v2
	v_mul_f32_e32 v42, v25, v2
	v_and_b32_e32 v2, 0x7f800000, v42
	v_cmp_ne_u32_e64 s[2:3], s16, v2
                                        ; implicit-def: $vgpr2
	s_and_saveexec_b64 s[14:15], s[2:3]
	s_xor_b64 s[2:3], exec, s[14:15]
; %bb.113:                              ;   in Loop: Header=BB164_44 Depth=1
	v_bfe_u32 v2, v42, 16, 1
	v_add3_u32 v2, v42, v2, s17
                                        ; implicit-def: $vgpr42
; %bb.114:                              ;   in Loop: Header=BB164_44 Depth=1
	s_andn2_saveexec_b64 s[14:15], s[2:3]
; %bb.115:                              ;   in Loop: Header=BB164_44 Depth=1
	v_or_b32_e32 v2, 0x10000, v42
	v_cmp_eq_u32_sdwa s[2:3], v42, v15 src0_sel:WORD_0 src1_sel:DWORD
	s_nop 1
	v_cndmask_b32_e64 v2, v2, v42, s[2:3]
; %bb.116:                              ;   in Loop: Header=BB164_44 Depth=1
	s_or_b64 exec, exec, s[14:15]
	v_lshlrev_b32_e32 v9, 16, v9
	v_mul_f32_e32 v42, v26, v9
	v_and_b32_e32 v9, 0x7f800000, v42
	v_cmp_ne_u32_e64 s[2:3], s16, v9
                                        ; implicit-def: $vgpr9
	s_and_saveexec_b64 s[14:15], s[2:3]
	s_xor_b64 s[2:3], exec, s[14:15]
; %bb.117:                              ;   in Loop: Header=BB164_44 Depth=1
	v_bfe_u32 v9, v42, 16, 1
	v_add3_u32 v9, v42, v9, s17
                                        ; implicit-def: $vgpr42
; %bb.118:                              ;   in Loop: Header=BB164_44 Depth=1
	s_andn2_saveexec_b64 s[14:15], s[2:3]
; %bb.119:                              ;   in Loop: Header=BB164_44 Depth=1
	v_or_b32_e32 v9, 0x10000, v42
	v_cmp_eq_u32_sdwa s[2:3], v42, v15 src0_sel:WORD_0 src1_sel:DWORD
	s_nop 1
	v_cndmask_b32_e64 v9, v9, v42, s[2:3]
; %bb.120:                              ;   in Loop: Header=BB164_44 Depth=1
	s_or_b64 exec, exec, s[14:15]
	v_lshlrev_b32_e32 v3, 16, v3
	v_mul_f32_e32 v42, v27, v3
	v_and_b32_e32 v3, 0x7f800000, v42
	v_cmp_ne_u32_e64 s[2:3], s16, v3
                                        ; implicit-def: $vgpr3
	s_and_saveexec_b64 s[14:15], s[2:3]
	s_xor_b64 s[2:3], exec, s[14:15]
; %bb.121:                              ;   in Loop: Header=BB164_44 Depth=1
	v_bfe_u32 v3, v42, 16, 1
	v_add3_u32 v3, v42, v3, s17
                                        ; implicit-def: $vgpr42
; %bb.122:                              ;   in Loop: Header=BB164_44 Depth=1
	s_andn2_saveexec_b64 s[14:15], s[2:3]
; %bb.123:                              ;   in Loop: Header=BB164_44 Depth=1
	v_or_b32_e32 v3, 0x10000, v42
	v_cmp_eq_u32_sdwa s[2:3], v42, v15 src0_sel:WORD_0 src1_sel:DWORD
	s_nop 1
	v_cndmask_b32_e64 v3, v3, v42, s[2:3]
; %bb.124:                              ;   in Loop: Header=BB164_44 Depth=1
	s_or_b64 exec, exec, s[14:15]
	v_lshlrev_b32_e32 v41, 16, v41
	v_mul_f32_e32 v42, v28, v41
	v_and_b32_e32 v41, 0x7f800000, v42
	v_cmp_ne_u32_e64 s[2:3], s16, v41
                                        ; implicit-def: $vgpr41
	s_and_saveexec_b64 s[14:15], s[2:3]
	s_xor_b64 s[2:3], exec, s[14:15]
; %bb.125:                              ;   in Loop: Header=BB164_44 Depth=1
	v_bfe_u32 v41, v42, 16, 1
	v_add3_u32 v41, v42, v41, s17
                                        ; implicit-def: $vgpr42
; %bb.126:                              ;   in Loop: Header=BB164_44 Depth=1
	s_andn2_saveexec_b64 s[14:15], s[2:3]
; %bb.127:                              ;   in Loop: Header=BB164_44 Depth=1
	v_or_b32_e32 v41, 0x10000, v42
	v_cmp_eq_u32_sdwa s[2:3], v42, v15 src0_sel:WORD_0 src1_sel:DWORD
	s_nop 1
	v_cndmask_b32_e64 v41, v41, v42, s[2:3]
; %bb.128:                              ;   in Loop: Header=BB164_44 Depth=1
	s_or_b64 exec, exec, s[14:15]
	v_lshlrev_b32_e32 v4, 16, v4
	v_mul_f32_e32 v42, v29, v4
	v_and_b32_e32 v4, 0x7f800000, v42
	v_cmp_ne_u32_e64 s[2:3], s16, v4
                                        ; implicit-def: $vgpr4
	s_and_saveexec_b64 s[14:15], s[2:3]
	s_xor_b64 s[2:3], exec, s[14:15]
; %bb.129:                              ;   in Loop: Header=BB164_44 Depth=1
	v_bfe_u32 v4, v42, 16, 1
	v_add3_u32 v4, v42, v4, s17
                                        ; implicit-def: $vgpr42
; %bb.130:                              ;   in Loop: Header=BB164_44 Depth=1
	s_andn2_saveexec_b64 s[14:15], s[2:3]
; %bb.131:                              ;   in Loop: Header=BB164_44 Depth=1
	v_or_b32_e32 v4, 0x10000, v42
	v_cmp_eq_u32_sdwa s[2:3], v42, v15 src0_sel:WORD_0 src1_sel:DWORD
	s_nop 1
	v_cndmask_b32_e64 v4, v4, v42, s[2:3]
; %bb.132:                              ;   in Loop: Header=BB164_44 Depth=1
	s_or_b64 exec, exec, s[14:15]
	v_lshlrev_b32_e32 v40, 16, v40
	v_mul_f32_e32 v42, v30, v40
	v_and_b32_e32 v40, 0x7f800000, v42
	v_cmp_ne_u32_e64 s[2:3], s16, v40
                                        ; implicit-def: $vgpr40
	s_and_saveexec_b64 s[14:15], s[2:3]
	s_xor_b64 s[2:3], exec, s[14:15]
; %bb.133:                              ;   in Loop: Header=BB164_44 Depth=1
	v_bfe_u32 v40, v42, 16, 1
	v_add3_u32 v40, v42, v40, s17
                                        ; implicit-def: $vgpr42
; %bb.134:                              ;   in Loop: Header=BB164_44 Depth=1
	s_andn2_saveexec_b64 s[14:15], s[2:3]
; %bb.135:                              ;   in Loop: Header=BB164_44 Depth=1
	v_or_b32_e32 v40, 0x10000, v42
	v_cmp_eq_u32_sdwa s[2:3], v42, v15 src0_sel:WORD_0 src1_sel:DWORD
	s_nop 1
	v_cndmask_b32_e64 v40, v40, v42, s[2:3]
; %bb.136:                              ;   in Loop: Header=BB164_44 Depth=1
	s_or_b64 exec, exec, s[14:15]
	v_lshlrev_b32_e32 v5, 16, v5
	v_mul_f32_e32 v42, v31, v5
	v_and_b32_e32 v5, 0x7f800000, v42
	v_cmp_ne_u32_e64 s[2:3], s16, v5
                                        ; implicit-def: $vgpr5
	s_and_saveexec_b64 s[14:15], s[2:3]
	s_xor_b64 s[2:3], exec, s[14:15]
; %bb.137:                              ;   in Loop: Header=BB164_44 Depth=1
	v_bfe_u32 v5, v42, 16, 1
	v_add3_u32 v5, v42, v5, s17
                                        ; implicit-def: $vgpr42
; %bb.138:                              ;   in Loop: Header=BB164_44 Depth=1
	s_andn2_saveexec_b64 s[14:15], s[2:3]
; %bb.139:                              ;   in Loop: Header=BB164_44 Depth=1
	v_or_b32_e32 v5, 0x10000, v42
	v_cmp_eq_u32_sdwa s[2:3], v42, v15 src0_sel:WORD_0 src1_sel:DWORD
	s_nop 1
	v_cndmask_b32_e64 v5, v5, v42, s[2:3]
; %bb.140:                              ;   in Loop: Header=BB164_44 Depth=1
	s_or_b64 exec, exec, s[14:15]
	v_lshlrev_b32_e32 v8, 16, v8
	v_mul_f32_e32 v42, v32, v8
	v_and_b32_e32 v8, 0x7f800000, v42
	v_cmp_ne_u32_e64 s[2:3], s16, v8
                                        ; implicit-def: $vgpr8
	s_and_saveexec_b64 s[14:15], s[2:3]
	s_xor_b64 s[2:3], exec, s[14:15]
; %bb.141:                              ;   in Loop: Header=BB164_44 Depth=1
	v_bfe_u32 v8, v42, 16, 1
	v_add3_u32 v8, v42, v8, s17
                                        ; implicit-def: $vgpr42
; %bb.142:                              ;   in Loop: Header=BB164_44 Depth=1
	s_andn2_saveexec_b64 s[14:15], s[2:3]
; %bb.143:                              ;   in Loop: Header=BB164_44 Depth=1
	v_or_b32_e32 v8, 0x10000, v42
	v_cmp_eq_u32_sdwa s[2:3], v42, v15 src0_sel:WORD_0 src1_sel:DWORD
	s_nop 1
	v_cndmask_b32_e64 v8, v8, v42, s[2:3]
; %bb.144:                              ;   in Loop: Header=BB164_44 Depth=1
	s_or_b64 exec, exec, s[14:15]
	v_and_b32_e32 v43, 0xffff0000, v39
	v_and_b32_e32 v42, 0xffff0000, v37
	;; [unrolled: 1-line block ×8, first 2 shown]
	v_pk_add_f32 v[34:35], v[34:35], v[38:39]
	v_pk_add_f32 v[36:37], v[36:37], v[42:43]
	v_add_f32_e32 v21, v34, v35
	v_add_f32_e32 v21, v21, v36
	;; [unrolled: 1-line block ×3, first 2 shown]
	v_and_b32_e32 v37, 0xffff0000, v41
	v_and_b32_e32 v36, 0xffff0000, v9
	;; [unrolled: 1-line block ×8, first 2 shown]
	v_pk_add_f32 v[2:3], v[2:3], v[36:37]
	v_pk_add_f32 v[4:5], v[4:5], v[34:35]
	v_add_f32_e32 v2, v2, v3
	v_add_f32_e32 v2, v2, v4
	;; [unrolled: 1-line block ×5, first 2 shown]
	s_and_saveexec_b64 s[2:3], vcc
	s_cbranch_execz .LBB164_43
; %bb.145:                              ;   in Loop: Header=BB164_44 Depth=1
	v_mov_b32_e32 v21, v15
	v_lshl_add_u64 v[2:3], v[6:7], 0, v[20:21]
	global_load_dwordx4 v[2:5], v[2:3], off
	s_waitcnt vmcnt(0)
	v_lshrrev_b32_e32 v7, 16, v2
	v_lshrrev_b32_e32 v9, 16, v3
	;; [unrolled: 1-line block ×4, first 2 shown]
	s_and_saveexec_b64 s[14:15], s[0:1]
	s_cbranch_execz .LBB164_147
; %bb.146:                              ;   in Loop: Header=BB164_44 Depth=1
	v_cmp_gt_i32_e64 s[0:1], s25, v13
	v_add_u32_e32 v13, -6, v23
	s_nop 0
	v_cndmask_b32_e64 v2, 0, v2, s[0:1]
	v_cmp_gt_i32_e64 s[0:1], s25, v13
	v_add_u32_e32 v13, -5, v23
	s_nop 0
	v_cndmask_b32_e64 v7, 0, v7, s[0:1]
	;; [unrolled: 4-line block ×6, first 2 shown]
	v_cmp_gt_i32_e64 s[0:1], s25, v13
	s_nop 1
	v_cndmask_b32_e64 v5, 0, v5, s[0:1]
	v_cmp_gt_i32_e64 s[0:1], s25, v23
	s_nop 1
	v_cndmask_b32_e64 v6, 0, v6, s[0:1]
.LBB164_147:                            ;   in Loop: Header=BB164_44 Depth=1
	s_or_b64 exec, exec, s[14:15]
	v_lshlrev_b32_e32 v2, 16, v2
	v_mul_f32_e32 v13, v25, v2
	v_and_b32_e32 v2, 0x7f800000, v13
	v_cmp_ne_u32_e64 s[0:1], s16, v2
                                        ; implicit-def: $vgpr2
	s_and_saveexec_b64 s[14:15], s[0:1]
	s_xor_b64 s[0:1], exec, s[14:15]
; %bb.148:                              ;   in Loop: Header=BB164_44 Depth=1
	v_bfe_u32 v2, v13, 16, 1
	v_add3_u32 v2, v13, v2, s17
                                        ; implicit-def: $vgpr13
; %bb.149:                              ;   in Loop: Header=BB164_44 Depth=1
	s_andn2_saveexec_b64 s[14:15], s[0:1]
; %bb.150:                              ;   in Loop: Header=BB164_44 Depth=1
	v_or_b32_e32 v2, 0x10000, v13
	v_cmp_eq_u32_sdwa s[0:1], v13, v15 src0_sel:WORD_0 src1_sel:DWORD
	s_nop 1
	v_cndmask_b32_e64 v2, v2, v13, s[0:1]
; %bb.151:                              ;   in Loop: Header=BB164_44 Depth=1
	s_or_b64 exec, exec, s[14:15]
	v_lshlrev_b32_e32 v7, 16, v7
	v_mul_f32_e32 v13, v26, v7
	v_and_b32_e32 v7, 0x7f800000, v13
	v_cmp_ne_u32_e64 s[0:1], s16, v7
                                        ; implicit-def: $vgpr7
	s_and_saveexec_b64 s[14:15], s[0:1]
	s_xor_b64 s[0:1], exec, s[14:15]
; %bb.152:                              ;   in Loop: Header=BB164_44 Depth=1
	v_bfe_u32 v7, v13, 16, 1
	v_add3_u32 v7, v13, v7, s17
                                        ; implicit-def: $vgpr13
; %bb.153:                              ;   in Loop: Header=BB164_44 Depth=1
	s_andn2_saveexec_b64 s[14:15], s[0:1]
; %bb.154:                              ;   in Loop: Header=BB164_44 Depth=1
	v_or_b32_e32 v7, 0x10000, v13
	v_cmp_eq_u32_sdwa s[0:1], v13, v15 src0_sel:WORD_0 src1_sel:DWORD
	s_nop 1
	v_cndmask_b32_e64 v7, v7, v13, s[0:1]
; %bb.155:                              ;   in Loop: Header=BB164_44 Depth=1
	s_or_b64 exec, exec, s[14:15]
	v_lshlrev_b32_e32 v3, 16, v3
	v_mul_f32_e32 v13, v27, v3
	v_and_b32_e32 v3, 0x7f800000, v13
	v_cmp_ne_u32_e64 s[0:1], s16, v3
                                        ; implicit-def: $vgpr3
	s_and_saveexec_b64 s[14:15], s[0:1]
	s_xor_b64 s[0:1], exec, s[14:15]
; %bb.156:                              ;   in Loop: Header=BB164_44 Depth=1
	v_bfe_u32 v3, v13, 16, 1
	v_add3_u32 v3, v13, v3, s17
                                        ; implicit-def: $vgpr13
; %bb.157:                              ;   in Loop: Header=BB164_44 Depth=1
	s_andn2_saveexec_b64 s[14:15], s[0:1]
; %bb.158:                              ;   in Loop: Header=BB164_44 Depth=1
	v_or_b32_e32 v3, 0x10000, v13
	v_cmp_eq_u32_sdwa s[0:1], v13, v15 src0_sel:WORD_0 src1_sel:DWORD
	s_nop 1
	v_cndmask_b32_e64 v3, v3, v13, s[0:1]
; %bb.159:                              ;   in Loop: Header=BB164_44 Depth=1
	s_or_b64 exec, exec, s[14:15]
	v_lshlrev_b32_e32 v9, 16, v9
	v_mul_f32_e32 v13, v28, v9
	v_and_b32_e32 v9, 0x7f800000, v13
	v_cmp_ne_u32_e64 s[0:1], s16, v9
                                        ; implicit-def: $vgpr9
	s_and_saveexec_b64 s[14:15], s[0:1]
	s_xor_b64 s[0:1], exec, s[14:15]
; %bb.160:                              ;   in Loop: Header=BB164_44 Depth=1
	v_bfe_u32 v9, v13, 16, 1
	v_add3_u32 v9, v13, v9, s17
                                        ; implicit-def: $vgpr13
; %bb.161:                              ;   in Loop: Header=BB164_44 Depth=1
	s_andn2_saveexec_b64 s[14:15], s[0:1]
; %bb.162:                              ;   in Loop: Header=BB164_44 Depth=1
	v_or_b32_e32 v9, 0x10000, v13
	v_cmp_eq_u32_sdwa s[0:1], v13, v15 src0_sel:WORD_0 src1_sel:DWORD
	s_nop 1
	v_cndmask_b32_e64 v9, v9, v13, s[0:1]
; %bb.163:                              ;   in Loop: Header=BB164_44 Depth=1
	s_or_b64 exec, exec, s[14:15]
	v_lshlrev_b32_e32 v4, 16, v4
	v_mul_f32_e32 v13, v29, v4
	v_and_b32_e32 v4, 0x7f800000, v13
	v_cmp_ne_u32_e64 s[0:1], s16, v4
                                        ; implicit-def: $vgpr4
	s_and_saveexec_b64 s[14:15], s[0:1]
	s_xor_b64 s[0:1], exec, s[14:15]
; %bb.164:                              ;   in Loop: Header=BB164_44 Depth=1
	v_bfe_u32 v4, v13, 16, 1
	v_add3_u32 v4, v13, v4, s17
                                        ; implicit-def: $vgpr13
; %bb.165:                              ;   in Loop: Header=BB164_44 Depth=1
	s_andn2_saveexec_b64 s[14:15], s[0:1]
; %bb.166:                              ;   in Loop: Header=BB164_44 Depth=1
	v_or_b32_e32 v4, 0x10000, v13
	v_cmp_eq_u32_sdwa s[0:1], v13, v15 src0_sel:WORD_0 src1_sel:DWORD
	s_nop 1
	v_cndmask_b32_e64 v4, v4, v13, s[0:1]
; %bb.167:                              ;   in Loop: Header=BB164_44 Depth=1
	s_or_b64 exec, exec, s[14:15]
	v_lshlrev_b32_e32 v8, 16, v8
	v_mul_f32_e32 v13, v30, v8
	v_and_b32_e32 v8, 0x7f800000, v13
	v_cmp_ne_u32_e64 s[0:1], s16, v8
                                        ; implicit-def: $vgpr8
	s_and_saveexec_b64 s[14:15], s[0:1]
	s_xor_b64 s[0:1], exec, s[14:15]
; %bb.168:                              ;   in Loop: Header=BB164_44 Depth=1
	v_bfe_u32 v8, v13, 16, 1
	v_add3_u32 v8, v13, v8, s17
                                        ; implicit-def: $vgpr13
; %bb.169:                              ;   in Loop: Header=BB164_44 Depth=1
	s_andn2_saveexec_b64 s[14:15], s[0:1]
; %bb.170:                              ;   in Loop: Header=BB164_44 Depth=1
	v_or_b32_e32 v8, 0x10000, v13
	v_cmp_eq_u32_sdwa s[0:1], v13, v15 src0_sel:WORD_0 src1_sel:DWORD
	s_nop 1
	v_cndmask_b32_e64 v8, v8, v13, s[0:1]
; %bb.171:                              ;   in Loop: Header=BB164_44 Depth=1
	s_or_b64 exec, exec, s[14:15]
	v_lshlrev_b32_e32 v5, 16, v5
	v_mul_f32_e32 v13, v31, v5
	v_and_b32_e32 v5, 0x7f800000, v13
	v_cmp_ne_u32_e64 s[0:1], s16, v5
                                        ; implicit-def: $vgpr5
	s_and_saveexec_b64 s[14:15], s[0:1]
	s_xor_b64 s[0:1], exec, s[14:15]
; %bb.172:                              ;   in Loop: Header=BB164_44 Depth=1
	v_bfe_u32 v5, v13, 16, 1
	v_add3_u32 v5, v13, v5, s17
                                        ; implicit-def: $vgpr13
; %bb.173:                              ;   in Loop: Header=BB164_44 Depth=1
	s_andn2_saveexec_b64 s[14:15], s[0:1]
; %bb.174:                              ;   in Loop: Header=BB164_44 Depth=1
	v_or_b32_e32 v5, 0x10000, v13
	v_cmp_eq_u32_sdwa s[0:1], v13, v15 src0_sel:WORD_0 src1_sel:DWORD
	s_nop 1
	v_cndmask_b32_e64 v5, v5, v13, s[0:1]
; %bb.175:                              ;   in Loop: Header=BB164_44 Depth=1
	s_or_b64 exec, exec, s[14:15]
	v_lshlrev_b32_e32 v6, 16, v6
	v_mul_f32_e32 v6, v32, v6
	v_and_b32_e32 v13, 0x7f800000, v6
	v_cmp_ne_u32_e64 s[0:1], s16, v13
                                        ; implicit-def: $vgpr13
	s_and_saveexec_b64 s[14:15], s[0:1]
	s_xor_b64 s[0:1], exec, s[14:15]
; %bb.176:                              ;   in Loop: Header=BB164_44 Depth=1
	v_bfe_u32 v13, v6, 16, 1
	v_add3_u32 v13, v6, v13, s17
                                        ; implicit-def: $vgpr6
; %bb.177:                              ;   in Loop: Header=BB164_44 Depth=1
	s_andn2_saveexec_b64 s[14:15], s[0:1]
	s_cbranch_execz .LBB164_42
; %bb.178:                              ;   in Loop: Header=BB164_44 Depth=1
	v_or_b32_e32 v13, 0x10000, v6
	v_cmp_eq_u32_sdwa s[0:1], v6, v15 src0_sel:WORD_0 src1_sel:DWORD
	s_nop 1
	v_cndmask_b32_e64 v13, v13, v6, s[0:1]
	s_branch .LBB164_42
.LBB164_179:
	s_or_b64 exec, exec, s[12:13]
.LBB164_180:
	s_or_b64 exec, exec, s[10:11]
	ds_bpermute_b32 v2, v1, v16
	ds_bpermute_b32 v3, v1, v17
	;; [unrolled: 1-line block ×3, first 2 shown]
	s_waitcnt lgkmcnt(0)
	s_barrier
	v_pk_add_f32 v[4:5], v[16:17], v[2:3]
	v_add_f32_e32 v2, v10, v1
	v_and_b32_e32 v1, 0x3c0, v0
	v_cmp_eq_u32_e32 vcc, 64, v1
	s_and_saveexec_b64 s[2:3], vcc
	s_cbranch_execz .LBB164_185
; %bb.181:
	v_cmp_eq_u32_e32 vcc, 0, v11
	s_and_saveexec_b64 s[0:1], vcc
	s_cbranch_execz .LBB164_183
; %bb.182:
	v_mov_b32_e32 v1, 0xb0
	v_lshl_add_u32 v1, v22, 2, v1
	ds_write2_b32 v1, v4, v5 offset1:32
.LBB164_183:
	s_or_b64 exec, exec, s[0:1]
	v_or_b32_e32 v1, 64, v22
	s_movk_i32 s0, 0x50
	v_cmp_gt_u32_e64 s[0:1], s0, v1
	s_and_b64 s[0:1], vcc, s[0:1]
	s_and_b64 exec, exec, s[0:1]
	s_cbranch_execz .LBB164_185
; %bb.184:
	v_mov_b32_e32 v1, 0xb0
	v_lshl_add_u32 v1, v22, 2, v1
	ds_write_b32 v1, v2 offset:256
.LBB164_185:
	s_or_b64 exec, exec, s[2:3]
	v_cmp_gt_u32_e32 vcc, 64, v0
	v_cmp_lt_u32_e64 s[0:1], 63, v0
	s_waitcnt lgkmcnt(0)
	s_barrier
	s_and_saveexec_b64 s[2:3], s[0:1]
	s_xor_b64 s[0:1], exec, s[2:3]
	s_or_saveexec_b64 s[6:7], s[0:1]
	v_lshrrev_b32_e32 v3, 1, v0
	s_xor_b64 exec, exec, s[6:7]
	s_cbranch_execz .LBB164_193
; %bb.186:
	v_cmp_eq_u32_e64 s[0:1], 0, v11
	s_and_saveexec_b64 s[2:3], s[0:1]
	s_cbranch_execz .LBB164_188
; %bb.187:
	v_mov_b32_e32 v0, 0xb0
	v_lshl_add_u32 v0, v3, 2, v0
	ds_read_b32 v0, v0
	s_waitcnt lgkmcnt(0)
	v_add_f32_e32 v4, v4, v0
.LBB164_188:
	s_or_b64 exec, exec, s[2:3]
	s_and_saveexec_b64 s[2:3], s[0:1]
	s_cbranch_execz .LBB164_190
; %bb.189:
	v_mov_b32_e32 v0, 0xb0
	v_lshl_add_u32 v0, v3, 2, v0
	ds_read_b32 v0, v0 offset:128
	s_waitcnt lgkmcnt(0)
	v_add_f32_e32 v5, v5, v0
.LBB164_190:
	s_or_b64 exec, exec, s[2:3]
	v_or_b32_e32 v0, 64, v3
	s_movk_i32 s2, 0x50
	v_cmp_gt_u32_e64 s[2:3], s2, v0
	s_and_b64 s[2:3], s[0:1], s[2:3]
	s_and_saveexec_b64 s[0:1], s[2:3]
	s_cbranch_execz .LBB164_192
; %bb.191:
	v_mov_b32_e32 v0, 0xb0
	v_lshl_add_u32 v0, v3, 2, v0
	ds_read_b32 v0, v0 offset:256
	s_waitcnt lgkmcnt(0)
	v_add_f32_e32 v2, v2, v0
.LBB164_192:
	s_or_b64 exec, exec, s[0:1]
.LBB164_193:
	s_or_b64 exec, exec, s[6:7]
	s_barrier
	s_and_saveexec_b64 s[0:1], vcc
	s_cbranch_execz .LBB164_210
; %bb.194:
	s_mul_i32 s0, s8, 0x50
	s_ashr_i32 s1, s0, 31
	s_lshl_b64 s[0:1], s[0:1], 1
	s_add_u32 s2, s22, s0
	s_mul_i32 s0, s21, s20
	s_addc_u32 s3, s23, s1
	s_ashr_i32 s1, s0, 31
	s_lshl_b64 s[0:1], s[0:1], 1
	s_add_u32 s2, s2, s0
	s_mul_i32 s0, s4, 0x50
	s_addc_u32 s3, s3, s1
	s_ashr_i32 s1, s0, 31
	s_lshl_b64 s[0:1], s[0:1], 1
	s_add_u32 s2, s2, s0
	s_addc_u32 s3, s3, s1
	v_cmp_eq_u32_e32 vcc, 0, v11
	s_and_saveexec_b64 s[4:5], vcc
	s_cbranch_execz .LBB164_204
; %bb.195:
	s_mov_b32 s0, 0x7f800000
	v_and_b32_e32 v0, 0x7f800000, v4
	v_cmp_ne_u32_e64 s[0:1], s0, v0
                                        ; implicit-def: $vgpr6
	s_and_saveexec_b64 s[6:7], s[0:1]
	s_xor_b64 s[0:1], exec, s[6:7]
; %bb.196:
	v_bfe_u32 v0, v4, 16, 1
	s_movk_i32 s6, 0x7fff
	v_add3_u32 v6, v4, v0, s6
; %bb.197:
	s_andn2_saveexec_b64 s[6:7], s[0:1]
; %bb.198:
	v_mov_b32_e32 v0, 0
	v_or_b32_e32 v1, 0x10000, v4
	v_cmp_eq_u32_sdwa s[0:1], v4, v0 src0_sel:WORD_0 src1_sel:DWORD
	s_nop 1
	v_cndmask_b32_e64 v6, v1, v4, s[0:1]
; %bb.199:
	s_or_b64 exec, exec, s[6:7]
	s_mov_b32 s0, 0x7f800000
	v_and_b32_e32 v4, 0x7f800000, v5
	v_lshlrev_b32_e32 v0, 1, v3
	v_mov_b32_e32 v1, 0
	v_cmp_ne_u32_e64 s[0:1], s0, v4
	global_store_short_d16_hi v0, v6, s[2:3]
                                        ; implicit-def: $vgpr7
	s_and_saveexec_b64 s[6:7], s[0:1]
	s_xor_b64 s[0:1], exec, s[6:7]
; %bb.200:
	v_bfe_u32 v4, v5, 16, 1
	s_movk_i32 s6, 0x7fff
	v_add3_u32 v7, v5, v4, s6
                                        ; implicit-def: $vgpr4_vgpr5_vgpr6
; %bb.201:
	s_or_saveexec_b64 s[6:7], s[0:1]
	v_lshl_add_u64 v[0:1], s[2:3], 0, v[0:1]
	s_xor_b64 exec, exec, s[6:7]
; %bb.202:
	v_mov_b32_e32 v4, 0
	v_or_b32_e32 v6, 0x10000, v5
	v_cmp_eq_u32_sdwa s[0:1], v5, v4 src0_sel:WORD_0 src1_sel:DWORD
	s_nop 1
	v_cndmask_b32_e64 v7, v6, v5, s[0:1]
; %bb.203:
	s_or_b64 exec, exec, s[6:7]
	global_store_short_d16_hi v[0:1], v7, off offset:64
.LBB164_204:
	s_or_b64 exec, exec, s[4:5]
	v_or_b32_e32 v0, 64, v3
	s_movk_i32 s0, 0x50
	v_cmp_gt_u32_e64 s[0:1], s0, v0
	s_and_b64 s[0:1], vcc, s[0:1]
	s_and_b64 exec, exec, s[0:1]
	s_cbranch_execz .LBB164_210
; %bb.205:
	s_mov_b32 s0, 0x7f800000
	v_and_b32_e32 v0, 0x7f800000, v2
	v_cmp_ne_u32_e32 vcc, s0, v0
                                        ; implicit-def: $vgpr0
	s_and_saveexec_b64 s[0:1], vcc
	s_xor_b64 s[0:1], exec, s[0:1]
; %bb.206:
	v_bfe_u32 v0, v2, 16, 1
	s_movk_i32 s4, 0x7fff
	v_add3_u32 v0, v2, v0, s4
                                        ; implicit-def: $vgpr2
; %bb.207:
	s_andn2_saveexec_b64 s[0:1], s[0:1]
; %bb.208:
	v_mov_b32_e32 v0, 0
	v_or_b32_e32 v1, 0x10000, v2
	v_cmp_eq_u32_sdwa vcc, v2, v0 src0_sel:WORD_0 src1_sel:DWORD
	s_nop 1
	v_cndmask_b32_e32 v0, v1, v2, vcc
; %bb.209:
	s_or_b64 exec, exec, s[0:1]
	v_lshlrev_b32_e32 v1, 1, v3
	global_store_short_d16_hi v1, v0, s[2:3] offset:128
.LBB164_210:
	s_endpgm
	.section	.rodata,"a",@progbits
	.p2align	6, 0x0
	.amdhsa_kernel _ZN4vllm25paged_attention_v2_kernelI14__hip_bfloat16S1_Li80ELi16ELi128ELNS_18Fp8KVCacheDataTypeE0ELb0ELi512EEEvPfS3_PT_PKS4_PKT0_SA_ifPKiSC_iPKfiiiSE_SE_iiiii
		.amdhsa_group_segment_fixed_size 176
		.amdhsa_private_segment_fixed_size 0
		.amdhsa_kernarg_size 400
		.amdhsa_user_sgpr_count 2
		.amdhsa_user_sgpr_dispatch_ptr 0
		.amdhsa_user_sgpr_queue_ptr 0
		.amdhsa_user_sgpr_kernarg_segment_ptr 1
		.amdhsa_user_sgpr_dispatch_id 0
		.amdhsa_user_sgpr_kernarg_preload_length 0
		.amdhsa_user_sgpr_kernarg_preload_offset 0
		.amdhsa_user_sgpr_private_segment_size 0
		.amdhsa_uses_dynamic_stack 0
		.amdhsa_enable_private_segment 0
		.amdhsa_system_sgpr_workgroup_id_x 1
		.amdhsa_system_sgpr_workgroup_id_y 1
		.amdhsa_system_sgpr_workgroup_id_z 1
		.amdhsa_system_sgpr_workgroup_info 0
		.amdhsa_system_vgpr_workitem_id 0
		.amdhsa_next_free_vgpr 56
		.amdhsa_next_free_sgpr 42
		.amdhsa_accum_offset 56
		.amdhsa_reserve_vcc 1
		.amdhsa_float_round_mode_32 0
		.amdhsa_float_round_mode_16_64 0
		.amdhsa_float_denorm_mode_32 3
		.amdhsa_float_denorm_mode_16_64 3
		.amdhsa_dx10_clamp 1
		.amdhsa_ieee_mode 1
		.amdhsa_fp16_overflow 0
		.amdhsa_tg_split 0
		.amdhsa_exception_fp_ieee_invalid_op 0
		.amdhsa_exception_fp_denorm_src 0
		.amdhsa_exception_fp_ieee_div_zero 0
		.amdhsa_exception_fp_ieee_overflow 0
		.amdhsa_exception_fp_ieee_underflow 0
		.amdhsa_exception_fp_ieee_inexact 0
		.amdhsa_exception_int_div_zero 0
	.end_amdhsa_kernel
	.section	.text._ZN4vllm25paged_attention_v2_kernelI14__hip_bfloat16S1_Li80ELi16ELi128ELNS_18Fp8KVCacheDataTypeE0ELb0ELi512EEEvPfS3_PT_PKS4_PKT0_SA_ifPKiSC_iPKfiiiSE_SE_iiiii,"axG",@progbits,_ZN4vllm25paged_attention_v2_kernelI14__hip_bfloat16S1_Li80ELi16ELi128ELNS_18Fp8KVCacheDataTypeE0ELb0ELi512EEEvPfS3_PT_PKS4_PKT0_SA_ifPKiSC_iPKfiiiSE_SE_iiiii,comdat
.Lfunc_end164:
	.size	_ZN4vllm25paged_attention_v2_kernelI14__hip_bfloat16S1_Li80ELi16ELi128ELNS_18Fp8KVCacheDataTypeE0ELb0ELi512EEEvPfS3_PT_PKS4_PKT0_SA_ifPKiSC_iPKfiiiSE_SE_iiiii, .Lfunc_end164-_ZN4vllm25paged_attention_v2_kernelI14__hip_bfloat16S1_Li80ELi16ELi128ELNS_18Fp8KVCacheDataTypeE0ELb0ELi512EEEvPfS3_PT_PKS4_PKT0_SA_ifPKiSC_iPKfiiiSE_SE_iiiii
                                        ; -- End function
	.section	.AMDGPU.csdata,"",@progbits
; Kernel info:
; codeLenInByte = 7816
; NumSgprs: 48
; NumVgprs: 56
; NumAgprs: 0
; TotalNumVgprs: 56
; ScratchSize: 0
; MemoryBound: 0
; FloatMode: 240
; IeeeMode: 1
; LDSByteSize: 176 bytes/workgroup (compile time only)
; SGPRBlocks: 5
; VGPRBlocks: 6
; NumSGPRsForWavesPerEU: 48
; NumVGPRsForWavesPerEU: 56
; AccumOffset: 56
; Occupancy: 8
; WaveLimiterHint : 1
; COMPUTE_PGM_RSRC2:SCRATCH_EN: 0
; COMPUTE_PGM_RSRC2:USER_SGPR: 2
; COMPUTE_PGM_RSRC2:TRAP_HANDLER: 0
; COMPUTE_PGM_RSRC2:TGID_X_EN: 1
; COMPUTE_PGM_RSRC2:TGID_Y_EN: 1
; COMPUTE_PGM_RSRC2:TGID_Z_EN: 1
; COMPUTE_PGM_RSRC2:TIDIG_COMP_CNT: 0
; COMPUTE_PGM_RSRC3_GFX90A:ACCUM_OFFSET: 13
; COMPUTE_PGM_RSRC3_GFX90A:TG_SPLIT: 0
	.section	.text._ZN4vllm25paged_attention_v2_kernelI14__hip_bfloat16S1_Li96ELi16ELi128ELNS_18Fp8KVCacheDataTypeE0ELb0ELi512EEEvPfS3_PT_PKS4_PKT0_SA_ifPKiSC_iPKfiiiSE_SE_iiiii,"axG",@progbits,_ZN4vllm25paged_attention_v2_kernelI14__hip_bfloat16S1_Li96ELi16ELi128ELNS_18Fp8KVCacheDataTypeE0ELb0ELi512EEEvPfS3_PT_PKS4_PKT0_SA_ifPKiSC_iPKfiiiSE_SE_iiiii,comdat
	.protected	_ZN4vllm25paged_attention_v2_kernelI14__hip_bfloat16S1_Li96ELi16ELi128ELNS_18Fp8KVCacheDataTypeE0ELb0ELi512EEEvPfS3_PT_PKS4_PKT0_SA_ifPKiSC_iPKfiiiSE_SE_iiiii ; -- Begin function _ZN4vllm25paged_attention_v2_kernelI14__hip_bfloat16S1_Li96ELi16ELi128ELNS_18Fp8KVCacheDataTypeE0ELb0ELi512EEEvPfS3_PT_PKS4_PKT0_SA_ifPKiSC_iPKfiiiSE_SE_iiiii
	.globl	_ZN4vllm25paged_attention_v2_kernelI14__hip_bfloat16S1_Li96ELi16ELi128ELNS_18Fp8KVCacheDataTypeE0ELb0ELi512EEEvPfS3_PT_PKS4_PKT0_SA_ifPKiSC_iPKfiiiSE_SE_iiiii
	.p2align	8
	.type	_ZN4vllm25paged_attention_v2_kernelI14__hip_bfloat16S1_Li96ELi16ELi128ELNS_18Fp8KVCacheDataTypeE0ELb0ELi512EEEvPfS3_PT_PKS4_PKT0_SA_ifPKiSC_iPKfiiiSE_SE_iiiii,@function
_ZN4vllm25paged_attention_v2_kernelI14__hip_bfloat16S1_Li96ELi16ELi128ELNS_18Fp8KVCacheDataTypeE0ELb0ELi512EEEvPfS3_PT_PKS4_PKT0_SA_ifPKiSC_iPKfiiiSE_SE_iiiii: ; @_ZN4vllm25paged_attention_v2_kernelI14__hip_bfloat16S1_Li96ELi16ELi128ELNS_18Fp8KVCacheDataTypeE0ELb0ELi512EEEvPfS3_PT_PKS4_PKT0_SA_ifPKiSC_iPKfiiiSE_SE_iiiii
; %bb.0:
	s_load_dwordx2 s[6:7], s[0:1], 0x40
	s_mov_b32 s20, s3
	s_ashr_i32 s21, s3, 31
	s_lshl_b64 s[8:9], s[20:21], 2
	s_waitcnt lgkmcnt(0)
	s_add_u32 s6, s6, s8
	s_addc_u32 s7, s7, s9
	s_load_dword s33, s[6:7], 0x0
	s_lshl_b32 s40, s4, 9
	s_waitcnt lgkmcnt(0)
	s_cmp_ge_i32 s40, s33
	s_cbranch_scc1 .LBB165_201
; %bb.1:
	s_load_dword s21, s[0:1], 0x90
	s_load_dwordx2 s[10:11], s[0:1], 0x30
	s_waitcnt lgkmcnt(0)
	s_abs_i32 s6, s21
	s_abs_i32 s3, s10
	v_cvt_f32_u32_e32 v1, s3
	s_sub_i32 s7, 0, s3
	s_xor_b32 s5, s21, s10
	s_ashr_i32 s5, s5, 31
	v_rcp_iflag_f32_e32 v1, v1
	s_nop 0
	v_mul_f32_e32 v1, 0x4f7ffffe, v1
	v_cvt_u32_f32_e32 v1, v1
	s_nop 0
	v_readfirstlane_b32 s8, v1
	s_mul_i32 s7, s7, s8
	s_mul_hi_u32 s7, s8, s7
	s_add_i32 s8, s8, s7
	s_mul_hi_u32 s7, s6, s8
	s_mul_i32 s8, s7, s3
	s_sub_i32 s6, s6, s8
	s_add_i32 s9, s7, 1
	s_sub_i32 s8, s6, s3
	s_cmp_ge_u32 s6, s3
	s_cselect_b32 s7, s9, s7
	s_cselect_b32 s6, s8, s6
	s_add_i32 s8, s7, 1
	s_cmp_ge_u32 s6, s3
	s_cselect_b32 s3, s8, s7
	s_xor_b32 s3, s3, s5
	s_sub_i32 s17, s3, s5
	s_abs_i32 s8, s17
	v_cvt_f32_u32_e32 v1, s8
	s_load_dwordx2 s[6:7], s[0:1], 0x50
	s_sub_i32 s3, 0, s8
	s_abs_i32 s9, s2
	v_rcp_iflag_f32_e32 v1, v1
	s_mov_b32 s5, 0
	v_mul_f32_e32 v1, 0x4f7ffffe, v1
	v_cvt_u32_f32_e32 v1, v1
	s_nop 0
	v_readfirstlane_b32 s10, v1
	s_mul_i32 s3, s3, s10
	s_mul_hi_u32 s3, s10, s3
	s_add_i32 s10, s10, s3
	s_waitcnt lgkmcnt(0)
	s_cmp_eq_u64 s[6:7], 0
	s_mul_hi_u32 s10, s9, s10
	s_cbranch_scc1 .LBB165_3
; %bb.2:
	s_ashr_i32 s3, s2, 31
	s_lshl_b64 s[12:13], s[2:3], 2
	s_add_u32 s6, s6, s12
	s_addc_u32 s7, s7, s13
	s_load_dword s5, s[6:7], 0x0
.LBB165_3:
	s_load_dwordx4 s[12:15], s[0:1], 0x58
	s_ashr_i32 s16, s2, 31
	s_waitcnt lgkmcnt(0)
	s_ashr_i32 s15, s17, 31
	v_and_b32_e32 v4, 3, v0
	s_mul_i32 s22, s2, 0x60
	v_cmp_gt_u32_e32 vcc, 48, v0
	s_and_saveexec_b64 s[6:7], vcc
	s_cbranch_execz .LBB165_5
; %bb.4:
	s_load_dwordx2 s[18:19], s[0:1], 0x18
	s_mul_i32 s24, s20, s12
	s_ashr_i32 s25, s24, 31
	s_lshl_b64 s[24:25], s[24:25], 1
	v_lshlrev_b32_e32 v1, 2, v0
	s_waitcnt lgkmcnt(0)
	s_add_u32 s3, s18, s24
	s_addc_u32 s12, s19, s25
	s_ashr_i32 s23, s22, 31
	s_lshl_b64 s[18:19], s[22:23], 1
	s_add_u32 s18, s3, s18
	s_addc_u32 s19, s12, s19
	global_load_dword v1, v1, s[18:19]
	v_and_b32_e32 v2, 0x3fc, v0
	v_mad_u32_u24 v2, v4, 48, v2
	s_waitcnt vmcnt(0)
	ds_write_b32 v2, v1
.LBB165_5:
	s_or_b64 exec, exec, s[6:7]
	s_add_i32 s3, s33, 15
	s_ashr_i32 s6, s3, 31
	s_lshr_b32 s6, s6, 28
	s_add_i32 s3, s3, s6
	s_ashr_i32 s41, s3, 4
	s_lshl_b32 s3, s4, 5
	s_mul_i32 s7, s10, s8
	s_add_i32 s6, s3, 32
	s_sub_i32 s7, s9, s7
	s_min_i32 s23, s6, s41
	s_xor_b32 s6, s16, s15
	s_add_i32 s9, s10, 1
	s_sub_i32 s12, s7, s8
	s_cmp_ge_u32 s7, s8
	s_cselect_b32 s9, s9, s10
	s_cselect_b32 s7, s12, s7
	s_add_i32 s10, s9, 1
	s_cmp_ge_u32 s7, s8
	s_load_dwordx2 s[26:27], s[0:1], 0x38
	s_load_dword s8, s[0:1], 0x48
	v_lshrrev_b32_e32 v6, 6, v0
	s_cselect_b32 s7, s10, s9
	s_xor_b32 s7, s7, s6
	v_or_b32_e32 v10, s3, v6
	s_waitcnt lgkmcnt(0)
	s_mul_i32 s28, s20, s8
	s_sub_i32 s10, s7, s6
	s_ashr_i32 s29, s28, 31
	v_cmp_gt_i32_e64 s[6:7], s23, v10
	v_cmp_le_i32_e32 vcc, s23, v10
	v_mbcnt_lo_u32_b32 v5, -1, 0
	s_barrier
	s_waitcnt lgkmcnt(0)
                                        ; implicit-def: $sgpr15
                                        ; implicit-def: $vgpr7
                                        ; implicit-def: $vgpr8
	s_and_saveexec_b64 s[8:9], vcc
	s_xor_b64 s[8:9], exec, s[8:9]
; %bb.6:
	v_mbcnt_hi_u32_b32 v7, -1, v5
	v_and_b32_e32 v1, 64, v7
	v_add_u32_e32 v8, 64, v1
	s_mov_b32 s15, 0xff7fffff
                                        ; implicit-def: $vgpr4
                                        ; implicit-def: $vgpr5
; %bb.7:
	s_or_saveexec_b64 s[34:35], s[8:9]
	s_load_dwordx4 s[16:19], s[0:1], 0x0
	s_load_dwordx2 s[24:25], s[0:1], 0x10
	s_load_dwordx2 s[30:31], s[0:1], 0x28
	s_load_dword s12, s[0:1], 0x98
	v_mov_b32_e32 v31, s15
	s_mul_i32 s14, s10, s14
	v_ashrrev_i32_e32 v11, 31, v10
	s_xor_b64 exec, exec, s[34:35]
	s_cbranch_execz .LBB165_13
; %bb.8:
	s_load_dwordx2 s[0:1], s[0:1], 0x20
	s_ashr_i32 s15, s14, 31
	s_lshl_b64 s[8:9], s[14:15], 1
	v_bfe_u32 v31, v0, 2, 4
	v_mul_u32_u24_e32 v7, 48, v4
	s_waitcnt lgkmcnt(0)
	s_add_u32 s0, s0, s8
	s_addc_u32 s1, s1, s9
	v_lshlrev_b32_e32 v2, 4, v31
	v_mov_b32_e32 v3, 0
	v_lshlrev_b32_e32 v1, 2, v0
	ds_read_b128 v[14:17], v7
	ds_read_b128 v[22:25], v7 offset:16
	ds_read_b128 v[32:35], v7 offset:32
	v_mbcnt_hi_u32_b32 v7, -1, v5
	v_lshl_add_u64 v[8:9], s[0:1], 0, v[2:3]
	v_and_b32_e32 v2, 12, v1
	v_and_b32_e32 v5, 64, v7
	v_lshl_add_u64 v[2:3], v[8:9], 0, v[2:3]
	v_add_u32_e32 v8, 64, v5
	v_xor_b32_e32 v5, 2, v7
	v_cmp_lt_i32_e32 vcc, v5, v8
	s_waitcnt lgkmcnt(0)
	v_lshlrev_b32_e32 v26, 16, v32
	v_and_b32_e32 v27, 0xffff0000, v32
	v_cndmask_b32_e32 v5, v7, v5, vcc
	v_lshlrev_b32_e32 v28, 16, v33
	v_and_b32_e32 v29, 0xffff0000, v33
	v_lshlrev_b32_e32 v30, 16, v34
	v_and_b32_e32 v32, 0xffff0000, v34
	;; [unrolled: 2-line block ×3, first 2 shown]
	v_lshlrev_b32_e32 v35, 2, v5
	v_xor_b32_e32 v5, 1, v7
	v_cmp_lt_i32_e32 vcc, v5, v8
	s_sub_i32 s15, 1, s33
	s_lshl_b64 s[8:9], s[28:29], 2
	v_cndmask_b32_e32 v5, v7, v5, vcc
	v_cmp_eq_u32_e32 vcc, 0, v4
	v_lshlrev_b32_e32 v4, 4, v6
	v_add3_u32 v37, s40, v4, v31
	v_lshlrev_b32_e32 v4, 2, v31
	s_add_u32 s8, s26, s8
	v_lshl_or_b32 v4, v6, 6, v4
	s_addc_u32 s9, s27, s9
	s_mov_b32 s10, s13
	v_lshlrev_b32_e32 v1, 16, v14
	v_and_b32_e32 v9, 0xffff0000, v14
	v_lshlrev_b32_e32 v12, 16, v15
	v_and_b32_e32 v13, 0xffff0000, v15
	;; [unrolled: 2-line block ×8, first 2 shown]
	v_lshlrev_b32_e32 v36, 2, v5
	v_cmp_neq_f32_e64 s[0:1], s5, 0
	v_add_u32_e32 v38, 0xd0, v4
	v_lshl_add_u64 v[4:5], v[10:11], 2, s[8:9]
	s_mov_b64 s[36:37], 0
	v_mov_b32_e32 v31, 0xff7fffff
	v_mov_b32_e32 v39, v10
	s_branch .LBB165_10
.LBB165_9:                              ;   in Loop: Header=BB165_10 Depth=1
	s_or_b64 exec, exec, s[38:39]
	v_add_u32_e32 v39, 2, v39
	v_cmp_le_i32_e64 s[8:9], s23, v39
	v_add_u32_e32 v37, 32, v37
	v_add_u32_e32 v38, 0x80, v38
	s_or_b64 s[36:37], s[8:9], s[36:37]
	v_lshl_add_u64 v[4:5], v[4:5], 0, 8
	s_andn2_b64 exec, exec, s[36:37]
	s_cbranch_execz .LBB165_12
.LBB165_10:                             ; =>This Inner Loop Header: Depth=1
	global_load_dword v40, v[4:5], off
	s_waitcnt vmcnt(0) lgkmcnt(0)
	v_mad_i64_i32 v[40:41], s[8:9], v40, s10, 0
	v_lshl_add_u64 v[40:41], v[40:41], 1, v[2:3]
	global_load_dword v42, v[40:41], off
	global_load_dword v43, v[40:41], off offset:256
	global_load_dword v44, v[40:41], off offset:512
	global_load_dword v45, v[40:41], off offset:768
	global_load_dword v46, v[40:41], off offset:1024
	global_load_dword v47, v[40:41], off offset:1280
	global_load_dword v48, v[40:41], off offset:1536
	global_load_dword v49, v[40:41], off offset:1792
	global_load_dword v50, v[40:41], off offset:2048
	global_load_dword v51, v[40:41], off offset:2304
	global_load_dword v52, v[40:41], off offset:2560
	global_load_dword v53, v[40:41], off offset:2816
	s_waitcnt vmcnt(11)
	v_lshlrev_b32_e32 v40, 16, v42
	v_and_b32_e32 v41, 0xffff0000, v42
	s_waitcnt vmcnt(10)
	v_lshlrev_b32_e32 v42, 16, v43
	v_and_b32_e32 v43, 0xffff0000, v43
	v_mul_f32_e32 v42, v12, v42
	v_mul_f32_e32 v43, v13, v43
	s_waitcnt vmcnt(9)
	v_lshlrev_b32_e32 v54, 16, v44
	v_and_b32_e32 v44, 0xffff0000, v44
	v_fmac_f32_e32 v42, v1, v40
	v_fmac_f32_e32 v43, v9, v41
	s_waitcnt vmcnt(8)
	v_lshlrev_b32_e32 v55, 16, v45
	v_and_b32_e32 v45, 0xffff0000, v45
	v_fmac_f32_e32 v42, v14, v54
	v_fmac_f32_e32 v43, v15, v44
	s_waitcnt vmcnt(7)
	v_lshlrev_b32_e32 v56, 16, v46
	v_and_b32_e32 v46, 0xffff0000, v46
	v_fmac_f32_e32 v42, v16, v55
	v_fmac_f32_e32 v43, v17, v45
	s_waitcnt vmcnt(6)
	v_lshlrev_b32_e32 v57, 16, v47
	v_and_b32_e32 v47, 0xffff0000, v47
	v_fmac_f32_e32 v42, v18, v56
	v_fmac_f32_e32 v43, v19, v46
	s_waitcnt vmcnt(5)
	v_lshlrev_b32_e32 v58, 16, v48
	v_and_b32_e32 v48, 0xffff0000, v48
	v_fmac_f32_e32 v42, v20, v57
	v_fmac_f32_e32 v43, v21, v47
	s_waitcnt vmcnt(4)
	v_lshlrev_b32_e32 v59, 16, v49
	v_and_b32_e32 v49, 0xffff0000, v49
	v_fmac_f32_e32 v42, v22, v58
	v_fmac_f32_e32 v43, v23, v48
	s_waitcnt vmcnt(3)
	v_lshlrev_b32_e32 v60, 16, v50
	v_and_b32_e32 v50, 0xffff0000, v50
	v_fmac_f32_e32 v42, v24, v59
	v_fmac_f32_e32 v43, v25, v49
	s_waitcnt vmcnt(2)
	v_lshlrev_b32_e32 v61, 16, v51
	v_and_b32_e32 v51, 0xffff0000, v51
	v_fmac_f32_e32 v42, v26, v60
	v_fmac_f32_e32 v43, v27, v50
	s_waitcnt vmcnt(1)
	v_lshlrev_b32_e32 v62, 16, v52
	v_and_b32_e32 v52, 0xffff0000, v52
	v_fmac_f32_e32 v42, v28, v61
	v_fmac_f32_e32 v43, v29, v51
	s_waitcnt vmcnt(0)
	v_lshlrev_b32_e32 v63, 16, v53
	v_and_b32_e32 v53, 0xffff0000, v53
	v_fmac_f32_e32 v42, v30, v62
	v_fmac_f32_e32 v43, v32, v52
	v_fmac_f32_e32 v42, v33, v63
	v_fmac_f32_e32 v43, v34, v53
	v_add_f32_e32 v40, v42, v43
	ds_bpermute_b32 v41, v35, v40
	s_waitcnt lgkmcnt(0)
	v_add_f32_e32 v40, v40, v41
	ds_bpermute_b32 v41, v36, v40
	s_and_saveexec_b64 s[38:39], vcc
	s_cbranch_execz .LBB165_9
; %bb.11:                               ;   in Loop: Header=BB165_10 Depth=1
	v_add_u32_e32 v42, s15, v37
	v_cvt_f32_i32_e32 v42, v42
	s_waitcnt lgkmcnt(0)
	v_add_f32_e32 v40, v40, v41
	v_cmp_gt_i32_e64 s[8:9], s33, v37
	v_max_f32_e32 v41, v31, v31
	v_mul_f32_e32 v42, s5, v42
	v_cndmask_b32_e64 v42, 0, v42, s[0:1]
	v_fmac_f32_e32 v42, s11, v40
	v_cndmask_b32_e64 v40, 0, v42, s[8:9]
	ds_write_b32 v38, v40
	v_max_f32_e32 v40, v41, v42
	v_cndmask_b32_e64 v31, v31, v40, s[8:9]
	s_branch .LBB165_9
.LBB165_12:
	s_or_b64 exec, exec, s[36:37]
.LBB165_13:
	s_or_b64 exec, exec, s[34:35]
	v_xor_b32_e32 v1, 32, v7
	v_cmp_lt_i32_e32 vcc, v1, v8
	v_xor_b32_e32 v4, 16, v7
	v_max_f32_e32 v3, v31, v31
	v_cndmask_b32_e32 v1, v7, v1, vcc
	v_lshlrev_b32_e32 v2, 2, v1
	ds_bpermute_b32 v1, v2, v31
	v_cmp_lt_i32_e32 vcc, v4, v8
	v_xor_b32_e32 v5, 8, v7
	s_waitcnt lgkmcnt(0)
	v_max_f32_e32 v1, v1, v1
	v_max_f32_e32 v1, v3, v1
	v_cndmask_b32_e32 v3, v7, v4, vcc
	v_lshlrev_b32_e32 v3, 2, v3
	ds_bpermute_b32 v4, v3, v1
	v_cmp_lt_i32_e32 vcc, v5, v8
	s_waitcnt lgkmcnt(0)
	v_max_f32_e32 v4, v4, v4
	v_max_f32_e32 v1, v1, v4
	v_cndmask_b32_e32 v4, v7, v5, vcc
	v_lshlrev_b32_e32 v12, 2, v4
	ds_bpermute_b32 v4, v12, v1
	v_xor_b32_e32 v5, 4, v7
	v_cmp_lt_i32_e32 vcc, v5, v8
	s_waitcnt lgkmcnt(0)
	v_max_f32_e32 v4, v4, v4
	v_max_f32_e32 v4, v1, v4
	v_cndmask_b32_e32 v1, v7, v5, vcc
	v_lshlrev_b32_e32 v13, 2, v1
	ds_bpermute_b32 v9, v13, v4
	v_and_b32_e32 v1, 63, v0
	v_cmp_eq_u32_e32 vcc, 0, v1
	v_lshlrev_b32_e32 v5, 2, v6
	s_and_saveexec_b64 s[0:1], vcc
	s_cbranch_execz .LBB165_15
; %bb.14:
	s_waitcnt lgkmcnt(0)
	v_max_f32_e32 v9, v9, v9
	v_max_f32_e32 v4, v4, v4
	;; [unrolled: 1-line block ×3, first 2 shown]
	ds_write_b32 v5, v4 offset:192
.LBB165_15:
	s_or_b64 exec, exec, s[0:1]
	v_cmp_gt_u32_e64 s[0:1], 2, v1
	v_mov_b32_e32 v4, 0xff7fffff
	s_waitcnt lgkmcnt(0)
	v_lshlrev_b32_e32 v9, 2, v1
	s_barrier
	s_and_saveexec_b64 s[8:9], s[0:1]
	s_cbranch_execz .LBB165_17
; %bb.16:
	ds_read_b32 v4, v9 offset:192
.LBB165_17:
	s_or_b64 exec, exec, s[8:9]
	v_xor_b32_e32 v14, 1, v7
	v_cmp_lt_i32_e64 s[8:9], v14, v8
	s_sub_i32 s3, s23, s3
	s_lshl_b32 s3, s3, 4
	v_cndmask_b32_e64 v14, v7, v14, s[8:9]
	v_lshlrev_b32_e32 v20, 2, v14
	s_waitcnt lgkmcnt(0)
	ds_bpermute_b32 v14, v20, v4
	v_max_f32_e32 v4, v4, v4
	s_add_i32 s3, s3, s40
	s_min_i32 s5, s3, s33
	s_sub_i32 s3, s5, s40
	s_waitcnt lgkmcnt(0)
	v_max_f32_e32 v14, v14, v14
	v_max_f32_e32 v4, v4, v14
	v_lshlrev_b32_e32 v14, 2, v7
	v_and_b32_e32 v14, 0xffffff00, v14
	ds_bpermute_b32 v4, v14, v4
	v_cmp_gt_i32_e64 s[8:9], s3, v0
	v_mov_b32_e32 v15, 0
	s_and_saveexec_b64 s[34:35], s[8:9]
	s_cbranch_execz .LBB165_21
; %bb.18:
	v_mov_b32_e32 v15, 0xd0
	v_lshl_add_u32 v16, v0, 2, v15
	s_mov_b64 s[36:37], 0
	v_mov_b32_e32 v15, 0
	v_mov_b32_e32 v17, v0
.LBB165_19:                             ; =>This Inner Loop Header: Depth=1
	ds_read_b32 v18, v16
	v_add_u32_e32 v17, 0x80, v17
	v_cmp_le_i32_e64 s[10:11], s3, v17
	s_or_b64 s[36:37], s[10:11], s[36:37]
	s_waitcnt lgkmcnt(0)
	v_sub_f32_e32 v18, v18, v4
	v_mul_f32_e32 v18, 0x3fb8aa3b, v18
	v_exp_f32_e32 v18, v18
	ds_write_b32 v16, v18
	v_add_f32_e32 v15, v15, v18
	v_add_u32_e32 v16, 0x200, v16
	s_andn2_b64 exec, exec, s[36:37]
	s_cbranch_execnz .LBB165_19
; %bb.20:
	s_or_b64 exec, exec, s[36:37]
.LBB165_21:
	s_or_b64 exec, exec, s[34:35]
	ds_bpermute_b32 v2, v2, v15
	s_waitcnt lgkmcnt(0)
	v_add_f32_e32 v2, v15, v2
	ds_bpermute_b32 v3, v3, v2
	s_waitcnt lgkmcnt(0)
	v_add_f32_e32 v2, v2, v3
	ds_bpermute_b32 v3, v12, v2
	v_xor_b32_e32 v12, 2, v7
	v_cmp_lt_i32_e64 s[10:11], v12, v8
	s_waitcnt lgkmcnt(0)
	v_add_f32_e32 v2, v2, v3
	ds_bpermute_b32 v3, v13, v2
	v_cndmask_b32_e64 v7, v7, v12, s[10:11]
	s_waitcnt lgkmcnt(0)
	v_add_f32_e32 v2, v2, v3
	v_lshlrev_b32_e32 v3, 2, v7
	ds_bpermute_b32 v3, v3, v2
	s_waitcnt lgkmcnt(0)
	v_add_f32_e32 v2, v2, v3
	ds_bpermute_b32 v3, v20, v2
	s_waitcnt lgkmcnt(0)
	v_add_f32_e32 v2, v2, v3
	s_and_saveexec_b64 s[10:11], vcc
	s_cbranch_execz .LBB165_23
; %bb.22:
	ds_write_b32 v5, v2 offset:200
.LBB165_23:
	s_or_b64 exec, exec, s[10:11]
	s_waitcnt lgkmcnt(0)
	s_barrier
	s_and_saveexec_b64 s[10:11], s[0:1]
	s_cbranch_execz .LBB165_25
; %bb.24:
	ds_read_b32 v2, v9 offset:200
.LBB165_25:
	s_or_b64 exec, exec, s[10:11]
	s_waitcnt lgkmcnt(0)
	ds_bpermute_b32 v3, v20, v2
	s_waitcnt lgkmcnt(0)
	v_add_f32_e32 v2, v2, v3
	ds_bpermute_b32 v5, v14, v2
	s_and_saveexec_b64 s[0:1], s[8:9]
	s_cbranch_execz .LBB165_38
; %bb.26:
	s_waitcnt lgkmcnt(0)
	v_add_f32_e32 v2, 0x358637bd, v5
	v_div_scale_f32 v3, s[8:9], v2, v2, 1.0
	v_rcp_f32_e32 v7, v3
	v_div_scale_f32 v8, vcc, 1.0, v2, 1.0
	s_mov_b64 s[10:11], -1
	v_fma_f32 v9, -v3, v7, 1.0
	v_fmac_f32_e32 v7, v9, v7
	v_mul_f32_e32 v9, v8, v7
	v_fma_f32 v12, -v3, v9, v8
	v_fmac_f32_e32 v9, v12, v7
	v_fma_f32 v3, -v3, v9, v8
	v_div_fmas_f32 v3, v3, v7, v9
	v_div_fixup_f32 v2, v3, v2, 1.0
	v_xad_u32 v3, v0, -1, s5
	v_subrev_u32_e32 v7, s40, v3
	s_movk_i32 s5, 0x7f
	v_cmp_lt_u32_e32 vcc, s5, v7
	v_mov_b32_e32 v3, v0
	s_and_saveexec_b64 s[8:9], vcc
	s_cbranch_execz .LBB165_35
; %bb.27:
	v_lshrrev_b32_e32 v7, 7, v7
	v_add_u32_e32 v9, -1, v7
	v_lshrrev_b32_e32 v8, 1, v9
	v_mov_b32_e32 v3, v2
	v_add_u32_e32 v8, 1, v8
	v_cmp_lt_u32_e32 vcc, 13, v9
	v_mov_b32_e32 v13, 0
	s_and_saveexec_b64 s[10:11], vcc
	s_cbranch_execz .LBB165_31
; %bb.28:
	v_mov_b32_e32 v12, 0xd0
	v_and_b32_e32 v9, -8, v8
	v_lshl_add_u32 v12, v0, 2, v12
	s_mov_b32 s5, 0
	s_mov_b64 s[34:35], 0
.LBB165_29:                             ; =>This Inner Loop Header: Depth=1
	ds_read2st64_b32 v[14:15], v12 offset1:2
	ds_read2st64_b32 v[16:17], v12 offset0:4 offset1:6
	ds_read2st64_b32 v[18:19], v12 offset0:8 offset1:10
	;; [unrolled: 1-line block ×3, first 2 shown]
	v_add_u32_e32 v9, -8, v9
	s_waitcnt lgkmcnt(3)
	v_pk_mul_f32 v[14:15], v[2:3], v[14:15]
	s_waitcnt lgkmcnt(2)
	v_pk_mul_f32 v[16:17], v[2:3], v[16:17]
	ds_write2st64_b32 v12, v14, v15 offset1:2
	ds_write2st64_b32 v12, v16, v17 offset0:4 offset1:6
	ds_read2st64_b32 v[16:17], v12 offset0:16 offset1:18
	s_waitcnt lgkmcnt(4)
	v_pk_mul_f32 v[14:15], v[2:3], v[18:19]
	ds_write2st64_b32 v12, v14, v15 offset0:8 offset1:10
	s_waitcnt lgkmcnt(4)
	v_pk_mul_f32 v[14:15], v[2:3], v[22:23]
	ds_write2st64_b32 v12, v14, v15 offset0:12 offset1:14
	ds_read2st64_b32 v[14:15], v12 offset0:20 offset1:22
	s_waitcnt lgkmcnt(3)
	v_pk_mul_f32 v[16:17], v[2:3], v[16:17]
	ds_read2st64_b32 v[18:19], v12 offset0:24 offset1:26
	ds_write2st64_b32 v12, v16, v17 offset0:16 offset1:18
	ds_read2st64_b32 v[16:17], v12 offset0:28 offset1:30
	s_waitcnt lgkmcnt(3)
	v_pk_mul_f32 v[14:15], v[2:3], v[14:15]
	ds_write2st64_b32 v12, v14, v15 offset0:20 offset1:22
	s_waitcnt lgkmcnt(3)
	v_pk_mul_f32 v[14:15], v[2:3], v[18:19]
	ds_write2st64_b32 v12, v14, v15 offset0:24 offset1:26
	s_waitcnt lgkmcnt(2)
	v_pk_mul_f32 v[14:15], v[2:3], v[16:17]
	s_add_i32 s5, s5, 16
	v_cmp_eq_u32_e32 vcc, 0, v9
	ds_write2st64_b32 v12, v14, v15 offset0:28 offset1:30
	v_add_u32_e32 v12, 0x2000, v12
	s_or_b64 s[34:35], vcc, s[34:35]
	v_mov_b32_e32 v13, s5
	s_andn2_b64 exec, exec, s[34:35]
	s_cbranch_execnz .LBB165_29
; %bb.30:
	s_or_b64 exec, exec, s[34:35]
.LBB165_31:
	s_or_b64 exec, exec, s[10:11]
	v_and_b32_e32 v8, 7, v8
	v_cmp_ne_u32_e32 vcc, 0, v8
	s_and_saveexec_b64 s[10:11], vcc
	s_cbranch_execz .LBB165_34
; %bb.32:
	v_lshlrev_b32_e32 v9, 9, v13
	v_lshlrev_b32_e32 v12, 2, v0
	s_movk_i32 s5, 0xd0
	v_add3_u32 v9, v9, v12, s5
	s_mov_b64 s[34:35], 0
.LBB165_33:                             ; =>This Inner Loop Header: Depth=1
	ds_read2st64_b32 v[12:13], v9 offset1:2
	v_add_u32_e32 v8, -1, v8
	v_cmp_eq_u32_e32 vcc, 0, v8
	s_or_b64 s[34:35], vcc, s[34:35]
	s_waitcnt lgkmcnt(0)
	v_pk_mul_f32 v[12:13], v[2:3], v[12:13]
	ds_write2st64_b32 v9, v12, v13 offset1:2
	v_add_u32_e32 v9, 0x400, v9
	s_andn2_b64 exec, exec, s[34:35]
	s_cbranch_execnz .LBB165_33
.LBB165_34:
	s_or_b64 exec, exec, s[10:11]
	v_add_u32_e32 v7, 1, v7
	v_and_b32_e32 v8, 0x3fffffe, v7
	v_cmp_ne_u32_e32 vcc, v7, v8
	v_lshl_add_u32 v3, v8, 7, v0
	s_orn2_b64 s[10:11], vcc, exec
.LBB165_35:
	s_or_b64 exec, exec, s[8:9]
	s_and_b64 exec, exec, s[10:11]
	s_cbranch_execz .LBB165_38
; %bb.36:
	v_mov_b32_e32 v7, 0xd0
	v_lshl_add_u32 v7, v3, 2, v7
	s_mov_b64 s[8:9], 0
.LBB165_37:                             ; =>This Inner Loop Header: Depth=1
	ds_read_b32 v8, v7
	v_add_u32_e32 v3, 0x80, v3
	v_cmp_le_i32_e32 vcc, s3, v3
	s_or_b64 s[8:9], vcc, s[8:9]
	s_waitcnt lgkmcnt(0)
	v_mul_f32_e32 v8, v2, v8
	ds_write_b32 v7, v8
	v_add_u32_e32 v7, 0x200, v7
	s_andn2_b64 exec, exec, s[8:9]
	s_cbranch_execnz .LBB165_37
.LBB165_38:
	s_or_b64 exec, exec, s[0:1]
	v_cmp_eq_u32_e32 vcc, 0, v0
	s_waitcnt lgkmcnt(0)
	s_barrier
	s_and_saveexec_b64 s[0:1], vcc
	s_cbranch_execz .LBB165_40
; %bb.39:
	s_mul_i32 s3, s12, s20
	s_mul_i32 s8, s3, s21
	s_ashr_i32 s9, s8, 31
	s_lshl_b64 s[8:9], s[8:9], 2
	s_add_u32 s5, s18, s8
	s_mul_i32 s2, s12, s2
	s_addc_u32 s10, s19, s9
	s_ashr_i32 s3, s2, 31
	s_lshl_b64 s[2:3], s[2:3], 2
	s_add_u32 s15, s5, s2
	s_addc_u32 s19, s10, s3
	s_ashr_i32 s5, s4, 31
	s_lshl_b64 s[10:11], s[4:5], 2
	s_add_u32 s18, s15, s10
	s_addc_u32 s19, s19, s11
	s_add_u32 s5, s16, s8
	s_addc_u32 s8, s17, s9
	;; [unrolled: 2-line block ×3, first 2 shown]
	s_add_u32 s2, s2, s10
	v_mov_b32_e32 v2, 0
	s_addc_u32 s3, s3, s11
	global_store_dword v2, v4, s[18:19]
	global_store_dword v2, v5, s[2:3]
.LBB165_40:
	s_or_b64 exec, exec, s[0:1]
	v_mov_b32_e32 v14, 0
	v_and_b32_e32 v21, 1, v0
	v_mov_b32_e32 v13, 0
	v_mov_b32_e32 v12, 0
	s_and_saveexec_b64 s[2:3], s[6:7]
	s_cbranch_execz .LBB165_178
; %bb.41:
	s_ashr_i32 s15, s14, 31
	s_lshl_b64 s[0:1], s[14:15], 1
	s_add_u32 s0, s30, s0
	v_lshlrev_b32_e32 v3, 4, v0
	v_lshlrev_b32_e32 v2, 3, v0
	s_addc_u32 s1, s31, s1
	v_and_b32_e32 v14, 0x3f0, v3
	v_mov_b32_e32 v15, 0
	v_and_b32_e32 v2, 8, v2
	s_add_i32 s10, s41, -1
	v_lshl_add_u64 v[16:17], s[0:1], 0, v[14:15]
	v_lshl_add_u32 v3, v6, 4, s40
	s_lshl_b64 s[0:1], s[28:29], 2
	v_add3_u32 v22, v3, v2, 7
	v_lshlrev_b32_e32 v2, 5, v21
	s_add_u32 s0, s26, s0
	v_lshl_or_b32 v2, v6, 6, v2
	s_addc_u32 s1, s27, s1
	s_mov_b32 s5, s13
	v_add_u32_e32 v23, 0xd0, v2
	v_lshl_add_u64 v[18:19], v[10:11], 2, s[0:1]
	s_mov_b64 s[6:7], 0
	s_mov_b32 s11, 0x7f800000
	s_movk_i32 s13, 0x7fff
	v_mov_b32_e32 v12, 0
	v_mov_b32_e32 v13, 0
	;; [unrolled: 1-line block ×3, first 2 shown]
	s_branch .LBB165_43
.LBB165_42:                             ;   in Loop: Header=BB165_43 Depth=1
	s_or_b64 exec, exec, s[0:1]
	v_and_b32_e32 v30, 0xffff0000, v26
	v_and_b32_e32 v26, 0xffff0000, v25
	;; [unrolled: 1-line block ×8, first 2 shown]
	v_pk_add_f32 v[8:9], v[8:9], v[24:25]
	v_pk_add_f32 v[24:25], v[26:27], v[30:31]
	v_add_f32_e32 v8, v8, v9
	v_add_f32_e32 v8, v8, v24
	;; [unrolled: 1-line block ×3, first 2 shown]
	v_and_b32_e32 v27, 0xffff0000, v47
	v_and_b32_e32 v26, 0xffff0000, v45
	;; [unrolled: 1-line block ×4, first 2 shown]
	v_add_f32_e32 v12, v12, v8
	v_and_b32_e32 v9, 0xffff0000, v51
	v_and_b32_e32 v8, 0xffff0000, v49
	v_and_b32_e32 v25, 0xffff0000, v50
	v_and_b32_e32 v24, 0xffff0000, v48
	v_pk_add_f32 v[26:27], v[30:31], v[26:27]
	v_pk_add_f32 v[8:9], v[24:25], v[8:9]
	v_add_f32_e32 v11, v26, v27
	v_add_f32_e32 v8, v11, v8
	;; [unrolled: 1-line block ×3, first 2 shown]
	v_and_b32_e32 v25, 0xffff0000, v28
	v_and_b32_e32 v24, 0xffff0000, v7
	;; [unrolled: 1-line block ×4, first 2 shown]
	v_add_f32_e32 v13, v13, v8
	v_and_b32_e32 v9, 0xffff0000, v6
	v_and_b32_e32 v8, 0xffff0000, v29
	v_and_b32_e32 v5, 0xffff0000, v5
	v_and_b32_e32 v4, 0xffff0000, v4
	v_pk_add_f32 v[2:3], v[2:3], v[24:25]
	v_pk_add_f32 v[4:5], v[4:5], v[8:9]
	v_add_f32_e32 v2, v2, v3
	v_add_f32_e32 v2, v2, v4
	v_add_u32_e32 v10, 2, v10
	v_add_f32_e32 v2, v2, v5
	v_cmp_le_i32_e32 vcc, s23, v10
	v_add_f32_e32 v14, v14, v2
	v_add_u32_e32 v22, 32, v22
	v_add_u32_e32 v23, 0x80, v23
	s_or_b64 s[6:7], vcc, s[6:7]
	v_lshl_add_u64 v[18:19], v[18:19], 0, 8
	s_andn2_b64 exec, exec, s[6:7]
	s_cbranch_execz .LBB165_177
.LBB165_43:                             ; =>This Inner Loop Header: Depth=1
	global_load_dword v28, v[18:19], off
	ds_read2_b64 v[6:9], v23 offset1:1
	ds_read2_b64 v[2:5], v23 offset0:2 offset1:3
                                        ; implicit-def: $vgpr36
	s_waitcnt lgkmcnt(1)
	v_and_b32_e32 v11, 0x7f800000, v6
	v_cmp_ne_u32_e32 vcc, s11, v11
	s_and_saveexec_b64 s[0:1], vcc
	s_xor_b64 s[0:1], exec, s[0:1]
; %bb.44:                               ;   in Loop: Header=BB165_43 Depth=1
	v_bfe_u32 v11, v6, 16, 1
	v_add3_u32 v36, v6, v11, s13
; %bb.45:                               ;   in Loop: Header=BB165_43 Depth=1
	s_andn2_saveexec_b64 s[0:1], s[0:1]
; %bb.46:                               ;   in Loop: Header=BB165_43 Depth=1
	v_or_b32_e32 v11, 0x10000, v6
	v_cmp_eq_u32_sdwa vcc, v6, v15 src0_sel:WORD_0 src1_sel:DWORD
	s_nop 1
	v_cndmask_b32_e32 v36, v11, v6, vcc
; %bb.47:                               ;   in Loop: Header=BB165_43 Depth=1
	s_or_b64 exec, exec, s[0:1]
	v_and_b32_e32 v6, 0x7f800000, v7
	v_cmp_ne_u32_e32 vcc, s11, v6
                                        ; implicit-def: $vgpr37
	s_and_saveexec_b64 s[0:1], vcc
	s_xor_b64 s[0:1], exec, s[0:1]
; %bb.48:                               ;   in Loop: Header=BB165_43 Depth=1
	v_bfe_u32 v6, v7, 16, 1
	v_add3_u32 v37, v7, v6, s13
; %bb.49:                               ;   in Loop: Header=BB165_43 Depth=1
	s_andn2_saveexec_b64 s[0:1], s[0:1]
; %bb.50:                               ;   in Loop: Header=BB165_43 Depth=1
	v_or_b32_e32 v6, 0x10000, v7
	v_cmp_eq_u32_sdwa vcc, v7, v15 src0_sel:WORD_0 src1_sel:DWORD
	s_nop 1
	v_cndmask_b32_e32 v37, v6, v7, vcc
; %bb.51:                               ;   in Loop: Header=BB165_43 Depth=1
	s_or_b64 exec, exec, s[0:1]
	v_and_b32_e32 v6, 0x7f800000, v8
	v_cmp_ne_u32_e32 vcc, s11, v6
                                        ; implicit-def: $vgpr11
	s_and_saveexec_b64 s[0:1], vcc
	s_xor_b64 s[0:1], exec, s[0:1]
; %bb.52:                               ;   in Loop: Header=BB165_43 Depth=1
	v_bfe_u32 v6, v8, 16, 1
	v_add3_u32 v11, v8, v6, s13
; %bb.53:                               ;   in Loop: Header=BB165_43 Depth=1
	s_andn2_saveexec_b64 s[0:1], s[0:1]
; %bb.54:                               ;   in Loop: Header=BB165_43 Depth=1
	v_or_b32_e32 v6, 0x10000, v8
	v_cmp_eq_u32_sdwa vcc, v8, v15 src0_sel:WORD_0 src1_sel:DWORD
	s_nop 1
	v_cndmask_b32_e32 v11, v6, v8, vcc
; %bb.55:                               ;   in Loop: Header=BB165_43 Depth=1
	s_or_b64 exec, exec, s[0:1]
	v_and_b32_e32 v6, 0x7f800000, v9
	v_cmp_ne_u32_e32 vcc, s11, v6
                                        ; implicit-def: $vgpr24
	s_and_saveexec_b64 s[0:1], vcc
	s_xor_b64 s[0:1], exec, s[0:1]
; %bb.56:                               ;   in Loop: Header=BB165_43 Depth=1
	v_bfe_u32 v6, v9, 16, 1
	v_add3_u32 v24, v9, v6, s13
                                        ; implicit-def: $vgpr6_vgpr7_vgpr8_vgpr9
; %bb.57:                               ;   in Loop: Header=BB165_43 Depth=1
	s_andn2_saveexec_b64 s[0:1], s[0:1]
; %bb.58:                               ;   in Loop: Header=BB165_43 Depth=1
	v_or_b32_e32 v6, 0x10000, v9
	v_cmp_eq_u32_sdwa vcc, v9, v15 src0_sel:WORD_0 src1_sel:DWORD
	s_nop 1
	v_cndmask_b32_e32 v24, v6, v9, vcc
; %bb.59:                               ;   in Loop: Header=BB165_43 Depth=1
	s_or_b64 exec, exec, s[0:1]
	s_waitcnt lgkmcnt(0)
	v_and_b32_e32 v6, 0x7f800000, v2
	v_cmp_ne_u32_e32 vcc, s11, v6
                                        ; implicit-def: $vgpr25
	s_and_saveexec_b64 s[0:1], vcc
	s_xor_b64 s[0:1], exec, s[0:1]
; %bb.60:                               ;   in Loop: Header=BB165_43 Depth=1
	v_bfe_u32 v6, v2, 16, 1
	v_add3_u32 v25, v2, v6, s13
; %bb.61:                               ;   in Loop: Header=BB165_43 Depth=1
	s_andn2_saveexec_b64 s[0:1], s[0:1]
; %bb.62:                               ;   in Loop: Header=BB165_43 Depth=1
	v_or_b32_e32 v6, 0x10000, v2
	v_cmp_eq_u32_sdwa vcc, v2, v15 src0_sel:WORD_0 src1_sel:DWORD
	s_nop 1
	v_cndmask_b32_e32 v25, v6, v2, vcc
; %bb.63:                               ;   in Loop: Header=BB165_43 Depth=1
	s_or_b64 exec, exec, s[0:1]
	v_and_b32_e32 v2, 0x7f800000, v3
	v_cmp_ne_u32_e32 vcc, s11, v2
                                        ; implicit-def: $vgpr26
	s_and_saveexec_b64 s[0:1], vcc
	s_xor_b64 s[0:1], exec, s[0:1]
; %bb.64:                               ;   in Loop: Header=BB165_43 Depth=1
	v_bfe_u32 v2, v3, 16, 1
	v_add3_u32 v26, v3, v2, s13
; %bb.65:                               ;   in Loop: Header=BB165_43 Depth=1
	s_andn2_saveexec_b64 s[0:1], s[0:1]
; %bb.66:                               ;   in Loop: Header=BB165_43 Depth=1
	v_or_b32_e32 v2, 0x10000, v3
	v_cmp_eq_u32_sdwa vcc, v3, v15 src0_sel:WORD_0 src1_sel:DWORD
	s_nop 1
	v_cndmask_b32_e32 v26, v2, v3, vcc
; %bb.67:                               ;   in Loop: Header=BB165_43 Depth=1
	s_or_b64 exec, exec, s[0:1]
	v_and_b32_e32 v2, 0x7f800000, v4
	v_cmp_ne_u32_e32 vcc, s11, v2
                                        ; implicit-def: $vgpr27
	s_and_saveexec_b64 s[0:1], vcc
	s_xor_b64 s[0:1], exec, s[0:1]
; %bb.68:                               ;   in Loop: Header=BB165_43 Depth=1
	v_bfe_u32 v2, v4, 16, 1
	v_add3_u32 v27, v4, v2, s13
; %bb.69:                               ;   in Loop: Header=BB165_43 Depth=1
	s_andn2_saveexec_b64 s[0:1], s[0:1]
; %bb.70:                               ;   in Loop: Header=BB165_43 Depth=1
	v_or_b32_e32 v2, 0x10000, v4
	v_cmp_eq_u32_sdwa vcc, v4, v15 src0_sel:WORD_0 src1_sel:DWORD
	s_nop 1
	v_cndmask_b32_e32 v27, v2, v4, vcc
; %bb.71:                               ;   in Loop: Header=BB165_43 Depth=1
	s_or_b64 exec, exec, s[0:1]
	v_and_b32_e32 v2, 0x7f800000, v5
	v_cmp_ne_u32_e32 vcc, s11, v2
                                        ; implicit-def: $vgpr35
	s_and_saveexec_b64 s[0:1], vcc
	s_xor_b64 s[0:1], exec, s[0:1]
; %bb.72:                               ;   in Loop: Header=BB165_43 Depth=1
	v_bfe_u32 v2, v5, 16, 1
	v_add3_u32 v35, v5, v2, s13
                                        ; implicit-def: $vgpr2_vgpr3_vgpr4_vgpr5
; %bb.73:                               ;   in Loop: Header=BB165_43 Depth=1
	s_andn2_saveexec_b64 s[0:1], s[0:1]
; %bb.74:                               ;   in Loop: Header=BB165_43 Depth=1
	v_or_b32_e32 v2, 0x10000, v5
	v_cmp_eq_u32_sdwa vcc, v5, v15 src0_sel:WORD_0 src1_sel:DWORD
	s_nop 1
	v_cndmask_b32_e32 v35, v2, v5, vcc
; %bb.75:                               ;   in Loop: Header=BB165_43 Depth=1
	s_or_b64 exec, exec, s[0:1]
	s_waitcnt vmcnt(0)
	v_mad_i64_i32 v[2:3], s[0:1], v28, s5, 0
	v_lshl_add_u64 v[6:7], v[2:3], 1, v[16:17]
	global_load_dwordx4 v[2:5], v[6:7], off
	v_add_u32_e32 v28, -7, v22
	v_cmp_eq_u32_e32 vcc, s10, v10
	v_add_u32_e32 v34, -6, v22
	v_add_u32_e32 v32, -5, v22
	;; [unrolled: 1-line block ×6, first 2 shown]
	s_waitcnt vmcnt(0)
	v_lshrrev_b32_e32 v9, 16, v2
	v_lshrrev_b32_e32 v40, 16, v3
	;; [unrolled: 1-line block ×4, first 2 shown]
	s_and_saveexec_b64 s[8:9], vcc
	s_cbranch_execz .LBB165_77
; %bb.76:                               ;   in Loop: Header=BB165_43 Depth=1
	v_cmp_gt_i32_e64 s[0:1], s33, v28
	s_nop 1
	v_cndmask_b32_e64 v2, 0, v2, s[0:1]
	v_cmp_gt_i32_e64 s[0:1], s33, v34
	s_nop 1
	v_cndmask_b32_e64 v9, 0, v9, s[0:1]
	;; [unrolled: 3-line block ×8, first 2 shown]
.LBB165_77:                             ;   in Loop: Header=BB165_43 Depth=1
	s_or_b64 exec, exec, s[8:9]
	v_and_b32_e32 v36, 0xffff0000, v36
	v_lshlrev_b32_e32 v2, 16, v2
	v_mul_f32_e32 v2, v36, v2
	v_and_b32_e32 v8, 0x7f800000, v2
	v_cmp_ne_u32_e64 s[0:1], s11, v8
                                        ; implicit-def: $vgpr8
	s_and_saveexec_b64 s[8:9], s[0:1]
	s_xor_b64 s[0:1], exec, s[8:9]
; %bb.78:                               ;   in Loop: Header=BB165_43 Depth=1
	v_bfe_u32 v8, v2, 16, 1
	v_add3_u32 v8, v2, v8, s13
                                        ; implicit-def: $vgpr2
; %bb.79:                               ;   in Loop: Header=BB165_43 Depth=1
	s_andn2_saveexec_b64 s[8:9], s[0:1]
; %bb.80:                               ;   in Loop: Header=BB165_43 Depth=1
	v_or_b32_e32 v8, 0x10000, v2
	v_cmp_eq_u32_sdwa s[0:1], v2, v15 src0_sel:WORD_0 src1_sel:DWORD
	s_nop 1
	v_cndmask_b32_e64 v8, v8, v2, s[0:1]
; %bb.81:                               ;   in Loop: Header=BB165_43 Depth=1
	s_or_b64 exec, exec, s[8:9]
	v_and_b32_e32 v37, 0xffff0000, v37
	v_lshlrev_b32_e32 v2, 16, v9
	v_mul_f32_e32 v2, v37, v2
	v_and_b32_e32 v9, 0x7f800000, v2
	v_cmp_ne_u32_e64 s[0:1], s11, v9
                                        ; implicit-def: $vgpr9
	s_and_saveexec_b64 s[8:9], s[0:1]
	s_xor_b64 s[0:1], exec, s[8:9]
; %bb.82:                               ;   in Loop: Header=BB165_43 Depth=1
	v_bfe_u32 v9, v2, 16, 1
	v_add3_u32 v9, v2, v9, s13
                                        ; implicit-def: $vgpr2
; %bb.83:                               ;   in Loop: Header=BB165_43 Depth=1
	s_andn2_saveexec_b64 s[8:9], s[0:1]
; %bb.84:                               ;   in Loop: Header=BB165_43 Depth=1
	v_or_b32_e32 v9, 0x10000, v2
	v_cmp_eq_u32_sdwa s[0:1], v2, v15 src0_sel:WORD_0 src1_sel:DWORD
	s_nop 1
	v_cndmask_b32_e64 v9, v9, v2, s[0:1]
; %bb.85:                               ;   in Loop: Header=BB165_43 Depth=1
	s_or_b64 exec, exec, s[8:9]
	v_and_b32_e32 v38, 0xffff0000, v11
	v_lshlrev_b32_e32 v2, 16, v3
	v_mul_f32_e32 v2, v38, v2
	v_and_b32_e32 v3, 0x7f800000, v2
	v_cmp_ne_u32_e64 s[0:1], s11, v3
                                        ; implicit-def: $vgpr11
	s_and_saveexec_b64 s[8:9], s[0:1]
	s_xor_b64 s[0:1], exec, s[8:9]
; %bb.86:                               ;   in Loop: Header=BB165_43 Depth=1
	v_bfe_u32 v3, v2, 16, 1
	v_add3_u32 v11, v2, v3, s13
                                        ; implicit-def: $vgpr2
; %bb.87:                               ;   in Loop: Header=BB165_43 Depth=1
	s_andn2_saveexec_b64 s[8:9], s[0:1]
; %bb.88:                               ;   in Loop: Header=BB165_43 Depth=1
	v_or_b32_e32 v3, 0x10000, v2
	v_cmp_eq_u32_sdwa s[0:1], v2, v15 src0_sel:WORD_0 src1_sel:DWORD
	s_nop 1
	v_cndmask_b32_e64 v11, v3, v2, s[0:1]
; %bb.89:                               ;   in Loop: Header=BB165_43 Depth=1
	s_or_b64 exec, exec, s[8:9]
	v_and_b32_e32 v39, 0xffff0000, v24
	v_lshlrev_b32_e32 v2, 16, v40
	v_mul_f32_e32 v2, v39, v2
	v_and_b32_e32 v3, 0x7f800000, v2
	v_cmp_ne_u32_e64 s[0:1], s11, v3
                                        ; implicit-def: $vgpr24
	s_and_saveexec_b64 s[8:9], s[0:1]
	s_xor_b64 s[0:1], exec, s[8:9]
; %bb.90:                               ;   in Loop: Header=BB165_43 Depth=1
	v_bfe_u32 v3, v2, 16, 1
	v_add3_u32 v24, v2, v3, s13
                                        ; implicit-def: $vgpr2
; %bb.91:                               ;   in Loop: Header=BB165_43 Depth=1
	s_andn2_saveexec_b64 s[8:9], s[0:1]
; %bb.92:                               ;   in Loop: Header=BB165_43 Depth=1
	v_or_b32_e32 v3, 0x10000, v2
	v_cmp_eq_u32_sdwa s[0:1], v2, v15 src0_sel:WORD_0 src1_sel:DWORD
	s_nop 1
	v_cndmask_b32_e64 v24, v3, v2, s[0:1]
; %bb.93:                               ;   in Loop: Header=BB165_43 Depth=1
	s_or_b64 exec, exec, s[8:9]
	v_and_b32_e32 v40, 0xffff0000, v25
	v_lshlrev_b32_e32 v2, 16, v4
	v_mul_f32_e32 v2, v40, v2
	v_and_b32_e32 v3, 0x7f800000, v2
	v_cmp_ne_u32_e64 s[0:1], s11, v3
                                        ; implicit-def: $vgpr25
	s_and_saveexec_b64 s[8:9], s[0:1]
	s_xor_b64 s[0:1], exec, s[8:9]
; %bb.94:                               ;   in Loop: Header=BB165_43 Depth=1
	v_bfe_u32 v3, v2, 16, 1
	v_add3_u32 v25, v2, v3, s13
                                        ; implicit-def: $vgpr2
; %bb.95:                               ;   in Loop: Header=BB165_43 Depth=1
	s_andn2_saveexec_b64 s[8:9], s[0:1]
; %bb.96:                               ;   in Loop: Header=BB165_43 Depth=1
	v_or_b32_e32 v3, 0x10000, v2
	v_cmp_eq_u32_sdwa s[0:1], v2, v15 src0_sel:WORD_0 src1_sel:DWORD
	s_nop 1
	v_cndmask_b32_e64 v25, v3, v2, s[0:1]
; %bb.97:                               ;   in Loop: Header=BB165_43 Depth=1
	s_or_b64 exec, exec, s[8:9]
	v_and_b32_e32 v41, 0xffff0000, v26
	v_lshlrev_b32_e32 v2, 16, v42
	v_mul_f32_e32 v2, v41, v2
	v_and_b32_e32 v3, 0x7f800000, v2
	v_cmp_ne_u32_e64 s[0:1], s11, v3
                                        ; implicit-def: $vgpr26
	s_and_saveexec_b64 s[8:9], s[0:1]
	s_xor_b64 s[0:1], exec, s[8:9]
; %bb.98:                               ;   in Loop: Header=BB165_43 Depth=1
	v_bfe_u32 v3, v2, 16, 1
	v_add3_u32 v26, v2, v3, s13
                                        ; implicit-def: $vgpr2
; %bb.99:                               ;   in Loop: Header=BB165_43 Depth=1
	s_andn2_saveexec_b64 s[8:9], s[0:1]
; %bb.100:                              ;   in Loop: Header=BB165_43 Depth=1
	v_or_b32_e32 v3, 0x10000, v2
	v_cmp_eq_u32_sdwa s[0:1], v2, v15 src0_sel:WORD_0 src1_sel:DWORD
	s_nop 1
	v_cndmask_b32_e64 v26, v3, v2, s[0:1]
; %bb.101:                              ;   in Loop: Header=BB165_43 Depth=1
	s_or_b64 exec, exec, s[8:9]
	v_and_b32_e32 v42, 0xffff0000, v27
	v_lshlrev_b32_e32 v2, 16, v5
	v_mul_f32_e32 v2, v42, v2
	v_and_b32_e32 v3, 0x7f800000, v2
	v_cmp_ne_u32_e64 s[0:1], s11, v3
                                        ; implicit-def: $vgpr27
	s_and_saveexec_b64 s[8:9], s[0:1]
	s_xor_b64 s[0:1], exec, s[8:9]
; %bb.102:                              ;   in Loop: Header=BB165_43 Depth=1
	v_bfe_u32 v3, v2, 16, 1
	v_add3_u32 v27, v2, v3, s13
                                        ; implicit-def: $vgpr2
; %bb.103:                              ;   in Loop: Header=BB165_43 Depth=1
	s_andn2_saveexec_b64 s[8:9], s[0:1]
; %bb.104:                              ;   in Loop: Header=BB165_43 Depth=1
	v_or_b32_e32 v3, 0x10000, v2
	v_cmp_eq_u32_sdwa s[0:1], v2, v15 src0_sel:WORD_0 src1_sel:DWORD
	s_nop 1
	v_cndmask_b32_e64 v27, v3, v2, s[0:1]
; %bb.105:                              ;   in Loop: Header=BB165_43 Depth=1
	s_or_b64 exec, exec, s[8:9]
	v_and_b32_e32 v43, 0xffff0000, v35
	v_lshlrev_b32_e32 v2, 16, v44
	v_mul_f32_e32 v2, v43, v2
	v_and_b32_e32 v3, 0x7f800000, v2
	v_cmp_ne_u32_e64 s[0:1], s11, v3
                                        ; implicit-def: $vgpr35
	s_and_saveexec_b64 s[8:9], s[0:1]
	s_xor_b64 s[0:1], exec, s[8:9]
; %bb.106:                              ;   in Loop: Header=BB165_43 Depth=1
	v_bfe_u32 v3, v2, 16, 1
	v_add3_u32 v35, v2, v3, s13
                                        ; implicit-def: $vgpr2
; %bb.107:                              ;   in Loop: Header=BB165_43 Depth=1
	s_andn2_saveexec_b64 s[8:9], s[0:1]
; %bb.108:                              ;   in Loop: Header=BB165_43 Depth=1
	v_or_b32_e32 v3, 0x10000, v2
	v_cmp_eq_u32_sdwa s[0:1], v2, v15 src0_sel:WORD_0 src1_sel:DWORD
	s_nop 1
	v_cndmask_b32_e64 v35, v3, v2, s[0:1]
; %bb.109:                              ;   in Loop: Header=BB165_43 Depth=1
	s_or_b64 exec, exec, s[8:9]
	global_load_dwordx4 v[2:5], v[6:7], off offset:1024
	s_waitcnt vmcnt(0)
	v_lshrrev_b32_e32 v45, 16, v2
	v_lshrrev_b32_e32 v47, 16, v3
	;; [unrolled: 1-line block ×4, first 2 shown]
	s_and_saveexec_b64 s[8:9], vcc
	s_cbranch_execz .LBB165_111
; %bb.110:                              ;   in Loop: Header=BB165_43 Depth=1
	v_cmp_gt_i32_e64 s[0:1], s33, v28
	s_nop 1
	v_cndmask_b32_e64 v2, 0, v2, s[0:1]
	v_cmp_gt_i32_e64 s[0:1], s33, v34
	s_nop 1
	v_cndmask_b32_e64 v45, 0, v45, s[0:1]
	;; [unrolled: 3-line block ×8, first 2 shown]
.LBB165_111:                            ;   in Loop: Header=BB165_43 Depth=1
	s_or_b64 exec, exec, s[8:9]
	v_lshlrev_b32_e32 v2, 16, v2
	v_mul_f32_e32 v2, v36, v2
	v_and_b32_e32 v44, 0x7f800000, v2
	v_cmp_ne_u32_e64 s[0:1], s11, v44
                                        ; implicit-def: $vgpr44
	s_and_saveexec_b64 s[8:9], s[0:1]
	s_xor_b64 s[0:1], exec, s[8:9]
; %bb.112:                              ;   in Loop: Header=BB165_43 Depth=1
	v_bfe_u32 v44, v2, 16, 1
	v_add3_u32 v44, v2, v44, s13
                                        ; implicit-def: $vgpr2
; %bb.113:                              ;   in Loop: Header=BB165_43 Depth=1
	s_andn2_saveexec_b64 s[8:9], s[0:1]
; %bb.114:                              ;   in Loop: Header=BB165_43 Depth=1
	v_or_b32_e32 v44, 0x10000, v2
	v_cmp_eq_u32_sdwa s[0:1], v2, v15 src0_sel:WORD_0 src1_sel:DWORD
	s_nop 1
	v_cndmask_b32_e64 v44, v44, v2, s[0:1]
; %bb.115:                              ;   in Loop: Header=BB165_43 Depth=1
	s_or_b64 exec, exec, s[8:9]
	v_lshlrev_b32_e32 v2, 16, v45
	v_mul_f32_e32 v2, v37, v2
	v_and_b32_e32 v45, 0x7f800000, v2
	v_cmp_ne_u32_e64 s[0:1], s11, v45
                                        ; implicit-def: $vgpr45
	s_and_saveexec_b64 s[8:9], s[0:1]
	s_xor_b64 s[0:1], exec, s[8:9]
; %bb.116:                              ;   in Loop: Header=BB165_43 Depth=1
	v_bfe_u32 v45, v2, 16, 1
	v_add3_u32 v45, v2, v45, s13
                                        ; implicit-def: $vgpr2
; %bb.117:                              ;   in Loop: Header=BB165_43 Depth=1
	s_andn2_saveexec_b64 s[8:9], s[0:1]
; %bb.118:                              ;   in Loop: Header=BB165_43 Depth=1
	v_or_b32_e32 v45, 0x10000, v2
	v_cmp_eq_u32_sdwa s[0:1], v2, v15 src0_sel:WORD_0 src1_sel:DWORD
	s_nop 1
	v_cndmask_b32_e64 v45, v45, v2, s[0:1]
; %bb.119:                              ;   in Loop: Header=BB165_43 Depth=1
	s_or_b64 exec, exec, s[8:9]
	v_lshlrev_b32_e32 v2, 16, v3
	v_mul_f32_e32 v2, v38, v2
	v_and_b32_e32 v3, 0x7f800000, v2
	v_cmp_ne_u32_e64 s[0:1], s11, v3
                                        ; implicit-def: $vgpr46
	s_and_saveexec_b64 s[8:9], s[0:1]
	s_xor_b64 s[0:1], exec, s[8:9]
; %bb.120:                              ;   in Loop: Header=BB165_43 Depth=1
	v_bfe_u32 v3, v2, 16, 1
	v_add3_u32 v46, v2, v3, s13
                                        ; implicit-def: $vgpr2
; %bb.121:                              ;   in Loop: Header=BB165_43 Depth=1
	s_andn2_saveexec_b64 s[8:9], s[0:1]
; %bb.122:                              ;   in Loop: Header=BB165_43 Depth=1
	v_or_b32_e32 v3, 0x10000, v2
	v_cmp_eq_u32_sdwa s[0:1], v2, v15 src0_sel:WORD_0 src1_sel:DWORD
	s_nop 1
	v_cndmask_b32_e64 v46, v3, v2, s[0:1]
; %bb.123:                              ;   in Loop: Header=BB165_43 Depth=1
	s_or_b64 exec, exec, s[8:9]
	v_lshlrev_b32_e32 v2, 16, v47
	v_mul_f32_e32 v2, v39, v2
	v_and_b32_e32 v3, 0x7f800000, v2
	v_cmp_ne_u32_e64 s[0:1], s11, v3
                                        ; implicit-def: $vgpr47
	s_and_saveexec_b64 s[8:9], s[0:1]
	s_xor_b64 s[0:1], exec, s[8:9]
; %bb.124:                              ;   in Loop: Header=BB165_43 Depth=1
	v_bfe_u32 v3, v2, 16, 1
	v_add3_u32 v47, v2, v3, s13
                                        ; implicit-def: $vgpr2
; %bb.125:                              ;   in Loop: Header=BB165_43 Depth=1
	s_andn2_saveexec_b64 s[8:9], s[0:1]
; %bb.126:                              ;   in Loop: Header=BB165_43 Depth=1
	v_or_b32_e32 v3, 0x10000, v2
	v_cmp_eq_u32_sdwa s[0:1], v2, v15 src0_sel:WORD_0 src1_sel:DWORD
	s_nop 1
	v_cndmask_b32_e64 v47, v3, v2, s[0:1]
; %bb.127:                              ;   in Loop: Header=BB165_43 Depth=1
	s_or_b64 exec, exec, s[8:9]
	v_lshlrev_b32_e32 v2, 16, v4
	v_mul_f32_e32 v2, v40, v2
	v_and_b32_e32 v3, 0x7f800000, v2
	v_cmp_ne_u32_e64 s[0:1], s11, v3
                                        ; implicit-def: $vgpr48
	s_and_saveexec_b64 s[8:9], s[0:1]
	s_xor_b64 s[0:1], exec, s[8:9]
; %bb.128:                              ;   in Loop: Header=BB165_43 Depth=1
	v_bfe_u32 v3, v2, 16, 1
	v_add3_u32 v48, v2, v3, s13
                                        ; implicit-def: $vgpr2
; %bb.129:                              ;   in Loop: Header=BB165_43 Depth=1
	s_andn2_saveexec_b64 s[8:9], s[0:1]
; %bb.130:                              ;   in Loop: Header=BB165_43 Depth=1
	v_or_b32_e32 v3, 0x10000, v2
	v_cmp_eq_u32_sdwa s[0:1], v2, v15 src0_sel:WORD_0 src1_sel:DWORD
	s_nop 1
	v_cndmask_b32_e64 v48, v3, v2, s[0:1]
; %bb.131:                              ;   in Loop: Header=BB165_43 Depth=1
	s_or_b64 exec, exec, s[8:9]
	v_lshlrev_b32_e32 v2, 16, v49
	v_mul_f32_e32 v2, v41, v2
	v_and_b32_e32 v3, 0x7f800000, v2
	v_cmp_ne_u32_e64 s[0:1], s11, v3
                                        ; implicit-def: $vgpr49
	s_and_saveexec_b64 s[8:9], s[0:1]
	s_xor_b64 s[0:1], exec, s[8:9]
; %bb.132:                              ;   in Loop: Header=BB165_43 Depth=1
	v_bfe_u32 v3, v2, 16, 1
	v_add3_u32 v49, v2, v3, s13
                                        ; implicit-def: $vgpr2
; %bb.133:                              ;   in Loop: Header=BB165_43 Depth=1
	s_andn2_saveexec_b64 s[8:9], s[0:1]
; %bb.134:                              ;   in Loop: Header=BB165_43 Depth=1
	v_or_b32_e32 v3, 0x10000, v2
	v_cmp_eq_u32_sdwa s[0:1], v2, v15 src0_sel:WORD_0 src1_sel:DWORD
	s_nop 1
	v_cndmask_b32_e64 v49, v3, v2, s[0:1]
; %bb.135:                              ;   in Loop: Header=BB165_43 Depth=1
	s_or_b64 exec, exec, s[8:9]
	v_lshlrev_b32_e32 v2, 16, v5
	v_mul_f32_e32 v2, v42, v2
	v_and_b32_e32 v3, 0x7f800000, v2
	v_cmp_ne_u32_e64 s[0:1], s11, v3
                                        ; implicit-def: $vgpr50
	s_and_saveexec_b64 s[8:9], s[0:1]
	s_xor_b64 s[0:1], exec, s[8:9]
; %bb.136:                              ;   in Loop: Header=BB165_43 Depth=1
	v_bfe_u32 v3, v2, 16, 1
	v_add3_u32 v50, v2, v3, s13
                                        ; implicit-def: $vgpr2
; %bb.137:                              ;   in Loop: Header=BB165_43 Depth=1
	s_andn2_saveexec_b64 s[8:9], s[0:1]
; %bb.138:                              ;   in Loop: Header=BB165_43 Depth=1
	v_or_b32_e32 v3, 0x10000, v2
	v_cmp_eq_u32_sdwa s[0:1], v2, v15 src0_sel:WORD_0 src1_sel:DWORD
	s_nop 1
	v_cndmask_b32_e64 v50, v3, v2, s[0:1]
; %bb.139:                              ;   in Loop: Header=BB165_43 Depth=1
	s_or_b64 exec, exec, s[8:9]
	v_lshlrev_b32_e32 v2, 16, v51
	v_mul_f32_e32 v2, v43, v2
	v_and_b32_e32 v3, 0x7f800000, v2
	v_cmp_ne_u32_e64 s[0:1], s11, v3
                                        ; implicit-def: $vgpr51
	s_and_saveexec_b64 s[8:9], s[0:1]
	s_xor_b64 s[0:1], exec, s[8:9]
; %bb.140:                              ;   in Loop: Header=BB165_43 Depth=1
	v_bfe_u32 v3, v2, 16, 1
	v_add3_u32 v51, v2, v3, s13
                                        ; implicit-def: $vgpr2
; %bb.141:                              ;   in Loop: Header=BB165_43 Depth=1
	s_andn2_saveexec_b64 s[8:9], s[0:1]
; %bb.142:                              ;   in Loop: Header=BB165_43 Depth=1
	v_or_b32_e32 v3, 0x10000, v2
	v_cmp_eq_u32_sdwa s[0:1], v2, v15 src0_sel:WORD_0 src1_sel:DWORD
	s_nop 1
	v_cndmask_b32_e64 v51, v3, v2, s[0:1]
; %bb.143:                              ;   in Loop: Header=BB165_43 Depth=1
	s_or_b64 exec, exec, s[8:9]
	global_load_dwordx4 v[2:5], v[6:7], off offset:2048
	s_waitcnt vmcnt(0)
	v_lshrrev_b32_e32 v7, 16, v2
	v_lshrrev_b32_e32 v53, 16, v3
	;; [unrolled: 1-line block ×4, first 2 shown]
	s_and_saveexec_b64 s[0:1], vcc
	s_cbranch_execz .LBB165_145
; %bb.144:                              ;   in Loop: Header=BB165_43 Depth=1
	v_cmp_gt_i32_e32 vcc, s33, v28
	s_nop 1
	v_cndmask_b32_e32 v2, 0, v2, vcc
	v_cmp_gt_i32_e32 vcc, s33, v34
	s_nop 1
	v_cndmask_b32_e32 v7, 0, v7, vcc
	;; [unrolled: 3-line block ×8, first 2 shown]
.LBB165_145:                            ;   in Loop: Header=BB165_43 Depth=1
	s_or_b64 exec, exec, s[0:1]
	v_lshlrev_b32_e32 v2, 16, v2
	v_mul_f32_e32 v28, v36, v2
	v_and_b32_e32 v2, 0x7f800000, v28
	v_cmp_ne_u32_e32 vcc, s11, v2
                                        ; implicit-def: $vgpr2
	s_and_saveexec_b64 s[0:1], vcc
	s_xor_b64 s[0:1], exec, s[0:1]
; %bb.146:                              ;   in Loop: Header=BB165_43 Depth=1
	v_bfe_u32 v2, v28, 16, 1
	v_add3_u32 v2, v28, v2, s13
                                        ; implicit-def: $vgpr28
; %bb.147:                              ;   in Loop: Header=BB165_43 Depth=1
	s_andn2_saveexec_b64 s[0:1], s[0:1]
; %bb.148:                              ;   in Loop: Header=BB165_43 Depth=1
	v_or_b32_e32 v2, 0x10000, v28
	v_cmp_eq_u32_sdwa vcc, v28, v15 src0_sel:WORD_0 src1_sel:DWORD
	s_nop 1
	v_cndmask_b32_e32 v2, v2, v28, vcc
; %bb.149:                              ;   in Loop: Header=BB165_43 Depth=1
	s_or_b64 exec, exec, s[0:1]
	v_lshlrev_b32_e32 v7, 16, v7
	v_mul_f32_e32 v28, v37, v7
	v_and_b32_e32 v7, 0x7f800000, v28
	v_cmp_ne_u32_e32 vcc, s11, v7
                                        ; implicit-def: $vgpr7
	s_and_saveexec_b64 s[0:1], vcc
	s_xor_b64 s[0:1], exec, s[0:1]
; %bb.150:                              ;   in Loop: Header=BB165_43 Depth=1
	v_bfe_u32 v7, v28, 16, 1
	v_add3_u32 v7, v28, v7, s13
                                        ; implicit-def: $vgpr28
; %bb.151:                              ;   in Loop: Header=BB165_43 Depth=1
	s_andn2_saveexec_b64 s[0:1], s[0:1]
; %bb.152:                              ;   in Loop: Header=BB165_43 Depth=1
	v_or_b32_e32 v7, 0x10000, v28
	v_cmp_eq_u32_sdwa vcc, v28, v15 src0_sel:WORD_0 src1_sel:DWORD
	s_nop 1
	v_cndmask_b32_e32 v7, v7, v28, vcc
; %bb.153:                              ;   in Loop: Header=BB165_43 Depth=1
	s_or_b64 exec, exec, s[0:1]
	v_lshlrev_b32_e32 v3, 16, v3
	v_mul_f32_e32 v28, v38, v3
	v_and_b32_e32 v3, 0x7f800000, v28
	v_cmp_ne_u32_e32 vcc, s11, v3
                                        ; implicit-def: $vgpr3
	s_and_saveexec_b64 s[0:1], vcc
	s_xor_b64 s[0:1], exec, s[0:1]
; %bb.154:                              ;   in Loop: Header=BB165_43 Depth=1
	v_bfe_u32 v3, v28, 16, 1
	v_add3_u32 v3, v28, v3, s13
                                        ; implicit-def: $vgpr28
; %bb.155:                              ;   in Loop: Header=BB165_43 Depth=1
	s_andn2_saveexec_b64 s[0:1], s[0:1]
; %bb.156:                              ;   in Loop: Header=BB165_43 Depth=1
	v_or_b32_e32 v3, 0x10000, v28
	v_cmp_eq_u32_sdwa vcc, v28, v15 src0_sel:WORD_0 src1_sel:DWORD
	s_nop 1
	v_cndmask_b32_e32 v3, v3, v28, vcc
; %bb.157:                              ;   in Loop: Header=BB165_43 Depth=1
	s_or_b64 exec, exec, s[0:1]
	v_lshlrev_b32_e32 v28, 16, v53
	v_mul_f32_e32 v29, v39, v28
	v_and_b32_e32 v28, 0x7f800000, v29
	v_cmp_ne_u32_e32 vcc, s11, v28
                                        ; implicit-def: $vgpr28
	s_and_saveexec_b64 s[0:1], vcc
	s_xor_b64 s[0:1], exec, s[0:1]
; %bb.158:                              ;   in Loop: Header=BB165_43 Depth=1
	v_bfe_u32 v28, v29, 16, 1
	v_add3_u32 v28, v29, v28, s13
                                        ; implicit-def: $vgpr29
; %bb.159:                              ;   in Loop: Header=BB165_43 Depth=1
	s_andn2_saveexec_b64 s[0:1], s[0:1]
; %bb.160:                              ;   in Loop: Header=BB165_43 Depth=1
	v_or_b32_e32 v28, 0x10000, v29
	v_cmp_eq_u32_sdwa vcc, v29, v15 src0_sel:WORD_0 src1_sel:DWORD
	s_nop 1
	v_cndmask_b32_e32 v28, v28, v29, vcc
; %bb.161:                              ;   in Loop: Header=BB165_43 Depth=1
	s_or_b64 exec, exec, s[0:1]
	v_lshlrev_b32_e32 v4, 16, v4
	v_mul_f32_e32 v29, v40, v4
	v_and_b32_e32 v4, 0x7f800000, v29
	v_cmp_ne_u32_e32 vcc, s11, v4
                                        ; implicit-def: $vgpr4
	s_and_saveexec_b64 s[0:1], vcc
	s_xor_b64 s[0:1], exec, s[0:1]
; %bb.162:                              ;   in Loop: Header=BB165_43 Depth=1
	v_bfe_u32 v4, v29, 16, 1
	v_add3_u32 v4, v29, v4, s13
                                        ; implicit-def: $vgpr29
; %bb.163:                              ;   in Loop: Header=BB165_43 Depth=1
	s_andn2_saveexec_b64 s[0:1], s[0:1]
; %bb.164:                              ;   in Loop: Header=BB165_43 Depth=1
	v_or_b32_e32 v4, 0x10000, v29
	v_cmp_eq_u32_sdwa vcc, v29, v15 src0_sel:WORD_0 src1_sel:DWORD
	s_nop 1
	v_cndmask_b32_e32 v4, v4, v29, vcc
; %bb.165:                              ;   in Loop: Header=BB165_43 Depth=1
	s_or_b64 exec, exec, s[0:1]
	v_lshlrev_b32_e32 v29, 16, v52
	v_mul_f32_e32 v30, v41, v29
	v_and_b32_e32 v29, 0x7f800000, v30
	v_cmp_ne_u32_e32 vcc, s11, v29
                                        ; implicit-def: $vgpr29
	s_and_saveexec_b64 s[0:1], vcc
	s_xor_b64 s[0:1], exec, s[0:1]
; %bb.166:                              ;   in Loop: Header=BB165_43 Depth=1
	v_bfe_u32 v29, v30, 16, 1
	v_add3_u32 v29, v30, v29, s13
                                        ; implicit-def: $vgpr30
; %bb.167:                              ;   in Loop: Header=BB165_43 Depth=1
	s_andn2_saveexec_b64 s[0:1], s[0:1]
; %bb.168:                              ;   in Loop: Header=BB165_43 Depth=1
	v_or_b32_e32 v29, 0x10000, v30
	v_cmp_eq_u32_sdwa vcc, v30, v15 src0_sel:WORD_0 src1_sel:DWORD
	s_nop 1
	v_cndmask_b32_e32 v29, v29, v30, vcc
; %bb.169:                              ;   in Loop: Header=BB165_43 Depth=1
	s_or_b64 exec, exec, s[0:1]
	v_lshlrev_b32_e32 v5, 16, v5
	v_mul_f32_e32 v30, v42, v5
	v_and_b32_e32 v5, 0x7f800000, v30
	v_cmp_ne_u32_e32 vcc, s11, v5
                                        ; implicit-def: $vgpr5
	s_and_saveexec_b64 s[0:1], vcc
	s_xor_b64 s[0:1], exec, s[0:1]
; %bb.170:                              ;   in Loop: Header=BB165_43 Depth=1
	v_bfe_u32 v5, v30, 16, 1
	v_add3_u32 v5, v30, v5, s13
                                        ; implicit-def: $vgpr30
; %bb.171:                              ;   in Loop: Header=BB165_43 Depth=1
	s_andn2_saveexec_b64 s[0:1], s[0:1]
; %bb.172:                              ;   in Loop: Header=BB165_43 Depth=1
	v_or_b32_e32 v5, 0x10000, v30
	v_cmp_eq_u32_sdwa vcc, v30, v15 src0_sel:WORD_0 src1_sel:DWORD
	s_nop 1
	v_cndmask_b32_e32 v5, v5, v30, vcc
; %bb.173:                              ;   in Loop: Header=BB165_43 Depth=1
	s_or_b64 exec, exec, s[0:1]
	v_lshlrev_b32_e32 v6, 16, v6
	v_mul_f32_e32 v30, v43, v6
	v_and_b32_e32 v6, 0x7f800000, v30
	v_cmp_ne_u32_e32 vcc, s11, v6
                                        ; implicit-def: $vgpr6
	s_and_saveexec_b64 s[0:1], vcc
	s_xor_b64 s[0:1], exec, s[0:1]
; %bb.174:                              ;   in Loop: Header=BB165_43 Depth=1
	v_bfe_u32 v6, v30, 16, 1
	v_add3_u32 v6, v30, v6, s13
                                        ; implicit-def: $vgpr30
; %bb.175:                              ;   in Loop: Header=BB165_43 Depth=1
	s_andn2_saveexec_b64 s[0:1], s[0:1]
	s_cbranch_execz .LBB165_42
; %bb.176:                              ;   in Loop: Header=BB165_43 Depth=1
	v_or_b32_e32 v6, 0x10000, v30
	v_cmp_eq_u32_sdwa vcc, v30, v15 src0_sel:WORD_0 src1_sel:DWORD
	s_nop 1
	v_cndmask_b32_e32 v6, v6, v30, vcc
	s_branch .LBB165_42
.LBB165_177:
	s_or_b64 exec, exec, s[6:7]
.LBB165_178:
	s_or_b64 exec, exec, s[2:3]
	ds_bpermute_b32 v2, v20, v12
	ds_bpermute_b32 v3, v20, v13
	;; [unrolled: 1-line block ×3, first 2 shown]
	s_waitcnt lgkmcnt(0)
	s_barrier
	v_pk_add_f32 v[4:5], v[12:13], v[2:3]
	v_and_b32_e32 v3, 0x3c1, v0
	v_add_f32_e32 v2, v14, v6
	v_cmp_eq_u32_e32 vcc, 64, v3
	s_and_saveexec_b64 s[0:1], vcc
	s_cbranch_execz .LBB165_180
; %bb.179:
	v_mov_b32_e32 v3, 0xd0
	v_lshl_add_u32 v1, v1, 1, v3
	ds_write2_b32 v1, v4, v5 offset1:32
	ds_write_b32 v1, v2 offset:256
.LBB165_180:
	s_or_b64 exec, exec, s[0:1]
	v_cmp_gt_u32_e32 vcc, 64, v0
	v_cmp_lt_u32_e64 s[0:1], 63, v0
	s_waitcnt lgkmcnt(0)
	s_barrier
	s_and_saveexec_b64 s[2:3], s[0:1]
	s_xor_b64 s[0:1], exec, s[2:3]
	s_andn2_saveexec_b64 s[2:3], s[0:1]
	s_cbranch_execz .LBB165_186
; %bb.181:
	v_cmp_eq_u32_e64 s[0:1], 0, v21
	v_lshrrev_b32_e32 v1, 1, v0
	s_and_saveexec_b64 s[6:7], s[0:1]
	s_cbranch_execnz .LBB165_202
; %bb.182:
	s_or_b64 exec, exec, s[6:7]
	s_and_saveexec_b64 s[6:7], s[0:1]
	s_cbranch_execnz .LBB165_203
.LBB165_183:
	s_or_b64 exec, exec, s[6:7]
	s_and_saveexec_b64 s[6:7], s[0:1]
	s_cbranch_execz .LBB165_185
.LBB165_184:
	v_mov_b32_e32 v3, 0xd0
	v_lshl_add_u32 v1, v1, 2, v3
	ds_read_b32 v1, v1 offset:256
	s_waitcnt lgkmcnt(0)
	v_add_f32_e32 v2, v2, v1
.LBB165_185:
	s_or_b64 exec, exec, s[6:7]
.LBB165_186:
	s_or_b64 exec, exec, s[2:3]
	s_barrier
	s_and_saveexec_b64 s[0:1], vcc
	s_cbranch_execz .LBB165_201
; %bb.187:
	v_cmp_eq_u32_e32 vcc, 0, v21
	s_and_b64 exec, exec, vcc
	s_cbranch_execz .LBB165_201
; %bb.188:
	s_mov_b32 s0, 0x7f800000
	v_and_b32_e32 v1, 0x7f800000, v4
	v_cmp_ne_u32_e32 vcc, s0, v1
                                        ; implicit-def: $vgpr3
	s_and_saveexec_b64 s[0:1], vcc
	s_xor_b64 s[0:1], exec, s[0:1]
; %bb.189:
	v_bfe_u32 v1, v4, 16, 1
	s_movk_i32 s2, 0x7fff
	v_add3_u32 v3, v4, v1, s2
; %bb.190:
	s_andn2_saveexec_b64 s[0:1], s[0:1]
; %bb.191:
	v_mov_b32_e32 v1, 0
	v_or_b32_e32 v3, 0x10000, v4
	v_cmp_eq_u32_sdwa vcc, v4, v1 src0_sel:WORD_0 src1_sel:DWORD
	s_nop 1
	v_cndmask_b32_e32 v3, v3, v4, vcc
; %bb.192:
	s_or_b64 exec, exec, s[0:1]
	s_mul_i32 s0, s12, s20
	s_mul_i32 s0, s0, s21
	s_mulk_i32 s0, 0x60
	s_ashr_i32 s1, s0, 31
	s_lshl_b64 s[0:1], s[0:1], 1
	s_add_u32 s2, s24, s0
	s_mul_i32 s0, s12, s22
	s_addc_u32 s3, s25, s1
	s_ashr_i32 s1, s0, 31
	s_lshl_b64 s[0:1], s[0:1], 1
	s_add_u32 s2, s2, s0
	s_mul_i32 s0, s4, 0x60
	s_addc_u32 s3, s3, s1
	s_ashr_i32 s1, s0, 31
	s_lshl_b64 s[0:1], s[0:1], 1
	s_add_u32 s0, s2, s0
	s_addc_u32 s1, s3, s1
	v_and_b32_e32 v0, 0x3fe, v0
	global_store_short_d16_hi v0, v3, s[0:1]
	s_mov_b32 s2, 0x7f800000
	v_and_b32_e32 v3, 0x7f800000, v5
	v_mov_b32_e32 v1, 0
	v_cmp_ne_u32_e32 vcc, s2, v3
                                        ; implicit-def: $vgpr3
	s_and_saveexec_b64 s[2:3], vcc
	s_xor_b64 s[2:3], exec, s[2:3]
; %bb.193:
	v_bfe_u32 v3, v5, 16, 1
	s_movk_i32 s4, 0x7fff
	v_add3_u32 v3, v5, v3, s4
                                        ; implicit-def: $vgpr4_vgpr5_vgpr6
; %bb.194:
	s_or_saveexec_b64 s[2:3], s[2:3]
	v_lshl_add_u64 v[0:1], s[0:1], 0, v[0:1]
	s_xor_b64 exec, exec, s[2:3]
; %bb.195:
	v_mov_b32_e32 v3, 0
	v_or_b32_e32 v4, 0x10000, v5
	v_cmp_eq_u32_sdwa vcc, v5, v3 src0_sel:WORD_0 src1_sel:DWORD
	s_nop 1
	v_cndmask_b32_e32 v3, v4, v5, vcc
; %bb.196:
	s_or_b64 exec, exec, s[2:3]
	global_store_short_d16_hi v[0:1], v3, off offset:64
	s_mov_b32 s0, 0x7f800000
	v_and_b32_e32 v3, 0x7f800000, v2
	v_cmp_ne_u32_e32 vcc, s0, v3
                                        ; implicit-def: $vgpr3
	s_and_saveexec_b64 s[0:1], vcc
	s_xor_b64 s[0:1], exec, s[0:1]
; %bb.197:
	v_bfe_u32 v3, v2, 16, 1
	s_movk_i32 s2, 0x7fff
	v_add3_u32 v3, v2, v3, s2
                                        ; implicit-def: $vgpr2
; %bb.198:
	s_andn2_saveexec_b64 s[0:1], s[0:1]
; %bb.199:
	v_mov_b32_e32 v3, 0
	v_or_b32_e32 v4, 0x10000, v2
	v_cmp_eq_u32_sdwa vcc, v2, v3 src0_sel:WORD_0 src1_sel:DWORD
	s_nop 1
	v_cndmask_b32_e32 v3, v4, v2, vcc
; %bb.200:
	s_or_b64 exec, exec, s[0:1]
	global_store_short_d16_hi v[0:1], v3, off offset:128
.LBB165_201:
	s_endpgm
.LBB165_202:
	v_mov_b32_e32 v3, 0xd0
	v_lshl_add_u32 v3, v1, 2, v3
	ds_read_b32 v3, v3
	s_waitcnt lgkmcnt(0)
	v_add_f32_e32 v4, v4, v3
	s_or_b64 exec, exec, s[6:7]
	s_and_saveexec_b64 s[6:7], s[0:1]
	s_cbranch_execz .LBB165_183
.LBB165_203:
	v_mov_b32_e32 v3, 0xd0
	v_lshl_add_u32 v3, v1, 2, v3
	ds_read_b32 v3, v3 offset:128
	s_waitcnt lgkmcnt(0)
	v_add_f32_e32 v5, v5, v3
	s_or_b64 exec, exec, s[6:7]
	s_and_saveexec_b64 s[6:7], s[0:1]
	s_cbranch_execnz .LBB165_184
	s_branch .LBB165_185
	.section	.rodata,"a",@progbits
	.p2align	6, 0x0
	.amdhsa_kernel _ZN4vllm25paged_attention_v2_kernelI14__hip_bfloat16S1_Li96ELi16ELi128ELNS_18Fp8KVCacheDataTypeE0ELb0ELi512EEEvPfS3_PT_PKS4_PKT0_SA_ifPKiSC_iPKfiiiSE_SE_iiiii
		.amdhsa_group_segment_fixed_size 208
		.amdhsa_private_segment_fixed_size 0
		.amdhsa_kernarg_size 400
		.amdhsa_user_sgpr_count 2
		.amdhsa_user_sgpr_dispatch_ptr 0
		.amdhsa_user_sgpr_queue_ptr 0
		.amdhsa_user_sgpr_kernarg_segment_ptr 1
		.amdhsa_user_sgpr_dispatch_id 0
		.amdhsa_user_sgpr_kernarg_preload_length 0
		.amdhsa_user_sgpr_kernarg_preload_offset 0
		.amdhsa_user_sgpr_private_segment_size 0
		.amdhsa_uses_dynamic_stack 0
		.amdhsa_enable_private_segment 0
		.amdhsa_system_sgpr_workgroup_id_x 1
		.amdhsa_system_sgpr_workgroup_id_y 1
		.amdhsa_system_sgpr_workgroup_id_z 1
		.amdhsa_system_sgpr_workgroup_info 0
		.amdhsa_system_vgpr_workitem_id 0
		.amdhsa_next_free_vgpr 64
		.amdhsa_next_free_sgpr 42
		.amdhsa_accum_offset 64
		.amdhsa_reserve_vcc 1
		.amdhsa_float_round_mode_32 0
		.amdhsa_float_round_mode_16_64 0
		.amdhsa_float_denorm_mode_32 3
		.amdhsa_float_denorm_mode_16_64 3
		.amdhsa_dx10_clamp 1
		.amdhsa_ieee_mode 1
		.amdhsa_fp16_overflow 0
		.amdhsa_tg_split 0
		.amdhsa_exception_fp_ieee_invalid_op 0
		.amdhsa_exception_fp_denorm_src 0
		.amdhsa_exception_fp_ieee_div_zero 0
		.amdhsa_exception_fp_ieee_overflow 0
		.amdhsa_exception_fp_ieee_underflow 0
		.amdhsa_exception_fp_ieee_inexact 0
		.amdhsa_exception_int_div_zero 0
	.end_amdhsa_kernel
	.section	.text._ZN4vllm25paged_attention_v2_kernelI14__hip_bfloat16S1_Li96ELi16ELi128ELNS_18Fp8KVCacheDataTypeE0ELb0ELi512EEEvPfS3_PT_PKS4_PKT0_SA_ifPKiSC_iPKfiiiSE_SE_iiiii,"axG",@progbits,_ZN4vllm25paged_attention_v2_kernelI14__hip_bfloat16S1_Li96ELi16ELi128ELNS_18Fp8KVCacheDataTypeE0ELb0ELi512EEEvPfS3_PT_PKS4_PKT0_SA_ifPKiSC_iPKfiiiSE_SE_iiiii,comdat
.Lfunc_end165:
	.size	_ZN4vllm25paged_attention_v2_kernelI14__hip_bfloat16S1_Li96ELi16ELi128ELNS_18Fp8KVCacheDataTypeE0ELb0ELi512EEEvPfS3_PT_PKS4_PKT0_SA_ifPKiSC_iPKfiiiSE_SE_iiiii, .Lfunc_end165-_ZN4vllm25paged_attention_v2_kernelI14__hip_bfloat16S1_Li96ELi16ELi128ELNS_18Fp8KVCacheDataTypeE0ELb0ELi512EEEvPfS3_PT_PKS4_PKT0_SA_ifPKiSC_iPKfiiiSE_SE_iiiii
                                        ; -- End function
	.section	.AMDGPU.csdata,"",@progbits
; Kernel info:
; codeLenInByte = 7496
; NumSgprs: 48
; NumVgprs: 64
; NumAgprs: 0
; TotalNumVgprs: 64
; ScratchSize: 0
; MemoryBound: 0
; FloatMode: 240
; IeeeMode: 1
; LDSByteSize: 208 bytes/workgroup (compile time only)
; SGPRBlocks: 5
; VGPRBlocks: 7
; NumSGPRsForWavesPerEU: 48
; NumVGPRsForWavesPerEU: 64
; AccumOffset: 64
; Occupancy: 8
; WaveLimiterHint : 1
; COMPUTE_PGM_RSRC2:SCRATCH_EN: 0
; COMPUTE_PGM_RSRC2:USER_SGPR: 2
; COMPUTE_PGM_RSRC2:TRAP_HANDLER: 0
; COMPUTE_PGM_RSRC2:TGID_X_EN: 1
; COMPUTE_PGM_RSRC2:TGID_Y_EN: 1
; COMPUTE_PGM_RSRC2:TGID_Z_EN: 1
; COMPUTE_PGM_RSRC2:TIDIG_COMP_CNT: 0
; COMPUTE_PGM_RSRC3_GFX90A:ACCUM_OFFSET: 15
; COMPUTE_PGM_RSRC3_GFX90A:TG_SPLIT: 0
	.section	.text._ZN4vllm25paged_attention_v2_kernelI14__hip_bfloat16S1_Li112ELi16ELi128ELNS_18Fp8KVCacheDataTypeE0ELb0ELi512EEEvPfS3_PT_PKS4_PKT0_SA_ifPKiSC_iPKfiiiSE_SE_iiiii,"axG",@progbits,_ZN4vllm25paged_attention_v2_kernelI14__hip_bfloat16S1_Li112ELi16ELi128ELNS_18Fp8KVCacheDataTypeE0ELb0ELi512EEEvPfS3_PT_PKS4_PKT0_SA_ifPKiSC_iPKfiiiSE_SE_iiiii,comdat
	.protected	_ZN4vllm25paged_attention_v2_kernelI14__hip_bfloat16S1_Li112ELi16ELi128ELNS_18Fp8KVCacheDataTypeE0ELb0ELi512EEEvPfS3_PT_PKS4_PKT0_SA_ifPKiSC_iPKfiiiSE_SE_iiiii ; -- Begin function _ZN4vllm25paged_attention_v2_kernelI14__hip_bfloat16S1_Li112ELi16ELi128ELNS_18Fp8KVCacheDataTypeE0ELb0ELi512EEEvPfS3_PT_PKS4_PKT0_SA_ifPKiSC_iPKfiiiSE_SE_iiiii
	.globl	_ZN4vllm25paged_attention_v2_kernelI14__hip_bfloat16S1_Li112ELi16ELi128ELNS_18Fp8KVCacheDataTypeE0ELb0ELi512EEEvPfS3_PT_PKS4_PKT0_SA_ifPKiSC_iPKfiiiSE_SE_iiiii
	.p2align	8
	.type	_ZN4vllm25paged_attention_v2_kernelI14__hip_bfloat16S1_Li112ELi16ELi128ELNS_18Fp8KVCacheDataTypeE0ELb0ELi512EEEvPfS3_PT_PKS4_PKT0_SA_ifPKiSC_iPKfiiiSE_SE_iiiii,@function
_ZN4vllm25paged_attention_v2_kernelI14__hip_bfloat16S1_Li112ELi16ELi128ELNS_18Fp8KVCacheDataTypeE0ELb0ELi512EEEvPfS3_PT_PKS4_PKT0_SA_ifPKiSC_iPKfiiiSE_SE_iiiii: ; @_ZN4vllm25paged_attention_v2_kernelI14__hip_bfloat16S1_Li112ELi16ELi128ELNS_18Fp8KVCacheDataTypeE0ELb0ELi512EEEvPfS3_PT_PKS4_PKT0_SA_ifPKiSC_iPKfiiiSE_SE_iiiii
; %bb.0:
	s_load_dwordx2 s[6:7], s[0:1], 0x40
	s_mov_b32 s24, s3
	s_ashr_i32 s25, s3, 31
	s_lshl_b64 s[8:9], s[24:25], 2
	s_waitcnt lgkmcnt(0)
	s_add_u32 s6, s6, s8
	s_addc_u32 s7, s7, s9
	s_load_dword s25, s[6:7], 0x0
	s_lshl_b32 s40, s4, 9
	s_waitcnt lgkmcnt(0)
	s_cmp_ge_i32 s40, s25
	s_cbranch_scc1 .LBB166_248
; %bb.1:
	s_load_dword s5, s[0:1], 0x90
	s_load_dwordx2 s[10:11], s[0:1], 0x30
	s_mov_b32 s41, 0
	s_waitcnt lgkmcnt(0)
	s_abs_i32 s7, s5
	s_abs_i32 s3, s10
	v_cvt_f32_u32_e32 v1, s3
	s_sub_i32 s8, 0, s3
	s_xor_b32 s6, s5, s10
	s_ashr_i32 s6, s6, 31
	v_rcp_iflag_f32_e32 v1, v1
	s_nop 0
	v_mul_f32_e32 v1, 0x4f7ffffe, v1
	v_cvt_u32_f32_e32 v1, v1
	s_nop 0
	v_readfirstlane_b32 s9, v1
	s_mul_i32 s8, s8, s9
	s_mul_hi_u32 s8, s9, s8
	s_add_i32 s9, s9, s8
	s_mul_hi_u32 s8, s7, s9
	s_mul_i32 s9, s8, s3
	s_sub_i32 s7, s7, s9
	s_add_i32 s10, s8, 1
	s_sub_i32 s9, s7, s3
	s_cmp_ge_u32 s7, s3
	s_cselect_b32 s8, s10, s8
	s_cselect_b32 s7, s9, s7
	s_add_i32 s9, s8, 1
	s_cmp_ge_u32 s7, s3
	s_cselect_b32 s3, s9, s8
	s_xor_b32 s3, s3, s6
	s_sub_i32 s10, s3, s6
	s_abs_i32 s8, s10
	v_cvt_f32_u32_e32 v1, s8
	s_load_dwordx2 s[6:7], s[0:1], 0x50
	s_sub_i32 s3, 0, s8
	s_abs_i32 s9, s2
	v_rcp_iflag_f32_e32 v1, v1
	s_nop 0
	v_mul_f32_e32 v1, 0x4f7ffffe, v1
	v_cvt_u32_f32_e32 v1, v1
	s_nop 0
	v_readfirstlane_b32 s12, v1
	s_mul_i32 s3, s3, s12
	s_mul_hi_u32 s3, s12, s3
	s_add_i32 s12, s12, s3
	s_waitcnt lgkmcnt(0)
	s_cmp_eq_u64 s[6:7], 0
	s_mul_hi_u32 s16, s9, s12
	s_cbranch_scc1 .LBB166_3
; %bb.2:
	s_ashr_i32 s3, s2, 31
	s_lshl_b64 s[12:13], s[2:3], 2
	s_add_u32 s6, s6, s12
	s_addc_u32 s7, s7, s13
	s_load_dword s41, s[6:7], 0x0
.LBB166_3:
	s_load_dwordx4 s[12:15], s[0:1], 0x58
	s_ashr_i32 s17, s2, 31
	s_waitcnt lgkmcnt(0)
	s_ashr_i32 s15, s10, 31
	v_and_b32_e32 v4, 3, v0
	s_mul_i32 s20, s2, 0x70
	v_cmp_gt_u32_e32 vcc, 56, v0
	s_and_saveexec_b64 s[6:7], vcc
	s_cbranch_execz .LBB166_5
; %bb.4:
	s_load_dwordx2 s[18:19], s[0:1], 0x18
	s_mul_i32 s22, s24, s12
	s_ashr_i32 s23, s22, 31
	s_lshl_b64 s[22:23], s[22:23], 1
	v_lshlrev_b32_e32 v1, 2, v0
	s_waitcnt lgkmcnt(0)
	s_add_u32 s3, s18, s22
	s_addc_u32 s10, s19, s23
	s_ashr_i32 s21, s20, 31
	s_lshl_b64 s[18:19], s[20:21], 1
	s_add_u32 s18, s3, s18
	s_addc_u32 s19, s10, s19
	global_load_dword v1, v1, s[18:19]
	v_and_b32_e32 v2, 0x3fc, v0
	v_mad_u32_u24 v2, v4, 56, v2
	s_waitcnt vmcnt(0)
	ds_write_b32 v2, v1
.LBB166_5:
	s_or_b64 exec, exec, s[6:7]
	s_add_i32 s3, s25, 15
	s_ashr_i32 s6, s3, 31
	s_lshr_b32 s6, s6, 28
	s_add_i32 s3, s3, s6
	s_lshl_b32 s10, s4, 5
	s_mul_i32 s7, s16, s8
	s_ashr_i32 s3, s3, 4
	s_add_i32 s6, s10, 32
	s_sub_i32 s7, s9, s7
	s_min_i32 s33, s6, s3
	s_xor_b32 s6, s17, s15
	s_add_i32 s9, s16, 1
	s_sub_i32 s12, s7, s8
	s_cmp_ge_u32 s7, s8
	s_cselect_b32 s9, s9, s16
	s_cselect_b32 s7, s12, s7
	s_add_i32 s12, s9, 1
	s_cmp_ge_u32 s7, s8
	s_load_dwordx2 s[26:27], s[0:1], 0x38
	s_load_dword s8, s[0:1], 0x48
	v_lshrrev_b32_e32 v6, 6, v0
	s_cselect_b32 s7, s12, s9
	s_xor_b32 s7, s7, s6
	v_or_b32_e32 v10, s10, v6
	s_waitcnt lgkmcnt(0)
	s_mul_i32 s28, s24, s8
	s_sub_i32 s12, s7, s6
	s_ashr_i32 s29, s28, 31
	v_cmp_gt_i32_e64 s[8:9], s33, v10
	v_cmp_le_i32_e32 vcc, s33, v10
	v_mbcnt_lo_u32_b32 v5, -1, 0
	s_barrier
	s_waitcnt lgkmcnt(0)
                                        ; implicit-def: $sgpr15
                                        ; implicit-def: $vgpr7
                                        ; implicit-def: $vgpr8
	s_and_saveexec_b64 s[6:7], vcc
	s_xor_b64 s[6:7], exec, s[6:7]
; %bb.6:
	v_mbcnt_hi_u32_b32 v7, -1, v5
	v_and_b32_e32 v1, 64, v7
	v_add_u32_e32 v8, 64, v1
	s_mov_b32 s15, 0xff7fffff
                                        ; implicit-def: $vgpr4
                                        ; implicit-def: $vgpr5
; %bb.7:
	s_or_saveexec_b64 s[34:35], s[6:7]
	s_load_dwordx4 s[16:19], s[0:1], 0x0
	s_load_dwordx2 s[22:23], s[0:1], 0x10
	s_load_dwordx2 s[30:31], s[0:1], 0x28
	s_load_dword s21, s[0:1], 0x98
	v_mov_b32_e32 v35, s15
	s_mul_i32 s14, s12, s14
	v_ashrrev_i32_e32 v11, 31, v10
	s_xor_b64 exec, exec, s[34:35]
	s_cbranch_execz .LBB166_13
; %bb.8:
	s_load_dwordx2 s[0:1], s[0:1], 0x20
	s_ashr_i32 s15, s14, 31
	s_lshl_b64 s[6:7], s[14:15], 1
	v_bfe_u32 v35, v0, 2, 4
	v_mul_u32_u24_e32 v7, 56, v4
	s_waitcnt lgkmcnt(0)
	s_add_u32 s0, s0, s6
	s_addc_u32 s1, s1, s7
	v_lshlrev_b32_e32 v2, 4, v35
	v_mov_b32_e32 v3, 0
	ds_read2_b64 v[14:17], v7 offset1:1
	ds_read2_b64 v[22:25], v7 offset0:2 offset1:3
	v_lshlrev_b32_e32 v1, 2, v0
	ds_read2_b64 v[30:33], v7 offset0:4 offset1:5
	ds_read_b64 v[38:39], v7 offset:48
	v_mbcnt_hi_u32_b32 v7, -1, v5
	v_lshl_add_u64 v[8:9], s[0:1], 0, v[2:3]
	v_and_b32_e32 v2, 12, v1
	v_and_b32_e32 v5, 64, v7
	v_lshl_add_u64 v[2:3], v[8:9], 0, v[2:3]
	v_add_u32_e32 v8, 64, v5
	v_xor_b32_e32 v5, 2, v7
	v_cmp_lt_i32_e32 vcc, v5, v8
	s_waitcnt lgkmcnt(0)
	v_lshlrev_b32_e32 v34, 16, v38
	v_and_b32_e32 v36, 0xffff0000, v38
	v_cndmask_b32_e32 v5, v7, v5, vcc
	v_lshlrev_b32_e32 v37, 16, v39
	v_and_b32_e32 v38, 0xffff0000, v39
	v_lshlrev_b32_e32 v39, 2, v5
	v_xor_b32_e32 v5, 1, v7
	v_cmp_lt_i32_e32 vcc, v5, v8
	s_sub_i32 s15, 1, s25
	s_lshl_b64 s[0:1], s[28:29], 2
	v_cndmask_b32_e32 v5, v7, v5, vcc
	v_cmp_eq_u32_e32 vcc, 0, v4
	v_lshlrev_b32_e32 v4, 4, v6
	v_add3_u32 v41, s40, v4, v35
	v_lshlrev_b32_e32 v4, 2, v35
	s_add_u32 s0, s26, s0
	v_lshl_or_b32 v4, v6, 6, v4
	s_addc_u32 s1, s27, s1
	s_mov_b32 s12, s13
	v_lshlrev_b32_e32 v1, 16, v14
	v_and_b32_e32 v9, 0xffff0000, v14
	v_lshlrev_b32_e32 v12, 16, v15
	v_and_b32_e32 v13, 0xffff0000, v15
	;; [unrolled: 2-line block ×12, first 2 shown]
	v_lshlrev_b32_e32 v40, 2, v5
	v_cmp_neq_f32_e64 s[6:7], s41, 0
	v_add_u32_e32 v42, 0xf0, v4
	v_lshl_add_u64 v[4:5], v[10:11], 2, s[0:1]
	s_mov_b64 s[36:37], 0
	v_mov_b32_e32 v35, 0xff7fffff
	v_mov_b32_e32 v43, v10
	s_branch .LBB166_10
.LBB166_9:                              ;   in Loop: Header=BB166_10 Depth=1
	s_or_b64 exec, exec, s[38:39]
	v_add_u32_e32 v43, 2, v43
	v_cmp_le_i32_e64 s[0:1], s33, v43
	v_add_u32_e32 v41, 32, v41
	v_add_u32_e32 v42, 0x80, v42
	s_or_b64 s[36:37], s[0:1], s[36:37]
	v_lshl_add_u64 v[4:5], v[4:5], 0, 8
	s_andn2_b64 exec, exec, s[36:37]
	s_cbranch_execz .LBB166_12
.LBB166_10:                             ; =>This Inner Loop Header: Depth=1
	global_load_dword v44, v[4:5], off
	s_waitcnt vmcnt(0) lgkmcnt(0)
	v_mad_i64_i32 v[44:45], s[0:1], v44, s12, 0
	v_lshl_add_u64 v[44:45], v[44:45], 1, v[2:3]
	global_load_dword v46, v[44:45], off
	global_load_dword v47, v[44:45], off offset:256
	global_load_dword v48, v[44:45], off offset:512
	;; [unrolled: 1-line block ×13, first 2 shown]
	s_waitcnt vmcnt(13)
	v_lshlrev_b32_e32 v44, 16, v46
	v_and_b32_e32 v45, 0xffff0000, v46
	s_waitcnt vmcnt(12)
	v_lshlrev_b32_e32 v46, 16, v47
	v_and_b32_e32 v47, 0xffff0000, v47
	v_mul_f32_e32 v46, v12, v46
	v_mul_f32_e32 v47, v13, v47
	s_waitcnt vmcnt(11)
	v_lshlrev_b32_e32 v60, 16, v48
	v_and_b32_e32 v48, 0xffff0000, v48
	v_fmac_f32_e32 v46, v1, v44
	v_fmac_f32_e32 v47, v9, v45
	s_waitcnt vmcnt(10)
	v_lshlrev_b32_e32 v61, 16, v49
	v_and_b32_e32 v49, 0xffff0000, v49
	v_fmac_f32_e32 v46, v14, v60
	v_fmac_f32_e32 v47, v15, v48
	;; [unrolled: 5-line block ×12, first 2 shown]
	v_fmac_f32_e32 v46, v37, v44
	v_fmac_f32_e32 v47, v38, v59
	v_add_f32_e32 v44, v46, v47
	ds_bpermute_b32 v45, v39, v44
	s_waitcnt lgkmcnt(0)
	v_add_f32_e32 v44, v44, v45
	ds_bpermute_b32 v45, v40, v44
	s_and_saveexec_b64 s[38:39], vcc
	s_cbranch_execz .LBB166_9
; %bb.11:                               ;   in Loop: Header=BB166_10 Depth=1
	v_add_u32_e32 v46, s15, v41
	v_cvt_f32_i32_e32 v46, v46
	s_waitcnt lgkmcnt(0)
	v_add_f32_e32 v44, v44, v45
	v_cmp_gt_i32_e64 s[0:1], s25, v41
	v_max_f32_e32 v45, v35, v35
	v_mul_f32_e32 v46, s41, v46
	v_cndmask_b32_e64 v46, 0, v46, s[6:7]
	v_fmac_f32_e32 v46, s11, v44
	v_cndmask_b32_e64 v44, 0, v46, s[0:1]
	ds_write_b32 v42, v44
	v_max_f32_e32 v44, v45, v46
	v_cndmask_b32_e64 v35, v35, v44, s[0:1]
	s_branch .LBB166_9
.LBB166_12:
	s_or_b64 exec, exec, s[36:37]
.LBB166_13:
	s_or_b64 exec, exec, s[34:35]
	v_xor_b32_e32 v1, 32, v7
	v_cmp_lt_i32_e32 vcc, v1, v8
	v_xor_b32_e32 v4, 16, v7
	v_max_f32_e32 v3, v35, v35
	v_cndmask_b32_e32 v1, v7, v1, vcc
	v_lshlrev_b32_e32 v2, 2, v1
	ds_bpermute_b32 v1, v2, v35
	v_cmp_lt_i32_e32 vcc, v4, v8
	v_xor_b32_e32 v5, 8, v7
	v_lshlrev_b32_e32 v9, 2, v6
	s_waitcnt lgkmcnt(0)
	v_max_f32_e32 v1, v1, v1
	v_max_f32_e32 v1, v3, v1
	v_cndmask_b32_e32 v3, v7, v4, vcc
	v_lshlrev_b32_e32 v3, 2, v3
	ds_bpermute_b32 v4, v3, v1
	v_cmp_lt_i32_e32 vcc, v5, v8
	s_waitcnt lgkmcnt(0)
	v_max_f32_e32 v4, v4, v4
	v_max_f32_e32 v1, v1, v4
	v_cndmask_b32_e32 v4, v7, v5, vcc
	v_lshlrev_b32_e32 v13, 2, v4
	ds_bpermute_b32 v4, v13, v1
	v_xor_b32_e32 v5, 4, v7
	v_cmp_lt_i32_e32 vcc, v5, v8
	s_waitcnt lgkmcnt(0)
	v_max_f32_e32 v4, v4, v4
	v_max_f32_e32 v1, v1, v4
	v_cndmask_b32_e32 v4, v7, v5, vcc
	v_lshlrev_b32_e32 v14, 2, v4
	ds_bpermute_b32 v5, v14, v1
	v_and_b32_e32 v4, 63, v0
	v_cmp_eq_u32_e32 vcc, 0, v4
	s_and_saveexec_b64 s[0:1], vcc
	s_cbranch_execz .LBB166_15
; %bb.14:
	s_waitcnt lgkmcnt(0)
	v_max_f32_e32 v5, v5, v5
	v_max_f32_e32 v1, v1, v1
	;; [unrolled: 1-line block ×3, first 2 shown]
	ds_write_b32 v9, v1 offset:224
.LBB166_15:
	s_or_b64 exec, exec, s[0:1]
	v_cmp_gt_u32_e64 s[0:1], 2, v4
	s_waitcnt lgkmcnt(0)
	v_mov_b32_e32 v5, 0xff7fffff
	v_lshlrev_b32_e32 v12, 2, v4
	s_barrier
	s_and_saveexec_b64 s[6:7], s[0:1]
	s_cbranch_execz .LBB166_17
; %bb.16:
	ds_read_b32 v5, v12 offset:224
.LBB166_17:
	s_or_b64 exec, exec, s[6:7]
	v_xor_b32_e32 v1, 1, v7
	v_cmp_lt_i32_e64 s[6:7], v1, v8
	v_mov_b32_e32 v16, 0
	s_nop 0
	v_cndmask_b32_e64 v1, v7, v1, s[6:7]
	v_lshlrev_b32_e32 v1, 2, v1
	s_waitcnt lgkmcnt(0)
	ds_bpermute_b32 v15, v1, v5
	v_max_f32_e32 v5, v5, v5
	s_sub_i32 s6, s33, s10
	s_lshl_b32 s6, s6, 4
	s_add_i32 s6, s6, s40
	s_waitcnt lgkmcnt(0)
	v_max_f32_e32 v15, v15, v15
	v_max_f32_e32 v5, v5, v15
	v_lshlrev_b32_e32 v15, 2, v7
	v_and_b32_e32 v15, 0xffffff00, v15
	ds_bpermute_b32 v5, v15, v5
	s_min_i32 s15, s6, s25
	s_sub_i32 s12, s15, s40
	v_cmp_gt_i32_e64 s[6:7], s12, v0
	s_and_saveexec_b64 s[34:35], s[6:7]
	s_cbranch_execz .LBB166_21
; %bb.18:
	v_mov_b32_e32 v16, 0xf0
	v_lshl_add_u32 v17, v0, 2, v16
	s_mov_b64 s[36:37], 0
	v_mov_b32_e32 v16, 0
	v_mov_b32_e32 v18, v0
.LBB166_19:                             ; =>This Inner Loop Header: Depth=1
	ds_read_b32 v19, v17
	v_add_u32_e32 v18, 0x80, v18
	v_cmp_le_i32_e64 s[10:11], s12, v18
	s_or_b64 s[36:37], s[10:11], s[36:37]
	s_waitcnt lgkmcnt(0)
	v_sub_f32_e32 v19, v19, v5
	v_mul_f32_e32 v19, 0x3fb8aa3b, v19
	v_exp_f32_e32 v19, v19
	ds_write_b32 v17, v19
	v_add_f32_e32 v16, v16, v19
	v_add_u32_e32 v17, 0x200, v17
	s_andn2_b64 exec, exec, s[36:37]
	s_cbranch_execnz .LBB166_19
; %bb.20:
	s_or_b64 exec, exec, s[36:37]
.LBB166_21:
	s_or_b64 exec, exec, s[34:35]
	ds_bpermute_b32 v2, v2, v16
	s_waitcnt lgkmcnt(0)
	v_add_f32_e32 v2, v16, v2
	ds_bpermute_b32 v3, v3, v2
	s_waitcnt lgkmcnt(0)
	v_add_f32_e32 v2, v2, v3
	ds_bpermute_b32 v3, v13, v2
	v_xor_b32_e32 v13, 2, v7
	v_cmp_lt_i32_e64 s[10:11], v13, v8
	s_waitcnt lgkmcnt(0)
	v_add_f32_e32 v2, v2, v3
	ds_bpermute_b32 v3, v14, v2
	v_cndmask_b32_e64 v7, v7, v13, s[10:11]
	s_waitcnt lgkmcnt(0)
	v_add_f32_e32 v2, v2, v3
	v_lshlrev_b32_e32 v3, 2, v7
	ds_bpermute_b32 v3, v3, v2
	s_waitcnt lgkmcnt(0)
	v_add_f32_e32 v2, v2, v3
	ds_bpermute_b32 v3, v1, v2
	s_waitcnt lgkmcnt(0)
	v_add_f32_e32 v2, v2, v3
	s_and_saveexec_b64 s[10:11], vcc
	s_cbranch_execz .LBB166_23
; %bb.22:
	ds_write_b32 v9, v2 offset:232
.LBB166_23:
	s_or_b64 exec, exec, s[10:11]
	s_waitcnt lgkmcnt(0)
	s_barrier
	s_and_saveexec_b64 s[10:11], s[0:1]
	s_cbranch_execz .LBB166_25
; %bb.24:
	ds_read_b32 v2, v12 offset:232
.LBB166_25:
	s_or_b64 exec, exec, s[10:11]
	s_waitcnt lgkmcnt(0)
	ds_bpermute_b32 v3, v1, v2
	s_waitcnt lgkmcnt(0)
	v_add_f32_e32 v2, v2, v3
	ds_bpermute_b32 v7, v15, v2
	s_and_saveexec_b64 s[0:1], s[6:7]
	s_cbranch_execz .LBB166_38
; %bb.26:
	s_waitcnt lgkmcnt(0)
	v_add_f32_e32 v2, 0x358637bd, v7
	v_div_scale_f32 v3, s[6:7], v2, v2, 1.0
	v_rcp_f32_e32 v8, v3
	v_div_scale_f32 v9, vcc, 1.0, v2, 1.0
	s_movk_i32 s6, 0x7f
	v_fma_f32 v12, -v3, v8, 1.0
	v_fmac_f32_e32 v8, v12, v8
	v_mul_f32_e32 v12, v9, v8
	v_fma_f32 v13, -v3, v12, v9
	v_fmac_f32_e32 v12, v13, v8
	v_fma_f32 v3, -v3, v12, v9
	v_div_fmas_f32 v3, v3, v8, v12
	v_div_fixup_f32 v2, v3, v2, 1.0
	v_xad_u32 v3, v0, -1, s15
	v_subrev_u32_e32 v8, s40, v3
	v_cmp_lt_u32_e32 vcc, s6, v8
	s_mov_b64 s[10:11], -1
	v_mov_b32_e32 v3, v0
	s_and_saveexec_b64 s[6:7], vcc
	s_cbranch_execz .LBB166_35
; %bb.27:
	v_lshrrev_b32_e32 v8, 7, v8
	v_add_u32_e32 v12, -1, v8
	v_lshrrev_b32_e32 v9, 1, v12
	v_mov_b32_e32 v3, v2
	v_add_u32_e32 v9, 1, v9
	v_cmp_lt_u32_e32 vcc, 13, v12
	v_mov_b32_e32 v14, 0
	s_and_saveexec_b64 s[10:11], vcc
	s_cbranch_execz .LBB166_31
; %bb.28:
	v_mov_b32_e32 v13, 0xf0
	v_and_b32_e32 v12, -8, v9
	v_lshl_add_u32 v13, v0, 2, v13
	s_mov_b32 s15, 0
	s_mov_b64 s[34:35], 0
.LBB166_29:                             ; =>This Inner Loop Header: Depth=1
	ds_read2st64_b32 v[14:15], v13 offset1:2
	ds_read2st64_b32 v[16:17], v13 offset0:4 offset1:6
	ds_read2st64_b32 v[18:19], v13 offset0:8 offset1:10
	;; [unrolled: 1-line block ×3, first 2 shown]
	v_add_u32_e32 v12, -8, v12
	s_waitcnt lgkmcnt(3)
	v_pk_mul_f32 v[14:15], v[2:3], v[14:15]
	s_waitcnt lgkmcnt(2)
	v_pk_mul_f32 v[16:17], v[2:3], v[16:17]
	ds_write2st64_b32 v13, v14, v15 offset1:2
	ds_write2st64_b32 v13, v16, v17 offset0:4 offset1:6
	ds_read2st64_b32 v[16:17], v13 offset0:16 offset1:18
	s_waitcnt lgkmcnt(4)
	v_pk_mul_f32 v[14:15], v[2:3], v[18:19]
	ds_write2st64_b32 v13, v14, v15 offset0:8 offset1:10
	s_waitcnt lgkmcnt(4)
	v_pk_mul_f32 v[14:15], v[2:3], v[20:21]
	ds_write2st64_b32 v13, v14, v15 offset0:12 offset1:14
	ds_read2st64_b32 v[14:15], v13 offset0:20 offset1:22
	s_waitcnt lgkmcnt(3)
	v_pk_mul_f32 v[16:17], v[2:3], v[16:17]
	ds_read2st64_b32 v[18:19], v13 offset0:24 offset1:26
	ds_write2st64_b32 v13, v16, v17 offset0:16 offset1:18
	ds_read2st64_b32 v[16:17], v13 offset0:28 offset1:30
	s_waitcnt lgkmcnt(3)
	v_pk_mul_f32 v[14:15], v[2:3], v[14:15]
	ds_write2st64_b32 v13, v14, v15 offset0:20 offset1:22
	s_waitcnt lgkmcnt(3)
	v_pk_mul_f32 v[14:15], v[2:3], v[18:19]
	ds_write2st64_b32 v13, v14, v15 offset0:24 offset1:26
	s_waitcnt lgkmcnt(2)
	v_pk_mul_f32 v[14:15], v[2:3], v[16:17]
	s_add_i32 s15, s15, 16
	v_cmp_eq_u32_e32 vcc, 0, v12
	ds_write2st64_b32 v13, v14, v15 offset0:28 offset1:30
	v_add_u32_e32 v13, 0x2000, v13
	s_or_b64 s[34:35], vcc, s[34:35]
	v_mov_b32_e32 v14, s15
	s_andn2_b64 exec, exec, s[34:35]
	s_cbranch_execnz .LBB166_29
; %bb.30:
	s_or_b64 exec, exec, s[34:35]
.LBB166_31:
	s_or_b64 exec, exec, s[10:11]
	v_and_b32_e32 v9, 7, v9
	v_cmp_ne_u32_e32 vcc, 0, v9
	s_and_saveexec_b64 s[10:11], vcc
	s_cbranch_execz .LBB166_34
; %bb.32:
	v_lshlrev_b32_e32 v12, 9, v14
	v_lshlrev_b32_e32 v13, 2, v0
	s_movk_i32 s15, 0xf0
	v_add3_u32 v12, v12, v13, s15
	s_mov_b64 s[34:35], 0
.LBB166_33:                             ; =>This Inner Loop Header: Depth=1
	ds_read2st64_b32 v[14:15], v12 offset1:2
	v_add_u32_e32 v9, -1, v9
	v_cmp_eq_u32_e32 vcc, 0, v9
	s_or_b64 s[34:35], vcc, s[34:35]
	s_waitcnt lgkmcnt(0)
	v_pk_mul_f32 v[14:15], v[2:3], v[14:15]
	ds_write2st64_b32 v12, v14, v15 offset1:2
	v_add_u32_e32 v12, 0x400, v12
	s_andn2_b64 exec, exec, s[34:35]
	s_cbranch_execnz .LBB166_33
.LBB166_34:
	s_or_b64 exec, exec, s[10:11]
	v_add_u32_e32 v8, 1, v8
	v_and_b32_e32 v9, 0x3fffffe, v8
	v_cmp_ne_u32_e32 vcc, v8, v9
	v_lshl_add_u32 v3, v9, 7, v0
	s_orn2_b64 s[10:11], vcc, exec
.LBB166_35:
	s_or_b64 exec, exec, s[6:7]
	s_and_b64 exec, exec, s[10:11]
	s_cbranch_execz .LBB166_38
; %bb.36:
	v_mov_b32_e32 v8, 0xf0
	v_lshl_add_u32 v8, v3, 2, v8
	s_mov_b64 s[6:7], 0
.LBB166_37:                             ; =>This Inner Loop Header: Depth=1
	ds_read_b32 v9, v8
	v_add_u32_e32 v3, 0x80, v3
	v_cmp_le_i32_e32 vcc, s12, v3
	s_or_b64 s[6:7], vcc, s[6:7]
	s_waitcnt lgkmcnt(0)
	v_mul_f32_e32 v9, v2, v9
	ds_write_b32 v8, v9
	v_add_u32_e32 v8, 0x200, v8
	s_andn2_b64 exec, exec, s[6:7]
	s_cbranch_execnz .LBB166_37
.LBB166_38:
	s_or_b64 exec, exec, s[0:1]
	s_mul_i32 s0, s21, s24
	v_cmp_eq_u32_e32 vcc, 0, v0
	s_mul_i32 s6, s0, s5
	s_waitcnt lgkmcnt(0)
	s_barrier
	s_and_saveexec_b64 s[0:1], vcc
	s_cbranch_execz .LBB166_40
; %bb.39:
	s_ashr_i32 s7, s6, 31
	s_lshl_b64 s[10:11], s[6:7], 2
	s_add_u32 s5, s18, s10
	s_mul_i32 s18, s21, s2
	s_addc_u32 s7, s19, s11
	s_ashr_i32 s19, s18, 31
	s_lshl_b64 s[18:19], s[18:19], 2
	s_add_u32 s2, s5, s18
	s_addc_u32 s7, s7, s19
	s_ashr_i32 s5, s4, 31
	s_lshl_b64 s[34:35], s[4:5], 2
	s_add_u32 s36, s2, s34
	s_addc_u32 s37, s7, s35
	s_add_u32 s2, s16, s10
	s_addc_u32 s5, s17, s11
	;; [unrolled: 2-line block ×3, first 2 shown]
	s_add_u32 s10, s2, s34
	v_mov_b32_e32 v2, 0
	s_addc_u32 s11, s5, s35
	global_store_dword v2, v5, s[36:37]
	global_store_dword v2, v7, s[10:11]
.LBB166_40:
	s_or_b64 exec, exec, s[0:1]
	v_mov_b32_e32 v13, 0
	v_lshrrev_b32_e32 v23, 1, v4
	v_and_b32_e32 v22, 1, v0
	v_mov_b32_e32 v12, 0
	v_mov_b32_e32 v15, 0
	;; [unrolled: 1-line block ×3, first 2 shown]
	s_and_saveexec_b64 s[10:11], s[8:9]
	s_cbranch_execz .LBB166_214
; %bb.41:
	s_ashr_i32 s15, s14, 31
	s_lshl_b64 s[0:1], s[14:15], 1
	v_lshlrev_b32_e32 v2, 3, v0
	s_add_u32 s8, s30, s0
	v_or_b32_e32 v4, 0x60, v23
	s_movk_i32 s0, 0x70
	v_and_b32_e32 v3, 8, v2
	s_addc_u32 s9, s31, s1
	s_add_i32 s7, s3, -1
	v_cmp_gt_u32_e32 vcc, s0, v4
	v_lshl_add_u32 v5, v6, 4, s40
	s_lshl_b64 s[0:1], s[28:29], 2
	v_lshl_or_b32 v2, v23, 4, v3
	v_lshl_or_b32 v4, v4, 4, v3
	v_add3_u32 v24, v5, v3, 7
	v_lshlrev_b32_e32 v3, 5, v22
	s_add_u32 s0, s26, s0
	v_mov_b32_e32 v17, 0
	v_lshl_or_b32 v3, v6, 6, v3
	s_addc_u32 s1, s27, s1
	s_mov_b32 s5, s13
	v_add_u32_e32 v25, 0xf0, v3
	v_lshl_add_u64 v[18:19], v[10:11], 2, s[0:1]
	s_mov_b64 s[12:13], 0
	s_mov_b32 s16, 0x7f800000
	s_movk_i32 s17, 0x7fff
	v_lshlrev_b32_e32 v16, 1, v2
	v_lshlrev_b32_e32 v20, 1, v4
	v_mov_b32_e32 v14, v17
	v_mov_b32_e32 v15, v17
	;; [unrolled: 1-line block ×4, first 2 shown]
	s_branch .LBB166_44
.LBB166_42:                             ;   in Loop: Header=BB166_44 Depth=1
	s_or_b64 exec, exec, s[14:15]
	v_and_b32_e32 v37, 0xffff0000, v33
	v_and_b32_e32 v36, 0xffff0000, v7
	;; [unrolled: 1-line block ×8, first 2 shown]
	v_pk_add_f32 v[2:3], v[2:3], v[36:37]
	v_pk_add_f32 v[4:5], v[4:5], v[34:35]
	v_add_f32_e32 v2, v2, v3
	v_add_f32_e32 v2, v2, v4
	;; [unrolled: 1-line block ×4, first 2 shown]
.LBB166_43:                             ;   in Loop: Header=BB166_44 Depth=1
	s_or_b64 exec, exec, s[2:3]
	v_and_b32_e32 v7, 0xffff0000, v28
	v_and_b32_e32 v6, 0xffff0000, v26
	;; [unrolled: 1-line block ×8, first 2 shown]
	v_pk_add_f32 v[6:7], v[26:27], v[6:7]
	v_pk_add_f32 v[2:3], v[4:5], v[2:3]
	v_add_f32_e32 v4, v6, v7
	v_add_f32_e32 v2, v4, v2
	;; [unrolled: 1-line block ×3, first 2 shown]
	v_and_b32_e32 v7, 0xffff0000, v45
	v_and_b32_e32 v6, 0xffff0000, v43
	;; [unrolled: 1-line block ×4, first 2 shown]
	v_add_f32_e32 v14, v14, v2
	v_and_b32_e32 v3, 0xffff0000, v49
	v_and_b32_e32 v2, 0xffff0000, v47
	;; [unrolled: 1-line block ×4, first 2 shown]
	v_pk_add_f32 v[6:7], v[26:27], v[6:7]
	v_pk_add_f32 v[2:3], v[4:5], v[2:3]
	v_add_f32_e32 v4, v6, v7
	v_add_f32_e32 v2, v4, v2
	;; [unrolled: 1-line block ×3, first 2 shown]
	v_and_b32_e32 v7, 0xffff0000, v51
	v_and_b32_e32 v6, 0xffff0000, v9
	;; [unrolled: 1-line block ×4, first 2 shown]
	v_add_f32_e32 v15, v15, v2
	v_and_b32_e32 v3, 0xffff0000, v55
	v_and_b32_e32 v2, 0xffff0000, v53
	;; [unrolled: 1-line block ×4, first 2 shown]
	v_pk_add_f32 v[6:7], v[8:9], v[6:7]
	v_pk_add_f32 v[2:3], v[4:5], v[2:3]
	v_add_f32_e32 v4, v6, v7
	v_add_f32_e32 v2, v4, v2
	v_add_u32_e32 v10, 2, v10
	v_add_f32_e32 v2, v2, v3
	v_cmp_le_i32_e64 s[0:1], s33, v10
	v_add_f32_e32 v12, v12, v2
	v_add_u32_e32 v24, 32, v24
	v_add_u32_e32 v25, 0x80, v25
	s_or_b64 s[12:13], s[0:1], s[12:13]
	v_lshl_add_u64 v[18:19], v[18:19], 0, 8
	s_andn2_b64 exec, exec, s[12:13]
	s_cbranch_execz .LBB166_213
.LBB166_44:                             ; =>This Inner Loop Header: Depth=1
	global_load_dword v32, v[18:19], off
	ds_read2_b64 v[6:9], v25 offset1:1
	ds_read2_b64 v[2:5], v25 offset0:2 offset1:3
	s_waitcnt lgkmcnt(1)
	v_and_b32_e32 v11, 0x7f800000, v6
	v_cmp_ne_u32_e64 s[0:1], s16, v11
                                        ; implicit-def: $vgpr11
	s_and_saveexec_b64 s[2:3], s[0:1]
	s_xor_b64 s[0:1], exec, s[2:3]
; %bb.45:                               ;   in Loop: Header=BB166_44 Depth=1
	v_bfe_u32 v11, v6, 16, 1
	v_add3_u32 v11, v6, v11, s17
; %bb.46:                               ;   in Loop: Header=BB166_44 Depth=1
	s_andn2_saveexec_b64 s[2:3], s[0:1]
; %bb.47:                               ;   in Loop: Header=BB166_44 Depth=1
	v_or_b32_e32 v11, 0x10000, v6
	v_cmp_eq_u32_sdwa s[0:1], v6, v17 src0_sel:WORD_0 src1_sel:DWORD
	s_nop 1
	v_cndmask_b32_e64 v11, v11, v6, s[0:1]
; %bb.48:                               ;   in Loop: Header=BB166_44 Depth=1
	s_or_b64 exec, exec, s[2:3]
	v_and_b32_e32 v6, 0x7f800000, v7
	v_cmp_ne_u32_e64 s[0:1], s16, v6
                                        ; implicit-def: $vgpr26
	s_and_saveexec_b64 s[2:3], s[0:1]
	s_xor_b64 s[0:1], exec, s[2:3]
; %bb.49:                               ;   in Loop: Header=BB166_44 Depth=1
	v_bfe_u32 v6, v7, 16, 1
	v_add3_u32 v26, v7, v6, s17
; %bb.50:                               ;   in Loop: Header=BB166_44 Depth=1
	s_andn2_saveexec_b64 s[2:3], s[0:1]
; %bb.51:                               ;   in Loop: Header=BB166_44 Depth=1
	v_or_b32_e32 v6, 0x10000, v7
	v_cmp_eq_u32_sdwa s[0:1], v7, v17 src0_sel:WORD_0 src1_sel:DWORD
	s_nop 1
	v_cndmask_b32_e64 v26, v6, v7, s[0:1]
; %bb.52:                               ;   in Loop: Header=BB166_44 Depth=1
	s_or_b64 exec, exec, s[2:3]
	v_and_b32_e32 v6, 0x7f800000, v8
	v_cmp_ne_u32_e64 s[0:1], s16, v6
                                        ; implicit-def: $vgpr27
	s_and_saveexec_b64 s[2:3], s[0:1]
	s_xor_b64 s[0:1], exec, s[2:3]
; %bb.53:                               ;   in Loop: Header=BB166_44 Depth=1
	v_bfe_u32 v6, v8, 16, 1
	v_add3_u32 v27, v8, v6, s17
; %bb.54:                               ;   in Loop: Header=BB166_44 Depth=1
	s_andn2_saveexec_b64 s[2:3], s[0:1]
; %bb.55:                               ;   in Loop: Header=BB166_44 Depth=1
	v_or_b32_e32 v6, 0x10000, v8
	v_cmp_eq_u32_sdwa s[0:1], v8, v17 src0_sel:WORD_0 src1_sel:DWORD
	s_nop 1
	v_cndmask_b32_e64 v27, v6, v8, s[0:1]
; %bb.56:                               ;   in Loop: Header=BB166_44 Depth=1
	s_or_b64 exec, exec, s[2:3]
	v_and_b32_e32 v6, 0x7f800000, v9
	v_cmp_ne_u32_e64 s[0:1], s16, v6
                                        ; implicit-def: $vgpr28
	s_and_saveexec_b64 s[2:3], s[0:1]
	s_xor_b64 s[0:1], exec, s[2:3]
; %bb.57:                               ;   in Loop: Header=BB166_44 Depth=1
	v_bfe_u32 v6, v9, 16, 1
	v_add3_u32 v28, v9, v6, s17
                                        ; implicit-def: $vgpr6_vgpr7_vgpr8_vgpr9
; %bb.58:                               ;   in Loop: Header=BB166_44 Depth=1
	s_andn2_saveexec_b64 s[2:3], s[0:1]
; %bb.59:                               ;   in Loop: Header=BB166_44 Depth=1
	v_or_b32_e32 v6, 0x10000, v9
	v_cmp_eq_u32_sdwa s[0:1], v9, v17 src0_sel:WORD_0 src1_sel:DWORD
	s_nop 1
	v_cndmask_b32_e64 v28, v6, v9, s[0:1]
; %bb.60:                               ;   in Loop: Header=BB166_44 Depth=1
	s_or_b64 exec, exec, s[2:3]
	s_waitcnt lgkmcnt(0)
	v_and_b32_e32 v6, 0x7f800000, v2
	v_cmp_ne_u32_e64 s[0:1], s16, v6
                                        ; implicit-def: $vgpr29
	s_and_saveexec_b64 s[2:3], s[0:1]
	s_xor_b64 s[0:1], exec, s[2:3]
; %bb.61:                               ;   in Loop: Header=BB166_44 Depth=1
	v_bfe_u32 v6, v2, 16, 1
	v_add3_u32 v29, v2, v6, s17
; %bb.62:                               ;   in Loop: Header=BB166_44 Depth=1
	s_andn2_saveexec_b64 s[2:3], s[0:1]
; %bb.63:                               ;   in Loop: Header=BB166_44 Depth=1
	v_or_b32_e32 v6, 0x10000, v2
	v_cmp_eq_u32_sdwa s[0:1], v2, v17 src0_sel:WORD_0 src1_sel:DWORD
	s_nop 1
	v_cndmask_b32_e64 v29, v6, v2, s[0:1]
; %bb.64:                               ;   in Loop: Header=BB166_44 Depth=1
	s_or_b64 exec, exec, s[2:3]
	v_and_b32_e32 v2, 0x7f800000, v3
	v_cmp_ne_u32_e64 s[0:1], s16, v2
                                        ; implicit-def: $vgpr30
	s_and_saveexec_b64 s[2:3], s[0:1]
	s_xor_b64 s[0:1], exec, s[2:3]
; %bb.65:                               ;   in Loop: Header=BB166_44 Depth=1
	v_bfe_u32 v2, v3, 16, 1
	v_add3_u32 v30, v3, v2, s17
; %bb.66:                               ;   in Loop: Header=BB166_44 Depth=1
	s_andn2_saveexec_b64 s[2:3], s[0:1]
; %bb.67:                               ;   in Loop: Header=BB166_44 Depth=1
	v_or_b32_e32 v2, 0x10000, v3
	v_cmp_eq_u32_sdwa s[0:1], v3, v17 src0_sel:WORD_0 src1_sel:DWORD
	s_nop 1
	v_cndmask_b32_e64 v30, v2, v3, s[0:1]
; %bb.68:                               ;   in Loop: Header=BB166_44 Depth=1
	s_or_b64 exec, exec, s[2:3]
	v_and_b32_e32 v2, 0x7f800000, v4
	v_cmp_ne_u32_e64 s[0:1], s16, v2
                                        ; implicit-def: $vgpr31
	s_and_saveexec_b64 s[2:3], s[0:1]
	s_xor_b64 s[0:1], exec, s[2:3]
; %bb.69:                               ;   in Loop: Header=BB166_44 Depth=1
	v_bfe_u32 v2, v4, 16, 1
	v_add3_u32 v31, v4, v2, s17
; %bb.70:                               ;   in Loop: Header=BB166_44 Depth=1
	s_andn2_saveexec_b64 s[2:3], s[0:1]
; %bb.71:                               ;   in Loop: Header=BB166_44 Depth=1
	v_or_b32_e32 v2, 0x10000, v4
	v_cmp_eq_u32_sdwa s[0:1], v4, v17 src0_sel:WORD_0 src1_sel:DWORD
	s_nop 1
	v_cndmask_b32_e64 v31, v2, v4, s[0:1]
; %bb.72:                               ;   in Loop: Header=BB166_44 Depth=1
	s_or_b64 exec, exec, s[2:3]
	v_and_b32_e32 v2, 0x7f800000, v5
	v_cmp_ne_u32_e64 s[0:1], s16, v2
                                        ; implicit-def: $vgpr21
	s_and_saveexec_b64 s[2:3], s[0:1]
	s_xor_b64 s[0:1], exec, s[2:3]
; %bb.73:                               ;   in Loop: Header=BB166_44 Depth=1
	v_bfe_u32 v2, v5, 16, 1
	v_add3_u32 v21, v5, v2, s17
                                        ; implicit-def: $vgpr2_vgpr3_vgpr4_vgpr5
; %bb.74:                               ;   in Loop: Header=BB166_44 Depth=1
	s_andn2_saveexec_b64 s[2:3], s[0:1]
; %bb.75:                               ;   in Loop: Header=BB166_44 Depth=1
	v_or_b32_e32 v2, 0x10000, v5
	v_cmp_eq_u32_sdwa s[0:1], v5, v17 src0_sel:WORD_0 src1_sel:DWORD
	s_nop 1
	v_cndmask_b32_e64 v21, v2, v5, s[0:1]
; %bb.76:                               ;   in Loop: Header=BB166_44 Depth=1
	s_or_b64 exec, exec, s[2:3]
	s_waitcnt vmcnt(0)
	v_mad_i64_i32 v[2:3], s[0:1], v32, s5, 0
	v_lshl_add_u64 v[6:7], v[2:3], 1, s[8:9]
	v_lshl_add_u64 v[8:9], v[6:7], 0, v[16:17]
	global_load_dwordx4 v[2:5], v[8:9], off
	v_add_u32_e32 v33, -7, v24
	v_cmp_eq_u32_e64 s[0:1], s7, v10
	s_waitcnt vmcnt(0)
	v_lshrrev_b32_e32 v36, 16, v2
	v_lshrrev_b32_e32 v38, 16, v3
	;; [unrolled: 1-line block ×4, first 2 shown]
	s_and_saveexec_b64 s[14:15], s[0:1]
	s_cbranch_execz .LBB166_78
; %bb.77:                               ;   in Loop: Header=BB166_44 Depth=1
	v_cmp_gt_i32_e64 s[2:3], s25, v33
	v_add_u32_e32 v34, -6, v24
	s_nop 0
	v_cndmask_b32_e64 v2, 0, v2, s[2:3]
	v_cmp_gt_i32_e64 s[2:3], s25, v34
	v_add_u32_e32 v34, -5, v24
	s_nop 0
	v_cndmask_b32_e64 v36, 0, v36, s[2:3]
	;; [unrolled: 4-line block ×6, first 2 shown]
	v_cmp_gt_i32_e64 s[2:3], s25, v34
	s_nop 1
	v_cndmask_b32_e64 v5, 0, v5, s[2:3]
	v_cmp_gt_i32_e64 s[2:3], s25, v24
	s_nop 1
	v_cndmask_b32_e64 v32, 0, v32, s[2:3]
.LBB166_78:                             ;   in Loop: Header=BB166_44 Depth=1
	s_or_b64 exec, exec, s[14:15]
	v_and_b32_e32 v34, 0xffff0000, v11
	v_lshlrev_b32_e32 v2, 16, v2
	v_mul_f32_e32 v2, v34, v2
	v_and_b32_e32 v11, 0x7f800000, v2
	v_cmp_ne_u32_e64 s[2:3], s16, v11
                                        ; implicit-def: $vgpr11
	s_and_saveexec_b64 s[14:15], s[2:3]
	s_xor_b64 s[2:3], exec, s[14:15]
; %bb.79:                               ;   in Loop: Header=BB166_44 Depth=1
	v_bfe_u32 v11, v2, 16, 1
	v_add3_u32 v11, v2, v11, s17
                                        ; implicit-def: $vgpr2
; %bb.80:                               ;   in Loop: Header=BB166_44 Depth=1
	s_andn2_saveexec_b64 s[14:15], s[2:3]
; %bb.81:                               ;   in Loop: Header=BB166_44 Depth=1
	v_or_b32_e32 v11, 0x10000, v2
	v_cmp_eq_u32_sdwa s[2:3], v2, v17 src0_sel:WORD_0 src1_sel:DWORD
	s_nop 1
	v_cndmask_b32_e64 v11, v11, v2, s[2:3]
; %bb.82:                               ;   in Loop: Header=BB166_44 Depth=1
	s_or_b64 exec, exec, s[14:15]
	v_and_b32_e32 v35, 0xffff0000, v26
	v_lshlrev_b32_e32 v2, 16, v36
	v_mul_f32_e32 v2, v35, v2
	v_and_b32_e32 v26, 0x7f800000, v2
	v_cmp_ne_u32_e64 s[2:3], s16, v26
                                        ; implicit-def: $vgpr26
	s_and_saveexec_b64 s[14:15], s[2:3]
	s_xor_b64 s[2:3], exec, s[14:15]
; %bb.83:                               ;   in Loop: Header=BB166_44 Depth=1
	v_bfe_u32 v26, v2, 16, 1
	v_add3_u32 v26, v2, v26, s17
                                        ; implicit-def: $vgpr2
; %bb.84:                               ;   in Loop: Header=BB166_44 Depth=1
	s_andn2_saveexec_b64 s[14:15], s[2:3]
; %bb.85:                               ;   in Loop: Header=BB166_44 Depth=1
	v_or_b32_e32 v26, 0x10000, v2
	v_cmp_eq_u32_sdwa s[2:3], v2, v17 src0_sel:WORD_0 src1_sel:DWORD
	s_nop 1
	v_cndmask_b32_e64 v26, v26, v2, s[2:3]
; %bb.86:                               ;   in Loop: Header=BB166_44 Depth=1
	s_or_b64 exec, exec, s[14:15]
	v_and_b32_e32 v36, 0xffff0000, v27
	v_lshlrev_b32_e32 v2, 16, v3
	v_mul_f32_e32 v2, v36, v2
	v_and_b32_e32 v3, 0x7f800000, v2
	v_cmp_ne_u32_e64 s[2:3], s16, v3
                                        ; implicit-def: $vgpr27
	s_and_saveexec_b64 s[14:15], s[2:3]
	s_xor_b64 s[2:3], exec, s[14:15]
; %bb.87:                               ;   in Loop: Header=BB166_44 Depth=1
	v_bfe_u32 v3, v2, 16, 1
	v_add3_u32 v27, v2, v3, s17
                                        ; implicit-def: $vgpr2
; %bb.88:                               ;   in Loop: Header=BB166_44 Depth=1
	s_andn2_saveexec_b64 s[14:15], s[2:3]
; %bb.89:                               ;   in Loop: Header=BB166_44 Depth=1
	v_or_b32_e32 v3, 0x10000, v2
	v_cmp_eq_u32_sdwa s[2:3], v2, v17 src0_sel:WORD_0 src1_sel:DWORD
	s_nop 1
	v_cndmask_b32_e64 v27, v3, v2, s[2:3]
; %bb.90:                               ;   in Loop: Header=BB166_44 Depth=1
	s_or_b64 exec, exec, s[14:15]
	v_and_b32_e32 v37, 0xffff0000, v28
	v_lshlrev_b32_e32 v2, 16, v38
	v_mul_f32_e32 v2, v37, v2
	v_and_b32_e32 v3, 0x7f800000, v2
	v_cmp_ne_u32_e64 s[2:3], s16, v3
                                        ; implicit-def: $vgpr28
	s_and_saveexec_b64 s[14:15], s[2:3]
	s_xor_b64 s[2:3], exec, s[14:15]
; %bb.91:                               ;   in Loop: Header=BB166_44 Depth=1
	v_bfe_u32 v3, v2, 16, 1
	v_add3_u32 v28, v2, v3, s17
                                        ; implicit-def: $vgpr2
; %bb.92:                               ;   in Loop: Header=BB166_44 Depth=1
	s_andn2_saveexec_b64 s[14:15], s[2:3]
; %bb.93:                               ;   in Loop: Header=BB166_44 Depth=1
	v_or_b32_e32 v3, 0x10000, v2
	v_cmp_eq_u32_sdwa s[2:3], v2, v17 src0_sel:WORD_0 src1_sel:DWORD
	s_nop 1
	v_cndmask_b32_e64 v28, v3, v2, s[2:3]
; %bb.94:                               ;   in Loop: Header=BB166_44 Depth=1
	s_or_b64 exec, exec, s[14:15]
	v_and_b32_e32 v38, 0xffff0000, v29
	v_lshlrev_b32_e32 v2, 16, v4
	v_mul_f32_e32 v2, v38, v2
	v_and_b32_e32 v3, 0x7f800000, v2
	v_cmp_ne_u32_e64 s[2:3], s16, v3
                                        ; implicit-def: $vgpr29
	s_and_saveexec_b64 s[14:15], s[2:3]
	s_xor_b64 s[2:3], exec, s[14:15]
; %bb.95:                               ;   in Loop: Header=BB166_44 Depth=1
	v_bfe_u32 v3, v2, 16, 1
	v_add3_u32 v29, v2, v3, s17
                                        ; implicit-def: $vgpr2
; %bb.96:                               ;   in Loop: Header=BB166_44 Depth=1
	s_andn2_saveexec_b64 s[14:15], s[2:3]
; %bb.97:                               ;   in Loop: Header=BB166_44 Depth=1
	v_or_b32_e32 v3, 0x10000, v2
	v_cmp_eq_u32_sdwa s[2:3], v2, v17 src0_sel:WORD_0 src1_sel:DWORD
	s_nop 1
	v_cndmask_b32_e64 v29, v3, v2, s[2:3]
; %bb.98:                               ;   in Loop: Header=BB166_44 Depth=1
	s_or_b64 exec, exec, s[14:15]
	v_and_b32_e32 v39, 0xffff0000, v30
	v_lshlrev_b32_e32 v2, 16, v40
	v_mul_f32_e32 v2, v39, v2
	v_and_b32_e32 v3, 0x7f800000, v2
	v_cmp_ne_u32_e64 s[2:3], s16, v3
                                        ; implicit-def: $vgpr30
	s_and_saveexec_b64 s[14:15], s[2:3]
	s_xor_b64 s[2:3], exec, s[14:15]
; %bb.99:                               ;   in Loop: Header=BB166_44 Depth=1
	v_bfe_u32 v3, v2, 16, 1
	v_add3_u32 v30, v2, v3, s17
                                        ; implicit-def: $vgpr2
; %bb.100:                              ;   in Loop: Header=BB166_44 Depth=1
	s_andn2_saveexec_b64 s[14:15], s[2:3]
; %bb.101:                              ;   in Loop: Header=BB166_44 Depth=1
	v_or_b32_e32 v3, 0x10000, v2
	v_cmp_eq_u32_sdwa s[2:3], v2, v17 src0_sel:WORD_0 src1_sel:DWORD
	s_nop 1
	v_cndmask_b32_e64 v30, v3, v2, s[2:3]
; %bb.102:                              ;   in Loop: Header=BB166_44 Depth=1
	s_or_b64 exec, exec, s[14:15]
	v_and_b32_e32 v40, 0xffff0000, v31
	v_lshlrev_b32_e32 v2, 16, v5
	v_mul_f32_e32 v2, v40, v2
	v_and_b32_e32 v3, 0x7f800000, v2
	v_cmp_ne_u32_e64 s[2:3], s16, v3
                                        ; implicit-def: $vgpr31
	s_and_saveexec_b64 s[14:15], s[2:3]
	s_xor_b64 s[2:3], exec, s[14:15]
; %bb.103:                              ;   in Loop: Header=BB166_44 Depth=1
	v_bfe_u32 v3, v2, 16, 1
	v_add3_u32 v31, v2, v3, s17
                                        ; implicit-def: $vgpr2
; %bb.104:                              ;   in Loop: Header=BB166_44 Depth=1
	s_andn2_saveexec_b64 s[14:15], s[2:3]
; %bb.105:                              ;   in Loop: Header=BB166_44 Depth=1
	v_or_b32_e32 v3, 0x10000, v2
	v_cmp_eq_u32_sdwa s[2:3], v2, v17 src0_sel:WORD_0 src1_sel:DWORD
	s_nop 1
	v_cndmask_b32_e64 v31, v3, v2, s[2:3]
; %bb.106:                              ;   in Loop: Header=BB166_44 Depth=1
	s_or_b64 exec, exec, s[14:15]
	v_and_b32_e32 v41, 0xffff0000, v21
	v_lshlrev_b32_e32 v2, 16, v32
	v_mul_f32_e32 v2, v41, v2
	v_and_b32_e32 v3, 0x7f800000, v2
	v_cmp_ne_u32_e64 s[2:3], s16, v3
                                        ; implicit-def: $vgpr32
	s_and_saveexec_b64 s[14:15], s[2:3]
	s_xor_b64 s[2:3], exec, s[14:15]
; %bb.107:                              ;   in Loop: Header=BB166_44 Depth=1
	v_bfe_u32 v3, v2, 16, 1
	v_add3_u32 v32, v2, v3, s17
                                        ; implicit-def: $vgpr2
; %bb.108:                              ;   in Loop: Header=BB166_44 Depth=1
	s_andn2_saveexec_b64 s[14:15], s[2:3]
; %bb.109:                              ;   in Loop: Header=BB166_44 Depth=1
	v_or_b32_e32 v3, 0x10000, v2
	v_cmp_eq_u32_sdwa s[2:3], v2, v17 src0_sel:WORD_0 src1_sel:DWORD
	s_nop 1
	v_cndmask_b32_e64 v32, v3, v2, s[2:3]
; %bb.110:                              ;   in Loop: Header=BB166_44 Depth=1
	s_or_b64 exec, exec, s[14:15]
	global_load_dwordx4 v[2:5], v[8:9], off offset:1024
	s_waitcnt vmcnt(0)
	v_lshrrev_b32_e32 v43, 16, v2
	v_lshrrev_b32_e32 v45, 16, v3
	;; [unrolled: 1-line block ×4, first 2 shown]
	s_and_saveexec_b64 s[14:15], s[0:1]
	s_cbranch_execz .LBB166_112
; %bb.111:                              ;   in Loop: Header=BB166_44 Depth=1
	v_cmp_gt_i32_e64 s[2:3], s25, v33
	v_add_u32_e32 v42, -6, v24
	s_nop 0
	v_cndmask_b32_e64 v2, 0, v2, s[2:3]
	v_cmp_gt_i32_e64 s[2:3], s25, v42
	v_add_u32_e32 v42, -5, v24
	s_nop 0
	v_cndmask_b32_e64 v43, 0, v43, s[2:3]
	v_cmp_gt_i32_e64 s[2:3], s25, v42
	v_add_u32_e32 v42, -4, v24
	s_nop 0
	v_cndmask_b32_e64 v3, 0, v3, s[2:3]
	v_cmp_gt_i32_e64 s[2:3], s25, v42
	v_add_u32_e32 v42, -3, v24
	s_nop 0
	v_cndmask_b32_e64 v45, 0, v45, s[2:3]
	v_cmp_gt_i32_e64 s[2:3], s25, v42
	v_add_u32_e32 v42, -2, v24
	s_nop 0
	v_cndmask_b32_e64 v4, 0, v4, s[2:3]
	v_cmp_gt_i32_e64 s[2:3], s25, v42
	v_add_u32_e32 v42, -1, v24
	s_nop 0
	v_cndmask_b32_e64 v47, 0, v47, s[2:3]
	v_cmp_gt_i32_e64 s[2:3], s25, v42
	s_nop 1
	v_cndmask_b32_e64 v5, 0, v5, s[2:3]
	v_cmp_gt_i32_e64 s[2:3], s25, v24
	s_nop 1
	v_cndmask_b32_e64 v21, 0, v21, s[2:3]
.LBB166_112:                            ;   in Loop: Header=BB166_44 Depth=1
	s_or_b64 exec, exec, s[14:15]
	v_lshlrev_b32_e32 v2, 16, v2
	v_mul_f32_e32 v2, v34, v2
	v_and_b32_e32 v42, 0x7f800000, v2
	v_cmp_ne_u32_e64 s[2:3], s16, v42
                                        ; implicit-def: $vgpr42
	s_and_saveexec_b64 s[14:15], s[2:3]
	s_xor_b64 s[2:3], exec, s[14:15]
; %bb.113:                              ;   in Loop: Header=BB166_44 Depth=1
	v_bfe_u32 v42, v2, 16, 1
	v_add3_u32 v42, v2, v42, s17
                                        ; implicit-def: $vgpr2
; %bb.114:                              ;   in Loop: Header=BB166_44 Depth=1
	s_andn2_saveexec_b64 s[14:15], s[2:3]
; %bb.115:                              ;   in Loop: Header=BB166_44 Depth=1
	v_or_b32_e32 v42, 0x10000, v2
	v_cmp_eq_u32_sdwa s[2:3], v2, v17 src0_sel:WORD_0 src1_sel:DWORD
	s_nop 1
	v_cndmask_b32_e64 v42, v42, v2, s[2:3]
; %bb.116:                              ;   in Loop: Header=BB166_44 Depth=1
	s_or_b64 exec, exec, s[14:15]
	v_lshlrev_b32_e32 v2, 16, v43
	v_mul_f32_e32 v2, v35, v2
	v_and_b32_e32 v43, 0x7f800000, v2
	v_cmp_ne_u32_e64 s[2:3], s16, v43
                                        ; implicit-def: $vgpr43
	s_and_saveexec_b64 s[14:15], s[2:3]
	s_xor_b64 s[2:3], exec, s[14:15]
; %bb.117:                              ;   in Loop: Header=BB166_44 Depth=1
	v_bfe_u32 v43, v2, 16, 1
	v_add3_u32 v43, v2, v43, s17
                                        ; implicit-def: $vgpr2
; %bb.118:                              ;   in Loop: Header=BB166_44 Depth=1
	s_andn2_saveexec_b64 s[14:15], s[2:3]
; %bb.119:                              ;   in Loop: Header=BB166_44 Depth=1
	v_or_b32_e32 v43, 0x10000, v2
	v_cmp_eq_u32_sdwa s[2:3], v2, v17 src0_sel:WORD_0 src1_sel:DWORD
	s_nop 1
	v_cndmask_b32_e64 v43, v43, v2, s[2:3]
; %bb.120:                              ;   in Loop: Header=BB166_44 Depth=1
	s_or_b64 exec, exec, s[14:15]
	v_lshlrev_b32_e32 v2, 16, v3
	v_mul_f32_e32 v2, v36, v2
	v_and_b32_e32 v3, 0x7f800000, v2
	v_cmp_ne_u32_e64 s[2:3], s16, v3
                                        ; implicit-def: $vgpr44
	s_and_saveexec_b64 s[14:15], s[2:3]
	s_xor_b64 s[2:3], exec, s[14:15]
; %bb.121:                              ;   in Loop: Header=BB166_44 Depth=1
	v_bfe_u32 v3, v2, 16, 1
	v_add3_u32 v44, v2, v3, s17
                                        ; implicit-def: $vgpr2
; %bb.122:                              ;   in Loop: Header=BB166_44 Depth=1
	s_andn2_saveexec_b64 s[14:15], s[2:3]
; %bb.123:                              ;   in Loop: Header=BB166_44 Depth=1
	v_or_b32_e32 v3, 0x10000, v2
	v_cmp_eq_u32_sdwa s[2:3], v2, v17 src0_sel:WORD_0 src1_sel:DWORD
	s_nop 1
	v_cndmask_b32_e64 v44, v3, v2, s[2:3]
; %bb.124:                              ;   in Loop: Header=BB166_44 Depth=1
	s_or_b64 exec, exec, s[14:15]
	v_lshlrev_b32_e32 v2, 16, v45
	v_mul_f32_e32 v2, v37, v2
	v_and_b32_e32 v3, 0x7f800000, v2
	v_cmp_ne_u32_e64 s[2:3], s16, v3
                                        ; implicit-def: $vgpr45
	s_and_saveexec_b64 s[14:15], s[2:3]
	s_xor_b64 s[2:3], exec, s[14:15]
; %bb.125:                              ;   in Loop: Header=BB166_44 Depth=1
	v_bfe_u32 v3, v2, 16, 1
	v_add3_u32 v45, v2, v3, s17
                                        ; implicit-def: $vgpr2
; %bb.126:                              ;   in Loop: Header=BB166_44 Depth=1
	s_andn2_saveexec_b64 s[14:15], s[2:3]
; %bb.127:                              ;   in Loop: Header=BB166_44 Depth=1
	v_or_b32_e32 v3, 0x10000, v2
	v_cmp_eq_u32_sdwa s[2:3], v2, v17 src0_sel:WORD_0 src1_sel:DWORD
	s_nop 1
	v_cndmask_b32_e64 v45, v3, v2, s[2:3]
; %bb.128:                              ;   in Loop: Header=BB166_44 Depth=1
	s_or_b64 exec, exec, s[14:15]
	v_lshlrev_b32_e32 v2, 16, v4
	v_mul_f32_e32 v2, v38, v2
	v_and_b32_e32 v3, 0x7f800000, v2
	v_cmp_ne_u32_e64 s[2:3], s16, v3
                                        ; implicit-def: $vgpr46
	s_and_saveexec_b64 s[14:15], s[2:3]
	s_xor_b64 s[2:3], exec, s[14:15]
; %bb.129:                              ;   in Loop: Header=BB166_44 Depth=1
	v_bfe_u32 v3, v2, 16, 1
	v_add3_u32 v46, v2, v3, s17
                                        ; implicit-def: $vgpr2
; %bb.130:                              ;   in Loop: Header=BB166_44 Depth=1
	s_andn2_saveexec_b64 s[14:15], s[2:3]
; %bb.131:                              ;   in Loop: Header=BB166_44 Depth=1
	v_or_b32_e32 v3, 0x10000, v2
	v_cmp_eq_u32_sdwa s[2:3], v2, v17 src0_sel:WORD_0 src1_sel:DWORD
	s_nop 1
	v_cndmask_b32_e64 v46, v3, v2, s[2:3]
; %bb.132:                              ;   in Loop: Header=BB166_44 Depth=1
	s_or_b64 exec, exec, s[14:15]
	v_lshlrev_b32_e32 v2, 16, v47
	v_mul_f32_e32 v2, v39, v2
	v_and_b32_e32 v3, 0x7f800000, v2
	v_cmp_ne_u32_e64 s[2:3], s16, v3
                                        ; implicit-def: $vgpr47
	s_and_saveexec_b64 s[14:15], s[2:3]
	s_xor_b64 s[2:3], exec, s[14:15]
; %bb.133:                              ;   in Loop: Header=BB166_44 Depth=1
	v_bfe_u32 v3, v2, 16, 1
	v_add3_u32 v47, v2, v3, s17
                                        ; implicit-def: $vgpr2
; %bb.134:                              ;   in Loop: Header=BB166_44 Depth=1
	s_andn2_saveexec_b64 s[14:15], s[2:3]
; %bb.135:                              ;   in Loop: Header=BB166_44 Depth=1
	v_or_b32_e32 v3, 0x10000, v2
	v_cmp_eq_u32_sdwa s[2:3], v2, v17 src0_sel:WORD_0 src1_sel:DWORD
	s_nop 1
	v_cndmask_b32_e64 v47, v3, v2, s[2:3]
; %bb.136:                              ;   in Loop: Header=BB166_44 Depth=1
	s_or_b64 exec, exec, s[14:15]
	v_lshlrev_b32_e32 v2, 16, v5
	v_mul_f32_e32 v2, v40, v2
	v_and_b32_e32 v3, 0x7f800000, v2
	v_cmp_ne_u32_e64 s[2:3], s16, v3
                                        ; implicit-def: $vgpr48
	s_and_saveexec_b64 s[14:15], s[2:3]
	s_xor_b64 s[2:3], exec, s[14:15]
; %bb.137:                              ;   in Loop: Header=BB166_44 Depth=1
	v_bfe_u32 v3, v2, 16, 1
	v_add3_u32 v48, v2, v3, s17
                                        ; implicit-def: $vgpr2
; %bb.138:                              ;   in Loop: Header=BB166_44 Depth=1
	s_andn2_saveexec_b64 s[14:15], s[2:3]
; %bb.139:                              ;   in Loop: Header=BB166_44 Depth=1
	v_or_b32_e32 v3, 0x10000, v2
	v_cmp_eq_u32_sdwa s[2:3], v2, v17 src0_sel:WORD_0 src1_sel:DWORD
	s_nop 1
	v_cndmask_b32_e64 v48, v3, v2, s[2:3]
; %bb.140:                              ;   in Loop: Header=BB166_44 Depth=1
	s_or_b64 exec, exec, s[14:15]
	v_lshlrev_b32_e32 v2, 16, v21
	v_mul_f32_e32 v2, v41, v2
	v_and_b32_e32 v3, 0x7f800000, v2
	v_cmp_ne_u32_e64 s[2:3], s16, v3
                                        ; implicit-def: $vgpr49
	s_and_saveexec_b64 s[14:15], s[2:3]
	s_xor_b64 s[2:3], exec, s[14:15]
; %bb.141:                              ;   in Loop: Header=BB166_44 Depth=1
	v_bfe_u32 v3, v2, 16, 1
	v_add3_u32 v49, v2, v3, s17
                                        ; implicit-def: $vgpr2
; %bb.142:                              ;   in Loop: Header=BB166_44 Depth=1
	s_andn2_saveexec_b64 s[14:15], s[2:3]
; %bb.143:                              ;   in Loop: Header=BB166_44 Depth=1
	v_or_b32_e32 v3, 0x10000, v2
	v_cmp_eq_u32_sdwa s[2:3], v2, v17 src0_sel:WORD_0 src1_sel:DWORD
	s_nop 1
	v_cndmask_b32_e64 v49, v3, v2, s[2:3]
; %bb.144:                              ;   in Loop: Header=BB166_44 Depth=1
	s_or_b64 exec, exec, s[14:15]
	global_load_dwordx4 v[2:5], v[8:9], off offset:2048
	s_waitcnt vmcnt(0)
	v_lshrrev_b32_e32 v9, 16, v2
	v_lshrrev_b32_e32 v51, 16, v3
	;; [unrolled: 1-line block ×4, first 2 shown]
	s_and_saveexec_b64 s[14:15], s[0:1]
	s_cbranch_execz .LBB166_146
; %bb.145:                              ;   in Loop: Header=BB166_44 Depth=1
	v_cmp_gt_i32_e64 s[2:3], s25, v33
	v_add_u32_e32 v8, -6, v24
	s_nop 0
	v_cndmask_b32_e64 v2, 0, v2, s[2:3]
	v_cmp_gt_i32_e64 s[2:3], s25, v8
	v_add_u32_e32 v8, -5, v24
	s_nop 0
	v_cndmask_b32_e64 v9, 0, v9, s[2:3]
	;; [unrolled: 4-line block ×6, first 2 shown]
	v_cmp_gt_i32_e64 s[2:3], s25, v8
	s_nop 1
	v_cndmask_b32_e64 v5, 0, v5, s[2:3]
	v_cmp_gt_i32_e64 s[2:3], s25, v24
	s_nop 1
	v_cndmask_b32_e64 v21, 0, v21, s[2:3]
.LBB166_146:                            ;   in Loop: Header=BB166_44 Depth=1
	s_or_b64 exec, exec, s[14:15]
	v_lshlrev_b32_e32 v2, 16, v2
	v_mul_f32_e32 v2, v34, v2
	v_and_b32_e32 v8, 0x7f800000, v2
	v_cmp_ne_u32_e64 s[2:3], s16, v8
                                        ; implicit-def: $vgpr8
	s_and_saveexec_b64 s[14:15], s[2:3]
	s_xor_b64 s[2:3], exec, s[14:15]
; %bb.147:                              ;   in Loop: Header=BB166_44 Depth=1
	v_bfe_u32 v8, v2, 16, 1
	v_add3_u32 v8, v2, v8, s17
                                        ; implicit-def: $vgpr2
; %bb.148:                              ;   in Loop: Header=BB166_44 Depth=1
	s_andn2_saveexec_b64 s[14:15], s[2:3]
; %bb.149:                              ;   in Loop: Header=BB166_44 Depth=1
	v_or_b32_e32 v8, 0x10000, v2
	v_cmp_eq_u32_sdwa s[2:3], v2, v17 src0_sel:WORD_0 src1_sel:DWORD
	s_nop 1
	v_cndmask_b32_e64 v8, v8, v2, s[2:3]
; %bb.150:                              ;   in Loop: Header=BB166_44 Depth=1
	s_or_b64 exec, exec, s[14:15]
	v_lshlrev_b32_e32 v2, 16, v9
	v_mul_f32_e32 v2, v35, v2
	v_and_b32_e32 v9, 0x7f800000, v2
	v_cmp_ne_u32_e64 s[2:3], s16, v9
                                        ; implicit-def: $vgpr9
	s_and_saveexec_b64 s[14:15], s[2:3]
	s_xor_b64 s[2:3], exec, s[14:15]
; %bb.151:                              ;   in Loop: Header=BB166_44 Depth=1
	v_bfe_u32 v9, v2, 16, 1
	v_add3_u32 v9, v2, v9, s17
                                        ; implicit-def: $vgpr2
; %bb.152:                              ;   in Loop: Header=BB166_44 Depth=1
	s_andn2_saveexec_b64 s[14:15], s[2:3]
; %bb.153:                              ;   in Loop: Header=BB166_44 Depth=1
	v_or_b32_e32 v9, 0x10000, v2
	v_cmp_eq_u32_sdwa s[2:3], v2, v17 src0_sel:WORD_0 src1_sel:DWORD
	s_nop 1
	v_cndmask_b32_e64 v9, v9, v2, s[2:3]
; %bb.154:                              ;   in Loop: Header=BB166_44 Depth=1
	s_or_b64 exec, exec, s[14:15]
	v_lshlrev_b32_e32 v2, 16, v3
	v_mul_f32_e32 v2, v36, v2
	v_and_b32_e32 v3, 0x7f800000, v2
	v_cmp_ne_u32_e64 s[2:3], s16, v3
                                        ; implicit-def: $vgpr50
	s_and_saveexec_b64 s[14:15], s[2:3]
	s_xor_b64 s[2:3], exec, s[14:15]
; %bb.155:                              ;   in Loop: Header=BB166_44 Depth=1
	v_bfe_u32 v3, v2, 16, 1
	v_add3_u32 v50, v2, v3, s17
                                        ; implicit-def: $vgpr2
; %bb.156:                              ;   in Loop: Header=BB166_44 Depth=1
	s_andn2_saveexec_b64 s[14:15], s[2:3]
; %bb.157:                              ;   in Loop: Header=BB166_44 Depth=1
	v_or_b32_e32 v3, 0x10000, v2
	v_cmp_eq_u32_sdwa s[2:3], v2, v17 src0_sel:WORD_0 src1_sel:DWORD
	s_nop 1
	v_cndmask_b32_e64 v50, v3, v2, s[2:3]
; %bb.158:                              ;   in Loop: Header=BB166_44 Depth=1
	s_or_b64 exec, exec, s[14:15]
	v_lshlrev_b32_e32 v2, 16, v51
	v_mul_f32_e32 v2, v37, v2
	v_and_b32_e32 v3, 0x7f800000, v2
	v_cmp_ne_u32_e64 s[2:3], s16, v3
                                        ; implicit-def: $vgpr51
	s_and_saveexec_b64 s[14:15], s[2:3]
	s_xor_b64 s[2:3], exec, s[14:15]
; %bb.159:                              ;   in Loop: Header=BB166_44 Depth=1
	v_bfe_u32 v3, v2, 16, 1
	v_add3_u32 v51, v2, v3, s17
                                        ; implicit-def: $vgpr2
; %bb.160:                              ;   in Loop: Header=BB166_44 Depth=1
	s_andn2_saveexec_b64 s[14:15], s[2:3]
; %bb.161:                              ;   in Loop: Header=BB166_44 Depth=1
	v_or_b32_e32 v3, 0x10000, v2
	v_cmp_eq_u32_sdwa s[2:3], v2, v17 src0_sel:WORD_0 src1_sel:DWORD
	s_nop 1
	v_cndmask_b32_e64 v51, v3, v2, s[2:3]
; %bb.162:                              ;   in Loop: Header=BB166_44 Depth=1
	s_or_b64 exec, exec, s[14:15]
	v_lshlrev_b32_e32 v2, 16, v4
	v_mul_f32_e32 v2, v38, v2
	v_and_b32_e32 v3, 0x7f800000, v2
	v_cmp_ne_u32_e64 s[2:3], s16, v3
                                        ; implicit-def: $vgpr52
	s_and_saveexec_b64 s[14:15], s[2:3]
	s_xor_b64 s[2:3], exec, s[14:15]
; %bb.163:                              ;   in Loop: Header=BB166_44 Depth=1
	v_bfe_u32 v3, v2, 16, 1
	v_add3_u32 v52, v2, v3, s17
                                        ; implicit-def: $vgpr2
; %bb.164:                              ;   in Loop: Header=BB166_44 Depth=1
	s_andn2_saveexec_b64 s[14:15], s[2:3]
; %bb.165:                              ;   in Loop: Header=BB166_44 Depth=1
	v_or_b32_e32 v3, 0x10000, v2
	v_cmp_eq_u32_sdwa s[2:3], v2, v17 src0_sel:WORD_0 src1_sel:DWORD
	s_nop 1
	v_cndmask_b32_e64 v52, v3, v2, s[2:3]
; %bb.166:                              ;   in Loop: Header=BB166_44 Depth=1
	s_or_b64 exec, exec, s[14:15]
	v_lshlrev_b32_e32 v2, 16, v53
	v_mul_f32_e32 v2, v39, v2
	v_and_b32_e32 v3, 0x7f800000, v2
	v_cmp_ne_u32_e64 s[2:3], s16, v3
                                        ; implicit-def: $vgpr53
	s_and_saveexec_b64 s[14:15], s[2:3]
	s_xor_b64 s[2:3], exec, s[14:15]
; %bb.167:                              ;   in Loop: Header=BB166_44 Depth=1
	v_bfe_u32 v3, v2, 16, 1
	v_add3_u32 v53, v2, v3, s17
                                        ; implicit-def: $vgpr2
; %bb.168:                              ;   in Loop: Header=BB166_44 Depth=1
	s_andn2_saveexec_b64 s[14:15], s[2:3]
; %bb.169:                              ;   in Loop: Header=BB166_44 Depth=1
	v_or_b32_e32 v3, 0x10000, v2
	v_cmp_eq_u32_sdwa s[2:3], v2, v17 src0_sel:WORD_0 src1_sel:DWORD
	s_nop 1
	v_cndmask_b32_e64 v53, v3, v2, s[2:3]
; %bb.170:                              ;   in Loop: Header=BB166_44 Depth=1
	s_or_b64 exec, exec, s[14:15]
	v_lshlrev_b32_e32 v2, 16, v5
	v_mul_f32_e32 v2, v40, v2
	v_and_b32_e32 v3, 0x7f800000, v2
	v_cmp_ne_u32_e64 s[2:3], s16, v3
                                        ; implicit-def: $vgpr54
	s_and_saveexec_b64 s[14:15], s[2:3]
	s_xor_b64 s[2:3], exec, s[14:15]
; %bb.171:                              ;   in Loop: Header=BB166_44 Depth=1
	v_bfe_u32 v3, v2, 16, 1
	v_add3_u32 v54, v2, v3, s17
                                        ; implicit-def: $vgpr2
; %bb.172:                              ;   in Loop: Header=BB166_44 Depth=1
	s_andn2_saveexec_b64 s[14:15], s[2:3]
; %bb.173:                              ;   in Loop: Header=BB166_44 Depth=1
	v_or_b32_e32 v3, 0x10000, v2
	v_cmp_eq_u32_sdwa s[2:3], v2, v17 src0_sel:WORD_0 src1_sel:DWORD
	s_nop 1
	v_cndmask_b32_e64 v54, v3, v2, s[2:3]
; %bb.174:                              ;   in Loop: Header=BB166_44 Depth=1
	s_or_b64 exec, exec, s[14:15]
	v_lshlrev_b32_e32 v2, 16, v21
	v_mul_f32_e32 v2, v41, v2
	v_and_b32_e32 v3, 0x7f800000, v2
	v_cmp_ne_u32_e64 s[2:3], s16, v3
                                        ; implicit-def: $vgpr55
	s_and_saveexec_b64 s[14:15], s[2:3]
	s_xor_b64 s[2:3], exec, s[14:15]
	s_cbranch_execnz .LBB166_177
; %bb.175:                              ;   in Loop: Header=BB166_44 Depth=1
	s_andn2_saveexec_b64 s[14:15], s[2:3]
	s_cbranch_execnz .LBB166_178
.LBB166_176:                            ;   in Loop: Header=BB166_44 Depth=1
	s_or_b64 exec, exec, s[14:15]
	s_and_saveexec_b64 s[2:3], vcc
	s_cbranch_execz .LBB166_43
	s_branch .LBB166_179
.LBB166_177:                            ;   in Loop: Header=BB166_44 Depth=1
	v_bfe_u32 v3, v2, 16, 1
	v_add3_u32 v55, v2, v3, s17
                                        ; implicit-def: $vgpr2
	s_andn2_saveexec_b64 s[14:15], s[2:3]
	s_cbranch_execz .LBB166_176
.LBB166_178:                            ;   in Loop: Header=BB166_44 Depth=1
	v_or_b32_e32 v3, 0x10000, v2
	v_cmp_eq_u32_sdwa s[2:3], v2, v17 src0_sel:WORD_0 src1_sel:DWORD
	s_nop 1
	v_cndmask_b32_e64 v55, v3, v2, s[2:3]
	s_or_b64 exec, exec, s[14:15]
	s_and_saveexec_b64 s[2:3], vcc
	s_cbranch_execz .LBB166_43
.LBB166_179:                            ;   in Loop: Header=BB166_44 Depth=1
	v_mov_b32_e32 v21, v17
	v_lshl_add_u64 v[2:3], v[6:7], 0, v[20:21]
	global_load_dwordx4 v[2:5], v[2:3], off
	s_waitcnt vmcnt(0)
	v_lshrrev_b32_e32 v7, 16, v2
	v_lshrrev_b32_e32 v56, 16, v3
	;; [unrolled: 1-line block ×4, first 2 shown]
	s_and_saveexec_b64 s[14:15], s[0:1]
	s_cbranch_execz .LBB166_181
; %bb.180:                              ;   in Loop: Header=BB166_44 Depth=1
	v_cmp_gt_i32_e64 s[0:1], s25, v33
	v_add_u32_e32 v33, -6, v24
	s_nop 0
	v_cndmask_b32_e64 v2, 0, v2, s[0:1]
	v_cmp_gt_i32_e64 s[0:1], s25, v33
	v_add_u32_e32 v33, -5, v24
	s_nop 0
	v_cndmask_b32_e64 v7, 0, v7, s[0:1]
	;; [unrolled: 4-line block ×6, first 2 shown]
	v_cmp_gt_i32_e64 s[0:1], s25, v33
	s_nop 1
	v_cndmask_b32_e64 v5, 0, v5, s[0:1]
	v_cmp_gt_i32_e64 s[0:1], s25, v24
	s_nop 1
	v_cndmask_b32_e64 v6, 0, v6, s[0:1]
.LBB166_181:                            ;   in Loop: Header=BB166_44 Depth=1
	s_or_b64 exec, exec, s[14:15]
	v_lshlrev_b32_e32 v2, 16, v2
	v_mul_f32_e32 v33, v34, v2
	v_and_b32_e32 v2, 0x7f800000, v33
	v_cmp_ne_u32_e64 s[0:1], s16, v2
                                        ; implicit-def: $vgpr2
	s_and_saveexec_b64 s[14:15], s[0:1]
	s_xor_b64 s[0:1], exec, s[14:15]
; %bb.182:                              ;   in Loop: Header=BB166_44 Depth=1
	v_bfe_u32 v2, v33, 16, 1
	v_add3_u32 v2, v33, v2, s17
                                        ; implicit-def: $vgpr33
; %bb.183:                              ;   in Loop: Header=BB166_44 Depth=1
	s_andn2_saveexec_b64 s[14:15], s[0:1]
; %bb.184:                              ;   in Loop: Header=BB166_44 Depth=1
	v_or_b32_e32 v2, 0x10000, v33
	v_cmp_eq_u32_sdwa s[0:1], v33, v17 src0_sel:WORD_0 src1_sel:DWORD
	s_nop 1
	v_cndmask_b32_e64 v2, v2, v33, s[0:1]
; %bb.185:                              ;   in Loop: Header=BB166_44 Depth=1
	s_or_b64 exec, exec, s[14:15]
	v_lshlrev_b32_e32 v7, 16, v7
	v_mul_f32_e32 v33, v35, v7
	v_and_b32_e32 v7, 0x7f800000, v33
	v_cmp_ne_u32_e64 s[0:1], s16, v7
                                        ; implicit-def: $vgpr7
	s_and_saveexec_b64 s[14:15], s[0:1]
	s_xor_b64 s[0:1], exec, s[14:15]
; %bb.186:                              ;   in Loop: Header=BB166_44 Depth=1
	v_bfe_u32 v7, v33, 16, 1
	v_add3_u32 v7, v33, v7, s17
                                        ; implicit-def: $vgpr33
; %bb.187:                              ;   in Loop: Header=BB166_44 Depth=1
	s_andn2_saveexec_b64 s[14:15], s[0:1]
; %bb.188:                              ;   in Loop: Header=BB166_44 Depth=1
	v_or_b32_e32 v7, 0x10000, v33
	v_cmp_eq_u32_sdwa s[0:1], v33, v17 src0_sel:WORD_0 src1_sel:DWORD
	s_nop 1
	v_cndmask_b32_e64 v7, v7, v33, s[0:1]
; %bb.189:                              ;   in Loop: Header=BB166_44 Depth=1
	s_or_b64 exec, exec, s[14:15]
	v_lshlrev_b32_e32 v3, 16, v3
	v_mul_f32_e32 v33, v36, v3
	v_and_b32_e32 v3, 0x7f800000, v33
	v_cmp_ne_u32_e64 s[0:1], s16, v3
                                        ; implicit-def: $vgpr3
	s_and_saveexec_b64 s[14:15], s[0:1]
	s_xor_b64 s[0:1], exec, s[14:15]
; %bb.190:                              ;   in Loop: Header=BB166_44 Depth=1
	v_bfe_u32 v3, v33, 16, 1
	v_add3_u32 v3, v33, v3, s17
                                        ; implicit-def: $vgpr33
; %bb.191:                              ;   in Loop: Header=BB166_44 Depth=1
	s_andn2_saveexec_b64 s[14:15], s[0:1]
; %bb.192:                              ;   in Loop: Header=BB166_44 Depth=1
	v_or_b32_e32 v3, 0x10000, v33
	v_cmp_eq_u32_sdwa s[0:1], v33, v17 src0_sel:WORD_0 src1_sel:DWORD
	s_nop 1
	v_cndmask_b32_e64 v3, v3, v33, s[0:1]
; %bb.193:                              ;   in Loop: Header=BB166_44 Depth=1
	s_or_b64 exec, exec, s[14:15]
	v_lshlrev_b32_e32 v33, 16, v56
	v_mul_f32_e32 v34, v37, v33
	v_and_b32_e32 v33, 0x7f800000, v34
	v_cmp_ne_u32_e64 s[0:1], s16, v33
                                        ; implicit-def: $vgpr33
	s_and_saveexec_b64 s[14:15], s[0:1]
	s_xor_b64 s[0:1], exec, s[14:15]
; %bb.194:                              ;   in Loop: Header=BB166_44 Depth=1
	v_bfe_u32 v33, v34, 16, 1
	v_add3_u32 v33, v34, v33, s17
                                        ; implicit-def: $vgpr34
; %bb.195:                              ;   in Loop: Header=BB166_44 Depth=1
	s_andn2_saveexec_b64 s[14:15], s[0:1]
; %bb.196:                              ;   in Loop: Header=BB166_44 Depth=1
	v_or_b32_e32 v33, 0x10000, v34
	v_cmp_eq_u32_sdwa s[0:1], v34, v17 src0_sel:WORD_0 src1_sel:DWORD
	s_nop 1
	v_cndmask_b32_e64 v33, v33, v34, s[0:1]
; %bb.197:                              ;   in Loop: Header=BB166_44 Depth=1
	s_or_b64 exec, exec, s[14:15]
	v_lshlrev_b32_e32 v4, 16, v4
	v_mul_f32_e32 v34, v38, v4
	v_and_b32_e32 v4, 0x7f800000, v34
	v_cmp_ne_u32_e64 s[0:1], s16, v4
                                        ; implicit-def: $vgpr4
	s_and_saveexec_b64 s[14:15], s[0:1]
	s_xor_b64 s[0:1], exec, s[14:15]
; %bb.198:                              ;   in Loop: Header=BB166_44 Depth=1
	v_bfe_u32 v4, v34, 16, 1
	v_add3_u32 v4, v34, v4, s17
                                        ; implicit-def: $vgpr34
; %bb.199:                              ;   in Loop: Header=BB166_44 Depth=1
	s_andn2_saveexec_b64 s[14:15], s[0:1]
; %bb.200:                              ;   in Loop: Header=BB166_44 Depth=1
	v_or_b32_e32 v4, 0x10000, v34
	v_cmp_eq_u32_sdwa s[0:1], v34, v17 src0_sel:WORD_0 src1_sel:DWORD
	s_nop 1
	v_cndmask_b32_e64 v4, v4, v34, s[0:1]
; %bb.201:                              ;   in Loop: Header=BB166_44 Depth=1
	s_or_b64 exec, exec, s[14:15]
	v_lshlrev_b32_e32 v21, 16, v21
	v_mul_f32_e32 v34, v39, v21
	v_and_b32_e32 v21, 0x7f800000, v34
	v_cmp_ne_u32_e64 s[0:1], s16, v21
                                        ; implicit-def: $vgpr21
	s_and_saveexec_b64 s[14:15], s[0:1]
	s_xor_b64 s[0:1], exec, s[14:15]
; %bb.202:                              ;   in Loop: Header=BB166_44 Depth=1
	v_bfe_u32 v21, v34, 16, 1
	v_add3_u32 v21, v34, v21, s17
                                        ; implicit-def: $vgpr34
; %bb.203:                              ;   in Loop: Header=BB166_44 Depth=1
	s_andn2_saveexec_b64 s[14:15], s[0:1]
; %bb.204:                              ;   in Loop: Header=BB166_44 Depth=1
	v_or_b32_e32 v21, 0x10000, v34
	v_cmp_eq_u32_sdwa s[0:1], v34, v17 src0_sel:WORD_0 src1_sel:DWORD
	s_nop 1
	v_cndmask_b32_e64 v21, v21, v34, s[0:1]
; %bb.205:                              ;   in Loop: Header=BB166_44 Depth=1
	s_or_b64 exec, exec, s[14:15]
	v_lshlrev_b32_e32 v5, 16, v5
	v_mul_f32_e32 v34, v40, v5
	v_and_b32_e32 v5, 0x7f800000, v34
	v_cmp_ne_u32_e64 s[0:1], s16, v5
                                        ; implicit-def: $vgpr5
	s_and_saveexec_b64 s[14:15], s[0:1]
	s_xor_b64 s[0:1], exec, s[14:15]
; %bb.206:                              ;   in Loop: Header=BB166_44 Depth=1
	v_bfe_u32 v5, v34, 16, 1
	v_add3_u32 v5, v34, v5, s17
                                        ; implicit-def: $vgpr34
; %bb.207:                              ;   in Loop: Header=BB166_44 Depth=1
	s_andn2_saveexec_b64 s[14:15], s[0:1]
; %bb.208:                              ;   in Loop: Header=BB166_44 Depth=1
	v_or_b32_e32 v5, 0x10000, v34
	v_cmp_eq_u32_sdwa s[0:1], v34, v17 src0_sel:WORD_0 src1_sel:DWORD
	s_nop 1
	v_cndmask_b32_e64 v5, v5, v34, s[0:1]
; %bb.209:                              ;   in Loop: Header=BB166_44 Depth=1
	s_or_b64 exec, exec, s[14:15]
	v_lshlrev_b32_e32 v6, 16, v6
	v_mul_f32_e32 v6, v41, v6
	v_and_b32_e32 v34, 0x7f800000, v6
	v_cmp_ne_u32_e64 s[0:1], s16, v34
                                        ; implicit-def: $vgpr34
	s_and_saveexec_b64 s[14:15], s[0:1]
	s_xor_b64 s[0:1], exec, s[14:15]
; %bb.210:                              ;   in Loop: Header=BB166_44 Depth=1
	v_bfe_u32 v34, v6, 16, 1
	v_add3_u32 v34, v6, v34, s17
                                        ; implicit-def: $vgpr6
; %bb.211:                              ;   in Loop: Header=BB166_44 Depth=1
	s_andn2_saveexec_b64 s[14:15], s[0:1]
	s_cbranch_execz .LBB166_42
; %bb.212:                              ;   in Loop: Header=BB166_44 Depth=1
	v_or_b32_e32 v34, 0x10000, v6
	v_cmp_eq_u32_sdwa s[0:1], v6, v17 src0_sel:WORD_0 src1_sel:DWORD
	s_nop 1
	v_cndmask_b32_e64 v34, v34, v6, s[0:1]
	s_branch .LBB166_42
.LBB166_213:
	s_or_b64 exec, exec, s[12:13]
.LBB166_214:
	s_or_b64 exec, exec, s[10:11]
	ds_bpermute_b32 v2, v1, v14
	ds_bpermute_b32 v3, v1, v15
	;; [unrolled: 1-line block ×4, first 2 shown]
	v_and_b32_e32 v1, 0x3c0, v0
	v_cmp_eq_u32_e32 vcc, 64, v1
	s_waitcnt lgkmcnt(2)
	v_pk_add_f32 v[4:5], v[14:15], v[2:3]
	s_waitcnt lgkmcnt(0)
	v_pk_add_f32 v[2:3], v[12:13], v[6:7]
	s_barrier
	s_and_saveexec_b64 s[2:3], vcc
	s_cbranch_execz .LBB166_219
; %bb.215:
	v_cmp_eq_u32_e32 vcc, 0, v22
	s_and_saveexec_b64 s[0:1], vcc
	s_cbranch_execz .LBB166_217
; %bb.216:
	v_mov_b32_e32 v1, 0xf0
	v_lshl_add_u32 v1, v23, 2, v1
	ds_write2_b32 v1, v4, v5 offset1:32
	ds_write_b32 v1, v2 offset:256
.LBB166_217:
	s_or_b64 exec, exec, s[0:1]
	v_or_b32_e32 v1, 0x60, v23
	s_movk_i32 s0, 0x70
	v_cmp_gt_u32_e64 s[0:1], s0, v1
	s_and_b64 s[0:1], vcc, s[0:1]
	s_and_b64 exec, exec, s[0:1]
	s_cbranch_execz .LBB166_219
; %bb.218:
	v_mov_b32_e32 v1, 0xf0
	v_lshl_add_u32 v1, v23, 2, v1
	ds_write_b32 v1, v3 offset:384
.LBB166_219:
	s_or_b64 exec, exec, s[2:3]
	v_cmp_gt_u32_e32 vcc, 64, v0
	v_lshrrev_b32_e32 v6, 1, v0
	s_waitcnt lgkmcnt(0)
	s_barrier
	s_and_saveexec_b64 s[8:9], vcc
	s_cbranch_execz .LBB166_227
; %bb.220:
	v_cmp_eq_u32_e64 s[0:1], 0, v22
	s_and_saveexec_b64 s[2:3], s[0:1]
	s_cbranch_execnz .LBB166_249
; %bb.221:
	s_or_b64 exec, exec, s[2:3]
	s_and_saveexec_b64 s[2:3], s[0:1]
	s_cbranch_execnz .LBB166_250
.LBB166_222:
	s_or_b64 exec, exec, s[2:3]
	s_and_saveexec_b64 s[2:3], s[0:1]
	s_cbranch_execz .LBB166_224
.LBB166_223:
	v_mov_b32_e32 v0, 0xf0
	v_lshl_add_u32 v0, v6, 2, v0
	ds_read_b32 v0, v0 offset:256
	s_waitcnt lgkmcnt(0)
	v_add_f32_e32 v2, v2, v0
.LBB166_224:
	s_or_b64 exec, exec, s[2:3]
	v_or_b32_e32 v0, 0x60, v6
	s_movk_i32 s2, 0x70
	v_cmp_gt_u32_e64 s[2:3], s2, v0
	s_and_b64 s[2:3], s[0:1], s[2:3]
	s_and_saveexec_b64 s[0:1], s[2:3]
	s_cbranch_execz .LBB166_226
; %bb.225:
	v_mov_b32_e32 v0, 0xf0
	v_lshl_add_u32 v0, v6, 2, v0
	ds_read_b32 v0, v0 offset:384
	s_waitcnt lgkmcnt(0)
	v_add_f32_e32 v3, v3, v0
.LBB166_226:
	s_or_b64 exec, exec, s[0:1]
.LBB166_227:
	s_or_b64 exec, exec, s[8:9]
	s_barrier
	s_and_saveexec_b64 s[0:1], vcc
	s_cbranch_execz .LBB166_248
; %bb.228:
	s_mul_i32 s0, s6, 0x70
	s_ashr_i32 s1, s0, 31
	s_lshl_b64 s[0:1], s[0:1], 1
	s_add_u32 s2, s22, s0
	s_mul_i32 s0, s21, s20
	s_addc_u32 s3, s23, s1
	s_ashr_i32 s1, s0, 31
	s_lshl_b64 s[0:1], s[0:1], 1
	s_add_u32 s2, s2, s0
	s_mul_i32 s0, s4, 0x70
	s_addc_u32 s3, s3, s1
	s_ashr_i32 s1, s0, 31
	s_lshl_b64 s[0:1], s[0:1], 1
	s_add_u32 s2, s2, s0
	s_addc_u32 s3, s3, s1
	v_cmp_eq_u32_e32 vcc, 0, v22
	s_and_saveexec_b64 s[4:5], vcc
	s_cbranch_execz .LBB166_242
; %bb.229:
	s_mov_b32 s0, 0x7f800000
	v_and_b32_e32 v0, 0x7f800000, v4
	v_cmp_ne_u32_e64 s[0:1], s0, v0
                                        ; implicit-def: $vgpr7
	s_and_saveexec_b64 s[6:7], s[0:1]
	s_xor_b64 s[0:1], exec, s[6:7]
; %bb.230:
	v_bfe_u32 v0, v4, 16, 1
	s_movk_i32 s6, 0x7fff
	v_add3_u32 v7, v4, v0, s6
; %bb.231:
	s_andn2_saveexec_b64 s[6:7], s[0:1]
; %bb.232:
	v_mov_b32_e32 v0, 0
	v_or_b32_e32 v1, 0x10000, v4
	v_cmp_eq_u32_sdwa s[0:1], v4, v0 src0_sel:WORD_0 src1_sel:DWORD
	s_nop 1
	v_cndmask_b32_e64 v7, v1, v4, s[0:1]
; %bb.233:
	s_or_b64 exec, exec, s[6:7]
	s_mov_b32 s0, 0x7f800000
	v_and_b32_e32 v4, 0x7f800000, v5
	v_lshlrev_b32_e32 v0, 1, v6
	v_mov_b32_e32 v1, 0
	v_cmp_ne_u32_e64 s[0:1], s0, v4
	global_store_short_d16_hi v0, v7, s[2:3]
                                        ; implicit-def: $vgpr4
	s_and_saveexec_b64 s[6:7], s[0:1]
	s_xor_b64 s[0:1], exec, s[6:7]
; %bb.234:
	v_bfe_u32 v4, v5, 16, 1
	s_movk_i32 s6, 0x7fff
	v_add3_u32 v4, v5, v4, s6
; %bb.235:
	s_or_saveexec_b64 s[6:7], s[0:1]
	v_lshl_add_u64 v[0:1], s[2:3], 0, v[0:1]
	s_xor_b64 exec, exec, s[6:7]
; %bb.236:
	v_mov_b32_e32 v4, 0
	v_or_b32_e32 v7, 0x10000, v5
	v_cmp_eq_u32_sdwa s[0:1], v5, v4 src0_sel:WORD_0 src1_sel:DWORD
	s_nop 1
	v_cndmask_b32_e64 v4, v7, v5, s[0:1]
; %bb.237:
	s_or_b64 exec, exec, s[6:7]
	global_store_short_d16_hi v[0:1], v4, off offset:64
	s_mov_b32 s0, 0x7f800000
	v_and_b32_e32 v4, 0x7f800000, v2
	v_cmp_ne_u32_e64 s[0:1], s0, v4
                                        ; implicit-def: $vgpr4
	s_and_saveexec_b64 s[6:7], s[0:1]
	s_xor_b64 s[0:1], exec, s[6:7]
; %bb.238:
	v_bfe_u32 v4, v2, 16, 1
	s_movk_i32 s6, 0x7fff
	v_add3_u32 v4, v2, v4, s6
; %bb.239:
	s_andn2_saveexec_b64 s[6:7], s[0:1]
; %bb.240:
	v_mov_b32_e32 v4, 0
	v_or_b32_e32 v5, 0x10000, v2
	v_cmp_eq_u32_sdwa s[0:1], v2, v4 src0_sel:WORD_0 src1_sel:DWORD
	s_nop 1
	v_cndmask_b32_e64 v4, v5, v2, s[0:1]
; %bb.241:
	s_or_b64 exec, exec, s[6:7]
	global_store_short_d16_hi v[0:1], v4, off offset:128
.LBB166_242:
	s_or_b64 exec, exec, s[4:5]
	v_or_b32_e32 v0, 0x60, v6
	s_movk_i32 s0, 0x70
	v_cmp_gt_u32_e64 s[0:1], s0, v0
	s_and_b64 s[0:1], vcc, s[0:1]
	s_and_b64 exec, exec, s[0:1]
	s_cbranch_execz .LBB166_248
; %bb.243:
	s_mov_b32 s0, 0x7f800000
	v_and_b32_e32 v0, 0x7f800000, v3
	v_cmp_ne_u32_e32 vcc, s0, v0
                                        ; implicit-def: $vgpr4
	s_and_saveexec_b64 s[0:1], vcc
	s_xor_b64 s[0:1], exec, s[0:1]
; %bb.244:
	v_bfe_u32 v0, v3, 16, 1
	s_movk_i32 s4, 0x7fff
	v_add3_u32 v4, v3, v0, s4
                                        ; implicit-def: $vgpr0_vgpr1_vgpr2_vgpr3
; %bb.245:
	s_andn2_saveexec_b64 s[0:1], s[0:1]
; %bb.246:
	v_mov_b32_e32 v0, 0
	v_or_b32_e32 v1, 0x10000, v3
	v_cmp_eq_u32_sdwa vcc, v3, v0 src0_sel:WORD_0 src1_sel:DWORD
	s_nop 1
	v_cndmask_b32_e32 v4, v1, v3, vcc
; %bb.247:
	s_or_b64 exec, exec, s[0:1]
	v_lshlrev_b32_e32 v0, 1, v6
	global_store_short_d16_hi v0, v4, s[2:3] offset:192
.LBB166_248:
	s_endpgm
.LBB166_249:
	v_mov_b32_e32 v0, 0xf0
	v_lshl_add_u32 v0, v6, 2, v0
	ds_read_b32 v0, v0
	s_waitcnt lgkmcnt(0)
	v_add_f32_e32 v4, v4, v0
	s_or_b64 exec, exec, s[2:3]
	s_and_saveexec_b64 s[2:3], s[0:1]
	s_cbranch_execz .LBB166_222
.LBB166_250:
	v_mov_b32_e32 v0, 0xf0
	v_lshl_add_u32 v0, v6, 2, v0
	ds_read_b32 v0, v0 offset:128
	s_waitcnt lgkmcnt(0)
	v_add_f32_e32 v5, v5, v0
	s_or_b64 exec, exec, s[2:3]
	s_and_saveexec_b64 s[2:3], s[0:1]
	s_cbranch_execnz .LBB166_223
	s_branch .LBB166_224
	.section	.rodata,"a",@progbits
	.p2align	6, 0x0
	.amdhsa_kernel _ZN4vllm25paged_attention_v2_kernelI14__hip_bfloat16S1_Li112ELi16ELi128ELNS_18Fp8KVCacheDataTypeE0ELb0ELi512EEEvPfS3_PT_PKS4_PKT0_SA_ifPKiSC_iPKfiiiSE_SE_iiiii
		.amdhsa_group_segment_fixed_size 240
		.amdhsa_private_segment_fixed_size 0
		.amdhsa_kernarg_size 400
		.amdhsa_user_sgpr_count 2
		.amdhsa_user_sgpr_dispatch_ptr 0
		.amdhsa_user_sgpr_queue_ptr 0
		.amdhsa_user_sgpr_kernarg_segment_ptr 1
		.amdhsa_user_sgpr_dispatch_id 0
		.amdhsa_user_sgpr_kernarg_preload_length 0
		.amdhsa_user_sgpr_kernarg_preload_offset 0
		.amdhsa_user_sgpr_private_segment_size 0
		.amdhsa_uses_dynamic_stack 0
		.amdhsa_enable_private_segment 0
		.amdhsa_system_sgpr_workgroup_id_x 1
		.amdhsa_system_sgpr_workgroup_id_y 1
		.amdhsa_system_sgpr_workgroup_id_z 1
		.amdhsa_system_sgpr_workgroup_info 0
		.amdhsa_system_vgpr_workitem_id 0
		.amdhsa_next_free_vgpr 63
		.amdhsa_next_free_sgpr 42
		.amdhsa_accum_offset 64
		.amdhsa_reserve_vcc 1
		.amdhsa_float_round_mode_32 0
		.amdhsa_float_round_mode_16_64 0
		.amdhsa_float_denorm_mode_32 3
		.amdhsa_float_denorm_mode_16_64 3
		.amdhsa_dx10_clamp 1
		.amdhsa_ieee_mode 1
		.amdhsa_fp16_overflow 0
		.amdhsa_tg_split 0
		.amdhsa_exception_fp_ieee_invalid_op 0
		.amdhsa_exception_fp_denorm_src 0
		.amdhsa_exception_fp_ieee_div_zero 0
		.amdhsa_exception_fp_ieee_overflow 0
		.amdhsa_exception_fp_ieee_underflow 0
		.amdhsa_exception_fp_ieee_inexact 0
		.amdhsa_exception_int_div_zero 0
	.end_amdhsa_kernel
	.section	.text._ZN4vllm25paged_attention_v2_kernelI14__hip_bfloat16S1_Li112ELi16ELi128ELNS_18Fp8KVCacheDataTypeE0ELb0ELi512EEEvPfS3_PT_PKS4_PKT0_SA_ifPKiSC_iPKfiiiSE_SE_iiiii,"axG",@progbits,_ZN4vllm25paged_attention_v2_kernelI14__hip_bfloat16S1_Li112ELi16ELi128ELNS_18Fp8KVCacheDataTypeE0ELb0ELi512EEEvPfS3_PT_PKS4_PKT0_SA_ifPKiSC_iPKfiiiSE_SE_iiiii,comdat
.Lfunc_end166:
	.size	_ZN4vllm25paged_attention_v2_kernelI14__hip_bfloat16S1_Li112ELi16ELi128ELNS_18Fp8KVCacheDataTypeE0ELb0ELi512EEEvPfS3_PT_PKS4_PKT0_SA_ifPKiSC_iPKfiiiSE_SE_iiiii, .Lfunc_end166-_ZN4vllm25paged_attention_v2_kernelI14__hip_bfloat16S1_Li112ELi16ELi128ELNS_18Fp8KVCacheDataTypeE0ELb0ELi512EEEvPfS3_PT_PKS4_PKT0_SA_ifPKiSC_iPKfiiiSE_SE_iiiii
                                        ; -- End function
	.section	.AMDGPU.csdata,"",@progbits
; Kernel info:
; codeLenInByte = 9224
; NumSgprs: 48
; NumVgprs: 63
; NumAgprs: 0
; TotalNumVgprs: 63
; ScratchSize: 0
; MemoryBound: 0
; FloatMode: 240
; IeeeMode: 1
; LDSByteSize: 240 bytes/workgroup (compile time only)
; SGPRBlocks: 5
; VGPRBlocks: 7
; NumSGPRsForWavesPerEU: 48
; NumVGPRsForWavesPerEU: 63
; AccumOffset: 64
; Occupancy: 8
; WaveLimiterHint : 1
; COMPUTE_PGM_RSRC2:SCRATCH_EN: 0
; COMPUTE_PGM_RSRC2:USER_SGPR: 2
; COMPUTE_PGM_RSRC2:TRAP_HANDLER: 0
; COMPUTE_PGM_RSRC2:TGID_X_EN: 1
; COMPUTE_PGM_RSRC2:TGID_Y_EN: 1
; COMPUTE_PGM_RSRC2:TGID_Z_EN: 1
; COMPUTE_PGM_RSRC2:TIDIG_COMP_CNT: 0
; COMPUTE_PGM_RSRC3_GFX90A:ACCUM_OFFSET: 15
; COMPUTE_PGM_RSRC3_GFX90A:TG_SPLIT: 0
	.section	.text._ZN4vllm25paged_attention_v2_kernelI14__hip_bfloat16S1_Li120ELi16ELi128ELNS_18Fp8KVCacheDataTypeE0ELb0ELi512EEEvPfS3_PT_PKS4_PKT0_SA_ifPKiSC_iPKfiiiSE_SE_iiiii,"axG",@progbits,_ZN4vllm25paged_attention_v2_kernelI14__hip_bfloat16S1_Li120ELi16ELi128ELNS_18Fp8KVCacheDataTypeE0ELb0ELi512EEEvPfS3_PT_PKS4_PKT0_SA_ifPKiSC_iPKfiiiSE_SE_iiiii,comdat
	.protected	_ZN4vllm25paged_attention_v2_kernelI14__hip_bfloat16S1_Li120ELi16ELi128ELNS_18Fp8KVCacheDataTypeE0ELb0ELi512EEEvPfS3_PT_PKS4_PKT0_SA_ifPKiSC_iPKfiiiSE_SE_iiiii ; -- Begin function _ZN4vllm25paged_attention_v2_kernelI14__hip_bfloat16S1_Li120ELi16ELi128ELNS_18Fp8KVCacheDataTypeE0ELb0ELi512EEEvPfS3_PT_PKS4_PKT0_SA_ifPKiSC_iPKfiiiSE_SE_iiiii
	.globl	_ZN4vllm25paged_attention_v2_kernelI14__hip_bfloat16S1_Li120ELi16ELi128ELNS_18Fp8KVCacheDataTypeE0ELb0ELi512EEEvPfS3_PT_PKS4_PKT0_SA_ifPKiSC_iPKfiiiSE_SE_iiiii
	.p2align	8
	.type	_ZN4vllm25paged_attention_v2_kernelI14__hip_bfloat16S1_Li120ELi16ELi128ELNS_18Fp8KVCacheDataTypeE0ELb0ELi512EEEvPfS3_PT_PKS4_PKT0_SA_ifPKiSC_iPKfiiiSE_SE_iiiii,@function
_ZN4vllm25paged_attention_v2_kernelI14__hip_bfloat16S1_Li120ELi16ELi128ELNS_18Fp8KVCacheDataTypeE0ELb0ELi512EEEvPfS3_PT_PKS4_PKT0_SA_ifPKiSC_iPKfiiiSE_SE_iiiii: ; @_ZN4vllm25paged_attention_v2_kernelI14__hip_bfloat16S1_Li120ELi16ELi128ELNS_18Fp8KVCacheDataTypeE0ELb0ELi512EEEvPfS3_PT_PKS4_PKT0_SA_ifPKiSC_iPKfiiiSE_SE_iiiii
; %bb.0:
	s_load_dwordx2 s[6:7], s[0:1], 0x40
	s_mov_b32 s24, s3
	s_ashr_i32 s25, s3, 31
	s_lshl_b64 s[8:9], s[24:25], 2
	s_waitcnt lgkmcnt(0)
	s_add_u32 s6, s6, s8
	s_addc_u32 s7, s7, s9
	s_load_dword s25, s[6:7], 0x0
	s_lshl_b32 s40, s4, 9
	s_waitcnt lgkmcnt(0)
	s_cmp_ge_i32 s40, s25
	s_cbranch_scc1 .LBB167_248
; %bb.1:
	s_load_dword s5, s[0:1], 0x90
	s_load_dwordx2 s[10:11], s[0:1], 0x30
	s_mov_b32 s41, 0
	s_waitcnt lgkmcnt(0)
	s_abs_i32 s7, s5
	s_abs_i32 s3, s10
	v_cvt_f32_u32_e32 v1, s3
	s_sub_i32 s8, 0, s3
	s_xor_b32 s6, s5, s10
	s_ashr_i32 s6, s6, 31
	v_rcp_iflag_f32_e32 v1, v1
	s_nop 0
	v_mul_f32_e32 v1, 0x4f7ffffe, v1
	v_cvt_u32_f32_e32 v1, v1
	s_nop 0
	v_readfirstlane_b32 s9, v1
	s_mul_i32 s8, s8, s9
	s_mul_hi_u32 s8, s9, s8
	s_add_i32 s9, s9, s8
	s_mul_hi_u32 s8, s7, s9
	s_mul_i32 s9, s8, s3
	s_sub_i32 s7, s7, s9
	s_add_i32 s10, s8, 1
	s_sub_i32 s9, s7, s3
	s_cmp_ge_u32 s7, s3
	s_cselect_b32 s8, s10, s8
	s_cselect_b32 s7, s9, s7
	s_add_i32 s9, s8, 1
	s_cmp_ge_u32 s7, s3
	s_cselect_b32 s3, s9, s8
	s_xor_b32 s3, s3, s6
	s_sub_i32 s10, s3, s6
	s_abs_i32 s8, s10
	v_cvt_f32_u32_e32 v1, s8
	s_load_dwordx2 s[6:7], s[0:1], 0x50
	s_sub_i32 s3, 0, s8
	s_abs_i32 s9, s2
	v_rcp_iflag_f32_e32 v1, v1
	s_nop 0
	v_mul_f32_e32 v1, 0x4f7ffffe, v1
	v_cvt_u32_f32_e32 v1, v1
	s_nop 0
	v_readfirstlane_b32 s12, v1
	s_mul_i32 s3, s3, s12
	s_mul_hi_u32 s3, s12, s3
	s_add_i32 s12, s12, s3
	s_waitcnt lgkmcnt(0)
	s_cmp_eq_u64 s[6:7], 0
	s_mul_hi_u32 s16, s9, s12
	s_cbranch_scc1 .LBB167_3
; %bb.2:
	s_ashr_i32 s3, s2, 31
	s_lshl_b64 s[12:13], s[2:3], 2
	s_add_u32 s6, s6, s12
	s_addc_u32 s7, s7, s13
	s_load_dword s41, s[6:7], 0x0
.LBB167_3:
	s_load_dwordx4 s[12:15], s[0:1], 0x58
	s_ashr_i32 s17, s2, 31
	s_waitcnt lgkmcnt(0)
	s_ashr_i32 s15, s10, 31
	v_and_b32_e32 v4, 3, v0
	s_mul_i32 s20, s2, 0x78
	v_cmp_gt_u32_e32 vcc, 60, v0
	s_and_saveexec_b64 s[6:7], vcc
	s_cbranch_execz .LBB167_5
; %bb.4:
	s_load_dwordx2 s[18:19], s[0:1], 0x18
	s_mul_i32 s22, s24, s12
	s_ashr_i32 s23, s22, 31
	s_lshl_b64 s[22:23], s[22:23], 1
	v_lshlrev_b32_e32 v1, 2, v0
	s_waitcnt lgkmcnt(0)
	s_add_u32 s3, s18, s22
	s_addc_u32 s10, s19, s23
	s_ashr_i32 s21, s20, 31
	s_lshl_b64 s[18:19], s[20:21], 1
	s_add_u32 s18, s3, s18
	s_addc_u32 s19, s10, s19
	global_load_dword v1, v1, s[18:19]
	v_and_b32_e32 v2, 0x3fc, v0
	v_mad_u32_u24 v2, v4, 60, v2
	s_waitcnt vmcnt(0)
	ds_write_b32 v2, v1
.LBB167_5:
	s_or_b64 exec, exec, s[6:7]
	s_add_i32 s3, s25, 15
	s_ashr_i32 s6, s3, 31
	s_lshr_b32 s6, s6, 28
	s_add_i32 s3, s3, s6
	s_lshl_b32 s10, s4, 5
	s_mul_i32 s7, s16, s8
	s_ashr_i32 s3, s3, 4
	s_add_i32 s6, s10, 32
	s_sub_i32 s7, s9, s7
	s_min_i32 s33, s6, s3
	s_xor_b32 s6, s17, s15
	s_add_i32 s9, s16, 1
	s_sub_i32 s12, s7, s8
	s_cmp_ge_u32 s7, s8
	s_cselect_b32 s9, s9, s16
	s_cselect_b32 s7, s12, s7
	s_add_i32 s12, s9, 1
	s_cmp_ge_u32 s7, s8
	s_load_dwordx2 s[26:27], s[0:1], 0x38
	s_load_dword s8, s[0:1], 0x48
	v_lshrrev_b32_e32 v6, 6, v0
	s_cselect_b32 s7, s12, s9
	s_xor_b32 s7, s7, s6
	v_or_b32_e32 v10, s10, v6
	s_waitcnt lgkmcnt(0)
	s_mul_i32 s28, s24, s8
	s_sub_i32 s12, s7, s6
	s_ashr_i32 s29, s28, 31
	v_cmp_gt_i32_e64 s[8:9], s33, v10
	v_cmp_le_i32_e32 vcc, s33, v10
	v_mbcnt_lo_u32_b32 v5, -1, 0
	s_barrier
	s_waitcnt lgkmcnt(0)
                                        ; implicit-def: $sgpr15
                                        ; implicit-def: $vgpr7
                                        ; implicit-def: $vgpr8
	s_and_saveexec_b64 s[6:7], vcc
	s_xor_b64 s[6:7], exec, s[6:7]
; %bb.6:
	v_mbcnt_hi_u32_b32 v7, -1, v5
	v_and_b32_e32 v1, 64, v7
	v_add_u32_e32 v8, 64, v1
	s_mov_b32 s15, 0xff7fffff
                                        ; implicit-def: $vgpr4
                                        ; implicit-def: $vgpr5
; %bb.7:
	s_or_saveexec_b64 s[34:35], s[6:7]
	s_load_dwordx4 s[16:19], s[0:1], 0x0
	s_load_dwordx2 s[22:23], s[0:1], 0x10
	s_load_dwordx2 s[30:31], s[0:1], 0x28
	s_load_dword s21, s[0:1], 0x98
	v_mov_b32_e32 v37, s15
	s_mul_i32 s14, s12, s14
	v_ashrrev_i32_e32 v11, 31, v10
	s_xor_b64 exec, exec, s[34:35]
	s_cbranch_execz .LBB167_13
; %bb.8:
	s_load_dwordx2 s[0:1], s[0:1], 0x20
	v_mul_u32_u24_e32 v7, 60, v4
	ds_read2_b32 v[12:13], v7 offset1:1
	ds_read2_b32 v[16:17], v7 offset0:2 offset1:3
	ds_read2_b32 v[20:21], v7 offset0:4 offset1:5
	;; [unrolled: 1-line block ×6, first 2 shown]
	ds_read_b32 v7, v7 offset:56
	s_ashr_i32 s15, s14, 31
	s_lshl_b64 s[6:7], s[14:15], 1
	v_bfe_u32 v44, v0, 2, 4
	s_waitcnt lgkmcnt(0)
	s_add_u32 s0, s0, s6
	s_addc_u32 s1, s1, s7
	v_lshlrev_b32_e32 v2, 4, v44
	v_mov_b32_e32 v3, 0
	v_lshlrev_b32_e32 v1, 2, v0
	v_lshlrev_b32_e32 v39, 16, v7
	v_and_b32_e32 v40, 0xffff0000, v7
	v_mbcnt_hi_u32_b32 v7, -1, v5
	v_lshl_add_u64 v[8:9], s[0:1], 0, v[2:3]
	v_and_b32_e32 v2, 12, v1
	v_and_b32_e32 v5, 64, v7
	v_lshl_add_u64 v[2:3], v[8:9], 0, v[2:3]
	v_add_u32_e32 v8, 64, v5
	v_xor_b32_e32 v5, 2, v7
	v_cmp_lt_i32_e32 vcc, v5, v8
	s_sub_i32 s15, 1, s25
	s_lshl_b64 s[0:1], s[28:29], 2
	v_cndmask_b32_e32 v5, v7, v5, vcc
	v_lshlrev_b32_e32 v41, 2, v5
	v_xor_b32_e32 v5, 1, v7
	v_cmp_lt_i32_e32 vcc, v5, v8
	s_add_u32 s0, s26, s0
	s_addc_u32 s1, s27, s1
	v_cndmask_b32_e32 v5, v7, v5, vcc
	v_cmp_eq_u32_e32 vcc, 0, v4
	v_lshlrev_b32_e32 v4, 4, v6
	v_add3_u32 v43, s40, v4, v44
	v_lshlrev_b32_e32 v4, 2, v44
	v_lshl_or_b32 v4, v6, 6, v4
	s_mov_b32 s12, s13
	v_lshlrev_b32_e32 v1, 16, v12
	v_and_b32_e32 v9, 0xffff0000, v12
	v_lshlrev_b32_e32 v12, 16, v13
	v_and_b32_e32 v13, 0xffff0000, v13
	;; [unrolled: 2-line block ×14, first 2 shown]
	v_lshlrev_b32_e32 v42, 2, v5
	v_cmp_neq_f32_e64 s[6:7], s41, 0
	v_add_u32_e32 v44, 0x100, v4
	v_lshl_add_u64 v[4:5], v[10:11], 2, s[0:1]
	s_mov_b64 s[36:37], 0
	v_mov_b32_e32 v37, 0xff7fffff
	v_mov_b32_e32 v45, v10
	s_branch .LBB167_10
.LBB167_9:                              ;   in Loop: Header=BB167_10 Depth=1
	s_or_b64 exec, exec, s[38:39]
	v_add_u32_e32 v45, 2, v45
	v_cmp_le_i32_e64 s[0:1], s33, v45
	v_add_u32_e32 v43, 32, v43
	v_add_u32_e32 v44, 0x80, v44
	s_or_b64 s[36:37], s[0:1], s[36:37]
	v_lshl_add_u64 v[4:5], v[4:5], 0, 8
	s_andn2_b64 exec, exec, s[36:37]
	s_cbranch_execz .LBB167_12
.LBB167_10:                             ; =>This Inner Loop Header: Depth=1
	global_load_dword v46, v[4:5], off
	s_waitcnt vmcnt(0) lgkmcnt(0)
	v_mad_i64_i32 v[46:47], s[0:1], v46, s12, 0
	v_lshl_add_u64 v[46:47], v[46:47], 1, v[2:3]
	global_load_dword v48, v[46:47], off
	global_load_dword v49, v[46:47], off offset:256
	global_load_dword v50, v[46:47], off offset:512
	;; [unrolled: 1-line block ×14, first 2 shown]
	s_waitcnt vmcnt(14)
	v_lshlrev_b32_e32 v46, 16, v48
	v_and_b32_e32 v47, 0xffff0000, v48
	s_waitcnt vmcnt(13)
	v_lshlrev_b32_e32 v48, 16, v49
	v_and_b32_e32 v49, 0xffff0000, v49
	v_mul_f32_e32 v48, v12, v48
	v_mul_f32_e32 v49, v13, v49
	v_fmac_f32_e32 v48, v1, v46
	s_waitcnt vmcnt(12)
	v_lshlrev_b32_e32 v46, 16, v50
	v_and_b32_e32 v50, 0xffff0000, v50
	v_fmac_f32_e32 v49, v9, v47
	s_waitcnt vmcnt(11)
	v_lshlrev_b32_e32 v47, 16, v51
	v_and_b32_e32 v51, 0xffff0000, v51
	v_fmac_f32_e32 v48, v14, v46
	v_fmac_f32_e32 v49, v15, v50
	s_waitcnt vmcnt(10)
	v_lshlrev_b32_e32 v46, 16, v52
	v_and_b32_e32 v52, 0xffff0000, v52
	v_fmac_f32_e32 v48, v16, v47
	;; [unrolled: 5-line block ×12, first 2 shown]
	v_fmac_f32_e32 v49, v38, v61
	v_fmac_f32_e32 v48, v39, v51
	;; [unrolled: 1-line block ×3, first 2 shown]
	v_add_f32_e32 v46, v48, v49
	ds_bpermute_b32 v47, v41, v46
	s_waitcnt lgkmcnt(0)
	v_add_f32_e32 v46, v46, v47
	ds_bpermute_b32 v47, v42, v46
	s_and_saveexec_b64 s[38:39], vcc
	s_cbranch_execz .LBB167_9
; %bb.11:                               ;   in Loop: Header=BB167_10 Depth=1
	v_add_u32_e32 v48, s15, v43
	v_cvt_f32_i32_e32 v48, v48
	s_waitcnt lgkmcnt(0)
	v_add_f32_e32 v46, v46, v47
	v_cmp_gt_i32_e64 s[0:1], s25, v43
	v_max_f32_e32 v47, v37, v37
	v_mul_f32_e32 v48, s41, v48
	v_cndmask_b32_e64 v48, 0, v48, s[6:7]
	v_fmac_f32_e32 v48, s11, v46
	v_cndmask_b32_e64 v46, 0, v48, s[0:1]
	ds_write_b32 v44, v46
	v_max_f32_e32 v46, v47, v48
	v_cndmask_b32_e64 v37, v37, v46, s[0:1]
	s_branch .LBB167_9
.LBB167_12:
	s_or_b64 exec, exec, s[36:37]
.LBB167_13:
	s_or_b64 exec, exec, s[34:35]
	v_xor_b32_e32 v1, 32, v7
	v_cmp_lt_i32_e32 vcc, v1, v8
	v_xor_b32_e32 v4, 16, v7
	v_max_f32_e32 v3, v37, v37
	v_cndmask_b32_e32 v1, v7, v1, vcc
	v_lshlrev_b32_e32 v2, 2, v1
	ds_bpermute_b32 v1, v2, v37
	v_cmp_lt_i32_e32 vcc, v4, v8
	v_xor_b32_e32 v5, 8, v7
	v_lshlrev_b32_e32 v9, 2, v6
	s_waitcnt lgkmcnt(0)
	v_max_f32_e32 v1, v1, v1
	v_max_f32_e32 v1, v3, v1
	v_cndmask_b32_e32 v3, v7, v4, vcc
	v_lshlrev_b32_e32 v3, 2, v3
	ds_bpermute_b32 v4, v3, v1
	v_cmp_lt_i32_e32 vcc, v5, v8
	s_waitcnt lgkmcnt(0)
	v_max_f32_e32 v4, v4, v4
	v_max_f32_e32 v1, v1, v4
	v_cndmask_b32_e32 v4, v7, v5, vcc
	v_lshlrev_b32_e32 v13, 2, v4
	ds_bpermute_b32 v4, v13, v1
	v_xor_b32_e32 v5, 4, v7
	v_cmp_lt_i32_e32 vcc, v5, v8
	s_waitcnt lgkmcnt(0)
	v_max_f32_e32 v4, v4, v4
	v_max_f32_e32 v1, v1, v4
	v_cndmask_b32_e32 v4, v7, v5, vcc
	v_lshlrev_b32_e32 v14, 2, v4
	ds_bpermute_b32 v5, v14, v1
	v_and_b32_e32 v4, 63, v0
	v_cmp_eq_u32_e32 vcc, 0, v4
	s_and_saveexec_b64 s[0:1], vcc
	s_cbranch_execz .LBB167_15
; %bb.14:
	s_waitcnt lgkmcnt(0)
	v_max_f32_e32 v5, v5, v5
	v_max_f32_e32 v1, v1, v1
	;; [unrolled: 1-line block ×3, first 2 shown]
	ds_write_b32 v9, v1 offset:240
.LBB167_15:
	s_or_b64 exec, exec, s[0:1]
	v_cmp_gt_u32_e64 s[0:1], 2, v4
	s_waitcnt lgkmcnt(0)
	v_mov_b32_e32 v5, 0xff7fffff
	v_lshlrev_b32_e32 v12, 2, v4
	s_barrier
	s_and_saveexec_b64 s[6:7], s[0:1]
	s_cbranch_execz .LBB167_17
; %bb.16:
	ds_read_b32 v5, v12 offset:240
.LBB167_17:
	s_or_b64 exec, exec, s[6:7]
	v_xor_b32_e32 v1, 1, v7
	v_cmp_lt_i32_e64 s[6:7], v1, v8
	v_mov_b32_e32 v16, 0
	s_nop 0
	v_cndmask_b32_e64 v1, v7, v1, s[6:7]
	v_lshlrev_b32_e32 v1, 2, v1
	s_waitcnt lgkmcnt(0)
	ds_bpermute_b32 v15, v1, v5
	v_max_f32_e32 v5, v5, v5
	s_sub_i32 s6, s33, s10
	s_lshl_b32 s6, s6, 4
	s_add_i32 s6, s6, s40
	s_waitcnt lgkmcnt(0)
	v_max_f32_e32 v15, v15, v15
	v_max_f32_e32 v5, v5, v15
	v_lshlrev_b32_e32 v15, 2, v7
	v_and_b32_e32 v15, 0xffffff00, v15
	ds_bpermute_b32 v5, v15, v5
	s_min_i32 s15, s6, s25
	s_sub_i32 s12, s15, s40
	v_cmp_gt_i32_e64 s[6:7], s12, v0
	s_and_saveexec_b64 s[34:35], s[6:7]
	s_cbranch_execz .LBB167_21
; %bb.18:
	v_mov_b32_e32 v16, 0x100
	v_lshl_add_u32 v17, v0, 2, v16
	s_mov_b64 s[36:37], 0
	v_mov_b32_e32 v16, 0
	v_mov_b32_e32 v18, v0
.LBB167_19:                             ; =>This Inner Loop Header: Depth=1
	ds_read_b32 v19, v17
	v_add_u32_e32 v18, 0x80, v18
	v_cmp_le_i32_e64 s[10:11], s12, v18
	s_or_b64 s[36:37], s[10:11], s[36:37]
	s_waitcnt lgkmcnt(0)
	v_sub_f32_e32 v19, v19, v5
	v_mul_f32_e32 v19, 0x3fb8aa3b, v19
	v_exp_f32_e32 v19, v19
	ds_write_b32 v17, v19
	v_add_f32_e32 v16, v16, v19
	v_add_u32_e32 v17, 0x200, v17
	s_andn2_b64 exec, exec, s[36:37]
	s_cbranch_execnz .LBB167_19
; %bb.20:
	s_or_b64 exec, exec, s[36:37]
.LBB167_21:
	s_or_b64 exec, exec, s[34:35]
	ds_bpermute_b32 v2, v2, v16
	s_waitcnt lgkmcnt(0)
	v_add_f32_e32 v2, v16, v2
	ds_bpermute_b32 v3, v3, v2
	s_waitcnt lgkmcnt(0)
	v_add_f32_e32 v2, v2, v3
	ds_bpermute_b32 v3, v13, v2
	v_xor_b32_e32 v13, 2, v7
	v_cmp_lt_i32_e64 s[10:11], v13, v8
	s_waitcnt lgkmcnt(0)
	v_add_f32_e32 v2, v2, v3
	ds_bpermute_b32 v3, v14, v2
	v_cndmask_b32_e64 v7, v7, v13, s[10:11]
	s_waitcnt lgkmcnt(0)
	v_add_f32_e32 v2, v2, v3
	v_lshlrev_b32_e32 v3, 2, v7
	ds_bpermute_b32 v3, v3, v2
	s_waitcnt lgkmcnt(0)
	v_add_f32_e32 v2, v2, v3
	ds_bpermute_b32 v3, v1, v2
	s_waitcnt lgkmcnt(0)
	v_add_f32_e32 v2, v2, v3
	s_and_saveexec_b64 s[10:11], vcc
	s_cbranch_execz .LBB167_23
; %bb.22:
	ds_write_b32 v9, v2 offset:248
.LBB167_23:
	s_or_b64 exec, exec, s[10:11]
	s_waitcnt lgkmcnt(0)
	s_barrier
	s_and_saveexec_b64 s[10:11], s[0:1]
	s_cbranch_execz .LBB167_25
; %bb.24:
	ds_read_b32 v2, v12 offset:248
.LBB167_25:
	s_or_b64 exec, exec, s[10:11]
	s_waitcnt lgkmcnt(0)
	ds_bpermute_b32 v3, v1, v2
	s_waitcnt lgkmcnt(0)
	v_add_f32_e32 v2, v2, v3
	ds_bpermute_b32 v7, v15, v2
	s_and_saveexec_b64 s[0:1], s[6:7]
	s_cbranch_execz .LBB167_38
; %bb.26:
	s_waitcnt lgkmcnt(0)
	v_add_f32_e32 v2, 0x358637bd, v7
	v_div_scale_f32 v3, s[6:7], v2, v2, 1.0
	v_rcp_f32_e32 v8, v3
	v_div_scale_f32 v9, vcc, 1.0, v2, 1.0
	s_movk_i32 s6, 0x7f
	v_fma_f32 v12, -v3, v8, 1.0
	v_fmac_f32_e32 v8, v12, v8
	v_mul_f32_e32 v12, v9, v8
	v_fma_f32 v13, -v3, v12, v9
	v_fmac_f32_e32 v12, v13, v8
	v_fma_f32 v3, -v3, v12, v9
	v_div_fmas_f32 v3, v3, v8, v12
	v_div_fixup_f32 v2, v3, v2, 1.0
	v_xad_u32 v3, v0, -1, s15
	v_subrev_u32_e32 v8, s40, v3
	v_cmp_lt_u32_e32 vcc, s6, v8
	s_mov_b64 s[10:11], -1
	v_mov_b32_e32 v3, v0
	s_and_saveexec_b64 s[6:7], vcc
	s_cbranch_execz .LBB167_35
; %bb.27:
	v_lshrrev_b32_e32 v8, 7, v8
	v_add_u32_e32 v12, -1, v8
	v_lshrrev_b32_e32 v9, 1, v12
	v_mov_b32_e32 v3, v2
	v_add_u32_e32 v9, 1, v9
	v_cmp_lt_u32_e32 vcc, 13, v12
	v_mov_b32_e32 v14, 0
	s_and_saveexec_b64 s[10:11], vcc
	s_cbranch_execz .LBB167_31
; %bb.28:
	v_mov_b32_e32 v13, 0x100
	v_and_b32_e32 v12, -8, v9
	v_lshl_add_u32 v13, v0, 2, v13
	s_mov_b32 s15, 0
	s_mov_b64 s[34:35], 0
.LBB167_29:                             ; =>This Inner Loop Header: Depth=1
	ds_read2st64_b32 v[14:15], v13 offset1:2
	ds_read2st64_b32 v[16:17], v13 offset0:4 offset1:6
	ds_read2st64_b32 v[18:19], v13 offset0:8 offset1:10
	;; [unrolled: 1-line block ×3, first 2 shown]
	v_add_u32_e32 v12, -8, v12
	s_waitcnt lgkmcnt(3)
	v_pk_mul_f32 v[14:15], v[2:3], v[14:15]
	s_waitcnt lgkmcnt(2)
	v_pk_mul_f32 v[16:17], v[2:3], v[16:17]
	ds_write2st64_b32 v13, v14, v15 offset1:2
	ds_write2st64_b32 v13, v16, v17 offset0:4 offset1:6
	ds_read2st64_b32 v[16:17], v13 offset0:16 offset1:18
	s_waitcnt lgkmcnt(4)
	v_pk_mul_f32 v[14:15], v[2:3], v[18:19]
	ds_write2st64_b32 v13, v14, v15 offset0:8 offset1:10
	s_waitcnt lgkmcnt(4)
	v_pk_mul_f32 v[14:15], v[2:3], v[20:21]
	ds_write2st64_b32 v13, v14, v15 offset0:12 offset1:14
	ds_read2st64_b32 v[14:15], v13 offset0:20 offset1:22
	s_waitcnt lgkmcnt(3)
	v_pk_mul_f32 v[16:17], v[2:3], v[16:17]
	ds_read2st64_b32 v[18:19], v13 offset0:24 offset1:26
	ds_write2st64_b32 v13, v16, v17 offset0:16 offset1:18
	ds_read2st64_b32 v[16:17], v13 offset0:28 offset1:30
	s_waitcnt lgkmcnt(3)
	v_pk_mul_f32 v[14:15], v[2:3], v[14:15]
	ds_write2st64_b32 v13, v14, v15 offset0:20 offset1:22
	s_waitcnt lgkmcnt(3)
	v_pk_mul_f32 v[14:15], v[2:3], v[18:19]
	ds_write2st64_b32 v13, v14, v15 offset0:24 offset1:26
	s_waitcnt lgkmcnt(2)
	v_pk_mul_f32 v[14:15], v[2:3], v[16:17]
	s_add_i32 s15, s15, 16
	v_cmp_eq_u32_e32 vcc, 0, v12
	ds_write2st64_b32 v13, v14, v15 offset0:28 offset1:30
	v_add_u32_e32 v13, 0x2000, v13
	s_or_b64 s[34:35], vcc, s[34:35]
	v_mov_b32_e32 v14, s15
	s_andn2_b64 exec, exec, s[34:35]
	s_cbranch_execnz .LBB167_29
; %bb.30:
	s_or_b64 exec, exec, s[34:35]
.LBB167_31:
	s_or_b64 exec, exec, s[10:11]
	v_and_b32_e32 v9, 7, v9
	v_cmp_ne_u32_e32 vcc, 0, v9
	s_and_saveexec_b64 s[10:11], vcc
	s_cbranch_execz .LBB167_34
; %bb.32:
	v_lshlrev_b32_e32 v12, 9, v14
	v_lshlrev_b32_e32 v13, 2, v0
	s_movk_i32 s15, 0x100
	v_add3_u32 v12, v12, v13, s15
	s_mov_b64 s[34:35], 0
.LBB167_33:                             ; =>This Inner Loop Header: Depth=1
	ds_read2st64_b32 v[14:15], v12 offset1:2
	v_add_u32_e32 v9, -1, v9
	v_cmp_eq_u32_e32 vcc, 0, v9
	s_or_b64 s[34:35], vcc, s[34:35]
	s_waitcnt lgkmcnt(0)
	v_pk_mul_f32 v[14:15], v[2:3], v[14:15]
	ds_write2st64_b32 v12, v14, v15 offset1:2
	v_add_u32_e32 v12, 0x400, v12
	s_andn2_b64 exec, exec, s[34:35]
	s_cbranch_execnz .LBB167_33
.LBB167_34:
	s_or_b64 exec, exec, s[10:11]
	v_add_u32_e32 v8, 1, v8
	v_and_b32_e32 v9, 0x3fffffe, v8
	v_cmp_ne_u32_e32 vcc, v8, v9
	v_lshl_add_u32 v3, v9, 7, v0
	s_orn2_b64 s[10:11], vcc, exec
.LBB167_35:
	s_or_b64 exec, exec, s[6:7]
	s_and_b64 exec, exec, s[10:11]
	s_cbranch_execz .LBB167_38
; %bb.36:
	v_mov_b32_e32 v8, 0x100
	v_lshl_add_u32 v8, v3, 2, v8
	s_mov_b64 s[6:7], 0
.LBB167_37:                             ; =>This Inner Loop Header: Depth=1
	ds_read_b32 v9, v8
	v_add_u32_e32 v3, 0x80, v3
	v_cmp_le_i32_e32 vcc, s12, v3
	s_or_b64 s[6:7], vcc, s[6:7]
	s_waitcnt lgkmcnt(0)
	v_mul_f32_e32 v9, v2, v9
	ds_write_b32 v8, v9
	v_add_u32_e32 v8, 0x200, v8
	s_andn2_b64 exec, exec, s[6:7]
	s_cbranch_execnz .LBB167_37
.LBB167_38:
	s_or_b64 exec, exec, s[0:1]
	s_mul_i32 s0, s21, s24
	v_cmp_eq_u32_e32 vcc, 0, v0
	s_mul_i32 s6, s0, s5
	s_waitcnt lgkmcnt(0)
	s_barrier
	s_and_saveexec_b64 s[0:1], vcc
	s_cbranch_execz .LBB167_40
; %bb.39:
	s_ashr_i32 s7, s6, 31
	s_lshl_b64 s[10:11], s[6:7], 2
	s_add_u32 s5, s18, s10
	s_mul_i32 s18, s21, s2
	s_addc_u32 s7, s19, s11
	s_ashr_i32 s19, s18, 31
	s_lshl_b64 s[18:19], s[18:19], 2
	s_add_u32 s2, s5, s18
	s_addc_u32 s7, s7, s19
	s_ashr_i32 s5, s4, 31
	s_lshl_b64 s[34:35], s[4:5], 2
	s_add_u32 s36, s2, s34
	s_addc_u32 s37, s7, s35
	s_add_u32 s2, s16, s10
	s_addc_u32 s5, s17, s11
	;; [unrolled: 2-line block ×3, first 2 shown]
	s_add_u32 s10, s2, s34
	v_mov_b32_e32 v2, 0
	s_addc_u32 s11, s5, s35
	global_store_dword v2, v5, s[36:37]
	global_store_dword v2, v7, s[10:11]
.LBB167_40:
	s_or_b64 exec, exec, s[0:1]
	v_mov_b32_e32 v13, 0
	v_lshrrev_b32_e32 v23, 1, v4
	v_and_b32_e32 v22, 1, v0
	v_mov_b32_e32 v12, 0
	v_mov_b32_e32 v15, 0
	;; [unrolled: 1-line block ×3, first 2 shown]
	s_and_saveexec_b64 s[10:11], s[8:9]
	s_cbranch_execz .LBB167_214
; %bb.41:
	s_ashr_i32 s15, s14, 31
	s_lshl_b64 s[0:1], s[14:15], 1
	v_lshlrev_b32_e32 v2, 3, v0
	s_add_u32 s8, s30, s0
	v_or_b32_e32 v4, 0x60, v23
	s_movk_i32 s0, 0x78
	v_and_b32_e32 v3, 8, v2
	s_addc_u32 s9, s31, s1
	s_add_i32 s7, s3, -1
	v_cmp_gt_u32_e32 vcc, s0, v4
	v_lshl_add_u32 v5, v6, 4, s40
	s_lshl_b64 s[0:1], s[28:29], 2
	v_lshl_or_b32 v2, v23, 4, v3
	v_lshl_or_b32 v4, v4, 4, v3
	v_add3_u32 v24, v5, v3, 7
	v_lshlrev_b32_e32 v3, 5, v22
	s_add_u32 s0, s26, s0
	v_mov_b32_e32 v17, 0
	v_lshl_or_b32 v3, v6, 6, v3
	s_addc_u32 s1, s27, s1
	s_mov_b32 s5, s13
	v_add_u32_e32 v25, 0x100, v3
	v_lshl_add_u64 v[18:19], v[10:11], 2, s[0:1]
	s_mov_b64 s[12:13], 0
	s_mov_b32 s16, 0x7f800000
	s_movk_i32 s17, 0x7fff
	v_lshlrev_b32_e32 v16, 1, v2
	v_lshlrev_b32_e32 v20, 1, v4
	v_mov_b32_e32 v14, v17
	v_mov_b32_e32 v15, v17
	;; [unrolled: 1-line block ×4, first 2 shown]
	s_branch .LBB167_44
.LBB167_42:                             ;   in Loop: Header=BB167_44 Depth=1
	s_or_b64 exec, exec, s[14:15]
	v_and_b32_e32 v37, 0xffff0000, v33
	v_and_b32_e32 v36, 0xffff0000, v7
	;; [unrolled: 1-line block ×8, first 2 shown]
	v_pk_add_f32 v[2:3], v[2:3], v[36:37]
	v_pk_add_f32 v[4:5], v[4:5], v[34:35]
	v_add_f32_e32 v2, v2, v3
	v_add_f32_e32 v2, v2, v4
	;; [unrolled: 1-line block ×4, first 2 shown]
.LBB167_43:                             ;   in Loop: Header=BB167_44 Depth=1
	s_or_b64 exec, exec, s[2:3]
	v_and_b32_e32 v7, 0xffff0000, v28
	v_and_b32_e32 v6, 0xffff0000, v26
	;; [unrolled: 1-line block ×8, first 2 shown]
	v_pk_add_f32 v[6:7], v[26:27], v[6:7]
	v_pk_add_f32 v[2:3], v[4:5], v[2:3]
	v_add_f32_e32 v4, v6, v7
	v_add_f32_e32 v2, v4, v2
	;; [unrolled: 1-line block ×3, first 2 shown]
	v_and_b32_e32 v7, 0xffff0000, v45
	v_and_b32_e32 v6, 0xffff0000, v43
	;; [unrolled: 1-line block ×4, first 2 shown]
	v_add_f32_e32 v14, v14, v2
	v_and_b32_e32 v3, 0xffff0000, v49
	v_and_b32_e32 v2, 0xffff0000, v47
	;; [unrolled: 1-line block ×4, first 2 shown]
	v_pk_add_f32 v[6:7], v[26:27], v[6:7]
	v_pk_add_f32 v[2:3], v[4:5], v[2:3]
	v_add_f32_e32 v4, v6, v7
	v_add_f32_e32 v2, v4, v2
	;; [unrolled: 1-line block ×3, first 2 shown]
	v_and_b32_e32 v7, 0xffff0000, v51
	v_and_b32_e32 v6, 0xffff0000, v9
	;; [unrolled: 1-line block ×4, first 2 shown]
	v_add_f32_e32 v15, v15, v2
	v_and_b32_e32 v3, 0xffff0000, v55
	v_and_b32_e32 v2, 0xffff0000, v53
	;; [unrolled: 1-line block ×4, first 2 shown]
	v_pk_add_f32 v[6:7], v[8:9], v[6:7]
	v_pk_add_f32 v[2:3], v[4:5], v[2:3]
	v_add_f32_e32 v4, v6, v7
	v_add_f32_e32 v2, v4, v2
	v_add_u32_e32 v10, 2, v10
	v_add_f32_e32 v2, v2, v3
	v_cmp_le_i32_e64 s[0:1], s33, v10
	v_add_f32_e32 v12, v12, v2
	v_add_u32_e32 v24, 32, v24
	v_add_u32_e32 v25, 0x80, v25
	s_or_b64 s[12:13], s[0:1], s[12:13]
	v_lshl_add_u64 v[18:19], v[18:19], 0, 8
	s_andn2_b64 exec, exec, s[12:13]
	s_cbranch_execz .LBB167_213
.LBB167_44:                             ; =>This Inner Loop Header: Depth=1
	global_load_dword v32, v[18:19], off
	ds_read2_b64 v[6:9], v25 offset1:1
	ds_read2_b64 v[2:5], v25 offset0:2 offset1:3
	s_waitcnt lgkmcnt(1)
	v_and_b32_e32 v11, 0x7f800000, v6
	v_cmp_ne_u32_e64 s[0:1], s16, v11
                                        ; implicit-def: $vgpr11
	s_and_saveexec_b64 s[2:3], s[0:1]
	s_xor_b64 s[0:1], exec, s[2:3]
; %bb.45:                               ;   in Loop: Header=BB167_44 Depth=1
	v_bfe_u32 v11, v6, 16, 1
	v_add3_u32 v11, v6, v11, s17
; %bb.46:                               ;   in Loop: Header=BB167_44 Depth=1
	s_andn2_saveexec_b64 s[2:3], s[0:1]
; %bb.47:                               ;   in Loop: Header=BB167_44 Depth=1
	v_or_b32_e32 v11, 0x10000, v6
	v_cmp_eq_u32_sdwa s[0:1], v6, v17 src0_sel:WORD_0 src1_sel:DWORD
	s_nop 1
	v_cndmask_b32_e64 v11, v11, v6, s[0:1]
; %bb.48:                               ;   in Loop: Header=BB167_44 Depth=1
	s_or_b64 exec, exec, s[2:3]
	v_and_b32_e32 v6, 0x7f800000, v7
	v_cmp_ne_u32_e64 s[0:1], s16, v6
                                        ; implicit-def: $vgpr26
	s_and_saveexec_b64 s[2:3], s[0:1]
	s_xor_b64 s[0:1], exec, s[2:3]
; %bb.49:                               ;   in Loop: Header=BB167_44 Depth=1
	v_bfe_u32 v6, v7, 16, 1
	v_add3_u32 v26, v7, v6, s17
; %bb.50:                               ;   in Loop: Header=BB167_44 Depth=1
	s_andn2_saveexec_b64 s[2:3], s[0:1]
; %bb.51:                               ;   in Loop: Header=BB167_44 Depth=1
	v_or_b32_e32 v6, 0x10000, v7
	v_cmp_eq_u32_sdwa s[0:1], v7, v17 src0_sel:WORD_0 src1_sel:DWORD
	s_nop 1
	v_cndmask_b32_e64 v26, v6, v7, s[0:1]
; %bb.52:                               ;   in Loop: Header=BB167_44 Depth=1
	s_or_b64 exec, exec, s[2:3]
	v_and_b32_e32 v6, 0x7f800000, v8
	v_cmp_ne_u32_e64 s[0:1], s16, v6
                                        ; implicit-def: $vgpr27
	s_and_saveexec_b64 s[2:3], s[0:1]
	s_xor_b64 s[0:1], exec, s[2:3]
; %bb.53:                               ;   in Loop: Header=BB167_44 Depth=1
	v_bfe_u32 v6, v8, 16, 1
	v_add3_u32 v27, v8, v6, s17
; %bb.54:                               ;   in Loop: Header=BB167_44 Depth=1
	s_andn2_saveexec_b64 s[2:3], s[0:1]
; %bb.55:                               ;   in Loop: Header=BB167_44 Depth=1
	v_or_b32_e32 v6, 0x10000, v8
	v_cmp_eq_u32_sdwa s[0:1], v8, v17 src0_sel:WORD_0 src1_sel:DWORD
	s_nop 1
	v_cndmask_b32_e64 v27, v6, v8, s[0:1]
; %bb.56:                               ;   in Loop: Header=BB167_44 Depth=1
	s_or_b64 exec, exec, s[2:3]
	v_and_b32_e32 v6, 0x7f800000, v9
	v_cmp_ne_u32_e64 s[0:1], s16, v6
                                        ; implicit-def: $vgpr28
	s_and_saveexec_b64 s[2:3], s[0:1]
	s_xor_b64 s[0:1], exec, s[2:3]
; %bb.57:                               ;   in Loop: Header=BB167_44 Depth=1
	v_bfe_u32 v6, v9, 16, 1
	v_add3_u32 v28, v9, v6, s17
                                        ; implicit-def: $vgpr6_vgpr7_vgpr8_vgpr9
; %bb.58:                               ;   in Loop: Header=BB167_44 Depth=1
	s_andn2_saveexec_b64 s[2:3], s[0:1]
; %bb.59:                               ;   in Loop: Header=BB167_44 Depth=1
	v_or_b32_e32 v6, 0x10000, v9
	v_cmp_eq_u32_sdwa s[0:1], v9, v17 src0_sel:WORD_0 src1_sel:DWORD
	s_nop 1
	v_cndmask_b32_e64 v28, v6, v9, s[0:1]
; %bb.60:                               ;   in Loop: Header=BB167_44 Depth=1
	s_or_b64 exec, exec, s[2:3]
	s_waitcnt lgkmcnt(0)
	v_and_b32_e32 v6, 0x7f800000, v2
	v_cmp_ne_u32_e64 s[0:1], s16, v6
                                        ; implicit-def: $vgpr29
	s_and_saveexec_b64 s[2:3], s[0:1]
	s_xor_b64 s[0:1], exec, s[2:3]
; %bb.61:                               ;   in Loop: Header=BB167_44 Depth=1
	v_bfe_u32 v6, v2, 16, 1
	v_add3_u32 v29, v2, v6, s17
; %bb.62:                               ;   in Loop: Header=BB167_44 Depth=1
	s_andn2_saveexec_b64 s[2:3], s[0:1]
; %bb.63:                               ;   in Loop: Header=BB167_44 Depth=1
	v_or_b32_e32 v6, 0x10000, v2
	v_cmp_eq_u32_sdwa s[0:1], v2, v17 src0_sel:WORD_0 src1_sel:DWORD
	s_nop 1
	v_cndmask_b32_e64 v29, v6, v2, s[0:1]
; %bb.64:                               ;   in Loop: Header=BB167_44 Depth=1
	s_or_b64 exec, exec, s[2:3]
	v_and_b32_e32 v2, 0x7f800000, v3
	v_cmp_ne_u32_e64 s[0:1], s16, v2
                                        ; implicit-def: $vgpr30
	s_and_saveexec_b64 s[2:3], s[0:1]
	s_xor_b64 s[0:1], exec, s[2:3]
; %bb.65:                               ;   in Loop: Header=BB167_44 Depth=1
	v_bfe_u32 v2, v3, 16, 1
	v_add3_u32 v30, v3, v2, s17
; %bb.66:                               ;   in Loop: Header=BB167_44 Depth=1
	s_andn2_saveexec_b64 s[2:3], s[0:1]
; %bb.67:                               ;   in Loop: Header=BB167_44 Depth=1
	v_or_b32_e32 v2, 0x10000, v3
	v_cmp_eq_u32_sdwa s[0:1], v3, v17 src0_sel:WORD_0 src1_sel:DWORD
	s_nop 1
	v_cndmask_b32_e64 v30, v2, v3, s[0:1]
; %bb.68:                               ;   in Loop: Header=BB167_44 Depth=1
	s_or_b64 exec, exec, s[2:3]
	v_and_b32_e32 v2, 0x7f800000, v4
	v_cmp_ne_u32_e64 s[0:1], s16, v2
                                        ; implicit-def: $vgpr31
	s_and_saveexec_b64 s[2:3], s[0:1]
	s_xor_b64 s[0:1], exec, s[2:3]
; %bb.69:                               ;   in Loop: Header=BB167_44 Depth=1
	v_bfe_u32 v2, v4, 16, 1
	v_add3_u32 v31, v4, v2, s17
; %bb.70:                               ;   in Loop: Header=BB167_44 Depth=1
	s_andn2_saveexec_b64 s[2:3], s[0:1]
; %bb.71:                               ;   in Loop: Header=BB167_44 Depth=1
	v_or_b32_e32 v2, 0x10000, v4
	v_cmp_eq_u32_sdwa s[0:1], v4, v17 src0_sel:WORD_0 src1_sel:DWORD
	s_nop 1
	v_cndmask_b32_e64 v31, v2, v4, s[0:1]
; %bb.72:                               ;   in Loop: Header=BB167_44 Depth=1
	s_or_b64 exec, exec, s[2:3]
	v_and_b32_e32 v2, 0x7f800000, v5
	v_cmp_ne_u32_e64 s[0:1], s16, v2
                                        ; implicit-def: $vgpr21
	s_and_saveexec_b64 s[2:3], s[0:1]
	s_xor_b64 s[0:1], exec, s[2:3]
; %bb.73:                               ;   in Loop: Header=BB167_44 Depth=1
	v_bfe_u32 v2, v5, 16, 1
	v_add3_u32 v21, v5, v2, s17
                                        ; implicit-def: $vgpr2_vgpr3_vgpr4_vgpr5
; %bb.74:                               ;   in Loop: Header=BB167_44 Depth=1
	s_andn2_saveexec_b64 s[2:3], s[0:1]
; %bb.75:                               ;   in Loop: Header=BB167_44 Depth=1
	v_or_b32_e32 v2, 0x10000, v5
	v_cmp_eq_u32_sdwa s[0:1], v5, v17 src0_sel:WORD_0 src1_sel:DWORD
	s_nop 1
	v_cndmask_b32_e64 v21, v2, v5, s[0:1]
; %bb.76:                               ;   in Loop: Header=BB167_44 Depth=1
	s_or_b64 exec, exec, s[2:3]
	s_waitcnt vmcnt(0)
	v_mad_i64_i32 v[2:3], s[0:1], v32, s5, 0
	v_lshl_add_u64 v[6:7], v[2:3], 1, s[8:9]
	v_lshl_add_u64 v[8:9], v[6:7], 0, v[16:17]
	global_load_dwordx4 v[2:5], v[8:9], off
	v_add_u32_e32 v33, -7, v24
	v_cmp_eq_u32_e64 s[0:1], s7, v10
	s_waitcnt vmcnt(0)
	v_lshrrev_b32_e32 v36, 16, v2
	v_lshrrev_b32_e32 v38, 16, v3
	;; [unrolled: 1-line block ×4, first 2 shown]
	s_and_saveexec_b64 s[14:15], s[0:1]
	s_cbranch_execz .LBB167_78
; %bb.77:                               ;   in Loop: Header=BB167_44 Depth=1
	v_cmp_gt_i32_e64 s[2:3], s25, v33
	v_add_u32_e32 v34, -6, v24
	s_nop 0
	v_cndmask_b32_e64 v2, 0, v2, s[2:3]
	v_cmp_gt_i32_e64 s[2:3], s25, v34
	v_add_u32_e32 v34, -5, v24
	s_nop 0
	v_cndmask_b32_e64 v36, 0, v36, s[2:3]
	;; [unrolled: 4-line block ×6, first 2 shown]
	v_cmp_gt_i32_e64 s[2:3], s25, v34
	s_nop 1
	v_cndmask_b32_e64 v5, 0, v5, s[2:3]
	v_cmp_gt_i32_e64 s[2:3], s25, v24
	s_nop 1
	v_cndmask_b32_e64 v32, 0, v32, s[2:3]
.LBB167_78:                             ;   in Loop: Header=BB167_44 Depth=1
	s_or_b64 exec, exec, s[14:15]
	v_and_b32_e32 v34, 0xffff0000, v11
	v_lshlrev_b32_e32 v2, 16, v2
	v_mul_f32_e32 v2, v34, v2
	v_and_b32_e32 v11, 0x7f800000, v2
	v_cmp_ne_u32_e64 s[2:3], s16, v11
                                        ; implicit-def: $vgpr11
	s_and_saveexec_b64 s[14:15], s[2:3]
	s_xor_b64 s[2:3], exec, s[14:15]
; %bb.79:                               ;   in Loop: Header=BB167_44 Depth=1
	v_bfe_u32 v11, v2, 16, 1
	v_add3_u32 v11, v2, v11, s17
                                        ; implicit-def: $vgpr2
; %bb.80:                               ;   in Loop: Header=BB167_44 Depth=1
	s_andn2_saveexec_b64 s[14:15], s[2:3]
; %bb.81:                               ;   in Loop: Header=BB167_44 Depth=1
	v_or_b32_e32 v11, 0x10000, v2
	v_cmp_eq_u32_sdwa s[2:3], v2, v17 src0_sel:WORD_0 src1_sel:DWORD
	s_nop 1
	v_cndmask_b32_e64 v11, v11, v2, s[2:3]
; %bb.82:                               ;   in Loop: Header=BB167_44 Depth=1
	s_or_b64 exec, exec, s[14:15]
	v_and_b32_e32 v35, 0xffff0000, v26
	v_lshlrev_b32_e32 v2, 16, v36
	v_mul_f32_e32 v2, v35, v2
	v_and_b32_e32 v26, 0x7f800000, v2
	v_cmp_ne_u32_e64 s[2:3], s16, v26
                                        ; implicit-def: $vgpr26
	s_and_saveexec_b64 s[14:15], s[2:3]
	s_xor_b64 s[2:3], exec, s[14:15]
; %bb.83:                               ;   in Loop: Header=BB167_44 Depth=1
	v_bfe_u32 v26, v2, 16, 1
	v_add3_u32 v26, v2, v26, s17
                                        ; implicit-def: $vgpr2
; %bb.84:                               ;   in Loop: Header=BB167_44 Depth=1
	s_andn2_saveexec_b64 s[14:15], s[2:3]
; %bb.85:                               ;   in Loop: Header=BB167_44 Depth=1
	v_or_b32_e32 v26, 0x10000, v2
	v_cmp_eq_u32_sdwa s[2:3], v2, v17 src0_sel:WORD_0 src1_sel:DWORD
	s_nop 1
	v_cndmask_b32_e64 v26, v26, v2, s[2:3]
; %bb.86:                               ;   in Loop: Header=BB167_44 Depth=1
	s_or_b64 exec, exec, s[14:15]
	v_and_b32_e32 v36, 0xffff0000, v27
	v_lshlrev_b32_e32 v2, 16, v3
	v_mul_f32_e32 v2, v36, v2
	v_and_b32_e32 v3, 0x7f800000, v2
	v_cmp_ne_u32_e64 s[2:3], s16, v3
                                        ; implicit-def: $vgpr27
	s_and_saveexec_b64 s[14:15], s[2:3]
	s_xor_b64 s[2:3], exec, s[14:15]
; %bb.87:                               ;   in Loop: Header=BB167_44 Depth=1
	v_bfe_u32 v3, v2, 16, 1
	v_add3_u32 v27, v2, v3, s17
                                        ; implicit-def: $vgpr2
; %bb.88:                               ;   in Loop: Header=BB167_44 Depth=1
	s_andn2_saveexec_b64 s[14:15], s[2:3]
; %bb.89:                               ;   in Loop: Header=BB167_44 Depth=1
	v_or_b32_e32 v3, 0x10000, v2
	v_cmp_eq_u32_sdwa s[2:3], v2, v17 src0_sel:WORD_0 src1_sel:DWORD
	s_nop 1
	v_cndmask_b32_e64 v27, v3, v2, s[2:3]
; %bb.90:                               ;   in Loop: Header=BB167_44 Depth=1
	s_or_b64 exec, exec, s[14:15]
	v_and_b32_e32 v37, 0xffff0000, v28
	v_lshlrev_b32_e32 v2, 16, v38
	v_mul_f32_e32 v2, v37, v2
	v_and_b32_e32 v3, 0x7f800000, v2
	v_cmp_ne_u32_e64 s[2:3], s16, v3
                                        ; implicit-def: $vgpr28
	s_and_saveexec_b64 s[14:15], s[2:3]
	s_xor_b64 s[2:3], exec, s[14:15]
; %bb.91:                               ;   in Loop: Header=BB167_44 Depth=1
	v_bfe_u32 v3, v2, 16, 1
	v_add3_u32 v28, v2, v3, s17
                                        ; implicit-def: $vgpr2
; %bb.92:                               ;   in Loop: Header=BB167_44 Depth=1
	s_andn2_saveexec_b64 s[14:15], s[2:3]
; %bb.93:                               ;   in Loop: Header=BB167_44 Depth=1
	v_or_b32_e32 v3, 0x10000, v2
	v_cmp_eq_u32_sdwa s[2:3], v2, v17 src0_sel:WORD_0 src1_sel:DWORD
	s_nop 1
	v_cndmask_b32_e64 v28, v3, v2, s[2:3]
; %bb.94:                               ;   in Loop: Header=BB167_44 Depth=1
	s_or_b64 exec, exec, s[14:15]
	v_and_b32_e32 v38, 0xffff0000, v29
	v_lshlrev_b32_e32 v2, 16, v4
	v_mul_f32_e32 v2, v38, v2
	v_and_b32_e32 v3, 0x7f800000, v2
	v_cmp_ne_u32_e64 s[2:3], s16, v3
                                        ; implicit-def: $vgpr29
	s_and_saveexec_b64 s[14:15], s[2:3]
	s_xor_b64 s[2:3], exec, s[14:15]
; %bb.95:                               ;   in Loop: Header=BB167_44 Depth=1
	v_bfe_u32 v3, v2, 16, 1
	v_add3_u32 v29, v2, v3, s17
                                        ; implicit-def: $vgpr2
; %bb.96:                               ;   in Loop: Header=BB167_44 Depth=1
	s_andn2_saveexec_b64 s[14:15], s[2:3]
; %bb.97:                               ;   in Loop: Header=BB167_44 Depth=1
	v_or_b32_e32 v3, 0x10000, v2
	v_cmp_eq_u32_sdwa s[2:3], v2, v17 src0_sel:WORD_0 src1_sel:DWORD
	s_nop 1
	v_cndmask_b32_e64 v29, v3, v2, s[2:3]
; %bb.98:                               ;   in Loop: Header=BB167_44 Depth=1
	s_or_b64 exec, exec, s[14:15]
	v_and_b32_e32 v39, 0xffff0000, v30
	v_lshlrev_b32_e32 v2, 16, v40
	v_mul_f32_e32 v2, v39, v2
	v_and_b32_e32 v3, 0x7f800000, v2
	v_cmp_ne_u32_e64 s[2:3], s16, v3
                                        ; implicit-def: $vgpr30
	s_and_saveexec_b64 s[14:15], s[2:3]
	s_xor_b64 s[2:3], exec, s[14:15]
; %bb.99:                               ;   in Loop: Header=BB167_44 Depth=1
	v_bfe_u32 v3, v2, 16, 1
	v_add3_u32 v30, v2, v3, s17
                                        ; implicit-def: $vgpr2
; %bb.100:                              ;   in Loop: Header=BB167_44 Depth=1
	s_andn2_saveexec_b64 s[14:15], s[2:3]
; %bb.101:                              ;   in Loop: Header=BB167_44 Depth=1
	v_or_b32_e32 v3, 0x10000, v2
	v_cmp_eq_u32_sdwa s[2:3], v2, v17 src0_sel:WORD_0 src1_sel:DWORD
	s_nop 1
	v_cndmask_b32_e64 v30, v3, v2, s[2:3]
; %bb.102:                              ;   in Loop: Header=BB167_44 Depth=1
	s_or_b64 exec, exec, s[14:15]
	v_and_b32_e32 v40, 0xffff0000, v31
	v_lshlrev_b32_e32 v2, 16, v5
	v_mul_f32_e32 v2, v40, v2
	v_and_b32_e32 v3, 0x7f800000, v2
	v_cmp_ne_u32_e64 s[2:3], s16, v3
                                        ; implicit-def: $vgpr31
	s_and_saveexec_b64 s[14:15], s[2:3]
	s_xor_b64 s[2:3], exec, s[14:15]
; %bb.103:                              ;   in Loop: Header=BB167_44 Depth=1
	v_bfe_u32 v3, v2, 16, 1
	v_add3_u32 v31, v2, v3, s17
                                        ; implicit-def: $vgpr2
; %bb.104:                              ;   in Loop: Header=BB167_44 Depth=1
	s_andn2_saveexec_b64 s[14:15], s[2:3]
; %bb.105:                              ;   in Loop: Header=BB167_44 Depth=1
	v_or_b32_e32 v3, 0x10000, v2
	v_cmp_eq_u32_sdwa s[2:3], v2, v17 src0_sel:WORD_0 src1_sel:DWORD
	s_nop 1
	v_cndmask_b32_e64 v31, v3, v2, s[2:3]
; %bb.106:                              ;   in Loop: Header=BB167_44 Depth=1
	s_or_b64 exec, exec, s[14:15]
	v_and_b32_e32 v41, 0xffff0000, v21
	v_lshlrev_b32_e32 v2, 16, v32
	v_mul_f32_e32 v2, v41, v2
	v_and_b32_e32 v3, 0x7f800000, v2
	v_cmp_ne_u32_e64 s[2:3], s16, v3
                                        ; implicit-def: $vgpr32
	s_and_saveexec_b64 s[14:15], s[2:3]
	s_xor_b64 s[2:3], exec, s[14:15]
; %bb.107:                              ;   in Loop: Header=BB167_44 Depth=1
	v_bfe_u32 v3, v2, 16, 1
	v_add3_u32 v32, v2, v3, s17
                                        ; implicit-def: $vgpr2
; %bb.108:                              ;   in Loop: Header=BB167_44 Depth=1
	s_andn2_saveexec_b64 s[14:15], s[2:3]
; %bb.109:                              ;   in Loop: Header=BB167_44 Depth=1
	v_or_b32_e32 v3, 0x10000, v2
	v_cmp_eq_u32_sdwa s[2:3], v2, v17 src0_sel:WORD_0 src1_sel:DWORD
	s_nop 1
	v_cndmask_b32_e64 v32, v3, v2, s[2:3]
; %bb.110:                              ;   in Loop: Header=BB167_44 Depth=1
	s_or_b64 exec, exec, s[14:15]
	global_load_dwordx4 v[2:5], v[8:9], off offset:1024
	s_waitcnt vmcnt(0)
	v_lshrrev_b32_e32 v43, 16, v2
	v_lshrrev_b32_e32 v45, 16, v3
	;; [unrolled: 1-line block ×4, first 2 shown]
	s_and_saveexec_b64 s[14:15], s[0:1]
	s_cbranch_execz .LBB167_112
; %bb.111:                              ;   in Loop: Header=BB167_44 Depth=1
	v_cmp_gt_i32_e64 s[2:3], s25, v33
	v_add_u32_e32 v42, -6, v24
	s_nop 0
	v_cndmask_b32_e64 v2, 0, v2, s[2:3]
	v_cmp_gt_i32_e64 s[2:3], s25, v42
	v_add_u32_e32 v42, -5, v24
	s_nop 0
	v_cndmask_b32_e64 v43, 0, v43, s[2:3]
	;; [unrolled: 4-line block ×6, first 2 shown]
	v_cmp_gt_i32_e64 s[2:3], s25, v42
	s_nop 1
	v_cndmask_b32_e64 v5, 0, v5, s[2:3]
	v_cmp_gt_i32_e64 s[2:3], s25, v24
	s_nop 1
	v_cndmask_b32_e64 v21, 0, v21, s[2:3]
.LBB167_112:                            ;   in Loop: Header=BB167_44 Depth=1
	s_or_b64 exec, exec, s[14:15]
	v_lshlrev_b32_e32 v2, 16, v2
	v_mul_f32_e32 v2, v34, v2
	v_and_b32_e32 v42, 0x7f800000, v2
	v_cmp_ne_u32_e64 s[2:3], s16, v42
                                        ; implicit-def: $vgpr42
	s_and_saveexec_b64 s[14:15], s[2:3]
	s_xor_b64 s[2:3], exec, s[14:15]
; %bb.113:                              ;   in Loop: Header=BB167_44 Depth=1
	v_bfe_u32 v42, v2, 16, 1
	v_add3_u32 v42, v2, v42, s17
                                        ; implicit-def: $vgpr2
; %bb.114:                              ;   in Loop: Header=BB167_44 Depth=1
	s_andn2_saveexec_b64 s[14:15], s[2:3]
; %bb.115:                              ;   in Loop: Header=BB167_44 Depth=1
	v_or_b32_e32 v42, 0x10000, v2
	v_cmp_eq_u32_sdwa s[2:3], v2, v17 src0_sel:WORD_0 src1_sel:DWORD
	s_nop 1
	v_cndmask_b32_e64 v42, v42, v2, s[2:3]
; %bb.116:                              ;   in Loop: Header=BB167_44 Depth=1
	s_or_b64 exec, exec, s[14:15]
	v_lshlrev_b32_e32 v2, 16, v43
	v_mul_f32_e32 v2, v35, v2
	v_and_b32_e32 v43, 0x7f800000, v2
	v_cmp_ne_u32_e64 s[2:3], s16, v43
                                        ; implicit-def: $vgpr43
	s_and_saveexec_b64 s[14:15], s[2:3]
	s_xor_b64 s[2:3], exec, s[14:15]
; %bb.117:                              ;   in Loop: Header=BB167_44 Depth=1
	v_bfe_u32 v43, v2, 16, 1
	v_add3_u32 v43, v2, v43, s17
                                        ; implicit-def: $vgpr2
; %bb.118:                              ;   in Loop: Header=BB167_44 Depth=1
	s_andn2_saveexec_b64 s[14:15], s[2:3]
; %bb.119:                              ;   in Loop: Header=BB167_44 Depth=1
	v_or_b32_e32 v43, 0x10000, v2
	v_cmp_eq_u32_sdwa s[2:3], v2, v17 src0_sel:WORD_0 src1_sel:DWORD
	s_nop 1
	v_cndmask_b32_e64 v43, v43, v2, s[2:3]
; %bb.120:                              ;   in Loop: Header=BB167_44 Depth=1
	s_or_b64 exec, exec, s[14:15]
	v_lshlrev_b32_e32 v2, 16, v3
	v_mul_f32_e32 v2, v36, v2
	v_and_b32_e32 v3, 0x7f800000, v2
	v_cmp_ne_u32_e64 s[2:3], s16, v3
                                        ; implicit-def: $vgpr44
	s_and_saveexec_b64 s[14:15], s[2:3]
	s_xor_b64 s[2:3], exec, s[14:15]
; %bb.121:                              ;   in Loop: Header=BB167_44 Depth=1
	v_bfe_u32 v3, v2, 16, 1
	v_add3_u32 v44, v2, v3, s17
                                        ; implicit-def: $vgpr2
; %bb.122:                              ;   in Loop: Header=BB167_44 Depth=1
	s_andn2_saveexec_b64 s[14:15], s[2:3]
; %bb.123:                              ;   in Loop: Header=BB167_44 Depth=1
	v_or_b32_e32 v3, 0x10000, v2
	v_cmp_eq_u32_sdwa s[2:3], v2, v17 src0_sel:WORD_0 src1_sel:DWORD
	s_nop 1
	v_cndmask_b32_e64 v44, v3, v2, s[2:3]
; %bb.124:                              ;   in Loop: Header=BB167_44 Depth=1
	s_or_b64 exec, exec, s[14:15]
	v_lshlrev_b32_e32 v2, 16, v45
	v_mul_f32_e32 v2, v37, v2
	v_and_b32_e32 v3, 0x7f800000, v2
	v_cmp_ne_u32_e64 s[2:3], s16, v3
                                        ; implicit-def: $vgpr45
	s_and_saveexec_b64 s[14:15], s[2:3]
	s_xor_b64 s[2:3], exec, s[14:15]
; %bb.125:                              ;   in Loop: Header=BB167_44 Depth=1
	v_bfe_u32 v3, v2, 16, 1
	v_add3_u32 v45, v2, v3, s17
                                        ; implicit-def: $vgpr2
; %bb.126:                              ;   in Loop: Header=BB167_44 Depth=1
	s_andn2_saveexec_b64 s[14:15], s[2:3]
; %bb.127:                              ;   in Loop: Header=BB167_44 Depth=1
	v_or_b32_e32 v3, 0x10000, v2
	v_cmp_eq_u32_sdwa s[2:3], v2, v17 src0_sel:WORD_0 src1_sel:DWORD
	s_nop 1
	v_cndmask_b32_e64 v45, v3, v2, s[2:3]
; %bb.128:                              ;   in Loop: Header=BB167_44 Depth=1
	s_or_b64 exec, exec, s[14:15]
	v_lshlrev_b32_e32 v2, 16, v4
	v_mul_f32_e32 v2, v38, v2
	v_and_b32_e32 v3, 0x7f800000, v2
	v_cmp_ne_u32_e64 s[2:3], s16, v3
                                        ; implicit-def: $vgpr46
	s_and_saveexec_b64 s[14:15], s[2:3]
	s_xor_b64 s[2:3], exec, s[14:15]
; %bb.129:                              ;   in Loop: Header=BB167_44 Depth=1
	v_bfe_u32 v3, v2, 16, 1
	v_add3_u32 v46, v2, v3, s17
                                        ; implicit-def: $vgpr2
; %bb.130:                              ;   in Loop: Header=BB167_44 Depth=1
	s_andn2_saveexec_b64 s[14:15], s[2:3]
; %bb.131:                              ;   in Loop: Header=BB167_44 Depth=1
	v_or_b32_e32 v3, 0x10000, v2
	v_cmp_eq_u32_sdwa s[2:3], v2, v17 src0_sel:WORD_0 src1_sel:DWORD
	s_nop 1
	v_cndmask_b32_e64 v46, v3, v2, s[2:3]
; %bb.132:                              ;   in Loop: Header=BB167_44 Depth=1
	s_or_b64 exec, exec, s[14:15]
	v_lshlrev_b32_e32 v2, 16, v47
	v_mul_f32_e32 v2, v39, v2
	v_and_b32_e32 v3, 0x7f800000, v2
	v_cmp_ne_u32_e64 s[2:3], s16, v3
                                        ; implicit-def: $vgpr47
	s_and_saveexec_b64 s[14:15], s[2:3]
	s_xor_b64 s[2:3], exec, s[14:15]
; %bb.133:                              ;   in Loop: Header=BB167_44 Depth=1
	v_bfe_u32 v3, v2, 16, 1
	v_add3_u32 v47, v2, v3, s17
                                        ; implicit-def: $vgpr2
; %bb.134:                              ;   in Loop: Header=BB167_44 Depth=1
	s_andn2_saveexec_b64 s[14:15], s[2:3]
; %bb.135:                              ;   in Loop: Header=BB167_44 Depth=1
	v_or_b32_e32 v3, 0x10000, v2
	v_cmp_eq_u32_sdwa s[2:3], v2, v17 src0_sel:WORD_0 src1_sel:DWORD
	s_nop 1
	v_cndmask_b32_e64 v47, v3, v2, s[2:3]
; %bb.136:                              ;   in Loop: Header=BB167_44 Depth=1
	s_or_b64 exec, exec, s[14:15]
	v_lshlrev_b32_e32 v2, 16, v5
	v_mul_f32_e32 v2, v40, v2
	v_and_b32_e32 v3, 0x7f800000, v2
	v_cmp_ne_u32_e64 s[2:3], s16, v3
                                        ; implicit-def: $vgpr48
	s_and_saveexec_b64 s[14:15], s[2:3]
	s_xor_b64 s[2:3], exec, s[14:15]
; %bb.137:                              ;   in Loop: Header=BB167_44 Depth=1
	v_bfe_u32 v3, v2, 16, 1
	v_add3_u32 v48, v2, v3, s17
                                        ; implicit-def: $vgpr2
; %bb.138:                              ;   in Loop: Header=BB167_44 Depth=1
	s_andn2_saveexec_b64 s[14:15], s[2:3]
; %bb.139:                              ;   in Loop: Header=BB167_44 Depth=1
	v_or_b32_e32 v3, 0x10000, v2
	v_cmp_eq_u32_sdwa s[2:3], v2, v17 src0_sel:WORD_0 src1_sel:DWORD
	s_nop 1
	v_cndmask_b32_e64 v48, v3, v2, s[2:3]
; %bb.140:                              ;   in Loop: Header=BB167_44 Depth=1
	s_or_b64 exec, exec, s[14:15]
	v_lshlrev_b32_e32 v2, 16, v21
	v_mul_f32_e32 v2, v41, v2
	v_and_b32_e32 v3, 0x7f800000, v2
	v_cmp_ne_u32_e64 s[2:3], s16, v3
                                        ; implicit-def: $vgpr49
	s_and_saveexec_b64 s[14:15], s[2:3]
	s_xor_b64 s[2:3], exec, s[14:15]
; %bb.141:                              ;   in Loop: Header=BB167_44 Depth=1
	v_bfe_u32 v3, v2, 16, 1
	v_add3_u32 v49, v2, v3, s17
                                        ; implicit-def: $vgpr2
; %bb.142:                              ;   in Loop: Header=BB167_44 Depth=1
	s_andn2_saveexec_b64 s[14:15], s[2:3]
; %bb.143:                              ;   in Loop: Header=BB167_44 Depth=1
	v_or_b32_e32 v3, 0x10000, v2
	v_cmp_eq_u32_sdwa s[2:3], v2, v17 src0_sel:WORD_0 src1_sel:DWORD
	s_nop 1
	v_cndmask_b32_e64 v49, v3, v2, s[2:3]
; %bb.144:                              ;   in Loop: Header=BB167_44 Depth=1
	s_or_b64 exec, exec, s[14:15]
	global_load_dwordx4 v[2:5], v[8:9], off offset:2048
	s_waitcnt vmcnt(0)
	v_lshrrev_b32_e32 v9, 16, v2
	v_lshrrev_b32_e32 v51, 16, v3
	;; [unrolled: 1-line block ×4, first 2 shown]
	s_and_saveexec_b64 s[14:15], s[0:1]
	s_cbranch_execz .LBB167_146
; %bb.145:                              ;   in Loop: Header=BB167_44 Depth=1
	v_cmp_gt_i32_e64 s[2:3], s25, v33
	v_add_u32_e32 v8, -6, v24
	s_nop 0
	v_cndmask_b32_e64 v2, 0, v2, s[2:3]
	v_cmp_gt_i32_e64 s[2:3], s25, v8
	v_add_u32_e32 v8, -5, v24
	s_nop 0
	v_cndmask_b32_e64 v9, 0, v9, s[2:3]
	;; [unrolled: 4-line block ×6, first 2 shown]
	v_cmp_gt_i32_e64 s[2:3], s25, v8
	s_nop 1
	v_cndmask_b32_e64 v5, 0, v5, s[2:3]
	v_cmp_gt_i32_e64 s[2:3], s25, v24
	s_nop 1
	v_cndmask_b32_e64 v21, 0, v21, s[2:3]
.LBB167_146:                            ;   in Loop: Header=BB167_44 Depth=1
	s_or_b64 exec, exec, s[14:15]
	v_lshlrev_b32_e32 v2, 16, v2
	v_mul_f32_e32 v2, v34, v2
	v_and_b32_e32 v8, 0x7f800000, v2
	v_cmp_ne_u32_e64 s[2:3], s16, v8
                                        ; implicit-def: $vgpr8
	s_and_saveexec_b64 s[14:15], s[2:3]
	s_xor_b64 s[2:3], exec, s[14:15]
; %bb.147:                              ;   in Loop: Header=BB167_44 Depth=1
	v_bfe_u32 v8, v2, 16, 1
	v_add3_u32 v8, v2, v8, s17
                                        ; implicit-def: $vgpr2
; %bb.148:                              ;   in Loop: Header=BB167_44 Depth=1
	s_andn2_saveexec_b64 s[14:15], s[2:3]
; %bb.149:                              ;   in Loop: Header=BB167_44 Depth=1
	v_or_b32_e32 v8, 0x10000, v2
	v_cmp_eq_u32_sdwa s[2:3], v2, v17 src0_sel:WORD_0 src1_sel:DWORD
	s_nop 1
	v_cndmask_b32_e64 v8, v8, v2, s[2:3]
; %bb.150:                              ;   in Loop: Header=BB167_44 Depth=1
	s_or_b64 exec, exec, s[14:15]
	v_lshlrev_b32_e32 v2, 16, v9
	v_mul_f32_e32 v2, v35, v2
	v_and_b32_e32 v9, 0x7f800000, v2
	v_cmp_ne_u32_e64 s[2:3], s16, v9
                                        ; implicit-def: $vgpr9
	s_and_saveexec_b64 s[14:15], s[2:3]
	s_xor_b64 s[2:3], exec, s[14:15]
; %bb.151:                              ;   in Loop: Header=BB167_44 Depth=1
	v_bfe_u32 v9, v2, 16, 1
	v_add3_u32 v9, v2, v9, s17
                                        ; implicit-def: $vgpr2
; %bb.152:                              ;   in Loop: Header=BB167_44 Depth=1
	s_andn2_saveexec_b64 s[14:15], s[2:3]
; %bb.153:                              ;   in Loop: Header=BB167_44 Depth=1
	v_or_b32_e32 v9, 0x10000, v2
	v_cmp_eq_u32_sdwa s[2:3], v2, v17 src0_sel:WORD_0 src1_sel:DWORD
	s_nop 1
	v_cndmask_b32_e64 v9, v9, v2, s[2:3]
; %bb.154:                              ;   in Loop: Header=BB167_44 Depth=1
	s_or_b64 exec, exec, s[14:15]
	v_lshlrev_b32_e32 v2, 16, v3
	v_mul_f32_e32 v2, v36, v2
	v_and_b32_e32 v3, 0x7f800000, v2
	v_cmp_ne_u32_e64 s[2:3], s16, v3
                                        ; implicit-def: $vgpr50
	s_and_saveexec_b64 s[14:15], s[2:3]
	s_xor_b64 s[2:3], exec, s[14:15]
; %bb.155:                              ;   in Loop: Header=BB167_44 Depth=1
	v_bfe_u32 v3, v2, 16, 1
	v_add3_u32 v50, v2, v3, s17
                                        ; implicit-def: $vgpr2
; %bb.156:                              ;   in Loop: Header=BB167_44 Depth=1
	s_andn2_saveexec_b64 s[14:15], s[2:3]
; %bb.157:                              ;   in Loop: Header=BB167_44 Depth=1
	v_or_b32_e32 v3, 0x10000, v2
	v_cmp_eq_u32_sdwa s[2:3], v2, v17 src0_sel:WORD_0 src1_sel:DWORD
	s_nop 1
	v_cndmask_b32_e64 v50, v3, v2, s[2:3]
; %bb.158:                              ;   in Loop: Header=BB167_44 Depth=1
	s_or_b64 exec, exec, s[14:15]
	v_lshlrev_b32_e32 v2, 16, v51
	v_mul_f32_e32 v2, v37, v2
	v_and_b32_e32 v3, 0x7f800000, v2
	v_cmp_ne_u32_e64 s[2:3], s16, v3
                                        ; implicit-def: $vgpr51
	s_and_saveexec_b64 s[14:15], s[2:3]
	s_xor_b64 s[2:3], exec, s[14:15]
; %bb.159:                              ;   in Loop: Header=BB167_44 Depth=1
	v_bfe_u32 v3, v2, 16, 1
	v_add3_u32 v51, v2, v3, s17
                                        ; implicit-def: $vgpr2
; %bb.160:                              ;   in Loop: Header=BB167_44 Depth=1
	s_andn2_saveexec_b64 s[14:15], s[2:3]
; %bb.161:                              ;   in Loop: Header=BB167_44 Depth=1
	v_or_b32_e32 v3, 0x10000, v2
	v_cmp_eq_u32_sdwa s[2:3], v2, v17 src0_sel:WORD_0 src1_sel:DWORD
	s_nop 1
	v_cndmask_b32_e64 v51, v3, v2, s[2:3]
; %bb.162:                              ;   in Loop: Header=BB167_44 Depth=1
	s_or_b64 exec, exec, s[14:15]
	v_lshlrev_b32_e32 v2, 16, v4
	v_mul_f32_e32 v2, v38, v2
	v_and_b32_e32 v3, 0x7f800000, v2
	v_cmp_ne_u32_e64 s[2:3], s16, v3
                                        ; implicit-def: $vgpr52
	s_and_saveexec_b64 s[14:15], s[2:3]
	s_xor_b64 s[2:3], exec, s[14:15]
; %bb.163:                              ;   in Loop: Header=BB167_44 Depth=1
	v_bfe_u32 v3, v2, 16, 1
	v_add3_u32 v52, v2, v3, s17
                                        ; implicit-def: $vgpr2
; %bb.164:                              ;   in Loop: Header=BB167_44 Depth=1
	s_andn2_saveexec_b64 s[14:15], s[2:3]
; %bb.165:                              ;   in Loop: Header=BB167_44 Depth=1
	v_or_b32_e32 v3, 0x10000, v2
	v_cmp_eq_u32_sdwa s[2:3], v2, v17 src0_sel:WORD_0 src1_sel:DWORD
	s_nop 1
	v_cndmask_b32_e64 v52, v3, v2, s[2:3]
; %bb.166:                              ;   in Loop: Header=BB167_44 Depth=1
	s_or_b64 exec, exec, s[14:15]
	v_lshlrev_b32_e32 v2, 16, v53
	v_mul_f32_e32 v2, v39, v2
	v_and_b32_e32 v3, 0x7f800000, v2
	v_cmp_ne_u32_e64 s[2:3], s16, v3
                                        ; implicit-def: $vgpr53
	s_and_saveexec_b64 s[14:15], s[2:3]
	s_xor_b64 s[2:3], exec, s[14:15]
; %bb.167:                              ;   in Loop: Header=BB167_44 Depth=1
	v_bfe_u32 v3, v2, 16, 1
	v_add3_u32 v53, v2, v3, s17
                                        ; implicit-def: $vgpr2
; %bb.168:                              ;   in Loop: Header=BB167_44 Depth=1
	s_andn2_saveexec_b64 s[14:15], s[2:3]
; %bb.169:                              ;   in Loop: Header=BB167_44 Depth=1
	v_or_b32_e32 v3, 0x10000, v2
	v_cmp_eq_u32_sdwa s[2:3], v2, v17 src0_sel:WORD_0 src1_sel:DWORD
	s_nop 1
	v_cndmask_b32_e64 v53, v3, v2, s[2:3]
; %bb.170:                              ;   in Loop: Header=BB167_44 Depth=1
	s_or_b64 exec, exec, s[14:15]
	v_lshlrev_b32_e32 v2, 16, v5
	v_mul_f32_e32 v2, v40, v2
	v_and_b32_e32 v3, 0x7f800000, v2
	v_cmp_ne_u32_e64 s[2:3], s16, v3
                                        ; implicit-def: $vgpr54
	s_and_saveexec_b64 s[14:15], s[2:3]
	s_xor_b64 s[2:3], exec, s[14:15]
; %bb.171:                              ;   in Loop: Header=BB167_44 Depth=1
	v_bfe_u32 v3, v2, 16, 1
	v_add3_u32 v54, v2, v3, s17
                                        ; implicit-def: $vgpr2
; %bb.172:                              ;   in Loop: Header=BB167_44 Depth=1
	s_andn2_saveexec_b64 s[14:15], s[2:3]
; %bb.173:                              ;   in Loop: Header=BB167_44 Depth=1
	v_or_b32_e32 v3, 0x10000, v2
	v_cmp_eq_u32_sdwa s[2:3], v2, v17 src0_sel:WORD_0 src1_sel:DWORD
	s_nop 1
	v_cndmask_b32_e64 v54, v3, v2, s[2:3]
; %bb.174:                              ;   in Loop: Header=BB167_44 Depth=1
	s_or_b64 exec, exec, s[14:15]
	v_lshlrev_b32_e32 v2, 16, v21
	v_mul_f32_e32 v2, v41, v2
	v_and_b32_e32 v3, 0x7f800000, v2
	v_cmp_ne_u32_e64 s[2:3], s16, v3
                                        ; implicit-def: $vgpr55
	s_and_saveexec_b64 s[14:15], s[2:3]
	s_xor_b64 s[2:3], exec, s[14:15]
	s_cbranch_execnz .LBB167_177
; %bb.175:                              ;   in Loop: Header=BB167_44 Depth=1
	s_andn2_saveexec_b64 s[14:15], s[2:3]
	s_cbranch_execnz .LBB167_178
.LBB167_176:                            ;   in Loop: Header=BB167_44 Depth=1
	s_or_b64 exec, exec, s[14:15]
	s_and_saveexec_b64 s[2:3], vcc
	s_cbranch_execz .LBB167_43
	s_branch .LBB167_179
.LBB167_177:                            ;   in Loop: Header=BB167_44 Depth=1
	v_bfe_u32 v3, v2, 16, 1
	v_add3_u32 v55, v2, v3, s17
                                        ; implicit-def: $vgpr2
	s_andn2_saveexec_b64 s[14:15], s[2:3]
	s_cbranch_execz .LBB167_176
.LBB167_178:                            ;   in Loop: Header=BB167_44 Depth=1
	v_or_b32_e32 v3, 0x10000, v2
	v_cmp_eq_u32_sdwa s[2:3], v2, v17 src0_sel:WORD_0 src1_sel:DWORD
	s_nop 1
	v_cndmask_b32_e64 v55, v3, v2, s[2:3]
	s_or_b64 exec, exec, s[14:15]
	s_and_saveexec_b64 s[2:3], vcc
	s_cbranch_execz .LBB167_43
.LBB167_179:                            ;   in Loop: Header=BB167_44 Depth=1
	v_mov_b32_e32 v21, v17
	v_lshl_add_u64 v[2:3], v[6:7], 0, v[20:21]
	global_load_dwordx4 v[2:5], v[2:3], off
	s_waitcnt vmcnt(0)
	v_lshrrev_b32_e32 v7, 16, v2
	v_lshrrev_b32_e32 v56, 16, v3
	;; [unrolled: 1-line block ×4, first 2 shown]
	s_and_saveexec_b64 s[14:15], s[0:1]
	s_cbranch_execz .LBB167_181
; %bb.180:                              ;   in Loop: Header=BB167_44 Depth=1
	v_cmp_gt_i32_e64 s[0:1], s25, v33
	v_add_u32_e32 v33, -6, v24
	s_nop 0
	v_cndmask_b32_e64 v2, 0, v2, s[0:1]
	v_cmp_gt_i32_e64 s[0:1], s25, v33
	v_add_u32_e32 v33, -5, v24
	s_nop 0
	v_cndmask_b32_e64 v7, 0, v7, s[0:1]
	;; [unrolled: 4-line block ×6, first 2 shown]
	v_cmp_gt_i32_e64 s[0:1], s25, v33
	s_nop 1
	v_cndmask_b32_e64 v5, 0, v5, s[0:1]
	v_cmp_gt_i32_e64 s[0:1], s25, v24
	s_nop 1
	v_cndmask_b32_e64 v6, 0, v6, s[0:1]
.LBB167_181:                            ;   in Loop: Header=BB167_44 Depth=1
	s_or_b64 exec, exec, s[14:15]
	v_lshlrev_b32_e32 v2, 16, v2
	v_mul_f32_e32 v33, v34, v2
	v_and_b32_e32 v2, 0x7f800000, v33
	v_cmp_ne_u32_e64 s[0:1], s16, v2
                                        ; implicit-def: $vgpr2
	s_and_saveexec_b64 s[14:15], s[0:1]
	s_xor_b64 s[0:1], exec, s[14:15]
; %bb.182:                              ;   in Loop: Header=BB167_44 Depth=1
	v_bfe_u32 v2, v33, 16, 1
	v_add3_u32 v2, v33, v2, s17
                                        ; implicit-def: $vgpr33
; %bb.183:                              ;   in Loop: Header=BB167_44 Depth=1
	s_andn2_saveexec_b64 s[14:15], s[0:1]
; %bb.184:                              ;   in Loop: Header=BB167_44 Depth=1
	v_or_b32_e32 v2, 0x10000, v33
	v_cmp_eq_u32_sdwa s[0:1], v33, v17 src0_sel:WORD_0 src1_sel:DWORD
	s_nop 1
	v_cndmask_b32_e64 v2, v2, v33, s[0:1]
; %bb.185:                              ;   in Loop: Header=BB167_44 Depth=1
	s_or_b64 exec, exec, s[14:15]
	v_lshlrev_b32_e32 v7, 16, v7
	v_mul_f32_e32 v33, v35, v7
	v_and_b32_e32 v7, 0x7f800000, v33
	v_cmp_ne_u32_e64 s[0:1], s16, v7
                                        ; implicit-def: $vgpr7
	s_and_saveexec_b64 s[14:15], s[0:1]
	s_xor_b64 s[0:1], exec, s[14:15]
; %bb.186:                              ;   in Loop: Header=BB167_44 Depth=1
	v_bfe_u32 v7, v33, 16, 1
	v_add3_u32 v7, v33, v7, s17
                                        ; implicit-def: $vgpr33
; %bb.187:                              ;   in Loop: Header=BB167_44 Depth=1
	s_andn2_saveexec_b64 s[14:15], s[0:1]
; %bb.188:                              ;   in Loop: Header=BB167_44 Depth=1
	v_or_b32_e32 v7, 0x10000, v33
	v_cmp_eq_u32_sdwa s[0:1], v33, v17 src0_sel:WORD_0 src1_sel:DWORD
	s_nop 1
	v_cndmask_b32_e64 v7, v7, v33, s[0:1]
; %bb.189:                              ;   in Loop: Header=BB167_44 Depth=1
	s_or_b64 exec, exec, s[14:15]
	v_lshlrev_b32_e32 v3, 16, v3
	v_mul_f32_e32 v33, v36, v3
	v_and_b32_e32 v3, 0x7f800000, v33
	v_cmp_ne_u32_e64 s[0:1], s16, v3
                                        ; implicit-def: $vgpr3
	s_and_saveexec_b64 s[14:15], s[0:1]
	s_xor_b64 s[0:1], exec, s[14:15]
; %bb.190:                              ;   in Loop: Header=BB167_44 Depth=1
	v_bfe_u32 v3, v33, 16, 1
	v_add3_u32 v3, v33, v3, s17
                                        ; implicit-def: $vgpr33
; %bb.191:                              ;   in Loop: Header=BB167_44 Depth=1
	s_andn2_saveexec_b64 s[14:15], s[0:1]
; %bb.192:                              ;   in Loop: Header=BB167_44 Depth=1
	v_or_b32_e32 v3, 0x10000, v33
	v_cmp_eq_u32_sdwa s[0:1], v33, v17 src0_sel:WORD_0 src1_sel:DWORD
	s_nop 1
	v_cndmask_b32_e64 v3, v3, v33, s[0:1]
; %bb.193:                              ;   in Loop: Header=BB167_44 Depth=1
	s_or_b64 exec, exec, s[14:15]
	v_lshlrev_b32_e32 v33, 16, v56
	v_mul_f32_e32 v34, v37, v33
	v_and_b32_e32 v33, 0x7f800000, v34
	v_cmp_ne_u32_e64 s[0:1], s16, v33
                                        ; implicit-def: $vgpr33
	s_and_saveexec_b64 s[14:15], s[0:1]
	s_xor_b64 s[0:1], exec, s[14:15]
; %bb.194:                              ;   in Loop: Header=BB167_44 Depth=1
	v_bfe_u32 v33, v34, 16, 1
	v_add3_u32 v33, v34, v33, s17
                                        ; implicit-def: $vgpr34
; %bb.195:                              ;   in Loop: Header=BB167_44 Depth=1
	s_andn2_saveexec_b64 s[14:15], s[0:1]
; %bb.196:                              ;   in Loop: Header=BB167_44 Depth=1
	v_or_b32_e32 v33, 0x10000, v34
	v_cmp_eq_u32_sdwa s[0:1], v34, v17 src0_sel:WORD_0 src1_sel:DWORD
	s_nop 1
	v_cndmask_b32_e64 v33, v33, v34, s[0:1]
; %bb.197:                              ;   in Loop: Header=BB167_44 Depth=1
	s_or_b64 exec, exec, s[14:15]
	v_lshlrev_b32_e32 v4, 16, v4
	v_mul_f32_e32 v34, v38, v4
	v_and_b32_e32 v4, 0x7f800000, v34
	v_cmp_ne_u32_e64 s[0:1], s16, v4
                                        ; implicit-def: $vgpr4
	s_and_saveexec_b64 s[14:15], s[0:1]
	s_xor_b64 s[0:1], exec, s[14:15]
; %bb.198:                              ;   in Loop: Header=BB167_44 Depth=1
	v_bfe_u32 v4, v34, 16, 1
	v_add3_u32 v4, v34, v4, s17
                                        ; implicit-def: $vgpr34
; %bb.199:                              ;   in Loop: Header=BB167_44 Depth=1
	s_andn2_saveexec_b64 s[14:15], s[0:1]
; %bb.200:                              ;   in Loop: Header=BB167_44 Depth=1
	v_or_b32_e32 v4, 0x10000, v34
	v_cmp_eq_u32_sdwa s[0:1], v34, v17 src0_sel:WORD_0 src1_sel:DWORD
	s_nop 1
	v_cndmask_b32_e64 v4, v4, v34, s[0:1]
; %bb.201:                              ;   in Loop: Header=BB167_44 Depth=1
	s_or_b64 exec, exec, s[14:15]
	v_lshlrev_b32_e32 v21, 16, v21
	v_mul_f32_e32 v34, v39, v21
	v_and_b32_e32 v21, 0x7f800000, v34
	v_cmp_ne_u32_e64 s[0:1], s16, v21
                                        ; implicit-def: $vgpr21
	s_and_saveexec_b64 s[14:15], s[0:1]
	s_xor_b64 s[0:1], exec, s[14:15]
; %bb.202:                              ;   in Loop: Header=BB167_44 Depth=1
	v_bfe_u32 v21, v34, 16, 1
	v_add3_u32 v21, v34, v21, s17
                                        ; implicit-def: $vgpr34
; %bb.203:                              ;   in Loop: Header=BB167_44 Depth=1
	s_andn2_saveexec_b64 s[14:15], s[0:1]
; %bb.204:                              ;   in Loop: Header=BB167_44 Depth=1
	v_or_b32_e32 v21, 0x10000, v34
	v_cmp_eq_u32_sdwa s[0:1], v34, v17 src0_sel:WORD_0 src1_sel:DWORD
	s_nop 1
	v_cndmask_b32_e64 v21, v21, v34, s[0:1]
; %bb.205:                              ;   in Loop: Header=BB167_44 Depth=1
	s_or_b64 exec, exec, s[14:15]
	v_lshlrev_b32_e32 v5, 16, v5
	v_mul_f32_e32 v34, v40, v5
	v_and_b32_e32 v5, 0x7f800000, v34
	v_cmp_ne_u32_e64 s[0:1], s16, v5
                                        ; implicit-def: $vgpr5
	s_and_saveexec_b64 s[14:15], s[0:1]
	s_xor_b64 s[0:1], exec, s[14:15]
; %bb.206:                              ;   in Loop: Header=BB167_44 Depth=1
	v_bfe_u32 v5, v34, 16, 1
	v_add3_u32 v5, v34, v5, s17
                                        ; implicit-def: $vgpr34
; %bb.207:                              ;   in Loop: Header=BB167_44 Depth=1
	s_andn2_saveexec_b64 s[14:15], s[0:1]
; %bb.208:                              ;   in Loop: Header=BB167_44 Depth=1
	v_or_b32_e32 v5, 0x10000, v34
	v_cmp_eq_u32_sdwa s[0:1], v34, v17 src0_sel:WORD_0 src1_sel:DWORD
	s_nop 1
	v_cndmask_b32_e64 v5, v5, v34, s[0:1]
; %bb.209:                              ;   in Loop: Header=BB167_44 Depth=1
	s_or_b64 exec, exec, s[14:15]
	v_lshlrev_b32_e32 v6, 16, v6
	v_mul_f32_e32 v6, v41, v6
	v_and_b32_e32 v34, 0x7f800000, v6
	v_cmp_ne_u32_e64 s[0:1], s16, v34
                                        ; implicit-def: $vgpr34
	s_and_saveexec_b64 s[14:15], s[0:1]
	s_xor_b64 s[0:1], exec, s[14:15]
; %bb.210:                              ;   in Loop: Header=BB167_44 Depth=1
	v_bfe_u32 v34, v6, 16, 1
	v_add3_u32 v34, v6, v34, s17
                                        ; implicit-def: $vgpr6
; %bb.211:                              ;   in Loop: Header=BB167_44 Depth=1
	s_andn2_saveexec_b64 s[14:15], s[0:1]
	s_cbranch_execz .LBB167_42
; %bb.212:                              ;   in Loop: Header=BB167_44 Depth=1
	v_or_b32_e32 v34, 0x10000, v6
	v_cmp_eq_u32_sdwa s[0:1], v6, v17 src0_sel:WORD_0 src1_sel:DWORD
	s_nop 1
	v_cndmask_b32_e64 v34, v34, v6, s[0:1]
	s_branch .LBB167_42
.LBB167_213:
	s_or_b64 exec, exec, s[12:13]
.LBB167_214:
	s_or_b64 exec, exec, s[10:11]
	ds_bpermute_b32 v2, v1, v14
	ds_bpermute_b32 v3, v1, v15
	;; [unrolled: 1-line block ×4, first 2 shown]
	v_and_b32_e32 v1, 0x3c0, v0
	v_cmp_eq_u32_e32 vcc, 64, v1
	s_waitcnt lgkmcnt(2)
	v_pk_add_f32 v[4:5], v[14:15], v[2:3]
	s_waitcnt lgkmcnt(0)
	v_pk_add_f32 v[2:3], v[12:13], v[6:7]
	s_barrier
	s_and_saveexec_b64 s[2:3], vcc
	s_cbranch_execz .LBB167_219
; %bb.215:
	v_cmp_eq_u32_e32 vcc, 0, v22
	s_and_saveexec_b64 s[0:1], vcc
	s_cbranch_execz .LBB167_217
; %bb.216:
	v_mov_b32_e32 v1, 0x100
	v_lshl_add_u32 v1, v23, 2, v1
	ds_write2_b32 v1, v4, v5 offset1:32
	ds_write_b32 v1, v2 offset:256
.LBB167_217:
	s_or_b64 exec, exec, s[0:1]
	v_or_b32_e32 v1, 0x60, v23
	s_movk_i32 s0, 0x78
	v_cmp_gt_u32_e64 s[0:1], s0, v1
	s_and_b64 s[0:1], vcc, s[0:1]
	s_and_b64 exec, exec, s[0:1]
	s_cbranch_execz .LBB167_219
; %bb.218:
	v_mov_b32_e32 v1, 0x100
	v_lshl_add_u32 v1, v23, 2, v1
	ds_write_b32 v1, v3 offset:384
.LBB167_219:
	s_or_b64 exec, exec, s[2:3]
	v_cmp_gt_u32_e32 vcc, 64, v0
	v_lshrrev_b32_e32 v6, 1, v0
	s_waitcnt lgkmcnt(0)
	s_barrier
	s_and_saveexec_b64 s[8:9], vcc
	s_cbranch_execz .LBB167_227
; %bb.220:
	v_cmp_eq_u32_e64 s[0:1], 0, v22
	s_and_saveexec_b64 s[2:3], s[0:1]
	s_cbranch_execnz .LBB167_249
; %bb.221:
	s_or_b64 exec, exec, s[2:3]
	s_and_saveexec_b64 s[2:3], s[0:1]
	s_cbranch_execnz .LBB167_250
.LBB167_222:
	s_or_b64 exec, exec, s[2:3]
	s_and_saveexec_b64 s[2:3], s[0:1]
	s_cbranch_execz .LBB167_224
.LBB167_223:
	v_mov_b32_e32 v0, 0x100
	v_lshl_add_u32 v0, v6, 2, v0
	ds_read_b32 v0, v0 offset:256
	s_waitcnt lgkmcnt(0)
	v_add_f32_e32 v2, v2, v0
.LBB167_224:
	s_or_b64 exec, exec, s[2:3]
	v_or_b32_e32 v0, 0x60, v6
	s_movk_i32 s2, 0x78
	v_cmp_gt_u32_e64 s[2:3], s2, v0
	s_and_b64 s[2:3], s[0:1], s[2:3]
	s_and_saveexec_b64 s[0:1], s[2:3]
	s_cbranch_execz .LBB167_226
; %bb.225:
	v_mov_b32_e32 v0, 0x100
	v_lshl_add_u32 v0, v6, 2, v0
	ds_read_b32 v0, v0 offset:384
	s_waitcnt lgkmcnt(0)
	v_add_f32_e32 v3, v3, v0
.LBB167_226:
	s_or_b64 exec, exec, s[0:1]
.LBB167_227:
	s_or_b64 exec, exec, s[8:9]
	s_barrier
	s_and_saveexec_b64 s[0:1], vcc
	s_cbranch_execz .LBB167_248
; %bb.228:
	s_mul_i32 s0, s6, 0x78
	s_ashr_i32 s1, s0, 31
	s_lshl_b64 s[0:1], s[0:1], 1
	s_add_u32 s2, s22, s0
	s_mul_i32 s0, s21, s20
	s_addc_u32 s3, s23, s1
	s_ashr_i32 s1, s0, 31
	s_lshl_b64 s[0:1], s[0:1], 1
	s_add_u32 s2, s2, s0
	s_mul_i32 s0, s4, 0x78
	s_addc_u32 s3, s3, s1
	s_ashr_i32 s1, s0, 31
	s_lshl_b64 s[0:1], s[0:1], 1
	s_add_u32 s2, s2, s0
	s_addc_u32 s3, s3, s1
	v_cmp_eq_u32_e32 vcc, 0, v22
	s_and_saveexec_b64 s[4:5], vcc
	s_cbranch_execz .LBB167_242
; %bb.229:
	s_mov_b32 s0, 0x7f800000
	v_and_b32_e32 v0, 0x7f800000, v4
	v_cmp_ne_u32_e64 s[0:1], s0, v0
                                        ; implicit-def: $vgpr7
	s_and_saveexec_b64 s[6:7], s[0:1]
	s_xor_b64 s[0:1], exec, s[6:7]
; %bb.230:
	v_bfe_u32 v0, v4, 16, 1
	s_movk_i32 s6, 0x7fff
	v_add3_u32 v7, v4, v0, s6
; %bb.231:
	s_andn2_saveexec_b64 s[6:7], s[0:1]
; %bb.232:
	v_mov_b32_e32 v0, 0
	v_or_b32_e32 v1, 0x10000, v4
	v_cmp_eq_u32_sdwa s[0:1], v4, v0 src0_sel:WORD_0 src1_sel:DWORD
	s_nop 1
	v_cndmask_b32_e64 v7, v1, v4, s[0:1]
; %bb.233:
	s_or_b64 exec, exec, s[6:7]
	s_mov_b32 s0, 0x7f800000
	v_and_b32_e32 v4, 0x7f800000, v5
	v_lshlrev_b32_e32 v0, 1, v6
	v_mov_b32_e32 v1, 0
	v_cmp_ne_u32_e64 s[0:1], s0, v4
	global_store_short_d16_hi v0, v7, s[2:3]
                                        ; implicit-def: $vgpr4
	s_and_saveexec_b64 s[6:7], s[0:1]
	s_xor_b64 s[0:1], exec, s[6:7]
; %bb.234:
	v_bfe_u32 v4, v5, 16, 1
	s_movk_i32 s6, 0x7fff
	v_add3_u32 v4, v5, v4, s6
; %bb.235:
	s_or_saveexec_b64 s[6:7], s[0:1]
	v_lshl_add_u64 v[0:1], s[2:3], 0, v[0:1]
	s_xor_b64 exec, exec, s[6:7]
; %bb.236:
	v_mov_b32_e32 v4, 0
	v_or_b32_e32 v7, 0x10000, v5
	v_cmp_eq_u32_sdwa s[0:1], v5, v4 src0_sel:WORD_0 src1_sel:DWORD
	s_nop 1
	v_cndmask_b32_e64 v4, v7, v5, s[0:1]
; %bb.237:
	s_or_b64 exec, exec, s[6:7]
	global_store_short_d16_hi v[0:1], v4, off offset:64
	s_mov_b32 s0, 0x7f800000
	v_and_b32_e32 v4, 0x7f800000, v2
	v_cmp_ne_u32_e64 s[0:1], s0, v4
                                        ; implicit-def: $vgpr4
	s_and_saveexec_b64 s[6:7], s[0:1]
	s_xor_b64 s[0:1], exec, s[6:7]
; %bb.238:
	v_bfe_u32 v4, v2, 16, 1
	s_movk_i32 s6, 0x7fff
	v_add3_u32 v4, v2, v4, s6
; %bb.239:
	s_andn2_saveexec_b64 s[6:7], s[0:1]
; %bb.240:
	v_mov_b32_e32 v4, 0
	v_or_b32_e32 v5, 0x10000, v2
	v_cmp_eq_u32_sdwa s[0:1], v2, v4 src0_sel:WORD_0 src1_sel:DWORD
	s_nop 1
	v_cndmask_b32_e64 v4, v5, v2, s[0:1]
; %bb.241:
	s_or_b64 exec, exec, s[6:7]
	global_store_short_d16_hi v[0:1], v4, off offset:128
.LBB167_242:
	s_or_b64 exec, exec, s[4:5]
	v_or_b32_e32 v0, 0x60, v6
	s_movk_i32 s0, 0x78
	v_cmp_gt_u32_e64 s[0:1], s0, v0
	s_and_b64 s[0:1], vcc, s[0:1]
	s_and_b64 exec, exec, s[0:1]
	s_cbranch_execz .LBB167_248
; %bb.243:
	s_mov_b32 s0, 0x7f800000
	v_and_b32_e32 v0, 0x7f800000, v3
	v_cmp_ne_u32_e32 vcc, s0, v0
                                        ; implicit-def: $vgpr4
	s_and_saveexec_b64 s[0:1], vcc
	s_xor_b64 s[0:1], exec, s[0:1]
; %bb.244:
	v_bfe_u32 v0, v3, 16, 1
	s_movk_i32 s4, 0x7fff
	v_add3_u32 v4, v3, v0, s4
                                        ; implicit-def: $vgpr0_vgpr1_vgpr2_vgpr3
; %bb.245:
	s_andn2_saveexec_b64 s[0:1], s[0:1]
; %bb.246:
	v_mov_b32_e32 v0, 0
	v_or_b32_e32 v1, 0x10000, v3
	v_cmp_eq_u32_sdwa vcc, v3, v0 src0_sel:WORD_0 src1_sel:DWORD
	s_nop 1
	v_cndmask_b32_e32 v4, v1, v3, vcc
; %bb.247:
	s_or_b64 exec, exec, s[0:1]
	v_lshlrev_b32_e32 v0, 1, v6
	global_store_short_d16_hi v0, v4, s[2:3] offset:192
.LBB167_248:
	s_endpgm
.LBB167_249:
	v_mov_b32_e32 v0, 0x100
	v_lshl_add_u32 v0, v6, 2, v0
	ds_read_b32 v0, v0
	s_waitcnt lgkmcnt(0)
	v_add_f32_e32 v4, v4, v0
	s_or_b64 exec, exec, s[2:3]
	s_and_saveexec_b64 s[2:3], s[0:1]
	s_cbranch_execz .LBB167_222
.LBB167_250:
	v_mov_b32_e32 v0, 0x100
	v_lshl_add_u32 v0, v6, 2, v0
	ds_read_b32 v0, v0 offset:128
	s_waitcnt lgkmcnt(0)
	v_add_f32_e32 v5, v5, v0
	s_or_b64 exec, exec, s[2:3]
	s_and_saveexec_b64 s[2:3], s[0:1]
	s_cbranch_execnz .LBB167_223
	s_branch .LBB167_224
	.section	.rodata,"a",@progbits
	.p2align	6, 0x0
	.amdhsa_kernel _ZN4vllm25paged_attention_v2_kernelI14__hip_bfloat16S1_Li120ELi16ELi128ELNS_18Fp8KVCacheDataTypeE0ELb0ELi512EEEvPfS3_PT_PKS4_PKT0_SA_ifPKiSC_iPKfiiiSE_SE_iiiii
		.amdhsa_group_segment_fixed_size 256
		.amdhsa_private_segment_fixed_size 0
		.amdhsa_kernarg_size 400
		.amdhsa_user_sgpr_count 2
		.amdhsa_user_sgpr_dispatch_ptr 0
		.amdhsa_user_sgpr_queue_ptr 0
		.amdhsa_user_sgpr_kernarg_segment_ptr 1
		.amdhsa_user_sgpr_dispatch_id 0
		.amdhsa_user_sgpr_kernarg_preload_length 0
		.amdhsa_user_sgpr_kernarg_preload_offset 0
		.amdhsa_user_sgpr_private_segment_size 0
		.amdhsa_uses_dynamic_stack 0
		.amdhsa_enable_private_segment 0
		.amdhsa_system_sgpr_workgroup_id_x 1
		.amdhsa_system_sgpr_workgroup_id_y 1
		.amdhsa_system_sgpr_workgroup_id_z 1
		.amdhsa_system_sgpr_workgroup_info 0
		.amdhsa_system_vgpr_workitem_id 0
		.amdhsa_next_free_vgpr 63
		.amdhsa_next_free_sgpr 42
		.amdhsa_accum_offset 64
		.amdhsa_reserve_vcc 1
		.amdhsa_float_round_mode_32 0
		.amdhsa_float_round_mode_16_64 0
		.amdhsa_float_denorm_mode_32 3
		.amdhsa_float_denorm_mode_16_64 3
		.amdhsa_dx10_clamp 1
		.amdhsa_ieee_mode 1
		.amdhsa_fp16_overflow 0
		.amdhsa_tg_split 0
		.amdhsa_exception_fp_ieee_invalid_op 0
		.amdhsa_exception_fp_denorm_src 0
		.amdhsa_exception_fp_ieee_div_zero 0
		.amdhsa_exception_fp_ieee_overflow 0
		.amdhsa_exception_fp_ieee_underflow 0
		.amdhsa_exception_fp_ieee_inexact 0
		.amdhsa_exception_int_div_zero 0
	.end_amdhsa_kernel
	.section	.text._ZN4vllm25paged_attention_v2_kernelI14__hip_bfloat16S1_Li120ELi16ELi128ELNS_18Fp8KVCacheDataTypeE0ELb0ELi512EEEvPfS3_PT_PKS4_PKT0_SA_ifPKiSC_iPKfiiiSE_SE_iiiii,"axG",@progbits,_ZN4vllm25paged_attention_v2_kernelI14__hip_bfloat16S1_Li120ELi16ELi128ELNS_18Fp8KVCacheDataTypeE0ELb0ELi512EEEvPfS3_PT_PKS4_PKT0_SA_ifPKiSC_iPKfiiiSE_SE_iiiii,comdat
.Lfunc_end167:
	.size	_ZN4vllm25paged_attention_v2_kernelI14__hip_bfloat16S1_Li120ELi16ELi128ELNS_18Fp8KVCacheDataTypeE0ELb0ELi512EEEvPfS3_PT_PKS4_PKT0_SA_ifPKiSC_iPKfiiiSE_SE_iiiii, .Lfunc_end167-_ZN4vllm25paged_attention_v2_kernelI14__hip_bfloat16S1_Li120ELi16ELi128ELNS_18Fp8KVCacheDataTypeE0ELb0ELi512EEEvPfS3_PT_PKS4_PKT0_SA_ifPKiSC_iPKfiiiSE_SE_iiiii
                                        ; -- End function
	.section	.AMDGPU.csdata,"",@progbits
; Kernel info:
; codeLenInByte = 9296
; NumSgprs: 48
; NumVgprs: 63
; NumAgprs: 0
; TotalNumVgprs: 63
; ScratchSize: 0
; MemoryBound: 0
; FloatMode: 240
; IeeeMode: 1
; LDSByteSize: 256 bytes/workgroup (compile time only)
; SGPRBlocks: 5
; VGPRBlocks: 7
; NumSGPRsForWavesPerEU: 48
; NumVGPRsForWavesPerEU: 63
; AccumOffset: 64
; Occupancy: 8
; WaveLimiterHint : 1
; COMPUTE_PGM_RSRC2:SCRATCH_EN: 0
; COMPUTE_PGM_RSRC2:USER_SGPR: 2
; COMPUTE_PGM_RSRC2:TRAP_HANDLER: 0
; COMPUTE_PGM_RSRC2:TGID_X_EN: 1
; COMPUTE_PGM_RSRC2:TGID_Y_EN: 1
; COMPUTE_PGM_RSRC2:TGID_Z_EN: 1
; COMPUTE_PGM_RSRC2:TIDIG_COMP_CNT: 0
; COMPUTE_PGM_RSRC3_GFX90A:ACCUM_OFFSET: 15
; COMPUTE_PGM_RSRC3_GFX90A:TG_SPLIT: 0
	.section	.text._ZN4vllm25paged_attention_v2_kernelI14__hip_bfloat16S1_Li128ELi16ELi128ELNS_18Fp8KVCacheDataTypeE0ELb0ELi512EEEvPfS3_PT_PKS4_PKT0_SA_ifPKiSC_iPKfiiiSE_SE_iiiii,"axG",@progbits,_ZN4vllm25paged_attention_v2_kernelI14__hip_bfloat16S1_Li128ELi16ELi128ELNS_18Fp8KVCacheDataTypeE0ELb0ELi512EEEvPfS3_PT_PKS4_PKT0_SA_ifPKiSC_iPKfiiiSE_SE_iiiii,comdat
	.protected	_ZN4vllm25paged_attention_v2_kernelI14__hip_bfloat16S1_Li128ELi16ELi128ELNS_18Fp8KVCacheDataTypeE0ELb0ELi512EEEvPfS3_PT_PKS4_PKT0_SA_ifPKiSC_iPKfiiiSE_SE_iiiii ; -- Begin function _ZN4vllm25paged_attention_v2_kernelI14__hip_bfloat16S1_Li128ELi16ELi128ELNS_18Fp8KVCacheDataTypeE0ELb0ELi512EEEvPfS3_PT_PKS4_PKT0_SA_ifPKiSC_iPKfiiiSE_SE_iiiii
	.globl	_ZN4vllm25paged_attention_v2_kernelI14__hip_bfloat16S1_Li128ELi16ELi128ELNS_18Fp8KVCacheDataTypeE0ELb0ELi512EEEvPfS3_PT_PKS4_PKT0_SA_ifPKiSC_iPKfiiiSE_SE_iiiii
	.p2align	8
	.type	_ZN4vllm25paged_attention_v2_kernelI14__hip_bfloat16S1_Li128ELi16ELi128ELNS_18Fp8KVCacheDataTypeE0ELb0ELi512EEEvPfS3_PT_PKS4_PKT0_SA_ifPKiSC_iPKfiiiSE_SE_iiiii,@function
_ZN4vllm25paged_attention_v2_kernelI14__hip_bfloat16S1_Li128ELi16ELi128ELNS_18Fp8KVCacheDataTypeE0ELb0ELi512EEEvPfS3_PT_PKS4_PKT0_SA_ifPKiSC_iPKfiiiSE_SE_iiiii: ; @_ZN4vllm25paged_attention_v2_kernelI14__hip_bfloat16S1_Li128ELi16ELi128ELNS_18Fp8KVCacheDataTypeE0ELb0ELi512EEEvPfS3_PT_PKS4_PKT0_SA_ifPKiSC_iPKfiiiSE_SE_iiiii
; %bb.0:
	s_load_dwordx2 s[6:7], s[0:1], 0x40
	s_mov_b32 s14, s3
	s_ashr_i32 s15, s3, 31
	s_lshl_b64 s[8:9], s[14:15], 2
	s_waitcnt lgkmcnt(0)
	s_add_u32 s6, s6, s8
	s_addc_u32 s7, s7, s9
	s_load_dword s33, s[6:7], 0x0
	s_lshl_b32 s42, s4, 9
	s_waitcnt lgkmcnt(0)
	s_cmp_ge_i32 s42, s33
	s_cbranch_scc1 .LBB168_240
; %bb.1:
	s_load_dword s15, s[0:1], 0x90
	s_load_dwordx2 s[12:13], s[0:1], 0x30
	s_waitcnt lgkmcnt(0)
	s_abs_i32 s6, s15
	s_abs_i32 s3, s12
	v_cvt_f32_u32_e32 v1, s3
	s_sub_i32 s7, 0, s3
	s_xor_b32 s5, s15, s12
	s_ashr_i32 s5, s5, 31
	v_rcp_iflag_f32_e32 v1, v1
	s_nop 0
	v_mul_f32_e32 v1, 0x4f7ffffe, v1
	v_cvt_u32_f32_e32 v1, v1
	s_nop 0
	v_readfirstlane_b32 s8, v1
	s_mul_i32 s7, s7, s8
	s_mul_hi_u32 s7, s8, s7
	s_add_i32 s8, s8, s7
	s_mul_hi_u32 s7, s6, s8
	s_mul_i32 s8, s7, s3
	s_sub_i32 s6, s6, s8
	s_add_i32 s9, s7, 1
	s_sub_i32 s8, s6, s3
	s_cmp_ge_u32 s6, s3
	s_cselect_b32 s7, s9, s7
	s_cselect_b32 s6, s8, s6
	s_add_i32 s8, s7, 1
	s_cmp_ge_u32 s6, s3
	s_cselect_b32 s3, s8, s7
	s_xor_b32 s3, s3, s5
	s_sub_i32 s10, s3, s5
	s_abs_i32 s8, s10
	v_cvt_f32_u32_e32 v1, s8
	s_load_dwordx2 s[6:7], s[0:1], 0x50
	s_sub_i32 s3, 0, s8
	s_abs_i32 s9, s2
	v_rcp_iflag_f32_e32 v1, v1
	s_mov_b32 s5, 0
	v_mul_f32_e32 v1, 0x4f7ffffe, v1
	v_cvt_u32_f32_e32 v1, v1
	s_nop 0
	v_readfirstlane_b32 s11, v1
	s_mul_i32 s3, s3, s11
	s_mul_hi_u32 s3, s11, s3
	s_add_i32 s11, s11, s3
	s_waitcnt lgkmcnt(0)
	s_cmp_eq_u64 s[6:7], 0
	s_mul_hi_u32 s12, s9, s11
	s_cbranch_scc1 .LBB168_3
; %bb.2:
	s_ashr_i32 s3, s2, 31
	s_lshl_b64 s[16:17], s[2:3], 2
	s_add_u32 s6, s6, s16
	s_addc_u32 s7, s7, s17
	s_load_dword s5, s[6:7], 0x0
.LBB168_3:
	s_load_dwordx4 s[16:19], s[0:1], 0x58
	s_ashr_i32 s20, s2, 31
	s_waitcnt lgkmcnt(0)
	s_ashr_i32 s19, s10, 31
	v_and_b32_e32 v4, 3, v0
	s_lshl_b32 s24, s2, 7
	v_cmp_gt_u32_e64 s[10:11], 64, v0
	s_and_saveexec_b64 s[6:7], s[10:11]
	s_cbranch_execz .LBB168_5
; %bb.4:
	s_load_dwordx2 s[22:23], s[0:1], 0x18
	s_mul_i32 s26, s14, s16
	s_ashr_i32 s27, s26, 31
	s_lshl_b64 s[26:27], s[26:27], 1
	v_lshlrev_b32_e32 v1, 2, v0
	s_waitcnt lgkmcnt(0)
	s_add_u32 s3, s22, s26
	s_addc_u32 s16, s23, s27
	s_ashr_i32 s25, s24, 31
	s_lshl_b64 s[22:23], s[24:25], 1
	s_add_u32 s22, s3, s22
	s_addc_u32 s23, s16, s23
	global_load_dword v1, v1, s[22:23]
	v_and_b32_e32 v2, 0x3fc, v0
	v_lshl_add_u32 v2, v4, 6, v2
	s_waitcnt vmcnt(0)
	ds_write_b32 v2, v1
.LBB168_5:
	s_or_b64 exec, exec, s[6:7]
	s_add_i32 s3, s33, 15
	s_ashr_i32 s6, s3, 31
	s_lshr_b32 s6, s6, 28
	s_add_i32 s3, s3, s6
	s_ashr_i32 s43, s3, 4
	s_lshl_b32 s3, s4, 5
	s_mul_i32 s7, s12, s8
	s_add_i32 s6, s3, 32
	s_sub_i32 s7, s9, s7
	s_min_i32 s25, s6, s43
	s_xor_b32 s6, s20, s19
	s_add_i32 s9, s12, 1
	s_sub_i32 s16, s7, s8
	s_cmp_ge_u32 s7, s8
	s_cselect_b32 s9, s9, s12
	s_cselect_b32 s7, s16, s7
	s_add_i32 s12, s9, 1
	s_cmp_ge_u32 s7, s8
	s_load_dwordx2 s[28:29], s[0:1], 0x38
	s_load_dword s8, s[0:1], 0x48
	v_lshrrev_b32_e32 v6, 6, v0
	s_cselect_b32 s7, s12, s9
	s_xor_b32 s7, s7, s6
	v_or_b32_e32 v10, s3, v6
	s_waitcnt lgkmcnt(0)
	s_mul_i32 s30, s14, s8
	s_sub_i32 s12, s7, s6
	s_ashr_i32 s31, s30, 31
	v_cmp_gt_i32_e64 s[6:7], s25, v10
	v_cmp_le_i32_e32 vcc, s25, v10
	v_mbcnt_lo_u32_b32 v5, -1, 0
	s_barrier
	s_waitcnt lgkmcnt(0)
                                        ; implicit-def: $sgpr19
                                        ; implicit-def: $vgpr7
                                        ; implicit-def: $vgpr8
	s_and_saveexec_b64 s[8:9], vcc
	s_xor_b64 s[8:9], exec, s[8:9]
; %bb.6:
	v_mbcnt_hi_u32_b32 v7, -1, v5
	v_and_b32_e32 v1, 64, v7
	v_add_u32_e32 v8, 64, v1
	s_mov_b32 s19, 0xff7fffff
                                        ; implicit-def: $vgpr4
                                        ; implicit-def: $vgpr5
; %bb.7:
	s_or_saveexec_b64 s[36:37], s[8:9]
	s_load_dwordx4 s[20:23], s[0:1], 0x0
	s_load_dwordx2 s[26:27], s[0:1], 0x10
	s_load_dwordx2 s[34:35], s[0:1], 0x28
	s_load_dword s16, s[0:1], 0x98
	v_mov_b32_e32 v39, s19
	s_mul_i32 s18, s12, s18
	v_ashrrev_i32_e32 v11, 31, v10
	s_xor_b64 exec, exec, s[36:37]
	s_cbranch_execz .LBB168_13
; %bb.8:
	s_load_dwordx2 s[0:1], s[0:1], 0x20
	s_ashr_i32 s19, s18, 31
	s_lshl_b64 s[8:9], s[18:19], 1
	v_bfe_u32 v39, v0, 2, 4
	v_lshlrev_b32_e32 v2, 4, v39
	s_waitcnt lgkmcnt(0)
	s_add_u32 s0, s0, s8
	s_addc_u32 s1, s1, s9
	v_mov_b32_e32 v3, 0
	v_lshlrev_b32_e32 v1, 2, v0
	v_lshl_add_u64 v[8:9], s[0:1], 0, v[2:3]
	v_and_b32_e32 v2, 12, v1
	v_lshlrev_b32_e32 v1, 6, v4
	ds_read_b128 v[14:17], v1
	ds_read_b128 v[22:25], v1 offset:16
	ds_read_b128 v[30:33], v1 offset:32
	;; [unrolled: 1-line block ×3, first 2 shown]
	v_mbcnt_hi_u32_b32 v7, -1, v5
	v_and_b32_e32 v5, 64, v7
	v_lshl_add_u64 v[2:3], v[8:9], 0, v[2:3]
	v_add_u32_e32 v8, 64, v5
	v_xor_b32_e32 v5, 2, v7
	v_cmp_lt_i32_e32 vcc, v5, v8
	s_waitcnt lgkmcnt(0)
	v_lshlrev_b32_e32 v34, 16, v40
	v_and_b32_e32 v35, 0xffff0000, v40
	v_cndmask_b32_e32 v5, v7, v5, vcc
	v_lshlrev_b32_e32 v36, 16, v41
	v_and_b32_e32 v37, 0xffff0000, v41
	v_lshlrev_b32_e32 v38, 16, v42
	v_and_b32_e32 v40, 0xffff0000, v42
	;; [unrolled: 2-line block ×3, first 2 shown]
	v_lshlrev_b32_e32 v43, 2, v5
	v_xor_b32_e32 v5, 1, v7
	v_cmp_lt_i32_e32 vcc, v5, v8
	s_sub_i32 s19, 1, s33
	s_lshl_b64 s[0:1], s[30:31], 2
	v_cndmask_b32_e32 v5, v7, v5, vcc
	v_cmp_eq_u32_e32 vcc, 0, v4
	v_lshlrev_b32_e32 v4, 4, v6
	v_add3_u32 v45, s42, v4, v39
	v_lshlrev_b32_e32 v4, 2, v39
	s_add_u32 s0, s28, s0
	v_lshl_or_b32 v4, v6, 6, v4
	s_addc_u32 s1, s29, s1
	s_mov_b32 s12, s17
	v_lshlrev_b32_e32 v1, 16, v14
	v_and_b32_e32 v9, 0xffff0000, v14
	v_lshlrev_b32_e32 v12, 16, v15
	v_and_b32_e32 v13, 0xffff0000, v15
	;; [unrolled: 2-line block ×12, first 2 shown]
	v_lshlrev_b32_e32 v44, 2, v5
	v_cmp_neq_f32_e64 s[8:9], s5, 0
	v_add_u32_e32 v46, 0x110, v4
	v_lshl_add_u64 v[4:5], v[10:11], 2, s[0:1]
	s_mov_b64 s[38:39], 0
	v_mov_b32_e32 v39, 0xff7fffff
	v_mov_b32_e32 v47, v10
	s_branch .LBB168_10
.LBB168_9:                              ;   in Loop: Header=BB168_10 Depth=1
	s_or_b64 exec, exec, s[40:41]
	v_add_u32_e32 v47, 2, v47
	v_cmp_le_i32_e64 s[0:1], s25, v47
	v_add_u32_e32 v45, 32, v45
	v_add_u32_e32 v46, 0x80, v46
	s_or_b64 s[38:39], s[0:1], s[38:39]
	v_lshl_add_u64 v[4:5], v[4:5], 0, 8
	s_andn2_b64 exec, exec, s[38:39]
	s_cbranch_execz .LBB168_12
.LBB168_10:                             ; =>This Inner Loop Header: Depth=1
	global_load_dword v48, v[4:5], off
	s_waitcnt vmcnt(0) lgkmcnt(0)
	v_mad_i64_i32 v[48:49], s[0:1], v48, s12, 0
	v_lshl_add_u64 v[48:49], v[48:49], 1, v[2:3]
	global_load_dword v50, v[48:49], off offset:512
	global_load_dword v51, v[48:49], off offset:768
	;; [unrolled: 1-line block ×7, first 2 shown]
	global_load_dword v57, v[48:49], off
	global_load_dword v58, v[48:49], off offset:2048
	global_load_dword v59, v[48:49], off offset:2304
	global_load_dword v60, v[48:49], off offset:2560
	global_load_dword v61, v[48:49], off offset:2816
	global_load_dword v62, v[48:49], off offset:3072
	global_load_dword v63, v[48:49], off offset:3328
	global_load_dword v64, v[48:49], off offset:3584
	s_nop 0
	global_load_dword v48, v[48:49], off offset:3840
	s_waitcnt vmcnt(15)
	v_lshlrev_b32_e32 v66, 16, v50
	v_and_b32_e32 v50, 0xffff0000, v50
	s_waitcnt vmcnt(14)
	v_lshlrev_b32_e32 v67, 16, v51
	v_and_b32_e32 v51, 0xffff0000, v51
	;; [unrolled: 3-line block ×5, first 2 shown]
	v_mul_f32_e32 v49, v12, v49
	v_mul_f32_e32 v56, v13, v56
	v_fmac_f32_e32 v49, v1, v65
	v_fmac_f32_e32 v56, v9, v57
	v_fmac_f32_e32 v49, v14, v66
	v_fmac_f32_e32 v56, v15, v50
	v_fmac_f32_e32 v49, v16, v67
	v_fmac_f32_e32 v56, v17, v51
	v_lshlrev_b32_e32 v69, 16, v53
	v_and_b32_e32 v53, 0xffff0000, v53
	v_fmac_f32_e32 v49, v18, v68
	v_fmac_f32_e32 v56, v19, v52
	v_lshlrev_b32_e32 v70, 16, v54
	v_and_b32_e32 v54, 0xffff0000, v54
	v_fmac_f32_e32 v49, v20, v69
	v_fmac_f32_e32 v56, v21, v53
	;; [unrolled: 4-line block ×3, first 2 shown]
	s_waitcnt vmcnt(7)
	v_lshlrev_b32_e32 v72, 16, v58
	v_and_b32_e32 v58, 0xffff0000, v58
	v_fmac_f32_e32 v49, v24, v71
	v_fmac_f32_e32 v56, v25, v55
	s_waitcnt vmcnt(6)
	v_lshlrev_b32_e32 v73, 16, v59
	v_and_b32_e32 v59, 0xffff0000, v59
	v_fmac_f32_e32 v49, v26, v72
	v_fmac_f32_e32 v56, v27, v58
	;; [unrolled: 5-line block ×8, first 2 shown]
	v_fmac_f32_e32 v49, v41, v57
	v_fmac_f32_e32 v56, v42, v48
	v_add_f32_e32 v48, v49, v56
	ds_bpermute_b32 v49, v43, v48
	s_waitcnt lgkmcnt(0)
	v_add_f32_e32 v48, v48, v49
	ds_bpermute_b32 v49, v44, v48
	s_and_saveexec_b64 s[40:41], vcc
	s_cbranch_execz .LBB168_9
; %bb.11:                               ;   in Loop: Header=BB168_10 Depth=1
	v_add_u32_e32 v50, s19, v45
	v_cvt_f32_i32_e32 v50, v50
	s_waitcnt lgkmcnt(0)
	v_add_f32_e32 v48, v48, v49
	v_cmp_gt_i32_e64 s[0:1], s33, v45
	v_max_f32_e32 v49, v39, v39
	v_mul_f32_e32 v50, s5, v50
	v_cndmask_b32_e64 v50, 0, v50, s[8:9]
	v_fmac_f32_e32 v50, s13, v48
	v_cndmask_b32_e64 v48, 0, v50, s[0:1]
	ds_write_b32 v46, v48
	v_max_f32_e32 v48, v49, v50
	v_cndmask_b32_e64 v39, v39, v48, s[0:1]
	s_branch .LBB168_9
.LBB168_12:
	s_or_b64 exec, exec, s[38:39]
.LBB168_13:
	s_or_b64 exec, exec, s[36:37]
	v_xor_b32_e32 v1, 32, v7
	v_cmp_lt_i32_e32 vcc, v1, v8
	v_xor_b32_e32 v4, 16, v7
	v_max_f32_e32 v3, v39, v39
	v_cndmask_b32_e32 v1, v7, v1, vcc
	v_lshlrev_b32_e32 v2, 2, v1
	ds_bpermute_b32 v1, v2, v39
	v_cmp_lt_i32_e32 vcc, v4, v8
	v_xor_b32_e32 v5, 8, v7
	s_waitcnt lgkmcnt(0)
	v_max_f32_e32 v1, v1, v1
	v_max_f32_e32 v1, v3, v1
	v_cndmask_b32_e32 v3, v7, v4, vcc
	v_lshlrev_b32_e32 v3, 2, v3
	ds_bpermute_b32 v4, v3, v1
	v_cmp_lt_i32_e32 vcc, v5, v8
	s_waitcnt lgkmcnt(0)
	v_max_f32_e32 v4, v4, v4
	v_max_f32_e32 v1, v1, v4
	v_cndmask_b32_e32 v4, v7, v5, vcc
	v_lshlrev_b32_e32 v12, 2, v4
	ds_bpermute_b32 v4, v12, v1
	v_xor_b32_e32 v5, 4, v7
	v_cmp_lt_i32_e32 vcc, v5, v8
	s_waitcnt lgkmcnt(0)
	v_max_f32_e32 v4, v4, v4
	v_max_f32_e32 v4, v1, v4
	v_cndmask_b32_e32 v1, v7, v5, vcc
	v_lshlrev_b32_e32 v13, 2, v1
	ds_bpermute_b32 v9, v13, v4
	v_and_b32_e32 v1, 63, v0
	v_cmp_eq_u32_e32 vcc, 0, v1
	v_lshlrev_b32_e32 v5, 2, v6
	s_and_saveexec_b64 s[0:1], vcc
	s_cbranch_execz .LBB168_15
; %bb.14:
	s_waitcnt lgkmcnt(0)
	v_max_f32_e32 v9, v9, v9
	v_max_f32_e32 v4, v4, v4
	;; [unrolled: 1-line block ×3, first 2 shown]
	ds_write_b32 v5, v4 offset:256
.LBB168_15:
	s_or_b64 exec, exec, s[0:1]
	v_cmp_gt_u32_e64 s[0:1], 2, v1
	v_mov_b32_e32 v4, 0xff7fffff
	s_waitcnt lgkmcnt(0)
	v_lshlrev_b32_e32 v9, 2, v1
	s_barrier
	s_and_saveexec_b64 s[8:9], s[0:1]
	s_cbranch_execz .LBB168_17
; %bb.16:
	ds_read_b32 v4, v9 offset:256
.LBB168_17:
	s_or_b64 exec, exec, s[8:9]
	v_xor_b32_e32 v14, 1, v7
	v_cmp_lt_i32_e64 s[8:9], v14, v8
	s_sub_i32 s3, s25, s3
	s_lshl_b32 s3, s3, 4
	v_cndmask_b32_e64 v14, v7, v14, s[8:9]
	v_lshlrev_b32_e32 v22, 2, v14
	s_waitcnt lgkmcnt(0)
	ds_bpermute_b32 v14, v22, v4
	v_max_f32_e32 v4, v4, v4
	s_add_i32 s3, s3, s42
	s_min_i32 s5, s3, s33
	s_sub_i32 s3, s5, s42
	s_waitcnt lgkmcnt(0)
	v_max_f32_e32 v14, v14, v14
	v_max_f32_e32 v4, v4, v14
	v_lshlrev_b32_e32 v14, 2, v7
	v_and_b32_e32 v14, 0xffffff00, v14
	ds_bpermute_b32 v4, v14, v4
	v_cmp_gt_i32_e64 s[8:9], s3, v0
	v_mov_b32_e32 v15, 0
	s_and_saveexec_b64 s[36:37], s[8:9]
	s_cbranch_execz .LBB168_21
; %bb.18:
	v_mov_b32_e32 v15, 0x110
	v_lshl_add_u32 v16, v0, 2, v15
	s_mov_b64 s[38:39], 0
	v_mov_b32_e32 v15, 0
	v_mov_b32_e32 v17, v0
.LBB168_19:                             ; =>This Inner Loop Header: Depth=1
	ds_read_b32 v18, v16
	v_add_u32_e32 v17, 0x80, v17
	v_cmp_le_i32_e64 s[12:13], s3, v17
	s_or_b64 s[38:39], s[12:13], s[38:39]
	s_waitcnt lgkmcnt(0)
	v_sub_f32_e32 v18, v18, v4
	v_mul_f32_e32 v18, 0x3fb8aa3b, v18
	v_exp_f32_e32 v18, v18
	ds_write_b32 v16, v18
	v_add_f32_e32 v15, v15, v18
	v_add_u32_e32 v16, 0x200, v16
	s_andn2_b64 exec, exec, s[38:39]
	s_cbranch_execnz .LBB168_19
; %bb.20:
	s_or_b64 exec, exec, s[38:39]
.LBB168_21:
	s_or_b64 exec, exec, s[36:37]
	ds_bpermute_b32 v2, v2, v15
	s_waitcnt lgkmcnt(0)
	v_add_f32_e32 v2, v15, v2
	ds_bpermute_b32 v3, v3, v2
	s_waitcnt lgkmcnt(0)
	v_add_f32_e32 v2, v2, v3
	ds_bpermute_b32 v3, v12, v2
	v_xor_b32_e32 v12, 2, v7
	v_cmp_lt_i32_e64 s[12:13], v12, v8
	s_waitcnt lgkmcnt(0)
	v_add_f32_e32 v2, v2, v3
	ds_bpermute_b32 v3, v13, v2
	v_cndmask_b32_e64 v7, v7, v12, s[12:13]
	s_waitcnt lgkmcnt(0)
	v_add_f32_e32 v2, v2, v3
	v_lshlrev_b32_e32 v3, 2, v7
	ds_bpermute_b32 v3, v3, v2
	s_waitcnt lgkmcnt(0)
	v_add_f32_e32 v2, v2, v3
	ds_bpermute_b32 v3, v22, v2
	s_waitcnt lgkmcnt(0)
	v_add_f32_e32 v2, v2, v3
	s_and_saveexec_b64 s[12:13], vcc
	s_cbranch_execz .LBB168_23
; %bb.22:
	ds_write_b32 v5, v2 offset:264
.LBB168_23:
	s_or_b64 exec, exec, s[12:13]
	s_waitcnt lgkmcnt(0)
	s_barrier
	s_and_saveexec_b64 s[12:13], s[0:1]
	s_cbranch_execz .LBB168_25
; %bb.24:
	ds_read_b32 v2, v9 offset:264
.LBB168_25:
	s_or_b64 exec, exec, s[12:13]
	s_waitcnt lgkmcnt(0)
	ds_bpermute_b32 v3, v22, v2
	s_waitcnt lgkmcnt(0)
	v_add_f32_e32 v2, v2, v3
	ds_bpermute_b32 v5, v14, v2
	s_and_saveexec_b64 s[0:1], s[8:9]
	s_cbranch_execz .LBB168_38
; %bb.26:
	s_waitcnt lgkmcnt(0)
	v_add_f32_e32 v2, 0x358637bd, v5
	v_div_scale_f32 v3, s[8:9], v2, v2, 1.0
	v_rcp_f32_e32 v7, v3
	v_div_scale_f32 v8, vcc, 1.0, v2, 1.0
	s_mov_b64 s[12:13], -1
	v_fma_f32 v9, -v3, v7, 1.0
	v_fmac_f32_e32 v7, v9, v7
	v_mul_f32_e32 v9, v8, v7
	v_fma_f32 v12, -v3, v9, v8
	v_fmac_f32_e32 v9, v12, v7
	v_fma_f32 v3, -v3, v9, v8
	v_div_fmas_f32 v3, v3, v7, v9
	v_div_fixup_f32 v2, v3, v2, 1.0
	v_xad_u32 v3, v0, -1, s5
	v_subrev_u32_e32 v7, s42, v3
	s_movk_i32 s5, 0x7f
	v_cmp_lt_u32_e32 vcc, s5, v7
	v_mov_b32_e32 v3, v0
	s_and_saveexec_b64 s[8:9], vcc
	s_cbranch_execz .LBB168_35
; %bb.27:
	v_lshrrev_b32_e32 v7, 7, v7
	v_add_u32_e32 v9, -1, v7
	v_lshrrev_b32_e32 v8, 1, v9
	v_mov_b32_e32 v3, v2
	v_add_u32_e32 v8, 1, v8
	v_cmp_lt_u32_e32 vcc, 13, v9
	v_mov_b32_e32 v13, 0
	s_and_saveexec_b64 s[12:13], vcc
	s_cbranch_execz .LBB168_31
; %bb.28:
	v_mov_b32_e32 v12, 0x110
	v_and_b32_e32 v9, -8, v8
	v_lshl_add_u32 v12, v0, 2, v12
	s_mov_b32 s5, 0
	s_mov_b64 s[36:37], 0
.LBB168_29:                             ; =>This Inner Loop Header: Depth=1
	ds_read2st64_b32 v[14:15], v12 offset1:2
	ds_read2st64_b32 v[16:17], v12 offset0:4 offset1:6
	ds_read2st64_b32 v[18:19], v12 offset0:8 offset1:10
	;; [unrolled: 1-line block ×3, first 2 shown]
	v_add_u32_e32 v9, -8, v9
	s_waitcnt lgkmcnt(3)
	v_pk_mul_f32 v[14:15], v[2:3], v[14:15]
	s_waitcnt lgkmcnt(2)
	v_pk_mul_f32 v[16:17], v[2:3], v[16:17]
	ds_write2st64_b32 v12, v14, v15 offset1:2
	ds_write2st64_b32 v12, v16, v17 offset0:4 offset1:6
	ds_read2st64_b32 v[16:17], v12 offset0:16 offset1:18
	s_waitcnt lgkmcnt(4)
	v_pk_mul_f32 v[14:15], v[2:3], v[18:19]
	ds_write2st64_b32 v12, v14, v15 offset0:8 offset1:10
	s_waitcnt lgkmcnt(4)
	v_pk_mul_f32 v[14:15], v[2:3], v[20:21]
	ds_write2st64_b32 v12, v14, v15 offset0:12 offset1:14
	ds_read2st64_b32 v[14:15], v12 offset0:20 offset1:22
	s_waitcnt lgkmcnt(3)
	v_pk_mul_f32 v[16:17], v[2:3], v[16:17]
	ds_read2st64_b32 v[18:19], v12 offset0:24 offset1:26
	ds_write2st64_b32 v12, v16, v17 offset0:16 offset1:18
	ds_read2st64_b32 v[16:17], v12 offset0:28 offset1:30
	s_waitcnt lgkmcnt(3)
	v_pk_mul_f32 v[14:15], v[2:3], v[14:15]
	ds_write2st64_b32 v12, v14, v15 offset0:20 offset1:22
	s_waitcnt lgkmcnt(3)
	v_pk_mul_f32 v[14:15], v[2:3], v[18:19]
	ds_write2st64_b32 v12, v14, v15 offset0:24 offset1:26
	s_waitcnt lgkmcnt(2)
	v_pk_mul_f32 v[14:15], v[2:3], v[16:17]
	s_add_i32 s5, s5, 16
	v_cmp_eq_u32_e32 vcc, 0, v9
	ds_write2st64_b32 v12, v14, v15 offset0:28 offset1:30
	v_add_u32_e32 v12, 0x2000, v12
	s_or_b64 s[36:37], vcc, s[36:37]
	v_mov_b32_e32 v13, s5
	s_andn2_b64 exec, exec, s[36:37]
	s_cbranch_execnz .LBB168_29
; %bb.30:
	s_or_b64 exec, exec, s[36:37]
.LBB168_31:
	s_or_b64 exec, exec, s[12:13]
	v_and_b32_e32 v8, 7, v8
	v_cmp_ne_u32_e32 vcc, 0, v8
	s_and_saveexec_b64 s[12:13], vcc
	s_cbranch_execz .LBB168_34
; %bb.32:
	v_lshlrev_b32_e32 v9, 9, v13
	v_lshlrev_b32_e32 v12, 2, v0
	s_movk_i32 s5, 0x110
	v_add3_u32 v9, v9, v12, s5
	s_mov_b64 s[36:37], 0
.LBB168_33:                             ; =>This Inner Loop Header: Depth=1
	ds_read2st64_b32 v[12:13], v9 offset1:2
	v_add_u32_e32 v8, -1, v8
	v_cmp_eq_u32_e32 vcc, 0, v8
	s_or_b64 s[36:37], vcc, s[36:37]
	s_waitcnt lgkmcnt(0)
	v_pk_mul_f32 v[12:13], v[2:3], v[12:13]
	ds_write2st64_b32 v9, v12, v13 offset1:2
	v_add_u32_e32 v9, 0x400, v9
	s_andn2_b64 exec, exec, s[36:37]
	s_cbranch_execnz .LBB168_33
.LBB168_34:
	s_or_b64 exec, exec, s[12:13]
	v_add_u32_e32 v7, 1, v7
	v_and_b32_e32 v8, 0x3fffffe, v7
	v_cmp_ne_u32_e32 vcc, v7, v8
	v_lshl_add_u32 v3, v8, 7, v0
	s_orn2_b64 s[12:13], vcc, exec
.LBB168_35:
	s_or_b64 exec, exec, s[8:9]
	s_and_b64 exec, exec, s[12:13]
	s_cbranch_execz .LBB168_38
; %bb.36:
	v_mov_b32_e32 v7, 0x110
	v_lshl_add_u32 v7, v3, 2, v7
	s_mov_b64 s[8:9], 0
.LBB168_37:                             ; =>This Inner Loop Header: Depth=1
	ds_read_b32 v8, v7
	v_add_u32_e32 v3, 0x80, v3
	v_cmp_le_i32_e32 vcc, s3, v3
	s_or_b64 s[8:9], vcc, s[8:9]
	s_waitcnt lgkmcnt(0)
	v_mul_f32_e32 v8, v2, v8
	ds_write_b32 v7, v8
	v_add_u32_e32 v7, 0x200, v7
	s_andn2_b64 exec, exec, s[8:9]
	s_cbranch_execnz .LBB168_37
.LBB168_38:
	s_or_b64 exec, exec, s[0:1]
	v_cmp_eq_u32_e32 vcc, 0, v0
	s_waitcnt lgkmcnt(0)
	s_barrier
	s_and_saveexec_b64 s[0:1], vcc
	s_cbranch_execz .LBB168_40
; %bb.39:
	s_mul_i32 s3, s16, s14
	s_mul_i32 s8, s3, s15
	s_ashr_i32 s9, s8, 31
	s_lshl_b64 s[8:9], s[8:9], 2
	s_add_u32 s5, s22, s8
	s_mul_i32 s2, s16, s2
	s_addc_u32 s12, s23, s9
	s_ashr_i32 s3, s2, 31
	s_lshl_b64 s[2:3], s[2:3], 2
	s_add_u32 s19, s5, s2
	s_addc_u32 s23, s12, s3
	s_ashr_i32 s5, s4, 31
	s_lshl_b64 s[12:13], s[4:5], 2
	s_add_u32 s22, s19, s12
	s_addc_u32 s23, s23, s13
	s_add_u32 s5, s20, s8
	s_addc_u32 s8, s21, s9
	;; [unrolled: 2-line block ×3, first 2 shown]
	s_add_u32 s2, s2, s12
	v_mov_b32_e32 v2, 0
	s_addc_u32 s3, s3, s13
	global_store_dword v2, v4, s[22:23]
	global_store_dword v2, v5, s[2:3]
.LBB168_40:
	s_or_b64 exec, exec, s[0:1]
	v_mov_b32_e32 v13, 0
	v_and_b32_e32 v23, 1, v0
	v_mov_b32_e32 v12, 0
	v_mov_b32_e32 v15, 0
	;; [unrolled: 1-line block ×3, first 2 shown]
	s_and_saveexec_b64 s[2:3], s[6:7]
	s_cbranch_execz .LBB168_212
; %bb.41:
	s_ashr_i32 s19, s18, 31
	s_lshl_b64 s[0:1], s[18:19], 1
	s_add_u32 s0, s34, s0
	v_lshlrev_b32_e32 v3, 4, v0
	v_lshlrev_b32_e32 v2, 3, v0
	s_addc_u32 s1, s35, s1
	v_and_b32_e32 v16, 0x3f0, v3
	v_mov_b32_e32 v17, 0
	v_and_b32_e32 v2, 8, v2
	s_add_i32 s12, s43, -1
	v_lshl_add_u64 v[18:19], s[0:1], 0, v[16:17]
	v_lshl_add_u32 v3, v6, 4, s42
	s_lshl_b64 s[0:1], s[30:31], 2
	v_add3_u32 v16, v3, v2, 7
	v_lshlrev_b32_e32 v2, 5, v23
	s_add_u32 s0, s28, s0
	v_lshl_or_b32 v2, v6, 6, v2
	s_addc_u32 s1, s29, s1
	s_mov_b32 s5, s17
	v_add_u32_e32 v24, 0x110, v2
	v_lshl_add_u64 v[20:21], v[10:11], 2, s[0:1]
	s_mov_b64 s[6:7], 0
	s_mov_b32 s13, 0x7f800000
	s_movk_i32 s17, 0x7fff
	v_mov_b32_e32 v14, 0
	v_mov_b32_e32 v15, 0
	;; [unrolled: 1-line block ×4, first 2 shown]
	s_branch .LBB168_43
.LBB168_42:                             ;   in Loop: Header=BB168_43 Depth=1
	s_or_b64 exec, exec, s[0:1]
	v_and_b32_e32 v35, 0xffff0000, v25
	v_and_b32_e32 v34, 0xffff0000, v9
	;; [unrolled: 1-line block ×8, first 2 shown]
	v_pk_add_f32 v[8:9], v[8:9], v[34:35]
	v_pk_add_f32 v[26:27], v[26:27], v[32:33]
	v_add_f32_e32 v8, v8, v9
	v_add_f32_e32 v8, v8, v26
	;; [unrolled: 1-line block ×3, first 2 shown]
	v_and_b32_e32 v33, 0xffff0000, v48
	v_and_b32_e32 v32, 0xffff0000, v46
	;; [unrolled: 1-line block ×4, first 2 shown]
	v_add_f32_e32 v14, v14, v8
	v_and_b32_e32 v9, 0xffff0000, v52
	v_and_b32_e32 v8, 0xffff0000, v50
	;; [unrolled: 1-line block ×4, first 2 shown]
	v_pk_add_f32 v[32:33], v[34:35], v[32:33]
	v_pk_add_f32 v[8:9], v[26:27], v[8:9]
	v_add_f32_e32 v11, v32, v33
	v_add_f32_e32 v8, v11, v8
	;; [unrolled: 1-line block ×3, first 2 shown]
	v_and_b32_e32 v33, 0xffff0000, v56
	v_and_b32_e32 v32, 0xffff0000, v54
	;; [unrolled: 1-line block ×4, first 2 shown]
	v_add_f32_e32 v15, v15, v8
	v_and_b32_e32 v9, 0xffff0000, v60
	v_and_b32_e32 v8, 0xffff0000, v58
	v_and_b32_e32 v27, 0xffff0000, v59
	v_and_b32_e32 v26, 0xffff0000, v57
	v_pk_add_f32 v[32:33], v[34:35], v[32:33]
	v_pk_add_f32 v[8:9], v[26:27], v[8:9]
	v_add_f32_e32 v11, v32, v33
	v_add_f32_e32 v8, v11, v8
	;; [unrolled: 1-line block ×3, first 2 shown]
	v_and_b32_e32 v9, 0xffff0000, v7
	v_and_b32_e32 v7, 0xffff0000, v29
	;; [unrolled: 1-line block ×5, first 2 shown]
	v_add_f32_e32 v12, v12, v8
	v_and_b32_e32 v8, 0xffff0000, v30
	v_and_b32_e32 v5, 0xffff0000, v5
	;; [unrolled: 1-line block ×3, first 2 shown]
	v_pk_add_f32 v[2:3], v[2:3], v[6:7]
	v_pk_add_f32 v[4:5], v[4:5], v[8:9]
	v_add_f32_e32 v2, v2, v3
	v_add_f32_e32 v2, v2, v4
	v_add_u32_e32 v10, 2, v10
	v_add_f32_e32 v2, v2, v5
	v_cmp_le_i32_e32 vcc, s25, v10
	v_add_f32_e32 v13, v13, v2
	v_add_u32_e32 v16, 32, v16
	v_add_u32_e32 v24, 0x80, v24
	s_or_b64 s[6:7], vcc, s[6:7]
	v_lshl_add_u64 v[20:21], v[20:21], 0, 8
	s_andn2_b64 exec, exec, s[6:7]
	s_cbranch_execz .LBB168_211
.LBB168_43:                             ; =>This Inner Loop Header: Depth=1
	global_load_dword v29, v[20:21], off
	ds_read2_b64 v[6:9], v24 offset1:1
	ds_read2_b64 v[2:5], v24 offset0:2 offset1:3
                                        ; implicit-def: $vgpr37
	s_waitcnt lgkmcnt(1)
	v_and_b32_e32 v11, 0x7f800000, v6
	v_cmp_ne_u32_e32 vcc, s13, v11
	s_and_saveexec_b64 s[0:1], vcc
	s_xor_b64 s[0:1], exec, s[0:1]
; %bb.44:                               ;   in Loop: Header=BB168_43 Depth=1
	v_bfe_u32 v11, v6, 16, 1
	v_add3_u32 v37, v6, v11, s17
; %bb.45:                               ;   in Loop: Header=BB168_43 Depth=1
	s_andn2_saveexec_b64 s[0:1], s[0:1]
; %bb.46:                               ;   in Loop: Header=BB168_43 Depth=1
	v_or_b32_e32 v11, 0x10000, v6
	v_cmp_eq_u32_sdwa vcc, v6, v17 src0_sel:WORD_0 src1_sel:DWORD
	s_nop 1
	v_cndmask_b32_e32 v37, v11, v6, vcc
; %bb.47:                               ;   in Loop: Header=BB168_43 Depth=1
	s_or_b64 exec, exec, s[0:1]
	v_and_b32_e32 v6, 0x7f800000, v7
	v_cmp_ne_u32_e32 vcc, s13, v6
                                        ; implicit-def: $vgpr38
	s_and_saveexec_b64 s[0:1], vcc
	s_xor_b64 s[0:1], exec, s[0:1]
; %bb.48:                               ;   in Loop: Header=BB168_43 Depth=1
	v_bfe_u32 v6, v7, 16, 1
	v_add3_u32 v38, v7, v6, s17
; %bb.49:                               ;   in Loop: Header=BB168_43 Depth=1
	s_andn2_saveexec_b64 s[0:1], s[0:1]
; %bb.50:                               ;   in Loop: Header=BB168_43 Depth=1
	v_or_b32_e32 v6, 0x10000, v7
	v_cmp_eq_u32_sdwa vcc, v7, v17 src0_sel:WORD_0 src1_sel:DWORD
	s_nop 1
	v_cndmask_b32_e32 v38, v6, v7, vcc
; %bb.51:                               ;   in Loop: Header=BB168_43 Depth=1
	s_or_b64 exec, exec, s[0:1]
	v_and_b32_e32 v6, 0x7f800000, v8
	v_cmp_ne_u32_e32 vcc, s13, v6
                                        ; implicit-def: $vgpr11
	s_and_saveexec_b64 s[0:1], vcc
	s_xor_b64 s[0:1], exec, s[0:1]
; %bb.52:                               ;   in Loop: Header=BB168_43 Depth=1
	v_bfe_u32 v6, v8, 16, 1
	v_add3_u32 v11, v8, v6, s17
; %bb.53:                               ;   in Loop: Header=BB168_43 Depth=1
	s_andn2_saveexec_b64 s[0:1], s[0:1]
; %bb.54:                               ;   in Loop: Header=BB168_43 Depth=1
	v_or_b32_e32 v6, 0x10000, v8
	v_cmp_eq_u32_sdwa vcc, v8, v17 src0_sel:WORD_0 src1_sel:DWORD
	s_nop 1
	v_cndmask_b32_e32 v11, v6, v8, vcc
; %bb.55:                               ;   in Loop: Header=BB168_43 Depth=1
	s_or_b64 exec, exec, s[0:1]
	v_and_b32_e32 v6, 0x7f800000, v9
	v_cmp_ne_u32_e32 vcc, s13, v6
                                        ; implicit-def: $vgpr25
	s_and_saveexec_b64 s[0:1], vcc
	s_xor_b64 s[0:1], exec, s[0:1]
; %bb.56:                               ;   in Loop: Header=BB168_43 Depth=1
	v_bfe_u32 v6, v9, 16, 1
	v_add3_u32 v25, v9, v6, s17
                                        ; implicit-def: $vgpr6_vgpr7_vgpr8_vgpr9
; %bb.57:                               ;   in Loop: Header=BB168_43 Depth=1
	s_andn2_saveexec_b64 s[0:1], s[0:1]
; %bb.58:                               ;   in Loop: Header=BB168_43 Depth=1
	v_or_b32_e32 v6, 0x10000, v9
	v_cmp_eq_u32_sdwa vcc, v9, v17 src0_sel:WORD_0 src1_sel:DWORD
	s_nop 1
	v_cndmask_b32_e32 v25, v6, v9, vcc
; %bb.59:                               ;   in Loop: Header=BB168_43 Depth=1
	s_or_b64 exec, exec, s[0:1]
	s_waitcnt lgkmcnt(0)
	v_and_b32_e32 v6, 0x7f800000, v2
	v_cmp_ne_u32_e32 vcc, s13, v6
                                        ; implicit-def: $vgpr26
	s_and_saveexec_b64 s[0:1], vcc
	s_xor_b64 s[0:1], exec, s[0:1]
; %bb.60:                               ;   in Loop: Header=BB168_43 Depth=1
	v_bfe_u32 v6, v2, 16, 1
	v_add3_u32 v26, v2, v6, s17
; %bb.61:                               ;   in Loop: Header=BB168_43 Depth=1
	s_andn2_saveexec_b64 s[0:1], s[0:1]
; %bb.62:                               ;   in Loop: Header=BB168_43 Depth=1
	v_or_b32_e32 v6, 0x10000, v2
	v_cmp_eq_u32_sdwa vcc, v2, v17 src0_sel:WORD_0 src1_sel:DWORD
	s_nop 1
	v_cndmask_b32_e32 v26, v6, v2, vcc
; %bb.63:                               ;   in Loop: Header=BB168_43 Depth=1
	s_or_b64 exec, exec, s[0:1]
	v_and_b32_e32 v2, 0x7f800000, v3
	v_cmp_ne_u32_e32 vcc, s13, v2
                                        ; implicit-def: $vgpr27
	s_and_saveexec_b64 s[0:1], vcc
	s_xor_b64 s[0:1], exec, s[0:1]
; %bb.64:                               ;   in Loop: Header=BB168_43 Depth=1
	v_bfe_u32 v2, v3, 16, 1
	v_add3_u32 v27, v3, v2, s17
; %bb.65:                               ;   in Loop: Header=BB168_43 Depth=1
	s_andn2_saveexec_b64 s[0:1], s[0:1]
; %bb.66:                               ;   in Loop: Header=BB168_43 Depth=1
	v_or_b32_e32 v2, 0x10000, v3
	v_cmp_eq_u32_sdwa vcc, v3, v17 src0_sel:WORD_0 src1_sel:DWORD
	s_nop 1
	v_cndmask_b32_e32 v27, v2, v3, vcc
; %bb.67:                               ;   in Loop: Header=BB168_43 Depth=1
	s_or_b64 exec, exec, s[0:1]
	v_and_b32_e32 v2, 0x7f800000, v4
	v_cmp_ne_u32_e32 vcc, s13, v2
                                        ; implicit-def: $vgpr28
	s_and_saveexec_b64 s[0:1], vcc
	s_xor_b64 s[0:1], exec, s[0:1]
; %bb.68:                               ;   in Loop: Header=BB168_43 Depth=1
	v_bfe_u32 v2, v4, 16, 1
	v_add3_u32 v28, v4, v2, s17
; %bb.69:                               ;   in Loop: Header=BB168_43 Depth=1
	s_andn2_saveexec_b64 s[0:1], s[0:1]
; %bb.70:                               ;   in Loop: Header=BB168_43 Depth=1
	v_or_b32_e32 v2, 0x10000, v4
	v_cmp_eq_u32_sdwa vcc, v4, v17 src0_sel:WORD_0 src1_sel:DWORD
	s_nop 1
	v_cndmask_b32_e32 v28, v2, v4, vcc
; %bb.71:                               ;   in Loop: Header=BB168_43 Depth=1
	s_or_b64 exec, exec, s[0:1]
	v_and_b32_e32 v2, 0x7f800000, v5
	v_cmp_ne_u32_e32 vcc, s13, v2
                                        ; implicit-def: $vgpr36
	s_and_saveexec_b64 s[0:1], vcc
	s_xor_b64 s[0:1], exec, s[0:1]
; %bb.72:                               ;   in Loop: Header=BB168_43 Depth=1
	v_bfe_u32 v2, v5, 16, 1
	v_add3_u32 v36, v5, v2, s17
                                        ; implicit-def: $vgpr2_vgpr3_vgpr4_vgpr5
; %bb.73:                               ;   in Loop: Header=BB168_43 Depth=1
	s_andn2_saveexec_b64 s[0:1], s[0:1]
; %bb.74:                               ;   in Loop: Header=BB168_43 Depth=1
	v_or_b32_e32 v2, 0x10000, v5
	v_cmp_eq_u32_sdwa vcc, v5, v17 src0_sel:WORD_0 src1_sel:DWORD
	s_nop 1
	v_cndmask_b32_e32 v36, v2, v5, vcc
; %bb.75:                               ;   in Loop: Header=BB168_43 Depth=1
	s_or_b64 exec, exec, s[0:1]
	s_waitcnt vmcnt(0)
	v_mad_i64_i32 v[2:3], s[0:1], v29, s5, 0
	v_lshl_add_u64 v[6:7], v[2:3], 1, v[18:19]
	global_load_dwordx4 v[2:5], v[6:7], off
	v_add_u32_e32 v29, -7, v16
	v_cmp_eq_u32_e32 vcc, s12, v10
	v_add_u32_e32 v35, -6, v16
	v_add_u32_e32 v33, -5, v16
	;; [unrolled: 1-line block ×6, first 2 shown]
	s_waitcnt vmcnt(0)
	v_lshrrev_b32_e32 v9, 16, v2
	v_lshrrev_b32_e32 v41, 16, v3
	;; [unrolled: 1-line block ×4, first 2 shown]
	s_and_saveexec_b64 s[8:9], vcc
	s_cbranch_execz .LBB168_77
; %bb.76:                               ;   in Loop: Header=BB168_43 Depth=1
	v_cmp_gt_i32_e64 s[0:1], s33, v29
	s_nop 1
	v_cndmask_b32_e64 v2, 0, v2, s[0:1]
	v_cmp_gt_i32_e64 s[0:1], s33, v35
	s_nop 1
	v_cndmask_b32_e64 v9, 0, v9, s[0:1]
	;; [unrolled: 3-line block ×8, first 2 shown]
.LBB168_77:                             ;   in Loop: Header=BB168_43 Depth=1
	s_or_b64 exec, exec, s[8:9]
	v_and_b32_e32 v37, 0xffff0000, v37
	v_lshlrev_b32_e32 v2, 16, v2
	v_mul_f32_e32 v2, v37, v2
	v_and_b32_e32 v8, 0x7f800000, v2
	v_cmp_ne_u32_e64 s[0:1], s13, v8
                                        ; implicit-def: $vgpr8
	s_and_saveexec_b64 s[8:9], s[0:1]
	s_xor_b64 s[0:1], exec, s[8:9]
; %bb.78:                               ;   in Loop: Header=BB168_43 Depth=1
	v_bfe_u32 v8, v2, 16, 1
	v_add3_u32 v8, v2, v8, s17
                                        ; implicit-def: $vgpr2
; %bb.79:                               ;   in Loop: Header=BB168_43 Depth=1
	s_andn2_saveexec_b64 s[8:9], s[0:1]
; %bb.80:                               ;   in Loop: Header=BB168_43 Depth=1
	v_or_b32_e32 v8, 0x10000, v2
	v_cmp_eq_u32_sdwa s[0:1], v2, v17 src0_sel:WORD_0 src1_sel:DWORD
	s_nop 1
	v_cndmask_b32_e64 v8, v8, v2, s[0:1]
; %bb.81:                               ;   in Loop: Header=BB168_43 Depth=1
	s_or_b64 exec, exec, s[8:9]
	v_and_b32_e32 v38, 0xffff0000, v38
	v_lshlrev_b32_e32 v2, 16, v9
	v_mul_f32_e32 v2, v38, v2
	v_and_b32_e32 v9, 0x7f800000, v2
	v_cmp_ne_u32_e64 s[0:1], s13, v9
                                        ; implicit-def: $vgpr9
	s_and_saveexec_b64 s[8:9], s[0:1]
	s_xor_b64 s[0:1], exec, s[8:9]
; %bb.82:                               ;   in Loop: Header=BB168_43 Depth=1
	v_bfe_u32 v9, v2, 16, 1
	v_add3_u32 v9, v2, v9, s17
                                        ; implicit-def: $vgpr2
; %bb.83:                               ;   in Loop: Header=BB168_43 Depth=1
	s_andn2_saveexec_b64 s[8:9], s[0:1]
; %bb.84:                               ;   in Loop: Header=BB168_43 Depth=1
	v_or_b32_e32 v9, 0x10000, v2
	v_cmp_eq_u32_sdwa s[0:1], v2, v17 src0_sel:WORD_0 src1_sel:DWORD
	s_nop 1
	v_cndmask_b32_e64 v9, v9, v2, s[0:1]
; %bb.85:                               ;   in Loop: Header=BB168_43 Depth=1
	s_or_b64 exec, exec, s[8:9]
	v_and_b32_e32 v39, 0xffff0000, v11
	v_lshlrev_b32_e32 v2, 16, v3
	v_mul_f32_e32 v2, v39, v2
	v_and_b32_e32 v3, 0x7f800000, v2
	v_cmp_ne_u32_e64 s[0:1], s13, v3
                                        ; implicit-def: $vgpr11
	s_and_saveexec_b64 s[8:9], s[0:1]
	s_xor_b64 s[0:1], exec, s[8:9]
; %bb.86:                               ;   in Loop: Header=BB168_43 Depth=1
	v_bfe_u32 v3, v2, 16, 1
	v_add3_u32 v11, v2, v3, s17
                                        ; implicit-def: $vgpr2
; %bb.87:                               ;   in Loop: Header=BB168_43 Depth=1
	s_andn2_saveexec_b64 s[8:9], s[0:1]
; %bb.88:                               ;   in Loop: Header=BB168_43 Depth=1
	v_or_b32_e32 v3, 0x10000, v2
	v_cmp_eq_u32_sdwa s[0:1], v2, v17 src0_sel:WORD_0 src1_sel:DWORD
	s_nop 1
	v_cndmask_b32_e64 v11, v3, v2, s[0:1]
; %bb.89:                               ;   in Loop: Header=BB168_43 Depth=1
	s_or_b64 exec, exec, s[8:9]
	v_and_b32_e32 v40, 0xffff0000, v25
	v_lshlrev_b32_e32 v2, 16, v41
	v_mul_f32_e32 v2, v40, v2
	v_and_b32_e32 v3, 0x7f800000, v2
	v_cmp_ne_u32_e64 s[0:1], s13, v3
                                        ; implicit-def: $vgpr25
	s_and_saveexec_b64 s[8:9], s[0:1]
	s_xor_b64 s[0:1], exec, s[8:9]
; %bb.90:                               ;   in Loop: Header=BB168_43 Depth=1
	v_bfe_u32 v3, v2, 16, 1
	v_add3_u32 v25, v2, v3, s17
                                        ; implicit-def: $vgpr2
; %bb.91:                               ;   in Loop: Header=BB168_43 Depth=1
	s_andn2_saveexec_b64 s[8:9], s[0:1]
; %bb.92:                               ;   in Loop: Header=BB168_43 Depth=1
	v_or_b32_e32 v3, 0x10000, v2
	v_cmp_eq_u32_sdwa s[0:1], v2, v17 src0_sel:WORD_0 src1_sel:DWORD
	s_nop 1
	v_cndmask_b32_e64 v25, v3, v2, s[0:1]
; %bb.93:                               ;   in Loop: Header=BB168_43 Depth=1
	s_or_b64 exec, exec, s[8:9]
	v_and_b32_e32 v41, 0xffff0000, v26
	v_lshlrev_b32_e32 v2, 16, v4
	v_mul_f32_e32 v2, v41, v2
	v_and_b32_e32 v3, 0x7f800000, v2
	v_cmp_ne_u32_e64 s[0:1], s13, v3
                                        ; implicit-def: $vgpr26
	s_and_saveexec_b64 s[8:9], s[0:1]
	s_xor_b64 s[0:1], exec, s[8:9]
; %bb.94:                               ;   in Loop: Header=BB168_43 Depth=1
	v_bfe_u32 v3, v2, 16, 1
	v_add3_u32 v26, v2, v3, s17
                                        ; implicit-def: $vgpr2
; %bb.95:                               ;   in Loop: Header=BB168_43 Depth=1
	s_andn2_saveexec_b64 s[8:9], s[0:1]
; %bb.96:                               ;   in Loop: Header=BB168_43 Depth=1
	v_or_b32_e32 v3, 0x10000, v2
	v_cmp_eq_u32_sdwa s[0:1], v2, v17 src0_sel:WORD_0 src1_sel:DWORD
	s_nop 1
	v_cndmask_b32_e64 v26, v3, v2, s[0:1]
; %bb.97:                               ;   in Loop: Header=BB168_43 Depth=1
	s_or_b64 exec, exec, s[8:9]
	v_and_b32_e32 v42, 0xffff0000, v27
	v_lshlrev_b32_e32 v2, 16, v43
	v_mul_f32_e32 v2, v42, v2
	v_and_b32_e32 v3, 0x7f800000, v2
	v_cmp_ne_u32_e64 s[0:1], s13, v3
                                        ; implicit-def: $vgpr27
	s_and_saveexec_b64 s[8:9], s[0:1]
	s_xor_b64 s[0:1], exec, s[8:9]
; %bb.98:                               ;   in Loop: Header=BB168_43 Depth=1
	v_bfe_u32 v3, v2, 16, 1
	v_add3_u32 v27, v2, v3, s17
                                        ; implicit-def: $vgpr2
; %bb.99:                               ;   in Loop: Header=BB168_43 Depth=1
	s_andn2_saveexec_b64 s[8:9], s[0:1]
; %bb.100:                              ;   in Loop: Header=BB168_43 Depth=1
	v_or_b32_e32 v3, 0x10000, v2
	v_cmp_eq_u32_sdwa s[0:1], v2, v17 src0_sel:WORD_0 src1_sel:DWORD
	s_nop 1
	v_cndmask_b32_e64 v27, v3, v2, s[0:1]
; %bb.101:                              ;   in Loop: Header=BB168_43 Depth=1
	s_or_b64 exec, exec, s[8:9]
	v_and_b32_e32 v43, 0xffff0000, v28
	v_lshlrev_b32_e32 v2, 16, v5
	v_mul_f32_e32 v2, v43, v2
	v_and_b32_e32 v3, 0x7f800000, v2
	v_cmp_ne_u32_e64 s[0:1], s13, v3
                                        ; implicit-def: $vgpr28
	s_and_saveexec_b64 s[8:9], s[0:1]
	s_xor_b64 s[0:1], exec, s[8:9]
; %bb.102:                              ;   in Loop: Header=BB168_43 Depth=1
	v_bfe_u32 v3, v2, 16, 1
	v_add3_u32 v28, v2, v3, s17
                                        ; implicit-def: $vgpr2
; %bb.103:                              ;   in Loop: Header=BB168_43 Depth=1
	s_andn2_saveexec_b64 s[8:9], s[0:1]
; %bb.104:                              ;   in Loop: Header=BB168_43 Depth=1
	v_or_b32_e32 v3, 0x10000, v2
	v_cmp_eq_u32_sdwa s[0:1], v2, v17 src0_sel:WORD_0 src1_sel:DWORD
	s_nop 1
	v_cndmask_b32_e64 v28, v3, v2, s[0:1]
; %bb.105:                              ;   in Loop: Header=BB168_43 Depth=1
	s_or_b64 exec, exec, s[8:9]
	v_and_b32_e32 v44, 0xffff0000, v36
	v_lshlrev_b32_e32 v2, 16, v45
	v_mul_f32_e32 v2, v44, v2
	v_and_b32_e32 v3, 0x7f800000, v2
	v_cmp_ne_u32_e64 s[0:1], s13, v3
                                        ; implicit-def: $vgpr36
	s_and_saveexec_b64 s[8:9], s[0:1]
	s_xor_b64 s[0:1], exec, s[8:9]
; %bb.106:                              ;   in Loop: Header=BB168_43 Depth=1
	v_bfe_u32 v3, v2, 16, 1
	v_add3_u32 v36, v2, v3, s17
                                        ; implicit-def: $vgpr2
; %bb.107:                              ;   in Loop: Header=BB168_43 Depth=1
	s_andn2_saveexec_b64 s[8:9], s[0:1]
; %bb.108:                              ;   in Loop: Header=BB168_43 Depth=1
	v_or_b32_e32 v3, 0x10000, v2
	v_cmp_eq_u32_sdwa s[0:1], v2, v17 src0_sel:WORD_0 src1_sel:DWORD
	s_nop 1
	v_cndmask_b32_e64 v36, v3, v2, s[0:1]
; %bb.109:                              ;   in Loop: Header=BB168_43 Depth=1
	s_or_b64 exec, exec, s[8:9]
	global_load_dwordx4 v[2:5], v[6:7], off offset:1024
	s_waitcnt vmcnt(0)
	v_lshrrev_b32_e32 v46, 16, v2
	v_lshrrev_b32_e32 v48, 16, v3
	;; [unrolled: 1-line block ×4, first 2 shown]
	s_and_saveexec_b64 s[8:9], vcc
	s_cbranch_execz .LBB168_111
; %bb.110:                              ;   in Loop: Header=BB168_43 Depth=1
	v_cmp_gt_i32_e64 s[0:1], s33, v29
	s_nop 1
	v_cndmask_b32_e64 v2, 0, v2, s[0:1]
	v_cmp_gt_i32_e64 s[0:1], s33, v35
	s_nop 1
	v_cndmask_b32_e64 v46, 0, v46, s[0:1]
	;; [unrolled: 3-line block ×8, first 2 shown]
.LBB168_111:                            ;   in Loop: Header=BB168_43 Depth=1
	s_or_b64 exec, exec, s[8:9]
	v_lshlrev_b32_e32 v2, 16, v2
	v_mul_f32_e32 v2, v37, v2
	v_and_b32_e32 v45, 0x7f800000, v2
	v_cmp_ne_u32_e64 s[0:1], s13, v45
                                        ; implicit-def: $vgpr45
	s_and_saveexec_b64 s[8:9], s[0:1]
	s_xor_b64 s[0:1], exec, s[8:9]
; %bb.112:                              ;   in Loop: Header=BB168_43 Depth=1
	v_bfe_u32 v45, v2, 16, 1
	v_add3_u32 v45, v2, v45, s17
                                        ; implicit-def: $vgpr2
; %bb.113:                              ;   in Loop: Header=BB168_43 Depth=1
	s_andn2_saveexec_b64 s[8:9], s[0:1]
; %bb.114:                              ;   in Loop: Header=BB168_43 Depth=1
	v_or_b32_e32 v45, 0x10000, v2
	v_cmp_eq_u32_sdwa s[0:1], v2, v17 src0_sel:WORD_0 src1_sel:DWORD
	s_nop 1
	v_cndmask_b32_e64 v45, v45, v2, s[0:1]
; %bb.115:                              ;   in Loop: Header=BB168_43 Depth=1
	s_or_b64 exec, exec, s[8:9]
	v_lshlrev_b32_e32 v2, 16, v46
	v_mul_f32_e32 v2, v38, v2
	v_and_b32_e32 v46, 0x7f800000, v2
	v_cmp_ne_u32_e64 s[0:1], s13, v46
                                        ; implicit-def: $vgpr46
	s_and_saveexec_b64 s[8:9], s[0:1]
	s_xor_b64 s[0:1], exec, s[8:9]
; %bb.116:                              ;   in Loop: Header=BB168_43 Depth=1
	v_bfe_u32 v46, v2, 16, 1
	v_add3_u32 v46, v2, v46, s17
                                        ; implicit-def: $vgpr2
; %bb.117:                              ;   in Loop: Header=BB168_43 Depth=1
	s_andn2_saveexec_b64 s[8:9], s[0:1]
; %bb.118:                              ;   in Loop: Header=BB168_43 Depth=1
	v_or_b32_e32 v46, 0x10000, v2
	v_cmp_eq_u32_sdwa s[0:1], v2, v17 src0_sel:WORD_0 src1_sel:DWORD
	s_nop 1
	v_cndmask_b32_e64 v46, v46, v2, s[0:1]
; %bb.119:                              ;   in Loop: Header=BB168_43 Depth=1
	s_or_b64 exec, exec, s[8:9]
	v_lshlrev_b32_e32 v2, 16, v3
	v_mul_f32_e32 v2, v39, v2
	v_and_b32_e32 v3, 0x7f800000, v2
	v_cmp_ne_u32_e64 s[0:1], s13, v3
                                        ; implicit-def: $vgpr47
	s_and_saveexec_b64 s[8:9], s[0:1]
	s_xor_b64 s[0:1], exec, s[8:9]
; %bb.120:                              ;   in Loop: Header=BB168_43 Depth=1
	v_bfe_u32 v3, v2, 16, 1
	v_add3_u32 v47, v2, v3, s17
                                        ; implicit-def: $vgpr2
; %bb.121:                              ;   in Loop: Header=BB168_43 Depth=1
	s_andn2_saveexec_b64 s[8:9], s[0:1]
; %bb.122:                              ;   in Loop: Header=BB168_43 Depth=1
	v_or_b32_e32 v3, 0x10000, v2
	v_cmp_eq_u32_sdwa s[0:1], v2, v17 src0_sel:WORD_0 src1_sel:DWORD
	s_nop 1
	v_cndmask_b32_e64 v47, v3, v2, s[0:1]
; %bb.123:                              ;   in Loop: Header=BB168_43 Depth=1
	s_or_b64 exec, exec, s[8:9]
	v_lshlrev_b32_e32 v2, 16, v48
	v_mul_f32_e32 v2, v40, v2
	v_and_b32_e32 v3, 0x7f800000, v2
	v_cmp_ne_u32_e64 s[0:1], s13, v3
                                        ; implicit-def: $vgpr48
	s_and_saveexec_b64 s[8:9], s[0:1]
	s_xor_b64 s[0:1], exec, s[8:9]
; %bb.124:                              ;   in Loop: Header=BB168_43 Depth=1
	v_bfe_u32 v3, v2, 16, 1
	v_add3_u32 v48, v2, v3, s17
                                        ; implicit-def: $vgpr2
; %bb.125:                              ;   in Loop: Header=BB168_43 Depth=1
	s_andn2_saveexec_b64 s[8:9], s[0:1]
; %bb.126:                              ;   in Loop: Header=BB168_43 Depth=1
	v_or_b32_e32 v3, 0x10000, v2
	v_cmp_eq_u32_sdwa s[0:1], v2, v17 src0_sel:WORD_0 src1_sel:DWORD
	s_nop 1
	v_cndmask_b32_e64 v48, v3, v2, s[0:1]
; %bb.127:                              ;   in Loop: Header=BB168_43 Depth=1
	s_or_b64 exec, exec, s[8:9]
	v_lshlrev_b32_e32 v2, 16, v4
	v_mul_f32_e32 v2, v41, v2
	v_and_b32_e32 v3, 0x7f800000, v2
	v_cmp_ne_u32_e64 s[0:1], s13, v3
                                        ; implicit-def: $vgpr49
	s_and_saveexec_b64 s[8:9], s[0:1]
	s_xor_b64 s[0:1], exec, s[8:9]
; %bb.128:                              ;   in Loop: Header=BB168_43 Depth=1
	v_bfe_u32 v3, v2, 16, 1
	v_add3_u32 v49, v2, v3, s17
                                        ; implicit-def: $vgpr2
; %bb.129:                              ;   in Loop: Header=BB168_43 Depth=1
	s_andn2_saveexec_b64 s[8:9], s[0:1]
; %bb.130:                              ;   in Loop: Header=BB168_43 Depth=1
	v_or_b32_e32 v3, 0x10000, v2
	v_cmp_eq_u32_sdwa s[0:1], v2, v17 src0_sel:WORD_0 src1_sel:DWORD
	s_nop 1
	v_cndmask_b32_e64 v49, v3, v2, s[0:1]
; %bb.131:                              ;   in Loop: Header=BB168_43 Depth=1
	s_or_b64 exec, exec, s[8:9]
	v_lshlrev_b32_e32 v2, 16, v50
	v_mul_f32_e32 v2, v42, v2
	v_and_b32_e32 v3, 0x7f800000, v2
	v_cmp_ne_u32_e64 s[0:1], s13, v3
                                        ; implicit-def: $vgpr50
	s_and_saveexec_b64 s[8:9], s[0:1]
	s_xor_b64 s[0:1], exec, s[8:9]
; %bb.132:                              ;   in Loop: Header=BB168_43 Depth=1
	v_bfe_u32 v3, v2, 16, 1
	v_add3_u32 v50, v2, v3, s17
                                        ; implicit-def: $vgpr2
; %bb.133:                              ;   in Loop: Header=BB168_43 Depth=1
	s_andn2_saveexec_b64 s[8:9], s[0:1]
; %bb.134:                              ;   in Loop: Header=BB168_43 Depth=1
	v_or_b32_e32 v3, 0x10000, v2
	v_cmp_eq_u32_sdwa s[0:1], v2, v17 src0_sel:WORD_0 src1_sel:DWORD
	s_nop 1
	v_cndmask_b32_e64 v50, v3, v2, s[0:1]
; %bb.135:                              ;   in Loop: Header=BB168_43 Depth=1
	s_or_b64 exec, exec, s[8:9]
	v_lshlrev_b32_e32 v2, 16, v5
	v_mul_f32_e32 v2, v43, v2
	v_and_b32_e32 v3, 0x7f800000, v2
	v_cmp_ne_u32_e64 s[0:1], s13, v3
                                        ; implicit-def: $vgpr51
	s_and_saveexec_b64 s[8:9], s[0:1]
	s_xor_b64 s[0:1], exec, s[8:9]
; %bb.136:                              ;   in Loop: Header=BB168_43 Depth=1
	v_bfe_u32 v3, v2, 16, 1
	v_add3_u32 v51, v2, v3, s17
                                        ; implicit-def: $vgpr2
; %bb.137:                              ;   in Loop: Header=BB168_43 Depth=1
	s_andn2_saveexec_b64 s[8:9], s[0:1]
; %bb.138:                              ;   in Loop: Header=BB168_43 Depth=1
	v_or_b32_e32 v3, 0x10000, v2
	v_cmp_eq_u32_sdwa s[0:1], v2, v17 src0_sel:WORD_0 src1_sel:DWORD
	s_nop 1
	v_cndmask_b32_e64 v51, v3, v2, s[0:1]
; %bb.139:                              ;   in Loop: Header=BB168_43 Depth=1
	s_or_b64 exec, exec, s[8:9]
	v_lshlrev_b32_e32 v2, 16, v52
	v_mul_f32_e32 v2, v44, v2
	v_and_b32_e32 v3, 0x7f800000, v2
	v_cmp_ne_u32_e64 s[0:1], s13, v3
                                        ; implicit-def: $vgpr52
	s_and_saveexec_b64 s[8:9], s[0:1]
	s_xor_b64 s[0:1], exec, s[8:9]
; %bb.140:                              ;   in Loop: Header=BB168_43 Depth=1
	v_bfe_u32 v3, v2, 16, 1
	v_add3_u32 v52, v2, v3, s17
                                        ; implicit-def: $vgpr2
; %bb.141:                              ;   in Loop: Header=BB168_43 Depth=1
	s_andn2_saveexec_b64 s[8:9], s[0:1]
; %bb.142:                              ;   in Loop: Header=BB168_43 Depth=1
	v_or_b32_e32 v3, 0x10000, v2
	v_cmp_eq_u32_sdwa s[0:1], v2, v17 src0_sel:WORD_0 src1_sel:DWORD
	s_nop 1
	v_cndmask_b32_e64 v52, v3, v2, s[0:1]
; %bb.143:                              ;   in Loop: Header=BB168_43 Depth=1
	s_or_b64 exec, exec, s[8:9]
	global_load_dwordx4 v[2:5], v[6:7], off offset:2048
	s_waitcnt vmcnt(0)
	v_lshrrev_b32_e32 v54, 16, v2
	v_lshrrev_b32_e32 v56, 16, v3
	;; [unrolled: 1-line block ×4, first 2 shown]
	s_and_saveexec_b64 s[8:9], vcc
	s_cbranch_execz .LBB168_145
; %bb.144:                              ;   in Loop: Header=BB168_43 Depth=1
	v_cmp_gt_i32_e64 s[0:1], s33, v29
	s_nop 1
	v_cndmask_b32_e64 v2, 0, v2, s[0:1]
	v_cmp_gt_i32_e64 s[0:1], s33, v35
	s_nop 1
	v_cndmask_b32_e64 v54, 0, v54, s[0:1]
	v_cmp_gt_i32_e64 s[0:1], s33, v33
	s_nop 1
	v_cndmask_b32_e64 v3, 0, v3, s[0:1]
	v_cmp_gt_i32_e64 s[0:1], s33, v32
	s_nop 1
	v_cndmask_b32_e64 v56, 0, v56, s[0:1]
	v_cmp_gt_i32_e64 s[0:1], s33, v31
	s_nop 1
	v_cndmask_b32_e64 v4, 0, v4, s[0:1]
	v_cmp_gt_i32_e64 s[0:1], s33, v30
	s_nop 1
	v_cndmask_b32_e64 v58, 0, v58, s[0:1]
	v_cmp_gt_i32_e64 s[0:1], s33, v34
	s_nop 1
	v_cndmask_b32_e64 v5, 0, v5, s[0:1]
	v_cmp_gt_i32_e64 s[0:1], s33, v16
	s_nop 1
	v_cndmask_b32_e64 v60, 0, v60, s[0:1]
.LBB168_145:                            ;   in Loop: Header=BB168_43 Depth=1
	s_or_b64 exec, exec, s[8:9]
	v_lshlrev_b32_e32 v2, 16, v2
	v_mul_f32_e32 v2, v37, v2
	v_and_b32_e32 v53, 0x7f800000, v2
	v_cmp_ne_u32_e64 s[0:1], s13, v53
                                        ; implicit-def: $vgpr53
	s_and_saveexec_b64 s[8:9], s[0:1]
	s_xor_b64 s[0:1], exec, s[8:9]
; %bb.146:                              ;   in Loop: Header=BB168_43 Depth=1
	v_bfe_u32 v53, v2, 16, 1
	v_add3_u32 v53, v2, v53, s17
                                        ; implicit-def: $vgpr2
; %bb.147:                              ;   in Loop: Header=BB168_43 Depth=1
	s_andn2_saveexec_b64 s[8:9], s[0:1]
; %bb.148:                              ;   in Loop: Header=BB168_43 Depth=1
	v_or_b32_e32 v53, 0x10000, v2
	v_cmp_eq_u32_sdwa s[0:1], v2, v17 src0_sel:WORD_0 src1_sel:DWORD
	s_nop 1
	v_cndmask_b32_e64 v53, v53, v2, s[0:1]
; %bb.149:                              ;   in Loop: Header=BB168_43 Depth=1
	s_or_b64 exec, exec, s[8:9]
	v_lshlrev_b32_e32 v2, 16, v54
	v_mul_f32_e32 v2, v38, v2
	v_and_b32_e32 v54, 0x7f800000, v2
	v_cmp_ne_u32_e64 s[0:1], s13, v54
                                        ; implicit-def: $vgpr54
	s_and_saveexec_b64 s[8:9], s[0:1]
	s_xor_b64 s[0:1], exec, s[8:9]
; %bb.150:                              ;   in Loop: Header=BB168_43 Depth=1
	v_bfe_u32 v54, v2, 16, 1
	v_add3_u32 v54, v2, v54, s17
                                        ; implicit-def: $vgpr2
; %bb.151:                              ;   in Loop: Header=BB168_43 Depth=1
	s_andn2_saveexec_b64 s[8:9], s[0:1]
; %bb.152:                              ;   in Loop: Header=BB168_43 Depth=1
	v_or_b32_e32 v54, 0x10000, v2
	v_cmp_eq_u32_sdwa s[0:1], v2, v17 src0_sel:WORD_0 src1_sel:DWORD
	s_nop 1
	v_cndmask_b32_e64 v54, v54, v2, s[0:1]
; %bb.153:                              ;   in Loop: Header=BB168_43 Depth=1
	s_or_b64 exec, exec, s[8:9]
	v_lshlrev_b32_e32 v2, 16, v3
	v_mul_f32_e32 v2, v39, v2
	v_and_b32_e32 v3, 0x7f800000, v2
	v_cmp_ne_u32_e64 s[0:1], s13, v3
                                        ; implicit-def: $vgpr55
	s_and_saveexec_b64 s[8:9], s[0:1]
	s_xor_b64 s[0:1], exec, s[8:9]
; %bb.154:                              ;   in Loop: Header=BB168_43 Depth=1
	v_bfe_u32 v3, v2, 16, 1
	v_add3_u32 v55, v2, v3, s17
                                        ; implicit-def: $vgpr2
; %bb.155:                              ;   in Loop: Header=BB168_43 Depth=1
	s_andn2_saveexec_b64 s[8:9], s[0:1]
; %bb.156:                              ;   in Loop: Header=BB168_43 Depth=1
	v_or_b32_e32 v3, 0x10000, v2
	v_cmp_eq_u32_sdwa s[0:1], v2, v17 src0_sel:WORD_0 src1_sel:DWORD
	s_nop 1
	v_cndmask_b32_e64 v55, v3, v2, s[0:1]
; %bb.157:                              ;   in Loop: Header=BB168_43 Depth=1
	s_or_b64 exec, exec, s[8:9]
	v_lshlrev_b32_e32 v2, 16, v56
	v_mul_f32_e32 v2, v40, v2
	v_and_b32_e32 v3, 0x7f800000, v2
	v_cmp_ne_u32_e64 s[0:1], s13, v3
                                        ; implicit-def: $vgpr56
	s_and_saveexec_b64 s[8:9], s[0:1]
	s_xor_b64 s[0:1], exec, s[8:9]
; %bb.158:                              ;   in Loop: Header=BB168_43 Depth=1
	v_bfe_u32 v3, v2, 16, 1
	v_add3_u32 v56, v2, v3, s17
                                        ; implicit-def: $vgpr2
; %bb.159:                              ;   in Loop: Header=BB168_43 Depth=1
	s_andn2_saveexec_b64 s[8:9], s[0:1]
; %bb.160:                              ;   in Loop: Header=BB168_43 Depth=1
	v_or_b32_e32 v3, 0x10000, v2
	v_cmp_eq_u32_sdwa s[0:1], v2, v17 src0_sel:WORD_0 src1_sel:DWORD
	s_nop 1
	v_cndmask_b32_e64 v56, v3, v2, s[0:1]
; %bb.161:                              ;   in Loop: Header=BB168_43 Depth=1
	s_or_b64 exec, exec, s[8:9]
	v_lshlrev_b32_e32 v2, 16, v4
	v_mul_f32_e32 v2, v41, v2
	v_and_b32_e32 v3, 0x7f800000, v2
	v_cmp_ne_u32_e64 s[0:1], s13, v3
                                        ; implicit-def: $vgpr57
	s_and_saveexec_b64 s[8:9], s[0:1]
	s_xor_b64 s[0:1], exec, s[8:9]
; %bb.162:                              ;   in Loop: Header=BB168_43 Depth=1
	v_bfe_u32 v3, v2, 16, 1
	v_add3_u32 v57, v2, v3, s17
                                        ; implicit-def: $vgpr2
; %bb.163:                              ;   in Loop: Header=BB168_43 Depth=1
	s_andn2_saveexec_b64 s[8:9], s[0:1]
; %bb.164:                              ;   in Loop: Header=BB168_43 Depth=1
	v_or_b32_e32 v3, 0x10000, v2
	v_cmp_eq_u32_sdwa s[0:1], v2, v17 src0_sel:WORD_0 src1_sel:DWORD
	s_nop 1
	v_cndmask_b32_e64 v57, v3, v2, s[0:1]
; %bb.165:                              ;   in Loop: Header=BB168_43 Depth=1
	s_or_b64 exec, exec, s[8:9]
	v_lshlrev_b32_e32 v2, 16, v58
	v_mul_f32_e32 v2, v42, v2
	v_and_b32_e32 v3, 0x7f800000, v2
	v_cmp_ne_u32_e64 s[0:1], s13, v3
                                        ; implicit-def: $vgpr58
	s_and_saveexec_b64 s[8:9], s[0:1]
	s_xor_b64 s[0:1], exec, s[8:9]
; %bb.166:                              ;   in Loop: Header=BB168_43 Depth=1
	v_bfe_u32 v3, v2, 16, 1
	v_add3_u32 v58, v2, v3, s17
                                        ; implicit-def: $vgpr2
; %bb.167:                              ;   in Loop: Header=BB168_43 Depth=1
	s_andn2_saveexec_b64 s[8:9], s[0:1]
; %bb.168:                              ;   in Loop: Header=BB168_43 Depth=1
	v_or_b32_e32 v3, 0x10000, v2
	v_cmp_eq_u32_sdwa s[0:1], v2, v17 src0_sel:WORD_0 src1_sel:DWORD
	s_nop 1
	v_cndmask_b32_e64 v58, v3, v2, s[0:1]
; %bb.169:                              ;   in Loop: Header=BB168_43 Depth=1
	s_or_b64 exec, exec, s[8:9]
	v_lshlrev_b32_e32 v2, 16, v5
	v_mul_f32_e32 v2, v43, v2
	v_and_b32_e32 v3, 0x7f800000, v2
	v_cmp_ne_u32_e64 s[0:1], s13, v3
                                        ; implicit-def: $vgpr59
	s_and_saveexec_b64 s[8:9], s[0:1]
	s_xor_b64 s[0:1], exec, s[8:9]
; %bb.170:                              ;   in Loop: Header=BB168_43 Depth=1
	v_bfe_u32 v3, v2, 16, 1
	v_add3_u32 v59, v2, v3, s17
                                        ; implicit-def: $vgpr2
; %bb.171:                              ;   in Loop: Header=BB168_43 Depth=1
	s_andn2_saveexec_b64 s[8:9], s[0:1]
; %bb.172:                              ;   in Loop: Header=BB168_43 Depth=1
	v_or_b32_e32 v3, 0x10000, v2
	v_cmp_eq_u32_sdwa s[0:1], v2, v17 src0_sel:WORD_0 src1_sel:DWORD
	s_nop 1
	v_cndmask_b32_e64 v59, v3, v2, s[0:1]
; %bb.173:                              ;   in Loop: Header=BB168_43 Depth=1
	s_or_b64 exec, exec, s[8:9]
	v_lshlrev_b32_e32 v2, 16, v60
	v_mul_f32_e32 v2, v44, v2
	v_and_b32_e32 v3, 0x7f800000, v2
	v_cmp_ne_u32_e64 s[0:1], s13, v3
                                        ; implicit-def: $vgpr60
	s_and_saveexec_b64 s[8:9], s[0:1]
	s_xor_b64 s[0:1], exec, s[8:9]
; %bb.174:                              ;   in Loop: Header=BB168_43 Depth=1
	v_bfe_u32 v3, v2, 16, 1
	v_add3_u32 v60, v2, v3, s17
                                        ; implicit-def: $vgpr2
; %bb.175:                              ;   in Loop: Header=BB168_43 Depth=1
	s_andn2_saveexec_b64 s[8:9], s[0:1]
; %bb.176:                              ;   in Loop: Header=BB168_43 Depth=1
	v_or_b32_e32 v3, 0x10000, v2
	v_cmp_eq_u32_sdwa s[0:1], v2, v17 src0_sel:WORD_0 src1_sel:DWORD
	s_nop 1
	v_cndmask_b32_e64 v60, v3, v2, s[0:1]
; %bb.177:                              ;   in Loop: Header=BB168_43 Depth=1
	s_or_b64 exec, exec, s[8:9]
	global_load_dwordx4 v[2:5], v[6:7], off offset:3072
	s_waitcnt vmcnt(0)
	v_lshrrev_b32_e32 v6, 16, v2
	v_lshrrev_b32_e32 v62, 16, v3
	;; [unrolled: 1-line block ×4, first 2 shown]
	s_and_saveexec_b64 s[0:1], vcc
	s_cbranch_execz .LBB168_179
; %bb.178:                              ;   in Loop: Header=BB168_43 Depth=1
	v_cmp_gt_i32_e32 vcc, s33, v29
	s_nop 1
	v_cndmask_b32_e32 v2, 0, v2, vcc
	v_cmp_gt_i32_e32 vcc, s33, v35
	s_nop 1
	v_cndmask_b32_e32 v6, 0, v6, vcc
	;; [unrolled: 3-line block ×8, first 2 shown]
.LBB168_179:                            ;   in Loop: Header=BB168_43 Depth=1
	s_or_b64 exec, exec, s[0:1]
	v_lshlrev_b32_e32 v2, 16, v2
	v_mul_f32_e32 v29, v37, v2
	v_and_b32_e32 v2, 0x7f800000, v29
	v_cmp_ne_u32_e32 vcc, s13, v2
                                        ; implicit-def: $vgpr2
	s_and_saveexec_b64 s[0:1], vcc
	s_xor_b64 s[0:1], exec, s[0:1]
; %bb.180:                              ;   in Loop: Header=BB168_43 Depth=1
	v_bfe_u32 v2, v29, 16, 1
	v_add3_u32 v2, v29, v2, s17
                                        ; implicit-def: $vgpr29
; %bb.181:                              ;   in Loop: Header=BB168_43 Depth=1
	s_andn2_saveexec_b64 s[0:1], s[0:1]
; %bb.182:                              ;   in Loop: Header=BB168_43 Depth=1
	v_or_b32_e32 v2, 0x10000, v29
	v_cmp_eq_u32_sdwa vcc, v29, v17 src0_sel:WORD_0 src1_sel:DWORD
	s_nop 1
	v_cndmask_b32_e32 v2, v2, v29, vcc
; %bb.183:                              ;   in Loop: Header=BB168_43 Depth=1
	s_or_b64 exec, exec, s[0:1]
	v_lshlrev_b32_e32 v6, 16, v6
	v_mul_f32_e32 v29, v38, v6
	v_and_b32_e32 v6, 0x7f800000, v29
	v_cmp_ne_u32_e32 vcc, s13, v6
                                        ; implicit-def: $vgpr6
	s_and_saveexec_b64 s[0:1], vcc
	s_xor_b64 s[0:1], exec, s[0:1]
; %bb.184:                              ;   in Loop: Header=BB168_43 Depth=1
	v_bfe_u32 v6, v29, 16, 1
	v_add3_u32 v6, v29, v6, s17
                                        ; implicit-def: $vgpr29
; %bb.185:                              ;   in Loop: Header=BB168_43 Depth=1
	s_andn2_saveexec_b64 s[0:1], s[0:1]
; %bb.186:                              ;   in Loop: Header=BB168_43 Depth=1
	v_or_b32_e32 v6, 0x10000, v29
	v_cmp_eq_u32_sdwa vcc, v29, v17 src0_sel:WORD_0 src1_sel:DWORD
	s_nop 1
	v_cndmask_b32_e32 v6, v6, v29, vcc
; %bb.187:                              ;   in Loop: Header=BB168_43 Depth=1
	s_or_b64 exec, exec, s[0:1]
	v_lshlrev_b32_e32 v3, 16, v3
	v_mul_f32_e32 v29, v39, v3
	v_and_b32_e32 v3, 0x7f800000, v29
	v_cmp_ne_u32_e32 vcc, s13, v3
                                        ; implicit-def: $vgpr3
	s_and_saveexec_b64 s[0:1], vcc
	s_xor_b64 s[0:1], exec, s[0:1]
; %bb.188:                              ;   in Loop: Header=BB168_43 Depth=1
	v_bfe_u32 v3, v29, 16, 1
	v_add3_u32 v3, v29, v3, s17
                                        ; implicit-def: $vgpr29
; %bb.189:                              ;   in Loop: Header=BB168_43 Depth=1
	s_andn2_saveexec_b64 s[0:1], s[0:1]
; %bb.190:                              ;   in Loop: Header=BB168_43 Depth=1
	v_or_b32_e32 v3, 0x10000, v29
	v_cmp_eq_u32_sdwa vcc, v29, v17 src0_sel:WORD_0 src1_sel:DWORD
	s_nop 1
	v_cndmask_b32_e32 v3, v3, v29, vcc
; %bb.191:                              ;   in Loop: Header=BB168_43 Depth=1
	s_or_b64 exec, exec, s[0:1]
	v_lshlrev_b32_e32 v29, 16, v62
	v_mul_f32_e32 v30, v40, v29
	v_and_b32_e32 v29, 0x7f800000, v30
	v_cmp_ne_u32_e32 vcc, s13, v29
                                        ; implicit-def: $vgpr29
	s_and_saveexec_b64 s[0:1], vcc
	s_xor_b64 s[0:1], exec, s[0:1]
; %bb.192:                              ;   in Loop: Header=BB168_43 Depth=1
	v_bfe_u32 v29, v30, 16, 1
	v_add3_u32 v29, v30, v29, s17
                                        ; implicit-def: $vgpr30
; %bb.193:                              ;   in Loop: Header=BB168_43 Depth=1
	s_andn2_saveexec_b64 s[0:1], s[0:1]
; %bb.194:                              ;   in Loop: Header=BB168_43 Depth=1
	v_or_b32_e32 v29, 0x10000, v30
	v_cmp_eq_u32_sdwa vcc, v30, v17 src0_sel:WORD_0 src1_sel:DWORD
	s_nop 1
	v_cndmask_b32_e32 v29, v29, v30, vcc
; %bb.195:                              ;   in Loop: Header=BB168_43 Depth=1
	s_or_b64 exec, exec, s[0:1]
	v_lshlrev_b32_e32 v4, 16, v4
	v_mul_f32_e32 v30, v41, v4
	v_and_b32_e32 v4, 0x7f800000, v30
	v_cmp_ne_u32_e32 vcc, s13, v4
                                        ; implicit-def: $vgpr4
	s_and_saveexec_b64 s[0:1], vcc
	s_xor_b64 s[0:1], exec, s[0:1]
; %bb.196:                              ;   in Loop: Header=BB168_43 Depth=1
	v_bfe_u32 v4, v30, 16, 1
	v_add3_u32 v4, v30, v4, s17
                                        ; implicit-def: $vgpr30
; %bb.197:                              ;   in Loop: Header=BB168_43 Depth=1
	s_andn2_saveexec_b64 s[0:1], s[0:1]
; %bb.198:                              ;   in Loop: Header=BB168_43 Depth=1
	v_or_b32_e32 v4, 0x10000, v30
	v_cmp_eq_u32_sdwa vcc, v30, v17 src0_sel:WORD_0 src1_sel:DWORD
	s_nop 1
	v_cndmask_b32_e32 v4, v4, v30, vcc
; %bb.199:                              ;   in Loop: Header=BB168_43 Depth=1
	s_or_b64 exec, exec, s[0:1]
	v_lshlrev_b32_e32 v30, 16, v61
	v_mul_f32_e32 v31, v42, v30
	v_and_b32_e32 v30, 0x7f800000, v31
	v_cmp_ne_u32_e32 vcc, s13, v30
                                        ; implicit-def: $vgpr30
	s_and_saveexec_b64 s[0:1], vcc
	s_xor_b64 s[0:1], exec, s[0:1]
; %bb.200:                              ;   in Loop: Header=BB168_43 Depth=1
	v_bfe_u32 v30, v31, 16, 1
	v_add3_u32 v30, v31, v30, s17
                                        ; implicit-def: $vgpr31
; %bb.201:                              ;   in Loop: Header=BB168_43 Depth=1
	s_andn2_saveexec_b64 s[0:1], s[0:1]
; %bb.202:                              ;   in Loop: Header=BB168_43 Depth=1
	v_or_b32_e32 v30, 0x10000, v31
	v_cmp_eq_u32_sdwa vcc, v31, v17 src0_sel:WORD_0 src1_sel:DWORD
	s_nop 1
	v_cndmask_b32_e32 v30, v30, v31, vcc
; %bb.203:                              ;   in Loop: Header=BB168_43 Depth=1
	s_or_b64 exec, exec, s[0:1]
	v_lshlrev_b32_e32 v5, 16, v5
	v_mul_f32_e32 v31, v43, v5
	v_and_b32_e32 v5, 0x7f800000, v31
	v_cmp_ne_u32_e32 vcc, s13, v5
                                        ; implicit-def: $vgpr5
	s_and_saveexec_b64 s[0:1], vcc
	s_xor_b64 s[0:1], exec, s[0:1]
; %bb.204:                              ;   in Loop: Header=BB168_43 Depth=1
	v_bfe_u32 v5, v31, 16, 1
	v_add3_u32 v5, v31, v5, s17
                                        ; implicit-def: $vgpr31
; %bb.205:                              ;   in Loop: Header=BB168_43 Depth=1
	s_andn2_saveexec_b64 s[0:1], s[0:1]
; %bb.206:                              ;   in Loop: Header=BB168_43 Depth=1
	v_or_b32_e32 v5, 0x10000, v31
	v_cmp_eq_u32_sdwa vcc, v31, v17 src0_sel:WORD_0 src1_sel:DWORD
	s_nop 1
	v_cndmask_b32_e32 v5, v5, v31, vcc
; %bb.207:                              ;   in Loop: Header=BB168_43 Depth=1
	s_or_b64 exec, exec, s[0:1]
	v_lshlrev_b32_e32 v7, 16, v7
	v_mul_f32_e32 v31, v44, v7
	v_and_b32_e32 v7, 0x7f800000, v31
	v_cmp_ne_u32_e32 vcc, s13, v7
                                        ; implicit-def: $vgpr7
	s_and_saveexec_b64 s[0:1], vcc
	s_xor_b64 s[0:1], exec, s[0:1]
; %bb.208:                              ;   in Loop: Header=BB168_43 Depth=1
	v_bfe_u32 v7, v31, 16, 1
	v_add3_u32 v7, v31, v7, s17
                                        ; implicit-def: $vgpr31
; %bb.209:                              ;   in Loop: Header=BB168_43 Depth=1
	s_andn2_saveexec_b64 s[0:1], s[0:1]
	s_cbranch_execz .LBB168_42
; %bb.210:                              ;   in Loop: Header=BB168_43 Depth=1
	v_or_b32_e32 v7, 0x10000, v31
	v_cmp_eq_u32_sdwa vcc, v31, v17 src0_sel:WORD_0 src1_sel:DWORD
	s_nop 1
	v_cndmask_b32_e32 v7, v7, v31, vcc
	s_branch .LBB168_42
.LBB168_211:
	s_or_b64 exec, exec, s[6:7]
.LBB168_212:
	s_or_b64 exec, exec, s[2:3]
	ds_bpermute_b32 v2, v22, v14
	ds_bpermute_b32 v3, v22, v15
	;; [unrolled: 1-line block ×4, first 2 shown]
	s_waitcnt lgkmcnt(0)
	s_barrier
	v_pk_add_f32 v[4:5], v[14:15], v[2:3]
	v_pk_add_f32 v[2:3], v[12:13], v[6:7]
	v_and_b32_e32 v6, 0x3c1, v0
	v_cmp_eq_u32_e32 vcc, 64, v6
	s_and_saveexec_b64 s[0:1], vcc
	s_cbranch_execz .LBB168_214
; %bb.213:
	v_mov_b32_e32 v6, 0x110
	v_lshl_add_u32 v1, v1, 1, v6
	ds_write2_b32 v1, v4, v5 offset1:32
	ds_write2_b32 v1, v2, v3 offset0:64 offset1:96
.LBB168_214:
	s_or_b64 exec, exec, s[0:1]
	s_waitcnt lgkmcnt(0)
	s_barrier
	s_and_saveexec_b64 s[0:1], s[10:11]
	s_cbranch_execz .LBB168_221
; %bb.215:
	v_cmp_eq_u32_e32 vcc, 0, v23
	v_lshrrev_b32_e32 v1, 1, v0
	s_and_saveexec_b64 s[2:3], vcc
	s_cbranch_execnz .LBB168_241
; %bb.216:
	s_or_b64 exec, exec, s[2:3]
	s_and_saveexec_b64 s[2:3], vcc
	s_cbranch_execnz .LBB168_242
.LBB168_217:
	s_or_b64 exec, exec, s[2:3]
	s_and_saveexec_b64 s[2:3], vcc
	s_cbranch_execnz .LBB168_243
.LBB168_218:
	s_or_b64 exec, exec, s[2:3]
	s_and_saveexec_b64 s[2:3], vcc
	s_cbranch_execz .LBB168_220
.LBB168_219:
	v_mov_b32_e32 v6, 0x110
	v_lshl_add_u32 v1, v1, 2, v6
	ds_read_b32 v1, v1 offset:384
	s_waitcnt lgkmcnt(0)
	v_add_f32_e32 v3, v3, v1
.LBB168_220:
	s_or_b64 exec, exec, s[2:3]
.LBB168_221:
	s_or_b64 exec, exec, s[0:1]
	s_barrier
	s_and_saveexec_b64 s[0:1], s[10:11]
	s_cbranch_execz .LBB168_240
; %bb.222:
	v_cmp_eq_u32_e32 vcc, 0, v23
	s_and_b64 exec, exec, vcc
	s_cbranch_execz .LBB168_240
; %bb.223:
	s_mov_b32 s0, 0x7f800000
	v_and_b32_e32 v1, 0x7f800000, v4
	v_cmp_ne_u32_e32 vcc, s0, v1
                                        ; implicit-def: $vgpr6
	s_and_saveexec_b64 s[0:1], vcc
	s_xor_b64 s[0:1], exec, s[0:1]
; %bb.224:
	v_bfe_u32 v1, v4, 16, 1
	s_movk_i32 s2, 0x7fff
	v_add3_u32 v6, v4, v1, s2
; %bb.225:
	s_andn2_saveexec_b64 s[0:1], s[0:1]
; %bb.226:
	v_mov_b32_e32 v1, 0
	v_or_b32_e32 v6, 0x10000, v4
	v_cmp_eq_u32_sdwa vcc, v4, v1 src0_sel:WORD_0 src1_sel:DWORD
	s_nop 1
	v_cndmask_b32_e32 v6, v6, v4, vcc
; %bb.227:
	s_or_b64 exec, exec, s[0:1]
	s_mul_i32 s0, s16, s14
	s_mul_i32 s0, s0, s15
	s_lshl_b32 s0, s0, 7
	s_ashr_i32 s1, s0, 31
	s_lshl_b64 s[0:1], s[0:1], 1
	s_add_u32 s2, s26, s0
	s_mul_i32 s0, s16, s24
	s_addc_u32 s3, s27, s1
	s_ashr_i32 s1, s0, 31
	s_lshl_b64 s[0:1], s[0:1], 1
	s_add_u32 s2, s2, s0
	s_addc_u32 s3, s3, s1
	s_lshl_b32 s0, s4, 7
	s_ashr_i32 s1, s0, 31
	s_lshl_b64 s[0:1], s[0:1], 1
	s_add_u32 s0, s2, s0
	s_mov_b32 s2, 0x7f800000
	v_and_b32_e32 v4, 0x7f800000, v5
	s_addc_u32 s1, s3, s1
	v_and_b32_e32 v0, 0x3fe, v0
	v_mov_b32_e32 v1, 0
	v_cmp_ne_u32_e32 vcc, s2, v4
	global_store_short_d16_hi v0, v6, s[0:1]
                                        ; implicit-def: $vgpr4
	s_and_saveexec_b64 s[2:3], vcc
	s_xor_b64 s[2:3], exec, s[2:3]
; %bb.228:
	v_bfe_u32 v4, v5, 16, 1
	s_movk_i32 s4, 0x7fff
	v_add3_u32 v4, v5, v4, s4
; %bb.229:
	s_or_saveexec_b64 s[2:3], s[2:3]
	v_lshl_add_u64 v[6:7], s[0:1], 0, v[0:1]
	s_xor_b64 exec, exec, s[2:3]
; %bb.230:
	v_mov_b32_e32 v0, 0
	v_or_b32_e32 v1, 0x10000, v5
	v_cmp_eq_u32_sdwa vcc, v5, v0 src0_sel:WORD_0 src1_sel:DWORD
	s_nop 1
	v_cndmask_b32_e32 v4, v1, v5, vcc
; %bb.231:
	s_or_b64 exec, exec, s[2:3]
	s_mov_b32 s0, 0x7f800000
	v_and_b32_e32 v0, 0x7f800000, v2
	v_cmp_ne_u32_e32 vcc, s0, v0
	global_store_short_d16_hi v[6:7], v4, off offset:64
                                        ; implicit-def: $vgpr0
	s_and_saveexec_b64 s[0:1], vcc
	s_xor_b64 s[0:1], exec, s[0:1]
; %bb.232:
	v_bfe_u32 v0, v2, 16, 1
	s_movk_i32 s2, 0x7fff
	v_add3_u32 v0, v2, v0, s2
; %bb.233:
	s_andn2_saveexec_b64 s[0:1], s[0:1]
; %bb.234:
	v_mov_b32_e32 v0, 0
	v_or_b32_e32 v1, 0x10000, v2
	v_cmp_eq_u32_sdwa vcc, v2, v0 src0_sel:WORD_0 src1_sel:DWORD
	s_nop 1
	v_cndmask_b32_e32 v0, v1, v2, vcc
; %bb.235:
	s_or_b64 exec, exec, s[0:1]
	global_store_short_d16_hi v[6:7], v0, off offset:128
	s_mov_b32 s0, 0x7f800000
	v_and_b32_e32 v0, 0x7f800000, v3
	v_cmp_ne_u32_e32 vcc, s0, v0
                                        ; implicit-def: $vgpr4
	s_and_saveexec_b64 s[0:1], vcc
	s_xor_b64 s[0:1], exec, s[0:1]
; %bb.236:
	v_bfe_u32 v0, v3, 16, 1
	s_movk_i32 s2, 0x7fff
	v_add3_u32 v4, v3, v0, s2
                                        ; implicit-def: $vgpr0_vgpr1_vgpr2_vgpr3
; %bb.237:
	s_andn2_saveexec_b64 s[0:1], s[0:1]
; %bb.238:
	v_mov_b32_e32 v0, 0
	v_or_b32_e32 v1, 0x10000, v3
	v_cmp_eq_u32_sdwa vcc, v3, v0 src0_sel:WORD_0 src1_sel:DWORD
	s_nop 1
	v_cndmask_b32_e32 v4, v1, v3, vcc
; %bb.239:
	s_or_b64 exec, exec, s[0:1]
	global_store_short_d16_hi v[6:7], v4, off offset:192
.LBB168_240:
	s_endpgm
.LBB168_241:
	v_mov_b32_e32 v6, 0x110
	v_lshl_add_u32 v6, v1, 2, v6
	ds_read_b32 v6, v6
	s_waitcnt lgkmcnt(0)
	v_add_f32_e32 v4, v4, v6
	s_or_b64 exec, exec, s[2:3]
	s_and_saveexec_b64 s[2:3], vcc
	s_cbranch_execz .LBB168_217
.LBB168_242:
	v_mov_b32_e32 v6, 0x110
	v_lshl_add_u32 v6, v1, 2, v6
	ds_read_b32 v6, v6 offset:128
	s_waitcnt lgkmcnt(0)
	v_add_f32_e32 v5, v5, v6
	s_or_b64 exec, exec, s[2:3]
	s_and_saveexec_b64 s[2:3], vcc
	s_cbranch_execz .LBB168_218
.LBB168_243:
	v_mov_b32_e32 v6, 0x110
	v_lshl_add_u32 v6, v1, 2, v6
	ds_read_b32 v6, v6 offset:256
	s_waitcnt lgkmcnt(0)
	v_add_f32_e32 v2, v2, v6
	s_or_b64 exec, exec, s[2:3]
	s_and_saveexec_b64 s[2:3], vcc
	s_cbranch_execnz .LBB168_219
	s_branch .LBB168_220
	.section	.rodata,"a",@progbits
	.p2align	6, 0x0
	.amdhsa_kernel _ZN4vllm25paged_attention_v2_kernelI14__hip_bfloat16S1_Li128ELi16ELi128ELNS_18Fp8KVCacheDataTypeE0ELb0ELi512EEEvPfS3_PT_PKS4_PKT0_SA_ifPKiSC_iPKfiiiSE_SE_iiiii
		.amdhsa_group_segment_fixed_size 272
		.amdhsa_private_segment_fixed_size 0
		.amdhsa_kernarg_size 400
		.amdhsa_user_sgpr_count 2
		.amdhsa_user_sgpr_dispatch_ptr 0
		.amdhsa_user_sgpr_queue_ptr 0
		.amdhsa_user_sgpr_kernarg_segment_ptr 1
		.amdhsa_user_sgpr_dispatch_id 0
		.amdhsa_user_sgpr_kernarg_preload_length 0
		.amdhsa_user_sgpr_kernarg_preload_offset 0
		.amdhsa_user_sgpr_private_segment_size 0
		.amdhsa_uses_dynamic_stack 0
		.amdhsa_enable_private_segment 0
		.amdhsa_system_sgpr_workgroup_id_x 1
		.amdhsa_system_sgpr_workgroup_id_y 1
		.amdhsa_system_sgpr_workgroup_id_z 1
		.amdhsa_system_sgpr_workgroup_info 0
		.amdhsa_system_vgpr_workitem_id 0
		.amdhsa_next_free_vgpr 78
		.amdhsa_next_free_sgpr 44
		.amdhsa_accum_offset 80
		.amdhsa_reserve_vcc 1
		.amdhsa_float_round_mode_32 0
		.amdhsa_float_round_mode_16_64 0
		.amdhsa_float_denorm_mode_32 3
		.amdhsa_float_denorm_mode_16_64 3
		.amdhsa_dx10_clamp 1
		.amdhsa_ieee_mode 1
		.amdhsa_fp16_overflow 0
		.amdhsa_tg_split 0
		.amdhsa_exception_fp_ieee_invalid_op 0
		.amdhsa_exception_fp_denorm_src 0
		.amdhsa_exception_fp_ieee_div_zero 0
		.amdhsa_exception_fp_ieee_overflow 0
		.amdhsa_exception_fp_ieee_underflow 0
		.amdhsa_exception_fp_ieee_inexact 0
		.amdhsa_exception_int_div_zero 0
	.end_amdhsa_kernel
	.section	.text._ZN4vllm25paged_attention_v2_kernelI14__hip_bfloat16S1_Li128ELi16ELi128ELNS_18Fp8KVCacheDataTypeE0ELb0ELi512EEEvPfS3_PT_PKS4_PKT0_SA_ifPKiSC_iPKfiiiSE_SE_iiiii,"axG",@progbits,_ZN4vllm25paged_attention_v2_kernelI14__hip_bfloat16S1_Li128ELi16ELi128ELNS_18Fp8KVCacheDataTypeE0ELb0ELi512EEEvPfS3_PT_PKS4_PKT0_SA_ifPKiSC_iPKfiiiSE_SE_iiiii,comdat
.Lfunc_end168:
	.size	_ZN4vllm25paged_attention_v2_kernelI14__hip_bfloat16S1_Li128ELi16ELi128ELNS_18Fp8KVCacheDataTypeE0ELb0ELi512EEEvPfS3_PT_PKS4_PKT0_SA_ifPKiSC_iPKfiiiSE_SE_iiiii, .Lfunc_end168-_ZN4vllm25paged_attention_v2_kernelI14__hip_bfloat16S1_Li128ELi16ELi128ELNS_18Fp8KVCacheDataTypeE0ELb0ELi512EEEvPfS3_PT_PKS4_PKT0_SA_ifPKiSC_iPKfiiiSE_SE_iiiii
                                        ; -- End function
	.section	.AMDGPU.csdata,"",@progbits
; Kernel info:
; codeLenInByte = 8780
; NumSgprs: 50
; NumVgprs: 78
; NumAgprs: 0
; TotalNumVgprs: 78
; ScratchSize: 0
; MemoryBound: 0
; FloatMode: 240
; IeeeMode: 1
; LDSByteSize: 272 bytes/workgroup (compile time only)
; SGPRBlocks: 6
; VGPRBlocks: 9
; NumSGPRsForWavesPerEU: 50
; NumVGPRsForWavesPerEU: 78
; AccumOffset: 80
; Occupancy: 6
; WaveLimiterHint : 1
; COMPUTE_PGM_RSRC2:SCRATCH_EN: 0
; COMPUTE_PGM_RSRC2:USER_SGPR: 2
; COMPUTE_PGM_RSRC2:TRAP_HANDLER: 0
; COMPUTE_PGM_RSRC2:TGID_X_EN: 1
; COMPUTE_PGM_RSRC2:TGID_Y_EN: 1
; COMPUTE_PGM_RSRC2:TGID_Z_EN: 1
; COMPUTE_PGM_RSRC2:TIDIG_COMP_CNT: 0
; COMPUTE_PGM_RSRC3_GFX90A:ACCUM_OFFSET: 19
; COMPUTE_PGM_RSRC3_GFX90A:TG_SPLIT: 0
	.section	.text._ZN4vllm25paged_attention_v2_kernelI14__hip_bfloat16S1_Li192ELi16ELi128ELNS_18Fp8KVCacheDataTypeE0ELb0ELi512EEEvPfS3_PT_PKS4_PKT0_SA_ifPKiSC_iPKfiiiSE_SE_iiiii,"axG",@progbits,_ZN4vllm25paged_attention_v2_kernelI14__hip_bfloat16S1_Li192ELi16ELi128ELNS_18Fp8KVCacheDataTypeE0ELb0ELi512EEEvPfS3_PT_PKS4_PKT0_SA_ifPKiSC_iPKfiiiSE_SE_iiiii,comdat
	.protected	_ZN4vllm25paged_attention_v2_kernelI14__hip_bfloat16S1_Li192ELi16ELi128ELNS_18Fp8KVCacheDataTypeE0ELb0ELi512EEEvPfS3_PT_PKS4_PKT0_SA_ifPKiSC_iPKfiiiSE_SE_iiiii ; -- Begin function _ZN4vllm25paged_attention_v2_kernelI14__hip_bfloat16S1_Li192ELi16ELi128ELNS_18Fp8KVCacheDataTypeE0ELb0ELi512EEEvPfS3_PT_PKS4_PKT0_SA_ifPKiSC_iPKfiiiSE_SE_iiiii
	.globl	_ZN4vllm25paged_attention_v2_kernelI14__hip_bfloat16S1_Li192ELi16ELi128ELNS_18Fp8KVCacheDataTypeE0ELb0ELi512EEEvPfS3_PT_PKS4_PKT0_SA_ifPKiSC_iPKfiiiSE_SE_iiiii
	.p2align	8
	.type	_ZN4vllm25paged_attention_v2_kernelI14__hip_bfloat16S1_Li192ELi16ELi128ELNS_18Fp8KVCacheDataTypeE0ELb0ELi512EEEvPfS3_PT_PKS4_PKT0_SA_ifPKiSC_iPKfiiiSE_SE_iiiii,@function
_ZN4vllm25paged_attention_v2_kernelI14__hip_bfloat16S1_Li192ELi16ELi128ELNS_18Fp8KVCacheDataTypeE0ELb0ELi512EEEvPfS3_PT_PKS4_PKT0_SA_ifPKiSC_iPKfiiiSE_SE_iiiii: ; @_ZN4vllm25paged_attention_v2_kernelI14__hip_bfloat16S1_Li192ELi16ELi128ELNS_18Fp8KVCacheDataTypeE0ELb0ELi512EEEvPfS3_PT_PKS4_PKT0_SA_ifPKiSC_iPKfiiiSE_SE_iiiii
; %bb.0:
	s_load_dwordx2 s[6:7], s[0:1], 0x40
	s_mov_b32 s20, s3
	s_ashr_i32 s21, s3, 31
	s_lshl_b64 s[8:9], s[20:21], 2
	s_waitcnt lgkmcnt(0)
	s_add_u32 s6, s6, s8
	s_addc_u32 s7, s7, s9
	s_load_dword s33, s[6:7], 0x0
	s_lshl_b32 s40, s4, 9
	s_waitcnt lgkmcnt(0)
	s_cmp_ge_i32 s40, s33
	s_cbranch_scc1 .LBB169_318
; %bb.1:
	s_load_dword s21, s[0:1], 0x90
	s_load_dwordx2 s[10:11], s[0:1], 0x30
	s_waitcnt lgkmcnt(0)
	s_abs_i32 s6, s21
	s_abs_i32 s3, s10
	v_cvt_f32_u32_e32 v1, s3
	s_sub_i32 s7, 0, s3
	s_xor_b32 s5, s21, s10
	s_ashr_i32 s5, s5, 31
	v_rcp_iflag_f32_e32 v1, v1
	s_nop 0
	v_mul_f32_e32 v1, 0x4f7ffffe, v1
	v_cvt_u32_f32_e32 v1, v1
	s_nop 0
	v_readfirstlane_b32 s8, v1
	s_mul_i32 s7, s7, s8
	s_mul_hi_u32 s7, s8, s7
	s_add_i32 s8, s8, s7
	s_mul_hi_u32 s7, s6, s8
	s_mul_i32 s8, s7, s3
	s_sub_i32 s6, s6, s8
	s_add_i32 s9, s7, 1
	s_sub_i32 s8, s6, s3
	s_cmp_ge_u32 s6, s3
	s_cselect_b32 s7, s9, s7
	s_cselect_b32 s6, s8, s6
	s_add_i32 s8, s7, 1
	s_cmp_ge_u32 s6, s3
	s_cselect_b32 s3, s8, s7
	s_xor_b32 s3, s3, s5
	s_sub_i32 s12, s3, s5
	s_abs_i32 s8, s12
	v_cvt_f32_u32_e32 v1, s8
	s_load_dwordx2 s[6:7], s[0:1], 0x50
	s_sub_i32 s3, 0, s8
	s_abs_i32 s9, s2
	v_rcp_iflag_f32_e32 v1, v1
	s_mov_b32 s5, 0
	v_mul_f32_e32 v1, 0x4f7ffffe, v1
	v_cvt_u32_f32_e32 v1, v1
	s_nop 0
	v_readfirstlane_b32 s10, v1
	s_mul_i32 s3, s3, s10
	s_mul_hi_u32 s3, s10, s3
	s_add_i32 s10, s10, s3
	s_waitcnt lgkmcnt(0)
	s_cmp_eq_u64 s[6:7], 0
	s_mul_hi_u32 s10, s9, s10
	s_cbranch_scc1 .LBB169_3
; %bb.2:
	s_ashr_i32 s3, s2, 31
	s_lshl_b64 s[14:15], s[2:3], 2
	s_add_u32 s6, s6, s14
	s_addc_u32 s7, s7, s15
	s_load_dword s5, s[6:7], 0x0
.LBB169_3:
	s_ashr_i32 s17, s12, 31
	s_load_dwordx4 s[12:15], s[0:1], 0x58
	s_movk_i32 s3, 0x60
	s_ashr_i32 s16, s2, 31
	v_and_b32_e32 v4, 3, v0
	s_mul_i32 s22, s2, 0xc0
	v_cmp_gt_u32_e32 vcc, s3, v0
	s_and_saveexec_b64 s[6:7], vcc
	s_cbranch_execz .LBB169_5
; %bb.4:
	s_load_dwordx2 s[18:19], s[0:1], 0x18
	s_waitcnt lgkmcnt(0)
	s_mul_i32 s24, s20, s12
	s_ashr_i32 s25, s24, 31
	s_lshl_b64 s[24:25], s[24:25], 1
	v_lshlrev_b32_e32 v1, 2, v0
	s_add_u32 s12, s18, s24
	s_addc_u32 s15, s19, s25
	s_ashr_i32 s23, s22, 31
	s_lshl_b64 s[18:19], s[22:23], 1
	s_add_u32 s18, s12, s18
	s_addc_u32 s19, s15, s19
	global_load_dword v1, v1, s[18:19]
	v_and_b32_e32 v2, 0x3fc, v0
	v_mad_u32_u24 v2, v4, s3, v2
	s_waitcnt vmcnt(0)
	ds_write_b32 v2, v1
.LBB169_5:
	s_or_b64 exec, exec, s[6:7]
	s_add_i32 s3, s33, 15
	s_ashr_i32 s6, s3, 31
	s_lshr_b32 s6, s6, 28
	s_add_i32 s3, s3, s6
	s_ashr_i32 s41, s3, 4
	s_lshl_b32 s3, s4, 5
	s_mul_i32 s7, s10, s8
	s_add_i32 s6, s3, 32
	s_sub_i32 s7, s9, s7
	s_min_i32 s23, s6, s41
	s_xor_b32 s6, s16, s17
	s_add_i32 s9, s10, 1
	s_waitcnt lgkmcnt(0)
	s_sub_i32 s12, s7, s8
	s_cmp_ge_u32 s7, s8
	s_cselect_b32 s9, s9, s10
	s_cselect_b32 s7, s12, s7
	s_add_i32 s10, s9, 1
	s_cmp_ge_u32 s7, s8
	s_load_dwordx2 s[26:27], s[0:1], 0x38
	s_load_dword s8, s[0:1], 0x48
	v_lshrrev_b32_e32 v6, 6, v0
	s_cselect_b32 s7, s10, s9
	s_xor_b32 s7, s7, s6
	v_or_b32_e32 v10, s3, v6
	s_waitcnt lgkmcnt(0)
	s_mul_i32 s28, s20, s8
	s_sub_i32 s10, s7, s6
	s_ashr_i32 s29, s28, 31
	v_cmp_gt_i32_e64 s[8:9], s23, v10
	v_cmp_le_i32_e32 vcc, s23, v10
	v_mbcnt_lo_u32_b32 v5, -1, 0
	s_barrier
	s_waitcnt lgkmcnt(0)
                                        ; implicit-def: $sgpr15
                                        ; implicit-def: $vgpr7
                                        ; implicit-def: $vgpr8
	s_and_saveexec_b64 s[6:7], vcc
	s_xor_b64 s[6:7], exec, s[6:7]
; %bb.6:
	v_mbcnt_hi_u32_b32 v7, -1, v5
	v_and_b32_e32 v1, 64, v7
	v_add_u32_e32 v8, 64, v1
	s_mov_b32 s15, 0xff7fffff
                                        ; implicit-def: $vgpr4
                                        ; implicit-def: $vgpr5
; %bb.7:
	s_or_saveexec_b64 s[34:35], s[6:7]
	s_load_dwordx4 s[16:19], s[0:1], 0x0
	s_load_dwordx2 s[24:25], s[0:1], 0x10
	s_load_dwordx2 s[30:31], s[0:1], 0x28
	s_load_dword s12, s[0:1], 0x98
	v_mov_b32_e32 v57, s15
	s_mul_i32 s14, s10, s14
	v_ashrrev_i32_e32 v11, 31, v10
	s_xor_b64 exec, exec, s[34:35]
	s_cbranch_execz .LBB169_13
; %bb.8:
	s_load_dwordx2 s[0:1], s[0:1], 0x20
	s_ashr_i32 s15, s14, 31
	s_lshl_b64 s[6:7], s[14:15], 1
	v_bfe_u32 v62, v0, 2, 4
	v_mul_u32_u24_e32 v7, 0x60, v4
	s_waitcnt lgkmcnt(0)
	s_add_u32 s0, s0, s6
	s_addc_u32 s1, s1, s7
	v_lshlrev_b32_e32 v2, 4, v62
	v_mov_b32_e32 v3, 0
	v_lshlrev_b32_e32 v1, 2, v0
	ds_read_b128 v[14:17], v7
	ds_read_b128 v[22:25], v7 offset:16
	ds_read_b128 v[30:33], v7 offset:32
	;; [unrolled: 1-line block ×5, first 2 shown]
	v_mbcnt_hi_u32_b32 v7, -1, v5
	v_lshl_add_u64 v[8:9], s[0:1], 0, v[2:3]
	v_and_b32_e32 v2, 12, v1
	v_and_b32_e32 v5, 64, v7
	v_lshl_add_u64 v[2:3], v[8:9], 0, v[2:3]
	v_add_u32_e32 v8, 64, v5
	v_xor_b32_e32 v5, 2, v7
	v_cmp_lt_i32_e32 vcc, v5, v8
	s_sub_i32 s15, 1, s33
	s_lshl_b64 s[0:1], s[28:29], 2
	v_cndmask_b32_e32 v5, v7, v5, vcc
	v_lshlrev_b32_e32 v59, 2, v5
	v_xor_b32_e32 v5, 1, v7
	v_cmp_lt_i32_e32 vcc, v5, v8
	s_add_u32 s0, s26, s0
	s_addc_u32 s1, s27, s1
	v_cndmask_b32_e32 v5, v7, v5, vcc
	v_cmp_eq_u32_e32 vcc, 0, v4
	v_lshlrev_b32_e32 v4, 4, v6
	v_add3_u32 v61, s40, v4, v62
	v_lshlrev_b32_e32 v4, 2, v62
	v_lshl_or_b32 v4, v6, 6, v4
	s_mov_b32 s10, s13
	s_waitcnt lgkmcnt(5)
	v_lshlrev_b32_e32 v1, 16, v14
	v_and_b32_e32 v9, 0xffff0000, v14
	v_lshlrev_b32_e32 v12, 16, v15
	v_and_b32_e32 v13, 0xffff0000, v15
	v_lshlrev_b32_e32 v14, 16, v16
	v_and_b32_e32 v15, 0xffff0000, v16
	v_lshlrev_b32_e32 v16, 16, v17
	v_and_b32_e32 v17, 0xffff0000, v17
	s_waitcnt lgkmcnt(4)
	v_lshlrev_b32_e32 v18, 16, v22
	v_and_b32_e32 v19, 0xffff0000, v22
	v_lshlrev_b32_e32 v20, 16, v23
	v_and_b32_e32 v21, 0xffff0000, v23
	v_lshlrev_b32_e32 v22, 16, v24
	v_and_b32_e32 v23, 0xffff0000, v24
	v_lshlrev_b32_e32 v24, 16, v25
	v_and_b32_e32 v25, 0xffff0000, v25
	;; [unrolled: 9-line block ×6, first 2 shown]
	v_lshlrev_b32_e32 v60, 2, v5
	v_cmp_neq_f32_e64 s[6:7], s5, 0
	v_add_u32_e32 v62, 0x190, v4
	s_mov_b64 s[36:37], 0
	s_movk_i32 s42, 0x1000
	v_mov_b32_e32 v57, 0xff7fffff
	v_mov_b32_e32 v63, v10
	v_lshl_add_u64 v[4:5], v[10:11], 2, s[0:1]
	s_branch .LBB169_10
.LBB169_9:                              ;   in Loop: Header=BB169_10 Depth=1
	s_or_b64 exec, exec, s[38:39]
	v_add_u32_e32 v63, 2, v63
	v_cmp_le_i32_e64 s[0:1], s23, v63
	v_add_u32_e32 v61, 32, v61
	v_add_u32_e32 v62, 0x80, v62
	s_or_b64 s[36:37], s[0:1], s[36:37]
	v_lshl_add_u64 v[4:5], v[4:5], 0, 8
	s_andn2_b64 exec, exec, s[36:37]
	s_cbranch_execz .LBB169_12
.LBB169_10:                             ; =>This Inner Loop Header: Depth=1
	global_load_dword v64, v[4:5], off
	s_waitcnt vmcnt(0) lgkmcnt(0)
	v_mad_i64_i32 v[64:65], s[0:1], v64, s10, 0
	v_lshl_add_u64 v[64:65], v[64:65], 1, v[2:3]
	global_load_dword v66, v[64:65], off offset:512
	global_load_dword v67, v[64:65], off offset:768
	;; [unrolled: 1-line block ×7, first 2 shown]
	global_load_dword v73, v[64:65], off
	global_load_dword v74, v[64:65], off offset:2048
	global_load_dword v75, v[64:65], off offset:2304
	;; [unrolled: 1-line block ×8, first 2 shown]
	v_add_co_u32_e64 v64, s[0:1], s42, v64
	s_waitcnt vmcnt(15)
	v_lshlrev_b32_e32 v90, 16, v66
	v_addc_co_u32_e64 v65, s[0:1], 0, v65, s[0:1]
	global_load_dword v82, v[64:65], off
	global_load_dword v83, v[64:65], off offset:256
	global_load_dword v84, v[64:65], off offset:512
	;; [unrolled: 1-line block ×6, first 2 shown]
	s_nop 0
	global_load_dword v64, v[64:65], off offset:1792
	v_and_b32_e32 v66, 0xffff0000, v66
	s_waitcnt vmcnt(22)
	v_lshlrev_b32_e32 v91, 16, v67
	s_waitcnt vmcnt(17)
	v_lshlrev_b32_e32 v65, 16, v72
	v_and_b32_e32 v72, 0xffff0000, v72
	s_waitcnt vmcnt(16)
	v_lshlrev_b32_e32 v89, 16, v73
	v_and_b32_e32 v73, 0xffff0000, v73
	v_mul_f32_e32 v65, v12, v65
	v_mul_f32_e32 v72, v13, v72
	v_fmac_f32_e32 v65, v1, v89
	v_fmac_f32_e32 v72, v9, v73
	v_and_b32_e32 v67, 0xffff0000, v67
	v_fmac_f32_e32 v65, v14, v90
	v_fmac_f32_e32 v72, v15, v66
	v_lshlrev_b32_e32 v92, 16, v68
	v_and_b32_e32 v68, 0xffff0000, v68
	v_fmac_f32_e32 v65, v16, v91
	v_fmac_f32_e32 v72, v17, v67
	v_lshlrev_b32_e32 v93, 16, v69
	;; [unrolled: 4-line block ×4, first 2 shown]
	v_and_b32_e32 v71, 0xffff0000, v71
	v_fmac_f32_e32 v65, v22, v94
	v_fmac_f32_e32 v72, v23, v70
	s_waitcnt vmcnt(15)
	v_lshlrev_b32_e32 v96, 16, v74
	v_and_b32_e32 v74, 0xffff0000, v74
	v_fmac_f32_e32 v65, v24, v95
	v_fmac_f32_e32 v72, v25, v71
	s_waitcnt vmcnt(14)
	v_lshlrev_b32_e32 v97, 16, v75
	;; [unrolled: 5-line block ×8, first 2 shown]
	v_and_b32_e32 v81, 0xffff0000, v81
	v_fmac_f32_e32 v65, v38, v89
	v_fmac_f32_e32 v72, v39, v80
	v_fmac_f32_e32 v65, v40, v73
	v_fmac_f32_e32 v72, v41, v81
	s_waitcnt vmcnt(7)
	v_lshlrev_b32_e32 v90, 16, v82
	v_and_b32_e32 v82, 0xffff0000, v82
	s_waitcnt vmcnt(6)
	v_lshlrev_b32_e32 v66, 16, v83
	v_and_b32_e32 v83, 0xffff0000, v83
	v_fmac_f32_e32 v65, v42, v90
	v_fmac_f32_e32 v72, v43, v82
	s_waitcnt vmcnt(5)
	v_lshlrev_b32_e32 v91, 16, v84
	v_and_b32_e32 v84, 0xffff0000, v84
	v_fmac_f32_e32 v65, v44, v66
	v_fmac_f32_e32 v72, v45, v83
	s_waitcnt vmcnt(4)
	v_lshlrev_b32_e32 v67, 16, v85
	v_and_b32_e32 v85, 0xffff0000, v85
	v_fmac_f32_e32 v65, v46, v91
	v_fmac_f32_e32 v72, v47, v84
	s_waitcnt vmcnt(3)
	v_lshlrev_b32_e32 v92, 16, v86
	v_and_b32_e32 v86, 0xffff0000, v86
	v_fmac_f32_e32 v65, v48, v67
	v_fmac_f32_e32 v72, v49, v85
	s_waitcnt vmcnt(2)
	v_lshlrev_b32_e32 v68, 16, v87
	v_and_b32_e32 v87, 0xffff0000, v87
	v_fmac_f32_e32 v65, v50, v92
	v_fmac_f32_e32 v72, v51, v86
	s_waitcnt vmcnt(1)
	v_lshlrev_b32_e32 v93, 16, v88
	v_and_b32_e32 v88, 0xffff0000, v88
	v_fmac_f32_e32 v65, v52, v68
	v_fmac_f32_e32 v72, v53, v87
	s_waitcnt vmcnt(0)
	v_lshlrev_b32_e32 v69, 16, v64
	v_and_b32_e32 v64, 0xffff0000, v64
	v_fmac_f32_e32 v65, v54, v93
	v_fmac_f32_e32 v72, v55, v88
	v_fmac_f32_e32 v65, v56, v69
	v_fmac_f32_e32 v72, v58, v64
	v_add_f32_e32 v64, v65, v72
	ds_bpermute_b32 v65, v59, v64
	s_waitcnt lgkmcnt(0)
	v_add_f32_e32 v64, v64, v65
	ds_bpermute_b32 v65, v60, v64
	s_and_saveexec_b64 s[38:39], vcc
	s_cbranch_execz .LBB169_9
; %bb.11:                               ;   in Loop: Header=BB169_10 Depth=1
	v_add_u32_e32 v66, s15, v61
	v_cvt_f32_i32_e32 v66, v66
	s_waitcnt lgkmcnt(0)
	v_add_f32_e32 v64, v64, v65
	v_cmp_gt_i32_e64 s[0:1], s33, v61
	v_max_f32_e32 v65, v57, v57
	v_mul_f32_e32 v66, s5, v66
	v_cndmask_b32_e64 v66, 0, v66, s[6:7]
	v_fmac_f32_e32 v66, s11, v64
	v_cndmask_b32_e64 v64, 0, v66, s[0:1]
	ds_write_b32 v62, v64
	v_max_f32_e32 v64, v65, v66
	v_cndmask_b32_e64 v57, v57, v64, s[0:1]
	s_branch .LBB169_9
.LBB169_12:
	s_or_b64 exec, exec, s[36:37]
.LBB169_13:
	s_or_b64 exec, exec, s[34:35]
	v_xor_b32_e32 v1, 32, v7
	v_cmp_lt_i32_e32 vcc, v1, v8
	v_xor_b32_e32 v4, 16, v7
	v_max_f32_e32 v3, v57, v57
	v_cndmask_b32_e32 v1, v7, v1, vcc
	v_lshlrev_b32_e32 v2, 2, v1
	ds_bpermute_b32 v1, v2, v57
	v_cmp_lt_i32_e32 vcc, v4, v8
	v_xor_b32_e32 v5, 8, v7
	s_waitcnt lgkmcnt(0)
	v_max_f32_e32 v1, v1, v1
	v_max_f32_e32 v1, v3, v1
	v_cndmask_b32_e32 v3, v7, v4, vcc
	v_lshlrev_b32_e32 v3, 2, v3
	ds_bpermute_b32 v4, v3, v1
	v_cmp_lt_i32_e32 vcc, v5, v8
	s_waitcnt lgkmcnt(0)
	v_max_f32_e32 v4, v4, v4
	v_max_f32_e32 v1, v1, v4
	v_cndmask_b32_e32 v4, v7, v5, vcc
	v_lshlrev_b32_e32 v12, 2, v4
	ds_bpermute_b32 v4, v12, v1
	v_xor_b32_e32 v5, 4, v7
	v_cmp_lt_i32_e32 vcc, v5, v8
	s_waitcnt lgkmcnt(0)
	v_max_f32_e32 v4, v4, v4
	v_max_f32_e32 v4, v1, v4
	v_cndmask_b32_e32 v1, v7, v5, vcc
	v_lshlrev_b32_e32 v13, 2, v1
	ds_bpermute_b32 v9, v13, v4
	v_and_b32_e32 v1, 63, v0
	v_cmp_eq_u32_e32 vcc, 0, v1
	v_lshlrev_b32_e32 v5, 2, v6
	s_and_saveexec_b64 s[0:1], vcc
	s_cbranch_execz .LBB169_15
; %bb.14:
	s_waitcnt lgkmcnt(0)
	v_max_f32_e32 v9, v9, v9
	v_max_f32_e32 v4, v4, v4
	;; [unrolled: 1-line block ×3, first 2 shown]
	ds_write_b32 v5, v4 offset:384
.LBB169_15:
	s_or_b64 exec, exec, s[0:1]
	v_cmp_gt_u32_e64 s[0:1], 2, v1
	v_mov_b32_e32 v4, 0xff7fffff
	s_waitcnt lgkmcnt(0)
	v_lshlrev_b32_e32 v9, 2, v1
	s_barrier
	s_and_saveexec_b64 s[6:7], s[0:1]
	s_cbranch_execz .LBB169_17
; %bb.16:
	ds_read_b32 v4, v9 offset:384
.LBB169_17:
	s_or_b64 exec, exec, s[6:7]
	v_xor_b32_e32 v14, 1, v7
	v_cmp_lt_i32_e64 s[6:7], v14, v8
	s_sub_i32 s3, s23, s3
	s_lshl_b32 s3, s3, 4
	v_cndmask_b32_e64 v14, v7, v14, s[6:7]
	v_lshlrev_b32_e32 v26, 2, v14
	s_waitcnt lgkmcnt(0)
	ds_bpermute_b32 v14, v26, v4
	v_max_f32_e32 v4, v4, v4
	s_add_i32 s3, s3, s40
	s_min_i32 s5, s3, s33
	s_sub_i32 s3, s5, s40
	s_waitcnt lgkmcnt(0)
	v_max_f32_e32 v14, v14, v14
	v_max_f32_e32 v4, v4, v14
	v_lshlrev_b32_e32 v14, 2, v7
	v_and_b32_e32 v14, 0xffffff00, v14
	ds_bpermute_b32 v4, v14, v4
	v_cmp_gt_i32_e64 s[6:7], s3, v0
	v_mov_b32_e32 v15, 0
	s_and_saveexec_b64 s[34:35], s[6:7]
	s_cbranch_execz .LBB169_21
; %bb.18:
	v_mov_b32_e32 v15, 0x190
	v_lshl_add_u32 v16, v0, 2, v15
	s_mov_b64 s[36:37], 0
	v_mov_b32_e32 v15, 0
	v_mov_b32_e32 v17, v0
.LBB169_19:                             ; =>This Inner Loop Header: Depth=1
	ds_read_b32 v18, v16
	v_add_u32_e32 v17, 0x80, v17
	v_cmp_le_i32_e64 s[10:11], s3, v17
	s_or_b64 s[36:37], s[10:11], s[36:37]
	s_waitcnt lgkmcnt(0)
	v_sub_f32_e32 v18, v18, v4
	v_mul_f32_e32 v18, 0x3fb8aa3b, v18
	v_exp_f32_e32 v18, v18
	ds_write_b32 v16, v18
	v_add_f32_e32 v15, v15, v18
	v_add_u32_e32 v16, 0x200, v16
	s_andn2_b64 exec, exec, s[36:37]
	s_cbranch_execnz .LBB169_19
; %bb.20:
	s_or_b64 exec, exec, s[36:37]
.LBB169_21:
	s_or_b64 exec, exec, s[34:35]
	ds_bpermute_b32 v2, v2, v15
	s_waitcnt lgkmcnt(0)
	v_add_f32_e32 v2, v15, v2
	ds_bpermute_b32 v3, v3, v2
	s_waitcnt lgkmcnt(0)
	v_add_f32_e32 v2, v2, v3
	ds_bpermute_b32 v3, v12, v2
	v_xor_b32_e32 v12, 2, v7
	v_cmp_lt_i32_e64 s[10:11], v12, v8
	s_waitcnt lgkmcnt(0)
	v_add_f32_e32 v2, v2, v3
	ds_bpermute_b32 v3, v13, v2
	v_cndmask_b32_e64 v7, v7, v12, s[10:11]
	s_waitcnt lgkmcnt(0)
	v_add_f32_e32 v2, v2, v3
	v_lshlrev_b32_e32 v3, 2, v7
	ds_bpermute_b32 v3, v3, v2
	s_waitcnt lgkmcnt(0)
	v_add_f32_e32 v2, v2, v3
	ds_bpermute_b32 v3, v26, v2
	s_waitcnt lgkmcnt(0)
	v_add_f32_e32 v2, v2, v3
	s_and_saveexec_b64 s[10:11], vcc
	s_cbranch_execz .LBB169_23
; %bb.22:
	ds_write_b32 v5, v2 offset:392
.LBB169_23:
	s_or_b64 exec, exec, s[10:11]
	s_waitcnt lgkmcnt(0)
	s_barrier
	s_and_saveexec_b64 s[10:11], s[0:1]
	s_cbranch_execz .LBB169_25
; %bb.24:
	ds_read_b32 v2, v9 offset:392
.LBB169_25:
	s_or_b64 exec, exec, s[10:11]
	s_waitcnt lgkmcnt(0)
	ds_bpermute_b32 v3, v26, v2
	s_waitcnt lgkmcnt(0)
	v_add_f32_e32 v2, v2, v3
	ds_bpermute_b32 v5, v14, v2
	s_and_saveexec_b64 s[0:1], s[6:7]
	s_cbranch_execz .LBB169_38
; %bb.26:
	s_waitcnt lgkmcnt(0)
	v_add_f32_e32 v2, 0x358637bd, v5
	v_div_scale_f32 v3, s[6:7], v2, v2, 1.0
	v_rcp_f32_e32 v7, v3
	v_div_scale_f32 v8, vcc, 1.0, v2, 1.0
	s_mov_b64 s[10:11], -1
	v_fma_f32 v9, -v3, v7, 1.0
	v_fmac_f32_e32 v7, v9, v7
	v_mul_f32_e32 v9, v8, v7
	v_fma_f32 v12, -v3, v9, v8
	v_fmac_f32_e32 v9, v12, v7
	v_fma_f32 v3, -v3, v9, v8
	v_div_fmas_f32 v3, v3, v7, v9
	v_div_fixup_f32 v2, v3, v2, 1.0
	v_xad_u32 v3, v0, -1, s5
	v_subrev_u32_e32 v7, s40, v3
	s_movk_i32 s5, 0x7f
	v_cmp_lt_u32_e32 vcc, s5, v7
	v_mov_b32_e32 v3, v0
	s_and_saveexec_b64 s[6:7], vcc
	s_cbranch_execz .LBB169_35
; %bb.27:
	v_lshrrev_b32_e32 v7, 7, v7
	v_add_u32_e32 v9, -1, v7
	v_lshrrev_b32_e32 v8, 1, v9
	v_mov_b32_e32 v3, v2
	v_add_u32_e32 v8, 1, v8
	v_cmp_lt_u32_e32 vcc, 13, v9
	v_mov_b32_e32 v13, 0
	s_and_saveexec_b64 s[10:11], vcc
	s_cbranch_execz .LBB169_31
; %bb.28:
	v_mov_b32_e32 v12, 0x190
	v_and_b32_e32 v9, -8, v8
	v_lshl_add_u32 v12, v0, 2, v12
	s_mov_b32 s5, 0
	s_mov_b64 s[34:35], 0
.LBB169_29:                             ; =>This Inner Loop Header: Depth=1
	ds_read2st64_b32 v[14:15], v12 offset1:2
	ds_read2st64_b32 v[16:17], v12 offset0:4 offset1:6
	ds_read2st64_b32 v[18:19], v12 offset0:8 offset1:10
	;; [unrolled: 1-line block ×3, first 2 shown]
	v_add_u32_e32 v9, -8, v9
	s_waitcnt lgkmcnt(3)
	v_pk_mul_f32 v[14:15], v[2:3], v[14:15]
	s_waitcnt lgkmcnt(2)
	v_pk_mul_f32 v[16:17], v[2:3], v[16:17]
	ds_write2st64_b32 v12, v14, v15 offset1:2
	ds_write2st64_b32 v12, v16, v17 offset0:4 offset1:6
	ds_read2st64_b32 v[16:17], v12 offset0:16 offset1:18
	s_waitcnt lgkmcnt(4)
	v_pk_mul_f32 v[14:15], v[2:3], v[18:19]
	ds_write2st64_b32 v12, v14, v15 offset0:8 offset1:10
	s_waitcnt lgkmcnt(4)
	v_pk_mul_f32 v[14:15], v[2:3], v[20:21]
	ds_write2st64_b32 v12, v14, v15 offset0:12 offset1:14
	ds_read2st64_b32 v[14:15], v12 offset0:20 offset1:22
	s_waitcnt lgkmcnt(3)
	v_pk_mul_f32 v[16:17], v[2:3], v[16:17]
	ds_read2st64_b32 v[18:19], v12 offset0:24 offset1:26
	ds_write2st64_b32 v12, v16, v17 offset0:16 offset1:18
	ds_read2st64_b32 v[16:17], v12 offset0:28 offset1:30
	s_waitcnt lgkmcnt(3)
	v_pk_mul_f32 v[14:15], v[2:3], v[14:15]
	ds_write2st64_b32 v12, v14, v15 offset0:20 offset1:22
	s_waitcnt lgkmcnt(3)
	v_pk_mul_f32 v[14:15], v[2:3], v[18:19]
	ds_write2st64_b32 v12, v14, v15 offset0:24 offset1:26
	s_waitcnt lgkmcnt(2)
	v_pk_mul_f32 v[14:15], v[2:3], v[16:17]
	s_add_i32 s5, s5, 16
	v_cmp_eq_u32_e32 vcc, 0, v9
	ds_write2st64_b32 v12, v14, v15 offset0:28 offset1:30
	v_add_u32_e32 v12, 0x2000, v12
	s_or_b64 s[34:35], vcc, s[34:35]
	v_mov_b32_e32 v13, s5
	s_andn2_b64 exec, exec, s[34:35]
	s_cbranch_execnz .LBB169_29
; %bb.30:
	s_or_b64 exec, exec, s[34:35]
.LBB169_31:
	s_or_b64 exec, exec, s[10:11]
	v_and_b32_e32 v8, 7, v8
	v_cmp_ne_u32_e32 vcc, 0, v8
	s_and_saveexec_b64 s[10:11], vcc
	s_cbranch_execz .LBB169_34
; %bb.32:
	v_lshlrev_b32_e32 v9, 9, v13
	v_lshlrev_b32_e32 v12, 2, v0
	s_movk_i32 s5, 0x190
	v_add3_u32 v9, v9, v12, s5
	s_mov_b64 s[34:35], 0
.LBB169_33:                             ; =>This Inner Loop Header: Depth=1
	ds_read2st64_b32 v[12:13], v9 offset1:2
	v_add_u32_e32 v8, -1, v8
	v_cmp_eq_u32_e32 vcc, 0, v8
	s_or_b64 s[34:35], vcc, s[34:35]
	s_waitcnt lgkmcnt(0)
	v_pk_mul_f32 v[12:13], v[2:3], v[12:13]
	ds_write2st64_b32 v9, v12, v13 offset1:2
	v_add_u32_e32 v9, 0x400, v9
	s_andn2_b64 exec, exec, s[34:35]
	s_cbranch_execnz .LBB169_33
.LBB169_34:
	s_or_b64 exec, exec, s[10:11]
	v_add_u32_e32 v7, 1, v7
	v_and_b32_e32 v8, 0x3fffffe, v7
	v_cmp_ne_u32_e32 vcc, v7, v8
	v_lshl_add_u32 v3, v8, 7, v0
	s_orn2_b64 s[10:11], vcc, exec
.LBB169_35:
	s_or_b64 exec, exec, s[6:7]
	s_and_b64 exec, exec, s[10:11]
	s_cbranch_execz .LBB169_38
; %bb.36:
	v_mov_b32_e32 v7, 0x190
	v_lshl_add_u32 v7, v3, 2, v7
	s_mov_b64 s[6:7], 0
.LBB169_37:                             ; =>This Inner Loop Header: Depth=1
	ds_read_b32 v8, v7
	v_add_u32_e32 v3, 0x80, v3
	v_cmp_le_i32_e32 vcc, s3, v3
	s_or_b64 s[6:7], vcc, s[6:7]
	s_waitcnt lgkmcnt(0)
	v_mul_f32_e32 v8, v2, v8
	ds_write_b32 v7, v8
	v_add_u32_e32 v7, 0x200, v7
	s_andn2_b64 exec, exec, s[6:7]
	s_cbranch_execnz .LBB169_37
.LBB169_38:
	s_or_b64 exec, exec, s[0:1]
	v_cmp_eq_u32_e32 vcc, 0, v0
	s_waitcnt lgkmcnt(0)
	s_barrier
	s_and_saveexec_b64 s[0:1], vcc
	s_cbranch_execz .LBB169_40
; %bb.39:
	s_mul_i32 s3, s12, s20
	s_mul_i32 s6, s3, s21
	s_ashr_i32 s7, s6, 31
	s_lshl_b64 s[6:7], s[6:7], 2
	s_add_u32 s5, s18, s6
	s_mul_i32 s2, s12, s2
	s_addc_u32 s10, s19, s7
	s_ashr_i32 s3, s2, 31
	s_lshl_b64 s[2:3], s[2:3], 2
	s_add_u32 s15, s5, s2
	s_addc_u32 s19, s10, s3
	s_ashr_i32 s5, s4, 31
	s_lshl_b64 s[10:11], s[4:5], 2
	s_add_u32 s18, s15, s10
	s_addc_u32 s19, s19, s11
	s_add_u32 s5, s16, s6
	s_addc_u32 s6, s17, s7
	;; [unrolled: 2-line block ×3, first 2 shown]
	s_add_u32 s2, s2, s10
	v_mov_b32_e32 v2, 0
	s_addc_u32 s3, s3, s11
	global_store_dword v2, v4, s[18:19]
	global_store_dword v2, v5, s[2:3]
.LBB169_40:
	s_or_b64 exec, exec, s[0:1]
	v_mov_b32_e32 v13, 0
	v_and_b32_e32 v27, 1, v0
	v_mov_b32_e32 v12, 0
	v_mov_b32_e32 v15, 0
	;; [unrolled: 1-line block ×5, first 2 shown]
	s_and_saveexec_b64 s[2:3], s[8:9]
	s_cbranch_execz .LBB169_280
; %bb.41:
	s_ashr_i32 s15, s14, 31
	s_lshl_b64 s[0:1], s[14:15], 1
	v_lshlrev_b32_e32 v2, 3, v0
	s_add_u32 s6, s30, s0
	v_and_b32_e32 v3, 8, v2
	s_mov_b32 s5, s13
	s_addc_u32 s7, s31, s1
	s_add_i32 s13, s41, -1
	v_lshl_add_u32 v5, v6, 4, s40
	s_lshl_b64 s[0:1], s[28:29], 2
	v_and_b32_e32 v2, 0x1f8, v2
	v_add3_u32 v28, v5, v3, 7
	v_lshlrev_b32_e32 v3, 5, v27
	s_add_u32 s0, s26, s0
	v_mov_b32_e32 v19, 0
	v_or_b32_e32 v4, 0x800, v2
	v_or_b32_e32 v8, 0xa00, v2
	v_lshl_or_b32 v3, v6, 6, v3
	s_addc_u32 s1, s27, s1
	v_add_u32_e32 v29, 0x190, v3
	v_lshl_add_u64 v[20:21], v[10:11], 2, s[0:1]
	s_mov_b64 s[8:9], 0
	s_mov_b32 s14, 0x7f800000
	s_movk_i32 s15, 0x7fff
	v_lshlrev_b32_e32 v18, 1, v2
	v_lshlrev_b32_e32 v22, 1, v4
	;; [unrolled: 1-line block ×3, first 2 shown]
	v_mov_b32_e32 v16, v19
	v_mov_b32_e32 v17, v19
	;; [unrolled: 1-line block ×6, first 2 shown]
	s_branch .LBB169_43
.LBB169_42:                             ;   in Loop: Header=BB169_43 Depth=1
	s_or_b64 exec, exec, s[0:1]
	v_and_b32_e32 v38, 0xffff0000, v34
	v_and_b32_e32 v34, 0xffff0000, v33
	;; [unrolled: 1-line block ×8, first 2 shown]
	v_pk_add_f32 v[30:31], v[30:31], v[32:33]
	v_pk_add_f32 v[32:33], v[34:35], v[38:39]
	v_add_f32_e32 v11, v30, v31
	v_add_f32_e32 v11, v11, v32
	v_and_b32_e32 v35, 0xffff0000, v55
	v_and_b32_e32 v34, 0xffff0000, v53
	;; [unrolled: 1-line block ×4, first 2 shown]
	v_add_f32_e32 v11, v11, v33
	v_and_b32_e32 v31, 0xffff0000, v59
	v_and_b32_e32 v30, 0xffff0000, v57
	v_and_b32_e32 v33, 0xffff0000, v58
	v_and_b32_e32 v32, 0xffff0000, v56
	v_pk_add_f32 v[34:35], v[38:39], v[34:35]
	v_add_f32_e32 v16, v16, v11
	v_pk_add_f32 v[30:31], v[32:33], v[30:31]
	v_add_f32_e32 v11, v34, v35
	v_add_f32_e32 v11, v11, v30
	v_and_b32_e32 v35, 0xffff0000, v63
	v_and_b32_e32 v34, 0xffff0000, v61
	;; [unrolled: 1-line block ×4, first 2 shown]
	v_add_f32_e32 v11, v11, v31
	v_and_b32_e32 v31, 0xffff0000, v67
	v_and_b32_e32 v30, 0xffff0000, v65
	;; [unrolled: 1-line block ×4, first 2 shown]
	v_pk_add_f32 v[34:35], v[38:39], v[34:35]
	v_add_f32_e32 v17, v17, v11
	v_pk_add_f32 v[30:31], v[32:33], v[30:31]
	v_add_f32_e32 v11, v34, v35
	v_add_f32_e32 v11, v11, v30
	v_and_b32_e32 v35, 0xffff0000, v69
	v_and_b32_e32 v34, 0xffff0000, v9
	v_and_b32_e32 v9, 0xffff0000, v68
	v_and_b32_e32 v8, 0xffff0000, v8
	v_add_f32_e32 v11, v11, v31
	v_and_b32_e32 v31, 0xffff0000, v73
	v_and_b32_e32 v30, 0xffff0000, v71
	;; [unrolled: 1-line block ×4, first 2 shown]
	v_pk_add_f32 v[8:9], v[8:9], v[34:35]
	v_pk_add_f32 v[30:31], v[32:33], v[30:31]
	v_add_f32_e32 v8, v8, v9
	v_add_f32_e32 v8, v8, v30
	;; [unrolled: 1-line block ×3, first 2 shown]
	v_and_b32_e32 v33, 0xffff0000, v76
	v_and_b32_e32 v32, 0xffff0000, v74
	;; [unrolled: 1-line block ×4, first 2 shown]
	v_add_f32_e32 v15, v15, v8
	v_and_b32_e32 v9, 0xffff0000, v80
	v_and_b32_e32 v8, 0xffff0000, v78
	;; [unrolled: 1-line block ×4, first 2 shown]
	v_pk_add_f32 v[32:33], v[34:35], v[32:33]
	v_add_f32_e32 v14, v14, v11
	v_pk_add_f32 v[8:9], v[30:31], v[8:9]
	v_add_f32_e32 v11, v32, v33
	v_add_f32_e32 v8, v11, v8
	;; [unrolled: 1-line block ×3, first 2 shown]
	v_and_b32_e32 v9, 0xffff0000, v7
	v_and_b32_e32 v7, 0xffff0000, v25
	;; [unrolled: 1-line block ×5, first 2 shown]
	v_add_f32_e32 v12, v12, v8
	v_and_b32_e32 v8, 0xffff0000, v36
	v_and_b32_e32 v5, 0xffff0000, v5
	;; [unrolled: 1-line block ×3, first 2 shown]
	v_pk_add_f32 v[2:3], v[2:3], v[6:7]
	v_pk_add_f32 v[4:5], v[4:5], v[8:9]
	v_add_f32_e32 v2, v2, v3
	v_add_f32_e32 v2, v2, v4
	v_add_u32_e32 v10, 2, v10
	v_add_f32_e32 v2, v2, v5
	v_cmp_le_i32_e32 vcc, s23, v10
	v_add_f32_e32 v13, v13, v2
	v_add_u32_e32 v28, 32, v28
	v_add_u32_e32 v29, 0x80, v29
	s_or_b64 s[8:9], vcc, s[8:9]
	v_lshl_add_u64 v[20:21], v[20:21], 0, 8
	s_andn2_b64 exec, exec, s[8:9]
	s_cbranch_execz .LBB169_279
.LBB169_43:                             ; =>This Inner Loop Header: Depth=1
	global_load_dword v35, v[20:21], off
	ds_read2_b64 v[6:9], v29 offset1:1
	ds_read2_b64 v[2:5], v29 offset0:2 offset1:3
	s_waitcnt lgkmcnt(1)
	v_and_b32_e32 v11, 0x7f800000, v6
	v_cmp_ne_u32_e32 vcc, s14, v11
                                        ; implicit-def: $vgpr11
	s_and_saveexec_b64 s[0:1], vcc
	s_xor_b64 s[0:1], exec, s[0:1]
; %bb.44:                               ;   in Loop: Header=BB169_43 Depth=1
	v_bfe_u32 v11, v6, 16, 1
	v_add3_u32 v11, v6, v11, s15
; %bb.45:                               ;   in Loop: Header=BB169_43 Depth=1
	s_andn2_saveexec_b64 s[0:1], s[0:1]
; %bb.46:                               ;   in Loop: Header=BB169_43 Depth=1
	v_or_b32_e32 v11, 0x10000, v6
	v_cmp_eq_u32_sdwa vcc, v6, v19 src0_sel:WORD_0 src1_sel:DWORD
	s_nop 1
	v_cndmask_b32_e32 v11, v11, v6, vcc
; %bb.47:                               ;   in Loop: Header=BB169_43 Depth=1
	s_or_b64 exec, exec, s[0:1]
	v_and_b32_e32 v6, 0x7f800000, v7
	v_cmp_ne_u32_e32 vcc, s14, v6
                                        ; implicit-def: $vgpr30
	s_and_saveexec_b64 s[0:1], vcc
	s_xor_b64 s[0:1], exec, s[0:1]
; %bb.48:                               ;   in Loop: Header=BB169_43 Depth=1
	v_bfe_u32 v6, v7, 16, 1
	v_add3_u32 v30, v7, v6, s15
; %bb.49:                               ;   in Loop: Header=BB169_43 Depth=1
	s_andn2_saveexec_b64 s[0:1], s[0:1]
; %bb.50:                               ;   in Loop: Header=BB169_43 Depth=1
	v_or_b32_e32 v6, 0x10000, v7
	v_cmp_eq_u32_sdwa vcc, v7, v19 src0_sel:WORD_0 src1_sel:DWORD
	s_nop 1
	v_cndmask_b32_e32 v30, v6, v7, vcc
; %bb.51:                               ;   in Loop: Header=BB169_43 Depth=1
	s_or_b64 exec, exec, s[0:1]
	v_and_b32_e32 v6, 0x7f800000, v8
	v_cmp_ne_u32_e32 vcc, s14, v6
                                        ; implicit-def: $vgpr31
	s_and_saveexec_b64 s[0:1], vcc
	s_xor_b64 s[0:1], exec, s[0:1]
; %bb.52:                               ;   in Loop: Header=BB169_43 Depth=1
	v_bfe_u32 v6, v8, 16, 1
	v_add3_u32 v31, v8, v6, s15
; %bb.53:                               ;   in Loop: Header=BB169_43 Depth=1
	s_andn2_saveexec_b64 s[0:1], s[0:1]
; %bb.54:                               ;   in Loop: Header=BB169_43 Depth=1
	v_or_b32_e32 v6, 0x10000, v8
	v_cmp_eq_u32_sdwa vcc, v8, v19 src0_sel:WORD_0 src1_sel:DWORD
	s_nop 1
	v_cndmask_b32_e32 v31, v6, v8, vcc
; %bb.55:                               ;   in Loop: Header=BB169_43 Depth=1
	s_or_b64 exec, exec, s[0:1]
	v_and_b32_e32 v6, 0x7f800000, v9
	v_cmp_ne_u32_e32 vcc, s14, v6
                                        ; implicit-def: $vgpr32
	s_and_saveexec_b64 s[0:1], vcc
	s_xor_b64 s[0:1], exec, s[0:1]
; %bb.56:                               ;   in Loop: Header=BB169_43 Depth=1
	v_bfe_u32 v6, v9, 16, 1
	v_add3_u32 v32, v9, v6, s15
                                        ; implicit-def: $vgpr6_vgpr7_vgpr8_vgpr9
; %bb.57:                               ;   in Loop: Header=BB169_43 Depth=1
	s_andn2_saveexec_b64 s[0:1], s[0:1]
; %bb.58:                               ;   in Loop: Header=BB169_43 Depth=1
	v_or_b32_e32 v6, 0x10000, v9
	v_cmp_eq_u32_sdwa vcc, v9, v19 src0_sel:WORD_0 src1_sel:DWORD
	s_nop 1
	v_cndmask_b32_e32 v32, v6, v9, vcc
; %bb.59:                               ;   in Loop: Header=BB169_43 Depth=1
	s_or_b64 exec, exec, s[0:1]
	s_waitcnt lgkmcnt(0)
	v_and_b32_e32 v6, 0x7f800000, v2
	v_cmp_ne_u32_e32 vcc, s14, v6
                                        ; implicit-def: $vgpr33
	s_and_saveexec_b64 s[0:1], vcc
	s_xor_b64 s[0:1], exec, s[0:1]
; %bb.60:                               ;   in Loop: Header=BB169_43 Depth=1
	v_bfe_u32 v6, v2, 16, 1
	v_add3_u32 v33, v2, v6, s15
; %bb.61:                               ;   in Loop: Header=BB169_43 Depth=1
	s_andn2_saveexec_b64 s[0:1], s[0:1]
; %bb.62:                               ;   in Loop: Header=BB169_43 Depth=1
	v_or_b32_e32 v6, 0x10000, v2
	v_cmp_eq_u32_sdwa vcc, v2, v19 src0_sel:WORD_0 src1_sel:DWORD
	s_nop 1
	v_cndmask_b32_e32 v33, v6, v2, vcc
; %bb.63:                               ;   in Loop: Header=BB169_43 Depth=1
	s_or_b64 exec, exec, s[0:1]
	v_and_b32_e32 v2, 0x7f800000, v3
	v_cmp_ne_u32_e32 vcc, s14, v2
                                        ; implicit-def: $vgpr34
	s_and_saveexec_b64 s[0:1], vcc
	s_xor_b64 s[0:1], exec, s[0:1]
; %bb.64:                               ;   in Loop: Header=BB169_43 Depth=1
	v_bfe_u32 v2, v3, 16, 1
	v_add3_u32 v34, v3, v2, s15
; %bb.65:                               ;   in Loop: Header=BB169_43 Depth=1
	s_andn2_saveexec_b64 s[0:1], s[0:1]
; %bb.66:                               ;   in Loop: Header=BB169_43 Depth=1
	v_or_b32_e32 v2, 0x10000, v3
	v_cmp_eq_u32_sdwa vcc, v3, v19 src0_sel:WORD_0 src1_sel:DWORD
	s_nop 1
	v_cndmask_b32_e32 v34, v2, v3, vcc
; %bb.67:                               ;   in Loop: Header=BB169_43 Depth=1
	s_or_b64 exec, exec, s[0:1]
	v_and_b32_e32 v2, 0x7f800000, v4
	v_cmp_ne_u32_e32 vcc, s14, v2
                                        ; implicit-def: $vgpr25
	s_and_saveexec_b64 s[0:1], vcc
	s_xor_b64 s[0:1], exec, s[0:1]
; %bb.68:                               ;   in Loop: Header=BB169_43 Depth=1
	v_bfe_u32 v2, v4, 16, 1
	v_add3_u32 v25, v4, v2, s15
; %bb.69:                               ;   in Loop: Header=BB169_43 Depth=1
	s_andn2_saveexec_b64 s[0:1], s[0:1]
; %bb.70:                               ;   in Loop: Header=BB169_43 Depth=1
	v_or_b32_e32 v2, 0x10000, v4
	v_cmp_eq_u32_sdwa vcc, v4, v19 src0_sel:WORD_0 src1_sel:DWORD
	s_nop 1
	v_cndmask_b32_e32 v25, v2, v4, vcc
; %bb.71:                               ;   in Loop: Header=BB169_43 Depth=1
	s_or_b64 exec, exec, s[0:1]
	v_and_b32_e32 v2, 0x7f800000, v5
	v_cmp_ne_u32_e32 vcc, s14, v2
                                        ; implicit-def: $vgpr23
	s_and_saveexec_b64 s[0:1], vcc
	s_xor_b64 s[0:1], exec, s[0:1]
; %bb.72:                               ;   in Loop: Header=BB169_43 Depth=1
	v_bfe_u32 v2, v5, 16, 1
	v_add3_u32 v23, v5, v2, s15
                                        ; implicit-def: $vgpr2_vgpr3_vgpr4_vgpr5
; %bb.73:                               ;   in Loop: Header=BB169_43 Depth=1
	s_andn2_saveexec_b64 s[0:1], s[0:1]
; %bb.74:                               ;   in Loop: Header=BB169_43 Depth=1
	v_or_b32_e32 v2, 0x10000, v5
	v_cmp_eq_u32_sdwa vcc, v5, v19 src0_sel:WORD_0 src1_sel:DWORD
	s_nop 1
	v_cndmask_b32_e32 v23, v2, v5, vcc
; %bb.75:                               ;   in Loop: Header=BB169_43 Depth=1
	s_or_b64 exec, exec, s[0:1]
	s_waitcnt vmcnt(0)
	v_mad_i64_i32 v[2:3], s[0:1], v35, s5, 0
	v_lshl_add_u64 v[6:7], v[2:3], 1, s[6:7]
	v_lshl_add_u64 v[8:9], v[6:7], 0, v[18:19]
	global_load_dwordx4 v[2:5], v[8:9], off
	v_add_u32_e32 v36, -7, v28
	v_cmp_eq_u32_e32 vcc, s13, v10
	v_add_u32_e32 v42, -6, v28
	v_add_u32_e32 v40, -5, v28
	;; [unrolled: 1-line block ×6, first 2 shown]
	s_waitcnt vmcnt(0)
	v_lshrrev_b32_e32 v46, 16, v2
	v_lshrrev_b32_e32 v48, 16, v3
	;; [unrolled: 1-line block ×4, first 2 shown]
	s_and_saveexec_b64 s[10:11], vcc
	s_cbranch_execz .LBB169_77
; %bb.76:                               ;   in Loop: Header=BB169_43 Depth=1
	v_cmp_gt_i32_e64 s[0:1], s33, v36
	s_nop 1
	v_cndmask_b32_e64 v2, 0, v2, s[0:1]
	v_cmp_gt_i32_e64 s[0:1], s33, v42
	s_nop 1
	v_cndmask_b32_e64 v46, 0, v46, s[0:1]
	;; [unrolled: 3-line block ×8, first 2 shown]
.LBB169_77:                             ;   in Loop: Header=BB169_43 Depth=1
	s_or_b64 exec, exec, s[10:11]
	v_and_b32_e32 v44, 0xffff0000, v11
	v_lshlrev_b32_e32 v2, 16, v2
	v_mul_f32_e32 v2, v44, v2
	v_and_b32_e32 v11, 0x7f800000, v2
	v_cmp_ne_u32_e64 s[0:1], s14, v11
                                        ; implicit-def: $vgpr11
	s_and_saveexec_b64 s[10:11], s[0:1]
	s_xor_b64 s[0:1], exec, s[10:11]
; %bb.78:                               ;   in Loop: Header=BB169_43 Depth=1
	v_bfe_u32 v11, v2, 16, 1
	v_add3_u32 v11, v2, v11, s15
                                        ; implicit-def: $vgpr2
; %bb.79:                               ;   in Loop: Header=BB169_43 Depth=1
	s_andn2_saveexec_b64 s[10:11], s[0:1]
; %bb.80:                               ;   in Loop: Header=BB169_43 Depth=1
	v_or_b32_e32 v11, 0x10000, v2
	v_cmp_eq_u32_sdwa s[0:1], v2, v19 src0_sel:WORD_0 src1_sel:DWORD
	s_nop 1
	v_cndmask_b32_e64 v11, v11, v2, s[0:1]
; %bb.81:                               ;   in Loop: Header=BB169_43 Depth=1
	s_or_b64 exec, exec, s[10:11]
	v_and_b32_e32 v45, 0xffff0000, v30
	v_lshlrev_b32_e32 v2, 16, v46
	v_mul_f32_e32 v2, v45, v2
	v_and_b32_e32 v30, 0x7f800000, v2
	v_cmp_ne_u32_e64 s[0:1], s14, v30
                                        ; implicit-def: $vgpr30
	s_and_saveexec_b64 s[10:11], s[0:1]
	s_xor_b64 s[0:1], exec, s[10:11]
; %bb.82:                               ;   in Loop: Header=BB169_43 Depth=1
	v_bfe_u32 v30, v2, 16, 1
	v_add3_u32 v30, v2, v30, s15
                                        ; implicit-def: $vgpr2
; %bb.83:                               ;   in Loop: Header=BB169_43 Depth=1
	s_andn2_saveexec_b64 s[10:11], s[0:1]
; %bb.84:                               ;   in Loop: Header=BB169_43 Depth=1
	v_or_b32_e32 v30, 0x10000, v2
	v_cmp_eq_u32_sdwa s[0:1], v2, v19 src0_sel:WORD_0 src1_sel:DWORD
	s_nop 1
	v_cndmask_b32_e64 v30, v30, v2, s[0:1]
; %bb.85:                               ;   in Loop: Header=BB169_43 Depth=1
	s_or_b64 exec, exec, s[10:11]
	v_and_b32_e32 v46, 0xffff0000, v31
	v_lshlrev_b32_e32 v2, 16, v3
	v_mul_f32_e32 v2, v46, v2
	v_and_b32_e32 v3, 0x7f800000, v2
	v_cmp_ne_u32_e64 s[0:1], s14, v3
                                        ; implicit-def: $vgpr31
	s_and_saveexec_b64 s[10:11], s[0:1]
	s_xor_b64 s[0:1], exec, s[10:11]
; %bb.86:                               ;   in Loop: Header=BB169_43 Depth=1
	v_bfe_u32 v3, v2, 16, 1
	v_add3_u32 v31, v2, v3, s15
                                        ; implicit-def: $vgpr2
; %bb.87:                               ;   in Loop: Header=BB169_43 Depth=1
	s_andn2_saveexec_b64 s[10:11], s[0:1]
; %bb.88:                               ;   in Loop: Header=BB169_43 Depth=1
	v_or_b32_e32 v3, 0x10000, v2
	v_cmp_eq_u32_sdwa s[0:1], v2, v19 src0_sel:WORD_0 src1_sel:DWORD
	s_nop 1
	v_cndmask_b32_e64 v31, v3, v2, s[0:1]
; %bb.89:                               ;   in Loop: Header=BB169_43 Depth=1
	s_or_b64 exec, exec, s[10:11]
	v_and_b32_e32 v47, 0xffff0000, v32
	v_lshlrev_b32_e32 v2, 16, v48
	v_mul_f32_e32 v2, v47, v2
	v_and_b32_e32 v3, 0x7f800000, v2
	v_cmp_ne_u32_e64 s[0:1], s14, v3
                                        ; implicit-def: $vgpr32
	s_and_saveexec_b64 s[10:11], s[0:1]
	s_xor_b64 s[0:1], exec, s[10:11]
; %bb.90:                               ;   in Loop: Header=BB169_43 Depth=1
	v_bfe_u32 v3, v2, 16, 1
	v_add3_u32 v32, v2, v3, s15
                                        ; implicit-def: $vgpr2
; %bb.91:                               ;   in Loop: Header=BB169_43 Depth=1
	s_andn2_saveexec_b64 s[10:11], s[0:1]
; %bb.92:                               ;   in Loop: Header=BB169_43 Depth=1
	v_or_b32_e32 v3, 0x10000, v2
	v_cmp_eq_u32_sdwa s[0:1], v2, v19 src0_sel:WORD_0 src1_sel:DWORD
	s_nop 1
	v_cndmask_b32_e64 v32, v3, v2, s[0:1]
; %bb.93:                               ;   in Loop: Header=BB169_43 Depth=1
	s_or_b64 exec, exec, s[10:11]
	v_and_b32_e32 v48, 0xffff0000, v33
	v_lshlrev_b32_e32 v2, 16, v4
	v_mul_f32_e32 v2, v48, v2
	v_and_b32_e32 v3, 0x7f800000, v2
	v_cmp_ne_u32_e64 s[0:1], s14, v3
                                        ; implicit-def: $vgpr33
	s_and_saveexec_b64 s[10:11], s[0:1]
	s_xor_b64 s[0:1], exec, s[10:11]
; %bb.94:                               ;   in Loop: Header=BB169_43 Depth=1
	v_bfe_u32 v3, v2, 16, 1
	v_add3_u32 v33, v2, v3, s15
                                        ; implicit-def: $vgpr2
; %bb.95:                               ;   in Loop: Header=BB169_43 Depth=1
	s_andn2_saveexec_b64 s[10:11], s[0:1]
; %bb.96:                               ;   in Loop: Header=BB169_43 Depth=1
	v_or_b32_e32 v3, 0x10000, v2
	v_cmp_eq_u32_sdwa s[0:1], v2, v19 src0_sel:WORD_0 src1_sel:DWORD
	s_nop 1
	v_cndmask_b32_e64 v33, v3, v2, s[0:1]
; %bb.97:                               ;   in Loop: Header=BB169_43 Depth=1
	s_or_b64 exec, exec, s[10:11]
	v_and_b32_e32 v49, 0xffff0000, v34
	v_lshlrev_b32_e32 v2, 16, v35
	v_mul_f32_e32 v2, v49, v2
	v_and_b32_e32 v3, 0x7f800000, v2
	v_cmp_ne_u32_e64 s[0:1], s14, v3
                                        ; implicit-def: $vgpr34
	s_and_saveexec_b64 s[10:11], s[0:1]
	s_xor_b64 s[0:1], exec, s[10:11]
; %bb.98:                               ;   in Loop: Header=BB169_43 Depth=1
	v_bfe_u32 v3, v2, 16, 1
	v_add3_u32 v34, v2, v3, s15
                                        ; implicit-def: $vgpr2
; %bb.99:                               ;   in Loop: Header=BB169_43 Depth=1
	s_andn2_saveexec_b64 s[10:11], s[0:1]
; %bb.100:                              ;   in Loop: Header=BB169_43 Depth=1
	v_or_b32_e32 v3, 0x10000, v2
	v_cmp_eq_u32_sdwa s[0:1], v2, v19 src0_sel:WORD_0 src1_sel:DWORD
	s_nop 1
	v_cndmask_b32_e64 v34, v3, v2, s[0:1]
; %bb.101:                              ;   in Loop: Header=BB169_43 Depth=1
	s_or_b64 exec, exec, s[10:11]
	v_and_b32_e32 v50, 0xffff0000, v25
	v_lshlrev_b32_e32 v2, 16, v5
	v_mul_f32_e32 v2, v50, v2
	v_and_b32_e32 v3, 0x7f800000, v2
	v_cmp_ne_u32_e64 s[0:1], s14, v3
                                        ; implicit-def: $vgpr35
	s_and_saveexec_b64 s[10:11], s[0:1]
	s_xor_b64 s[0:1], exec, s[10:11]
; %bb.102:                              ;   in Loop: Header=BB169_43 Depth=1
	v_bfe_u32 v3, v2, 16, 1
	v_add3_u32 v35, v2, v3, s15
                                        ; implicit-def: $vgpr2
; %bb.103:                              ;   in Loop: Header=BB169_43 Depth=1
	s_andn2_saveexec_b64 s[10:11], s[0:1]
; %bb.104:                              ;   in Loop: Header=BB169_43 Depth=1
	v_or_b32_e32 v3, 0x10000, v2
	v_cmp_eq_u32_sdwa s[0:1], v2, v19 src0_sel:WORD_0 src1_sel:DWORD
	s_nop 1
	v_cndmask_b32_e64 v35, v3, v2, s[0:1]
; %bb.105:                              ;   in Loop: Header=BB169_43 Depth=1
	s_or_b64 exec, exec, s[10:11]
	v_and_b32_e32 v51, 0xffff0000, v23
	v_lshlrev_b32_e32 v2, 16, v43
	v_mul_f32_e32 v2, v51, v2
	v_and_b32_e32 v3, 0x7f800000, v2
	v_cmp_ne_u32_e64 s[0:1], s14, v3
                                        ; implicit-def: $vgpr43
	s_and_saveexec_b64 s[10:11], s[0:1]
	s_xor_b64 s[0:1], exec, s[10:11]
; %bb.106:                              ;   in Loop: Header=BB169_43 Depth=1
	v_bfe_u32 v3, v2, 16, 1
	v_add3_u32 v43, v2, v3, s15
                                        ; implicit-def: $vgpr2
; %bb.107:                              ;   in Loop: Header=BB169_43 Depth=1
	s_andn2_saveexec_b64 s[10:11], s[0:1]
; %bb.108:                              ;   in Loop: Header=BB169_43 Depth=1
	v_or_b32_e32 v3, 0x10000, v2
	v_cmp_eq_u32_sdwa s[0:1], v2, v19 src0_sel:WORD_0 src1_sel:DWORD
	s_nop 1
	v_cndmask_b32_e64 v43, v3, v2, s[0:1]
; %bb.109:                              ;   in Loop: Header=BB169_43 Depth=1
	s_or_b64 exec, exec, s[10:11]
	global_load_dwordx4 v[2:5], v[8:9], off offset:1024
	s_waitcnt vmcnt(0)
	v_lshrrev_b32_e32 v53, 16, v2
	v_lshrrev_b32_e32 v55, 16, v3
	;; [unrolled: 1-line block ×4, first 2 shown]
	s_and_saveexec_b64 s[10:11], vcc
	s_cbranch_execz .LBB169_111
; %bb.110:                              ;   in Loop: Header=BB169_43 Depth=1
	v_cmp_gt_i32_e64 s[0:1], s33, v36
	s_nop 1
	v_cndmask_b32_e64 v2, 0, v2, s[0:1]
	v_cmp_gt_i32_e64 s[0:1], s33, v42
	s_nop 1
	v_cndmask_b32_e64 v53, 0, v53, s[0:1]
	;; [unrolled: 3-line block ×8, first 2 shown]
.LBB169_111:                            ;   in Loop: Header=BB169_43 Depth=1
	s_or_b64 exec, exec, s[10:11]
	v_lshlrev_b32_e32 v2, 16, v2
	v_mul_f32_e32 v2, v44, v2
	v_and_b32_e32 v52, 0x7f800000, v2
	v_cmp_ne_u32_e64 s[0:1], s14, v52
                                        ; implicit-def: $vgpr52
	s_and_saveexec_b64 s[10:11], s[0:1]
	s_xor_b64 s[0:1], exec, s[10:11]
; %bb.112:                              ;   in Loop: Header=BB169_43 Depth=1
	v_bfe_u32 v52, v2, 16, 1
	v_add3_u32 v52, v2, v52, s15
                                        ; implicit-def: $vgpr2
; %bb.113:                              ;   in Loop: Header=BB169_43 Depth=1
	s_andn2_saveexec_b64 s[10:11], s[0:1]
; %bb.114:                              ;   in Loop: Header=BB169_43 Depth=1
	v_or_b32_e32 v52, 0x10000, v2
	v_cmp_eq_u32_sdwa s[0:1], v2, v19 src0_sel:WORD_0 src1_sel:DWORD
	s_nop 1
	v_cndmask_b32_e64 v52, v52, v2, s[0:1]
; %bb.115:                              ;   in Loop: Header=BB169_43 Depth=1
	s_or_b64 exec, exec, s[10:11]
	v_lshlrev_b32_e32 v2, 16, v53
	v_mul_f32_e32 v2, v45, v2
	v_and_b32_e32 v53, 0x7f800000, v2
	v_cmp_ne_u32_e64 s[0:1], s14, v53
                                        ; implicit-def: $vgpr53
	s_and_saveexec_b64 s[10:11], s[0:1]
	s_xor_b64 s[0:1], exec, s[10:11]
; %bb.116:                              ;   in Loop: Header=BB169_43 Depth=1
	v_bfe_u32 v53, v2, 16, 1
	v_add3_u32 v53, v2, v53, s15
                                        ; implicit-def: $vgpr2
; %bb.117:                              ;   in Loop: Header=BB169_43 Depth=1
	s_andn2_saveexec_b64 s[10:11], s[0:1]
; %bb.118:                              ;   in Loop: Header=BB169_43 Depth=1
	v_or_b32_e32 v53, 0x10000, v2
	v_cmp_eq_u32_sdwa s[0:1], v2, v19 src0_sel:WORD_0 src1_sel:DWORD
	s_nop 1
	v_cndmask_b32_e64 v53, v53, v2, s[0:1]
; %bb.119:                              ;   in Loop: Header=BB169_43 Depth=1
	s_or_b64 exec, exec, s[10:11]
	v_lshlrev_b32_e32 v2, 16, v3
	v_mul_f32_e32 v2, v46, v2
	v_and_b32_e32 v3, 0x7f800000, v2
	v_cmp_ne_u32_e64 s[0:1], s14, v3
                                        ; implicit-def: $vgpr54
	s_and_saveexec_b64 s[10:11], s[0:1]
	s_xor_b64 s[0:1], exec, s[10:11]
; %bb.120:                              ;   in Loop: Header=BB169_43 Depth=1
	v_bfe_u32 v3, v2, 16, 1
	v_add3_u32 v54, v2, v3, s15
                                        ; implicit-def: $vgpr2
; %bb.121:                              ;   in Loop: Header=BB169_43 Depth=1
	s_andn2_saveexec_b64 s[10:11], s[0:1]
; %bb.122:                              ;   in Loop: Header=BB169_43 Depth=1
	v_or_b32_e32 v3, 0x10000, v2
	v_cmp_eq_u32_sdwa s[0:1], v2, v19 src0_sel:WORD_0 src1_sel:DWORD
	s_nop 1
	v_cndmask_b32_e64 v54, v3, v2, s[0:1]
; %bb.123:                              ;   in Loop: Header=BB169_43 Depth=1
	s_or_b64 exec, exec, s[10:11]
	v_lshlrev_b32_e32 v2, 16, v55
	v_mul_f32_e32 v2, v47, v2
	v_and_b32_e32 v3, 0x7f800000, v2
	v_cmp_ne_u32_e64 s[0:1], s14, v3
                                        ; implicit-def: $vgpr55
	s_and_saveexec_b64 s[10:11], s[0:1]
	s_xor_b64 s[0:1], exec, s[10:11]
; %bb.124:                              ;   in Loop: Header=BB169_43 Depth=1
	v_bfe_u32 v3, v2, 16, 1
	v_add3_u32 v55, v2, v3, s15
                                        ; implicit-def: $vgpr2
; %bb.125:                              ;   in Loop: Header=BB169_43 Depth=1
	s_andn2_saveexec_b64 s[10:11], s[0:1]
; %bb.126:                              ;   in Loop: Header=BB169_43 Depth=1
	v_or_b32_e32 v3, 0x10000, v2
	v_cmp_eq_u32_sdwa s[0:1], v2, v19 src0_sel:WORD_0 src1_sel:DWORD
	s_nop 1
	v_cndmask_b32_e64 v55, v3, v2, s[0:1]
; %bb.127:                              ;   in Loop: Header=BB169_43 Depth=1
	s_or_b64 exec, exec, s[10:11]
	v_lshlrev_b32_e32 v2, 16, v4
	v_mul_f32_e32 v2, v48, v2
	v_and_b32_e32 v3, 0x7f800000, v2
	v_cmp_ne_u32_e64 s[0:1], s14, v3
                                        ; implicit-def: $vgpr56
	s_and_saveexec_b64 s[10:11], s[0:1]
	s_xor_b64 s[0:1], exec, s[10:11]
; %bb.128:                              ;   in Loop: Header=BB169_43 Depth=1
	v_bfe_u32 v3, v2, 16, 1
	v_add3_u32 v56, v2, v3, s15
                                        ; implicit-def: $vgpr2
; %bb.129:                              ;   in Loop: Header=BB169_43 Depth=1
	s_andn2_saveexec_b64 s[10:11], s[0:1]
; %bb.130:                              ;   in Loop: Header=BB169_43 Depth=1
	v_or_b32_e32 v3, 0x10000, v2
	v_cmp_eq_u32_sdwa s[0:1], v2, v19 src0_sel:WORD_0 src1_sel:DWORD
	s_nop 1
	v_cndmask_b32_e64 v56, v3, v2, s[0:1]
; %bb.131:                              ;   in Loop: Header=BB169_43 Depth=1
	s_or_b64 exec, exec, s[10:11]
	v_lshlrev_b32_e32 v2, 16, v25
	v_mul_f32_e32 v2, v49, v2
	v_and_b32_e32 v3, 0x7f800000, v2
	v_cmp_ne_u32_e64 s[0:1], s14, v3
                                        ; implicit-def: $vgpr57
	s_and_saveexec_b64 s[10:11], s[0:1]
	s_xor_b64 s[0:1], exec, s[10:11]
; %bb.132:                              ;   in Loop: Header=BB169_43 Depth=1
	v_bfe_u32 v3, v2, 16, 1
	v_add3_u32 v57, v2, v3, s15
                                        ; implicit-def: $vgpr2
; %bb.133:                              ;   in Loop: Header=BB169_43 Depth=1
	s_andn2_saveexec_b64 s[10:11], s[0:1]
; %bb.134:                              ;   in Loop: Header=BB169_43 Depth=1
	v_or_b32_e32 v3, 0x10000, v2
	v_cmp_eq_u32_sdwa s[0:1], v2, v19 src0_sel:WORD_0 src1_sel:DWORD
	s_nop 1
	v_cndmask_b32_e64 v57, v3, v2, s[0:1]
; %bb.135:                              ;   in Loop: Header=BB169_43 Depth=1
	s_or_b64 exec, exec, s[10:11]
	v_lshlrev_b32_e32 v2, 16, v5
	v_mul_f32_e32 v2, v50, v2
	v_and_b32_e32 v3, 0x7f800000, v2
	v_cmp_ne_u32_e64 s[0:1], s14, v3
                                        ; implicit-def: $vgpr58
	s_and_saveexec_b64 s[10:11], s[0:1]
	s_xor_b64 s[0:1], exec, s[10:11]
; %bb.136:                              ;   in Loop: Header=BB169_43 Depth=1
	v_bfe_u32 v3, v2, 16, 1
	v_add3_u32 v58, v2, v3, s15
                                        ; implicit-def: $vgpr2
; %bb.137:                              ;   in Loop: Header=BB169_43 Depth=1
	s_andn2_saveexec_b64 s[10:11], s[0:1]
; %bb.138:                              ;   in Loop: Header=BB169_43 Depth=1
	v_or_b32_e32 v3, 0x10000, v2
	v_cmp_eq_u32_sdwa s[0:1], v2, v19 src0_sel:WORD_0 src1_sel:DWORD
	s_nop 1
	v_cndmask_b32_e64 v58, v3, v2, s[0:1]
; %bb.139:                              ;   in Loop: Header=BB169_43 Depth=1
	s_or_b64 exec, exec, s[10:11]
	v_lshlrev_b32_e32 v2, 16, v23
	v_mul_f32_e32 v2, v51, v2
	v_and_b32_e32 v3, 0x7f800000, v2
	v_cmp_ne_u32_e64 s[0:1], s14, v3
                                        ; implicit-def: $vgpr59
	s_and_saveexec_b64 s[10:11], s[0:1]
	s_xor_b64 s[0:1], exec, s[10:11]
; %bb.140:                              ;   in Loop: Header=BB169_43 Depth=1
	v_bfe_u32 v3, v2, 16, 1
	v_add3_u32 v59, v2, v3, s15
                                        ; implicit-def: $vgpr2
; %bb.141:                              ;   in Loop: Header=BB169_43 Depth=1
	s_andn2_saveexec_b64 s[10:11], s[0:1]
; %bb.142:                              ;   in Loop: Header=BB169_43 Depth=1
	v_or_b32_e32 v3, 0x10000, v2
	v_cmp_eq_u32_sdwa s[0:1], v2, v19 src0_sel:WORD_0 src1_sel:DWORD
	s_nop 1
	v_cndmask_b32_e64 v59, v3, v2, s[0:1]
; %bb.143:                              ;   in Loop: Header=BB169_43 Depth=1
	s_or_b64 exec, exec, s[10:11]
	global_load_dwordx4 v[2:5], v[8:9], off offset:2048
	s_waitcnt vmcnt(0)
	v_lshrrev_b32_e32 v61, 16, v2
	v_lshrrev_b32_e32 v63, 16, v3
	;; [unrolled: 1-line block ×4, first 2 shown]
	s_and_saveexec_b64 s[10:11], vcc
	s_cbranch_execz .LBB169_145
; %bb.144:                              ;   in Loop: Header=BB169_43 Depth=1
	v_cmp_gt_i32_e64 s[0:1], s33, v36
	s_nop 1
	v_cndmask_b32_e64 v2, 0, v2, s[0:1]
	v_cmp_gt_i32_e64 s[0:1], s33, v42
	s_nop 1
	v_cndmask_b32_e64 v61, 0, v61, s[0:1]
	v_cmp_gt_i32_e64 s[0:1], s33, v40
	s_nop 1
	v_cndmask_b32_e64 v3, 0, v3, s[0:1]
	v_cmp_gt_i32_e64 s[0:1], s33, v39
	s_nop 1
	v_cndmask_b32_e64 v63, 0, v63, s[0:1]
	v_cmp_gt_i32_e64 s[0:1], s33, v38
	s_nop 1
	v_cndmask_b32_e64 v4, 0, v4, s[0:1]
	v_cmp_gt_i32_e64 s[0:1], s33, v37
	s_nop 1
	v_cndmask_b32_e64 v25, 0, v25, s[0:1]
	v_cmp_gt_i32_e64 s[0:1], s33, v41
	s_nop 1
	v_cndmask_b32_e64 v5, 0, v5, s[0:1]
	v_cmp_gt_i32_e64 s[0:1], s33, v28
	s_nop 1
	v_cndmask_b32_e64 v23, 0, v23, s[0:1]
.LBB169_145:                            ;   in Loop: Header=BB169_43 Depth=1
	s_or_b64 exec, exec, s[10:11]
	v_lshlrev_b32_e32 v2, 16, v2
	v_mul_f32_e32 v2, v44, v2
	v_and_b32_e32 v60, 0x7f800000, v2
	v_cmp_ne_u32_e64 s[0:1], s14, v60
                                        ; implicit-def: $vgpr60
	s_and_saveexec_b64 s[10:11], s[0:1]
	s_xor_b64 s[0:1], exec, s[10:11]
; %bb.146:                              ;   in Loop: Header=BB169_43 Depth=1
	v_bfe_u32 v60, v2, 16, 1
	v_add3_u32 v60, v2, v60, s15
                                        ; implicit-def: $vgpr2
; %bb.147:                              ;   in Loop: Header=BB169_43 Depth=1
	s_andn2_saveexec_b64 s[10:11], s[0:1]
; %bb.148:                              ;   in Loop: Header=BB169_43 Depth=1
	v_or_b32_e32 v60, 0x10000, v2
	v_cmp_eq_u32_sdwa s[0:1], v2, v19 src0_sel:WORD_0 src1_sel:DWORD
	s_nop 1
	v_cndmask_b32_e64 v60, v60, v2, s[0:1]
; %bb.149:                              ;   in Loop: Header=BB169_43 Depth=1
	s_or_b64 exec, exec, s[10:11]
	v_lshlrev_b32_e32 v2, 16, v61
	v_mul_f32_e32 v2, v45, v2
	v_and_b32_e32 v61, 0x7f800000, v2
	v_cmp_ne_u32_e64 s[0:1], s14, v61
                                        ; implicit-def: $vgpr61
	s_and_saveexec_b64 s[10:11], s[0:1]
	s_xor_b64 s[0:1], exec, s[10:11]
; %bb.150:                              ;   in Loop: Header=BB169_43 Depth=1
	v_bfe_u32 v61, v2, 16, 1
	v_add3_u32 v61, v2, v61, s15
                                        ; implicit-def: $vgpr2
; %bb.151:                              ;   in Loop: Header=BB169_43 Depth=1
	s_andn2_saveexec_b64 s[10:11], s[0:1]
; %bb.152:                              ;   in Loop: Header=BB169_43 Depth=1
	v_or_b32_e32 v61, 0x10000, v2
	v_cmp_eq_u32_sdwa s[0:1], v2, v19 src0_sel:WORD_0 src1_sel:DWORD
	s_nop 1
	v_cndmask_b32_e64 v61, v61, v2, s[0:1]
; %bb.153:                              ;   in Loop: Header=BB169_43 Depth=1
	s_or_b64 exec, exec, s[10:11]
	v_lshlrev_b32_e32 v2, 16, v3
	v_mul_f32_e32 v2, v46, v2
	v_and_b32_e32 v3, 0x7f800000, v2
	v_cmp_ne_u32_e64 s[0:1], s14, v3
                                        ; implicit-def: $vgpr62
	s_and_saveexec_b64 s[10:11], s[0:1]
	s_xor_b64 s[0:1], exec, s[10:11]
; %bb.154:                              ;   in Loop: Header=BB169_43 Depth=1
	v_bfe_u32 v3, v2, 16, 1
	v_add3_u32 v62, v2, v3, s15
                                        ; implicit-def: $vgpr2
; %bb.155:                              ;   in Loop: Header=BB169_43 Depth=1
	s_andn2_saveexec_b64 s[10:11], s[0:1]
; %bb.156:                              ;   in Loop: Header=BB169_43 Depth=1
	v_or_b32_e32 v3, 0x10000, v2
	v_cmp_eq_u32_sdwa s[0:1], v2, v19 src0_sel:WORD_0 src1_sel:DWORD
	s_nop 1
	v_cndmask_b32_e64 v62, v3, v2, s[0:1]
; %bb.157:                              ;   in Loop: Header=BB169_43 Depth=1
	s_or_b64 exec, exec, s[10:11]
	v_lshlrev_b32_e32 v2, 16, v63
	v_mul_f32_e32 v2, v47, v2
	v_and_b32_e32 v3, 0x7f800000, v2
	v_cmp_ne_u32_e64 s[0:1], s14, v3
                                        ; implicit-def: $vgpr63
	s_and_saveexec_b64 s[10:11], s[0:1]
	s_xor_b64 s[0:1], exec, s[10:11]
; %bb.158:                              ;   in Loop: Header=BB169_43 Depth=1
	v_bfe_u32 v3, v2, 16, 1
	v_add3_u32 v63, v2, v3, s15
                                        ; implicit-def: $vgpr2
; %bb.159:                              ;   in Loop: Header=BB169_43 Depth=1
	s_andn2_saveexec_b64 s[10:11], s[0:1]
; %bb.160:                              ;   in Loop: Header=BB169_43 Depth=1
	v_or_b32_e32 v3, 0x10000, v2
	v_cmp_eq_u32_sdwa s[0:1], v2, v19 src0_sel:WORD_0 src1_sel:DWORD
	s_nop 1
	v_cndmask_b32_e64 v63, v3, v2, s[0:1]
; %bb.161:                              ;   in Loop: Header=BB169_43 Depth=1
	s_or_b64 exec, exec, s[10:11]
	v_lshlrev_b32_e32 v2, 16, v4
	v_mul_f32_e32 v2, v48, v2
	v_and_b32_e32 v3, 0x7f800000, v2
	v_cmp_ne_u32_e64 s[0:1], s14, v3
                                        ; implicit-def: $vgpr64
	s_and_saveexec_b64 s[10:11], s[0:1]
	s_xor_b64 s[0:1], exec, s[10:11]
; %bb.162:                              ;   in Loop: Header=BB169_43 Depth=1
	v_bfe_u32 v3, v2, 16, 1
	v_add3_u32 v64, v2, v3, s15
                                        ; implicit-def: $vgpr2
; %bb.163:                              ;   in Loop: Header=BB169_43 Depth=1
	s_andn2_saveexec_b64 s[10:11], s[0:1]
; %bb.164:                              ;   in Loop: Header=BB169_43 Depth=1
	v_or_b32_e32 v3, 0x10000, v2
	v_cmp_eq_u32_sdwa s[0:1], v2, v19 src0_sel:WORD_0 src1_sel:DWORD
	s_nop 1
	v_cndmask_b32_e64 v64, v3, v2, s[0:1]
; %bb.165:                              ;   in Loop: Header=BB169_43 Depth=1
	s_or_b64 exec, exec, s[10:11]
	v_lshlrev_b32_e32 v2, 16, v25
	v_mul_f32_e32 v2, v49, v2
	v_and_b32_e32 v3, 0x7f800000, v2
	v_cmp_ne_u32_e64 s[0:1], s14, v3
                                        ; implicit-def: $vgpr65
	s_and_saveexec_b64 s[10:11], s[0:1]
	s_xor_b64 s[0:1], exec, s[10:11]
; %bb.166:                              ;   in Loop: Header=BB169_43 Depth=1
	v_bfe_u32 v3, v2, 16, 1
	v_add3_u32 v65, v2, v3, s15
                                        ; implicit-def: $vgpr2
; %bb.167:                              ;   in Loop: Header=BB169_43 Depth=1
	s_andn2_saveexec_b64 s[10:11], s[0:1]
; %bb.168:                              ;   in Loop: Header=BB169_43 Depth=1
	v_or_b32_e32 v3, 0x10000, v2
	v_cmp_eq_u32_sdwa s[0:1], v2, v19 src0_sel:WORD_0 src1_sel:DWORD
	s_nop 1
	v_cndmask_b32_e64 v65, v3, v2, s[0:1]
; %bb.169:                              ;   in Loop: Header=BB169_43 Depth=1
	s_or_b64 exec, exec, s[10:11]
	v_lshlrev_b32_e32 v2, 16, v5
	v_mul_f32_e32 v2, v50, v2
	v_and_b32_e32 v3, 0x7f800000, v2
	v_cmp_ne_u32_e64 s[0:1], s14, v3
                                        ; implicit-def: $vgpr66
	s_and_saveexec_b64 s[10:11], s[0:1]
	s_xor_b64 s[0:1], exec, s[10:11]
; %bb.170:                              ;   in Loop: Header=BB169_43 Depth=1
	v_bfe_u32 v3, v2, 16, 1
	v_add3_u32 v66, v2, v3, s15
                                        ; implicit-def: $vgpr2
; %bb.171:                              ;   in Loop: Header=BB169_43 Depth=1
	s_andn2_saveexec_b64 s[10:11], s[0:1]
; %bb.172:                              ;   in Loop: Header=BB169_43 Depth=1
	v_or_b32_e32 v3, 0x10000, v2
	v_cmp_eq_u32_sdwa s[0:1], v2, v19 src0_sel:WORD_0 src1_sel:DWORD
	s_nop 1
	v_cndmask_b32_e64 v66, v3, v2, s[0:1]
; %bb.173:                              ;   in Loop: Header=BB169_43 Depth=1
	s_or_b64 exec, exec, s[10:11]
	v_lshlrev_b32_e32 v2, 16, v23
	v_mul_f32_e32 v2, v51, v2
	v_and_b32_e32 v3, 0x7f800000, v2
	v_cmp_ne_u32_e64 s[0:1], s14, v3
                                        ; implicit-def: $vgpr67
	s_and_saveexec_b64 s[10:11], s[0:1]
	s_xor_b64 s[0:1], exec, s[10:11]
; %bb.174:                              ;   in Loop: Header=BB169_43 Depth=1
	v_bfe_u32 v3, v2, 16, 1
	v_add3_u32 v67, v2, v3, s15
                                        ; implicit-def: $vgpr2
; %bb.175:                              ;   in Loop: Header=BB169_43 Depth=1
	s_andn2_saveexec_b64 s[10:11], s[0:1]
; %bb.176:                              ;   in Loop: Header=BB169_43 Depth=1
	v_or_b32_e32 v3, 0x10000, v2
	v_cmp_eq_u32_sdwa s[0:1], v2, v19 src0_sel:WORD_0 src1_sel:DWORD
	s_nop 1
	v_cndmask_b32_e64 v67, v3, v2, s[0:1]
; %bb.177:                              ;   in Loop: Header=BB169_43 Depth=1
	s_or_b64 exec, exec, s[10:11]
	global_load_dwordx4 v[2:5], v[8:9], off offset:3072
	s_waitcnt vmcnt(0)
	v_lshrrev_b32_e32 v9, 16, v2
	v_lshrrev_b32_e32 v69, 16, v3
	;; [unrolled: 1-line block ×4, first 2 shown]
	s_and_saveexec_b64 s[10:11], vcc
	s_cbranch_execz .LBB169_179
; %bb.178:                              ;   in Loop: Header=BB169_43 Depth=1
	v_cmp_gt_i32_e64 s[0:1], s33, v36
	s_nop 1
	v_cndmask_b32_e64 v2, 0, v2, s[0:1]
	v_cmp_gt_i32_e64 s[0:1], s33, v42
	s_nop 1
	v_cndmask_b32_e64 v9, 0, v9, s[0:1]
	;; [unrolled: 3-line block ×8, first 2 shown]
.LBB169_179:                            ;   in Loop: Header=BB169_43 Depth=1
	s_or_b64 exec, exec, s[10:11]
	v_lshlrev_b32_e32 v2, 16, v2
	v_mul_f32_e32 v2, v44, v2
	v_and_b32_e32 v8, 0x7f800000, v2
	v_cmp_ne_u32_e64 s[0:1], s14, v8
                                        ; implicit-def: $vgpr8
	s_and_saveexec_b64 s[10:11], s[0:1]
	s_xor_b64 s[0:1], exec, s[10:11]
; %bb.180:                              ;   in Loop: Header=BB169_43 Depth=1
	v_bfe_u32 v8, v2, 16, 1
	v_add3_u32 v8, v2, v8, s15
                                        ; implicit-def: $vgpr2
; %bb.181:                              ;   in Loop: Header=BB169_43 Depth=1
	s_andn2_saveexec_b64 s[10:11], s[0:1]
; %bb.182:                              ;   in Loop: Header=BB169_43 Depth=1
	v_or_b32_e32 v8, 0x10000, v2
	v_cmp_eq_u32_sdwa s[0:1], v2, v19 src0_sel:WORD_0 src1_sel:DWORD
	s_nop 1
	v_cndmask_b32_e64 v8, v8, v2, s[0:1]
; %bb.183:                              ;   in Loop: Header=BB169_43 Depth=1
	s_or_b64 exec, exec, s[10:11]
	v_lshlrev_b32_e32 v2, 16, v9
	v_mul_f32_e32 v2, v45, v2
	v_and_b32_e32 v9, 0x7f800000, v2
	v_cmp_ne_u32_e64 s[0:1], s14, v9
                                        ; implicit-def: $vgpr9
	s_and_saveexec_b64 s[10:11], s[0:1]
	s_xor_b64 s[0:1], exec, s[10:11]
; %bb.184:                              ;   in Loop: Header=BB169_43 Depth=1
	v_bfe_u32 v9, v2, 16, 1
	v_add3_u32 v9, v2, v9, s15
                                        ; implicit-def: $vgpr2
; %bb.185:                              ;   in Loop: Header=BB169_43 Depth=1
	s_andn2_saveexec_b64 s[10:11], s[0:1]
; %bb.186:                              ;   in Loop: Header=BB169_43 Depth=1
	v_or_b32_e32 v9, 0x10000, v2
	v_cmp_eq_u32_sdwa s[0:1], v2, v19 src0_sel:WORD_0 src1_sel:DWORD
	s_nop 1
	v_cndmask_b32_e64 v9, v9, v2, s[0:1]
; %bb.187:                              ;   in Loop: Header=BB169_43 Depth=1
	s_or_b64 exec, exec, s[10:11]
	v_lshlrev_b32_e32 v2, 16, v3
	v_mul_f32_e32 v2, v46, v2
	v_and_b32_e32 v3, 0x7f800000, v2
	v_cmp_ne_u32_e64 s[0:1], s14, v3
                                        ; implicit-def: $vgpr68
	s_and_saveexec_b64 s[10:11], s[0:1]
	s_xor_b64 s[0:1], exec, s[10:11]
; %bb.188:                              ;   in Loop: Header=BB169_43 Depth=1
	v_bfe_u32 v3, v2, 16, 1
	v_add3_u32 v68, v2, v3, s15
                                        ; implicit-def: $vgpr2
; %bb.189:                              ;   in Loop: Header=BB169_43 Depth=1
	s_andn2_saveexec_b64 s[10:11], s[0:1]
; %bb.190:                              ;   in Loop: Header=BB169_43 Depth=1
	v_or_b32_e32 v3, 0x10000, v2
	v_cmp_eq_u32_sdwa s[0:1], v2, v19 src0_sel:WORD_0 src1_sel:DWORD
	s_nop 1
	v_cndmask_b32_e64 v68, v3, v2, s[0:1]
; %bb.191:                              ;   in Loop: Header=BB169_43 Depth=1
	s_or_b64 exec, exec, s[10:11]
	v_lshlrev_b32_e32 v2, 16, v69
	v_mul_f32_e32 v2, v47, v2
	v_and_b32_e32 v3, 0x7f800000, v2
	v_cmp_ne_u32_e64 s[0:1], s14, v3
                                        ; implicit-def: $vgpr69
	s_and_saveexec_b64 s[10:11], s[0:1]
	s_xor_b64 s[0:1], exec, s[10:11]
; %bb.192:                              ;   in Loop: Header=BB169_43 Depth=1
	v_bfe_u32 v3, v2, 16, 1
	v_add3_u32 v69, v2, v3, s15
                                        ; implicit-def: $vgpr2
; %bb.193:                              ;   in Loop: Header=BB169_43 Depth=1
	s_andn2_saveexec_b64 s[10:11], s[0:1]
; %bb.194:                              ;   in Loop: Header=BB169_43 Depth=1
	v_or_b32_e32 v3, 0x10000, v2
	v_cmp_eq_u32_sdwa s[0:1], v2, v19 src0_sel:WORD_0 src1_sel:DWORD
	s_nop 1
	v_cndmask_b32_e64 v69, v3, v2, s[0:1]
; %bb.195:                              ;   in Loop: Header=BB169_43 Depth=1
	s_or_b64 exec, exec, s[10:11]
	v_lshlrev_b32_e32 v2, 16, v4
	v_mul_f32_e32 v2, v48, v2
	v_and_b32_e32 v3, 0x7f800000, v2
	v_cmp_ne_u32_e64 s[0:1], s14, v3
                                        ; implicit-def: $vgpr70
	s_and_saveexec_b64 s[10:11], s[0:1]
	s_xor_b64 s[0:1], exec, s[10:11]
; %bb.196:                              ;   in Loop: Header=BB169_43 Depth=1
	v_bfe_u32 v3, v2, 16, 1
	v_add3_u32 v70, v2, v3, s15
                                        ; implicit-def: $vgpr2
; %bb.197:                              ;   in Loop: Header=BB169_43 Depth=1
	s_andn2_saveexec_b64 s[10:11], s[0:1]
; %bb.198:                              ;   in Loop: Header=BB169_43 Depth=1
	v_or_b32_e32 v3, 0x10000, v2
	v_cmp_eq_u32_sdwa s[0:1], v2, v19 src0_sel:WORD_0 src1_sel:DWORD
	s_nop 1
	v_cndmask_b32_e64 v70, v3, v2, s[0:1]
; %bb.199:                              ;   in Loop: Header=BB169_43 Depth=1
	s_or_b64 exec, exec, s[10:11]
	v_lshlrev_b32_e32 v2, 16, v25
	v_mul_f32_e32 v2, v49, v2
	v_and_b32_e32 v3, 0x7f800000, v2
	v_cmp_ne_u32_e64 s[0:1], s14, v3
                                        ; implicit-def: $vgpr71
	s_and_saveexec_b64 s[10:11], s[0:1]
	s_xor_b64 s[0:1], exec, s[10:11]
; %bb.200:                              ;   in Loop: Header=BB169_43 Depth=1
	v_bfe_u32 v3, v2, 16, 1
	v_add3_u32 v71, v2, v3, s15
                                        ; implicit-def: $vgpr2
; %bb.201:                              ;   in Loop: Header=BB169_43 Depth=1
	s_andn2_saveexec_b64 s[10:11], s[0:1]
; %bb.202:                              ;   in Loop: Header=BB169_43 Depth=1
	v_or_b32_e32 v3, 0x10000, v2
	v_cmp_eq_u32_sdwa s[0:1], v2, v19 src0_sel:WORD_0 src1_sel:DWORD
	s_nop 1
	v_cndmask_b32_e64 v71, v3, v2, s[0:1]
; %bb.203:                              ;   in Loop: Header=BB169_43 Depth=1
	s_or_b64 exec, exec, s[10:11]
	v_lshlrev_b32_e32 v2, 16, v5
	v_mul_f32_e32 v2, v50, v2
	v_and_b32_e32 v3, 0x7f800000, v2
	v_cmp_ne_u32_e64 s[0:1], s14, v3
                                        ; implicit-def: $vgpr72
	s_and_saveexec_b64 s[10:11], s[0:1]
	s_xor_b64 s[0:1], exec, s[10:11]
; %bb.204:                              ;   in Loop: Header=BB169_43 Depth=1
	v_bfe_u32 v3, v2, 16, 1
	v_add3_u32 v72, v2, v3, s15
                                        ; implicit-def: $vgpr2
; %bb.205:                              ;   in Loop: Header=BB169_43 Depth=1
	s_andn2_saveexec_b64 s[10:11], s[0:1]
; %bb.206:                              ;   in Loop: Header=BB169_43 Depth=1
	v_or_b32_e32 v3, 0x10000, v2
	v_cmp_eq_u32_sdwa s[0:1], v2, v19 src0_sel:WORD_0 src1_sel:DWORD
	s_nop 1
	v_cndmask_b32_e64 v72, v3, v2, s[0:1]
; %bb.207:                              ;   in Loop: Header=BB169_43 Depth=1
	s_or_b64 exec, exec, s[10:11]
	v_lshlrev_b32_e32 v2, 16, v23
	v_mul_f32_e32 v2, v51, v2
	v_and_b32_e32 v3, 0x7f800000, v2
	v_cmp_ne_u32_e64 s[0:1], s14, v3
                                        ; implicit-def: $vgpr73
	s_and_saveexec_b64 s[10:11], s[0:1]
	s_xor_b64 s[0:1], exec, s[10:11]
; %bb.208:                              ;   in Loop: Header=BB169_43 Depth=1
	v_bfe_u32 v3, v2, 16, 1
	v_add3_u32 v73, v2, v3, s15
                                        ; implicit-def: $vgpr2
; %bb.209:                              ;   in Loop: Header=BB169_43 Depth=1
	s_andn2_saveexec_b64 s[10:11], s[0:1]
; %bb.210:                              ;   in Loop: Header=BB169_43 Depth=1
	v_or_b32_e32 v3, 0x10000, v2
	v_cmp_eq_u32_sdwa s[0:1], v2, v19 src0_sel:WORD_0 src1_sel:DWORD
	s_nop 1
	v_cndmask_b32_e64 v73, v3, v2, s[0:1]
; %bb.211:                              ;   in Loop: Header=BB169_43 Depth=1
	s_or_b64 exec, exec, s[10:11]
	v_mov_b32_e32 v23, v19
	v_lshl_add_u64 v[2:3], v[6:7], 0, v[22:23]
	global_load_dwordx4 v[2:5], v[2:3], off
	s_waitcnt vmcnt(0)
	v_lshrrev_b32_e32 v74, 16, v2
	v_lshrrev_b32_e32 v76, 16, v3
	;; [unrolled: 1-line block ×4, first 2 shown]
	s_and_saveexec_b64 s[10:11], vcc
	s_cbranch_execz .LBB169_213
; %bb.212:                              ;   in Loop: Header=BB169_43 Depth=1
	v_cmp_gt_i32_e64 s[0:1], s33, v36
	s_nop 1
	v_cndmask_b32_e64 v2, 0, v2, s[0:1]
	v_cmp_gt_i32_e64 s[0:1], s33, v42
	s_nop 1
	v_cndmask_b32_e64 v74, 0, v74, s[0:1]
	;; [unrolled: 3-line block ×8, first 2 shown]
.LBB169_213:                            ;   in Loop: Header=BB169_43 Depth=1
	s_or_b64 exec, exec, s[10:11]
	v_lshlrev_b32_e32 v2, 16, v2
	v_mul_f32_e32 v2, v44, v2
	v_and_b32_e32 v23, 0x7f800000, v2
	v_cmp_ne_u32_e64 s[0:1], s14, v23
                                        ; implicit-def: $vgpr23
	s_and_saveexec_b64 s[10:11], s[0:1]
	s_xor_b64 s[0:1], exec, s[10:11]
; %bb.214:                              ;   in Loop: Header=BB169_43 Depth=1
	v_bfe_u32 v23, v2, 16, 1
	v_add3_u32 v23, v2, v23, s15
                                        ; implicit-def: $vgpr2
; %bb.215:                              ;   in Loop: Header=BB169_43 Depth=1
	s_andn2_saveexec_b64 s[10:11], s[0:1]
; %bb.216:                              ;   in Loop: Header=BB169_43 Depth=1
	v_or_b32_e32 v23, 0x10000, v2
	v_cmp_eq_u32_sdwa s[0:1], v2, v19 src0_sel:WORD_0 src1_sel:DWORD
	s_nop 1
	v_cndmask_b32_e64 v23, v23, v2, s[0:1]
; %bb.217:                              ;   in Loop: Header=BB169_43 Depth=1
	s_or_b64 exec, exec, s[10:11]
	v_lshlrev_b32_e32 v2, 16, v74
	v_mul_f32_e32 v2, v45, v2
	v_and_b32_e32 v74, 0x7f800000, v2
	v_cmp_ne_u32_e64 s[0:1], s14, v74
                                        ; implicit-def: $vgpr74
	s_and_saveexec_b64 s[10:11], s[0:1]
	s_xor_b64 s[0:1], exec, s[10:11]
; %bb.218:                              ;   in Loop: Header=BB169_43 Depth=1
	v_bfe_u32 v74, v2, 16, 1
	v_add3_u32 v74, v2, v74, s15
                                        ; implicit-def: $vgpr2
; %bb.219:                              ;   in Loop: Header=BB169_43 Depth=1
	s_andn2_saveexec_b64 s[10:11], s[0:1]
; %bb.220:                              ;   in Loop: Header=BB169_43 Depth=1
	v_or_b32_e32 v74, 0x10000, v2
	v_cmp_eq_u32_sdwa s[0:1], v2, v19 src0_sel:WORD_0 src1_sel:DWORD
	s_nop 1
	v_cndmask_b32_e64 v74, v74, v2, s[0:1]
; %bb.221:                              ;   in Loop: Header=BB169_43 Depth=1
	s_or_b64 exec, exec, s[10:11]
	v_lshlrev_b32_e32 v2, 16, v3
	v_mul_f32_e32 v2, v46, v2
	v_and_b32_e32 v3, 0x7f800000, v2
	v_cmp_ne_u32_e64 s[0:1], s14, v3
                                        ; implicit-def: $vgpr75
	s_and_saveexec_b64 s[10:11], s[0:1]
	s_xor_b64 s[0:1], exec, s[10:11]
; %bb.222:                              ;   in Loop: Header=BB169_43 Depth=1
	v_bfe_u32 v3, v2, 16, 1
	v_add3_u32 v75, v2, v3, s15
                                        ; implicit-def: $vgpr2
; %bb.223:                              ;   in Loop: Header=BB169_43 Depth=1
	s_andn2_saveexec_b64 s[10:11], s[0:1]
; %bb.224:                              ;   in Loop: Header=BB169_43 Depth=1
	v_or_b32_e32 v3, 0x10000, v2
	v_cmp_eq_u32_sdwa s[0:1], v2, v19 src0_sel:WORD_0 src1_sel:DWORD
	s_nop 1
	v_cndmask_b32_e64 v75, v3, v2, s[0:1]
; %bb.225:                              ;   in Loop: Header=BB169_43 Depth=1
	s_or_b64 exec, exec, s[10:11]
	v_lshlrev_b32_e32 v2, 16, v76
	v_mul_f32_e32 v2, v47, v2
	v_and_b32_e32 v3, 0x7f800000, v2
	v_cmp_ne_u32_e64 s[0:1], s14, v3
                                        ; implicit-def: $vgpr76
	s_and_saveexec_b64 s[10:11], s[0:1]
	s_xor_b64 s[0:1], exec, s[10:11]
; %bb.226:                              ;   in Loop: Header=BB169_43 Depth=1
	v_bfe_u32 v3, v2, 16, 1
	v_add3_u32 v76, v2, v3, s15
                                        ; implicit-def: $vgpr2
; %bb.227:                              ;   in Loop: Header=BB169_43 Depth=1
	s_andn2_saveexec_b64 s[10:11], s[0:1]
; %bb.228:                              ;   in Loop: Header=BB169_43 Depth=1
	v_or_b32_e32 v3, 0x10000, v2
	v_cmp_eq_u32_sdwa s[0:1], v2, v19 src0_sel:WORD_0 src1_sel:DWORD
	s_nop 1
	v_cndmask_b32_e64 v76, v3, v2, s[0:1]
; %bb.229:                              ;   in Loop: Header=BB169_43 Depth=1
	s_or_b64 exec, exec, s[10:11]
	v_lshlrev_b32_e32 v2, 16, v4
	v_mul_f32_e32 v2, v48, v2
	v_and_b32_e32 v3, 0x7f800000, v2
	v_cmp_ne_u32_e64 s[0:1], s14, v3
                                        ; implicit-def: $vgpr77
	s_and_saveexec_b64 s[10:11], s[0:1]
	s_xor_b64 s[0:1], exec, s[10:11]
; %bb.230:                              ;   in Loop: Header=BB169_43 Depth=1
	v_bfe_u32 v3, v2, 16, 1
	v_add3_u32 v77, v2, v3, s15
                                        ; implicit-def: $vgpr2
; %bb.231:                              ;   in Loop: Header=BB169_43 Depth=1
	s_andn2_saveexec_b64 s[10:11], s[0:1]
; %bb.232:                              ;   in Loop: Header=BB169_43 Depth=1
	v_or_b32_e32 v3, 0x10000, v2
	v_cmp_eq_u32_sdwa s[0:1], v2, v19 src0_sel:WORD_0 src1_sel:DWORD
	s_nop 1
	v_cndmask_b32_e64 v77, v3, v2, s[0:1]
; %bb.233:                              ;   in Loop: Header=BB169_43 Depth=1
	s_or_b64 exec, exec, s[10:11]
	v_lshlrev_b32_e32 v2, 16, v78
	v_mul_f32_e32 v2, v49, v2
	v_and_b32_e32 v3, 0x7f800000, v2
	v_cmp_ne_u32_e64 s[0:1], s14, v3
                                        ; implicit-def: $vgpr78
	s_and_saveexec_b64 s[10:11], s[0:1]
	s_xor_b64 s[0:1], exec, s[10:11]
; %bb.234:                              ;   in Loop: Header=BB169_43 Depth=1
	v_bfe_u32 v3, v2, 16, 1
	v_add3_u32 v78, v2, v3, s15
                                        ; implicit-def: $vgpr2
; %bb.235:                              ;   in Loop: Header=BB169_43 Depth=1
	s_andn2_saveexec_b64 s[10:11], s[0:1]
; %bb.236:                              ;   in Loop: Header=BB169_43 Depth=1
	v_or_b32_e32 v3, 0x10000, v2
	v_cmp_eq_u32_sdwa s[0:1], v2, v19 src0_sel:WORD_0 src1_sel:DWORD
	s_nop 1
	v_cndmask_b32_e64 v78, v3, v2, s[0:1]
; %bb.237:                              ;   in Loop: Header=BB169_43 Depth=1
	s_or_b64 exec, exec, s[10:11]
	v_lshlrev_b32_e32 v2, 16, v5
	v_mul_f32_e32 v2, v50, v2
	v_and_b32_e32 v3, 0x7f800000, v2
	v_cmp_ne_u32_e64 s[0:1], s14, v3
                                        ; implicit-def: $vgpr79
	s_and_saveexec_b64 s[10:11], s[0:1]
	s_xor_b64 s[0:1], exec, s[10:11]
; %bb.238:                              ;   in Loop: Header=BB169_43 Depth=1
	v_bfe_u32 v3, v2, 16, 1
	v_add3_u32 v79, v2, v3, s15
                                        ; implicit-def: $vgpr2
; %bb.239:                              ;   in Loop: Header=BB169_43 Depth=1
	s_andn2_saveexec_b64 s[10:11], s[0:1]
; %bb.240:                              ;   in Loop: Header=BB169_43 Depth=1
	v_or_b32_e32 v3, 0x10000, v2
	v_cmp_eq_u32_sdwa s[0:1], v2, v19 src0_sel:WORD_0 src1_sel:DWORD
	s_nop 1
	v_cndmask_b32_e64 v79, v3, v2, s[0:1]
; %bb.241:                              ;   in Loop: Header=BB169_43 Depth=1
	s_or_b64 exec, exec, s[10:11]
	v_lshlrev_b32_e32 v2, 16, v25
	v_mul_f32_e32 v2, v51, v2
	v_and_b32_e32 v3, 0x7f800000, v2
	v_cmp_ne_u32_e64 s[0:1], s14, v3
                                        ; implicit-def: $vgpr80
	s_and_saveexec_b64 s[10:11], s[0:1]
	s_xor_b64 s[0:1], exec, s[10:11]
; %bb.242:                              ;   in Loop: Header=BB169_43 Depth=1
	v_bfe_u32 v3, v2, 16, 1
	v_add3_u32 v80, v2, v3, s15
                                        ; implicit-def: $vgpr2
; %bb.243:                              ;   in Loop: Header=BB169_43 Depth=1
	s_andn2_saveexec_b64 s[10:11], s[0:1]
; %bb.244:                              ;   in Loop: Header=BB169_43 Depth=1
	v_or_b32_e32 v3, 0x10000, v2
	v_cmp_eq_u32_sdwa s[0:1], v2, v19 src0_sel:WORD_0 src1_sel:DWORD
	s_nop 1
	v_cndmask_b32_e64 v80, v3, v2, s[0:1]
; %bb.245:                              ;   in Loop: Header=BB169_43 Depth=1
	s_or_b64 exec, exec, s[10:11]
	v_mov_b32_e32 v25, v19
	v_lshl_add_u64 v[2:3], v[6:7], 0, v[24:25]
	global_load_dwordx4 v[2:5], v[2:3], off
	s_waitcnt vmcnt(0)
	v_lshrrev_b32_e32 v6, 16, v2
	v_lshrrev_b32_e32 v25, 16, v3
	;; [unrolled: 1-line block ×4, first 2 shown]
	s_and_saveexec_b64 s[0:1], vcc
	s_cbranch_execz .LBB169_247
; %bb.246:                              ;   in Loop: Header=BB169_43 Depth=1
	v_cmp_gt_i32_e32 vcc, s33, v36
	s_nop 1
	v_cndmask_b32_e32 v2, 0, v2, vcc
	v_cmp_gt_i32_e32 vcc, s33, v42
	s_nop 1
	v_cndmask_b32_e32 v6, 0, v6, vcc
	;; [unrolled: 3-line block ×8, first 2 shown]
.LBB169_247:                            ;   in Loop: Header=BB169_43 Depth=1
	s_or_b64 exec, exec, s[0:1]
	v_lshlrev_b32_e32 v2, 16, v2
	v_mul_f32_e32 v36, v44, v2
	v_and_b32_e32 v2, 0x7f800000, v36
	v_cmp_ne_u32_e32 vcc, s14, v2
                                        ; implicit-def: $vgpr2
	s_and_saveexec_b64 s[0:1], vcc
	s_xor_b64 s[0:1], exec, s[0:1]
; %bb.248:                              ;   in Loop: Header=BB169_43 Depth=1
	v_bfe_u32 v2, v36, 16, 1
	v_add3_u32 v2, v36, v2, s15
                                        ; implicit-def: $vgpr36
; %bb.249:                              ;   in Loop: Header=BB169_43 Depth=1
	s_andn2_saveexec_b64 s[0:1], s[0:1]
; %bb.250:                              ;   in Loop: Header=BB169_43 Depth=1
	v_or_b32_e32 v2, 0x10000, v36
	v_cmp_eq_u32_sdwa vcc, v36, v19 src0_sel:WORD_0 src1_sel:DWORD
	s_nop 1
	v_cndmask_b32_e32 v2, v2, v36, vcc
; %bb.251:                              ;   in Loop: Header=BB169_43 Depth=1
	s_or_b64 exec, exec, s[0:1]
	v_lshlrev_b32_e32 v6, 16, v6
	v_mul_f32_e32 v36, v45, v6
	v_and_b32_e32 v6, 0x7f800000, v36
	v_cmp_ne_u32_e32 vcc, s14, v6
                                        ; implicit-def: $vgpr6
	s_and_saveexec_b64 s[0:1], vcc
	s_xor_b64 s[0:1], exec, s[0:1]
; %bb.252:                              ;   in Loop: Header=BB169_43 Depth=1
	v_bfe_u32 v6, v36, 16, 1
	v_add3_u32 v6, v36, v6, s15
                                        ; implicit-def: $vgpr36
; %bb.253:                              ;   in Loop: Header=BB169_43 Depth=1
	s_andn2_saveexec_b64 s[0:1], s[0:1]
; %bb.254:                              ;   in Loop: Header=BB169_43 Depth=1
	v_or_b32_e32 v6, 0x10000, v36
	v_cmp_eq_u32_sdwa vcc, v36, v19 src0_sel:WORD_0 src1_sel:DWORD
	s_nop 1
	v_cndmask_b32_e32 v6, v6, v36, vcc
; %bb.255:                              ;   in Loop: Header=BB169_43 Depth=1
	s_or_b64 exec, exec, s[0:1]
	v_lshlrev_b32_e32 v3, 16, v3
	v_mul_f32_e32 v36, v46, v3
	v_and_b32_e32 v3, 0x7f800000, v36
	v_cmp_ne_u32_e32 vcc, s14, v3
                                        ; implicit-def: $vgpr3
	s_and_saveexec_b64 s[0:1], vcc
	s_xor_b64 s[0:1], exec, s[0:1]
; %bb.256:                              ;   in Loop: Header=BB169_43 Depth=1
	v_bfe_u32 v3, v36, 16, 1
	v_add3_u32 v3, v36, v3, s15
                                        ; implicit-def: $vgpr36
; %bb.257:                              ;   in Loop: Header=BB169_43 Depth=1
	s_andn2_saveexec_b64 s[0:1], s[0:1]
; %bb.258:                              ;   in Loop: Header=BB169_43 Depth=1
	v_or_b32_e32 v3, 0x10000, v36
	v_cmp_eq_u32_sdwa vcc, v36, v19 src0_sel:WORD_0 src1_sel:DWORD
	s_nop 1
	v_cndmask_b32_e32 v3, v3, v36, vcc
; %bb.259:                              ;   in Loop: Header=BB169_43 Depth=1
	s_or_b64 exec, exec, s[0:1]
	v_lshlrev_b32_e32 v25, 16, v25
	v_mul_f32_e32 v36, v47, v25
	v_and_b32_e32 v25, 0x7f800000, v36
	v_cmp_ne_u32_e32 vcc, s14, v25
                                        ; implicit-def: $vgpr25
	s_and_saveexec_b64 s[0:1], vcc
	s_xor_b64 s[0:1], exec, s[0:1]
; %bb.260:                              ;   in Loop: Header=BB169_43 Depth=1
	v_bfe_u32 v25, v36, 16, 1
	v_add3_u32 v25, v36, v25, s15
                                        ; implicit-def: $vgpr36
; %bb.261:                              ;   in Loop: Header=BB169_43 Depth=1
	s_andn2_saveexec_b64 s[0:1], s[0:1]
; %bb.262:                              ;   in Loop: Header=BB169_43 Depth=1
	v_or_b32_e32 v25, 0x10000, v36
	v_cmp_eq_u32_sdwa vcc, v36, v19 src0_sel:WORD_0 src1_sel:DWORD
	s_nop 1
	v_cndmask_b32_e32 v25, v25, v36, vcc
; %bb.263:                              ;   in Loop: Header=BB169_43 Depth=1
	s_or_b64 exec, exec, s[0:1]
	v_lshlrev_b32_e32 v4, 16, v4
	v_mul_f32_e32 v36, v48, v4
	v_and_b32_e32 v4, 0x7f800000, v36
	v_cmp_ne_u32_e32 vcc, s14, v4
                                        ; implicit-def: $vgpr4
	s_and_saveexec_b64 s[0:1], vcc
	s_xor_b64 s[0:1], exec, s[0:1]
; %bb.264:                              ;   in Loop: Header=BB169_43 Depth=1
	v_bfe_u32 v4, v36, 16, 1
	v_add3_u32 v4, v36, v4, s15
                                        ; implicit-def: $vgpr36
; %bb.265:                              ;   in Loop: Header=BB169_43 Depth=1
	s_andn2_saveexec_b64 s[0:1], s[0:1]
; %bb.266:                              ;   in Loop: Header=BB169_43 Depth=1
	v_or_b32_e32 v4, 0x10000, v36
	v_cmp_eq_u32_sdwa vcc, v36, v19 src0_sel:WORD_0 src1_sel:DWORD
	s_nop 1
	v_cndmask_b32_e32 v4, v4, v36, vcc
; %bb.267:                              ;   in Loop: Header=BB169_43 Depth=1
	s_or_b64 exec, exec, s[0:1]
	v_lshlrev_b32_e32 v36, 16, v81
	v_mul_f32_e32 v37, v49, v36
	v_and_b32_e32 v36, 0x7f800000, v37
	v_cmp_ne_u32_e32 vcc, s14, v36
                                        ; implicit-def: $vgpr36
	s_and_saveexec_b64 s[0:1], vcc
	s_xor_b64 s[0:1], exec, s[0:1]
; %bb.268:                              ;   in Loop: Header=BB169_43 Depth=1
	v_bfe_u32 v36, v37, 16, 1
	v_add3_u32 v36, v37, v36, s15
                                        ; implicit-def: $vgpr37
; %bb.269:                              ;   in Loop: Header=BB169_43 Depth=1
	s_andn2_saveexec_b64 s[0:1], s[0:1]
; %bb.270:                              ;   in Loop: Header=BB169_43 Depth=1
	v_or_b32_e32 v36, 0x10000, v37
	v_cmp_eq_u32_sdwa vcc, v37, v19 src0_sel:WORD_0 src1_sel:DWORD
	s_nop 1
	v_cndmask_b32_e32 v36, v36, v37, vcc
; %bb.271:                              ;   in Loop: Header=BB169_43 Depth=1
	s_or_b64 exec, exec, s[0:1]
	v_lshlrev_b32_e32 v5, 16, v5
	v_mul_f32_e32 v37, v50, v5
	v_and_b32_e32 v5, 0x7f800000, v37
	v_cmp_ne_u32_e32 vcc, s14, v5
                                        ; implicit-def: $vgpr5
	s_and_saveexec_b64 s[0:1], vcc
	s_xor_b64 s[0:1], exec, s[0:1]
; %bb.272:                              ;   in Loop: Header=BB169_43 Depth=1
	v_bfe_u32 v5, v37, 16, 1
	v_add3_u32 v5, v37, v5, s15
                                        ; implicit-def: $vgpr37
; %bb.273:                              ;   in Loop: Header=BB169_43 Depth=1
	s_andn2_saveexec_b64 s[0:1], s[0:1]
; %bb.274:                              ;   in Loop: Header=BB169_43 Depth=1
	v_or_b32_e32 v5, 0x10000, v37
	v_cmp_eq_u32_sdwa vcc, v37, v19 src0_sel:WORD_0 src1_sel:DWORD
	s_nop 1
	v_cndmask_b32_e32 v5, v5, v37, vcc
; %bb.275:                              ;   in Loop: Header=BB169_43 Depth=1
	s_or_b64 exec, exec, s[0:1]
	v_lshlrev_b32_e32 v7, 16, v7
	v_mul_f32_e32 v37, v51, v7
	v_and_b32_e32 v7, 0x7f800000, v37
	v_cmp_ne_u32_e32 vcc, s14, v7
                                        ; implicit-def: $vgpr7
	s_and_saveexec_b64 s[0:1], vcc
	s_xor_b64 s[0:1], exec, s[0:1]
; %bb.276:                              ;   in Loop: Header=BB169_43 Depth=1
	v_bfe_u32 v7, v37, 16, 1
	v_add3_u32 v7, v37, v7, s15
                                        ; implicit-def: $vgpr37
; %bb.277:                              ;   in Loop: Header=BB169_43 Depth=1
	s_andn2_saveexec_b64 s[0:1], s[0:1]
	s_cbranch_execz .LBB169_42
; %bb.278:                              ;   in Loop: Header=BB169_43 Depth=1
	v_or_b32_e32 v7, 0x10000, v37
	v_cmp_eq_u32_sdwa vcc, v37, v19 src0_sel:WORD_0 src1_sel:DWORD
	s_nop 1
	v_cndmask_b32_e32 v7, v7, v37, vcc
	s_branch .LBB169_42
.LBB169_279:
	s_or_b64 exec, exec, s[8:9]
.LBB169_280:
	s_or_b64 exec, exec, s[2:3]
	ds_bpermute_b32 v2, v26, v16
	ds_bpermute_b32 v3, v26, v17
	;; [unrolled: 1-line block ×6, first 2 shown]
	s_waitcnt lgkmcnt(4)
	v_pk_add_f32 v[6:7], v[16:17], v[2:3]
	s_waitcnt lgkmcnt(0)
	v_pk_add_f32 v[2:3], v[14:15], v[4:5]
	s_barrier
	v_pk_add_f32 v[4:5], v[12:13], v[8:9]
	v_and_b32_e32 v8, 0x3c1, v0
	v_cmp_eq_u32_e32 vcc, 64, v8
	s_and_saveexec_b64 s[0:1], vcc
	s_cbranch_execz .LBB169_282
; %bb.281:
	v_mov_b32_e32 v8, 0x190
	v_lshl_add_u32 v1, v1, 1, v8
	ds_write2_b32 v1, v6, v7 offset1:32
	ds_write2_b32 v1, v2, v3 offset0:64 offset1:96
	ds_write2_b32 v1, v4, v5 offset0:128 offset1:160
.LBB169_282:
	s_or_b64 exec, exec, s[0:1]
	v_cmp_gt_u32_e32 vcc, 64, v0
	s_waitcnt lgkmcnt(0)
	s_barrier
	s_and_saveexec_b64 s[2:3], vcc
	s_cbranch_execz .LBB169_291
; %bb.283:
	v_cmp_eq_u32_e64 s[0:1], 0, v27
	v_lshrrev_b32_e32 v1, 1, v0
	s_and_saveexec_b64 s[6:7], s[0:1]
	s_cbranch_execnz .LBB169_319
; %bb.284:
	s_or_b64 exec, exec, s[6:7]
	s_and_saveexec_b64 s[6:7], s[0:1]
	s_cbranch_execnz .LBB169_320
.LBB169_285:
	s_or_b64 exec, exec, s[6:7]
	s_and_saveexec_b64 s[6:7], s[0:1]
	s_cbranch_execnz .LBB169_321
.LBB169_286:
	s_or_b64 exec, exec, s[6:7]
	s_and_saveexec_b64 s[6:7], s[0:1]
	s_cbranch_execnz .LBB169_322
.LBB169_287:
	s_or_b64 exec, exec, s[6:7]
	s_and_saveexec_b64 s[6:7], s[0:1]
	s_cbranch_execnz .LBB169_323
.LBB169_288:
	s_or_b64 exec, exec, s[6:7]
	s_and_saveexec_b64 s[6:7], s[0:1]
	s_cbranch_execz .LBB169_290
.LBB169_289:
	v_mov_b32_e32 v8, 0x190
	v_lshl_add_u32 v1, v1, 2, v8
	ds_read_b32 v1, v1 offset:640
	s_waitcnt lgkmcnt(0)
	v_add_f32_e32 v5, v5, v1
.LBB169_290:
	s_or_b64 exec, exec, s[6:7]
.LBB169_291:
	s_or_b64 exec, exec, s[2:3]
	s_barrier
	s_and_saveexec_b64 s[0:1], vcc
	s_cbranch_execz .LBB169_318
; %bb.292:
	v_cmp_eq_u32_e32 vcc, 0, v27
	s_and_b64 exec, exec, vcc
	s_cbranch_execz .LBB169_318
; %bb.293:
	s_mov_b32 s0, 0x7f800000
	v_and_b32_e32 v1, 0x7f800000, v6
	v_cmp_ne_u32_e32 vcc, s0, v1
                                        ; implicit-def: $vgpr8
	s_and_saveexec_b64 s[0:1], vcc
	s_xor_b64 s[0:1], exec, s[0:1]
; %bb.294:
	v_bfe_u32 v1, v6, 16, 1
	s_movk_i32 s2, 0x7fff
	v_add3_u32 v8, v6, v1, s2
; %bb.295:
	s_andn2_saveexec_b64 s[0:1], s[0:1]
; %bb.296:
	v_mov_b32_e32 v1, 0
	v_or_b32_e32 v8, 0x10000, v6
	v_cmp_eq_u32_sdwa vcc, v6, v1 src0_sel:WORD_0 src1_sel:DWORD
	s_nop 1
	v_cndmask_b32_e32 v8, v8, v6, vcc
; %bb.297:
	s_or_b64 exec, exec, s[0:1]
	s_mul_i32 s0, s12, s20
	s_mul_i32 s0, s0, s21
	s_mulk_i32 s0, 0xc0
	s_ashr_i32 s1, s0, 31
	s_lshl_b64 s[0:1], s[0:1], 1
	s_add_u32 s2, s24, s0
	s_mul_i32 s0, s12, s22
	s_addc_u32 s3, s25, s1
	s_ashr_i32 s1, s0, 31
	s_lshl_b64 s[0:1], s[0:1], 1
	s_add_u32 s2, s2, s0
	s_mul_i32 s0, s4, 0xc0
	s_addc_u32 s3, s3, s1
	s_ashr_i32 s1, s0, 31
	s_lshl_b64 s[0:1], s[0:1], 1
	s_add_u32 s0, s2, s0
	s_mov_b32 s2, 0x7f800000
	v_and_b32_e32 v6, 0x7f800000, v7
	s_addc_u32 s1, s3, s1
	v_and_b32_e32 v0, 0x3fe, v0
	v_mov_b32_e32 v1, 0
	v_cmp_ne_u32_e32 vcc, s2, v6
	global_store_short_d16_hi v0, v8, s[0:1]
                                        ; implicit-def: $vgpr6
	s_and_saveexec_b64 s[2:3], vcc
	s_xor_b64 s[2:3], exec, s[2:3]
; %bb.298:
	v_bfe_u32 v6, v7, 16, 1
	s_movk_i32 s4, 0x7fff
	v_add3_u32 v6, v7, v6, s4
; %bb.299:
	s_or_saveexec_b64 s[2:3], s[2:3]
	v_lshl_add_u64 v[8:9], s[0:1], 0, v[0:1]
	s_xor_b64 exec, exec, s[2:3]
; %bb.300:
	v_mov_b32_e32 v0, 0
	v_or_b32_e32 v1, 0x10000, v7
	v_cmp_eq_u32_sdwa vcc, v7, v0 src0_sel:WORD_0 src1_sel:DWORD
	s_nop 1
	v_cndmask_b32_e32 v6, v1, v7, vcc
; %bb.301:
	s_or_b64 exec, exec, s[2:3]
	s_mov_b32 s0, 0x7f800000
	v_and_b32_e32 v0, 0x7f800000, v2
	v_cmp_ne_u32_e32 vcc, s0, v0
	global_store_short_d16_hi v[8:9], v6, off offset:64
                                        ; implicit-def: $vgpr0
	s_and_saveexec_b64 s[0:1], vcc
	s_xor_b64 s[0:1], exec, s[0:1]
; %bb.302:
	v_bfe_u32 v0, v2, 16, 1
	s_movk_i32 s2, 0x7fff
	v_add3_u32 v0, v2, v0, s2
; %bb.303:
	s_andn2_saveexec_b64 s[0:1], s[0:1]
; %bb.304:
	v_mov_b32_e32 v0, 0
	v_or_b32_e32 v1, 0x10000, v2
	v_cmp_eq_u32_sdwa vcc, v2, v0 src0_sel:WORD_0 src1_sel:DWORD
	s_nop 1
	v_cndmask_b32_e32 v0, v1, v2, vcc
; %bb.305:
	s_or_b64 exec, exec, s[0:1]
	global_store_short_d16_hi v[8:9], v0, off offset:128
	s_mov_b32 s0, 0x7f800000
	v_and_b32_e32 v0, 0x7f800000, v3
	v_cmp_ne_u32_e32 vcc, s0, v0
                                        ; implicit-def: $vgpr0
	s_and_saveexec_b64 s[0:1], vcc
	s_xor_b64 s[0:1], exec, s[0:1]
; %bb.306:
	v_bfe_u32 v0, v3, 16, 1
	s_movk_i32 s2, 0x7fff
	v_add3_u32 v0, v3, v0, s2
; %bb.307:
	s_andn2_saveexec_b64 s[0:1], s[0:1]
; %bb.308:
	v_mov_b32_e32 v0, 0
	v_or_b32_e32 v1, 0x10000, v3
	v_cmp_eq_u32_sdwa vcc, v3, v0 src0_sel:WORD_0 src1_sel:DWORD
	s_nop 1
	v_cndmask_b32_e32 v0, v1, v3, vcc
; %bb.309:
	s_or_b64 exec, exec, s[0:1]
	global_store_short_d16_hi v[8:9], v0, off offset:192
	s_mov_b32 s0, 0x7f800000
	v_and_b32_e32 v0, 0x7f800000, v4
	v_cmp_ne_u32_e32 vcc, s0, v0
                                        ; implicit-def: $vgpr0
	s_and_saveexec_b64 s[0:1], vcc
	s_xor_b64 s[0:1], exec, s[0:1]
; %bb.310:
	v_bfe_u32 v0, v4, 16, 1
	s_movk_i32 s2, 0x7fff
	v_add3_u32 v0, v4, v0, s2
; %bb.311:
	s_andn2_saveexec_b64 s[0:1], s[0:1]
; %bb.312:
	v_mov_b32_e32 v0, 0
	v_or_b32_e32 v1, 0x10000, v4
	v_cmp_eq_u32_sdwa vcc, v4, v0 src0_sel:WORD_0 src1_sel:DWORD
	s_nop 1
	v_cndmask_b32_e32 v0, v1, v4, vcc
; %bb.313:
	s_or_b64 exec, exec, s[0:1]
	global_store_short_d16_hi v[8:9], v0, off offset:256
	s_mov_b32 s0, 0x7f800000
	v_and_b32_e32 v0, 0x7f800000, v5
	v_cmp_ne_u32_e32 vcc, s0, v0
                                        ; implicit-def: $vgpr6
	s_and_saveexec_b64 s[0:1], vcc
	s_xor_b64 s[0:1], exec, s[0:1]
; %bb.314:
	v_bfe_u32 v0, v5, 16, 1
	s_movk_i32 s2, 0x7fff
	v_add3_u32 v6, v5, v0, s2
                                        ; implicit-def: $vgpr0_vgpr1_vgpr2_vgpr3_vgpr4_vgpr5
; %bb.315:
	s_andn2_saveexec_b64 s[0:1], s[0:1]
; %bb.316:
	v_mov_b32_e32 v0, 0
	v_or_b32_e32 v1, 0x10000, v5
	v_cmp_eq_u32_sdwa vcc, v5, v0 src0_sel:WORD_0 src1_sel:DWORD
	s_nop 1
	v_cndmask_b32_e32 v6, v1, v5, vcc
; %bb.317:
	s_or_b64 exec, exec, s[0:1]
	global_store_short_d16_hi v[8:9], v6, off offset:320
.LBB169_318:
	s_endpgm
.LBB169_319:
	v_mov_b32_e32 v8, 0x190
	v_lshl_add_u32 v8, v1, 2, v8
	ds_read_b32 v8, v8
	s_waitcnt lgkmcnt(0)
	v_add_f32_e32 v6, v6, v8
	s_or_b64 exec, exec, s[6:7]
	s_and_saveexec_b64 s[6:7], s[0:1]
	s_cbranch_execz .LBB169_285
.LBB169_320:
	v_mov_b32_e32 v8, 0x190
	v_lshl_add_u32 v8, v1, 2, v8
	ds_read_b32 v8, v8 offset:128
	s_waitcnt lgkmcnt(0)
	v_add_f32_e32 v7, v7, v8
	s_or_b64 exec, exec, s[6:7]
	s_and_saveexec_b64 s[6:7], s[0:1]
	s_cbranch_execz .LBB169_286
.LBB169_321:
	v_mov_b32_e32 v8, 0x190
	v_lshl_add_u32 v8, v1, 2, v8
	ds_read_b32 v8, v8 offset:256
	s_waitcnt lgkmcnt(0)
	v_add_f32_e32 v2, v2, v8
	s_or_b64 exec, exec, s[6:7]
	s_and_saveexec_b64 s[6:7], s[0:1]
	s_cbranch_execz .LBB169_287
.LBB169_322:
	v_mov_b32_e32 v8, 0x190
	v_lshl_add_u32 v8, v1, 2, v8
	ds_read_b32 v8, v8 offset:384
	s_waitcnt lgkmcnt(0)
	v_add_f32_e32 v3, v3, v8
	s_or_b64 exec, exec, s[6:7]
	s_and_saveexec_b64 s[6:7], s[0:1]
	s_cbranch_execz .LBB169_288
.LBB169_323:
	v_mov_b32_e32 v8, 0x190
	v_lshl_add_u32 v8, v1, 2, v8
	ds_read_b32 v8, v8 offset:512
	s_waitcnt lgkmcnt(0)
	v_add_f32_e32 v4, v4, v8
	s_or_b64 exec, exec, s[6:7]
	s_and_saveexec_b64 s[6:7], s[0:1]
	s_cbranch_execnz .LBB169_289
	s_branch .LBB169_290
	.section	.rodata,"a",@progbits
	.p2align	6, 0x0
	.amdhsa_kernel _ZN4vllm25paged_attention_v2_kernelI14__hip_bfloat16S1_Li192ELi16ELi128ELNS_18Fp8KVCacheDataTypeE0ELb0ELi512EEEvPfS3_PT_PKS4_PKT0_SA_ifPKiSC_iPKfiiiSE_SE_iiiii
		.amdhsa_group_segment_fixed_size 400
		.amdhsa_private_segment_fixed_size 0
		.amdhsa_kernarg_size 400
		.amdhsa_user_sgpr_count 2
		.amdhsa_user_sgpr_dispatch_ptr 0
		.amdhsa_user_sgpr_queue_ptr 0
		.amdhsa_user_sgpr_kernarg_segment_ptr 1
		.amdhsa_user_sgpr_dispatch_id 0
		.amdhsa_user_sgpr_kernarg_preload_length 0
		.amdhsa_user_sgpr_kernarg_preload_offset 0
		.amdhsa_user_sgpr_private_segment_size 0
		.amdhsa_uses_dynamic_stack 0
		.amdhsa_enable_private_segment 0
		.amdhsa_system_sgpr_workgroup_id_x 1
		.amdhsa_system_sgpr_workgroup_id_y 1
		.amdhsa_system_sgpr_workgroup_id_z 1
		.amdhsa_system_sgpr_workgroup_info 0
		.amdhsa_system_vgpr_workitem_id 0
		.amdhsa_next_free_vgpr 102
		.amdhsa_next_free_sgpr 43
		.amdhsa_accum_offset 104
		.amdhsa_reserve_vcc 1
		.amdhsa_float_round_mode_32 0
		.amdhsa_float_round_mode_16_64 0
		.amdhsa_float_denorm_mode_32 3
		.amdhsa_float_denorm_mode_16_64 3
		.amdhsa_dx10_clamp 1
		.amdhsa_ieee_mode 1
		.amdhsa_fp16_overflow 0
		.amdhsa_tg_split 0
		.amdhsa_exception_fp_ieee_invalid_op 0
		.amdhsa_exception_fp_denorm_src 0
		.amdhsa_exception_fp_ieee_div_zero 0
		.amdhsa_exception_fp_ieee_overflow 0
		.amdhsa_exception_fp_ieee_underflow 0
		.amdhsa_exception_fp_ieee_inexact 0
		.amdhsa_exception_int_div_zero 0
	.end_amdhsa_kernel
	.section	.text._ZN4vllm25paged_attention_v2_kernelI14__hip_bfloat16S1_Li192ELi16ELi128ELNS_18Fp8KVCacheDataTypeE0ELb0ELi512EEEvPfS3_PT_PKS4_PKT0_SA_ifPKiSC_iPKfiiiSE_SE_iiiii,"axG",@progbits,_ZN4vllm25paged_attention_v2_kernelI14__hip_bfloat16S1_Li192ELi16ELi128ELNS_18Fp8KVCacheDataTypeE0ELb0ELi512EEEvPfS3_PT_PKS4_PKT0_SA_ifPKiSC_iPKfiiiSE_SE_iiiii,comdat
.Lfunc_end169:
	.size	_ZN4vllm25paged_attention_v2_kernelI14__hip_bfloat16S1_Li192ELi16ELi128ELNS_18Fp8KVCacheDataTypeE0ELb0ELi512EEEvPfS3_PT_PKS4_PKT0_SA_ifPKiSC_iPKfiiiSE_SE_iiiii, .Lfunc_end169-_ZN4vllm25paged_attention_v2_kernelI14__hip_bfloat16S1_Li192ELi16ELi128ELNS_18Fp8KVCacheDataTypeE0ELb0ELi512EEEvPfS3_PT_PKS4_PKT0_SA_ifPKiSC_iPKfiiiSE_SE_iiiii
                                        ; -- End function
	.section	.AMDGPU.csdata,"",@progbits
; Kernel info:
; codeLenInByte = 11536
; NumSgprs: 49
; NumVgprs: 102
; NumAgprs: 0
; TotalNumVgprs: 102
; ScratchSize: 0
; MemoryBound: 0
; FloatMode: 240
; IeeeMode: 1
; LDSByteSize: 400 bytes/workgroup (compile time only)
; SGPRBlocks: 6
; VGPRBlocks: 12
; NumSGPRsForWavesPerEU: 49
; NumVGPRsForWavesPerEU: 102
; AccumOffset: 104
; Occupancy: 4
; WaveLimiterHint : 1
; COMPUTE_PGM_RSRC2:SCRATCH_EN: 0
; COMPUTE_PGM_RSRC2:USER_SGPR: 2
; COMPUTE_PGM_RSRC2:TRAP_HANDLER: 0
; COMPUTE_PGM_RSRC2:TGID_X_EN: 1
; COMPUTE_PGM_RSRC2:TGID_Y_EN: 1
; COMPUTE_PGM_RSRC2:TGID_Z_EN: 1
; COMPUTE_PGM_RSRC2:TIDIG_COMP_CNT: 0
; COMPUTE_PGM_RSRC3_GFX90A:ACCUM_OFFSET: 25
; COMPUTE_PGM_RSRC3_GFX90A:TG_SPLIT: 0
	.section	.text._ZN4vllm25paged_attention_v2_kernelI14__hip_bfloat16S1_Li256ELi16ELi128ELNS_18Fp8KVCacheDataTypeE0ELb0ELi512EEEvPfS3_PT_PKS4_PKT0_SA_ifPKiSC_iPKfiiiSE_SE_iiiii,"axG",@progbits,_ZN4vllm25paged_attention_v2_kernelI14__hip_bfloat16S1_Li256ELi16ELi128ELNS_18Fp8KVCacheDataTypeE0ELb0ELi512EEEvPfS3_PT_PKS4_PKT0_SA_ifPKiSC_iPKfiiiSE_SE_iiiii,comdat
	.protected	_ZN4vllm25paged_attention_v2_kernelI14__hip_bfloat16S1_Li256ELi16ELi128ELNS_18Fp8KVCacheDataTypeE0ELb0ELi512EEEvPfS3_PT_PKS4_PKT0_SA_ifPKiSC_iPKfiiiSE_SE_iiiii ; -- Begin function _ZN4vllm25paged_attention_v2_kernelI14__hip_bfloat16S1_Li256ELi16ELi128ELNS_18Fp8KVCacheDataTypeE0ELb0ELi512EEEvPfS3_PT_PKS4_PKT0_SA_ifPKiSC_iPKfiiiSE_SE_iiiii
	.globl	_ZN4vllm25paged_attention_v2_kernelI14__hip_bfloat16S1_Li256ELi16ELi128ELNS_18Fp8KVCacheDataTypeE0ELb0ELi512EEEvPfS3_PT_PKS4_PKT0_SA_ifPKiSC_iPKfiiiSE_SE_iiiii
	.p2align	8
	.type	_ZN4vllm25paged_attention_v2_kernelI14__hip_bfloat16S1_Li256ELi16ELi128ELNS_18Fp8KVCacheDataTypeE0ELb0ELi512EEEvPfS3_PT_PKS4_PKT0_SA_ifPKiSC_iPKfiiiSE_SE_iiiii,@function
_ZN4vllm25paged_attention_v2_kernelI14__hip_bfloat16S1_Li256ELi16ELi128ELNS_18Fp8KVCacheDataTypeE0ELb0ELi512EEEvPfS3_PT_PKS4_PKT0_SA_ifPKiSC_iPKfiiiSE_SE_iiiii: ; @_ZN4vllm25paged_attention_v2_kernelI14__hip_bfloat16S1_Li256ELi16ELi128ELNS_18Fp8KVCacheDataTypeE0ELb0ELi512EEEvPfS3_PT_PKS4_PKT0_SA_ifPKiSC_iPKfiiiSE_SE_iiiii
; %bb.0:
	s_load_dwordx2 s[6:7], s[0:1], 0x40
	s_mov_b32 s20, s3
	s_ashr_i32 s21, s3, 31
	s_lshl_b64 s[8:9], s[20:21], 2
	s_waitcnt lgkmcnt(0)
	s_add_u32 s6, s6, s8
	s_addc_u32 s7, s7, s9
	s_load_dword s33, s[6:7], 0x0
	s_lshl_b32 s40, s4, 9
	s_waitcnt lgkmcnt(0)
	s_cmp_ge_i32 s40, s33
	s_cbranch_scc1 .LBB170_396
; %bb.1:
	s_load_dword s21, s[0:1], 0x90
	s_load_dwordx2 s[10:11], s[0:1], 0x30
	s_waitcnt lgkmcnt(0)
	s_abs_i32 s6, s21
	s_abs_i32 s3, s10
	v_cvt_f32_u32_e32 v1, s3
	s_sub_i32 s7, 0, s3
	s_xor_b32 s5, s21, s10
	s_ashr_i32 s5, s5, 31
	v_rcp_iflag_f32_e32 v1, v1
	s_nop 0
	v_mul_f32_e32 v1, 0x4f7ffffe, v1
	v_cvt_u32_f32_e32 v1, v1
	s_nop 0
	v_readfirstlane_b32 s8, v1
	s_mul_i32 s7, s7, s8
	s_mul_hi_u32 s7, s8, s7
	s_add_i32 s8, s8, s7
	s_mul_hi_u32 s7, s6, s8
	s_mul_i32 s8, s7, s3
	s_sub_i32 s6, s6, s8
	s_add_i32 s9, s7, 1
	s_sub_i32 s8, s6, s3
	s_cmp_ge_u32 s6, s3
	s_cselect_b32 s7, s9, s7
	s_cselect_b32 s6, s8, s6
	s_add_i32 s8, s7, 1
	s_cmp_ge_u32 s6, s3
	s_cselect_b32 s3, s8, s7
	s_xor_b32 s3, s3, s5
	s_sub_i32 s12, s3, s5
	s_abs_i32 s8, s12
	v_cvt_f32_u32_e32 v1, s8
	s_load_dwordx2 s[6:7], s[0:1], 0x50
	s_sub_i32 s3, 0, s8
	s_abs_i32 s9, s2
	v_rcp_iflag_f32_e32 v1, v1
	s_mov_b32 s5, 0
	v_mul_f32_e32 v1, 0x4f7ffffe, v1
	v_cvt_u32_f32_e32 v1, v1
	s_nop 0
	v_readfirstlane_b32 s10, v1
	s_mul_i32 s3, s3, s10
	s_mul_hi_u32 s3, s10, s3
	s_add_i32 s10, s10, s3
	s_waitcnt lgkmcnt(0)
	s_cmp_eq_u64 s[6:7], 0
	s_mul_hi_u32 s10, s9, s10
	s_cbranch_scc1 .LBB170_3
; %bb.2:
	s_ashr_i32 s3, s2, 31
	s_lshl_b64 s[14:15], s[2:3], 2
	s_add_u32 s6, s6, s14
	s_addc_u32 s7, s7, s15
	s_load_dword s5, s[6:7], 0x0
.LBB170_3:
	s_ashr_i32 s17, s12, 31
	s_load_dwordx4 s[12:15], s[0:1], 0x58
	s_movk_i32 s3, 0x80
	s_ashr_i32 s16, s2, 31
	v_and_b32_e32 v4, 3, v0
	s_lshl_b32 s22, s2, 8
	v_cmp_gt_u32_e32 vcc, s3, v0
	s_and_saveexec_b64 s[6:7], vcc
	s_cbranch_execz .LBB170_5
; %bb.4:
	s_load_dwordx2 s[18:19], s[0:1], 0x18
	s_waitcnt lgkmcnt(0)
	s_mul_i32 s24, s20, s12
	s_ashr_i32 s25, s24, 31
	s_lshl_b64 s[24:25], s[24:25], 1
	v_lshlrev_b32_e32 v1, 2, v0
	s_add_u32 s3, s18, s24
	s_addc_u32 s12, s19, s25
	s_ashr_i32 s23, s22, 31
	s_lshl_b64 s[18:19], s[22:23], 1
	s_add_u32 s18, s3, s18
	s_addc_u32 s19, s12, s19
	global_load_dword v1, v1, s[18:19]
	v_and_b32_e32 v2, 0x3fc, v0
	v_lshl_add_u32 v2, v4, 7, v2
	s_waitcnt vmcnt(0)
	ds_write_b32 v2, v1
.LBB170_5:
	s_or_b64 exec, exec, s[6:7]
	s_add_i32 s3, s33, 15
	s_ashr_i32 s6, s3, 31
	s_lshr_b32 s6, s6, 28
	s_add_i32 s3, s3, s6
	s_ashr_i32 s41, s3, 4
	s_lshl_b32 s3, s4, 5
	s_mul_i32 s7, s10, s8
	s_add_i32 s6, s3, 32
	s_sub_i32 s7, s9, s7
	s_min_i32 s23, s6, s41
	s_xor_b32 s6, s16, s17
	s_add_i32 s9, s10, 1
	s_waitcnt lgkmcnt(0)
	s_sub_i32 s12, s7, s8
	s_cmp_ge_u32 s7, s8
	s_cselect_b32 s9, s9, s10
	s_cselect_b32 s7, s12, s7
	s_add_i32 s10, s9, 1
	s_cmp_ge_u32 s7, s8
	s_load_dwordx2 s[26:27], s[0:1], 0x38
	s_load_dword s8, s[0:1], 0x48
	v_lshrrev_b32_e32 v6, 6, v0
	s_cselect_b32 s7, s10, s9
	s_xor_b32 s7, s7, s6
	v_or_b32_e32 v10, s3, v6
	s_waitcnt lgkmcnt(0)
	s_mul_i32 s28, s20, s8
	s_sub_i32 s10, s7, s6
	s_ashr_i32 s29, s28, 31
	v_cmp_gt_i32_e64 s[8:9], s23, v10
	v_cmp_le_i32_e32 vcc, s23, v10
	v_mbcnt_lo_u32_b32 v5, -1, 0
	s_barrier
	s_waitcnt lgkmcnt(0)
                                        ; implicit-def: $sgpr15
                                        ; implicit-def: $vgpr7
                                        ; implicit-def: $vgpr8
	s_and_saveexec_b64 s[6:7], vcc
	s_xor_b64 s[6:7], exec, s[6:7]
; %bb.6:
	v_mbcnt_hi_u32_b32 v7, -1, v5
	v_and_b32_e32 v1, 64, v7
	v_add_u32_e32 v8, 64, v1
	s_mov_b32 s15, 0xff7fffff
                                        ; implicit-def: $vgpr4
                                        ; implicit-def: $vgpr5
; %bb.7:
	s_or_saveexec_b64 s[34:35], s[6:7]
	s_load_dwordx4 s[16:19], s[0:1], 0x0
	s_load_dwordx2 s[24:25], s[0:1], 0x10
	s_load_dwordx2 s[30:31], s[0:1], 0x28
	s_load_dword s12, s[0:1], 0x98
	v_mov_b32_e32 v74, s15
	s_mul_i32 s14, s10, s14
	v_ashrrev_i32_e32 v11, 31, v10
	s_xor_b64 exec, exec, s[34:35]
	s_cbranch_execz .LBB170_13
; %bb.8:
	s_load_dwordx2 s[0:1], s[0:1], 0x20
	s_ashr_i32 s15, s14, 31
	s_lshl_b64 s[6:7], s[14:15], 1
	v_lshlrev_b32_e32 v2, 7, v4
	v_bfe_u32 v78, v0, 2, 4
	s_waitcnt lgkmcnt(0)
	s_add_u32 s0, s0, s6
	ds_read_b128 v[14:17], v2
	ds_read_b128 v[22:25], v2 offset:16
	ds_read_b128 v[30:33], v2 offset:32
	;; [unrolled: 1-line block ×7, first 2 shown]
	s_addc_u32 s1, s1, s7
	v_lshlrev_b32_e32 v2, 4, v78
	v_mov_b32_e32 v3, 0
	v_lshlrev_b32_e32 v7, 2, v0
	v_lshl_add_u64 v[74:75], s[0:1], 0, v[2:3]
	v_and_b32_e32 v2, 12, v7
	v_mbcnt_hi_u32_b32 v7, -1, v5
	v_cmp_eq_u32_e32 vcc, 0, v4
	v_and_b32_e32 v4, 64, v7
	v_add_u32_e32 v8, 64, v4
	v_xor_b32_e32 v4, 2, v7
	v_cmp_lt_i32_e64 s[0:1], v4, v8
	v_lshl_add_u64 v[2:3], v[74:75], 0, v[2:3]
	s_sub_i32 s15, 1, s33
	v_cndmask_b32_e64 v4, v7, v4, s[0:1]
	v_lshlrev_b32_e32 v75, 2, v4
	v_xor_b32_e32 v4, 1, v7
	v_cmp_lt_i32_e64 s[0:1], v4, v8
	s_waitcnt lgkmcnt(7)
	v_lshlrev_b32_e32 v1, 16, v14
	v_and_b32_e32 v9, 0xffff0000, v14
	v_cndmask_b32_e64 v4, v7, v4, s[0:1]
	v_lshlrev_b32_e32 v76, 2, v4
	v_lshlrev_b32_e32 v4, 4, v6
	s_lshl_b64 s[0:1], s[28:29], 2
	v_add3_u32 v77, s40, v4, v78
	v_lshlrev_b32_e32 v4, 2, v78
	s_add_u32 s0, s26, s0
	v_lshl_or_b32 v4, v6, 6, v4
	s_addc_u32 s1, s27, s1
	v_lshlrev_b32_e32 v12, 16, v15
	v_and_b32_e32 v13, 0xffff0000, v15
	v_lshlrev_b32_e32 v14, 16, v16
	v_and_b32_e32 v15, 0xffff0000, v16
	v_lshlrev_b32_e32 v16, 16, v17
	v_and_b32_e32 v17, 0xffff0000, v17
	s_waitcnt lgkmcnt(6)
	v_lshlrev_b32_e32 v18, 16, v22
	v_and_b32_e32 v19, 0xffff0000, v22
	v_lshlrev_b32_e32 v20, 16, v23
	v_and_b32_e32 v21, 0xffff0000, v23
	v_lshlrev_b32_e32 v22, 16, v24
	v_and_b32_e32 v23, 0xffff0000, v24
	v_lshlrev_b32_e32 v24, 16, v25
	v_and_b32_e32 v25, 0xffff0000, v25
	s_waitcnt lgkmcnt(5)
	v_lshlrev_b32_e32 v26, 16, v30
	v_and_b32_e32 v27, 0xffff0000, v30
	;; [unrolled: 9-line block ×7, first 2 shown]
	v_lshlrev_b32_e32 v68, 16, v71
	v_and_b32_e32 v69, 0xffff0000, v71
	v_lshlrev_b32_e32 v70, 16, v72
	v_and_b32_e32 v71, 0xffff0000, v72
	;; [unrolled: 2-line block ×3, first 2 shown]
	s_mov_b32 s10, s13
	v_cmp_neq_f32_e64 s[6:7], s5, 0
	v_add_u32_e32 v78, 0x210, v4
	s_mov_b64 s[36:37], 0
	s_movk_i32 s42, 0x1000
	v_mov_b32_e32 v74, 0xff7fffff
	v_mov_b32_e32 v79, v10
	v_lshl_add_u64 v[4:5], v[10:11], 2, s[0:1]
	s_branch .LBB170_10
.LBB170_9:                              ;   in Loop: Header=BB170_10 Depth=1
	s_or_b64 exec, exec, s[38:39]
	v_add_u32_e32 v79, 2, v79
	v_cmp_le_i32_e64 s[0:1], s23, v79
	v_add_u32_e32 v77, 32, v77
	v_add_u32_e32 v78, 0x80, v78
	s_or_b64 s[36:37], s[0:1], s[36:37]
	v_lshl_add_u64 v[4:5], v[4:5], 0, 8
	s_andn2_b64 exec, exec, s[36:37]
	s_cbranch_execz .LBB170_12
.LBB170_10:                             ; =>This Inner Loop Header: Depth=1
	global_load_dword v80, v[4:5], off
	s_waitcnt vmcnt(0) lgkmcnt(0)
	v_mad_i64_i32 v[80:81], s[0:1], v80, s10, 0
	v_lshl_add_u64 v[80:81], v[80:81], 1, v[2:3]
	global_load_dword v87, v[80:81], off offset:256
	global_load_dword v90, v[80:81], off
	global_load_dword v91, v[80:81], off offset:512
	global_load_dword v92, v[80:81], off offset:768
	;; [unrolled: 1-line block ×9, first 2 shown]
	v_add_co_u32_e64 v88, s[0:1], s42, v80
	s_nop 1
	v_addc_co_u32_e64 v89, s[0:1], 0, v81, s[0:1]
	global_load_dword v100, v[80:81], off offset:2816
	global_load_dword v101, v[80:81], off offset:3072
	;; [unrolled: 1-line block ×5, first 2 shown]
	global_load_dword v105, v[88:89], off
	global_load_dword v106, v[88:89], off offset:256
	global_load_dword v107, v[88:89], off offset:512
	;; [unrolled: 1-line block ×15, first 2 shown]
	s_waitcnt vmcnt(31)
	v_lshlrev_b32_e32 v80, 16, v87
	v_mul_f32_e32 v80, v12, v80
	s_waitcnt vmcnt(30)
	v_lshlrev_b32_e32 v81, 16, v90
	v_fmac_f32_e32 v80, v1, v81
	v_and_b32_e32 v81, 0xffff0000, v87
	v_and_b32_e32 v88, 0xffff0000, v90
	v_mul_f32_e32 v81, v13, v81
	s_waitcnt vmcnt(29)
	v_lshlrev_b32_e32 v87, 16, v91
	v_fmac_f32_e32 v81, v9, v88
	v_fmac_f32_e32 v80, v14, v87
	v_and_b32_e32 v87, 0xffff0000, v91
	v_fmac_f32_e32 v81, v15, v87
	s_waitcnt vmcnt(28)
	v_lshlrev_b32_e32 v87, 16, v92
	v_fmac_f32_e32 v80, v16, v87
	v_and_b32_e32 v87, 0xffff0000, v92
	v_fmac_f32_e32 v81, v17, v87
	s_waitcnt vmcnt(27)
	v_lshlrev_b32_e32 v87, 16, v93
	;; [unrolled: 5-line block ×18, first 2 shown]
	v_and_b32_e32 v88, 0xffff0000, v109
	v_fmac_f32_e32 v80, v50, v87
	s_waitcnt vmcnt(10)
	v_lshlrev_b32_e32 v87, 16, v110
	v_and_b32_e32 v89, 0xffff0000, v110
	v_fmac_f32_e32 v81, v51, v88
	s_waitcnt vmcnt(9)
	v_lshlrev_b32_e32 v88, 16, v111
	v_and_b32_e32 v90, 0xffff0000, v111
	v_fmac_f32_e32 v80, v52, v87
	v_fmac_f32_e32 v81, v53, v89
	s_waitcnt vmcnt(8)
	v_lshlrev_b32_e32 v87, 16, v112
	v_and_b32_e32 v91, 0xffff0000, v112
	v_fmac_f32_e32 v80, v54, v88
	;; [unrolled: 5-line block ×10, first 2 shown]
	v_fmac_f32_e32 v81, v71, v83
	v_fmac_f32_e32 v80, v72, v88
	v_fmac_f32_e32 v81, v73, v82
	v_add_f32_e32 v80, v80, v81
	ds_bpermute_b32 v81, v75, v80
	s_waitcnt lgkmcnt(0)
	v_add_f32_e32 v80, v80, v81
	ds_bpermute_b32 v81, v76, v80
	s_and_saveexec_b64 s[38:39], vcc
	s_cbranch_execz .LBB170_9
; %bb.11:                               ;   in Loop: Header=BB170_10 Depth=1
	v_add_u32_e32 v82, s15, v77
	v_cvt_f32_i32_e32 v82, v82
	s_waitcnt lgkmcnt(0)
	v_add_f32_e32 v80, v80, v81
	v_cmp_gt_i32_e64 s[0:1], s33, v77
	v_max_f32_e32 v81, v74, v74
	v_mul_f32_e32 v82, s5, v82
	v_cndmask_b32_e64 v82, 0, v82, s[6:7]
	v_fmac_f32_e32 v82, s11, v80
	v_cndmask_b32_e64 v80, 0, v82, s[0:1]
	ds_write_b32 v78, v80
	v_max_f32_e32 v80, v81, v82
	v_cndmask_b32_e64 v74, v74, v80, s[0:1]
	s_branch .LBB170_9
.LBB170_12:
	s_or_b64 exec, exec, s[36:37]
.LBB170_13:
	s_or_b64 exec, exec, s[34:35]
	v_xor_b32_e32 v1, 32, v7
	v_cmp_lt_i32_e32 vcc, v1, v8
	v_xor_b32_e32 v4, 16, v7
	v_max_f32_e32 v3, v74, v74
	v_cndmask_b32_e32 v1, v7, v1, vcc
	v_lshlrev_b32_e32 v2, 2, v1
	ds_bpermute_b32 v1, v2, v74
	v_cmp_lt_i32_e32 vcc, v4, v8
	v_xor_b32_e32 v5, 8, v7
	s_waitcnt lgkmcnt(0)
	v_max_f32_e32 v1, v1, v1
	v_max_f32_e32 v1, v3, v1
	v_cndmask_b32_e32 v3, v7, v4, vcc
	v_lshlrev_b32_e32 v3, 2, v3
	ds_bpermute_b32 v4, v3, v1
	v_cmp_lt_i32_e32 vcc, v5, v8
	s_waitcnt lgkmcnt(0)
	v_max_f32_e32 v4, v4, v4
	v_max_f32_e32 v1, v1, v4
	v_cndmask_b32_e32 v4, v7, v5, vcc
	v_lshlrev_b32_e32 v12, 2, v4
	ds_bpermute_b32 v4, v12, v1
	v_xor_b32_e32 v5, 4, v7
	v_cmp_lt_i32_e32 vcc, v5, v8
	s_waitcnt lgkmcnt(0)
	v_max_f32_e32 v4, v4, v4
	v_max_f32_e32 v4, v1, v4
	v_cndmask_b32_e32 v1, v7, v5, vcc
	v_lshlrev_b32_e32 v13, 2, v1
	ds_bpermute_b32 v9, v13, v4
	v_and_b32_e32 v1, 63, v0
	v_cmp_eq_u32_e32 vcc, 0, v1
	v_lshlrev_b32_e32 v5, 2, v6
	s_and_saveexec_b64 s[0:1], vcc
	s_cbranch_execz .LBB170_15
; %bb.14:
	s_waitcnt lgkmcnt(0)
	v_max_f32_e32 v9, v9, v9
	v_max_f32_e32 v4, v4, v4
	;; [unrolled: 1-line block ×3, first 2 shown]
	ds_write_b32 v5, v4 offset:512
.LBB170_15:
	s_or_b64 exec, exec, s[0:1]
	v_cmp_gt_u32_e64 s[0:1], 2, v1
	v_mov_b32_e32 v4, 0xff7fffff
	s_waitcnt lgkmcnt(0)
	v_lshlrev_b32_e32 v9, 2, v1
	s_barrier
	s_and_saveexec_b64 s[6:7], s[0:1]
	s_cbranch_execz .LBB170_17
; %bb.16:
	ds_read_b32 v4, v9 offset:512
.LBB170_17:
	s_or_b64 exec, exec, s[6:7]
	v_xor_b32_e32 v14, 1, v7
	v_cmp_lt_i32_e64 s[6:7], v14, v8
	s_sub_i32 s3, s23, s3
	s_lshl_b32 s3, s3, 4
	v_cndmask_b32_e64 v14, v7, v14, s[6:7]
	v_lshlrev_b32_e32 v32, 2, v14
	s_waitcnt lgkmcnt(0)
	ds_bpermute_b32 v14, v32, v4
	v_max_f32_e32 v4, v4, v4
	s_add_i32 s3, s3, s40
	s_min_i32 s5, s3, s33
	s_sub_i32 s3, s5, s40
	s_waitcnt lgkmcnt(0)
	v_max_f32_e32 v14, v14, v14
	v_max_f32_e32 v4, v4, v14
	v_lshlrev_b32_e32 v14, 2, v7
	v_and_b32_e32 v14, 0xffffff00, v14
	ds_bpermute_b32 v4, v14, v4
	v_cmp_gt_i32_e64 s[6:7], s3, v0
	v_mov_b32_e32 v15, 0
	s_and_saveexec_b64 s[34:35], s[6:7]
	s_cbranch_execz .LBB170_21
; %bb.18:
	v_mov_b32_e32 v15, 0x210
	v_lshl_add_u32 v16, v0, 2, v15
	s_mov_b64 s[36:37], 0
	v_mov_b32_e32 v15, 0
	v_mov_b32_e32 v17, v0
.LBB170_19:                             ; =>This Inner Loop Header: Depth=1
	ds_read_b32 v18, v16
	v_add_u32_e32 v17, 0x80, v17
	v_cmp_le_i32_e64 s[10:11], s3, v17
	s_or_b64 s[36:37], s[10:11], s[36:37]
	s_waitcnt lgkmcnt(0)
	v_sub_f32_e32 v18, v18, v4
	v_mul_f32_e32 v18, 0x3fb8aa3b, v18
	v_exp_f32_e32 v18, v18
	ds_write_b32 v16, v18
	v_add_f32_e32 v15, v15, v18
	v_add_u32_e32 v16, 0x200, v16
	s_andn2_b64 exec, exec, s[36:37]
	s_cbranch_execnz .LBB170_19
; %bb.20:
	s_or_b64 exec, exec, s[36:37]
.LBB170_21:
	s_or_b64 exec, exec, s[34:35]
	ds_bpermute_b32 v2, v2, v15
	s_waitcnt lgkmcnt(0)
	v_add_f32_e32 v2, v15, v2
	ds_bpermute_b32 v3, v3, v2
	s_waitcnt lgkmcnt(0)
	v_add_f32_e32 v2, v2, v3
	ds_bpermute_b32 v3, v12, v2
	v_xor_b32_e32 v12, 2, v7
	v_cmp_lt_i32_e64 s[10:11], v12, v8
	s_waitcnt lgkmcnt(0)
	v_add_f32_e32 v2, v2, v3
	ds_bpermute_b32 v3, v13, v2
	v_cndmask_b32_e64 v7, v7, v12, s[10:11]
	s_waitcnt lgkmcnt(0)
	v_add_f32_e32 v2, v2, v3
	v_lshlrev_b32_e32 v3, 2, v7
	ds_bpermute_b32 v3, v3, v2
	s_waitcnt lgkmcnt(0)
	v_add_f32_e32 v2, v2, v3
	ds_bpermute_b32 v3, v32, v2
	s_waitcnt lgkmcnt(0)
	v_add_f32_e32 v2, v2, v3
	s_and_saveexec_b64 s[10:11], vcc
	s_cbranch_execz .LBB170_23
; %bb.22:
	ds_write_b32 v5, v2 offset:520
.LBB170_23:
	s_or_b64 exec, exec, s[10:11]
	s_waitcnt lgkmcnt(0)
	s_barrier
	s_and_saveexec_b64 s[10:11], s[0:1]
	s_cbranch_execz .LBB170_25
; %bb.24:
	ds_read_b32 v2, v9 offset:520
.LBB170_25:
	s_or_b64 exec, exec, s[10:11]
	s_waitcnt lgkmcnt(0)
	ds_bpermute_b32 v3, v32, v2
	s_waitcnt lgkmcnt(0)
	v_add_f32_e32 v2, v2, v3
	ds_bpermute_b32 v5, v14, v2
	s_and_saveexec_b64 s[0:1], s[6:7]
	s_cbranch_execz .LBB170_38
; %bb.26:
	s_waitcnt lgkmcnt(0)
	v_add_f32_e32 v2, 0x358637bd, v5
	v_div_scale_f32 v3, s[6:7], v2, v2, 1.0
	v_rcp_f32_e32 v7, v3
	v_div_scale_f32 v8, vcc, 1.0, v2, 1.0
	s_mov_b64 s[10:11], -1
	v_fma_f32 v9, -v3, v7, 1.0
	v_fmac_f32_e32 v7, v9, v7
	v_mul_f32_e32 v9, v8, v7
	v_fma_f32 v12, -v3, v9, v8
	v_fmac_f32_e32 v9, v12, v7
	v_fma_f32 v3, -v3, v9, v8
	v_div_fmas_f32 v3, v3, v7, v9
	v_div_fixup_f32 v2, v3, v2, 1.0
	v_xad_u32 v3, v0, -1, s5
	v_subrev_u32_e32 v7, s40, v3
	s_movk_i32 s5, 0x7f
	v_cmp_lt_u32_e32 vcc, s5, v7
	v_mov_b32_e32 v3, v0
	s_and_saveexec_b64 s[6:7], vcc
	s_cbranch_execz .LBB170_35
; %bb.27:
	v_lshrrev_b32_e32 v7, 7, v7
	v_add_u32_e32 v9, -1, v7
	v_lshrrev_b32_e32 v8, 1, v9
	v_mov_b32_e32 v3, v2
	v_add_u32_e32 v8, 1, v8
	v_cmp_lt_u32_e32 vcc, 13, v9
	v_mov_b32_e32 v13, 0
	s_and_saveexec_b64 s[10:11], vcc
	s_cbranch_execz .LBB170_31
; %bb.28:
	v_mov_b32_e32 v12, 0x210
	v_and_b32_e32 v9, -8, v8
	v_lshl_add_u32 v12, v0, 2, v12
	s_mov_b32 s5, 0
	s_mov_b64 s[34:35], 0
.LBB170_29:                             ; =>This Inner Loop Header: Depth=1
	ds_read2st64_b32 v[14:15], v12 offset1:2
	ds_read2st64_b32 v[16:17], v12 offset0:4 offset1:6
	ds_read2st64_b32 v[18:19], v12 offset0:8 offset1:10
	ds_read2st64_b32 v[20:21], v12 offset0:12 offset1:14
	v_add_u32_e32 v9, -8, v9
	s_waitcnt lgkmcnt(3)
	v_pk_mul_f32 v[14:15], v[2:3], v[14:15]
	s_waitcnt lgkmcnt(2)
	v_pk_mul_f32 v[16:17], v[2:3], v[16:17]
	ds_write2st64_b32 v12, v14, v15 offset1:2
	ds_write2st64_b32 v12, v16, v17 offset0:4 offset1:6
	ds_read2st64_b32 v[16:17], v12 offset0:16 offset1:18
	s_waitcnt lgkmcnt(4)
	v_pk_mul_f32 v[14:15], v[2:3], v[18:19]
	ds_write2st64_b32 v12, v14, v15 offset0:8 offset1:10
	s_waitcnt lgkmcnt(4)
	v_pk_mul_f32 v[14:15], v[2:3], v[20:21]
	ds_write2st64_b32 v12, v14, v15 offset0:12 offset1:14
	ds_read2st64_b32 v[14:15], v12 offset0:20 offset1:22
	s_waitcnt lgkmcnt(3)
	v_pk_mul_f32 v[16:17], v[2:3], v[16:17]
	ds_read2st64_b32 v[18:19], v12 offset0:24 offset1:26
	ds_write2st64_b32 v12, v16, v17 offset0:16 offset1:18
	ds_read2st64_b32 v[16:17], v12 offset0:28 offset1:30
	s_waitcnt lgkmcnt(3)
	v_pk_mul_f32 v[14:15], v[2:3], v[14:15]
	ds_write2st64_b32 v12, v14, v15 offset0:20 offset1:22
	s_waitcnt lgkmcnt(3)
	v_pk_mul_f32 v[14:15], v[2:3], v[18:19]
	ds_write2st64_b32 v12, v14, v15 offset0:24 offset1:26
	s_waitcnt lgkmcnt(2)
	v_pk_mul_f32 v[14:15], v[2:3], v[16:17]
	s_add_i32 s5, s5, 16
	v_cmp_eq_u32_e32 vcc, 0, v9
	ds_write2st64_b32 v12, v14, v15 offset0:28 offset1:30
	v_add_u32_e32 v12, 0x2000, v12
	s_or_b64 s[34:35], vcc, s[34:35]
	v_mov_b32_e32 v13, s5
	s_andn2_b64 exec, exec, s[34:35]
	s_cbranch_execnz .LBB170_29
; %bb.30:
	s_or_b64 exec, exec, s[34:35]
.LBB170_31:
	s_or_b64 exec, exec, s[10:11]
	v_and_b32_e32 v8, 7, v8
	v_cmp_ne_u32_e32 vcc, 0, v8
	s_and_saveexec_b64 s[10:11], vcc
	s_cbranch_execz .LBB170_34
; %bb.32:
	v_lshlrev_b32_e32 v9, 9, v13
	v_lshlrev_b32_e32 v12, 2, v0
	s_movk_i32 s5, 0x210
	v_add3_u32 v9, v9, v12, s5
	s_mov_b64 s[34:35], 0
.LBB170_33:                             ; =>This Inner Loop Header: Depth=1
	ds_read2st64_b32 v[12:13], v9 offset1:2
	v_add_u32_e32 v8, -1, v8
	v_cmp_eq_u32_e32 vcc, 0, v8
	s_or_b64 s[34:35], vcc, s[34:35]
	s_waitcnt lgkmcnt(0)
	v_pk_mul_f32 v[12:13], v[2:3], v[12:13]
	ds_write2st64_b32 v9, v12, v13 offset1:2
	v_add_u32_e32 v9, 0x400, v9
	s_andn2_b64 exec, exec, s[34:35]
	s_cbranch_execnz .LBB170_33
.LBB170_34:
	s_or_b64 exec, exec, s[10:11]
	v_add_u32_e32 v7, 1, v7
	v_and_b32_e32 v8, 0x3fffffe, v7
	v_cmp_ne_u32_e32 vcc, v7, v8
	v_lshl_add_u32 v3, v8, 7, v0
	s_orn2_b64 s[10:11], vcc, exec
.LBB170_35:
	s_or_b64 exec, exec, s[6:7]
	s_and_b64 exec, exec, s[10:11]
	s_cbranch_execz .LBB170_38
; %bb.36:
	v_mov_b32_e32 v7, 0x210
	v_lshl_add_u32 v7, v3, 2, v7
	s_mov_b64 s[6:7], 0
.LBB170_37:                             ; =>This Inner Loop Header: Depth=1
	ds_read_b32 v8, v7
	v_add_u32_e32 v3, 0x80, v3
	v_cmp_le_i32_e32 vcc, s3, v3
	s_or_b64 s[6:7], vcc, s[6:7]
	s_waitcnt lgkmcnt(0)
	v_mul_f32_e32 v8, v2, v8
	ds_write_b32 v7, v8
	v_add_u32_e32 v7, 0x200, v7
	s_andn2_b64 exec, exec, s[6:7]
	s_cbranch_execnz .LBB170_37
.LBB170_38:
	s_or_b64 exec, exec, s[0:1]
	v_cmp_eq_u32_e32 vcc, 0, v0
	s_waitcnt lgkmcnt(0)
	s_barrier
	s_and_saveexec_b64 s[0:1], vcc
	s_cbranch_execz .LBB170_40
; %bb.39:
	s_mul_i32 s3, s12, s20
	s_mul_i32 s6, s3, s21
	s_ashr_i32 s7, s6, 31
	s_lshl_b64 s[6:7], s[6:7], 2
	s_add_u32 s5, s18, s6
	s_mul_i32 s2, s12, s2
	s_addc_u32 s10, s19, s7
	s_ashr_i32 s3, s2, 31
	s_lshl_b64 s[2:3], s[2:3], 2
	s_add_u32 s15, s5, s2
	s_addc_u32 s19, s10, s3
	s_ashr_i32 s5, s4, 31
	s_lshl_b64 s[10:11], s[4:5], 2
	s_add_u32 s18, s15, s10
	s_addc_u32 s19, s19, s11
	s_add_u32 s5, s16, s6
	s_addc_u32 s6, s17, s7
	;; [unrolled: 2-line block ×3, first 2 shown]
	s_add_u32 s2, s2, s10
	v_mov_b32_e32 v2, 0
	s_addc_u32 s3, s3, s11
	global_store_dword v2, v4, s[18:19]
	global_store_dword v2, v5, s[2:3]
.LBB170_40:
	s_or_b64 exec, exec, s[0:1]
	v_mov_b32_e32 v13, 0
	v_and_b32_e32 v33, 1, v0
	v_mov_b32_e32 v12, 0
	v_mov_b32_e32 v15, 0
	;; [unrolled: 1-line block ×7, first 2 shown]
	s_and_saveexec_b64 s[2:3], s[8:9]
	s_cbranch_execz .LBB170_348
; %bb.41:
	s_ashr_i32 s15, s14, 31
	s_lshl_b64 s[0:1], s[14:15], 1
	v_lshlrev_b32_e32 v2, 3, v0
	s_add_u32 s6, s30, s0
	v_and_b32_e32 v3, 8, v2
	s_mov_b32 s5, s13
	s_addc_u32 s7, s31, s1
	s_add_i32 s13, s41, -1
	v_lshl_add_u32 v5, v6, 4, s40
	s_lshl_b64 s[0:1], s[28:29], 2
	v_and_b32_e32 v2, 0x1f8, v2
	v_add3_u32 v34, v5, v3, 7
	v_lshlrev_b32_e32 v3, 5, v33
	s_add_u32 s0, s26, s0
	v_mov_b32_e32 v21, 0
	v_or_b32_e32 v4, 0x800, v2
	v_or_b32_e32 v8, 0xa00, v2
	;; [unrolled: 1-line block ×4, first 2 shown]
	v_lshl_or_b32 v3, v6, 6, v3
	s_addc_u32 s1, s27, s1
	v_add_u32_e32 v35, 0x210, v3
	v_lshl_add_u64 v[22:23], v[10:11], 2, s[0:1]
	s_mov_b64 s[8:9], 0
	s_mov_b32 s14, 0x7f800000
	s_movk_i32 s15, 0x7fff
	v_lshlrev_b32_e32 v20, 1, v2
	v_lshlrev_b32_e32 v24, 1, v4
	;; [unrolled: 1-line block ×5, first 2 shown]
	v_mov_b32_e32 v18, v21
	v_mov_b32_e32 v19, v21
	;; [unrolled: 1-line block ×8, first 2 shown]
	s_branch .LBB170_43
.LBB170_42:                             ;   in Loop: Header=BB170_43 Depth=1
	s_or_b64 exec, exec, s[0:1]
	v_and_b32_e32 v44, 0xffff0000, v40
	v_and_b32_e32 v40, 0xffff0000, v39
	;; [unrolled: 1-line block ×8, first 2 shown]
	v_pk_add_f32 v[36:37], v[36:37], v[38:39]
	v_pk_add_f32 v[38:39], v[40:41], v[44:45]
	v_add_f32_e32 v11, v36, v37
	v_add_f32_e32 v11, v11, v38
	v_and_b32_e32 v41, 0xffff0000, v61
	v_and_b32_e32 v40, 0xffff0000, v59
	;; [unrolled: 1-line block ×4, first 2 shown]
	v_add_f32_e32 v11, v11, v39
	v_and_b32_e32 v37, 0xffff0000, v65
	v_and_b32_e32 v36, 0xffff0000, v63
	v_and_b32_e32 v39, 0xffff0000, v64
	v_and_b32_e32 v38, 0xffff0000, v62
	v_pk_add_f32 v[40:41], v[44:45], v[40:41]
	v_add_f32_e32 v18, v18, v11
	v_pk_add_f32 v[36:37], v[38:39], v[36:37]
	v_add_f32_e32 v11, v40, v41
	v_add_f32_e32 v11, v11, v36
	v_and_b32_e32 v41, 0xffff0000, v69
	v_and_b32_e32 v40, 0xffff0000, v67
	;; [unrolled: 1-line block ×4, first 2 shown]
	v_add_f32_e32 v11, v11, v37
	v_and_b32_e32 v37, 0xffff0000, v73
	v_and_b32_e32 v36, 0xffff0000, v71
	;; [unrolled: 1-line block ×4, first 2 shown]
	v_pk_add_f32 v[40:41], v[44:45], v[40:41]
	v_add_f32_e32 v19, v19, v11
	v_pk_add_f32 v[36:37], v[38:39], v[36:37]
	v_add_f32_e32 v11, v40, v41
	v_add_f32_e32 v11, v11, v36
	v_and_b32_e32 v41, 0xffff0000, v75
	v_and_b32_e32 v40, 0xffff0000, v9
	;; [unrolled: 1-line block ×4, first 2 shown]
	v_add_f32_e32 v11, v11, v37
	v_and_b32_e32 v37, 0xffff0000, v79
	v_and_b32_e32 v36, 0xffff0000, v77
	;; [unrolled: 1-line block ×4, first 2 shown]
	v_pk_add_f32 v[8:9], v[8:9], v[40:41]
	v_pk_add_f32 v[36:37], v[38:39], v[36:37]
	v_add_f32_e32 v8, v8, v9
	v_add_f32_e32 v8, v8, v36
	;; [unrolled: 1-line block ×3, first 2 shown]
	v_and_b32_e32 v39, 0xffff0000, v82
	v_and_b32_e32 v38, 0xffff0000, v80
	v_and_b32_e32 v41, 0xffff0000, v81
	v_and_b32_e32 v40, 0xffff0000, v25
	v_add_f32_e32 v17, v17, v8
	v_and_b32_e32 v9, 0xffff0000, v86
	v_and_b32_e32 v8, 0xffff0000, v84
	;; [unrolled: 1-line block ×4, first 2 shown]
	v_pk_add_f32 v[38:39], v[40:41], v[38:39]
	v_add_f32_e32 v16, v16, v11
	v_pk_add_f32 v[8:9], v[36:37], v[8:9]
	v_add_f32_e32 v11, v38, v39
	v_add_f32_e32 v8, v11, v8
	v_add_f32_e32 v8, v8, v9
	v_and_b32_e32 v39, 0xffff0000, v89
	v_and_b32_e32 v38, 0xffff0000, v87
	v_and_b32_e32 v41, 0xffff0000, v88
	v_and_b32_e32 v40, 0xffff0000, v27
	v_add_f32_e32 v14, v14, v8
	v_and_b32_e32 v9, 0xffff0000, v93
	v_and_b32_e32 v8, 0xffff0000, v91
	v_and_b32_e32 v37, 0xffff0000, v92
	v_and_b32_e32 v36, 0xffff0000, v90
	v_pk_add_f32 v[38:39], v[40:41], v[38:39]
	v_pk_add_f32 v[8:9], v[36:37], v[8:9]
	v_add_f32_e32 v11, v38, v39
	v_add_f32_e32 v8, v11, v8
	v_add_f32_e32 v8, v8, v9
	v_and_b32_e32 v39, 0xffff0000, v96
	v_and_b32_e32 v38, 0xffff0000, v94
	v_and_b32_e32 v41, 0xffff0000, v95
	v_and_b32_e32 v40, 0xffff0000, v29
	v_add_f32_e32 v15, v15, v8
	v_and_b32_e32 v9, 0xffff0000, v100
	v_and_b32_e32 v8, 0xffff0000, v98
	v_and_b32_e32 v37, 0xffff0000, v99
	v_and_b32_e32 v36, 0xffff0000, v97
	v_pk_add_f32 v[38:39], v[40:41], v[38:39]
	v_pk_add_f32 v[8:9], v[36:37], v[8:9]
	v_add_f32_e32 v11, v38, v39
	v_add_f32_e32 v8, v11, v8
	v_add_f32_e32 v8, v8, v9
	v_and_b32_e32 v7, 0xffff0000, v7
	v_and_b32_e32 v6, 0xffff0000, v6
	v_and_b32_e32 v3, 0xffff0000, v3
	v_and_b32_e32 v2, 0xffff0000, v2
	v_add_f32_e32 v12, v12, v8
	v_and_b32_e32 v9, 0xffff0000, v31
	v_and_b32_e32 v8, 0xffff0000, v42
	v_and_b32_e32 v5, 0xffff0000, v5
	v_and_b32_e32 v4, 0xffff0000, v4
	v_pk_add_f32 v[2:3], v[2:3], v[6:7]
	v_pk_add_f32 v[4:5], v[4:5], v[8:9]
	v_add_f32_e32 v2, v2, v3
	v_add_f32_e32 v2, v2, v4
	v_add_u32_e32 v10, 2, v10
	v_add_f32_e32 v2, v2, v5
	v_cmp_le_i32_e32 vcc, s23, v10
	v_add_f32_e32 v13, v13, v2
	v_add_u32_e32 v34, 32, v34
	v_add_u32_e32 v35, 0x80, v35
	s_or_b64 s[8:9], vcc, s[8:9]
	v_lshl_add_u64 v[22:23], v[22:23], 0, 8
	s_andn2_b64 exec, exec, s[8:9]
	s_cbranch_execz .LBB170_347
.LBB170_43:                             ; =>This Inner Loop Header: Depth=1
	global_load_dword v39, v[22:23], off
	ds_read2_b64 v[6:9], v35 offset1:1
	ds_read2_b64 v[2:5], v35 offset0:2 offset1:3
	s_waitcnt lgkmcnt(1)
	v_and_b32_e32 v11, 0x7f800000, v6
	v_cmp_ne_u32_e32 vcc, s14, v11
                                        ; implicit-def: $vgpr11
	s_and_saveexec_b64 s[0:1], vcc
	s_xor_b64 s[0:1], exec, s[0:1]
; %bb.44:                               ;   in Loop: Header=BB170_43 Depth=1
	v_bfe_u32 v11, v6, 16, 1
	v_add3_u32 v11, v6, v11, s15
; %bb.45:                               ;   in Loop: Header=BB170_43 Depth=1
	s_andn2_saveexec_b64 s[0:1], s[0:1]
; %bb.46:                               ;   in Loop: Header=BB170_43 Depth=1
	v_or_b32_e32 v11, 0x10000, v6
	v_cmp_eq_u32_sdwa vcc, v6, v21 src0_sel:WORD_0 src1_sel:DWORD
	s_nop 1
	v_cndmask_b32_e32 v11, v11, v6, vcc
; %bb.47:                               ;   in Loop: Header=BB170_43 Depth=1
	s_or_b64 exec, exec, s[0:1]
	v_and_b32_e32 v6, 0x7f800000, v7
	v_cmp_ne_u32_e32 vcc, s14, v6
                                        ; implicit-def: $vgpr36
	s_and_saveexec_b64 s[0:1], vcc
	s_xor_b64 s[0:1], exec, s[0:1]
; %bb.48:                               ;   in Loop: Header=BB170_43 Depth=1
	v_bfe_u32 v6, v7, 16, 1
	v_add3_u32 v36, v7, v6, s15
; %bb.49:                               ;   in Loop: Header=BB170_43 Depth=1
	s_andn2_saveexec_b64 s[0:1], s[0:1]
; %bb.50:                               ;   in Loop: Header=BB170_43 Depth=1
	v_or_b32_e32 v6, 0x10000, v7
	v_cmp_eq_u32_sdwa vcc, v7, v21 src0_sel:WORD_0 src1_sel:DWORD
	s_nop 1
	v_cndmask_b32_e32 v36, v6, v7, vcc
; %bb.51:                               ;   in Loop: Header=BB170_43 Depth=1
	s_or_b64 exec, exec, s[0:1]
	v_and_b32_e32 v6, 0x7f800000, v8
	v_cmp_ne_u32_e32 vcc, s14, v6
                                        ; implicit-def: $vgpr37
	s_and_saveexec_b64 s[0:1], vcc
	s_xor_b64 s[0:1], exec, s[0:1]
; %bb.52:                               ;   in Loop: Header=BB170_43 Depth=1
	v_bfe_u32 v6, v8, 16, 1
	v_add3_u32 v37, v8, v6, s15
; %bb.53:                               ;   in Loop: Header=BB170_43 Depth=1
	s_andn2_saveexec_b64 s[0:1], s[0:1]
; %bb.54:                               ;   in Loop: Header=BB170_43 Depth=1
	v_or_b32_e32 v6, 0x10000, v8
	v_cmp_eq_u32_sdwa vcc, v8, v21 src0_sel:WORD_0 src1_sel:DWORD
	s_nop 1
	v_cndmask_b32_e32 v37, v6, v8, vcc
; %bb.55:                               ;   in Loop: Header=BB170_43 Depth=1
	s_or_b64 exec, exec, s[0:1]
	v_and_b32_e32 v6, 0x7f800000, v9
	v_cmp_ne_u32_e32 vcc, s14, v6
                                        ; implicit-def: $vgpr38
	s_and_saveexec_b64 s[0:1], vcc
	s_xor_b64 s[0:1], exec, s[0:1]
; %bb.56:                               ;   in Loop: Header=BB170_43 Depth=1
	v_bfe_u32 v6, v9, 16, 1
	v_add3_u32 v38, v9, v6, s15
                                        ; implicit-def: $vgpr6_vgpr7_vgpr8_vgpr9
; %bb.57:                               ;   in Loop: Header=BB170_43 Depth=1
	s_andn2_saveexec_b64 s[0:1], s[0:1]
; %bb.58:                               ;   in Loop: Header=BB170_43 Depth=1
	v_or_b32_e32 v6, 0x10000, v9
	v_cmp_eq_u32_sdwa vcc, v9, v21 src0_sel:WORD_0 src1_sel:DWORD
	s_nop 1
	v_cndmask_b32_e32 v38, v6, v9, vcc
; %bb.59:                               ;   in Loop: Header=BB170_43 Depth=1
	s_or_b64 exec, exec, s[0:1]
	s_waitcnt lgkmcnt(0)
	v_and_b32_e32 v6, 0x7f800000, v2
	v_cmp_ne_u32_e32 vcc, s14, v6
                                        ; implicit-def: $vgpr31
	s_and_saveexec_b64 s[0:1], vcc
	s_xor_b64 s[0:1], exec, s[0:1]
; %bb.60:                               ;   in Loop: Header=BB170_43 Depth=1
	v_bfe_u32 v6, v2, 16, 1
	v_add3_u32 v31, v2, v6, s15
; %bb.61:                               ;   in Loop: Header=BB170_43 Depth=1
	s_andn2_saveexec_b64 s[0:1], s[0:1]
; %bb.62:                               ;   in Loop: Header=BB170_43 Depth=1
	v_or_b32_e32 v6, 0x10000, v2
	v_cmp_eq_u32_sdwa vcc, v2, v21 src0_sel:WORD_0 src1_sel:DWORD
	s_nop 1
	v_cndmask_b32_e32 v31, v6, v2, vcc
; %bb.63:                               ;   in Loop: Header=BB170_43 Depth=1
	s_or_b64 exec, exec, s[0:1]
	v_and_b32_e32 v2, 0x7f800000, v3
	v_cmp_ne_u32_e32 vcc, s14, v2
                                        ; implicit-def: $vgpr29
	s_and_saveexec_b64 s[0:1], vcc
	s_xor_b64 s[0:1], exec, s[0:1]
; %bb.64:                               ;   in Loop: Header=BB170_43 Depth=1
	v_bfe_u32 v2, v3, 16, 1
	v_add3_u32 v29, v3, v2, s15
; %bb.65:                               ;   in Loop: Header=BB170_43 Depth=1
	s_andn2_saveexec_b64 s[0:1], s[0:1]
; %bb.66:                               ;   in Loop: Header=BB170_43 Depth=1
	v_or_b32_e32 v2, 0x10000, v3
	v_cmp_eq_u32_sdwa vcc, v3, v21 src0_sel:WORD_0 src1_sel:DWORD
	s_nop 1
	v_cndmask_b32_e32 v29, v2, v3, vcc
; %bb.67:                               ;   in Loop: Header=BB170_43 Depth=1
	s_or_b64 exec, exec, s[0:1]
	v_and_b32_e32 v2, 0x7f800000, v4
	v_cmp_ne_u32_e32 vcc, s14, v2
                                        ; implicit-def: $vgpr27
	s_and_saveexec_b64 s[0:1], vcc
	s_xor_b64 s[0:1], exec, s[0:1]
; %bb.68:                               ;   in Loop: Header=BB170_43 Depth=1
	v_bfe_u32 v2, v4, 16, 1
	v_add3_u32 v27, v4, v2, s15
; %bb.69:                               ;   in Loop: Header=BB170_43 Depth=1
	s_andn2_saveexec_b64 s[0:1], s[0:1]
; %bb.70:                               ;   in Loop: Header=BB170_43 Depth=1
	v_or_b32_e32 v2, 0x10000, v4
	v_cmp_eq_u32_sdwa vcc, v4, v21 src0_sel:WORD_0 src1_sel:DWORD
	s_nop 1
	v_cndmask_b32_e32 v27, v2, v4, vcc
; %bb.71:                               ;   in Loop: Header=BB170_43 Depth=1
	s_or_b64 exec, exec, s[0:1]
	v_and_b32_e32 v2, 0x7f800000, v5
	v_cmp_ne_u32_e32 vcc, s14, v2
                                        ; implicit-def: $vgpr25
	s_and_saveexec_b64 s[0:1], vcc
	s_xor_b64 s[0:1], exec, s[0:1]
; %bb.72:                               ;   in Loop: Header=BB170_43 Depth=1
	v_bfe_u32 v2, v5, 16, 1
	v_add3_u32 v25, v5, v2, s15
                                        ; implicit-def: $vgpr2_vgpr3_vgpr4_vgpr5
; %bb.73:                               ;   in Loop: Header=BB170_43 Depth=1
	s_andn2_saveexec_b64 s[0:1], s[0:1]
; %bb.74:                               ;   in Loop: Header=BB170_43 Depth=1
	v_or_b32_e32 v2, 0x10000, v5
	v_cmp_eq_u32_sdwa vcc, v5, v21 src0_sel:WORD_0 src1_sel:DWORD
	s_nop 1
	v_cndmask_b32_e32 v25, v2, v5, vcc
; %bb.75:                               ;   in Loop: Header=BB170_43 Depth=1
	s_or_b64 exec, exec, s[0:1]
	s_waitcnt vmcnt(0)
	v_mad_i64_i32 v[2:3], s[0:1], v39, s5, 0
	v_lshl_add_u64 v[6:7], v[2:3], 1, s[6:7]
	v_lshl_add_u64 v[8:9], v[6:7], 0, v[20:21]
	global_load_dwordx4 v[2:5], v[8:9], off
	v_add_u32_e32 v42, -7, v34
	v_cmp_eq_u32_e32 vcc, s13, v10
	v_add_u32_e32 v48, -6, v34
	v_add_u32_e32 v46, -5, v34
	;; [unrolled: 1-line block ×6, first 2 shown]
	s_waitcnt vmcnt(0)
	v_lshrrev_b32_e32 v41, 16, v2
	v_lshrrev_b32_e32 v39, 16, v3
	;; [unrolled: 1-line block ×4, first 2 shown]
	s_and_saveexec_b64 s[10:11], vcc
	s_cbranch_execz .LBB170_77
; %bb.76:                               ;   in Loop: Header=BB170_43 Depth=1
	v_cmp_gt_i32_e64 s[0:1], s33, v42
	s_nop 1
	v_cndmask_b32_e64 v2, 0, v2, s[0:1]
	v_cmp_gt_i32_e64 s[0:1], s33, v48
	s_nop 1
	v_cndmask_b32_e64 v41, 0, v41, s[0:1]
	;; [unrolled: 3-line block ×8, first 2 shown]
.LBB170_77:                             ;   in Loop: Header=BB170_43 Depth=1
	s_or_b64 exec, exec, s[10:11]
	v_and_b32_e32 v50, 0xffff0000, v11
	v_lshlrev_b32_e32 v2, 16, v2
	v_mul_f32_e32 v2, v50, v2
	v_and_b32_e32 v11, 0x7f800000, v2
	v_cmp_ne_u32_e64 s[0:1], s14, v11
                                        ; implicit-def: $vgpr11
	s_and_saveexec_b64 s[10:11], s[0:1]
	s_xor_b64 s[0:1], exec, s[10:11]
; %bb.78:                               ;   in Loop: Header=BB170_43 Depth=1
	v_bfe_u32 v11, v2, 16, 1
	v_add3_u32 v11, v2, v11, s15
                                        ; implicit-def: $vgpr2
; %bb.79:                               ;   in Loop: Header=BB170_43 Depth=1
	s_andn2_saveexec_b64 s[10:11], s[0:1]
; %bb.80:                               ;   in Loop: Header=BB170_43 Depth=1
	v_or_b32_e32 v11, 0x10000, v2
	v_cmp_eq_u32_sdwa s[0:1], v2, v21 src0_sel:WORD_0 src1_sel:DWORD
	s_nop 1
	v_cndmask_b32_e64 v11, v11, v2, s[0:1]
; %bb.81:                               ;   in Loop: Header=BB170_43 Depth=1
	s_or_b64 exec, exec, s[10:11]
	v_and_b32_e32 v51, 0xffff0000, v36
	v_lshlrev_b32_e32 v2, 16, v41
	v_mul_f32_e32 v2, v51, v2
	v_and_b32_e32 v36, 0x7f800000, v2
	v_cmp_ne_u32_e64 s[0:1], s14, v36
                                        ; implicit-def: $vgpr36
	s_and_saveexec_b64 s[10:11], s[0:1]
	s_xor_b64 s[0:1], exec, s[10:11]
; %bb.82:                               ;   in Loop: Header=BB170_43 Depth=1
	v_bfe_u32 v36, v2, 16, 1
	v_add3_u32 v36, v2, v36, s15
                                        ; implicit-def: $vgpr2
; %bb.83:                               ;   in Loop: Header=BB170_43 Depth=1
	s_andn2_saveexec_b64 s[10:11], s[0:1]
; %bb.84:                               ;   in Loop: Header=BB170_43 Depth=1
	v_or_b32_e32 v36, 0x10000, v2
	v_cmp_eq_u32_sdwa s[0:1], v2, v21 src0_sel:WORD_0 src1_sel:DWORD
	s_nop 1
	v_cndmask_b32_e64 v36, v36, v2, s[0:1]
; %bb.85:                               ;   in Loop: Header=BB170_43 Depth=1
	s_or_b64 exec, exec, s[10:11]
	v_and_b32_e32 v52, 0xffff0000, v37
	v_lshlrev_b32_e32 v2, 16, v3
	v_mul_f32_e32 v2, v52, v2
	v_and_b32_e32 v3, 0x7f800000, v2
	v_cmp_ne_u32_e64 s[0:1], s14, v3
                                        ; implicit-def: $vgpr37
	s_and_saveexec_b64 s[10:11], s[0:1]
	s_xor_b64 s[0:1], exec, s[10:11]
; %bb.86:                               ;   in Loop: Header=BB170_43 Depth=1
	v_bfe_u32 v3, v2, 16, 1
	v_add3_u32 v37, v2, v3, s15
                                        ; implicit-def: $vgpr2
; %bb.87:                               ;   in Loop: Header=BB170_43 Depth=1
	s_andn2_saveexec_b64 s[10:11], s[0:1]
; %bb.88:                               ;   in Loop: Header=BB170_43 Depth=1
	v_or_b32_e32 v3, 0x10000, v2
	v_cmp_eq_u32_sdwa s[0:1], v2, v21 src0_sel:WORD_0 src1_sel:DWORD
	s_nop 1
	v_cndmask_b32_e64 v37, v3, v2, s[0:1]
; %bb.89:                               ;   in Loop: Header=BB170_43 Depth=1
	s_or_b64 exec, exec, s[10:11]
	v_and_b32_e32 v53, 0xffff0000, v38
	v_lshlrev_b32_e32 v2, 16, v39
	v_mul_f32_e32 v2, v53, v2
	v_and_b32_e32 v3, 0x7f800000, v2
	v_cmp_ne_u32_e64 s[0:1], s14, v3
                                        ; implicit-def: $vgpr38
	s_and_saveexec_b64 s[10:11], s[0:1]
	s_xor_b64 s[0:1], exec, s[10:11]
; %bb.90:                               ;   in Loop: Header=BB170_43 Depth=1
	v_bfe_u32 v3, v2, 16, 1
	v_add3_u32 v38, v2, v3, s15
                                        ; implicit-def: $vgpr2
; %bb.91:                               ;   in Loop: Header=BB170_43 Depth=1
	s_andn2_saveexec_b64 s[10:11], s[0:1]
; %bb.92:                               ;   in Loop: Header=BB170_43 Depth=1
	v_or_b32_e32 v3, 0x10000, v2
	v_cmp_eq_u32_sdwa s[0:1], v2, v21 src0_sel:WORD_0 src1_sel:DWORD
	s_nop 1
	v_cndmask_b32_e64 v38, v3, v2, s[0:1]
; %bb.93:                               ;   in Loop: Header=BB170_43 Depth=1
	s_or_b64 exec, exec, s[10:11]
	v_and_b32_e32 v54, 0xffff0000, v31
	v_lshlrev_b32_e32 v2, 16, v4
	v_mul_f32_e32 v2, v54, v2
	v_and_b32_e32 v3, 0x7f800000, v2
	v_cmp_ne_u32_e64 s[0:1], s14, v3
                                        ; implicit-def: $vgpr39
	s_and_saveexec_b64 s[10:11], s[0:1]
	s_xor_b64 s[0:1], exec, s[10:11]
; %bb.94:                               ;   in Loop: Header=BB170_43 Depth=1
	v_bfe_u32 v3, v2, 16, 1
	v_add3_u32 v39, v2, v3, s15
                                        ; implicit-def: $vgpr2
; %bb.95:                               ;   in Loop: Header=BB170_43 Depth=1
	s_andn2_saveexec_b64 s[10:11], s[0:1]
; %bb.96:                               ;   in Loop: Header=BB170_43 Depth=1
	v_or_b32_e32 v3, 0x10000, v2
	v_cmp_eq_u32_sdwa s[0:1], v2, v21 src0_sel:WORD_0 src1_sel:DWORD
	s_nop 1
	v_cndmask_b32_e64 v39, v3, v2, s[0:1]
; %bb.97:                               ;   in Loop: Header=BB170_43 Depth=1
	s_or_b64 exec, exec, s[10:11]
	v_and_b32_e32 v55, 0xffff0000, v29
	v_lshlrev_b32_e32 v2, 16, v40
	v_mul_f32_e32 v2, v55, v2
	v_and_b32_e32 v3, 0x7f800000, v2
	v_cmp_ne_u32_e64 s[0:1], s14, v3
                                        ; implicit-def: $vgpr40
	s_and_saveexec_b64 s[10:11], s[0:1]
	s_xor_b64 s[0:1], exec, s[10:11]
; %bb.98:                               ;   in Loop: Header=BB170_43 Depth=1
	v_bfe_u32 v3, v2, 16, 1
	v_add3_u32 v40, v2, v3, s15
                                        ; implicit-def: $vgpr2
; %bb.99:                               ;   in Loop: Header=BB170_43 Depth=1
	s_andn2_saveexec_b64 s[10:11], s[0:1]
; %bb.100:                              ;   in Loop: Header=BB170_43 Depth=1
	v_or_b32_e32 v3, 0x10000, v2
	v_cmp_eq_u32_sdwa s[0:1], v2, v21 src0_sel:WORD_0 src1_sel:DWORD
	s_nop 1
	v_cndmask_b32_e64 v40, v3, v2, s[0:1]
; %bb.101:                              ;   in Loop: Header=BB170_43 Depth=1
	s_or_b64 exec, exec, s[10:11]
	v_and_b32_e32 v56, 0xffff0000, v27
	v_lshlrev_b32_e32 v2, 16, v5
	v_mul_f32_e32 v2, v56, v2
	v_and_b32_e32 v3, 0x7f800000, v2
	v_cmp_ne_u32_e64 s[0:1], s14, v3
                                        ; implicit-def: $vgpr41
	s_and_saveexec_b64 s[10:11], s[0:1]
	s_xor_b64 s[0:1], exec, s[10:11]
; %bb.102:                              ;   in Loop: Header=BB170_43 Depth=1
	v_bfe_u32 v3, v2, 16, 1
	v_add3_u32 v41, v2, v3, s15
                                        ; implicit-def: $vgpr2
; %bb.103:                              ;   in Loop: Header=BB170_43 Depth=1
	s_andn2_saveexec_b64 s[10:11], s[0:1]
; %bb.104:                              ;   in Loop: Header=BB170_43 Depth=1
	v_or_b32_e32 v3, 0x10000, v2
	v_cmp_eq_u32_sdwa s[0:1], v2, v21 src0_sel:WORD_0 src1_sel:DWORD
	s_nop 1
	v_cndmask_b32_e64 v41, v3, v2, s[0:1]
; %bb.105:                              ;   in Loop: Header=BB170_43 Depth=1
	s_or_b64 exec, exec, s[10:11]
	v_and_b32_e32 v57, 0xffff0000, v25
	v_lshlrev_b32_e32 v2, 16, v49
	v_mul_f32_e32 v2, v57, v2
	v_and_b32_e32 v3, 0x7f800000, v2
	v_cmp_ne_u32_e64 s[0:1], s14, v3
                                        ; implicit-def: $vgpr49
	s_and_saveexec_b64 s[10:11], s[0:1]
	s_xor_b64 s[0:1], exec, s[10:11]
; %bb.106:                              ;   in Loop: Header=BB170_43 Depth=1
	v_bfe_u32 v3, v2, 16, 1
	v_add3_u32 v49, v2, v3, s15
                                        ; implicit-def: $vgpr2
; %bb.107:                              ;   in Loop: Header=BB170_43 Depth=1
	s_andn2_saveexec_b64 s[10:11], s[0:1]
; %bb.108:                              ;   in Loop: Header=BB170_43 Depth=1
	v_or_b32_e32 v3, 0x10000, v2
	v_cmp_eq_u32_sdwa s[0:1], v2, v21 src0_sel:WORD_0 src1_sel:DWORD
	s_nop 1
	v_cndmask_b32_e64 v49, v3, v2, s[0:1]
; %bb.109:                              ;   in Loop: Header=BB170_43 Depth=1
	s_or_b64 exec, exec, s[10:11]
	global_load_dwordx4 v[2:5], v[8:9], off offset:1024
	s_waitcnt vmcnt(0)
	v_lshrrev_b32_e32 v31, 16, v2
	v_lshrrev_b32_e32 v29, 16, v3
	;; [unrolled: 1-line block ×4, first 2 shown]
	s_and_saveexec_b64 s[10:11], vcc
	s_cbranch_execz .LBB170_111
; %bb.110:                              ;   in Loop: Header=BB170_43 Depth=1
	v_cmp_gt_i32_e64 s[0:1], s33, v42
	s_nop 1
	v_cndmask_b32_e64 v2, 0, v2, s[0:1]
	v_cmp_gt_i32_e64 s[0:1], s33, v48
	s_nop 1
	v_cndmask_b32_e64 v31, 0, v31, s[0:1]
	;; [unrolled: 3-line block ×8, first 2 shown]
.LBB170_111:                            ;   in Loop: Header=BB170_43 Depth=1
	s_or_b64 exec, exec, s[10:11]
	v_lshlrev_b32_e32 v2, 16, v2
	v_mul_f32_e32 v2, v50, v2
	v_and_b32_e32 v58, 0x7f800000, v2
	v_cmp_ne_u32_e64 s[0:1], s14, v58
                                        ; implicit-def: $vgpr58
	s_and_saveexec_b64 s[10:11], s[0:1]
	s_xor_b64 s[0:1], exec, s[10:11]
; %bb.112:                              ;   in Loop: Header=BB170_43 Depth=1
	v_bfe_u32 v58, v2, 16, 1
	v_add3_u32 v58, v2, v58, s15
                                        ; implicit-def: $vgpr2
; %bb.113:                              ;   in Loop: Header=BB170_43 Depth=1
	s_andn2_saveexec_b64 s[10:11], s[0:1]
; %bb.114:                              ;   in Loop: Header=BB170_43 Depth=1
	v_or_b32_e32 v58, 0x10000, v2
	v_cmp_eq_u32_sdwa s[0:1], v2, v21 src0_sel:WORD_0 src1_sel:DWORD
	s_nop 1
	v_cndmask_b32_e64 v58, v58, v2, s[0:1]
; %bb.115:                              ;   in Loop: Header=BB170_43 Depth=1
	s_or_b64 exec, exec, s[10:11]
	v_lshlrev_b32_e32 v2, 16, v31
	v_mul_f32_e32 v2, v51, v2
	v_and_b32_e32 v31, 0x7f800000, v2
	v_cmp_ne_u32_e64 s[0:1], s14, v31
                                        ; implicit-def: $vgpr59
	s_and_saveexec_b64 s[10:11], s[0:1]
	s_xor_b64 s[0:1], exec, s[10:11]
; %bb.116:                              ;   in Loop: Header=BB170_43 Depth=1
	v_bfe_u32 v31, v2, 16, 1
	v_add3_u32 v59, v2, v31, s15
                                        ; implicit-def: $vgpr2
; %bb.117:                              ;   in Loop: Header=BB170_43 Depth=1
	s_andn2_saveexec_b64 s[10:11], s[0:1]
; %bb.118:                              ;   in Loop: Header=BB170_43 Depth=1
	v_or_b32_e32 v31, 0x10000, v2
	v_cmp_eq_u32_sdwa s[0:1], v2, v21 src0_sel:WORD_0 src1_sel:DWORD
	s_nop 1
	v_cndmask_b32_e64 v59, v31, v2, s[0:1]
; %bb.119:                              ;   in Loop: Header=BB170_43 Depth=1
	s_or_b64 exec, exec, s[10:11]
	v_lshlrev_b32_e32 v2, 16, v3
	v_mul_f32_e32 v2, v52, v2
	v_and_b32_e32 v3, 0x7f800000, v2
	v_cmp_ne_u32_e64 s[0:1], s14, v3
                                        ; implicit-def: $vgpr60
	s_and_saveexec_b64 s[10:11], s[0:1]
	s_xor_b64 s[0:1], exec, s[10:11]
; %bb.120:                              ;   in Loop: Header=BB170_43 Depth=1
	v_bfe_u32 v3, v2, 16, 1
	v_add3_u32 v60, v2, v3, s15
                                        ; implicit-def: $vgpr2
; %bb.121:                              ;   in Loop: Header=BB170_43 Depth=1
	s_andn2_saveexec_b64 s[10:11], s[0:1]
; %bb.122:                              ;   in Loop: Header=BB170_43 Depth=1
	v_or_b32_e32 v3, 0x10000, v2
	v_cmp_eq_u32_sdwa s[0:1], v2, v21 src0_sel:WORD_0 src1_sel:DWORD
	s_nop 1
	v_cndmask_b32_e64 v60, v3, v2, s[0:1]
; %bb.123:                              ;   in Loop: Header=BB170_43 Depth=1
	s_or_b64 exec, exec, s[10:11]
	v_lshlrev_b32_e32 v2, 16, v29
	v_mul_f32_e32 v2, v53, v2
	v_and_b32_e32 v3, 0x7f800000, v2
	v_cmp_ne_u32_e64 s[0:1], s14, v3
                                        ; implicit-def: $vgpr61
	s_and_saveexec_b64 s[10:11], s[0:1]
	s_xor_b64 s[0:1], exec, s[10:11]
; %bb.124:                              ;   in Loop: Header=BB170_43 Depth=1
	v_bfe_u32 v3, v2, 16, 1
	v_add3_u32 v61, v2, v3, s15
                                        ; implicit-def: $vgpr2
; %bb.125:                              ;   in Loop: Header=BB170_43 Depth=1
	s_andn2_saveexec_b64 s[10:11], s[0:1]
; %bb.126:                              ;   in Loop: Header=BB170_43 Depth=1
	v_or_b32_e32 v3, 0x10000, v2
	v_cmp_eq_u32_sdwa s[0:1], v2, v21 src0_sel:WORD_0 src1_sel:DWORD
	s_nop 1
	v_cndmask_b32_e64 v61, v3, v2, s[0:1]
; %bb.127:                              ;   in Loop: Header=BB170_43 Depth=1
	s_or_b64 exec, exec, s[10:11]
	v_lshlrev_b32_e32 v2, 16, v4
	v_mul_f32_e32 v2, v54, v2
	v_and_b32_e32 v3, 0x7f800000, v2
	v_cmp_ne_u32_e64 s[0:1], s14, v3
                                        ; implicit-def: $vgpr62
	s_and_saveexec_b64 s[10:11], s[0:1]
	s_xor_b64 s[0:1], exec, s[10:11]
; %bb.128:                              ;   in Loop: Header=BB170_43 Depth=1
	v_bfe_u32 v3, v2, 16, 1
	v_add3_u32 v62, v2, v3, s15
                                        ; implicit-def: $vgpr2
; %bb.129:                              ;   in Loop: Header=BB170_43 Depth=1
	s_andn2_saveexec_b64 s[10:11], s[0:1]
; %bb.130:                              ;   in Loop: Header=BB170_43 Depth=1
	v_or_b32_e32 v3, 0x10000, v2
	v_cmp_eq_u32_sdwa s[0:1], v2, v21 src0_sel:WORD_0 src1_sel:DWORD
	s_nop 1
	v_cndmask_b32_e64 v62, v3, v2, s[0:1]
; %bb.131:                              ;   in Loop: Header=BB170_43 Depth=1
	s_or_b64 exec, exec, s[10:11]
	v_lshlrev_b32_e32 v2, 16, v27
	v_mul_f32_e32 v2, v55, v2
	v_and_b32_e32 v3, 0x7f800000, v2
	v_cmp_ne_u32_e64 s[0:1], s14, v3
                                        ; implicit-def: $vgpr63
	s_and_saveexec_b64 s[10:11], s[0:1]
	s_xor_b64 s[0:1], exec, s[10:11]
; %bb.132:                              ;   in Loop: Header=BB170_43 Depth=1
	v_bfe_u32 v3, v2, 16, 1
	v_add3_u32 v63, v2, v3, s15
                                        ; implicit-def: $vgpr2
; %bb.133:                              ;   in Loop: Header=BB170_43 Depth=1
	s_andn2_saveexec_b64 s[10:11], s[0:1]
; %bb.134:                              ;   in Loop: Header=BB170_43 Depth=1
	v_or_b32_e32 v3, 0x10000, v2
	v_cmp_eq_u32_sdwa s[0:1], v2, v21 src0_sel:WORD_0 src1_sel:DWORD
	s_nop 1
	v_cndmask_b32_e64 v63, v3, v2, s[0:1]
; %bb.135:                              ;   in Loop: Header=BB170_43 Depth=1
	s_or_b64 exec, exec, s[10:11]
	v_lshlrev_b32_e32 v2, 16, v5
	v_mul_f32_e32 v2, v56, v2
	v_and_b32_e32 v3, 0x7f800000, v2
	v_cmp_ne_u32_e64 s[0:1], s14, v3
                                        ; implicit-def: $vgpr64
	s_and_saveexec_b64 s[10:11], s[0:1]
	s_xor_b64 s[0:1], exec, s[10:11]
; %bb.136:                              ;   in Loop: Header=BB170_43 Depth=1
	v_bfe_u32 v3, v2, 16, 1
	v_add3_u32 v64, v2, v3, s15
                                        ; implicit-def: $vgpr2
; %bb.137:                              ;   in Loop: Header=BB170_43 Depth=1
	s_andn2_saveexec_b64 s[10:11], s[0:1]
; %bb.138:                              ;   in Loop: Header=BB170_43 Depth=1
	v_or_b32_e32 v3, 0x10000, v2
	v_cmp_eq_u32_sdwa s[0:1], v2, v21 src0_sel:WORD_0 src1_sel:DWORD
	s_nop 1
	v_cndmask_b32_e64 v64, v3, v2, s[0:1]
; %bb.139:                              ;   in Loop: Header=BB170_43 Depth=1
	s_or_b64 exec, exec, s[10:11]
	v_lshlrev_b32_e32 v2, 16, v25
	v_mul_f32_e32 v2, v57, v2
	v_and_b32_e32 v3, 0x7f800000, v2
	v_cmp_ne_u32_e64 s[0:1], s14, v3
                                        ; implicit-def: $vgpr65
	s_and_saveexec_b64 s[10:11], s[0:1]
	s_xor_b64 s[0:1], exec, s[10:11]
; %bb.140:                              ;   in Loop: Header=BB170_43 Depth=1
	v_bfe_u32 v3, v2, 16, 1
	v_add3_u32 v65, v2, v3, s15
                                        ; implicit-def: $vgpr2
; %bb.141:                              ;   in Loop: Header=BB170_43 Depth=1
	s_andn2_saveexec_b64 s[10:11], s[0:1]
; %bb.142:                              ;   in Loop: Header=BB170_43 Depth=1
	v_or_b32_e32 v3, 0x10000, v2
	v_cmp_eq_u32_sdwa s[0:1], v2, v21 src0_sel:WORD_0 src1_sel:DWORD
	s_nop 1
	v_cndmask_b32_e64 v65, v3, v2, s[0:1]
; %bb.143:                              ;   in Loop: Header=BB170_43 Depth=1
	s_or_b64 exec, exec, s[10:11]
	global_load_dwordx4 v[2:5], v[8:9], off offset:2048
	s_waitcnt vmcnt(0)
	v_lshrrev_b32_e32 v31, 16, v2
	v_lshrrev_b32_e32 v29, 16, v3
	;; [unrolled: 1-line block ×4, first 2 shown]
	s_and_saveexec_b64 s[10:11], vcc
	s_cbranch_execz .LBB170_145
; %bb.144:                              ;   in Loop: Header=BB170_43 Depth=1
	v_cmp_gt_i32_e64 s[0:1], s33, v42
	s_nop 1
	v_cndmask_b32_e64 v2, 0, v2, s[0:1]
	v_cmp_gt_i32_e64 s[0:1], s33, v48
	s_nop 1
	v_cndmask_b32_e64 v31, 0, v31, s[0:1]
	;; [unrolled: 3-line block ×8, first 2 shown]
.LBB170_145:                            ;   in Loop: Header=BB170_43 Depth=1
	s_or_b64 exec, exec, s[10:11]
	v_lshlrev_b32_e32 v2, 16, v2
	v_mul_f32_e32 v2, v50, v2
	v_and_b32_e32 v66, 0x7f800000, v2
	v_cmp_ne_u32_e64 s[0:1], s14, v66
                                        ; implicit-def: $vgpr66
	s_and_saveexec_b64 s[10:11], s[0:1]
	s_xor_b64 s[0:1], exec, s[10:11]
; %bb.146:                              ;   in Loop: Header=BB170_43 Depth=1
	v_bfe_u32 v66, v2, 16, 1
	v_add3_u32 v66, v2, v66, s15
                                        ; implicit-def: $vgpr2
; %bb.147:                              ;   in Loop: Header=BB170_43 Depth=1
	s_andn2_saveexec_b64 s[10:11], s[0:1]
; %bb.148:                              ;   in Loop: Header=BB170_43 Depth=1
	v_or_b32_e32 v66, 0x10000, v2
	v_cmp_eq_u32_sdwa s[0:1], v2, v21 src0_sel:WORD_0 src1_sel:DWORD
	s_nop 1
	v_cndmask_b32_e64 v66, v66, v2, s[0:1]
; %bb.149:                              ;   in Loop: Header=BB170_43 Depth=1
	s_or_b64 exec, exec, s[10:11]
	v_lshlrev_b32_e32 v2, 16, v31
	v_mul_f32_e32 v2, v51, v2
	v_and_b32_e32 v31, 0x7f800000, v2
	v_cmp_ne_u32_e64 s[0:1], s14, v31
                                        ; implicit-def: $vgpr67
	s_and_saveexec_b64 s[10:11], s[0:1]
	s_xor_b64 s[0:1], exec, s[10:11]
; %bb.150:                              ;   in Loop: Header=BB170_43 Depth=1
	v_bfe_u32 v31, v2, 16, 1
	v_add3_u32 v67, v2, v31, s15
                                        ; implicit-def: $vgpr2
; %bb.151:                              ;   in Loop: Header=BB170_43 Depth=1
	s_andn2_saveexec_b64 s[10:11], s[0:1]
; %bb.152:                              ;   in Loop: Header=BB170_43 Depth=1
	v_or_b32_e32 v31, 0x10000, v2
	v_cmp_eq_u32_sdwa s[0:1], v2, v21 src0_sel:WORD_0 src1_sel:DWORD
	s_nop 1
	v_cndmask_b32_e64 v67, v31, v2, s[0:1]
; %bb.153:                              ;   in Loop: Header=BB170_43 Depth=1
	s_or_b64 exec, exec, s[10:11]
	v_lshlrev_b32_e32 v2, 16, v3
	v_mul_f32_e32 v2, v52, v2
	v_and_b32_e32 v3, 0x7f800000, v2
	v_cmp_ne_u32_e64 s[0:1], s14, v3
                                        ; implicit-def: $vgpr68
	s_and_saveexec_b64 s[10:11], s[0:1]
	s_xor_b64 s[0:1], exec, s[10:11]
; %bb.154:                              ;   in Loop: Header=BB170_43 Depth=1
	v_bfe_u32 v3, v2, 16, 1
	v_add3_u32 v68, v2, v3, s15
                                        ; implicit-def: $vgpr2
; %bb.155:                              ;   in Loop: Header=BB170_43 Depth=1
	s_andn2_saveexec_b64 s[10:11], s[0:1]
; %bb.156:                              ;   in Loop: Header=BB170_43 Depth=1
	v_or_b32_e32 v3, 0x10000, v2
	v_cmp_eq_u32_sdwa s[0:1], v2, v21 src0_sel:WORD_0 src1_sel:DWORD
	s_nop 1
	v_cndmask_b32_e64 v68, v3, v2, s[0:1]
; %bb.157:                              ;   in Loop: Header=BB170_43 Depth=1
	s_or_b64 exec, exec, s[10:11]
	v_lshlrev_b32_e32 v2, 16, v29
	v_mul_f32_e32 v2, v53, v2
	v_and_b32_e32 v3, 0x7f800000, v2
	v_cmp_ne_u32_e64 s[0:1], s14, v3
                                        ; implicit-def: $vgpr69
	s_and_saveexec_b64 s[10:11], s[0:1]
	s_xor_b64 s[0:1], exec, s[10:11]
; %bb.158:                              ;   in Loop: Header=BB170_43 Depth=1
	v_bfe_u32 v3, v2, 16, 1
	v_add3_u32 v69, v2, v3, s15
                                        ; implicit-def: $vgpr2
; %bb.159:                              ;   in Loop: Header=BB170_43 Depth=1
	s_andn2_saveexec_b64 s[10:11], s[0:1]
; %bb.160:                              ;   in Loop: Header=BB170_43 Depth=1
	v_or_b32_e32 v3, 0x10000, v2
	v_cmp_eq_u32_sdwa s[0:1], v2, v21 src0_sel:WORD_0 src1_sel:DWORD
	s_nop 1
	v_cndmask_b32_e64 v69, v3, v2, s[0:1]
; %bb.161:                              ;   in Loop: Header=BB170_43 Depth=1
	s_or_b64 exec, exec, s[10:11]
	v_lshlrev_b32_e32 v2, 16, v4
	v_mul_f32_e32 v2, v54, v2
	v_and_b32_e32 v3, 0x7f800000, v2
	v_cmp_ne_u32_e64 s[0:1], s14, v3
                                        ; implicit-def: $vgpr70
	s_and_saveexec_b64 s[10:11], s[0:1]
	s_xor_b64 s[0:1], exec, s[10:11]
; %bb.162:                              ;   in Loop: Header=BB170_43 Depth=1
	v_bfe_u32 v3, v2, 16, 1
	v_add3_u32 v70, v2, v3, s15
                                        ; implicit-def: $vgpr2
; %bb.163:                              ;   in Loop: Header=BB170_43 Depth=1
	s_andn2_saveexec_b64 s[10:11], s[0:1]
; %bb.164:                              ;   in Loop: Header=BB170_43 Depth=1
	v_or_b32_e32 v3, 0x10000, v2
	v_cmp_eq_u32_sdwa s[0:1], v2, v21 src0_sel:WORD_0 src1_sel:DWORD
	s_nop 1
	v_cndmask_b32_e64 v70, v3, v2, s[0:1]
; %bb.165:                              ;   in Loop: Header=BB170_43 Depth=1
	s_or_b64 exec, exec, s[10:11]
	v_lshlrev_b32_e32 v2, 16, v27
	v_mul_f32_e32 v2, v55, v2
	v_and_b32_e32 v3, 0x7f800000, v2
	v_cmp_ne_u32_e64 s[0:1], s14, v3
                                        ; implicit-def: $vgpr71
	s_and_saveexec_b64 s[10:11], s[0:1]
	s_xor_b64 s[0:1], exec, s[10:11]
; %bb.166:                              ;   in Loop: Header=BB170_43 Depth=1
	v_bfe_u32 v3, v2, 16, 1
	v_add3_u32 v71, v2, v3, s15
                                        ; implicit-def: $vgpr2
; %bb.167:                              ;   in Loop: Header=BB170_43 Depth=1
	s_andn2_saveexec_b64 s[10:11], s[0:1]
; %bb.168:                              ;   in Loop: Header=BB170_43 Depth=1
	v_or_b32_e32 v3, 0x10000, v2
	v_cmp_eq_u32_sdwa s[0:1], v2, v21 src0_sel:WORD_0 src1_sel:DWORD
	s_nop 1
	v_cndmask_b32_e64 v71, v3, v2, s[0:1]
; %bb.169:                              ;   in Loop: Header=BB170_43 Depth=1
	s_or_b64 exec, exec, s[10:11]
	v_lshlrev_b32_e32 v2, 16, v5
	v_mul_f32_e32 v2, v56, v2
	v_and_b32_e32 v3, 0x7f800000, v2
	v_cmp_ne_u32_e64 s[0:1], s14, v3
                                        ; implicit-def: $vgpr72
	s_and_saveexec_b64 s[10:11], s[0:1]
	s_xor_b64 s[0:1], exec, s[10:11]
; %bb.170:                              ;   in Loop: Header=BB170_43 Depth=1
	v_bfe_u32 v3, v2, 16, 1
	v_add3_u32 v72, v2, v3, s15
                                        ; implicit-def: $vgpr2
; %bb.171:                              ;   in Loop: Header=BB170_43 Depth=1
	s_andn2_saveexec_b64 s[10:11], s[0:1]
; %bb.172:                              ;   in Loop: Header=BB170_43 Depth=1
	v_or_b32_e32 v3, 0x10000, v2
	v_cmp_eq_u32_sdwa s[0:1], v2, v21 src0_sel:WORD_0 src1_sel:DWORD
	s_nop 1
	v_cndmask_b32_e64 v72, v3, v2, s[0:1]
; %bb.173:                              ;   in Loop: Header=BB170_43 Depth=1
	s_or_b64 exec, exec, s[10:11]
	v_lshlrev_b32_e32 v2, 16, v25
	v_mul_f32_e32 v2, v57, v2
	v_and_b32_e32 v3, 0x7f800000, v2
	v_cmp_ne_u32_e64 s[0:1], s14, v3
                                        ; implicit-def: $vgpr73
	s_and_saveexec_b64 s[10:11], s[0:1]
	s_xor_b64 s[0:1], exec, s[10:11]
; %bb.174:                              ;   in Loop: Header=BB170_43 Depth=1
	v_bfe_u32 v3, v2, 16, 1
	v_add3_u32 v73, v2, v3, s15
                                        ; implicit-def: $vgpr2
; %bb.175:                              ;   in Loop: Header=BB170_43 Depth=1
	s_andn2_saveexec_b64 s[10:11], s[0:1]
; %bb.176:                              ;   in Loop: Header=BB170_43 Depth=1
	v_or_b32_e32 v3, 0x10000, v2
	v_cmp_eq_u32_sdwa s[0:1], v2, v21 src0_sel:WORD_0 src1_sel:DWORD
	s_nop 1
	v_cndmask_b32_e64 v73, v3, v2, s[0:1]
; %bb.177:                              ;   in Loop: Header=BB170_43 Depth=1
	s_or_b64 exec, exec, s[10:11]
	global_load_dwordx4 v[2:5], v[8:9], off offset:3072
	s_waitcnt vmcnt(0)
	v_lshrrev_b32_e32 v9, 16, v2
	v_lshrrev_b32_e32 v29, 16, v3
	;; [unrolled: 1-line block ×4, first 2 shown]
	s_and_saveexec_b64 s[10:11], vcc
	s_cbranch_execz .LBB170_179
; %bb.178:                              ;   in Loop: Header=BB170_43 Depth=1
	v_cmp_gt_i32_e64 s[0:1], s33, v42
	s_nop 1
	v_cndmask_b32_e64 v2, 0, v2, s[0:1]
	v_cmp_gt_i32_e64 s[0:1], s33, v48
	s_nop 1
	v_cndmask_b32_e64 v9, 0, v9, s[0:1]
	;; [unrolled: 3-line block ×8, first 2 shown]
.LBB170_179:                            ;   in Loop: Header=BB170_43 Depth=1
	s_or_b64 exec, exec, s[10:11]
	v_lshlrev_b32_e32 v2, 16, v2
	v_mul_f32_e32 v2, v50, v2
	v_and_b32_e32 v8, 0x7f800000, v2
	v_cmp_ne_u32_e64 s[0:1], s14, v8
                                        ; implicit-def: $vgpr8
	s_and_saveexec_b64 s[10:11], s[0:1]
	s_xor_b64 s[0:1], exec, s[10:11]
; %bb.180:                              ;   in Loop: Header=BB170_43 Depth=1
	v_bfe_u32 v8, v2, 16, 1
	v_add3_u32 v8, v2, v8, s15
                                        ; implicit-def: $vgpr2
; %bb.181:                              ;   in Loop: Header=BB170_43 Depth=1
	s_andn2_saveexec_b64 s[10:11], s[0:1]
; %bb.182:                              ;   in Loop: Header=BB170_43 Depth=1
	v_or_b32_e32 v8, 0x10000, v2
	v_cmp_eq_u32_sdwa s[0:1], v2, v21 src0_sel:WORD_0 src1_sel:DWORD
	s_nop 1
	v_cndmask_b32_e64 v8, v8, v2, s[0:1]
; %bb.183:                              ;   in Loop: Header=BB170_43 Depth=1
	s_or_b64 exec, exec, s[10:11]
	v_lshlrev_b32_e32 v2, 16, v9
	v_mul_f32_e32 v2, v51, v2
	v_and_b32_e32 v9, 0x7f800000, v2
	v_cmp_ne_u32_e64 s[0:1], s14, v9
                                        ; implicit-def: $vgpr9
	s_and_saveexec_b64 s[10:11], s[0:1]
	s_xor_b64 s[0:1], exec, s[10:11]
; %bb.184:                              ;   in Loop: Header=BB170_43 Depth=1
	v_bfe_u32 v9, v2, 16, 1
	v_add3_u32 v9, v2, v9, s15
                                        ; implicit-def: $vgpr2
; %bb.185:                              ;   in Loop: Header=BB170_43 Depth=1
	s_andn2_saveexec_b64 s[10:11], s[0:1]
; %bb.186:                              ;   in Loop: Header=BB170_43 Depth=1
	v_or_b32_e32 v9, 0x10000, v2
	v_cmp_eq_u32_sdwa s[0:1], v2, v21 src0_sel:WORD_0 src1_sel:DWORD
	s_nop 1
	v_cndmask_b32_e64 v9, v9, v2, s[0:1]
; %bb.187:                              ;   in Loop: Header=BB170_43 Depth=1
	s_or_b64 exec, exec, s[10:11]
	v_lshlrev_b32_e32 v2, 16, v3
	v_mul_f32_e32 v2, v52, v2
	v_and_b32_e32 v3, 0x7f800000, v2
	v_cmp_ne_u32_e64 s[0:1], s14, v3
                                        ; implicit-def: $vgpr74
	s_and_saveexec_b64 s[10:11], s[0:1]
	s_xor_b64 s[0:1], exec, s[10:11]
; %bb.188:                              ;   in Loop: Header=BB170_43 Depth=1
	v_bfe_u32 v3, v2, 16, 1
	v_add3_u32 v74, v2, v3, s15
                                        ; implicit-def: $vgpr2
; %bb.189:                              ;   in Loop: Header=BB170_43 Depth=1
	s_andn2_saveexec_b64 s[10:11], s[0:1]
; %bb.190:                              ;   in Loop: Header=BB170_43 Depth=1
	v_or_b32_e32 v3, 0x10000, v2
	v_cmp_eq_u32_sdwa s[0:1], v2, v21 src0_sel:WORD_0 src1_sel:DWORD
	s_nop 1
	v_cndmask_b32_e64 v74, v3, v2, s[0:1]
; %bb.191:                              ;   in Loop: Header=BB170_43 Depth=1
	s_or_b64 exec, exec, s[10:11]
	v_lshlrev_b32_e32 v2, 16, v29
	v_mul_f32_e32 v2, v53, v2
	v_and_b32_e32 v3, 0x7f800000, v2
	v_cmp_ne_u32_e64 s[0:1], s14, v3
                                        ; implicit-def: $vgpr75
	s_and_saveexec_b64 s[10:11], s[0:1]
	s_xor_b64 s[0:1], exec, s[10:11]
; %bb.192:                              ;   in Loop: Header=BB170_43 Depth=1
	v_bfe_u32 v3, v2, 16, 1
	v_add3_u32 v75, v2, v3, s15
                                        ; implicit-def: $vgpr2
; %bb.193:                              ;   in Loop: Header=BB170_43 Depth=1
	s_andn2_saveexec_b64 s[10:11], s[0:1]
; %bb.194:                              ;   in Loop: Header=BB170_43 Depth=1
	v_or_b32_e32 v3, 0x10000, v2
	v_cmp_eq_u32_sdwa s[0:1], v2, v21 src0_sel:WORD_0 src1_sel:DWORD
	s_nop 1
	v_cndmask_b32_e64 v75, v3, v2, s[0:1]
; %bb.195:                              ;   in Loop: Header=BB170_43 Depth=1
	s_or_b64 exec, exec, s[10:11]
	v_lshlrev_b32_e32 v2, 16, v4
	v_mul_f32_e32 v2, v54, v2
	v_and_b32_e32 v3, 0x7f800000, v2
	v_cmp_ne_u32_e64 s[0:1], s14, v3
                                        ; implicit-def: $vgpr76
	s_and_saveexec_b64 s[10:11], s[0:1]
	s_xor_b64 s[0:1], exec, s[10:11]
; %bb.196:                              ;   in Loop: Header=BB170_43 Depth=1
	v_bfe_u32 v3, v2, 16, 1
	v_add3_u32 v76, v2, v3, s15
                                        ; implicit-def: $vgpr2
; %bb.197:                              ;   in Loop: Header=BB170_43 Depth=1
	s_andn2_saveexec_b64 s[10:11], s[0:1]
; %bb.198:                              ;   in Loop: Header=BB170_43 Depth=1
	v_or_b32_e32 v3, 0x10000, v2
	v_cmp_eq_u32_sdwa s[0:1], v2, v21 src0_sel:WORD_0 src1_sel:DWORD
	s_nop 1
	v_cndmask_b32_e64 v76, v3, v2, s[0:1]
; %bb.199:                              ;   in Loop: Header=BB170_43 Depth=1
	s_or_b64 exec, exec, s[10:11]
	v_lshlrev_b32_e32 v2, 16, v27
	v_mul_f32_e32 v2, v55, v2
	v_and_b32_e32 v3, 0x7f800000, v2
	v_cmp_ne_u32_e64 s[0:1], s14, v3
                                        ; implicit-def: $vgpr77
	s_and_saveexec_b64 s[10:11], s[0:1]
	s_xor_b64 s[0:1], exec, s[10:11]
; %bb.200:                              ;   in Loop: Header=BB170_43 Depth=1
	v_bfe_u32 v3, v2, 16, 1
	v_add3_u32 v77, v2, v3, s15
                                        ; implicit-def: $vgpr2
; %bb.201:                              ;   in Loop: Header=BB170_43 Depth=1
	s_andn2_saveexec_b64 s[10:11], s[0:1]
; %bb.202:                              ;   in Loop: Header=BB170_43 Depth=1
	v_or_b32_e32 v3, 0x10000, v2
	v_cmp_eq_u32_sdwa s[0:1], v2, v21 src0_sel:WORD_0 src1_sel:DWORD
	s_nop 1
	v_cndmask_b32_e64 v77, v3, v2, s[0:1]
; %bb.203:                              ;   in Loop: Header=BB170_43 Depth=1
	s_or_b64 exec, exec, s[10:11]
	v_lshlrev_b32_e32 v2, 16, v5
	v_mul_f32_e32 v2, v56, v2
	v_and_b32_e32 v3, 0x7f800000, v2
	v_cmp_ne_u32_e64 s[0:1], s14, v3
                                        ; implicit-def: $vgpr78
	s_and_saveexec_b64 s[10:11], s[0:1]
	s_xor_b64 s[0:1], exec, s[10:11]
; %bb.204:                              ;   in Loop: Header=BB170_43 Depth=1
	v_bfe_u32 v3, v2, 16, 1
	v_add3_u32 v78, v2, v3, s15
                                        ; implicit-def: $vgpr2
; %bb.205:                              ;   in Loop: Header=BB170_43 Depth=1
	s_andn2_saveexec_b64 s[10:11], s[0:1]
; %bb.206:                              ;   in Loop: Header=BB170_43 Depth=1
	v_or_b32_e32 v3, 0x10000, v2
	v_cmp_eq_u32_sdwa s[0:1], v2, v21 src0_sel:WORD_0 src1_sel:DWORD
	s_nop 1
	v_cndmask_b32_e64 v78, v3, v2, s[0:1]
; %bb.207:                              ;   in Loop: Header=BB170_43 Depth=1
	s_or_b64 exec, exec, s[10:11]
	v_lshlrev_b32_e32 v2, 16, v25
	v_mul_f32_e32 v2, v57, v2
	v_and_b32_e32 v3, 0x7f800000, v2
	v_cmp_ne_u32_e64 s[0:1], s14, v3
                                        ; implicit-def: $vgpr79
	s_and_saveexec_b64 s[10:11], s[0:1]
	s_xor_b64 s[0:1], exec, s[10:11]
; %bb.208:                              ;   in Loop: Header=BB170_43 Depth=1
	v_bfe_u32 v3, v2, 16, 1
	v_add3_u32 v79, v2, v3, s15
                                        ; implicit-def: $vgpr2
; %bb.209:                              ;   in Loop: Header=BB170_43 Depth=1
	s_andn2_saveexec_b64 s[10:11], s[0:1]
; %bb.210:                              ;   in Loop: Header=BB170_43 Depth=1
	v_or_b32_e32 v3, 0x10000, v2
	v_cmp_eq_u32_sdwa s[0:1], v2, v21 src0_sel:WORD_0 src1_sel:DWORD
	s_nop 1
	v_cndmask_b32_e64 v79, v3, v2, s[0:1]
; %bb.211:                              ;   in Loop: Header=BB170_43 Depth=1
	s_or_b64 exec, exec, s[10:11]
	v_mov_b32_e32 v25, v21
	v_lshl_add_u64 v[2:3], v[6:7], 0, v[24:25]
	global_load_dwordx4 v[2:5], v[2:3], off
	s_waitcnt vmcnt(0)
	v_lshrrev_b32_e32 v80, 16, v2
	v_lshrrev_b32_e32 v31, 16, v3
	;; [unrolled: 1-line block ×4, first 2 shown]
	s_and_saveexec_b64 s[10:11], vcc
	s_cbranch_execz .LBB170_213
; %bb.212:                              ;   in Loop: Header=BB170_43 Depth=1
	v_cmp_gt_i32_e64 s[0:1], s33, v42
	s_nop 1
	v_cndmask_b32_e64 v2, 0, v2, s[0:1]
	v_cmp_gt_i32_e64 s[0:1], s33, v48
	s_nop 1
	v_cndmask_b32_e64 v80, 0, v80, s[0:1]
	;; [unrolled: 3-line block ×8, first 2 shown]
.LBB170_213:                            ;   in Loop: Header=BB170_43 Depth=1
	s_or_b64 exec, exec, s[10:11]
	v_lshlrev_b32_e32 v2, 16, v2
	v_mul_f32_e32 v2, v50, v2
	v_and_b32_e32 v25, 0x7f800000, v2
	v_cmp_ne_u32_e64 s[0:1], s14, v25
                                        ; implicit-def: $vgpr25
	s_and_saveexec_b64 s[10:11], s[0:1]
	s_xor_b64 s[0:1], exec, s[10:11]
; %bb.214:                              ;   in Loop: Header=BB170_43 Depth=1
	v_bfe_u32 v25, v2, 16, 1
	v_add3_u32 v25, v2, v25, s15
                                        ; implicit-def: $vgpr2
; %bb.215:                              ;   in Loop: Header=BB170_43 Depth=1
	s_andn2_saveexec_b64 s[10:11], s[0:1]
; %bb.216:                              ;   in Loop: Header=BB170_43 Depth=1
	v_or_b32_e32 v25, 0x10000, v2
	v_cmp_eq_u32_sdwa s[0:1], v2, v21 src0_sel:WORD_0 src1_sel:DWORD
	s_nop 1
	v_cndmask_b32_e64 v25, v25, v2, s[0:1]
; %bb.217:                              ;   in Loop: Header=BB170_43 Depth=1
	s_or_b64 exec, exec, s[10:11]
	v_lshlrev_b32_e32 v2, 16, v80
	v_mul_f32_e32 v2, v51, v2
	v_and_b32_e32 v80, 0x7f800000, v2
	v_cmp_ne_u32_e64 s[0:1], s14, v80
                                        ; implicit-def: $vgpr80
	s_and_saveexec_b64 s[10:11], s[0:1]
	s_xor_b64 s[0:1], exec, s[10:11]
; %bb.218:                              ;   in Loop: Header=BB170_43 Depth=1
	v_bfe_u32 v80, v2, 16, 1
	v_add3_u32 v80, v2, v80, s15
                                        ; implicit-def: $vgpr2
; %bb.219:                              ;   in Loop: Header=BB170_43 Depth=1
	s_andn2_saveexec_b64 s[10:11], s[0:1]
; %bb.220:                              ;   in Loop: Header=BB170_43 Depth=1
	v_or_b32_e32 v80, 0x10000, v2
	v_cmp_eq_u32_sdwa s[0:1], v2, v21 src0_sel:WORD_0 src1_sel:DWORD
	s_nop 1
	v_cndmask_b32_e64 v80, v80, v2, s[0:1]
; %bb.221:                              ;   in Loop: Header=BB170_43 Depth=1
	s_or_b64 exec, exec, s[10:11]
	v_lshlrev_b32_e32 v2, 16, v3
	v_mul_f32_e32 v2, v52, v2
	v_and_b32_e32 v3, 0x7f800000, v2
	v_cmp_ne_u32_e64 s[0:1], s14, v3
                                        ; implicit-def: $vgpr81
	s_and_saveexec_b64 s[10:11], s[0:1]
	s_xor_b64 s[0:1], exec, s[10:11]
; %bb.222:                              ;   in Loop: Header=BB170_43 Depth=1
	v_bfe_u32 v3, v2, 16, 1
	v_add3_u32 v81, v2, v3, s15
                                        ; implicit-def: $vgpr2
; %bb.223:                              ;   in Loop: Header=BB170_43 Depth=1
	s_andn2_saveexec_b64 s[10:11], s[0:1]
; %bb.224:                              ;   in Loop: Header=BB170_43 Depth=1
	v_or_b32_e32 v3, 0x10000, v2
	v_cmp_eq_u32_sdwa s[0:1], v2, v21 src0_sel:WORD_0 src1_sel:DWORD
	s_nop 1
	v_cndmask_b32_e64 v81, v3, v2, s[0:1]
; %bb.225:                              ;   in Loop: Header=BB170_43 Depth=1
	s_or_b64 exec, exec, s[10:11]
	v_lshlrev_b32_e32 v2, 16, v31
	v_mul_f32_e32 v2, v53, v2
	v_and_b32_e32 v3, 0x7f800000, v2
	v_cmp_ne_u32_e64 s[0:1], s14, v3
                                        ; implicit-def: $vgpr82
	s_and_saveexec_b64 s[10:11], s[0:1]
	s_xor_b64 s[0:1], exec, s[10:11]
; %bb.226:                              ;   in Loop: Header=BB170_43 Depth=1
	v_bfe_u32 v3, v2, 16, 1
	v_add3_u32 v82, v2, v3, s15
                                        ; implicit-def: $vgpr2
; %bb.227:                              ;   in Loop: Header=BB170_43 Depth=1
	s_andn2_saveexec_b64 s[10:11], s[0:1]
; %bb.228:                              ;   in Loop: Header=BB170_43 Depth=1
	v_or_b32_e32 v3, 0x10000, v2
	v_cmp_eq_u32_sdwa s[0:1], v2, v21 src0_sel:WORD_0 src1_sel:DWORD
	s_nop 1
	v_cndmask_b32_e64 v82, v3, v2, s[0:1]
; %bb.229:                              ;   in Loop: Header=BB170_43 Depth=1
	s_or_b64 exec, exec, s[10:11]
	v_lshlrev_b32_e32 v2, 16, v4
	v_mul_f32_e32 v2, v54, v2
	v_and_b32_e32 v3, 0x7f800000, v2
	v_cmp_ne_u32_e64 s[0:1], s14, v3
                                        ; implicit-def: $vgpr83
	s_and_saveexec_b64 s[10:11], s[0:1]
	s_xor_b64 s[0:1], exec, s[10:11]
; %bb.230:                              ;   in Loop: Header=BB170_43 Depth=1
	v_bfe_u32 v3, v2, 16, 1
	v_add3_u32 v83, v2, v3, s15
                                        ; implicit-def: $vgpr2
; %bb.231:                              ;   in Loop: Header=BB170_43 Depth=1
	s_andn2_saveexec_b64 s[10:11], s[0:1]
; %bb.232:                              ;   in Loop: Header=BB170_43 Depth=1
	v_or_b32_e32 v3, 0x10000, v2
	v_cmp_eq_u32_sdwa s[0:1], v2, v21 src0_sel:WORD_0 src1_sel:DWORD
	s_nop 1
	v_cndmask_b32_e64 v83, v3, v2, s[0:1]
; %bb.233:                              ;   in Loop: Header=BB170_43 Depth=1
	s_or_b64 exec, exec, s[10:11]
	v_lshlrev_b32_e32 v2, 16, v29
	v_mul_f32_e32 v2, v55, v2
	v_and_b32_e32 v3, 0x7f800000, v2
	v_cmp_ne_u32_e64 s[0:1], s14, v3
                                        ; implicit-def: $vgpr84
	s_and_saveexec_b64 s[10:11], s[0:1]
	s_xor_b64 s[0:1], exec, s[10:11]
; %bb.234:                              ;   in Loop: Header=BB170_43 Depth=1
	v_bfe_u32 v3, v2, 16, 1
	v_add3_u32 v84, v2, v3, s15
                                        ; implicit-def: $vgpr2
; %bb.235:                              ;   in Loop: Header=BB170_43 Depth=1
	s_andn2_saveexec_b64 s[10:11], s[0:1]
; %bb.236:                              ;   in Loop: Header=BB170_43 Depth=1
	v_or_b32_e32 v3, 0x10000, v2
	v_cmp_eq_u32_sdwa s[0:1], v2, v21 src0_sel:WORD_0 src1_sel:DWORD
	s_nop 1
	v_cndmask_b32_e64 v84, v3, v2, s[0:1]
; %bb.237:                              ;   in Loop: Header=BB170_43 Depth=1
	s_or_b64 exec, exec, s[10:11]
	v_lshlrev_b32_e32 v2, 16, v5
	v_mul_f32_e32 v2, v56, v2
	v_and_b32_e32 v3, 0x7f800000, v2
	v_cmp_ne_u32_e64 s[0:1], s14, v3
                                        ; implicit-def: $vgpr85
	s_and_saveexec_b64 s[10:11], s[0:1]
	s_xor_b64 s[0:1], exec, s[10:11]
; %bb.238:                              ;   in Loop: Header=BB170_43 Depth=1
	v_bfe_u32 v3, v2, 16, 1
	v_add3_u32 v85, v2, v3, s15
                                        ; implicit-def: $vgpr2
; %bb.239:                              ;   in Loop: Header=BB170_43 Depth=1
	s_andn2_saveexec_b64 s[10:11], s[0:1]
; %bb.240:                              ;   in Loop: Header=BB170_43 Depth=1
	v_or_b32_e32 v3, 0x10000, v2
	v_cmp_eq_u32_sdwa s[0:1], v2, v21 src0_sel:WORD_0 src1_sel:DWORD
	s_nop 1
	v_cndmask_b32_e64 v85, v3, v2, s[0:1]
; %bb.241:                              ;   in Loop: Header=BB170_43 Depth=1
	s_or_b64 exec, exec, s[10:11]
	v_lshlrev_b32_e32 v2, 16, v27
	v_mul_f32_e32 v2, v57, v2
	v_and_b32_e32 v3, 0x7f800000, v2
	v_cmp_ne_u32_e64 s[0:1], s14, v3
                                        ; implicit-def: $vgpr86
	s_and_saveexec_b64 s[10:11], s[0:1]
	s_xor_b64 s[0:1], exec, s[10:11]
; %bb.242:                              ;   in Loop: Header=BB170_43 Depth=1
	v_bfe_u32 v3, v2, 16, 1
	v_add3_u32 v86, v2, v3, s15
                                        ; implicit-def: $vgpr2
; %bb.243:                              ;   in Loop: Header=BB170_43 Depth=1
	s_andn2_saveexec_b64 s[10:11], s[0:1]
; %bb.244:                              ;   in Loop: Header=BB170_43 Depth=1
	v_or_b32_e32 v3, 0x10000, v2
	v_cmp_eq_u32_sdwa s[0:1], v2, v21 src0_sel:WORD_0 src1_sel:DWORD
	s_nop 1
	v_cndmask_b32_e64 v86, v3, v2, s[0:1]
; %bb.245:                              ;   in Loop: Header=BB170_43 Depth=1
	s_or_b64 exec, exec, s[10:11]
	v_mov_b32_e32 v27, v21
	v_lshl_add_u64 v[2:3], v[6:7], 0, v[26:27]
	global_load_dwordx4 v[2:5], v[2:3], off
	s_waitcnt vmcnt(0)
	v_lshrrev_b32_e32 v87, 16, v2
	v_lshrrev_b32_e32 v89, 16, v3
	;; [unrolled: 1-line block ×4, first 2 shown]
	s_and_saveexec_b64 s[10:11], vcc
	s_cbranch_execz .LBB170_247
; %bb.246:                              ;   in Loop: Header=BB170_43 Depth=1
	v_cmp_gt_i32_e64 s[0:1], s33, v42
	s_nop 1
	v_cndmask_b32_e64 v2, 0, v2, s[0:1]
	v_cmp_gt_i32_e64 s[0:1], s33, v48
	s_nop 1
	v_cndmask_b32_e64 v87, 0, v87, s[0:1]
	;; [unrolled: 3-line block ×8, first 2 shown]
.LBB170_247:                            ;   in Loop: Header=BB170_43 Depth=1
	s_or_b64 exec, exec, s[10:11]
	v_lshlrev_b32_e32 v2, 16, v2
	v_mul_f32_e32 v2, v50, v2
	v_and_b32_e32 v27, 0x7f800000, v2
	v_cmp_ne_u32_e64 s[0:1], s14, v27
                                        ; implicit-def: $vgpr27
	s_and_saveexec_b64 s[10:11], s[0:1]
	s_xor_b64 s[0:1], exec, s[10:11]
; %bb.248:                              ;   in Loop: Header=BB170_43 Depth=1
	v_bfe_u32 v27, v2, 16, 1
	v_add3_u32 v27, v2, v27, s15
                                        ; implicit-def: $vgpr2
; %bb.249:                              ;   in Loop: Header=BB170_43 Depth=1
	s_andn2_saveexec_b64 s[10:11], s[0:1]
; %bb.250:                              ;   in Loop: Header=BB170_43 Depth=1
	v_or_b32_e32 v27, 0x10000, v2
	v_cmp_eq_u32_sdwa s[0:1], v2, v21 src0_sel:WORD_0 src1_sel:DWORD
	s_nop 1
	v_cndmask_b32_e64 v27, v27, v2, s[0:1]
; %bb.251:                              ;   in Loop: Header=BB170_43 Depth=1
	s_or_b64 exec, exec, s[10:11]
	v_lshlrev_b32_e32 v2, 16, v87
	v_mul_f32_e32 v2, v51, v2
	v_and_b32_e32 v87, 0x7f800000, v2
	v_cmp_ne_u32_e64 s[0:1], s14, v87
                                        ; implicit-def: $vgpr87
	s_and_saveexec_b64 s[10:11], s[0:1]
	s_xor_b64 s[0:1], exec, s[10:11]
; %bb.252:                              ;   in Loop: Header=BB170_43 Depth=1
	v_bfe_u32 v87, v2, 16, 1
	v_add3_u32 v87, v2, v87, s15
                                        ; implicit-def: $vgpr2
; %bb.253:                              ;   in Loop: Header=BB170_43 Depth=1
	s_andn2_saveexec_b64 s[10:11], s[0:1]
; %bb.254:                              ;   in Loop: Header=BB170_43 Depth=1
	v_or_b32_e32 v87, 0x10000, v2
	v_cmp_eq_u32_sdwa s[0:1], v2, v21 src0_sel:WORD_0 src1_sel:DWORD
	s_nop 1
	v_cndmask_b32_e64 v87, v87, v2, s[0:1]
; %bb.255:                              ;   in Loop: Header=BB170_43 Depth=1
	s_or_b64 exec, exec, s[10:11]
	v_lshlrev_b32_e32 v2, 16, v3
	v_mul_f32_e32 v2, v52, v2
	v_and_b32_e32 v3, 0x7f800000, v2
	v_cmp_ne_u32_e64 s[0:1], s14, v3
                                        ; implicit-def: $vgpr88
	s_and_saveexec_b64 s[10:11], s[0:1]
	s_xor_b64 s[0:1], exec, s[10:11]
; %bb.256:                              ;   in Loop: Header=BB170_43 Depth=1
	v_bfe_u32 v3, v2, 16, 1
	v_add3_u32 v88, v2, v3, s15
                                        ; implicit-def: $vgpr2
; %bb.257:                              ;   in Loop: Header=BB170_43 Depth=1
	s_andn2_saveexec_b64 s[10:11], s[0:1]
; %bb.258:                              ;   in Loop: Header=BB170_43 Depth=1
	v_or_b32_e32 v3, 0x10000, v2
	v_cmp_eq_u32_sdwa s[0:1], v2, v21 src0_sel:WORD_0 src1_sel:DWORD
	s_nop 1
	v_cndmask_b32_e64 v88, v3, v2, s[0:1]
; %bb.259:                              ;   in Loop: Header=BB170_43 Depth=1
	s_or_b64 exec, exec, s[10:11]
	v_lshlrev_b32_e32 v2, 16, v89
	v_mul_f32_e32 v2, v53, v2
	v_and_b32_e32 v3, 0x7f800000, v2
	v_cmp_ne_u32_e64 s[0:1], s14, v3
                                        ; implicit-def: $vgpr89
	s_and_saveexec_b64 s[10:11], s[0:1]
	s_xor_b64 s[0:1], exec, s[10:11]
; %bb.260:                              ;   in Loop: Header=BB170_43 Depth=1
	v_bfe_u32 v3, v2, 16, 1
	v_add3_u32 v89, v2, v3, s15
                                        ; implicit-def: $vgpr2
; %bb.261:                              ;   in Loop: Header=BB170_43 Depth=1
	s_andn2_saveexec_b64 s[10:11], s[0:1]
; %bb.262:                              ;   in Loop: Header=BB170_43 Depth=1
	v_or_b32_e32 v3, 0x10000, v2
	v_cmp_eq_u32_sdwa s[0:1], v2, v21 src0_sel:WORD_0 src1_sel:DWORD
	s_nop 1
	v_cndmask_b32_e64 v89, v3, v2, s[0:1]
; %bb.263:                              ;   in Loop: Header=BB170_43 Depth=1
	s_or_b64 exec, exec, s[10:11]
	v_lshlrev_b32_e32 v2, 16, v4
	v_mul_f32_e32 v2, v54, v2
	v_and_b32_e32 v3, 0x7f800000, v2
	v_cmp_ne_u32_e64 s[0:1], s14, v3
                                        ; implicit-def: $vgpr90
	s_and_saveexec_b64 s[10:11], s[0:1]
	s_xor_b64 s[0:1], exec, s[10:11]
; %bb.264:                              ;   in Loop: Header=BB170_43 Depth=1
	v_bfe_u32 v3, v2, 16, 1
	v_add3_u32 v90, v2, v3, s15
                                        ; implicit-def: $vgpr2
; %bb.265:                              ;   in Loop: Header=BB170_43 Depth=1
	s_andn2_saveexec_b64 s[10:11], s[0:1]
; %bb.266:                              ;   in Loop: Header=BB170_43 Depth=1
	v_or_b32_e32 v3, 0x10000, v2
	v_cmp_eq_u32_sdwa s[0:1], v2, v21 src0_sel:WORD_0 src1_sel:DWORD
	s_nop 1
	v_cndmask_b32_e64 v90, v3, v2, s[0:1]
; %bb.267:                              ;   in Loop: Header=BB170_43 Depth=1
	s_or_b64 exec, exec, s[10:11]
	v_lshlrev_b32_e32 v2, 16, v31
	v_mul_f32_e32 v2, v55, v2
	v_and_b32_e32 v3, 0x7f800000, v2
	v_cmp_ne_u32_e64 s[0:1], s14, v3
                                        ; implicit-def: $vgpr91
	s_and_saveexec_b64 s[10:11], s[0:1]
	s_xor_b64 s[0:1], exec, s[10:11]
; %bb.268:                              ;   in Loop: Header=BB170_43 Depth=1
	v_bfe_u32 v3, v2, 16, 1
	v_add3_u32 v91, v2, v3, s15
                                        ; implicit-def: $vgpr2
; %bb.269:                              ;   in Loop: Header=BB170_43 Depth=1
	s_andn2_saveexec_b64 s[10:11], s[0:1]
; %bb.270:                              ;   in Loop: Header=BB170_43 Depth=1
	v_or_b32_e32 v3, 0x10000, v2
	v_cmp_eq_u32_sdwa s[0:1], v2, v21 src0_sel:WORD_0 src1_sel:DWORD
	s_nop 1
	v_cndmask_b32_e64 v91, v3, v2, s[0:1]
; %bb.271:                              ;   in Loop: Header=BB170_43 Depth=1
	s_or_b64 exec, exec, s[10:11]
	v_lshlrev_b32_e32 v2, 16, v5
	v_mul_f32_e32 v2, v56, v2
	v_and_b32_e32 v3, 0x7f800000, v2
	v_cmp_ne_u32_e64 s[0:1], s14, v3
                                        ; implicit-def: $vgpr92
	s_and_saveexec_b64 s[10:11], s[0:1]
	s_xor_b64 s[0:1], exec, s[10:11]
; %bb.272:                              ;   in Loop: Header=BB170_43 Depth=1
	v_bfe_u32 v3, v2, 16, 1
	v_add3_u32 v92, v2, v3, s15
                                        ; implicit-def: $vgpr2
; %bb.273:                              ;   in Loop: Header=BB170_43 Depth=1
	s_andn2_saveexec_b64 s[10:11], s[0:1]
; %bb.274:                              ;   in Loop: Header=BB170_43 Depth=1
	v_or_b32_e32 v3, 0x10000, v2
	v_cmp_eq_u32_sdwa s[0:1], v2, v21 src0_sel:WORD_0 src1_sel:DWORD
	s_nop 1
	v_cndmask_b32_e64 v92, v3, v2, s[0:1]
; %bb.275:                              ;   in Loop: Header=BB170_43 Depth=1
	s_or_b64 exec, exec, s[10:11]
	v_lshlrev_b32_e32 v2, 16, v29
	v_mul_f32_e32 v2, v57, v2
	v_and_b32_e32 v3, 0x7f800000, v2
	v_cmp_ne_u32_e64 s[0:1], s14, v3
                                        ; implicit-def: $vgpr93
	s_and_saveexec_b64 s[10:11], s[0:1]
	s_xor_b64 s[0:1], exec, s[10:11]
; %bb.276:                              ;   in Loop: Header=BB170_43 Depth=1
	v_bfe_u32 v3, v2, 16, 1
	v_add3_u32 v93, v2, v3, s15
                                        ; implicit-def: $vgpr2
; %bb.277:                              ;   in Loop: Header=BB170_43 Depth=1
	s_andn2_saveexec_b64 s[10:11], s[0:1]
; %bb.278:                              ;   in Loop: Header=BB170_43 Depth=1
	v_or_b32_e32 v3, 0x10000, v2
	v_cmp_eq_u32_sdwa s[0:1], v2, v21 src0_sel:WORD_0 src1_sel:DWORD
	s_nop 1
	v_cndmask_b32_e64 v93, v3, v2, s[0:1]
; %bb.279:                              ;   in Loop: Header=BB170_43 Depth=1
	s_or_b64 exec, exec, s[10:11]
	v_mov_b32_e32 v29, v21
	v_lshl_add_u64 v[2:3], v[6:7], 0, v[28:29]
	global_load_dwordx4 v[2:5], v[2:3], off
	s_waitcnt vmcnt(0)
	v_lshrrev_b32_e32 v94, 16, v2
	v_lshrrev_b32_e32 v96, 16, v3
	;; [unrolled: 1-line block ×4, first 2 shown]
	s_and_saveexec_b64 s[10:11], vcc
	s_cbranch_execz .LBB170_281
; %bb.280:                              ;   in Loop: Header=BB170_43 Depth=1
	v_cmp_gt_i32_e64 s[0:1], s33, v42
	s_nop 1
	v_cndmask_b32_e64 v2, 0, v2, s[0:1]
	v_cmp_gt_i32_e64 s[0:1], s33, v48
	s_nop 1
	v_cndmask_b32_e64 v94, 0, v94, s[0:1]
	;; [unrolled: 3-line block ×8, first 2 shown]
.LBB170_281:                            ;   in Loop: Header=BB170_43 Depth=1
	s_or_b64 exec, exec, s[10:11]
	v_lshlrev_b32_e32 v2, 16, v2
	v_mul_f32_e32 v2, v50, v2
	v_and_b32_e32 v29, 0x7f800000, v2
	v_cmp_ne_u32_e64 s[0:1], s14, v29
                                        ; implicit-def: $vgpr29
	s_and_saveexec_b64 s[10:11], s[0:1]
	s_xor_b64 s[0:1], exec, s[10:11]
; %bb.282:                              ;   in Loop: Header=BB170_43 Depth=1
	v_bfe_u32 v29, v2, 16, 1
	v_add3_u32 v29, v2, v29, s15
                                        ; implicit-def: $vgpr2
; %bb.283:                              ;   in Loop: Header=BB170_43 Depth=1
	s_andn2_saveexec_b64 s[10:11], s[0:1]
; %bb.284:                              ;   in Loop: Header=BB170_43 Depth=1
	v_or_b32_e32 v29, 0x10000, v2
	v_cmp_eq_u32_sdwa s[0:1], v2, v21 src0_sel:WORD_0 src1_sel:DWORD
	s_nop 1
	v_cndmask_b32_e64 v29, v29, v2, s[0:1]
; %bb.285:                              ;   in Loop: Header=BB170_43 Depth=1
	s_or_b64 exec, exec, s[10:11]
	v_lshlrev_b32_e32 v2, 16, v94
	v_mul_f32_e32 v2, v51, v2
	v_and_b32_e32 v94, 0x7f800000, v2
	v_cmp_ne_u32_e64 s[0:1], s14, v94
                                        ; implicit-def: $vgpr94
	s_and_saveexec_b64 s[10:11], s[0:1]
	s_xor_b64 s[0:1], exec, s[10:11]
; %bb.286:                              ;   in Loop: Header=BB170_43 Depth=1
	v_bfe_u32 v94, v2, 16, 1
	v_add3_u32 v94, v2, v94, s15
                                        ; implicit-def: $vgpr2
; %bb.287:                              ;   in Loop: Header=BB170_43 Depth=1
	s_andn2_saveexec_b64 s[10:11], s[0:1]
; %bb.288:                              ;   in Loop: Header=BB170_43 Depth=1
	v_or_b32_e32 v94, 0x10000, v2
	v_cmp_eq_u32_sdwa s[0:1], v2, v21 src0_sel:WORD_0 src1_sel:DWORD
	s_nop 1
	v_cndmask_b32_e64 v94, v94, v2, s[0:1]
; %bb.289:                              ;   in Loop: Header=BB170_43 Depth=1
	s_or_b64 exec, exec, s[10:11]
	v_lshlrev_b32_e32 v2, 16, v3
	v_mul_f32_e32 v2, v52, v2
	v_and_b32_e32 v3, 0x7f800000, v2
	v_cmp_ne_u32_e64 s[0:1], s14, v3
                                        ; implicit-def: $vgpr95
	s_and_saveexec_b64 s[10:11], s[0:1]
	s_xor_b64 s[0:1], exec, s[10:11]
; %bb.290:                              ;   in Loop: Header=BB170_43 Depth=1
	v_bfe_u32 v3, v2, 16, 1
	v_add3_u32 v95, v2, v3, s15
                                        ; implicit-def: $vgpr2
; %bb.291:                              ;   in Loop: Header=BB170_43 Depth=1
	s_andn2_saveexec_b64 s[10:11], s[0:1]
; %bb.292:                              ;   in Loop: Header=BB170_43 Depth=1
	v_or_b32_e32 v3, 0x10000, v2
	v_cmp_eq_u32_sdwa s[0:1], v2, v21 src0_sel:WORD_0 src1_sel:DWORD
	s_nop 1
	v_cndmask_b32_e64 v95, v3, v2, s[0:1]
; %bb.293:                              ;   in Loop: Header=BB170_43 Depth=1
	s_or_b64 exec, exec, s[10:11]
	v_lshlrev_b32_e32 v2, 16, v96
	v_mul_f32_e32 v2, v53, v2
	v_and_b32_e32 v3, 0x7f800000, v2
	v_cmp_ne_u32_e64 s[0:1], s14, v3
                                        ; implicit-def: $vgpr96
	s_and_saveexec_b64 s[10:11], s[0:1]
	s_xor_b64 s[0:1], exec, s[10:11]
; %bb.294:                              ;   in Loop: Header=BB170_43 Depth=1
	v_bfe_u32 v3, v2, 16, 1
	v_add3_u32 v96, v2, v3, s15
                                        ; implicit-def: $vgpr2
; %bb.295:                              ;   in Loop: Header=BB170_43 Depth=1
	s_andn2_saveexec_b64 s[10:11], s[0:1]
; %bb.296:                              ;   in Loop: Header=BB170_43 Depth=1
	v_or_b32_e32 v3, 0x10000, v2
	v_cmp_eq_u32_sdwa s[0:1], v2, v21 src0_sel:WORD_0 src1_sel:DWORD
	s_nop 1
	v_cndmask_b32_e64 v96, v3, v2, s[0:1]
; %bb.297:                              ;   in Loop: Header=BB170_43 Depth=1
	s_or_b64 exec, exec, s[10:11]
	v_lshlrev_b32_e32 v2, 16, v4
	v_mul_f32_e32 v2, v54, v2
	v_and_b32_e32 v3, 0x7f800000, v2
	v_cmp_ne_u32_e64 s[0:1], s14, v3
                                        ; implicit-def: $vgpr97
	s_and_saveexec_b64 s[10:11], s[0:1]
	s_xor_b64 s[0:1], exec, s[10:11]
; %bb.298:                              ;   in Loop: Header=BB170_43 Depth=1
	v_bfe_u32 v3, v2, 16, 1
	v_add3_u32 v97, v2, v3, s15
                                        ; implicit-def: $vgpr2
; %bb.299:                              ;   in Loop: Header=BB170_43 Depth=1
	s_andn2_saveexec_b64 s[10:11], s[0:1]
; %bb.300:                              ;   in Loop: Header=BB170_43 Depth=1
	v_or_b32_e32 v3, 0x10000, v2
	v_cmp_eq_u32_sdwa s[0:1], v2, v21 src0_sel:WORD_0 src1_sel:DWORD
	s_nop 1
	v_cndmask_b32_e64 v97, v3, v2, s[0:1]
; %bb.301:                              ;   in Loop: Header=BB170_43 Depth=1
	s_or_b64 exec, exec, s[10:11]
	v_lshlrev_b32_e32 v2, 16, v98
	v_mul_f32_e32 v2, v55, v2
	v_and_b32_e32 v3, 0x7f800000, v2
	v_cmp_ne_u32_e64 s[0:1], s14, v3
                                        ; implicit-def: $vgpr98
	s_and_saveexec_b64 s[10:11], s[0:1]
	s_xor_b64 s[0:1], exec, s[10:11]
; %bb.302:                              ;   in Loop: Header=BB170_43 Depth=1
	v_bfe_u32 v3, v2, 16, 1
	v_add3_u32 v98, v2, v3, s15
                                        ; implicit-def: $vgpr2
; %bb.303:                              ;   in Loop: Header=BB170_43 Depth=1
	s_andn2_saveexec_b64 s[10:11], s[0:1]
; %bb.304:                              ;   in Loop: Header=BB170_43 Depth=1
	v_or_b32_e32 v3, 0x10000, v2
	v_cmp_eq_u32_sdwa s[0:1], v2, v21 src0_sel:WORD_0 src1_sel:DWORD
	s_nop 1
	v_cndmask_b32_e64 v98, v3, v2, s[0:1]
; %bb.305:                              ;   in Loop: Header=BB170_43 Depth=1
	s_or_b64 exec, exec, s[10:11]
	v_lshlrev_b32_e32 v2, 16, v5
	v_mul_f32_e32 v2, v56, v2
	v_and_b32_e32 v3, 0x7f800000, v2
	v_cmp_ne_u32_e64 s[0:1], s14, v3
                                        ; implicit-def: $vgpr99
	s_and_saveexec_b64 s[10:11], s[0:1]
	s_xor_b64 s[0:1], exec, s[10:11]
; %bb.306:                              ;   in Loop: Header=BB170_43 Depth=1
	v_bfe_u32 v3, v2, 16, 1
	v_add3_u32 v99, v2, v3, s15
                                        ; implicit-def: $vgpr2
; %bb.307:                              ;   in Loop: Header=BB170_43 Depth=1
	s_andn2_saveexec_b64 s[10:11], s[0:1]
; %bb.308:                              ;   in Loop: Header=BB170_43 Depth=1
	v_or_b32_e32 v3, 0x10000, v2
	v_cmp_eq_u32_sdwa s[0:1], v2, v21 src0_sel:WORD_0 src1_sel:DWORD
	s_nop 1
	v_cndmask_b32_e64 v99, v3, v2, s[0:1]
; %bb.309:                              ;   in Loop: Header=BB170_43 Depth=1
	s_or_b64 exec, exec, s[10:11]
	v_lshlrev_b32_e32 v2, 16, v31
	v_mul_f32_e32 v2, v57, v2
	v_and_b32_e32 v3, 0x7f800000, v2
	v_cmp_ne_u32_e64 s[0:1], s14, v3
                                        ; implicit-def: $vgpr100
	s_and_saveexec_b64 s[10:11], s[0:1]
	s_xor_b64 s[0:1], exec, s[10:11]
; %bb.310:                              ;   in Loop: Header=BB170_43 Depth=1
	v_bfe_u32 v3, v2, 16, 1
	v_add3_u32 v100, v2, v3, s15
                                        ; implicit-def: $vgpr2
; %bb.311:                              ;   in Loop: Header=BB170_43 Depth=1
	s_andn2_saveexec_b64 s[10:11], s[0:1]
; %bb.312:                              ;   in Loop: Header=BB170_43 Depth=1
	v_or_b32_e32 v3, 0x10000, v2
	v_cmp_eq_u32_sdwa s[0:1], v2, v21 src0_sel:WORD_0 src1_sel:DWORD
	s_nop 1
	v_cndmask_b32_e64 v100, v3, v2, s[0:1]
; %bb.313:                              ;   in Loop: Header=BB170_43 Depth=1
	s_or_b64 exec, exec, s[10:11]
	v_mov_b32_e32 v31, v21
	v_lshl_add_u64 v[2:3], v[6:7], 0, v[30:31]
	global_load_dwordx4 v[2:5], v[2:3], off
	s_waitcnt vmcnt(0)
	v_lshrrev_b32_e32 v6, 16, v2
	v_lshrrev_b32_e32 v7, 16, v3
	;; [unrolled: 1-line block ×4, first 2 shown]
	s_and_saveexec_b64 s[0:1], vcc
	s_cbranch_execz .LBB170_315
; %bb.314:                              ;   in Loop: Header=BB170_43 Depth=1
	v_cmp_gt_i32_e32 vcc, s33, v42
	s_nop 1
	v_cndmask_b32_e32 v2, 0, v2, vcc
	v_cmp_gt_i32_e32 vcc, s33, v48
	s_nop 1
	v_cndmask_b32_e32 v6, 0, v6, vcc
	;; [unrolled: 3-line block ×8, first 2 shown]
.LBB170_315:                            ;   in Loop: Header=BB170_43 Depth=1
	s_or_b64 exec, exec, s[0:1]
	v_lshlrev_b32_e32 v2, 16, v2
	v_mul_f32_e32 v42, v50, v2
	v_and_b32_e32 v2, 0x7f800000, v42
	v_cmp_ne_u32_e32 vcc, s14, v2
                                        ; implicit-def: $vgpr2
	s_and_saveexec_b64 s[0:1], vcc
	s_xor_b64 s[0:1], exec, s[0:1]
; %bb.316:                              ;   in Loop: Header=BB170_43 Depth=1
	v_bfe_u32 v2, v42, 16, 1
	v_add3_u32 v2, v42, v2, s15
                                        ; implicit-def: $vgpr42
; %bb.317:                              ;   in Loop: Header=BB170_43 Depth=1
	s_andn2_saveexec_b64 s[0:1], s[0:1]
; %bb.318:                              ;   in Loop: Header=BB170_43 Depth=1
	v_or_b32_e32 v2, 0x10000, v42
	v_cmp_eq_u32_sdwa vcc, v42, v21 src0_sel:WORD_0 src1_sel:DWORD
	s_nop 1
	v_cndmask_b32_e32 v2, v2, v42, vcc
; %bb.319:                              ;   in Loop: Header=BB170_43 Depth=1
	s_or_b64 exec, exec, s[0:1]
	v_lshlrev_b32_e32 v6, 16, v6
	v_mul_f32_e32 v42, v51, v6
	v_and_b32_e32 v6, 0x7f800000, v42
	v_cmp_ne_u32_e32 vcc, s14, v6
                                        ; implicit-def: $vgpr6
	s_and_saveexec_b64 s[0:1], vcc
	s_xor_b64 s[0:1], exec, s[0:1]
; %bb.320:                              ;   in Loop: Header=BB170_43 Depth=1
	v_bfe_u32 v6, v42, 16, 1
	v_add3_u32 v6, v42, v6, s15
                                        ; implicit-def: $vgpr42
; %bb.321:                              ;   in Loop: Header=BB170_43 Depth=1
	s_andn2_saveexec_b64 s[0:1], s[0:1]
; %bb.322:                              ;   in Loop: Header=BB170_43 Depth=1
	v_or_b32_e32 v6, 0x10000, v42
	v_cmp_eq_u32_sdwa vcc, v42, v21 src0_sel:WORD_0 src1_sel:DWORD
	s_nop 1
	v_cndmask_b32_e32 v6, v6, v42, vcc
; %bb.323:                              ;   in Loop: Header=BB170_43 Depth=1
	s_or_b64 exec, exec, s[0:1]
	v_lshlrev_b32_e32 v3, 16, v3
	v_mul_f32_e32 v42, v52, v3
	v_and_b32_e32 v3, 0x7f800000, v42
	v_cmp_ne_u32_e32 vcc, s14, v3
                                        ; implicit-def: $vgpr3
	s_and_saveexec_b64 s[0:1], vcc
	s_xor_b64 s[0:1], exec, s[0:1]
; %bb.324:                              ;   in Loop: Header=BB170_43 Depth=1
	v_bfe_u32 v3, v42, 16, 1
	v_add3_u32 v3, v42, v3, s15
                                        ; implicit-def: $vgpr42
; %bb.325:                              ;   in Loop: Header=BB170_43 Depth=1
	s_andn2_saveexec_b64 s[0:1], s[0:1]
; %bb.326:                              ;   in Loop: Header=BB170_43 Depth=1
	v_or_b32_e32 v3, 0x10000, v42
	v_cmp_eq_u32_sdwa vcc, v42, v21 src0_sel:WORD_0 src1_sel:DWORD
	s_nop 1
	v_cndmask_b32_e32 v3, v3, v42, vcc
; %bb.327:                              ;   in Loop: Header=BB170_43 Depth=1
	s_or_b64 exec, exec, s[0:1]
	v_lshlrev_b32_e32 v7, 16, v7
	v_mul_f32_e32 v42, v53, v7
	v_and_b32_e32 v7, 0x7f800000, v42
	v_cmp_ne_u32_e32 vcc, s14, v7
                                        ; implicit-def: $vgpr7
	s_and_saveexec_b64 s[0:1], vcc
	s_xor_b64 s[0:1], exec, s[0:1]
; %bb.328:                              ;   in Loop: Header=BB170_43 Depth=1
	v_bfe_u32 v7, v42, 16, 1
	v_add3_u32 v7, v42, v7, s15
                                        ; implicit-def: $vgpr42
; %bb.329:                              ;   in Loop: Header=BB170_43 Depth=1
	s_andn2_saveexec_b64 s[0:1], s[0:1]
; %bb.330:                              ;   in Loop: Header=BB170_43 Depth=1
	v_or_b32_e32 v7, 0x10000, v42
	v_cmp_eq_u32_sdwa vcc, v42, v21 src0_sel:WORD_0 src1_sel:DWORD
	s_nop 1
	v_cndmask_b32_e32 v7, v7, v42, vcc
; %bb.331:                              ;   in Loop: Header=BB170_43 Depth=1
	s_or_b64 exec, exec, s[0:1]
	v_lshlrev_b32_e32 v4, 16, v4
	v_mul_f32_e32 v42, v54, v4
	v_and_b32_e32 v4, 0x7f800000, v42
	v_cmp_ne_u32_e32 vcc, s14, v4
                                        ; implicit-def: $vgpr4
	s_and_saveexec_b64 s[0:1], vcc
	s_xor_b64 s[0:1], exec, s[0:1]
; %bb.332:                              ;   in Loop: Header=BB170_43 Depth=1
	v_bfe_u32 v4, v42, 16, 1
	v_add3_u32 v4, v42, v4, s15
                                        ; implicit-def: $vgpr42
; %bb.333:                              ;   in Loop: Header=BB170_43 Depth=1
	s_andn2_saveexec_b64 s[0:1], s[0:1]
; %bb.334:                              ;   in Loop: Header=BB170_43 Depth=1
	v_or_b32_e32 v4, 0x10000, v42
	v_cmp_eq_u32_sdwa vcc, v42, v21 src0_sel:WORD_0 src1_sel:DWORD
	s_nop 1
	v_cndmask_b32_e32 v4, v4, v42, vcc
; %bb.335:                              ;   in Loop: Header=BB170_43 Depth=1
	s_or_b64 exec, exec, s[0:1]
	v_lshlrev_b32_e32 v42, 16, v101
	v_mul_f32_e32 v43, v55, v42
	v_and_b32_e32 v42, 0x7f800000, v43
	v_cmp_ne_u32_e32 vcc, s14, v42
                                        ; implicit-def: $vgpr42
	s_and_saveexec_b64 s[0:1], vcc
	s_xor_b64 s[0:1], exec, s[0:1]
; %bb.336:                              ;   in Loop: Header=BB170_43 Depth=1
	v_bfe_u32 v42, v43, 16, 1
	v_add3_u32 v42, v43, v42, s15
                                        ; implicit-def: $vgpr43
; %bb.337:                              ;   in Loop: Header=BB170_43 Depth=1
	s_andn2_saveexec_b64 s[0:1], s[0:1]
; %bb.338:                              ;   in Loop: Header=BB170_43 Depth=1
	v_or_b32_e32 v42, 0x10000, v43
	v_cmp_eq_u32_sdwa vcc, v43, v21 src0_sel:WORD_0 src1_sel:DWORD
	s_nop 1
	v_cndmask_b32_e32 v42, v42, v43, vcc
; %bb.339:                              ;   in Loop: Header=BB170_43 Depth=1
	s_or_b64 exec, exec, s[0:1]
	v_lshlrev_b32_e32 v5, 16, v5
	v_mul_f32_e32 v43, v56, v5
	v_and_b32_e32 v5, 0x7f800000, v43
	v_cmp_ne_u32_e32 vcc, s14, v5
                                        ; implicit-def: $vgpr5
	s_and_saveexec_b64 s[0:1], vcc
	s_xor_b64 s[0:1], exec, s[0:1]
; %bb.340:                              ;   in Loop: Header=BB170_43 Depth=1
	v_bfe_u32 v5, v43, 16, 1
	v_add3_u32 v5, v43, v5, s15
                                        ; implicit-def: $vgpr43
; %bb.341:                              ;   in Loop: Header=BB170_43 Depth=1
	s_andn2_saveexec_b64 s[0:1], s[0:1]
; %bb.342:                              ;   in Loop: Header=BB170_43 Depth=1
	v_or_b32_e32 v5, 0x10000, v43
	v_cmp_eq_u32_sdwa vcc, v43, v21 src0_sel:WORD_0 src1_sel:DWORD
	s_nop 1
	v_cndmask_b32_e32 v5, v5, v43, vcc
; %bb.343:                              ;   in Loop: Header=BB170_43 Depth=1
	s_or_b64 exec, exec, s[0:1]
	v_lshlrev_b32_e32 v31, 16, v31
	v_mul_f32_e32 v43, v57, v31
	v_and_b32_e32 v31, 0x7f800000, v43
	v_cmp_ne_u32_e32 vcc, s14, v31
                                        ; implicit-def: $vgpr31
	s_and_saveexec_b64 s[0:1], vcc
	s_xor_b64 s[0:1], exec, s[0:1]
; %bb.344:                              ;   in Loop: Header=BB170_43 Depth=1
	v_bfe_u32 v31, v43, 16, 1
	v_add3_u32 v31, v43, v31, s15
                                        ; implicit-def: $vgpr43
; %bb.345:                              ;   in Loop: Header=BB170_43 Depth=1
	s_andn2_saveexec_b64 s[0:1], s[0:1]
	s_cbranch_execz .LBB170_42
; %bb.346:                              ;   in Loop: Header=BB170_43 Depth=1
	v_or_b32_e32 v31, 0x10000, v43
	v_cmp_eq_u32_sdwa vcc, v43, v21 src0_sel:WORD_0 src1_sel:DWORD
	s_nop 1
	v_cndmask_b32_e32 v31, v31, v43, vcc
	s_branch .LBB170_42
.LBB170_347:
	s_or_b64 exec, exec, s[8:9]
.LBB170_348:
	s_or_b64 exec, exec, s[2:3]
	ds_bpermute_b32 v2, v32, v18
	ds_bpermute_b32 v3, v32, v19
	;; [unrolled: 1-line block ×8, first 2 shown]
	s_waitcnt lgkmcnt(6)
	v_pk_add_f32 v[8:9], v[18:19], v[2:3]
	s_waitcnt lgkmcnt(4)
	v_pk_add_f32 v[2:3], v[14:15], v[6:7]
	;; [unrolled: 2-line block ×3, first 2 shown]
	v_and_b32_e32 v10, 0x3c1, v0
	s_waitcnt lgkmcnt(0)
	v_pk_add_f32 v[4:5], v[16:17], v[4:5]
	v_cmp_eq_u32_e32 vcc, 64, v10
	s_barrier
	s_and_saveexec_b64 s[0:1], vcc
	s_cbranch_execz .LBB170_350
; %bb.349:
	v_mov_b32_e32 v10, 0x210
	v_lshl_add_u32 v1, v1, 1, v10
	ds_write2_b32 v1, v8, v9 offset1:32
	ds_write2_b32 v1, v4, v5 offset0:64 offset1:96
	ds_write2_b32 v1, v2, v3 offset0:128 offset1:160
	;; [unrolled: 1-line block ×3, first 2 shown]
.LBB170_350:
	s_or_b64 exec, exec, s[0:1]
	v_cmp_gt_u32_e32 vcc, 64, v0
	s_waitcnt lgkmcnt(0)
	s_barrier
	s_and_saveexec_b64 s[2:3], vcc
	s_cbranch_execz .LBB170_361
; %bb.351:
	v_cmp_eq_u32_e64 s[0:1], 0, v33
	v_lshrrev_b32_e32 v1, 1, v0
	s_and_saveexec_b64 s[6:7], s[0:1]
	s_cbranch_execnz .LBB170_397
; %bb.352:
	s_or_b64 exec, exec, s[6:7]
	s_and_saveexec_b64 s[6:7], s[0:1]
	s_cbranch_execnz .LBB170_398
.LBB170_353:
	s_or_b64 exec, exec, s[6:7]
	s_and_saveexec_b64 s[6:7], s[0:1]
	s_cbranch_execnz .LBB170_399
.LBB170_354:
	s_or_b64 exec, exec, s[6:7]
	s_and_saveexec_b64 s[6:7], s[0:1]
	s_cbranch_execnz .LBB170_400
.LBB170_355:
	s_or_b64 exec, exec, s[6:7]
	s_and_saveexec_b64 s[6:7], s[0:1]
	s_cbranch_execnz .LBB170_401
.LBB170_356:
	s_or_b64 exec, exec, s[6:7]
	s_and_saveexec_b64 s[6:7], s[0:1]
	s_cbranch_execnz .LBB170_402
.LBB170_357:
	s_or_b64 exec, exec, s[6:7]
	s_and_saveexec_b64 s[6:7], s[0:1]
	s_cbranch_execnz .LBB170_403
.LBB170_358:
	s_or_b64 exec, exec, s[6:7]
	s_and_saveexec_b64 s[6:7], s[0:1]
	s_cbranch_execz .LBB170_360
.LBB170_359:
	v_mov_b32_e32 v10, 0x210
	v_lshl_add_u32 v1, v1, 2, v10
	ds_read_b32 v1, v1 offset:896
	s_waitcnt lgkmcnt(0)
	v_add_f32_e32 v7, v7, v1
.LBB170_360:
	s_or_b64 exec, exec, s[6:7]
.LBB170_361:
	s_or_b64 exec, exec, s[2:3]
	s_barrier
	s_and_saveexec_b64 s[0:1], vcc
	s_cbranch_execz .LBB170_396
; %bb.362:
	v_cmp_eq_u32_e32 vcc, 0, v33
	s_and_b64 exec, exec, vcc
	s_cbranch_execz .LBB170_396
; %bb.363:
	s_mov_b32 s0, 0x7f800000
	v_and_b32_e32 v1, 0x7f800000, v8
	v_cmp_ne_u32_e32 vcc, s0, v1
                                        ; implicit-def: $vgpr10
	s_and_saveexec_b64 s[0:1], vcc
	s_xor_b64 s[0:1], exec, s[0:1]
; %bb.364:
	v_bfe_u32 v1, v8, 16, 1
	s_movk_i32 s2, 0x7fff
	v_add3_u32 v10, v8, v1, s2
; %bb.365:
	s_andn2_saveexec_b64 s[0:1], s[0:1]
; %bb.366:
	v_mov_b32_e32 v1, 0
	v_or_b32_e32 v10, 0x10000, v8
	v_cmp_eq_u32_sdwa vcc, v8, v1 src0_sel:WORD_0 src1_sel:DWORD
	s_nop 1
	v_cndmask_b32_e32 v10, v10, v8, vcc
; %bb.367:
	s_or_b64 exec, exec, s[0:1]
	s_mul_i32 s0, s12, s20
	s_mul_i32 s0, s0, s21
	s_lshl_b32 s0, s0, 8
	s_ashr_i32 s1, s0, 31
	s_lshl_b64 s[0:1], s[0:1], 1
	s_add_u32 s2, s24, s0
	s_mul_i32 s0, s12, s22
	s_addc_u32 s3, s25, s1
	s_ashr_i32 s1, s0, 31
	s_lshl_b64 s[0:1], s[0:1], 1
	s_add_u32 s2, s2, s0
	s_addc_u32 s3, s3, s1
	s_lshl_b32 s0, s4, 8
	s_ashr_i32 s1, s0, 31
	s_lshl_b64 s[0:1], s[0:1], 1
	s_add_u32 s0, s2, s0
	s_mov_b32 s2, 0x7f800000
	v_and_b32_e32 v8, 0x7f800000, v9
	s_addc_u32 s1, s3, s1
	v_and_b32_e32 v0, 0x3fe, v0
	v_mov_b32_e32 v1, 0
	v_cmp_ne_u32_e32 vcc, s2, v8
	global_store_short_d16_hi v0, v10, s[0:1]
                                        ; implicit-def: $vgpr8
	s_and_saveexec_b64 s[2:3], vcc
	s_xor_b64 s[2:3], exec, s[2:3]
; %bb.368:
	v_bfe_u32 v8, v9, 16, 1
	s_movk_i32 s4, 0x7fff
	v_add3_u32 v8, v9, v8, s4
; %bb.369:
	s_or_saveexec_b64 s[2:3], s[2:3]
	v_lshl_add_u64 v[10:11], s[0:1], 0, v[0:1]
	s_xor_b64 exec, exec, s[2:3]
; %bb.370:
	v_mov_b32_e32 v0, 0
	v_or_b32_e32 v1, 0x10000, v9
	v_cmp_eq_u32_sdwa vcc, v9, v0 src0_sel:WORD_0 src1_sel:DWORD
	s_nop 1
	v_cndmask_b32_e32 v8, v1, v9, vcc
; %bb.371:
	s_or_b64 exec, exec, s[2:3]
	s_mov_b32 s0, 0x7f800000
	v_and_b32_e32 v0, 0x7f800000, v4
	v_cmp_ne_u32_e32 vcc, s0, v0
	global_store_short_d16_hi v[10:11], v8, off offset:64
                                        ; implicit-def: $vgpr0
	s_and_saveexec_b64 s[0:1], vcc
	s_xor_b64 s[0:1], exec, s[0:1]
; %bb.372:
	v_bfe_u32 v0, v4, 16, 1
	s_movk_i32 s2, 0x7fff
	v_add3_u32 v0, v4, v0, s2
; %bb.373:
	s_andn2_saveexec_b64 s[0:1], s[0:1]
; %bb.374:
	v_mov_b32_e32 v0, 0
	v_or_b32_e32 v1, 0x10000, v4
	v_cmp_eq_u32_sdwa vcc, v4, v0 src0_sel:WORD_0 src1_sel:DWORD
	s_nop 1
	v_cndmask_b32_e32 v0, v1, v4, vcc
; %bb.375:
	s_or_b64 exec, exec, s[0:1]
	global_store_short_d16_hi v[10:11], v0, off offset:128
	s_mov_b32 s0, 0x7f800000
	v_and_b32_e32 v0, 0x7f800000, v5
	v_cmp_ne_u32_e32 vcc, s0, v0
                                        ; implicit-def: $vgpr0
	s_and_saveexec_b64 s[0:1], vcc
	s_xor_b64 s[0:1], exec, s[0:1]
; %bb.376:
	v_bfe_u32 v0, v5, 16, 1
	s_movk_i32 s2, 0x7fff
	v_add3_u32 v0, v5, v0, s2
; %bb.377:
	s_andn2_saveexec_b64 s[0:1], s[0:1]
; %bb.378:
	v_mov_b32_e32 v0, 0
	v_or_b32_e32 v1, 0x10000, v5
	v_cmp_eq_u32_sdwa vcc, v5, v0 src0_sel:WORD_0 src1_sel:DWORD
	s_nop 1
	v_cndmask_b32_e32 v0, v1, v5, vcc
; %bb.379:
	s_or_b64 exec, exec, s[0:1]
	global_store_short_d16_hi v[10:11], v0, off offset:192
	s_mov_b32 s0, 0x7f800000
	v_and_b32_e32 v0, 0x7f800000, v2
	v_cmp_ne_u32_e32 vcc, s0, v0
	;; [unrolled: 21-line block ×5, first 2 shown]
                                        ; implicit-def: $vgpr8
	s_and_saveexec_b64 s[0:1], vcc
	s_xor_b64 s[0:1], exec, s[0:1]
; %bb.392:
	v_bfe_u32 v0, v7, 16, 1
	s_movk_i32 s2, 0x7fff
	v_add3_u32 v8, v7, v0, s2
                                        ; implicit-def: $vgpr0_vgpr1_vgpr2_vgpr3_vgpr4_vgpr5_vgpr6_vgpr7
; %bb.393:
	s_andn2_saveexec_b64 s[0:1], s[0:1]
; %bb.394:
	v_mov_b32_e32 v0, 0
	v_or_b32_e32 v1, 0x10000, v7
	v_cmp_eq_u32_sdwa vcc, v7, v0 src0_sel:WORD_0 src1_sel:DWORD
	s_nop 1
	v_cndmask_b32_e32 v8, v1, v7, vcc
; %bb.395:
	s_or_b64 exec, exec, s[0:1]
	global_store_short_d16_hi v[10:11], v8, off offset:448
.LBB170_396:
	s_endpgm
.LBB170_397:
	v_mov_b32_e32 v10, 0x210
	v_lshl_add_u32 v10, v1, 2, v10
	ds_read_b32 v10, v10
	s_waitcnt lgkmcnt(0)
	v_add_f32_e32 v8, v8, v10
	s_or_b64 exec, exec, s[6:7]
	s_and_saveexec_b64 s[6:7], s[0:1]
	s_cbranch_execz .LBB170_353
.LBB170_398:
	v_mov_b32_e32 v10, 0x210
	v_lshl_add_u32 v10, v1, 2, v10
	ds_read_b32 v10, v10 offset:128
	s_waitcnt lgkmcnt(0)
	v_add_f32_e32 v9, v9, v10
	s_or_b64 exec, exec, s[6:7]
	s_and_saveexec_b64 s[6:7], s[0:1]
	s_cbranch_execz .LBB170_354
.LBB170_399:
	v_mov_b32_e32 v10, 0x210
	v_lshl_add_u32 v10, v1, 2, v10
	ds_read_b32 v10, v10 offset:256
	s_waitcnt lgkmcnt(0)
	v_add_f32_e32 v4, v4, v10
	s_or_b64 exec, exec, s[6:7]
	s_and_saveexec_b64 s[6:7], s[0:1]
	s_cbranch_execz .LBB170_355
.LBB170_400:
	v_mov_b32_e32 v10, 0x210
	v_lshl_add_u32 v10, v1, 2, v10
	ds_read_b32 v10, v10 offset:384
	s_waitcnt lgkmcnt(0)
	v_add_f32_e32 v5, v5, v10
	s_or_b64 exec, exec, s[6:7]
	s_and_saveexec_b64 s[6:7], s[0:1]
	s_cbranch_execz .LBB170_356
.LBB170_401:
	v_mov_b32_e32 v10, 0x210
	v_lshl_add_u32 v10, v1, 2, v10
	ds_read_b32 v10, v10 offset:512
	s_waitcnt lgkmcnt(0)
	v_add_f32_e32 v2, v2, v10
	s_or_b64 exec, exec, s[6:7]
	s_and_saveexec_b64 s[6:7], s[0:1]
	s_cbranch_execz .LBB170_357
.LBB170_402:
	v_mov_b32_e32 v10, 0x210
	v_lshl_add_u32 v10, v1, 2, v10
	ds_read_b32 v10, v10 offset:640
	s_waitcnt lgkmcnt(0)
	v_add_f32_e32 v3, v3, v10
	s_or_b64 exec, exec, s[6:7]
	s_and_saveexec_b64 s[6:7], s[0:1]
	s_cbranch_execz .LBB170_358
.LBB170_403:
	v_mov_b32_e32 v10, 0x210
	v_lshl_add_u32 v10, v1, 2, v10
	ds_read_b32 v10, v10 offset:768
	s_waitcnt lgkmcnt(0)
	v_add_f32_e32 v6, v6, v10
	s_or_b64 exec, exec, s[6:7]
	s_and_saveexec_b64 s[6:7], s[0:1]
	s_cbranch_execnz .LBB170_359
	s_branch .LBB170_360
	.section	.rodata,"a",@progbits
	.p2align	6, 0x0
	.amdhsa_kernel _ZN4vllm25paged_attention_v2_kernelI14__hip_bfloat16S1_Li256ELi16ELi128ELNS_18Fp8KVCacheDataTypeE0ELb0ELi512EEEvPfS3_PT_PKS4_PKT0_SA_ifPKiSC_iPKfiiiSE_SE_iiiii
		.amdhsa_group_segment_fixed_size 528
		.amdhsa_private_segment_fixed_size 0
		.amdhsa_kernarg_size 400
		.amdhsa_user_sgpr_count 2
		.amdhsa_user_sgpr_dispatch_ptr 0
		.amdhsa_user_sgpr_queue_ptr 0
		.amdhsa_user_sgpr_kernarg_segment_ptr 1
		.amdhsa_user_sgpr_dispatch_id 0
		.amdhsa_user_sgpr_kernarg_preload_length 0
		.amdhsa_user_sgpr_kernarg_preload_offset 0
		.amdhsa_user_sgpr_private_segment_size 0
		.amdhsa_uses_dynamic_stack 0
		.amdhsa_enable_private_segment 0
		.amdhsa_system_sgpr_workgroup_id_x 1
		.amdhsa_system_sgpr_workgroup_id_y 1
		.amdhsa_system_sgpr_workgroup_id_z 1
		.amdhsa_system_sgpr_workgroup_info 0
		.amdhsa_system_vgpr_workitem_id 0
		.amdhsa_next_free_vgpr 116
		.amdhsa_next_free_sgpr 43
		.amdhsa_accum_offset 116
		.amdhsa_reserve_vcc 1
		.amdhsa_float_round_mode_32 0
		.amdhsa_float_round_mode_16_64 0
		.amdhsa_float_denorm_mode_32 3
		.amdhsa_float_denorm_mode_16_64 3
		.amdhsa_dx10_clamp 1
		.amdhsa_ieee_mode 1
		.amdhsa_fp16_overflow 0
		.amdhsa_tg_split 0
		.amdhsa_exception_fp_ieee_invalid_op 0
		.amdhsa_exception_fp_denorm_src 0
		.amdhsa_exception_fp_ieee_div_zero 0
		.amdhsa_exception_fp_ieee_overflow 0
		.amdhsa_exception_fp_ieee_underflow 0
		.amdhsa_exception_fp_ieee_inexact 0
		.amdhsa_exception_int_div_zero 0
	.end_amdhsa_kernel
	.section	.text._ZN4vllm25paged_attention_v2_kernelI14__hip_bfloat16S1_Li256ELi16ELi128ELNS_18Fp8KVCacheDataTypeE0ELb0ELi512EEEvPfS3_PT_PKS4_PKT0_SA_ifPKiSC_iPKfiiiSE_SE_iiiii,"axG",@progbits,_ZN4vllm25paged_attention_v2_kernelI14__hip_bfloat16S1_Li256ELi16ELi128ELNS_18Fp8KVCacheDataTypeE0ELb0ELi512EEEvPfS3_PT_PKS4_PKT0_SA_ifPKiSC_iPKfiiiSE_SE_iiiii,comdat
.Lfunc_end170:
	.size	_ZN4vllm25paged_attention_v2_kernelI14__hip_bfloat16S1_Li256ELi16ELi128ELNS_18Fp8KVCacheDataTypeE0ELb0ELi512EEEvPfS3_PT_PKS4_PKT0_SA_ifPKiSC_iPKfiiiSE_SE_iiiii, .Lfunc_end170-_ZN4vllm25paged_attention_v2_kernelI14__hip_bfloat16S1_Li256ELi16ELi128ELNS_18Fp8KVCacheDataTypeE0ELb0ELi512EEEvPfS3_PT_PKS4_PKT0_SA_ifPKiSC_iPKfiiiSE_SE_iiiii
                                        ; -- End function
	.section	.AMDGPU.csdata,"",@progbits
; Kernel info:
; codeLenInByte = 14268
; NumSgprs: 49
; NumVgprs: 116
; NumAgprs: 0
; TotalNumVgprs: 116
; ScratchSize: 0
; MemoryBound: 0
; FloatMode: 240
; IeeeMode: 1
; LDSByteSize: 528 bytes/workgroup (compile time only)
; SGPRBlocks: 6
; VGPRBlocks: 14
; NumSGPRsForWavesPerEU: 49
; NumVGPRsForWavesPerEU: 116
; AccumOffset: 116
; Occupancy: 4
; WaveLimiterHint : 1
; COMPUTE_PGM_RSRC2:SCRATCH_EN: 0
; COMPUTE_PGM_RSRC2:USER_SGPR: 2
; COMPUTE_PGM_RSRC2:TRAP_HANDLER: 0
; COMPUTE_PGM_RSRC2:TGID_X_EN: 1
; COMPUTE_PGM_RSRC2:TGID_Y_EN: 1
; COMPUTE_PGM_RSRC2:TGID_Z_EN: 1
; COMPUTE_PGM_RSRC2:TIDIG_COMP_CNT: 0
; COMPUTE_PGM_RSRC3_GFX90A:ACCUM_OFFSET: 28
; COMPUTE_PGM_RSRC3_GFX90A:TG_SPLIT: 0
	.section	.text._ZN4vllm25paged_attention_v2_kernelI14__hip_bfloat16S1_Li32ELi32ELi128ELNS_18Fp8KVCacheDataTypeE0ELb1ELi512EEEvPfS3_PT_PKS4_PKT0_SA_ifPKiSC_iPKfiiiSE_SE_iiiii,"axG",@progbits,_ZN4vllm25paged_attention_v2_kernelI14__hip_bfloat16S1_Li32ELi32ELi128ELNS_18Fp8KVCacheDataTypeE0ELb1ELi512EEEvPfS3_PT_PKS4_PKT0_SA_ifPKiSC_iPKfiiiSE_SE_iiiii,comdat
	.protected	_ZN4vllm25paged_attention_v2_kernelI14__hip_bfloat16S1_Li32ELi32ELi128ELNS_18Fp8KVCacheDataTypeE0ELb1ELi512EEEvPfS3_PT_PKS4_PKT0_SA_ifPKiSC_iPKfiiiSE_SE_iiiii ; -- Begin function _ZN4vllm25paged_attention_v2_kernelI14__hip_bfloat16S1_Li32ELi32ELi128ELNS_18Fp8KVCacheDataTypeE0ELb1ELi512EEEvPfS3_PT_PKS4_PKT0_SA_ifPKiSC_iPKfiiiSE_SE_iiiii
	.globl	_ZN4vllm25paged_attention_v2_kernelI14__hip_bfloat16S1_Li32ELi32ELi128ELNS_18Fp8KVCacheDataTypeE0ELb1ELi512EEEvPfS3_PT_PKS4_PKT0_SA_ifPKiSC_iPKfiiiSE_SE_iiiii
	.p2align	8
	.type	_ZN4vllm25paged_attention_v2_kernelI14__hip_bfloat16S1_Li32ELi32ELi128ELNS_18Fp8KVCacheDataTypeE0ELb1ELi512EEEvPfS3_PT_PKS4_PKT0_SA_ifPKiSC_iPKfiiiSE_SE_iiiii,@function
_ZN4vllm25paged_attention_v2_kernelI14__hip_bfloat16S1_Li32ELi32ELi128ELNS_18Fp8KVCacheDataTypeE0ELb1ELi512EEEvPfS3_PT_PKS4_PKT0_SA_ifPKiSC_iPKfiiiSE_SE_iiiii: ; @_ZN4vllm25paged_attention_v2_kernelI14__hip_bfloat16S1_Li32ELi32ELi128ELNS_18Fp8KVCacheDataTypeE0ELb1ELi512EEEvPfS3_PT_PKS4_PKT0_SA_ifPKiSC_iPKfiiiSE_SE_iiiii
; %bb.0:
	s_load_dwordx2 s[6:7], s[0:1], 0x40
	s_mov_b32 s24, s3
	s_ashr_i32 s25, s3, 31
	s_lshl_b64 s[8:9], s[24:25], 2
	s_waitcnt lgkmcnt(0)
	s_add_u32 s6, s6, s8
	s_addc_u32 s7, s7, s9
	s_load_dword s33, s[6:7], 0x0
	s_lshl_b32 s5, s4, 9
	s_waitcnt lgkmcnt(0)
	s_cmp_ge_i32 s5, s33
	s_cbranch_scc1 .LBB171_172
; %bb.1:
	s_load_dword s25, s[0:1], 0x90
	s_load_dwordx2 s[38:39], s[0:1], 0x30
	s_waitcnt lgkmcnt(0)
	s_abs_i32 s7, s25
	s_abs_i32 s3, s38
	v_cvt_f32_u32_e32 v1, s3
	s_sub_i32 s8, 0, s3
	s_xor_b32 s6, s25, s38
	s_ashr_i32 s6, s6, 31
	v_rcp_iflag_f32_e32 v1, v1
	s_nop 0
	v_mul_f32_e32 v1, 0x4f7ffffe, v1
	v_cvt_u32_f32_e32 v1, v1
	s_nop 0
	v_readfirstlane_b32 s9, v1
	s_mul_i32 s8, s8, s9
	s_mul_hi_u32 s8, s9, s8
	s_add_i32 s9, s9, s8
	s_mul_hi_u32 s8, s7, s9
	s_mul_i32 s9, s8, s3
	s_sub_i32 s7, s7, s9
	s_add_i32 s10, s8, 1
	s_sub_i32 s9, s7, s3
	s_cmp_ge_u32 s7, s3
	s_cselect_b32 s8, s10, s8
	s_cselect_b32 s7, s9, s7
	s_add_i32 s9, s8, 1
	s_cmp_ge_u32 s7, s3
	s_cselect_b32 s3, s9, s8
	s_xor_b32 s3, s3, s6
	s_sub_i32 s12, s3, s6
	s_abs_i32 s8, s12
	v_cvt_f32_u32_e32 v1, s8
	s_load_dwordx2 s[6:7], s[0:1], 0x50
	s_sub_i32 s10, 0, s8
	s_abs_i32 s9, s2
	v_rcp_iflag_f32_e32 v1, v1
	s_mov_b32 s3, 0
	v_mul_f32_e32 v1, 0x4f7ffffe, v1
	v_cvt_u32_f32_e32 v1, v1
	s_nop 0
	v_readfirstlane_b32 s11, v1
	s_mul_i32 s10, s10, s11
	s_mul_hi_u32 s10, s11, s10
	s_add_i32 s11, s11, s10
	s_waitcnt lgkmcnt(0)
	s_cmp_eq_u64 s[6:7], 0
	s_mul_hi_u32 s10, s9, s11
	s_cbranch_scc1 .LBB171_3
; %bb.2:
	s_ashr_i32 s3, s2, 31
	s_lshl_b64 s[14:15], s[2:3], 2
	s_add_u32 s6, s6, s14
	s_addc_u32 s7, s7, s15
	s_load_dword s3, s[6:7], 0x0
.LBB171_3:
	s_ashr_i32 s16, s12, 31
	s_load_dwordx4 s[12:15], s[0:1], 0x58
	s_ashr_i32 s11, s2, 31
	v_and_b32_e32 v4, 1, v0
	s_lshl_b32 s26, s2, 5
	v_cmp_gt_u32_e32 vcc, 8, v0
	v_lshlrev_b32_e32 v6, 3, v0
	s_and_saveexec_b64 s[6:7], vcc
	s_cbranch_execz .LBB171_5
; %bb.4:
	s_load_dwordx2 s[18:19], s[0:1], 0x18
	s_waitcnt lgkmcnt(0)
	s_mul_i32 s20, s24, s12
	s_ashr_i32 s21, s20, 31
	s_lshl_b64 s[20:21], s[20:21], 1
	v_lshlrev_b32_e32 v1, 2, v0
	s_add_u32 s12, s18, s20
	s_addc_u32 s15, s19, s21
	s_ashr_i32 s27, s26, 31
	s_lshl_b64 s[18:19], s[26:27], 1
	s_add_u32 s18, s12, s18
	s_addc_u32 s19, s15, s19
	global_load_dwordx2 v[2:3], v6, s[18:19]
	v_and_b32_e32 v1, 0xff8, v1
	v_lshl_add_u32 v1, v4, 5, v1
	s_waitcnt vmcnt(0)
	ds_write_b64 v1, v[2:3]
.LBB171_5:
	s_or_b64 exec, exec, s[6:7]
	s_mul_i32 s7, s10, s8
	s_sub_i32 s7, s9, s7
	s_xor_b32 s6, s11, s16
	s_add_i32 s9, s10, 1
	s_sub_i32 s11, s7, s8
	s_load_dwordx4 s[16:19], s[0:1], 0x78
	s_cmp_ge_u32 s7, s8
	s_cselect_b32 s9, s9, s10
	s_cselect_b32 s7, s11, s7
	s_load_dword s11, s[0:1], 0x88
	s_add_i32 s10, s9, 1
	s_cmp_ge_u32 s7, s8
	s_cselect_b32 s7, s10, s9
	s_waitcnt lgkmcnt(0)
	s_abs_i32 s27, s19
	v_cvt_f32_u32_e32 v1, s27
	s_xor_b32 s7, s7, s6
	s_sub_i32 s8, s7, s6
	s_sub_i32 s6, 0, s27
	v_rcp_iflag_f32_e32 v1, v1
	s_add_i32 s12, s33, -1
	s_abs_i32 s9, s12
	v_mul_f32_e32 v1, 0x4f7ffffe, v1
	v_cvt_u32_f32_e32 v1, v1
	s_barrier
	v_readfirstlane_b32 s46, v1
	s_mul_i32 s6, s6, s46
	s_mul_hi_u32 s6, s46, s6
	s_add_i32 s46, s46, s6
	s_cmp_lt_i32 s11, 0
	s_mul_hi_u32 s10, s9, s46
	s_cbranch_scc0 .LBB171_7
; %bb.6:
	s_mul_i32 s6, s16, s38
	s_add_i32 s6, s8, s6
	s_mul_i32 s6, s6, s11
	s_sub_i32 s47, 1, s6
	s_mov_b64 s[6:7], 0
	s_branch .LBB171_8
.LBB171_7:
	s_mov_b64 s[6:7], -1
                                        ; implicit-def: $sgpr47
.LBB171_8:
	s_load_dwordx2 s[30:31], s[0:1], 0x38
	s_ashr_i32 s15, s12, 31
	s_andn2_b64 vcc, exec, s[6:7]
	s_ashr_i32 s19, s19, 31
	s_cbranch_vccnz .LBB171_10
; %bb.9:
	s_mul_i32 s6, s25, s16
	s_add_i32 s6, s6, s2
	s_mul_i32 s6, s6, s11
	s_add_i32 s47, s6, 1
.LBB171_10:
	s_load_dword s6, s[0:1], 0x48
	s_load_dwordx2 s[36:37], s[0:1], 0x28
	s_load_dword s12, s[0:1], 0x98
	s_load_dwordx4 s[20:23], s[0:1], 0x0
	s_load_dwordx2 s[28:29], s[0:1], 0x10
	s_mul_i32 s7, s10, s27
	s_waitcnt lgkmcnt(0)
	s_mul_i32 s34, s24, s6
	s_sub_i32 s7, s9, s7
	s_ashr_i32 s35, s34, 31
	s_xor_b32 s6, s15, s19
	s_add_i32 s9, s10, 1
	s_sub_i32 s11, s7, s27
	s_cmp_ge_u32 s7, s27
	s_cselect_b32 s9, s9, s10
	s_cselect_b32 s7, s11, s7
	s_add_i32 s10, s9, 1
	s_cmp_ge_u32 s7, s27
	s_cselect_b32 s7, s10, s9
	s_xor_b32 s7, s7, s6
	s_sub_i32 s49, s7, s6
	s_add_i32 s6, s33, 31
	s_ashr_i32 s7, s6, 31
	s_lshr_b32 s7, s7, 27
	s_add_i32 s6, s6, s7
	s_lshl_b32 s38, s4, 4
	s_ashr_i32 s48, s6, 5
	s_add_i32 s6, s38, 16
	v_lshrrev_b32_e32 v7, 6, v0
	s_min_i32 s16, s6, s48
	v_or_b32_e32 v10, s38, v7
	v_cmp_gt_i32_e64 s[6:7], s16, v10
	v_mov_b32_e32 v12, 0xff7fffff
	s_mul_i32 s14, s8, s14
	v_ashrrev_i32_e32 v11, 31, v10
	v_lshl_add_u32 v1, v7, 5, s5
	v_mbcnt_lo_u32_b32 v8, -1, 0
	s_and_saveexec_b64 s[40:41], s[6:7]
	s_cbranch_execz .LBB171_20
; %bb.11:
	s_load_dwordx2 s[0:1], s[0:1], 0x20
	s_ashr_i32 s15, s14, 31
	s_sub_i32 s50, s49, s17
	s_lshl_b64 s[8:9], s[14:15], 1
	v_bfe_u32 v9, v0, 1, 5
	s_waitcnt lgkmcnt(0)
	s_add_u32 s0, s0, s8
	s_addc_u32 s1, s1, s9
	s_abs_i32 s15, s18
	v_cvt_f32_u32_e32 v5, s15
	v_lshlrev_b32_e32 v2, 4, v9
	v_mov_b32_e32 v3, 0
	v_lshl_add_u64 v[12:13], s[0:1], 0, v[2:3]
	v_rcp_iflag_f32_e32 v5, v5
	v_and_b32_e32 v2, 8, v6
	v_lshl_add_u64 v[2:3], v[12:13], 0, v[2:3]
	s_sub_i32 s8, 0, s15
	v_mul_f32_e32 v5, 0x4f7ffffe, v5
	v_cvt_u32_f32_e32 v5, v5
	v_lshlrev_b32_e32 v12, 2, v9
	v_cmp_eq_u32_e32 vcc, 0, v4
	v_lshlrev_b32_e32 v13, 5, v4
	v_mul_lo_u32 v4, s8, v5
	s_lshl_b64 s[8:9], s[34:35], 2
	v_lshl_or_b32 v12, v7, 7, v12
	s_add_u32 s8, s30, s8
	v_add_u32_e32 v16, 0x50, v12
	v_subrev_u32_e32 v12, s33, v9
	v_mbcnt_hi_u32_b32 v19, -1, v8
	v_mul_hi_u32 v4, v5, v4
	s_addc_u32 s9, s31, s9
	v_add_u32_e32 v17, 1, v12
	v_and_b32_e32 v12, 64, v19
	s_mov_b32 s51, s13
	v_cmp_neq_f32_e64 s[0:1], s3, 0
	v_add_u32_e32 v14, v5, v4
	v_lshl_add_u64 v[4:5], v[10:11], 2, s[8:9]
	v_lshl_add_u32 v15, v7, 5, s5
	s_mov_b64 s[42:43], 0
	v_mov_b32_e32 v18, 0xff7fffff
	v_xor_b32_e32 v20, 1, v19
	v_add_u32_e32 v21, 64, v12
	v_mov_b32_e32 v12, 0xff7fffff
	v_mov_b32_e32 v22, v10
	s_branch .LBB171_14
.LBB171_12:                             ;   in Loop: Header=BB171_14 Depth=1
	s_or_b64 exec, exec, s[44:45]
.LBB171_13:                             ;   in Loop: Header=BB171_14 Depth=1
	s_or_b64 exec, exec, s[10:11]
	v_add_u32_e32 v22, 2, v22
	v_cmp_le_i32_e64 s[8:9], s16, v22
	v_lshl_add_u64 v[4:5], v[4:5], 0, 8
	v_add_u32_e32 v15, 64, v15
	s_or_b64 s[42:43], s[8:9], s[42:43]
	v_add_u32_e32 v16, 0x100, v16
	s_andn2_b64 exec, exec, s[42:43]
	s_cbranch_execz .LBB171_19
.LBB171_14:                             ; =>This Inner Loop Header: Depth=1
	s_waitcnt lgkmcnt(0)
	v_sub_u32_e32 v24, 0, v15
	v_max_i32_e32 v24, v15, v24
	v_mul_hi_u32 v25, v24, s46
	v_mul_lo_u32 v26, v25, s27
	v_sub_u32_e32 v24, v24, v26
	v_add_u32_e32 v26, 1, v25
	v_cmp_le_u32_e64 s[8:9], s27, v24
	v_ashrrev_i32_e32 v23, 31, v15
	v_xor_b32_e32 v23, s19, v23
	v_cndmask_b32_e64 v25, v25, v26, s[8:9]
	v_subrev_u32_e32 v26, s27, v24
	v_cndmask_b32_e64 v24, v24, v26, s[8:9]
	v_add_u32_e32 v26, 1, v25
	v_cmp_le_u32_e64 s[8:9], s27, v24
	s_nop 1
	v_cndmask_b32_e64 v24, v25, v26, s[8:9]
	v_xor_b32_e32 v24, v24, v23
	v_sub_u32_e32 v23, v24, v23
	v_add_u32_e32 v24, s47, v23
	v_sub_u32_e32 v26, 0, v24
	v_ashrrev_i32_e32 v25, 31, v24
	v_max_i32_e32 v24, v24, v26
	v_mul_hi_u32 v26, v24, v14
	v_mul_lo_u32 v26, v26, s15
	v_sub_u32_e32 v24, v24, v26
	v_subrev_u32_e32 v26, s15, v24
	v_cmp_le_u32_e64 s[8:9], s15, v24
	v_cmp_ge_i32_e64 s[10:11], s50, v23
	s_nop 0
	v_cndmask_b32_e64 v24, v24, v26, s[8:9]
	v_subrev_u32_e32 v26, s15, v24
	v_cmp_le_u32_e64 s[8:9], s15, v24
	s_nop 1
	v_cndmask_b32_e64 v24, v24, v26, s[8:9]
	v_xor_b32_e32 v24, v24, v25
	v_sub_u32_e32 v24, v24, v25
	v_cmp_ne_u32_e64 s[8:9], 0, v24
	s_and_b64 s[8:9], s[8:9], s[10:11]
	s_and_b64 s[44:45], vcc, s[8:9]
	s_and_saveexec_b64 s[10:11], s[44:45]
	s_cbranch_execz .LBB171_16
; %bb.15:                               ;   in Loop: Header=BB171_14 Depth=1
	ds_write_b32 v16, v18
.LBB171_16:                             ;   in Loop: Header=BB171_14 Depth=1
	s_or_b64 exec, exec, s[10:11]
	s_xor_b64 s[8:9], s[8:9], -1
	s_and_saveexec_b64 s[10:11], s[8:9]
	s_cbranch_execz .LBB171_13
; %bb.17:                               ;   in Loop: Header=BB171_14 Depth=1
	global_load_dword v23, v[4:5], off
	s_waitcnt vmcnt(0)
	v_mad_i64_i32 v[24:25], s[8:9], v23, s51, 0
	v_lshl_add_u64 v[24:25], v[24:25], 1, v[2:3]
	global_load_dwordx2 v[32:33], v[24:25], off
	global_load_dwordx2 v[34:35], v[24:25], off offset:512
	global_load_dwordx2 v[36:37], v[24:25], off offset:1024
	global_load_dwordx2 v[38:39], v[24:25], off offset:1536
	ds_read_b128 v[24:27], v13
	ds_read_b128 v[28:31], v13 offset:16
	v_cmp_lt_i32_e64 s[8:9], v20, v21
	s_waitcnt lgkmcnt(1)
	v_lshlrev_b32_e32 v42, 16, v26
	v_cndmask_b32_e64 v23, v19, v20, s[8:9]
	v_and_b32_e32 v26, 0xffff0000, v26
	v_lshlrev_b32_e32 v40, 2, v23
	v_lshlrev_b32_e32 v23, 16, v24
	v_lshlrev_b32_e32 v43, 16, v27
	v_and_b32_e32 v24, 0xffff0000, v24
	v_lshlrev_b32_e32 v41, 16, v25
	s_waitcnt lgkmcnt(0)
	v_lshlrev_b32_e32 v44, 16, v28
	v_and_b32_e32 v27, 0xffff0000, v27
	v_and_b32_e32 v28, 0xffff0000, v28
	v_lshlrev_b32_e32 v45, 16, v29
	v_lshlrev_b32_e32 v46, 16, v30
	v_and_b32_e32 v25, 0xffff0000, v25
	v_and_b32_e32 v30, 0xffff0000, v30
	v_lshlrev_b32_e32 v47, 16, v31
	v_and_b32_e32 v29, 0xffff0000, v29
	v_and_b32_e32 v31, 0xffff0000, v31
	s_waitcnt vmcnt(3)
	v_lshlrev_b32_e32 v48, 16, v32
	s_waitcnt vmcnt(2)
	v_lshlrev_b32_e32 v50, 16, v34
	v_and_b32_e32 v34, 0xffff0000, v34
	v_and_b32_e32 v32, 0xffff0000, v32
	v_lshlrev_b32_e32 v51, 16, v35
	v_mul_f32_e32 v42, v42, v50
	v_mul_f32_e32 v26, v26, v34
	v_lshlrev_b32_e32 v49, 16, v33
	v_and_b32_e32 v35, 0xffff0000, v35
	s_waitcnt vmcnt(1)
	v_lshlrev_b32_e32 v52, 16, v36
	v_and_b32_e32 v36, 0xffff0000, v36
	v_mul_f32_e32 v34, v43, v51
	v_fmac_f32_e32 v42, v23, v48
	v_fmac_f32_e32 v26, v24, v32
	v_and_b32_e32 v33, 0xffff0000, v33
	v_lshlrev_b32_e32 v53, 16, v37
	s_waitcnt vmcnt(0)
	v_lshlrev_b32_e32 v54, 16, v38
	v_and_b32_e32 v38, 0xffff0000, v38
	v_mul_f32_e32 v27, v27, v35
	v_fmac_f32_e32 v34, v41, v49
	v_fmac_f32_e32 v42, v44, v52
	;; [unrolled: 1-line block ×3, first 2 shown]
	v_and_b32_e32 v37, 0xffff0000, v37
	v_lshlrev_b32_e32 v55, 16, v39
	v_fmac_f32_e32 v27, v25, v33
	v_fmac_f32_e32 v34, v45, v53
	;; [unrolled: 1-line block ×4, first 2 shown]
	v_and_b32_e32 v39, 0xffff0000, v39
	v_fmac_f32_e32 v27, v29, v37
	v_fmac_f32_e32 v34, v47, v55
	v_add_f32_e32 v23, v42, v26
	v_fmac_f32_e32 v27, v31, v39
	v_add_f32_e32 v23, v23, v34
	v_add_f32_e32 v23, v27, v23
	ds_bpermute_b32 v24, v40, v23
	s_and_saveexec_b64 s[44:45], vcc
	s_cbranch_execz .LBB171_12
; %bb.18:                               ;   in Loop: Header=BB171_14 Depth=1
	v_add_u32_e32 v25, v17, v15
	v_cvt_f32_i32_e32 v25, v25
	s_waitcnt lgkmcnt(0)
	v_add_f32_e32 v23, v23, v24
	v_add_u32_e32 v26, v9, v15
	v_cmp_gt_i32_e64 s[8:9], s33, v26
	v_mul_f32_e32 v24, s3, v25
	v_cndmask_b32_e64 v24, 0, v24, s[0:1]
	v_fmac_f32_e32 v24, s39, v23
	v_cndmask_b32_e64 v23, 0, v24, s[8:9]
	ds_write_b32 v16, v23
	v_max_f32_e32 v23, v12, v12
	v_max_f32_e32 v23, v23, v24
	v_cndmask_b32_e64 v12, v12, v23, s[8:9]
	s_branch .LBB171_12
.LBB171_19:
	s_or_b64 exec, exec, s[42:43]
.LBB171_20:
	s_or_b64 exec, exec, s[40:41]
	v_mbcnt_hi_u32_b32 v4, -1, v8
	v_and_b32_e32 v2, 64, v4
	v_add_u32_e32 v13, 64, v2
	v_xor_b32_e32 v2, 32, v4
	v_cmp_lt_i32_e32 vcc, v2, v13
	v_xor_b32_e32 v8, 16, v4
	v_max_f32_e32 v5, v12, v12
	v_cndmask_b32_e32 v2, v4, v2, vcc
	v_lshlrev_b32_e32 v2, 2, v2
	ds_bpermute_b32 v3, v2, v12
	v_cmp_lt_i32_e32 vcc, v8, v13
	v_xor_b32_e32 v9, 8, v4
	v_xor_b32_e32 v12, 4, v4
	v_xor_b32_e32 v14, 2, v4
	s_waitcnt lgkmcnt(0)
	v_max_f32_e32 v3, v3, v3
	v_max_f32_e32 v5, v5, v3
	v_cndmask_b32_e32 v3, v4, v8, vcc
	v_lshlrev_b32_e32 v3, 2, v3
	ds_bpermute_b32 v8, v3, v5
	v_cmp_lt_i32_e32 vcc, v9, v13
	v_and_b32_e32 v20, 63, v0
	s_waitcnt lgkmcnt(0)
	v_max_f32_e32 v8, v8, v8
	v_max_f32_e32 v8, v5, v8
	v_cndmask_b32_e32 v5, v4, v9, vcc
	v_lshlrev_b32_e32 v5, 2, v5
	ds_bpermute_b32 v9, v5, v8
	v_cmp_lt_i32_e32 vcc, v12, v13
	s_waitcnt lgkmcnt(0)
	v_max_f32_e32 v9, v9, v9
	v_max_f32_e32 v9, v8, v9
	v_cndmask_b32_e32 v8, v4, v12, vcc
	v_lshlrev_b32_e32 v8, 2, v8
	ds_bpermute_b32 v12, v8, v9
	v_cmp_lt_i32_e32 vcc, v14, v13
	s_waitcnt lgkmcnt(0)
	v_max_f32_e32 v12, v12, v12
	v_max_f32_e32 v12, v9, v12
	v_cndmask_b32_e32 v9, v4, v14, vcc
	v_lshlrev_b32_e32 v21, 2, v9
	ds_bpermute_b32 v14, v21, v12
	v_cmp_eq_u32_e32 vcc, 0, v20
	v_lshlrev_b32_e32 v9, 2, v7
	s_and_saveexec_b64 s[0:1], vcc
	s_cbranch_execz .LBB171_22
; %bb.21:
	s_waitcnt lgkmcnt(0)
	v_max_f32_e32 v14, v14, v14
	v_max_f32_e32 v12, v12, v12
	;; [unrolled: 1-line block ×3, first 2 shown]
	ds_write_b32 v9, v12 offset:64
.LBB171_22:
	s_or_b64 exec, exec, s[0:1]
	v_cmp_gt_u32_e64 s[0:1], 2, v20
	s_waitcnt lgkmcnt(0)
	v_mov_b32_e32 v14, 0xff7fffff
	v_lshlrev_b32_e32 v12, 2, v20
	s_barrier
	s_and_saveexec_b64 s[8:9], s[0:1]
	s_cbranch_execz .LBB171_24
; %bb.23:
	ds_read_b32 v14, v12 offset:64
.LBB171_24:
	s_or_b64 exec, exec, s[8:9]
	v_xor_b32_e32 v15, 1, v4
	v_cmp_lt_i32_e64 s[8:9], v15, v13
	s_sub_i32 s3, s16, s38
	s_lshl_b32 s3, s3, 5
	v_cndmask_b32_e64 v13, v4, v15, s[8:9]
	v_lshlrev_b32_e32 v22, 2, v13
	s_waitcnt lgkmcnt(0)
	ds_bpermute_b32 v13, v22, v14
	v_max_f32_e32 v14, v14, v14
	v_lshlrev_b32_e32 v4, 2, v4
	s_add_i32 s3, s3, s5
	s_min_i32 s15, s3, s33
	s_waitcnt lgkmcnt(0)
	v_max_f32_e32 v13, v13, v13
	v_max_f32_e32 v14, v14, v13
	v_and_b32_e32 v13, 0x100, v4
	ds_bpermute_b32 v4, v13, v14
	s_sub_i32 s3, s15, s5
	v_cmp_gt_i32_e64 s[8:9], s3, v0
	v_mov_b32_e32 v14, 0
	s_and_saveexec_b64 s[38:39], s[8:9]
	s_cbranch_execz .LBB171_28
; %bb.25:
	v_mov_b32_e32 v14, 0x50
	v_lshl_add_u32 v15, v0, 2, v14
	s_mov_b64 s[40:41], 0
	v_mov_b32_e32 v14, 0
	v_mov_b32_e32 v16, v0
.LBB171_26:                             ; =>This Inner Loop Header: Depth=1
	ds_read_b32 v17, v15
	v_add_u32_e32 v16, 0x80, v16
	v_cmp_le_i32_e64 s[10:11], s3, v16
	s_or_b64 s[40:41], s[10:11], s[40:41]
	s_waitcnt lgkmcnt(0)
	v_sub_f32_e32 v17, v17, v4
	v_mul_f32_e32 v17, 0x3fb8aa3b, v17
	v_exp_f32_e32 v17, v17
	ds_write_b32 v15, v17
	v_add_f32_e32 v14, v14, v17
	v_add_u32_e32 v15, 0x200, v15
	s_andn2_b64 exec, exec, s[40:41]
	s_cbranch_execnz .LBB171_26
; %bb.27:
	s_or_b64 exec, exec, s[40:41]
.LBB171_28:
	s_or_b64 exec, exec, s[38:39]
	ds_bpermute_b32 v2, v2, v14
	s_waitcnt lgkmcnt(0)
	v_add_f32_e32 v2, v14, v2
	ds_bpermute_b32 v3, v3, v2
	s_waitcnt lgkmcnt(0)
	v_add_f32_e32 v2, v2, v3
	;; [unrolled: 3-line block ×6, first 2 shown]
	s_and_saveexec_b64 s[10:11], vcc
	s_cbranch_execz .LBB171_30
; %bb.29:
	ds_write_b32 v9, v2 offset:72
.LBB171_30:
	s_or_b64 exec, exec, s[10:11]
	s_waitcnt lgkmcnt(0)
	s_barrier
	s_and_saveexec_b64 s[10:11], s[0:1]
	s_cbranch_execz .LBB171_32
; %bb.31:
	ds_read_b32 v2, v12 offset:72
.LBB171_32:
	s_or_b64 exec, exec, s[10:11]
	s_waitcnt lgkmcnt(0)
	ds_bpermute_b32 v3, v22, v2
	s_waitcnt lgkmcnt(0)
	v_add_f32_e32 v2, v2, v3
	ds_bpermute_b32 v5, v13, v2
	s_and_saveexec_b64 s[0:1], s[8:9]
	s_cbranch_execz .LBB171_45
; %bb.33:
	s_waitcnt lgkmcnt(0)
	v_add_f32_e32 v2, 0x358637bd, v5
	v_div_scale_f32 v3, s[8:9], v2, v2, 1.0
	v_rcp_f32_e32 v8, v3
	v_div_scale_f32 v9, vcc, 1.0, v2, 1.0
	s_mov_b64 s[10:11], -1
	v_fma_f32 v12, -v3, v8, 1.0
	v_fmac_f32_e32 v8, v12, v8
	v_mul_f32_e32 v12, v9, v8
	v_fma_f32 v13, -v3, v12, v9
	v_fmac_f32_e32 v12, v13, v8
	v_fma_f32 v3, -v3, v12, v9
	v_div_fmas_f32 v3, v3, v8, v12
	v_div_fixup_f32 v2, v3, v2, 1.0
	v_xad_u32 v3, v0, -1, s15
	v_subrev_u32_e32 v8, s5, v3
	s_movk_i32 s5, 0x7f
	v_cmp_lt_u32_e32 vcc, s5, v8
	v_mov_b32_e32 v3, v0
	s_and_saveexec_b64 s[8:9], vcc
	s_cbranch_execz .LBB171_42
; %bb.34:
	v_lshrrev_b32_e32 v8, 7, v8
	v_add_u32_e32 v12, -1, v8
	v_lshrrev_b32_e32 v9, 1, v12
	v_mov_b32_e32 v3, v2
	v_add_u32_e32 v9, 1, v9
	v_cmp_lt_u32_e32 vcc, 13, v12
	v_mov_b32_e32 v14, 0
	s_and_saveexec_b64 s[10:11], vcc
	s_cbranch_execz .LBB171_38
; %bb.35:
	v_mov_b32_e32 v13, 0x50
	v_and_b32_e32 v12, -8, v9
	v_lshl_add_u32 v13, v0, 2, v13
	s_mov_b32 s5, 0
	s_mov_b64 s[38:39], 0
.LBB171_36:                             ; =>This Inner Loop Header: Depth=1
	ds_read2st64_b32 v[14:15], v13 offset1:2
	ds_read2st64_b32 v[16:17], v13 offset0:4 offset1:6
	ds_read2st64_b32 v[18:19], v13 offset0:8 offset1:10
	;; [unrolled: 1-line block ×3, first 2 shown]
	v_add_u32_e32 v12, -8, v12
	s_waitcnt lgkmcnt(3)
	v_pk_mul_f32 v[14:15], v[2:3], v[14:15]
	s_waitcnt lgkmcnt(2)
	v_pk_mul_f32 v[16:17], v[2:3], v[16:17]
	ds_write2st64_b32 v13, v14, v15 offset1:2
	ds_write2st64_b32 v13, v16, v17 offset0:4 offset1:6
	ds_read2st64_b32 v[16:17], v13 offset0:16 offset1:18
	s_waitcnt lgkmcnt(4)
	v_pk_mul_f32 v[14:15], v[2:3], v[18:19]
	ds_write2st64_b32 v13, v14, v15 offset0:8 offset1:10
	s_waitcnt lgkmcnt(4)
	v_pk_mul_f32 v[14:15], v[2:3], v[24:25]
	ds_write2st64_b32 v13, v14, v15 offset0:12 offset1:14
	ds_read2st64_b32 v[14:15], v13 offset0:20 offset1:22
	s_waitcnt lgkmcnt(3)
	v_pk_mul_f32 v[16:17], v[2:3], v[16:17]
	ds_read2st64_b32 v[18:19], v13 offset0:24 offset1:26
	ds_write2st64_b32 v13, v16, v17 offset0:16 offset1:18
	ds_read2st64_b32 v[16:17], v13 offset0:28 offset1:30
	s_waitcnt lgkmcnt(3)
	v_pk_mul_f32 v[14:15], v[2:3], v[14:15]
	ds_write2st64_b32 v13, v14, v15 offset0:20 offset1:22
	s_waitcnt lgkmcnt(3)
	v_pk_mul_f32 v[14:15], v[2:3], v[18:19]
	ds_write2st64_b32 v13, v14, v15 offset0:24 offset1:26
	s_waitcnt lgkmcnt(2)
	v_pk_mul_f32 v[14:15], v[2:3], v[16:17]
	s_add_i32 s5, s5, 16
	v_cmp_eq_u32_e32 vcc, 0, v12
	ds_write2st64_b32 v13, v14, v15 offset0:28 offset1:30
	v_add_u32_e32 v13, 0x2000, v13
	s_or_b64 s[38:39], vcc, s[38:39]
	v_mov_b32_e32 v14, s5
	s_andn2_b64 exec, exec, s[38:39]
	s_cbranch_execnz .LBB171_36
; %bb.37:
	s_or_b64 exec, exec, s[38:39]
.LBB171_38:
	s_or_b64 exec, exec, s[10:11]
	v_and_b32_e32 v9, 7, v9
	v_cmp_ne_u32_e32 vcc, 0, v9
	s_and_saveexec_b64 s[10:11], vcc
	s_cbranch_execz .LBB171_41
; %bb.39:
	v_lshlrev_b32_e32 v12, 9, v14
	v_lshlrev_b32_e32 v13, 2, v0
	s_movk_i32 s5, 0x50
	v_add3_u32 v12, v12, v13, s5
	s_mov_b64 s[38:39], 0
.LBB171_40:                             ; =>This Inner Loop Header: Depth=1
	ds_read2st64_b32 v[14:15], v12 offset1:2
	v_add_u32_e32 v9, -1, v9
	v_cmp_eq_u32_e32 vcc, 0, v9
	s_or_b64 s[38:39], vcc, s[38:39]
	s_waitcnt lgkmcnt(0)
	v_pk_mul_f32 v[14:15], v[2:3], v[14:15]
	ds_write2st64_b32 v12, v14, v15 offset1:2
	v_add_u32_e32 v12, 0x400, v12
	s_andn2_b64 exec, exec, s[38:39]
	s_cbranch_execnz .LBB171_40
.LBB171_41:
	s_or_b64 exec, exec, s[10:11]
	v_add_u32_e32 v8, 1, v8
	v_and_b32_e32 v9, 0x3fffffe, v8
	v_cmp_ne_u32_e32 vcc, v8, v9
	v_lshl_add_u32 v3, v9, 7, v0
	s_orn2_b64 s[10:11], vcc, exec
.LBB171_42:
	s_or_b64 exec, exec, s[8:9]
	s_and_b64 exec, exec, s[10:11]
	s_cbranch_execz .LBB171_45
; %bb.43:
	v_mov_b32_e32 v8, 0x50
	v_lshl_add_u32 v8, v3, 2, v8
	s_mov_b64 s[8:9], 0
.LBB171_44:                             ; =>This Inner Loop Header: Depth=1
	ds_read_b32 v9, v8
	v_add_u32_e32 v3, 0x80, v3
	v_cmp_le_i32_e32 vcc, s3, v3
	s_or_b64 s[8:9], vcc, s[8:9]
	s_waitcnt lgkmcnt(0)
	v_mul_f32_e32 v9, v2, v9
	ds_write_b32 v8, v9
	v_add_u32_e32 v8, 0x200, v8
	s_andn2_b64 exec, exec, s[8:9]
	s_cbranch_execnz .LBB171_44
.LBB171_45:
	s_or_b64 exec, exec, s[0:1]
	v_cmp_eq_u32_e32 vcc, 0, v0
	s_waitcnt lgkmcnt(0)
	s_barrier
	s_and_saveexec_b64 s[0:1], vcc
	s_cbranch_execz .LBB171_47
; %bb.46:
	s_mul_i32 s3, s12, s24
	s_mul_i32 s8, s3, s25
	s_ashr_i32 s9, s8, 31
	s_lshl_b64 s[8:9], s[8:9], 2
	s_add_u32 s5, s22, s8
	s_mul_i32 s2, s12, s2
	s_addc_u32 s10, s23, s9
	s_ashr_i32 s3, s2, 31
	s_lshl_b64 s[2:3], s[2:3], 2
	s_add_u32 s15, s5, s2
	s_addc_u32 s23, s10, s3
	s_ashr_i32 s5, s4, 31
	s_lshl_b64 s[10:11], s[4:5], 2
	s_add_u32 s22, s15, s10
	s_addc_u32 s23, s23, s11
	s_add_u32 s5, s20, s8
	s_addc_u32 s8, s21, s9
	;; [unrolled: 2-line block ×3, first 2 shown]
	s_add_u32 s2, s2, s10
	v_mov_b32_e32 v2, 0
	s_addc_u32 s3, s3, s11
	global_store_dword v2, v4, s[22:23]
	global_store_dword v2, v5, s[2:3]
.LBB171_47:
	s_or_b64 exec, exec, s[0:1]
	v_mov_b32_e32 v15, 0
	v_and_b32_e32 v23, 3, v0
	v_mov_b32_e32 v14, v15
	s_and_saveexec_b64 s[2:3], s[6:7]
	s_cbranch_execz .LBB171_153
; %bb.48:
	s_ashr_i32 s15, s14, 31
	s_sub_i32 s5, s49, s17
	s_lshl_b64 s[0:1], s[14:15], 1
	s_add_u32 s0, s36, s0
	s_addc_u32 s1, s37, s1
	s_abs_i32 s14, s18
	v_cvt_f32_u32_e32 v2, s14
	v_lshlrev_b32_e32 v3, 4, v0
	s_sub_i32 s6, 0, s14
	v_mov_b32_e32 v13, 0
	v_rcp_iflag_f32_e32 v2, v2
	v_and_b32_e32 v12, 0x3f0, v3
	s_add_i32 s15, s48, -1
	v_lshl_add_u64 v[16:17], s[0:1], 0, v[12:13]
	v_mul_f32_e32 v2, 0x4f7ffffe, v2
	v_cvt_u32_f32_e32 v2, v2
	s_lshl_b64 s[0:1], s[34:35], 2
	s_add_u32 s0, s30, s0
	s_addc_u32 s1, s31, s1
	v_mul_lo_u32 v3, s6, v2
	v_mul_hi_u32 v3, v2, v3
	v_add_u32_e32 v25, v2, v3
	v_lshlrev_b32_e32 v2, 5, v23
	v_lshl_or_b32 v2, v7, 7, v2
	v_and_b32_e32 v24, 24, v6
	v_lshl_add_u64 v[18:19], v[10:11], 2, s[0:1]
	v_add_u32_e32 v11, 0x50, v2
	s_mov_b64 s[6:7], 0
	s_mov_b32 s17, 0x7f800000
	s_movk_i32 s18, 0x7fff
	v_mov_b32_e32 v14, 0
	v_mov_b32_e32 v15, v13
	s_branch .LBB171_51
.LBB171_49:                             ;   in Loop: Header=BB171_51 Depth=1
	s_or_b64 exec, exec, s[0:1]
	v_and_b32_e32 v32, 0xffff0000, v28
	v_and_b32_e32 v28, 0xffff0000, v27
	;; [unrolled: 1-line block ×8, first 2 shown]
	v_pk_add_f32 v[8:9], v[8:9], v[26:27]
	v_pk_add_f32 v[26:27], v[28:29], v[32:33]
	v_mov_b32_e32 v12, v9
	v_and_b32_e32 v29, 0xffff0000, v30
	v_and_b32_e32 v28, 0xffff0000, v7
	v_and_b32_e32 v3, 0xffff0000, v3
	v_and_b32_e32 v2, 0xffff0000, v2
	v_pk_add_f32 v[8:9], v[8:9], v[12:13]
	v_pk_add_f32 v[2:3], v[2:3], v[28:29]
	;; [unrolled: 1-line block ×3, first 2 shown]
	v_mov_b32_e32 v12, v27
	v_and_b32_e32 v27, 0xffff0000, v6
	v_and_b32_e32 v26, 0xffff0000, v31
	;; [unrolled: 1-line block ×4, first 2 shown]
	v_mov_b32_e32 v6, v3
	v_pk_add_f32 v[2:3], v[2:3], v[6:7]
	v_pk_add_f32 v[4:5], v[4:5], v[26:27]
	;; [unrolled: 1-line block ×4, first 2 shown]
	v_mov_b32_e32 v4, v5
	v_pk_add_f32 v[2:3], v[2:3], v[4:5]
	v_pk_add_f32 v[8:9], v[14:15], v[8:9]
	v_mov_b32_e32 v3, v2
	v_pk_add_f32 v[2:3], v[14:15], v[2:3]
	s_nop 0
	v_mov_b32_e32 v9, v3
	v_mov_b64_e32 v[14:15], v[8:9]
.LBB171_50:                             ;   in Loop: Header=BB171_51 Depth=1
	s_or_b64 exec, exec, s[8:9]
	v_add_u32_e32 v10, 2, v10
	v_cmp_le_i32_e32 vcc, s16, v10
	v_lshl_add_u64 v[18:19], v[18:19], 0, 8
	v_add_u32_e32 v1, 64, v1
	s_or_b64 s[6:7], vcc, s[6:7]
	v_add_u32_e32 v11, 0x100, v11
	s_andn2_b64 exec, exec, s[6:7]
	s_cbranch_execz .LBB171_152
.LBB171_51:                             ; =>This Inner Loop Header: Depth=1
	v_sub_u32_e32 v3, 0, v1
	v_max_i32_e32 v3, v1, v3
	v_mul_hi_u32 v4, v3, s46
	v_mul_lo_u32 v5, v4, s27
	v_sub_u32_e32 v3, v3, v5
	v_add_u32_e32 v5, 1, v4
	v_cmp_le_u32_e32 vcc, s27, v3
	v_ashrrev_i32_e32 v2, 31, v1
	v_xor_b32_e32 v2, s19, v2
	v_cndmask_b32_e32 v4, v4, v5, vcc
	v_subrev_u32_e32 v5, s27, v3
	v_cndmask_b32_e32 v3, v3, v5, vcc
	v_add_u32_e32 v5, 1, v4
	v_cmp_le_u32_e32 vcc, s27, v3
	s_nop 1
	v_cndmask_b32_e32 v3, v4, v5, vcc
	v_xor_b32_e32 v3, v3, v2
	v_sub_u32_e32 v2, v3, v2
	v_add_u32_e32 v3, s47, v2
	v_sub_u32_e32 v5, 0, v3
	v_ashrrev_i32_e32 v4, 31, v3
	v_max_i32_e32 v3, v3, v5
	v_mul_hi_u32 v5, v3, v25
	v_mul_lo_u32 v5, v5, s14
	v_sub_u32_e32 v3, v3, v5
	v_subrev_u32_e32 v5, s14, v3
	v_cmp_le_u32_e32 vcc, s14, v3
	v_cmp_lt_i32_e64 s[0:1], s5, v2
	s_nop 0
	v_cndmask_b32_e32 v3, v3, v5, vcc
	v_subrev_u32_e32 v5, s14, v3
	v_cmp_le_u32_e32 vcc, s14, v3
	s_nop 1
	v_cndmask_b32_e32 v3, v3, v5, vcc
	v_xor_b32_e32 v3, v3, v4
	v_sub_u32_e32 v3, v3, v4
	v_cmp_eq_u32_e32 vcc, 0, v3
	s_or_b64 s[0:1], vcc, s[0:1]
	s_and_saveexec_b64 s[8:9], s[0:1]
	s_cbranch_execz .LBB171_50
; %bb.52:                               ;   in Loop: Header=BB171_51 Depth=1
	global_load_dword v30, v[18:19], off
	ds_read2_b64 v[6:9], v11 offset1:1
	ds_read2_b64 v[2:5], v11 offset0:2 offset1:3
                                        ; implicit-def: $vgpr39
	s_waitcnt lgkmcnt(1)
	v_and_b32_e32 v12, 0x7f800000, v6
	v_cmp_ne_u32_e32 vcc, s17, v12
	s_and_saveexec_b64 s[0:1], vcc
	s_xor_b64 s[0:1], exec, s[0:1]
; %bb.53:                               ;   in Loop: Header=BB171_51 Depth=1
	v_bfe_u32 v12, v6, 16, 1
	v_add3_u32 v39, v6, v12, s18
; %bb.54:                               ;   in Loop: Header=BB171_51 Depth=1
	s_andn2_saveexec_b64 s[0:1], s[0:1]
; %bb.55:                               ;   in Loop: Header=BB171_51 Depth=1
	v_or_b32_e32 v12, 0x10000, v6
	v_cmp_eq_u32_sdwa vcc, v6, v13 src0_sel:WORD_0 src1_sel:DWORD
	s_nop 1
	v_cndmask_b32_e32 v39, v12, v6, vcc
; %bb.56:                               ;   in Loop: Header=BB171_51 Depth=1
	s_or_b64 exec, exec, s[0:1]
	v_and_b32_e32 v6, 0x7f800000, v7
	v_cmp_ne_u32_e32 vcc, s17, v6
                                        ; implicit-def: $vgpr40
	s_and_saveexec_b64 s[0:1], vcc
	s_xor_b64 s[0:1], exec, s[0:1]
; %bb.57:                               ;   in Loop: Header=BB171_51 Depth=1
	v_bfe_u32 v6, v7, 16, 1
	v_add3_u32 v40, v7, v6, s18
; %bb.58:                               ;   in Loop: Header=BB171_51 Depth=1
	s_andn2_saveexec_b64 s[0:1], s[0:1]
; %bb.59:                               ;   in Loop: Header=BB171_51 Depth=1
	v_or_b32_e32 v6, 0x10000, v7
	v_cmp_eq_u32_sdwa vcc, v7, v13 src0_sel:WORD_0 src1_sel:DWORD
	s_nop 1
	v_cndmask_b32_e32 v40, v6, v7, vcc
; %bb.60:                               ;   in Loop: Header=BB171_51 Depth=1
	s_or_b64 exec, exec, s[0:1]
	v_and_b32_e32 v6, 0x7f800000, v8
	v_cmp_ne_u32_e32 vcc, s17, v6
                                        ; implicit-def: $vgpr12
	s_and_saveexec_b64 s[0:1], vcc
	s_xor_b64 s[0:1], exec, s[0:1]
; %bb.61:                               ;   in Loop: Header=BB171_51 Depth=1
	v_bfe_u32 v6, v8, 16, 1
	v_add3_u32 v12, v8, v6, s18
; %bb.62:                               ;   in Loop: Header=BB171_51 Depth=1
	s_andn2_saveexec_b64 s[0:1], s[0:1]
; %bb.63:                               ;   in Loop: Header=BB171_51 Depth=1
	v_or_b32_e32 v6, 0x10000, v8
	v_cmp_eq_u32_sdwa vcc, v8, v13 src0_sel:WORD_0 src1_sel:DWORD
	s_nop 1
	v_cndmask_b32_e32 v12, v6, v8, vcc
; %bb.64:                               ;   in Loop: Header=BB171_51 Depth=1
	s_or_b64 exec, exec, s[0:1]
	v_and_b32_e32 v6, 0x7f800000, v9
	v_cmp_ne_u32_e32 vcc, s17, v6
                                        ; implicit-def: $vgpr26
	s_and_saveexec_b64 s[0:1], vcc
	s_xor_b64 s[0:1], exec, s[0:1]
; %bb.65:                               ;   in Loop: Header=BB171_51 Depth=1
	v_bfe_u32 v6, v9, 16, 1
	v_add3_u32 v26, v9, v6, s18
                                        ; implicit-def: $vgpr6_vgpr7_vgpr8_vgpr9
; %bb.66:                               ;   in Loop: Header=BB171_51 Depth=1
	s_andn2_saveexec_b64 s[0:1], s[0:1]
; %bb.67:                               ;   in Loop: Header=BB171_51 Depth=1
	v_or_b32_e32 v6, 0x10000, v9
	v_cmp_eq_u32_sdwa vcc, v9, v13 src0_sel:WORD_0 src1_sel:DWORD
	s_nop 1
	v_cndmask_b32_e32 v26, v6, v9, vcc
; %bb.68:                               ;   in Loop: Header=BB171_51 Depth=1
	s_or_b64 exec, exec, s[0:1]
	s_waitcnt lgkmcnt(0)
	v_and_b32_e32 v6, 0x7f800000, v2
	v_cmp_ne_u32_e32 vcc, s17, v6
                                        ; implicit-def: $vgpr27
	s_and_saveexec_b64 s[0:1], vcc
	s_xor_b64 s[0:1], exec, s[0:1]
; %bb.69:                               ;   in Loop: Header=BB171_51 Depth=1
	v_bfe_u32 v6, v2, 16, 1
	v_add3_u32 v27, v2, v6, s18
; %bb.70:                               ;   in Loop: Header=BB171_51 Depth=1
	s_andn2_saveexec_b64 s[0:1], s[0:1]
; %bb.71:                               ;   in Loop: Header=BB171_51 Depth=1
	v_or_b32_e32 v6, 0x10000, v2
	v_cmp_eq_u32_sdwa vcc, v2, v13 src0_sel:WORD_0 src1_sel:DWORD
	s_nop 1
	v_cndmask_b32_e32 v27, v6, v2, vcc
; %bb.72:                               ;   in Loop: Header=BB171_51 Depth=1
	s_or_b64 exec, exec, s[0:1]
	v_and_b32_e32 v2, 0x7f800000, v3
	v_cmp_ne_u32_e32 vcc, s17, v2
                                        ; implicit-def: $vgpr28
	s_and_saveexec_b64 s[0:1], vcc
	s_xor_b64 s[0:1], exec, s[0:1]
; %bb.73:                               ;   in Loop: Header=BB171_51 Depth=1
	v_bfe_u32 v2, v3, 16, 1
	v_add3_u32 v28, v3, v2, s18
; %bb.74:                               ;   in Loop: Header=BB171_51 Depth=1
	s_andn2_saveexec_b64 s[0:1], s[0:1]
; %bb.75:                               ;   in Loop: Header=BB171_51 Depth=1
	v_or_b32_e32 v2, 0x10000, v3
	v_cmp_eq_u32_sdwa vcc, v3, v13 src0_sel:WORD_0 src1_sel:DWORD
	s_nop 1
	v_cndmask_b32_e32 v28, v2, v3, vcc
; %bb.76:                               ;   in Loop: Header=BB171_51 Depth=1
	s_or_b64 exec, exec, s[0:1]
	v_and_b32_e32 v2, 0x7f800000, v4
	v_cmp_ne_u32_e32 vcc, s17, v2
                                        ; implicit-def: $vgpr29
	s_and_saveexec_b64 s[0:1], vcc
	s_xor_b64 s[0:1], exec, s[0:1]
; %bb.77:                               ;   in Loop: Header=BB171_51 Depth=1
	v_bfe_u32 v2, v4, 16, 1
	v_add3_u32 v29, v4, v2, s18
; %bb.78:                               ;   in Loop: Header=BB171_51 Depth=1
	s_andn2_saveexec_b64 s[0:1], s[0:1]
; %bb.79:                               ;   in Loop: Header=BB171_51 Depth=1
	v_or_b32_e32 v2, 0x10000, v4
	v_cmp_eq_u32_sdwa vcc, v4, v13 src0_sel:WORD_0 src1_sel:DWORD
	s_nop 1
	v_cndmask_b32_e32 v29, v2, v4, vcc
; %bb.80:                               ;   in Loop: Header=BB171_51 Depth=1
	s_or_b64 exec, exec, s[0:1]
	v_and_b32_e32 v2, 0x7f800000, v5
	v_cmp_ne_u32_e32 vcc, s17, v2
                                        ; implicit-def: $vgpr38
	s_and_saveexec_b64 s[0:1], vcc
	s_xor_b64 s[0:1], exec, s[0:1]
; %bb.81:                               ;   in Loop: Header=BB171_51 Depth=1
	v_bfe_u32 v2, v5, 16, 1
	v_add3_u32 v38, v5, v2, s18
                                        ; implicit-def: $vgpr2_vgpr3_vgpr4_vgpr5
; %bb.82:                               ;   in Loop: Header=BB171_51 Depth=1
	s_andn2_saveexec_b64 s[0:1], s[0:1]
; %bb.83:                               ;   in Loop: Header=BB171_51 Depth=1
	v_or_b32_e32 v2, 0x10000, v5
	v_cmp_eq_u32_sdwa vcc, v5, v13 src0_sel:WORD_0 src1_sel:DWORD
	s_nop 1
	v_cndmask_b32_e32 v38, v2, v5, vcc
; %bb.84:                               ;   in Loop: Header=BB171_51 Depth=1
	s_or_b64 exec, exec, s[0:1]
	s_waitcnt vmcnt(0)
	v_mad_i64_i32 v[2:3], s[0:1], v30, s13, 0
	v_lshl_add_u64 v[6:7], v[2:3], 1, v[16:17]
	global_load_dwordx4 v[2:5], v[6:7], off
	v_add_u32_e32 v30, v24, v1
	v_cmp_eq_u32_e32 vcc, s15, v10
	v_add_u32_e32 v37, 1, v30
	v_add_u32_e32 v36, 2, v30
	;; [unrolled: 1-line block ×7, first 2 shown]
	s_waitcnt vmcnt(0)
	v_lshrrev_b32_e32 v9, 16, v2
	v_lshrrev_b32_e32 v43, 16, v3
	v_lshrrev_b32_e32 v45, 16, v4
	v_lshrrev_b32_e32 v47, 16, v5
	s_and_saveexec_b64 s[10:11], vcc
	s_cbranch_execz .LBB171_86
; %bb.85:                               ;   in Loop: Header=BB171_51 Depth=1
	v_cmp_gt_i32_e64 s[0:1], s33, v30
	s_nop 1
	v_cndmask_b32_e64 v2, 0, v2, s[0:1]
	v_cmp_gt_i32_e64 s[0:1], s33, v37
	s_nop 1
	v_cndmask_b32_e64 v9, 0, v9, s[0:1]
	v_cmp_gt_i32_e64 s[0:1], s33, v36
	s_nop 1
	v_cndmask_b32_e64 v3, 0, v3, s[0:1]
	v_cmp_gt_i32_e64 s[0:1], s33, v34
	s_nop 1
	v_cndmask_b32_e64 v43, 0, v43, s[0:1]
	v_cmp_gt_i32_e64 s[0:1], s33, v33
	s_nop 1
	v_cndmask_b32_e64 v4, 0, v4, s[0:1]
	v_cmp_gt_i32_e64 s[0:1], s33, v32
	s_nop 1
	v_cndmask_b32_e64 v45, 0, v45, s[0:1]
	v_cmp_gt_i32_e64 s[0:1], s33, v31
	s_nop 1
	v_cndmask_b32_e64 v5, 0, v5, s[0:1]
	v_cmp_gt_i32_e64 s[0:1], s33, v35
	s_nop 1
	v_cndmask_b32_e64 v47, 0, v47, s[0:1]
.LBB171_86:                             ;   in Loop: Header=BB171_51 Depth=1
	s_or_b64 exec, exec, s[10:11]
	v_and_b32_e32 v39, 0xffff0000, v39
	v_lshlrev_b32_e32 v2, 16, v2
	v_mul_f32_e32 v2, v39, v2
	v_and_b32_e32 v8, 0x7f800000, v2
	v_cmp_ne_u32_e64 s[0:1], s17, v8
                                        ; implicit-def: $vgpr8
	s_and_saveexec_b64 s[10:11], s[0:1]
	s_xor_b64 s[0:1], exec, s[10:11]
; %bb.87:                               ;   in Loop: Header=BB171_51 Depth=1
	v_bfe_u32 v8, v2, 16, 1
	v_add3_u32 v8, v2, v8, s18
                                        ; implicit-def: $vgpr2
; %bb.88:                               ;   in Loop: Header=BB171_51 Depth=1
	s_andn2_saveexec_b64 s[10:11], s[0:1]
; %bb.89:                               ;   in Loop: Header=BB171_51 Depth=1
	v_or_b32_e32 v8, 0x10000, v2
	v_cmp_eq_u32_sdwa s[0:1], v2, v13 src0_sel:WORD_0 src1_sel:DWORD
	s_nop 1
	v_cndmask_b32_e64 v8, v8, v2, s[0:1]
; %bb.90:                               ;   in Loop: Header=BB171_51 Depth=1
	s_or_b64 exec, exec, s[10:11]
	v_and_b32_e32 v40, 0xffff0000, v40
	v_lshlrev_b32_e32 v2, 16, v9
	v_mul_f32_e32 v2, v40, v2
	v_and_b32_e32 v9, 0x7f800000, v2
	v_cmp_ne_u32_e64 s[0:1], s17, v9
                                        ; implicit-def: $vgpr9
	s_and_saveexec_b64 s[10:11], s[0:1]
	s_xor_b64 s[0:1], exec, s[10:11]
; %bb.91:                               ;   in Loop: Header=BB171_51 Depth=1
	v_bfe_u32 v9, v2, 16, 1
	v_add3_u32 v9, v2, v9, s18
                                        ; implicit-def: $vgpr2
; %bb.92:                               ;   in Loop: Header=BB171_51 Depth=1
	s_andn2_saveexec_b64 s[10:11], s[0:1]
; %bb.93:                               ;   in Loop: Header=BB171_51 Depth=1
	v_or_b32_e32 v9, 0x10000, v2
	v_cmp_eq_u32_sdwa s[0:1], v2, v13 src0_sel:WORD_0 src1_sel:DWORD
	s_nop 1
	v_cndmask_b32_e64 v9, v9, v2, s[0:1]
; %bb.94:                               ;   in Loop: Header=BB171_51 Depth=1
	s_or_b64 exec, exec, s[10:11]
	v_and_b32_e32 v41, 0xffff0000, v12
	v_lshlrev_b32_e32 v2, 16, v3
	v_mul_f32_e32 v2, v41, v2
	v_and_b32_e32 v3, 0x7f800000, v2
	v_cmp_ne_u32_e64 s[0:1], s17, v3
                                        ; implicit-def: $vgpr12
	s_and_saveexec_b64 s[10:11], s[0:1]
	s_xor_b64 s[0:1], exec, s[10:11]
; %bb.95:                               ;   in Loop: Header=BB171_51 Depth=1
	v_bfe_u32 v3, v2, 16, 1
	v_add3_u32 v12, v2, v3, s18
                                        ; implicit-def: $vgpr2
; %bb.96:                               ;   in Loop: Header=BB171_51 Depth=1
	s_andn2_saveexec_b64 s[10:11], s[0:1]
; %bb.97:                               ;   in Loop: Header=BB171_51 Depth=1
	v_or_b32_e32 v3, 0x10000, v2
	v_cmp_eq_u32_sdwa s[0:1], v2, v13 src0_sel:WORD_0 src1_sel:DWORD
	s_nop 1
	v_cndmask_b32_e64 v12, v3, v2, s[0:1]
; %bb.98:                               ;   in Loop: Header=BB171_51 Depth=1
	s_or_b64 exec, exec, s[10:11]
	v_and_b32_e32 v42, 0xffff0000, v26
	v_lshlrev_b32_e32 v2, 16, v43
	v_mul_f32_e32 v2, v42, v2
	v_and_b32_e32 v3, 0x7f800000, v2
	v_cmp_ne_u32_e64 s[0:1], s17, v3
                                        ; implicit-def: $vgpr26
	s_and_saveexec_b64 s[10:11], s[0:1]
	s_xor_b64 s[0:1], exec, s[10:11]
; %bb.99:                               ;   in Loop: Header=BB171_51 Depth=1
	v_bfe_u32 v3, v2, 16, 1
	v_add3_u32 v26, v2, v3, s18
                                        ; implicit-def: $vgpr2
; %bb.100:                              ;   in Loop: Header=BB171_51 Depth=1
	s_andn2_saveexec_b64 s[10:11], s[0:1]
; %bb.101:                              ;   in Loop: Header=BB171_51 Depth=1
	v_or_b32_e32 v3, 0x10000, v2
	v_cmp_eq_u32_sdwa s[0:1], v2, v13 src0_sel:WORD_0 src1_sel:DWORD
	s_nop 1
	v_cndmask_b32_e64 v26, v3, v2, s[0:1]
; %bb.102:                              ;   in Loop: Header=BB171_51 Depth=1
	s_or_b64 exec, exec, s[10:11]
	v_and_b32_e32 v43, 0xffff0000, v27
	v_lshlrev_b32_e32 v2, 16, v4
	v_mul_f32_e32 v2, v43, v2
	v_and_b32_e32 v3, 0x7f800000, v2
	v_cmp_ne_u32_e64 s[0:1], s17, v3
                                        ; implicit-def: $vgpr27
	s_and_saveexec_b64 s[10:11], s[0:1]
	s_xor_b64 s[0:1], exec, s[10:11]
; %bb.103:                              ;   in Loop: Header=BB171_51 Depth=1
	v_bfe_u32 v3, v2, 16, 1
	v_add3_u32 v27, v2, v3, s18
                                        ; implicit-def: $vgpr2
; %bb.104:                              ;   in Loop: Header=BB171_51 Depth=1
	s_andn2_saveexec_b64 s[10:11], s[0:1]
; %bb.105:                              ;   in Loop: Header=BB171_51 Depth=1
	v_or_b32_e32 v3, 0x10000, v2
	v_cmp_eq_u32_sdwa s[0:1], v2, v13 src0_sel:WORD_0 src1_sel:DWORD
	s_nop 1
	v_cndmask_b32_e64 v27, v3, v2, s[0:1]
; %bb.106:                              ;   in Loop: Header=BB171_51 Depth=1
	s_or_b64 exec, exec, s[10:11]
	v_and_b32_e32 v44, 0xffff0000, v28
	v_lshlrev_b32_e32 v2, 16, v45
	v_mul_f32_e32 v2, v44, v2
	v_and_b32_e32 v3, 0x7f800000, v2
	v_cmp_ne_u32_e64 s[0:1], s17, v3
                                        ; implicit-def: $vgpr28
	s_and_saveexec_b64 s[10:11], s[0:1]
	s_xor_b64 s[0:1], exec, s[10:11]
; %bb.107:                              ;   in Loop: Header=BB171_51 Depth=1
	v_bfe_u32 v3, v2, 16, 1
	v_add3_u32 v28, v2, v3, s18
                                        ; implicit-def: $vgpr2
; %bb.108:                              ;   in Loop: Header=BB171_51 Depth=1
	s_andn2_saveexec_b64 s[10:11], s[0:1]
; %bb.109:                              ;   in Loop: Header=BB171_51 Depth=1
	v_or_b32_e32 v3, 0x10000, v2
	v_cmp_eq_u32_sdwa s[0:1], v2, v13 src0_sel:WORD_0 src1_sel:DWORD
	s_nop 1
	v_cndmask_b32_e64 v28, v3, v2, s[0:1]
; %bb.110:                              ;   in Loop: Header=BB171_51 Depth=1
	s_or_b64 exec, exec, s[10:11]
	v_and_b32_e32 v45, 0xffff0000, v29
	v_lshlrev_b32_e32 v2, 16, v5
	v_mul_f32_e32 v2, v45, v2
	v_and_b32_e32 v3, 0x7f800000, v2
	v_cmp_ne_u32_e64 s[0:1], s17, v3
                                        ; implicit-def: $vgpr29
	s_and_saveexec_b64 s[10:11], s[0:1]
	s_xor_b64 s[0:1], exec, s[10:11]
; %bb.111:                              ;   in Loop: Header=BB171_51 Depth=1
	v_bfe_u32 v3, v2, 16, 1
	v_add3_u32 v29, v2, v3, s18
                                        ; implicit-def: $vgpr2
; %bb.112:                              ;   in Loop: Header=BB171_51 Depth=1
	s_andn2_saveexec_b64 s[10:11], s[0:1]
; %bb.113:                              ;   in Loop: Header=BB171_51 Depth=1
	v_or_b32_e32 v3, 0x10000, v2
	v_cmp_eq_u32_sdwa s[0:1], v2, v13 src0_sel:WORD_0 src1_sel:DWORD
	s_nop 1
	v_cndmask_b32_e64 v29, v3, v2, s[0:1]
; %bb.114:                              ;   in Loop: Header=BB171_51 Depth=1
	s_or_b64 exec, exec, s[10:11]
	v_and_b32_e32 v46, 0xffff0000, v38
	v_lshlrev_b32_e32 v2, 16, v47
	v_mul_f32_e32 v2, v46, v2
	v_and_b32_e32 v3, 0x7f800000, v2
	v_cmp_ne_u32_e64 s[0:1], s17, v3
                                        ; implicit-def: $vgpr38
	s_and_saveexec_b64 s[10:11], s[0:1]
	s_xor_b64 s[0:1], exec, s[10:11]
; %bb.115:                              ;   in Loop: Header=BB171_51 Depth=1
	v_bfe_u32 v3, v2, 16, 1
	v_add3_u32 v38, v2, v3, s18
                                        ; implicit-def: $vgpr2
; %bb.116:                              ;   in Loop: Header=BB171_51 Depth=1
	s_andn2_saveexec_b64 s[10:11], s[0:1]
; %bb.117:                              ;   in Loop: Header=BB171_51 Depth=1
	v_or_b32_e32 v3, 0x10000, v2
	v_cmp_eq_u32_sdwa s[0:1], v2, v13 src0_sel:WORD_0 src1_sel:DWORD
	s_nop 1
	v_cndmask_b32_e64 v38, v3, v2, s[0:1]
; %bb.118:                              ;   in Loop: Header=BB171_51 Depth=1
	s_or_b64 exec, exec, s[10:11]
	global_load_dwordx4 v[2:5], v[6:7], off offset:1024
	s_waitcnt vmcnt(0)
	v_lshrrev_b32_e32 v7, 16, v2
	v_lshrrev_b32_e32 v48, 16, v3
	;; [unrolled: 1-line block ×4, first 2 shown]
	s_and_saveexec_b64 s[0:1], vcc
	s_cbranch_execz .LBB171_120
; %bb.119:                              ;   in Loop: Header=BB171_51 Depth=1
	v_cmp_gt_i32_e32 vcc, s33, v30
	s_nop 1
	v_cndmask_b32_e32 v2, 0, v2, vcc
	v_cmp_gt_i32_e32 vcc, s33, v37
	s_nop 1
	v_cndmask_b32_e32 v7, 0, v7, vcc
	;; [unrolled: 3-line block ×8, first 2 shown]
.LBB171_120:                            ;   in Loop: Header=BB171_51 Depth=1
	s_or_b64 exec, exec, s[0:1]
	v_lshlrev_b32_e32 v2, 16, v2
	v_mul_f32_e32 v30, v39, v2
	v_and_b32_e32 v2, 0x7f800000, v30
	v_cmp_ne_u32_e32 vcc, s17, v2
                                        ; implicit-def: $vgpr2
	s_and_saveexec_b64 s[0:1], vcc
	s_xor_b64 s[0:1], exec, s[0:1]
; %bb.121:                              ;   in Loop: Header=BB171_51 Depth=1
	v_bfe_u32 v2, v30, 16, 1
	v_add3_u32 v2, v30, v2, s18
                                        ; implicit-def: $vgpr30
; %bb.122:                              ;   in Loop: Header=BB171_51 Depth=1
	s_andn2_saveexec_b64 s[0:1], s[0:1]
; %bb.123:                              ;   in Loop: Header=BB171_51 Depth=1
	v_or_b32_e32 v2, 0x10000, v30
	v_cmp_eq_u32_sdwa vcc, v30, v13 src0_sel:WORD_0 src1_sel:DWORD
	s_nop 1
	v_cndmask_b32_e32 v2, v2, v30, vcc
; %bb.124:                              ;   in Loop: Header=BB171_51 Depth=1
	s_or_b64 exec, exec, s[0:1]
	v_lshlrev_b32_e32 v7, 16, v7
	v_mul_f32_e32 v30, v40, v7
	v_and_b32_e32 v7, 0x7f800000, v30
	v_cmp_ne_u32_e32 vcc, s17, v7
                                        ; implicit-def: $vgpr7
	s_and_saveexec_b64 s[0:1], vcc
	s_xor_b64 s[0:1], exec, s[0:1]
; %bb.125:                              ;   in Loop: Header=BB171_51 Depth=1
	v_bfe_u32 v7, v30, 16, 1
	v_add3_u32 v7, v30, v7, s18
                                        ; implicit-def: $vgpr30
; %bb.126:                              ;   in Loop: Header=BB171_51 Depth=1
	s_andn2_saveexec_b64 s[0:1], s[0:1]
; %bb.127:                              ;   in Loop: Header=BB171_51 Depth=1
	v_or_b32_e32 v7, 0x10000, v30
	v_cmp_eq_u32_sdwa vcc, v30, v13 src0_sel:WORD_0 src1_sel:DWORD
	s_nop 1
	v_cndmask_b32_e32 v7, v7, v30, vcc
; %bb.128:                              ;   in Loop: Header=BB171_51 Depth=1
	s_or_b64 exec, exec, s[0:1]
	v_lshlrev_b32_e32 v3, 16, v3
	v_mul_f32_e32 v30, v41, v3
	v_and_b32_e32 v3, 0x7f800000, v30
	v_cmp_ne_u32_e32 vcc, s17, v3
                                        ; implicit-def: $vgpr3
	s_and_saveexec_b64 s[0:1], vcc
	s_xor_b64 s[0:1], exec, s[0:1]
; %bb.129:                              ;   in Loop: Header=BB171_51 Depth=1
	v_bfe_u32 v3, v30, 16, 1
	v_add3_u32 v3, v30, v3, s18
                                        ; implicit-def: $vgpr30
; %bb.130:                              ;   in Loop: Header=BB171_51 Depth=1
	s_andn2_saveexec_b64 s[0:1], s[0:1]
; %bb.131:                              ;   in Loop: Header=BB171_51 Depth=1
	v_or_b32_e32 v3, 0x10000, v30
	v_cmp_eq_u32_sdwa vcc, v30, v13 src0_sel:WORD_0 src1_sel:DWORD
	s_nop 1
	v_cndmask_b32_e32 v3, v3, v30, vcc
; %bb.132:                              ;   in Loop: Header=BB171_51 Depth=1
	s_or_b64 exec, exec, s[0:1]
	v_lshlrev_b32_e32 v30, 16, v48
	v_mul_f32_e32 v31, v42, v30
	v_and_b32_e32 v30, 0x7f800000, v31
	v_cmp_ne_u32_e32 vcc, s17, v30
                                        ; implicit-def: $vgpr30
	s_and_saveexec_b64 s[0:1], vcc
	s_xor_b64 s[0:1], exec, s[0:1]
; %bb.133:                              ;   in Loop: Header=BB171_51 Depth=1
	v_bfe_u32 v30, v31, 16, 1
	v_add3_u32 v30, v31, v30, s18
                                        ; implicit-def: $vgpr31
; %bb.134:                              ;   in Loop: Header=BB171_51 Depth=1
	s_andn2_saveexec_b64 s[0:1], s[0:1]
; %bb.135:                              ;   in Loop: Header=BB171_51 Depth=1
	v_or_b32_e32 v30, 0x10000, v31
	v_cmp_eq_u32_sdwa vcc, v31, v13 src0_sel:WORD_0 src1_sel:DWORD
	s_nop 1
	v_cndmask_b32_e32 v30, v30, v31, vcc
; %bb.136:                              ;   in Loop: Header=BB171_51 Depth=1
	s_or_b64 exec, exec, s[0:1]
	v_lshlrev_b32_e32 v4, 16, v4
	v_mul_f32_e32 v31, v43, v4
	v_and_b32_e32 v4, 0x7f800000, v31
	v_cmp_ne_u32_e32 vcc, s17, v4
                                        ; implicit-def: $vgpr4
	s_and_saveexec_b64 s[0:1], vcc
	s_xor_b64 s[0:1], exec, s[0:1]
; %bb.137:                              ;   in Loop: Header=BB171_51 Depth=1
	v_bfe_u32 v4, v31, 16, 1
	v_add3_u32 v4, v31, v4, s18
                                        ; implicit-def: $vgpr31
; %bb.138:                              ;   in Loop: Header=BB171_51 Depth=1
	s_andn2_saveexec_b64 s[0:1], s[0:1]
; %bb.139:                              ;   in Loop: Header=BB171_51 Depth=1
	v_or_b32_e32 v4, 0x10000, v31
	v_cmp_eq_u32_sdwa vcc, v31, v13 src0_sel:WORD_0 src1_sel:DWORD
	s_nop 1
	v_cndmask_b32_e32 v4, v4, v31, vcc
; %bb.140:                              ;   in Loop: Header=BB171_51 Depth=1
	s_or_b64 exec, exec, s[0:1]
	v_lshlrev_b32_e32 v31, 16, v47
	v_mul_f32_e32 v32, v44, v31
	v_and_b32_e32 v31, 0x7f800000, v32
	v_cmp_ne_u32_e32 vcc, s17, v31
                                        ; implicit-def: $vgpr31
	s_and_saveexec_b64 s[0:1], vcc
	s_xor_b64 s[0:1], exec, s[0:1]
; %bb.141:                              ;   in Loop: Header=BB171_51 Depth=1
	v_bfe_u32 v31, v32, 16, 1
	v_add3_u32 v31, v32, v31, s18
                                        ; implicit-def: $vgpr32
; %bb.142:                              ;   in Loop: Header=BB171_51 Depth=1
	s_andn2_saveexec_b64 s[0:1], s[0:1]
; %bb.143:                              ;   in Loop: Header=BB171_51 Depth=1
	v_or_b32_e32 v31, 0x10000, v32
	v_cmp_eq_u32_sdwa vcc, v32, v13 src0_sel:WORD_0 src1_sel:DWORD
	s_nop 1
	v_cndmask_b32_e32 v31, v31, v32, vcc
; %bb.144:                              ;   in Loop: Header=BB171_51 Depth=1
	s_or_b64 exec, exec, s[0:1]
	v_lshlrev_b32_e32 v5, 16, v5
	v_mul_f32_e32 v32, v45, v5
	v_and_b32_e32 v5, 0x7f800000, v32
	v_cmp_ne_u32_e32 vcc, s17, v5
                                        ; implicit-def: $vgpr5
	s_and_saveexec_b64 s[0:1], vcc
	s_xor_b64 s[0:1], exec, s[0:1]
; %bb.145:                              ;   in Loop: Header=BB171_51 Depth=1
	v_bfe_u32 v5, v32, 16, 1
	v_add3_u32 v5, v32, v5, s18
                                        ; implicit-def: $vgpr32
; %bb.146:                              ;   in Loop: Header=BB171_51 Depth=1
	s_andn2_saveexec_b64 s[0:1], s[0:1]
; %bb.147:                              ;   in Loop: Header=BB171_51 Depth=1
	v_or_b32_e32 v5, 0x10000, v32
	v_cmp_eq_u32_sdwa vcc, v32, v13 src0_sel:WORD_0 src1_sel:DWORD
	s_nop 1
	v_cndmask_b32_e32 v5, v5, v32, vcc
; %bb.148:                              ;   in Loop: Header=BB171_51 Depth=1
	s_or_b64 exec, exec, s[0:1]
	v_lshlrev_b32_e32 v6, 16, v6
	v_mul_f32_e32 v32, v46, v6
	v_and_b32_e32 v6, 0x7f800000, v32
	v_cmp_ne_u32_e32 vcc, s17, v6
                                        ; implicit-def: $vgpr6
	s_and_saveexec_b64 s[0:1], vcc
	s_xor_b64 s[0:1], exec, s[0:1]
; %bb.149:                              ;   in Loop: Header=BB171_51 Depth=1
	v_bfe_u32 v6, v32, 16, 1
	v_add3_u32 v6, v32, v6, s18
                                        ; implicit-def: $vgpr32
; %bb.150:                              ;   in Loop: Header=BB171_51 Depth=1
	s_andn2_saveexec_b64 s[0:1], s[0:1]
	s_cbranch_execz .LBB171_49
; %bb.151:                              ;   in Loop: Header=BB171_51 Depth=1
	v_or_b32_e32 v6, 0x10000, v32
	v_cmp_eq_u32_sdwa vcc, v32, v13 src0_sel:WORD_0 src1_sel:DWORD
	s_nop 1
	v_cndmask_b32_e32 v6, v6, v32, vcc
	s_branch .LBB171_49
.LBB171_152:
	s_or_b64 exec, exec, s[6:7]
.LBB171_153:
	s_or_b64 exec, exec, s[2:3]
	ds_bpermute_b32 v2, v21, v14
	ds_bpermute_b32 v3, v21, v15
	v_and_b32_e32 v1, 0x3c3, v0
	v_cmp_eq_u32_e32 vcc, 64, v1
	s_waitcnt lgkmcnt(0)
	s_barrier
	v_pk_add_f32 v[2:3], v[14:15], v[2:3]
	ds_bpermute_b32 v4, v22, v2
	ds_bpermute_b32 v5, v22, v3
	s_waitcnt lgkmcnt(0)
	v_pk_add_f32 v[2:3], v[2:3], v[4:5]
	s_and_saveexec_b64 s[0:1], vcc
	s_cbranch_execz .LBB171_155
; %bb.154:
	v_add_u32_e32 v4, 0x50, v20
	v_add_u32_e32 v1, 0x50, v0
	ds_write_b32 v4, v2
	ds_write_b32 v1, v3
.LBB171_155:
	s_or_b64 exec, exec, s[0:1]
	v_cmp_gt_u32_e32 vcc, 64, v0
	s_waitcnt lgkmcnt(0)
	s_barrier
	s_and_saveexec_b64 s[2:3], vcc
	s_cbranch_execz .LBB171_161
; %bb.156:
	v_cmp_eq_u32_e64 s[0:1], 0, v23
	v_lshrrev_b32_e32 v1, 2, v0
	s_and_saveexec_b64 s[6:7], s[0:1]
	s_cbranch_execz .LBB171_158
; %bb.157:
	v_mov_b32_e32 v4, 0x50
	v_lshl_add_u32 v4, v1, 2, v4
	ds_read_b32 v4, v4
	s_waitcnt lgkmcnt(0)
	v_add_f32_e32 v2, v2, v4
.LBB171_158:
	s_or_b64 exec, exec, s[6:7]
	s_and_saveexec_b64 s[6:7], s[0:1]
	s_cbranch_execz .LBB171_160
; %bb.159:
	v_mov_b32_e32 v4, 0x50
	v_lshl_add_u32 v1, v1, 2, v4
	ds_read_b32 v1, v1 offset:64
	s_waitcnt lgkmcnt(0)
	v_add_f32_e32 v3, v3, v1
.LBB171_160:
	s_or_b64 exec, exec, s[6:7]
.LBB171_161:
	s_or_b64 exec, exec, s[2:3]
	s_barrier
	s_and_saveexec_b64 s[0:1], vcc
	s_cbranch_execz .LBB171_172
; %bb.162:
	v_cmp_eq_u32_e32 vcc, 0, v23
	s_and_b64 exec, exec, vcc
	s_cbranch_execz .LBB171_172
; %bb.163:
	s_mov_b32 s0, 0x7f800000
	v_and_b32_e32 v1, 0x7f800000, v2
	v_cmp_ne_u32_e32 vcc, s0, v1
                                        ; implicit-def: $vgpr4
	s_and_saveexec_b64 s[0:1], vcc
	s_xor_b64 s[0:1], exec, s[0:1]
; %bb.164:
	v_bfe_u32 v1, v2, 16, 1
	s_movk_i32 s2, 0x7fff
	v_add3_u32 v4, v2, v1, s2
; %bb.165:
	s_andn2_saveexec_b64 s[0:1], s[0:1]
; %bb.166:
	v_mov_b32_e32 v1, 0
	v_or_b32_e32 v4, 0x10000, v2
	v_cmp_eq_u32_sdwa vcc, v2, v1 src0_sel:WORD_0 src1_sel:DWORD
	s_nop 1
	v_cndmask_b32_e32 v4, v4, v2, vcc
; %bb.167:
	s_or_b64 exec, exec, s[0:1]
	s_mul_i32 s0, s12, s24
	s_mul_i32 s0, s0, s25
	s_lshl_b32 s0, s0, 5
	s_ashr_i32 s1, s0, 31
	s_lshl_b64 s[0:1], s[0:1], 1
	s_add_u32 s2, s28, s0
	s_mul_i32 s0, s12, s26
	s_addc_u32 s3, s29, s1
	s_ashr_i32 s1, s0, 31
	s_lshl_b64 s[0:1], s[0:1], 1
	s_add_u32 s2, s2, s0
	s_addc_u32 s3, s3, s1
	s_lshl_b32 s0, s4, 5
	s_ashr_i32 s1, s0, 31
	s_lshl_b64 s[0:1], s[0:1], 1
	s_add_u32 s0, s2, s0
	v_lshrrev_b32_e32 v0, 1, v0
	s_mov_b32 s2, 0x7f800000
	v_and_b32_e32 v2, 0x7f800000, v3
	s_addc_u32 s1, s3, s1
	v_and_b32_e32 v0, 0x1fe, v0
	v_mov_b32_e32 v1, 0
	v_cmp_ne_u32_e32 vcc, s2, v2
	global_store_short_d16_hi v0, v4, s[0:1]
                                        ; implicit-def: $vgpr4
	s_and_saveexec_b64 s[2:3], vcc
	s_xor_b64 s[2:3], exec, s[2:3]
; %bb.168:
	v_bfe_u32 v2, v3, 16, 1
	s_movk_i32 s4, 0x7fff
	v_add3_u32 v4, v3, v2, s4
                                        ; implicit-def: $vgpr2_vgpr3
; %bb.169:
	s_or_saveexec_b64 s[2:3], s[2:3]
	v_lshl_add_u64 v[0:1], s[0:1], 0, v[0:1]
	s_xor_b64 exec, exec, s[2:3]
; %bb.170:
	v_mov_b32_e32 v2, 0
	v_or_b32_e32 v4, 0x10000, v3
	v_cmp_eq_u32_sdwa vcc, v3, v2 src0_sel:WORD_0 src1_sel:DWORD
	s_nop 1
	v_cndmask_b32_e32 v4, v4, v3, vcc
; %bb.171:
	s_or_b64 exec, exec, s[2:3]
	global_store_short_d16_hi v[0:1], v4, off offset:32
.LBB171_172:
	s_endpgm
	.section	.rodata,"a",@progbits
	.p2align	6, 0x0
	.amdhsa_kernel _ZN4vllm25paged_attention_v2_kernelI14__hip_bfloat16S1_Li32ELi32ELi128ELNS_18Fp8KVCacheDataTypeE0ELb1ELi512EEEvPfS3_PT_PKS4_PKT0_SA_ifPKiSC_iPKfiiiSE_SE_iiiii
		.amdhsa_group_segment_fixed_size 80
		.amdhsa_private_segment_fixed_size 0
		.amdhsa_kernarg_size 400
		.amdhsa_user_sgpr_count 2
		.amdhsa_user_sgpr_dispatch_ptr 0
		.amdhsa_user_sgpr_queue_ptr 0
		.amdhsa_user_sgpr_kernarg_segment_ptr 1
		.amdhsa_user_sgpr_dispatch_id 0
		.amdhsa_user_sgpr_kernarg_preload_length 0
		.amdhsa_user_sgpr_kernarg_preload_offset 0
		.amdhsa_user_sgpr_private_segment_size 0
		.amdhsa_uses_dynamic_stack 0
		.amdhsa_enable_private_segment 0
		.amdhsa_system_sgpr_workgroup_id_x 1
		.amdhsa_system_sgpr_workgroup_id_y 1
		.amdhsa_system_sgpr_workgroup_id_z 1
		.amdhsa_system_sgpr_workgroup_info 0
		.amdhsa_system_vgpr_workitem_id 0
		.amdhsa_next_free_vgpr 56
		.amdhsa_next_free_sgpr 52
		.amdhsa_accum_offset 56
		.amdhsa_reserve_vcc 1
		.amdhsa_float_round_mode_32 0
		.amdhsa_float_round_mode_16_64 0
		.amdhsa_float_denorm_mode_32 3
		.amdhsa_float_denorm_mode_16_64 3
		.amdhsa_dx10_clamp 1
		.amdhsa_ieee_mode 1
		.amdhsa_fp16_overflow 0
		.amdhsa_tg_split 0
		.amdhsa_exception_fp_ieee_invalid_op 0
		.amdhsa_exception_fp_denorm_src 0
		.amdhsa_exception_fp_ieee_div_zero 0
		.amdhsa_exception_fp_ieee_overflow 0
		.amdhsa_exception_fp_ieee_underflow 0
		.amdhsa_exception_fp_ieee_inexact 0
		.amdhsa_exception_int_div_zero 0
	.end_amdhsa_kernel
	.section	.text._ZN4vllm25paged_attention_v2_kernelI14__hip_bfloat16S1_Li32ELi32ELi128ELNS_18Fp8KVCacheDataTypeE0ELb1ELi512EEEvPfS3_PT_PKS4_PKT0_SA_ifPKiSC_iPKfiiiSE_SE_iiiii,"axG",@progbits,_ZN4vllm25paged_attention_v2_kernelI14__hip_bfloat16S1_Li32ELi32ELi128ELNS_18Fp8KVCacheDataTypeE0ELb1ELi512EEEvPfS3_PT_PKS4_PKT0_SA_ifPKiSC_iPKfiiiSE_SE_iiiii,comdat
.Lfunc_end171:
	.size	_ZN4vllm25paged_attention_v2_kernelI14__hip_bfloat16S1_Li32ELi32ELi128ELNS_18Fp8KVCacheDataTypeE0ELb1ELi512EEEvPfS3_PT_PKS4_PKT0_SA_ifPKiSC_iPKfiiiSE_SE_iiiii, .Lfunc_end171-_ZN4vllm25paged_attention_v2_kernelI14__hip_bfloat16S1_Li32ELi32ELi128ELNS_18Fp8KVCacheDataTypeE0ELb1ELi512EEEvPfS3_PT_PKS4_PKT0_SA_ifPKiSC_iPKfiiiSE_SE_iiiii
                                        ; -- End function
	.section	.AMDGPU.csdata,"",@progbits
; Kernel info:
; codeLenInByte = 6896
; NumSgprs: 58
; NumVgprs: 56
; NumAgprs: 0
; TotalNumVgprs: 56
; ScratchSize: 0
; MemoryBound: 0
; FloatMode: 240
; IeeeMode: 1
; LDSByteSize: 80 bytes/workgroup (compile time only)
; SGPRBlocks: 7
; VGPRBlocks: 6
; NumSGPRsForWavesPerEU: 58
; NumVGPRsForWavesPerEU: 56
; AccumOffset: 56
; Occupancy: 8
; WaveLimiterHint : 1
; COMPUTE_PGM_RSRC2:SCRATCH_EN: 0
; COMPUTE_PGM_RSRC2:USER_SGPR: 2
; COMPUTE_PGM_RSRC2:TRAP_HANDLER: 0
; COMPUTE_PGM_RSRC2:TGID_X_EN: 1
; COMPUTE_PGM_RSRC2:TGID_Y_EN: 1
; COMPUTE_PGM_RSRC2:TGID_Z_EN: 1
; COMPUTE_PGM_RSRC2:TIDIG_COMP_CNT: 0
; COMPUTE_PGM_RSRC3_GFX90A:ACCUM_OFFSET: 13
; COMPUTE_PGM_RSRC3_GFX90A:TG_SPLIT: 0
	.section	.text._ZN4vllm25paged_attention_v2_kernelI14__hip_bfloat16S1_Li64ELi32ELi128ELNS_18Fp8KVCacheDataTypeE0ELb1ELi512EEEvPfS3_PT_PKS4_PKT0_SA_ifPKiSC_iPKfiiiSE_SE_iiiii,"axG",@progbits,_ZN4vllm25paged_attention_v2_kernelI14__hip_bfloat16S1_Li64ELi32ELi128ELNS_18Fp8KVCacheDataTypeE0ELb1ELi512EEEvPfS3_PT_PKS4_PKT0_SA_ifPKiSC_iPKfiiiSE_SE_iiiii,comdat
	.protected	_ZN4vllm25paged_attention_v2_kernelI14__hip_bfloat16S1_Li64ELi32ELi128ELNS_18Fp8KVCacheDataTypeE0ELb1ELi512EEEvPfS3_PT_PKS4_PKT0_SA_ifPKiSC_iPKfiiiSE_SE_iiiii ; -- Begin function _ZN4vllm25paged_attention_v2_kernelI14__hip_bfloat16S1_Li64ELi32ELi128ELNS_18Fp8KVCacheDataTypeE0ELb1ELi512EEEvPfS3_PT_PKS4_PKT0_SA_ifPKiSC_iPKfiiiSE_SE_iiiii
	.globl	_ZN4vllm25paged_attention_v2_kernelI14__hip_bfloat16S1_Li64ELi32ELi128ELNS_18Fp8KVCacheDataTypeE0ELb1ELi512EEEvPfS3_PT_PKS4_PKT0_SA_ifPKiSC_iPKfiiiSE_SE_iiiii
	.p2align	8
	.type	_ZN4vllm25paged_attention_v2_kernelI14__hip_bfloat16S1_Li64ELi32ELi128ELNS_18Fp8KVCacheDataTypeE0ELb1ELi512EEEvPfS3_PT_PKS4_PKT0_SA_ifPKiSC_iPKfiiiSE_SE_iiiii,@function
_ZN4vllm25paged_attention_v2_kernelI14__hip_bfloat16S1_Li64ELi32ELi128ELNS_18Fp8KVCacheDataTypeE0ELb1ELi512EEEvPfS3_PT_PKS4_PKT0_SA_ifPKiSC_iPKfiiiSE_SE_iiiii: ; @_ZN4vllm25paged_attention_v2_kernelI14__hip_bfloat16S1_Li64ELi32ELi128ELNS_18Fp8KVCacheDataTypeE0ELb1ELi512EEEvPfS3_PT_PKS4_PKT0_SA_ifPKiSC_iPKfiiiSE_SE_iiiii
; %bb.0:
	s_load_dwordx2 s[6:7], s[0:1], 0x40
	s_mov_b32 s24, s3
	s_ashr_i32 s25, s3, 31
	s_lshl_b64 s[8:9], s[24:25], 2
	s_waitcnt lgkmcnt(0)
	s_add_u32 s6, s6, s8
	s_addc_u32 s7, s7, s9
	s_load_dword s33, s[6:7], 0x0
	s_lshl_b32 s5, s4, 9
	s_waitcnt lgkmcnt(0)
	s_cmp_ge_i32 s5, s33
	s_cbranch_scc1 .LBB172_249
; %bb.1:
	s_load_dword s25, s[0:1], 0x90
	s_load_dwordx2 s[38:39], s[0:1], 0x30
	s_waitcnt lgkmcnt(0)
	s_abs_i32 s7, s25
	s_abs_i32 s3, s38
	v_cvt_f32_u32_e32 v1, s3
	s_sub_i32 s8, 0, s3
	s_xor_b32 s6, s25, s38
	s_ashr_i32 s6, s6, 31
	v_rcp_iflag_f32_e32 v1, v1
	s_nop 0
	v_mul_f32_e32 v1, 0x4f7ffffe, v1
	v_cvt_u32_f32_e32 v1, v1
	s_nop 0
	v_readfirstlane_b32 s9, v1
	s_mul_i32 s8, s8, s9
	s_mul_hi_u32 s8, s9, s8
	s_add_i32 s9, s9, s8
	s_mul_hi_u32 s8, s7, s9
	s_mul_i32 s9, s8, s3
	s_sub_i32 s7, s7, s9
	s_add_i32 s10, s8, 1
	s_sub_i32 s9, s7, s3
	s_cmp_ge_u32 s7, s3
	s_cselect_b32 s8, s10, s8
	s_cselect_b32 s7, s9, s7
	s_add_i32 s9, s8, 1
	s_cmp_ge_u32 s7, s3
	s_cselect_b32 s3, s9, s8
	s_xor_b32 s3, s3, s6
	s_sub_i32 s12, s3, s6
	s_abs_i32 s8, s12
	v_cvt_f32_u32_e32 v1, s8
	s_load_dwordx2 s[6:7], s[0:1], 0x50
	s_sub_i32 s10, 0, s8
	s_abs_i32 s9, s2
	v_rcp_iflag_f32_e32 v1, v1
	s_mov_b32 s3, 0
	v_mul_f32_e32 v1, 0x4f7ffffe, v1
	v_cvt_u32_f32_e32 v1, v1
	s_nop 0
	v_readfirstlane_b32 s11, v1
	s_mul_i32 s10, s10, s11
	s_mul_hi_u32 s10, s11, s10
	s_add_i32 s11, s11, s10
	s_waitcnt lgkmcnt(0)
	s_cmp_eq_u64 s[6:7], 0
	s_mul_hi_u32 s10, s9, s11
	s_cbranch_scc1 .LBB172_3
; %bb.2:
	s_ashr_i32 s3, s2, 31
	s_lshl_b64 s[14:15], s[2:3], 2
	s_add_u32 s6, s6, s14
	s_addc_u32 s7, s7, s15
	s_load_dword s3, s[6:7], 0x0
.LBB172_3:
	s_ashr_i32 s16, s12, 31
	s_load_dwordx4 s[12:15], s[0:1], 0x58
	s_ashr_i32 s11, s2, 31
	v_and_b32_e32 v4, 1, v0
	s_lshl_b32 s26, s2, 6
	v_cmp_gt_u32_e32 vcc, 16, v0
	v_lshlrev_b32_e32 v26, 3, v0
	s_and_saveexec_b64 s[6:7], vcc
	s_cbranch_execz .LBB172_5
; %bb.4:
	s_load_dwordx2 s[18:19], s[0:1], 0x18
	s_waitcnt lgkmcnt(0)
	s_mul_i32 s20, s24, s12
	s_ashr_i32 s21, s20, 31
	s_lshl_b64 s[20:21], s[20:21], 1
	v_lshlrev_b32_e32 v1, 2, v0
	s_add_u32 s12, s18, s20
	s_addc_u32 s15, s19, s21
	s_ashr_i32 s27, s26, 31
	s_lshl_b64 s[18:19], s[26:27], 1
	s_add_u32 s18, s12, s18
	s_addc_u32 s19, s15, s19
	global_load_dwordx2 v[2:3], v26, s[18:19]
	v_and_b32_e32 v1, 0xff8, v1
	v_lshl_add_u32 v1, v4, 6, v1
	s_waitcnt vmcnt(0)
	ds_write_b64 v1, v[2:3]
.LBB172_5:
	s_or_b64 exec, exec, s[6:7]
	s_mul_i32 s7, s10, s8
	s_sub_i32 s7, s9, s7
	s_xor_b32 s6, s11, s16
	s_add_i32 s9, s10, 1
	s_sub_i32 s11, s7, s8
	s_load_dwordx4 s[16:19], s[0:1], 0x78
	s_cmp_ge_u32 s7, s8
	s_cselect_b32 s9, s9, s10
	s_cselect_b32 s7, s11, s7
	s_load_dword s11, s[0:1], 0x88
	s_add_i32 s10, s9, 1
	s_cmp_ge_u32 s7, s8
	s_cselect_b32 s7, s10, s9
	s_waitcnt lgkmcnt(0)
	s_abs_i32 s27, s19
	v_cvt_f32_u32_e32 v1, s27
	s_xor_b32 s7, s7, s6
	s_sub_i32 s10, s7, s6
	s_sub_i32 s6, 0, s27
	v_rcp_iflag_f32_e32 v1, v1
	s_add_i32 s12, s33, -1
	s_abs_i32 s8, s12
	v_mul_f32_e32 v1, 0x4f7ffffe, v1
	v_cvt_u32_f32_e32 v1, v1
	s_barrier
	v_readfirstlane_b32 s46, v1
	s_mul_i32 s6, s6, s46
	s_mul_hi_u32 s6, s46, s6
	s_add_i32 s46, s46, s6
	s_cmp_lt_i32 s11, 0
	s_mul_hi_u32 s9, s8, s46
	s_cbranch_scc0 .LBB172_7
; %bb.6:
	s_mul_i32 s6, s16, s38
	s_add_i32 s6, s10, s6
	s_mul_i32 s6, s6, s11
	s_sub_i32 s47, 1, s6
	s_mov_b64 s[6:7], 0
	s_branch .LBB172_8
.LBB172_7:
	s_mov_b64 s[6:7], -1
                                        ; implicit-def: $sgpr47
.LBB172_8:
	s_load_dwordx2 s[30:31], s[0:1], 0x38
	s_ashr_i32 s15, s12, 31
	s_andn2_b64 vcc, exec, s[6:7]
	s_ashr_i32 s19, s19, 31
	s_cbranch_vccnz .LBB172_10
; %bb.9:
	s_mul_i32 s6, s25, s16
	s_add_i32 s6, s6, s2
	s_mul_i32 s6, s6, s11
	s_add_i32 s47, s6, 1
.LBB172_10:
	s_load_dword s6, s[0:1], 0x48
	s_load_dwordx2 s[36:37], s[0:1], 0x28
	s_load_dword s12, s[0:1], 0x98
	s_load_dwordx4 s[20:23], s[0:1], 0x0
	s_load_dwordx2 s[28:29], s[0:1], 0x10
	s_mul_i32 s7, s9, s27
	s_waitcnt lgkmcnt(0)
	s_mul_i32 s34, s24, s6
	s_sub_i32 s7, s8, s7
	s_ashr_i32 s35, s34, 31
	s_xor_b32 s6, s15, s19
	s_add_i32 s8, s9, 1
	s_sub_i32 s11, s7, s27
	s_cmp_ge_u32 s7, s27
	s_cselect_b32 s8, s8, s9
	s_cselect_b32 s7, s11, s7
	s_add_i32 s9, s8, 1
	s_cmp_ge_u32 s7, s27
	s_cselect_b32 s7, s9, s8
	s_xor_b32 s7, s7, s6
	s_sub_i32 s49, s7, s6
	s_add_i32 s6, s33, 31
	s_ashr_i32 s7, s6, 31
	s_lshr_b32 s7, s7, 27
	s_add_i32 s6, s6, s7
	s_lshl_b32 s38, s4, 4
	s_ashr_i32 s48, s6, 5
	s_add_i32 s6, s38, 16
	v_lshrrev_b32_e32 v28, 6, v0
	s_min_i32 s16, s6, s48
	v_or_b32_e32 v14, s38, v28
	v_cmp_gt_i32_e64 s[8:9], s16, v14
	v_mov_b32_e32 v30, 0xff7fffff
	s_mul_i32 s14, s10, s14
	v_ashrrev_i32_e32 v15, 31, v14
	v_lshl_add_u32 v1, v28, 5, s5
	v_mbcnt_lo_u32_b32 v27, -1, 0
	s_and_saveexec_b64 s[40:41], s[8:9]
	s_cbranch_execz .LBB172_20
; %bb.11:
	s_load_dwordx2 s[0:1], s[0:1], 0x20
	s_ashr_i32 s15, s14, 31
	s_sub_i32 s50, s49, s17
	s_lshl_b64 s[6:7], s[14:15], 1
	v_bfe_u32 v29, v0, 1, 5
	s_waitcnt lgkmcnt(0)
	s_add_u32 s0, s0, s6
	s_addc_u32 s1, s1, s7
	s_abs_i32 s15, s18
	v_cvt_f32_u32_e32 v5, s15
	v_lshlrev_b32_e32 v2, 4, v29
	v_mov_b32_e32 v3, 0
	v_lshl_add_u64 v[6:7], s[0:1], 0, v[2:3]
	v_rcp_iflag_f32_e32 v5, v5
	v_and_b32_e32 v2, 8, v26
	v_lshl_add_u64 v[2:3], v[6:7], 0, v[2:3]
	s_sub_i32 s0, 0, s15
	v_mul_f32_e32 v5, 0x4f7ffffe, v5
	v_cvt_u32_f32_e32 v5, v5
	v_lshlrev_b32_e32 v6, 2, v29
	v_cmp_eq_u32_e32 vcc, 0, v4
	v_lshlrev_b32_e32 v31, 6, v4
	v_mul_lo_u32 v4, s0, v5
	s_lshl_b64 s[0:1], s[34:35], 2
	v_lshl_or_b32 v6, v28, 7, v6
	s_add_u32 s0, s30, s0
	v_add_u32_e32 v34, 0x90, v6
	v_subrev_u32_e32 v6, s33, v29
	v_mbcnt_hi_u32_b32 v37, -1, v27
	v_mul_hi_u32 v4, v5, v4
	s_addc_u32 s1, s31, s1
	v_add_u32_e32 v35, 1, v6
	v_and_b32_e32 v6, 64, v37
	s_mov_b32 s51, s13
	v_cmp_neq_f32_e64 s[6:7], s3, 0
	v_add_u32_e32 v32, v5, v4
	v_lshl_add_u64 v[4:5], v[14:15], 2, s[0:1]
	v_lshl_add_u32 v33, v28, 5, s5
	s_mov_b64 s[42:43], 0
	v_mov_b32_e32 v36, 0xff7fffff
	v_xor_b32_e32 v38, 1, v37
	v_add_u32_e32 v39, 64, v6
	v_mov_b32_e32 v30, 0xff7fffff
	v_mov_b32_e32 v40, v14
	s_branch .LBB172_14
.LBB172_12:                             ;   in Loop: Header=BB172_14 Depth=1
	s_or_b64 exec, exec, s[44:45]
.LBB172_13:                             ;   in Loop: Header=BB172_14 Depth=1
	s_or_b64 exec, exec, s[10:11]
	v_add_u32_e32 v40, 2, v40
	v_cmp_le_i32_e64 s[0:1], s16, v40
	v_lshl_add_u64 v[4:5], v[4:5], 0, 8
	v_add_u32_e32 v33, 64, v33
	s_or_b64 s[42:43], s[0:1], s[42:43]
	v_add_u32_e32 v34, 0x100, v34
	s_andn2_b64 exec, exec, s[42:43]
	s_cbranch_execz .LBB172_19
.LBB172_14:                             ; =>This Inner Loop Header: Depth=1
	s_waitcnt lgkmcnt(0)
	v_sub_u32_e32 v7, 0, v33
	v_max_i32_e32 v7, v33, v7
	v_mul_hi_u32 v8, v7, s46
	v_mul_lo_u32 v9, v8, s27
	v_sub_u32_e32 v7, v7, v9
	v_add_u32_e32 v9, 1, v8
	v_cmp_le_u32_e64 s[0:1], s27, v7
	v_ashrrev_i32_e32 v6, 31, v33
	v_xor_b32_e32 v6, s19, v6
	v_cndmask_b32_e64 v8, v8, v9, s[0:1]
	v_subrev_u32_e32 v9, s27, v7
	v_cndmask_b32_e64 v7, v7, v9, s[0:1]
	v_add_u32_e32 v9, 1, v8
	v_cmp_le_u32_e64 s[0:1], s27, v7
	s_nop 1
	v_cndmask_b32_e64 v7, v8, v9, s[0:1]
	v_xor_b32_e32 v7, v7, v6
	v_sub_u32_e32 v6, v7, v6
	v_add_u32_e32 v7, s47, v6
	v_sub_u32_e32 v9, 0, v7
	v_ashrrev_i32_e32 v8, 31, v7
	v_max_i32_e32 v7, v7, v9
	v_mul_hi_u32 v9, v7, v32
	v_mul_lo_u32 v9, v9, s15
	v_sub_u32_e32 v7, v7, v9
	v_subrev_u32_e32 v9, s15, v7
	v_cmp_le_u32_e64 s[0:1], s15, v7
	v_cmp_ge_i32_e64 s[10:11], s50, v6
	s_nop 0
	v_cndmask_b32_e64 v7, v7, v9, s[0:1]
	v_subrev_u32_e32 v9, s15, v7
	v_cmp_le_u32_e64 s[0:1], s15, v7
	s_nop 1
	v_cndmask_b32_e64 v7, v7, v9, s[0:1]
	v_xor_b32_e32 v7, v7, v8
	v_sub_u32_e32 v7, v7, v8
	v_cmp_ne_u32_e64 s[0:1], 0, v7
	s_and_b64 s[0:1], s[0:1], s[10:11]
	s_and_b64 s[44:45], vcc, s[0:1]
	s_and_saveexec_b64 s[10:11], s[44:45]
	s_cbranch_execz .LBB172_16
; %bb.15:                               ;   in Loop: Header=BB172_14 Depth=1
	ds_write_b32 v34, v36
.LBB172_16:                             ;   in Loop: Header=BB172_14 Depth=1
	s_or_b64 exec, exec, s[10:11]
	s_xor_b64 s[0:1], s[0:1], -1
	s_and_saveexec_b64 s[10:11], s[0:1]
	s_cbranch_execz .LBB172_13
; %bb.17:                               ;   in Loop: Header=BB172_14 Depth=1
	global_load_dword v6, v[4:5], off
	s_waitcnt vmcnt(0)
	v_mad_i64_i32 v[6:7], s[0:1], v6, s51, 0
	v_lshl_add_u64 v[20:21], v[6:7], 1, v[2:3]
	global_load_dwordx2 v[12:13], v[20:21], off
	global_load_dwordx2 v[10:11], v[20:21], off offset:512
	global_load_dwordx2 v[8:9], v[20:21], off offset:1024
	;; [unrolled: 1-line block ×7, first 2 shown]
	ds_read_b128 v[42:45], v31
	ds_read_b128 v[46:49], v31 offset:16
	ds_read_b128 v[50:53], v31 offset:32
	ds_read_b128 v[54:57], v31 offset:48
	v_cmp_lt_i32_e64 s[0:1], v38, v39
	s_waitcnt lgkmcnt(3)
	v_lshlrev_b32_e32 v58, 16, v44
	v_and_b32_e32 v44, 0xffff0000, v44
	v_lshlrev_b32_e32 v21, 16, v42
	v_lshlrev_b32_e32 v59, 16, v45
	v_and_b32_e32 v42, 0xffff0000, v42
	v_lshlrev_b32_e32 v41, 16, v43
	s_waitcnt lgkmcnt(2)
	v_lshlrev_b32_e32 v60, 16, v46
	v_and_b32_e32 v45, 0xffff0000, v45
	v_and_b32_e32 v46, 0xffff0000, v46
	v_lshlrev_b32_e32 v61, 16, v47
	v_lshlrev_b32_e32 v62, 16, v48
	v_and_b32_e32 v43, 0xffff0000, v43
	v_and_b32_e32 v48, 0xffff0000, v48
	v_lshlrev_b32_e32 v63, 16, v49
	s_waitcnt lgkmcnt(1)
	v_lshlrev_b32_e32 v64, 16, v50
	v_and_b32_e32 v47, 0xffff0000, v47
	v_and_b32_e32 v50, 0xffff0000, v50
	v_lshlrev_b32_e32 v65, 16, v51
	v_lshlrev_b32_e32 v66, 16, v52
	v_and_b32_e32 v49, 0xffff0000, v49
	;; [unrolled: 9-line block ×3, first 2 shown]
	v_and_b32_e32 v56, 0xffff0000, v56
	v_lshlrev_b32_e32 v71, 16, v57
	v_and_b32_e32 v55, 0xffff0000, v55
	v_and_b32_e32 v57, 0xffff0000, v57
	v_cndmask_b32_e64 v20, v37, v38, s[0:1]
	v_lshlrev_b32_e32 v20, 2, v20
	s_waitcnt vmcnt(7)
	v_lshlrev_b32_e32 v72, 16, v12
	s_waitcnt vmcnt(6)
	v_lshlrev_b32_e32 v74, 16, v10
	v_and_b32_e32 v10, 0xffff0000, v10
	v_and_b32_e32 v12, 0xffff0000, v12
	v_lshlrev_b32_e32 v75, 16, v11
	v_mul_f32_e32 v58, v58, v74
	v_mul_f32_e32 v10, v44, v10
	v_lshlrev_b32_e32 v73, 16, v13
	v_and_b32_e32 v11, 0xffff0000, v11
	s_waitcnt vmcnt(5)
	v_lshlrev_b32_e32 v76, 16, v8
	v_and_b32_e32 v8, 0xffff0000, v8
	v_mul_f32_e32 v44, v59, v75
	v_fmac_f32_e32 v58, v21, v72
	v_fmac_f32_e32 v10, v42, v12
	v_and_b32_e32 v13, 0xffff0000, v13
	v_lshlrev_b32_e32 v77, 16, v9
	s_waitcnt vmcnt(4)
	v_lshlrev_b32_e32 v78, 16, v6
	v_and_b32_e32 v6, 0xffff0000, v6
	v_mul_f32_e32 v11, v45, v11
	v_fmac_f32_e32 v44, v41, v73
	v_fmac_f32_e32 v58, v60, v76
	v_fmac_f32_e32 v10, v46, v8
	v_and_b32_e32 v9, 0xffff0000, v9
	v_lshlrev_b32_e32 v79, 16, v7
	s_waitcnt vmcnt(3)
	v_lshlrev_b32_e32 v80, 16, v24
	v_and_b32_e32 v24, 0xffff0000, v24
	v_fmac_f32_e32 v11, v43, v13
	v_fmac_f32_e32 v44, v61, v77
	v_fmac_f32_e32 v58, v62, v78
	v_fmac_f32_e32 v10, v48, v6
	v_and_b32_e32 v7, 0xffff0000, v7
	v_lshlrev_b32_e32 v81, 16, v25
	s_waitcnt vmcnt(2)
	v_lshlrev_b32_e32 v82, 16, v22
	v_and_b32_e32 v22, 0xffff0000, v22
	v_fmac_f32_e32 v11, v47, v9
	;; [unrolled: 9-line block ×4, first 2 shown]
	v_fmac_f32_e32 v44, v67, v83
	v_fmac_f32_e32 v58, v68, v84
	;; [unrolled: 1-line block ×3, first 2 shown]
	v_and_b32_e32 v19, 0xffff0000, v19
	v_lshlrev_b32_e32 v87, 16, v17
	v_fmac_f32_e32 v11, v53, v23
	v_fmac_f32_e32 v44, v69, v85
	v_fmac_f32_e32 v58, v70, v86
	v_fmac_f32_e32 v10, v56, v16
	v_and_b32_e32 v17, 0xffff0000, v17
	v_fmac_f32_e32 v11, v55, v19
	v_fmac_f32_e32 v44, v71, v87
	v_add_f32_e32 v6, v58, v10
	v_fmac_f32_e32 v11, v57, v17
	v_add_f32_e32 v6, v6, v44
	v_add_f32_e32 v6, v11, v6
	ds_bpermute_b32 v7, v20, v6
	s_and_saveexec_b64 s[44:45], vcc
	s_cbranch_execz .LBB172_12
; %bb.18:                               ;   in Loop: Header=BB172_14 Depth=1
	v_add_u32_e32 v8, v35, v33
	v_cvt_f32_i32_e32 v8, v8
	s_waitcnt lgkmcnt(0)
	v_add_f32_e32 v6, v6, v7
	v_add_u32_e32 v9, v29, v33
	v_cmp_gt_i32_e64 s[0:1], s33, v9
	v_mul_f32_e32 v7, s3, v8
	v_cndmask_b32_e64 v7, 0, v7, s[6:7]
	v_fmac_f32_e32 v7, s39, v6
	v_cndmask_b32_e64 v6, 0, v7, s[0:1]
	ds_write_b32 v34, v6
	v_max_f32_e32 v6, v30, v30
	v_max_f32_e32 v6, v6, v7
	v_cndmask_b32_e64 v30, v30, v6, s[0:1]
	s_branch .LBB172_12
.LBB172_19:
	s_or_b64 exec, exec, s[42:43]
.LBB172_20:
	s_or_b64 exec, exec, s[40:41]
	v_mbcnt_hi_u32_b32 v4, -1, v27
	v_and_b32_e32 v2, 64, v4
	v_add_u32_e32 v9, 64, v2
	v_xor_b32_e32 v2, 32, v4
	v_cmp_lt_i32_e32 vcc, v2, v9
	v_xor_b32_e32 v6, 16, v4
	v_max_f32_e32 v5, v30, v30
	v_cndmask_b32_e32 v2, v4, v2, vcc
	v_lshlrev_b32_e32 v2, 2, v2
	ds_bpermute_b32 v3, v2, v30
	v_cmp_lt_i32_e32 vcc, v6, v9
	s_waitcnt lgkmcnt(1)
	v_xor_b32_e32 v7, 8, v4
	v_xor_b32_e32 v8, 4, v4
	;; [unrolled: 1-line block ×3, first 2 shown]
	s_waitcnt lgkmcnt(0)
	v_max_f32_e32 v3, v3, v3
	v_max_f32_e32 v5, v5, v3
	v_cndmask_b32_e32 v3, v4, v6, vcc
	v_lshlrev_b32_e32 v3, 2, v3
	ds_bpermute_b32 v6, v3, v5
	v_cmp_lt_i32_e32 vcc, v7, v9
	v_and_b32_e32 v22, 63, v0
	s_waitcnt lgkmcnt(0)
	v_max_f32_e32 v6, v6, v6
	v_max_f32_e32 v6, v5, v6
	v_cndmask_b32_e32 v5, v4, v7, vcc
	v_lshlrev_b32_e32 v5, 2, v5
	ds_bpermute_b32 v7, v5, v6
	v_cmp_lt_i32_e32 vcc, v8, v9
	s_waitcnt lgkmcnt(0)
	v_max_f32_e32 v7, v7, v7
	v_max_f32_e32 v7, v6, v7
	v_cndmask_b32_e32 v6, v4, v8, vcc
	v_lshlrev_b32_e32 v6, 2, v6
	ds_bpermute_b32 v8, v6, v7
	v_cmp_lt_i32_e32 vcc, v10, v9
	s_waitcnt lgkmcnt(0)
	v_max_f32_e32 v8, v8, v8
	v_max_f32_e32 v8, v7, v8
	v_cndmask_b32_e32 v7, v4, v10, vcc
	v_lshlrev_b32_e32 v23, 2, v7
	ds_bpermute_b32 v10, v23, v8
	v_cmp_eq_u32_e32 vcc, 0, v22
	v_lshlrev_b32_e32 v7, 2, v28
	s_and_saveexec_b64 s[0:1], vcc
	s_cbranch_execz .LBB172_22
; %bb.21:
	s_waitcnt lgkmcnt(0)
	v_max_f32_e32 v10, v10, v10
	v_max_f32_e32 v8, v8, v8
	;; [unrolled: 1-line block ×3, first 2 shown]
	ds_write_b32 v7, v8 offset:128
.LBB172_22:
	s_or_b64 exec, exec, s[0:1]
	v_cmp_gt_u32_e64 s[0:1], 2, v22
	s_waitcnt lgkmcnt(0)
	v_mov_b32_e32 v10, 0xff7fffff
	v_lshlrev_b32_e32 v8, 2, v22
	s_barrier
	s_and_saveexec_b64 s[6:7], s[0:1]
	s_cbranch_execz .LBB172_24
; %bb.23:
	ds_read_b32 v10, v8 offset:128
.LBB172_24:
	s_or_b64 exec, exec, s[6:7]
	v_xor_b32_e32 v11, 1, v4
	v_cmp_lt_i32_e64 s[6:7], v11, v9
	s_sub_i32 s3, s16, s38
	s_lshl_b32 s3, s3, 5
	v_cndmask_b32_e64 v9, v4, v11, s[6:7]
	v_lshlrev_b32_e32 v24, 2, v9
	s_waitcnt lgkmcnt(0)
	ds_bpermute_b32 v9, v24, v10
	v_max_f32_e32 v10, v10, v10
	v_lshlrev_b32_e32 v4, 2, v4
	s_add_i32 s3, s3, s5
	s_min_i32 s15, s3, s33
	s_waitcnt lgkmcnt(0)
	v_max_f32_e32 v9, v9, v9
	v_max_f32_e32 v10, v10, v9
	v_and_b32_e32 v9, 0x100, v4
	ds_bpermute_b32 v4, v9, v10
	s_sub_i32 s3, s15, s5
	v_cmp_gt_i32_e64 s[6:7], s3, v0
	v_mov_b32_e32 v10, 0
	s_and_saveexec_b64 s[38:39], s[6:7]
	s_cbranch_execz .LBB172_28
; %bb.25:
	v_mov_b32_e32 v10, 0x90
	v_lshl_add_u32 v11, v0, 2, v10
	s_mov_b64 s[40:41], 0
	v_mov_b32_e32 v10, 0
	v_mov_b32_e32 v12, v0
.LBB172_26:                             ; =>This Inner Loop Header: Depth=1
	ds_read_b32 v13, v11
	v_add_u32_e32 v12, 0x80, v12
	v_cmp_le_i32_e64 s[10:11], s3, v12
	s_or_b64 s[40:41], s[10:11], s[40:41]
	s_waitcnt lgkmcnt(0)
	v_sub_f32_e32 v13, v13, v4
	v_mul_f32_e32 v13, 0x3fb8aa3b, v13
	v_exp_f32_e32 v13, v13
	ds_write_b32 v11, v13
	v_add_f32_e32 v10, v10, v13
	v_add_u32_e32 v11, 0x200, v11
	s_andn2_b64 exec, exec, s[40:41]
	s_cbranch_execnz .LBB172_26
; %bb.27:
	s_or_b64 exec, exec, s[40:41]
.LBB172_28:
	s_or_b64 exec, exec, s[38:39]
	ds_bpermute_b32 v2, v2, v10
	s_waitcnt lgkmcnt(0)
	v_add_f32_e32 v2, v10, v2
	ds_bpermute_b32 v3, v3, v2
	s_waitcnt lgkmcnt(0)
	v_add_f32_e32 v2, v2, v3
	;; [unrolled: 3-line block ×6, first 2 shown]
	s_and_saveexec_b64 s[10:11], vcc
	s_cbranch_execz .LBB172_30
; %bb.29:
	ds_write_b32 v7, v2 offset:136
.LBB172_30:
	s_or_b64 exec, exec, s[10:11]
	s_waitcnt lgkmcnt(0)
	s_barrier
	s_and_saveexec_b64 s[10:11], s[0:1]
	s_cbranch_execz .LBB172_32
; %bb.31:
	ds_read_b32 v2, v8 offset:136
.LBB172_32:
	s_or_b64 exec, exec, s[10:11]
	s_waitcnt lgkmcnt(0)
	ds_bpermute_b32 v3, v24, v2
	s_waitcnt lgkmcnt(0)
	v_add_f32_e32 v2, v2, v3
	ds_bpermute_b32 v5, v9, v2
	s_and_saveexec_b64 s[0:1], s[6:7]
	s_cbranch_execz .LBB172_45
; %bb.33:
	s_waitcnt lgkmcnt(0)
	v_add_f32_e32 v2, 0x358637bd, v5
	v_div_scale_f32 v3, s[6:7], v2, v2, 1.0
	v_rcp_f32_e32 v6, v3
	v_div_scale_f32 v7, vcc, 1.0, v2, 1.0
	s_mov_b64 s[10:11], -1
	v_fma_f32 v8, -v3, v6, 1.0
	v_fmac_f32_e32 v6, v8, v6
	v_mul_f32_e32 v8, v7, v6
	v_fma_f32 v9, -v3, v8, v7
	v_fmac_f32_e32 v8, v9, v6
	v_fma_f32 v3, -v3, v8, v7
	v_div_fmas_f32 v3, v3, v6, v8
	v_div_fixup_f32 v2, v3, v2, 1.0
	v_xad_u32 v3, v0, -1, s15
	v_subrev_u32_e32 v6, s5, v3
	s_movk_i32 s5, 0x7f
	v_cmp_lt_u32_e32 vcc, s5, v6
	v_mov_b32_e32 v3, v0
	s_and_saveexec_b64 s[6:7], vcc
	s_cbranch_execz .LBB172_42
; %bb.34:
	v_lshrrev_b32_e32 v6, 7, v6
	v_add_u32_e32 v8, -1, v6
	v_lshrrev_b32_e32 v7, 1, v8
	v_mov_b32_e32 v3, v2
	v_add_u32_e32 v7, 1, v7
	v_cmp_lt_u32_e32 vcc, 13, v8
	v_mov_b32_e32 v10, 0
	s_and_saveexec_b64 s[10:11], vcc
	s_cbranch_execz .LBB172_38
; %bb.35:
	v_mov_b32_e32 v9, 0x90
	v_and_b32_e32 v8, -8, v7
	v_lshl_add_u32 v9, v0, 2, v9
	s_mov_b32 s5, 0
	s_mov_b64 s[38:39], 0
.LBB172_36:                             ; =>This Inner Loop Header: Depth=1
	ds_read2st64_b32 v[10:11], v9 offset1:2
	ds_read2st64_b32 v[12:13], v9 offset0:4 offset1:6
	ds_read2st64_b32 v[16:17], v9 offset0:8 offset1:10
	;; [unrolled: 1-line block ×3, first 2 shown]
	v_add_u32_e32 v8, -8, v8
	s_waitcnt lgkmcnt(3)
	v_pk_mul_f32 v[10:11], v[2:3], v[10:11]
	s_waitcnt lgkmcnt(2)
	v_pk_mul_f32 v[12:13], v[2:3], v[12:13]
	ds_write2st64_b32 v9, v10, v11 offset1:2
	ds_write2st64_b32 v9, v12, v13 offset0:4 offset1:6
	ds_read2st64_b32 v[12:13], v9 offset0:16 offset1:18
	s_waitcnt lgkmcnt(4)
	v_pk_mul_f32 v[10:11], v[2:3], v[16:17]
	ds_write2st64_b32 v9, v10, v11 offset0:8 offset1:10
	s_waitcnt lgkmcnt(4)
	v_pk_mul_f32 v[10:11], v[2:3], v[18:19]
	ds_write2st64_b32 v9, v10, v11 offset0:12 offset1:14
	ds_read2st64_b32 v[10:11], v9 offset0:20 offset1:22
	s_waitcnt lgkmcnt(3)
	v_pk_mul_f32 v[12:13], v[2:3], v[12:13]
	ds_read2st64_b32 v[16:17], v9 offset0:24 offset1:26
	ds_write2st64_b32 v9, v12, v13 offset0:16 offset1:18
	ds_read2st64_b32 v[12:13], v9 offset0:28 offset1:30
	s_waitcnt lgkmcnt(3)
	v_pk_mul_f32 v[10:11], v[2:3], v[10:11]
	ds_write2st64_b32 v9, v10, v11 offset0:20 offset1:22
	s_waitcnt lgkmcnt(3)
	v_pk_mul_f32 v[10:11], v[2:3], v[16:17]
	ds_write2st64_b32 v9, v10, v11 offset0:24 offset1:26
	s_waitcnt lgkmcnt(2)
	v_pk_mul_f32 v[10:11], v[2:3], v[12:13]
	s_add_i32 s5, s5, 16
	v_cmp_eq_u32_e32 vcc, 0, v8
	ds_write2st64_b32 v9, v10, v11 offset0:28 offset1:30
	v_add_u32_e32 v9, 0x2000, v9
	s_or_b64 s[38:39], vcc, s[38:39]
	v_mov_b32_e32 v10, s5
	s_andn2_b64 exec, exec, s[38:39]
	s_cbranch_execnz .LBB172_36
; %bb.37:
	s_or_b64 exec, exec, s[38:39]
.LBB172_38:
	s_or_b64 exec, exec, s[10:11]
	v_and_b32_e32 v7, 7, v7
	v_cmp_ne_u32_e32 vcc, 0, v7
	s_and_saveexec_b64 s[10:11], vcc
	s_cbranch_execz .LBB172_41
; %bb.39:
	v_lshlrev_b32_e32 v8, 9, v10
	v_lshlrev_b32_e32 v9, 2, v0
	s_movk_i32 s5, 0x90
	v_add3_u32 v8, v8, v9, s5
	s_mov_b64 s[38:39], 0
.LBB172_40:                             ; =>This Inner Loop Header: Depth=1
	ds_read2st64_b32 v[10:11], v8 offset1:2
	v_add_u32_e32 v7, -1, v7
	v_cmp_eq_u32_e32 vcc, 0, v7
	s_or_b64 s[38:39], vcc, s[38:39]
	s_waitcnt lgkmcnt(0)
	v_pk_mul_f32 v[10:11], v[2:3], v[10:11]
	ds_write2st64_b32 v8, v10, v11 offset1:2
	v_add_u32_e32 v8, 0x400, v8
	s_andn2_b64 exec, exec, s[38:39]
	s_cbranch_execnz .LBB172_40
.LBB172_41:
	s_or_b64 exec, exec, s[10:11]
	v_add_u32_e32 v6, 1, v6
	v_and_b32_e32 v7, 0x3fffffe, v6
	v_cmp_ne_u32_e32 vcc, v6, v7
	v_lshl_add_u32 v3, v7, 7, v0
	s_orn2_b64 s[10:11], vcc, exec
.LBB172_42:
	s_or_b64 exec, exec, s[6:7]
	s_and_b64 exec, exec, s[10:11]
	s_cbranch_execz .LBB172_45
; %bb.43:
	v_mov_b32_e32 v6, 0x90
	v_lshl_add_u32 v6, v3, 2, v6
	s_mov_b64 s[6:7], 0
.LBB172_44:                             ; =>This Inner Loop Header: Depth=1
	ds_read_b32 v7, v6
	v_add_u32_e32 v3, 0x80, v3
	v_cmp_le_i32_e32 vcc, s3, v3
	s_or_b64 s[6:7], vcc, s[6:7]
	s_waitcnt lgkmcnt(0)
	v_mul_f32_e32 v7, v2, v7
	ds_write_b32 v6, v7
	v_add_u32_e32 v6, 0x200, v6
	s_andn2_b64 exec, exec, s[6:7]
	s_cbranch_execnz .LBB172_44
.LBB172_45:
	s_or_b64 exec, exec, s[0:1]
	v_cmp_eq_u32_e32 vcc, 0, v0
	s_waitcnt lgkmcnt(0)
	s_barrier
	s_and_saveexec_b64 s[0:1], vcc
	s_cbranch_execz .LBB172_47
; %bb.46:
	s_mul_i32 s3, s12, s24
	s_mul_i32 s6, s3, s25
	s_ashr_i32 s7, s6, 31
	s_lshl_b64 s[6:7], s[6:7], 2
	s_add_u32 s5, s22, s6
	s_mul_i32 s2, s12, s2
	s_addc_u32 s10, s23, s7
	s_ashr_i32 s3, s2, 31
	s_lshl_b64 s[2:3], s[2:3], 2
	s_add_u32 s15, s5, s2
	s_addc_u32 s23, s10, s3
	s_ashr_i32 s5, s4, 31
	s_lshl_b64 s[10:11], s[4:5], 2
	s_add_u32 s22, s15, s10
	s_addc_u32 s23, s23, s11
	s_add_u32 s5, s20, s6
	s_addc_u32 s6, s21, s7
	;; [unrolled: 2-line block ×3, first 2 shown]
	s_add_u32 s2, s2, s10
	v_mov_b32_e32 v2, 0
	s_addc_u32 s3, s3, s11
	global_store_dword v2, v4, s[22:23]
	global_store_dword v2, v5, s[2:3]
.LBB172_47:
	s_or_b64 exec, exec, s[0:1]
	v_mov_b32_e32 v5, 0
	v_and_b32_e32 v25, 3, v0
	v_mov_b32_e32 v4, 0
	v_mov_b32_e32 v3, 0
	;; [unrolled: 1-line block ×3, first 2 shown]
	s_and_saveexec_b64 s[2:3], s[8:9]
	s_cbranch_execz .LBB172_221
; %bb.48:
	s_ashr_i32 s15, s14, 31
	s_sub_i32 s5, s49, s17
	s_lshl_b64 s[0:1], s[14:15], 1
	s_add_u32 s0, s36, s0
	s_addc_u32 s1, s37, s1
	s_abs_i32 s14, s18
	v_cvt_f32_u32_e32 v2, s14
	v_lshlrev_b32_e32 v3, 4, v0
	s_sub_i32 s6, 0, s14
	v_mov_b32_e32 v17, 0
	v_rcp_iflag_f32_e32 v2, v2
	v_and_b32_e32 v16, 0x3f0, v3
	s_add_i32 s15, s48, -1
	v_lshl_add_u64 v[18:19], s[0:1], 0, v[16:17]
	v_mul_f32_e32 v2, 0x4f7ffffe, v2
	v_cvt_u32_f32_e32 v2, v2
	s_lshl_b64 s[0:1], s[34:35], 2
	s_mov_b32 s8, 0
	s_add_u32 s0, s30, s0
	v_mul_lo_u32 v4, s6, v2
	v_mul_hi_u32 v4, v2, v4
	v_add_u32_e32 v27, v2, v4
	v_lshlrev_b32_e32 v2, 5, v25
	s_addc_u32 s1, s31, s1
	v_lshl_or_b32 v2, v28, 7, v2
	s_mov_b32 s9, s8
	v_lshl_add_u64 v[20:21], v[14:15], 2, s[0:1]
	v_add_u32_e32 v15, 0x90, v2
	s_mov_b32 s10, s8
	s_mov_b32 s11, s8
	v_mov_b64_e32 v[2:3], s[8:9]
	v_and_b32_e32 v26, 24, v26
	s_mov_b64 s[6:7], 0
	v_mov_b64_e32 v[4:5], s[10:11]
	s_mov_b32 s17, 0x7f800000
	s_movk_i32 s18, 0x7fff
	s_branch .LBB172_51
.LBB172_49:                             ;   in Loop: Header=BB172_51 Depth=1
	s_or_b64 exec, exec, s[0:1]
	v_and_b32_e32 v34, 0xffff0000, v30
	v_and_b32_e32 v30, 0xffff0000, v29
	;; [unrolled: 1-line block ×8, first 2 shown]
	v_pk_add_f32 v[12:13], v[12:13], v[28:29]
	v_pk_add_f32 v[28:29], v[30:31], v[34:35]
	v_add_f32_e32 v12, v12, v13
	v_add_f32_e32 v12, v12, v28
	;; [unrolled: 1-line block ×3, first 2 shown]
	v_and_b32_e32 v31, 0xffff0000, v52
	v_and_b32_e32 v30, 0xffff0000, v50
	v_and_b32_e32 v35, 0xffff0000, v51
	v_and_b32_e32 v34, 0xffff0000, v49
	v_add_f32_e32 v2, v2, v12
	v_and_b32_e32 v13, 0xffff0000, v56
	v_and_b32_e32 v12, 0xffff0000, v54
	;; [unrolled: 1-line block ×4, first 2 shown]
	v_pk_add_f32 v[30:31], v[34:35], v[30:31]
	v_pk_add_f32 v[12:13], v[28:29], v[12:13]
	v_add_f32_e32 v16, v30, v31
	v_add_f32_e32 v12, v16, v12
	;; [unrolled: 1-line block ×3, first 2 shown]
	v_and_b32_e32 v31, 0xffff0000, v60
	v_and_b32_e32 v30, 0xffff0000, v58
	;; [unrolled: 1-line block ×4, first 2 shown]
	v_add_f32_e32 v3, v3, v12
	v_and_b32_e32 v13, 0xffff0000, v64
	v_and_b32_e32 v12, 0xffff0000, v62
	;; [unrolled: 1-line block ×4, first 2 shown]
	v_pk_add_f32 v[30:31], v[34:35], v[30:31]
	v_pk_add_f32 v[12:13], v[28:29], v[12:13]
	v_add_f32_e32 v16, v30, v31
	v_add_f32_e32 v12, v16, v12
	;; [unrolled: 1-line block ×3, first 2 shown]
	v_and_b32_e32 v13, 0xffff0000, v11
	v_and_b32_e32 v11, 0xffff0000, v32
	;; [unrolled: 1-line block ×5, first 2 shown]
	v_add_f32_e32 v4, v4, v12
	v_and_b32_e32 v12, 0xffff0000, v33
	v_and_b32_e32 v9, 0xffff0000, v9
	v_and_b32_e32 v8, 0xffff0000, v8
	v_pk_add_f32 v[6:7], v[6:7], v[10:11]
	v_pk_add_f32 v[8:9], v[8:9], v[12:13]
	v_add_f32_e32 v6, v6, v7
	v_add_f32_e32 v6, v6, v8
	;; [unrolled: 1-line block ×4, first 2 shown]
.LBB172_50:                             ;   in Loop: Header=BB172_51 Depth=1
	s_or_b64 exec, exec, s[8:9]
	v_add_u32_e32 v14, 2, v14
	v_cmp_le_i32_e32 vcc, s16, v14
	v_lshl_add_u64 v[20:21], v[20:21], 0, 8
	v_add_u32_e32 v1, 64, v1
	s_or_b64 s[6:7], vcc, s[6:7]
	v_add_u32_e32 v15, 0x100, v15
	s_andn2_b64 exec, exec, s[6:7]
	s_cbranch_execz .LBB172_220
.LBB172_51:                             ; =>This Inner Loop Header: Depth=1
	v_sub_u32_e32 v7, 0, v1
	v_max_i32_e32 v7, v1, v7
	v_mul_hi_u32 v8, v7, s46
	v_mul_lo_u32 v9, v8, s27
	v_sub_u32_e32 v7, v7, v9
	v_add_u32_e32 v9, 1, v8
	v_cmp_le_u32_e32 vcc, s27, v7
	v_ashrrev_i32_e32 v6, 31, v1
	v_xor_b32_e32 v6, s19, v6
	v_cndmask_b32_e32 v8, v8, v9, vcc
	v_subrev_u32_e32 v9, s27, v7
	v_cndmask_b32_e32 v7, v7, v9, vcc
	v_add_u32_e32 v9, 1, v8
	v_cmp_le_u32_e32 vcc, s27, v7
	s_nop 1
	v_cndmask_b32_e32 v7, v8, v9, vcc
	v_xor_b32_e32 v7, v7, v6
	v_sub_u32_e32 v6, v7, v6
	v_add_u32_e32 v7, s47, v6
	v_sub_u32_e32 v9, 0, v7
	v_ashrrev_i32_e32 v8, 31, v7
	v_max_i32_e32 v7, v7, v9
	v_mul_hi_u32 v9, v7, v27
	v_mul_lo_u32 v9, v9, s14
	v_sub_u32_e32 v7, v7, v9
	v_subrev_u32_e32 v9, s14, v7
	v_cmp_le_u32_e32 vcc, s14, v7
	v_cmp_lt_i32_e64 s[0:1], s5, v6
	s_nop 0
	v_cndmask_b32_e32 v7, v7, v9, vcc
	v_subrev_u32_e32 v9, s14, v7
	v_cmp_le_u32_e32 vcc, s14, v7
	s_nop 1
	v_cndmask_b32_e32 v7, v7, v9, vcc
	v_xor_b32_e32 v7, v7, v8
	v_sub_u32_e32 v7, v7, v8
	v_cmp_eq_u32_e32 vcc, 0, v7
	s_or_b64 s[0:1], vcc, s[0:1]
	s_and_saveexec_b64 s[8:9], s[0:1]
	s_cbranch_execz .LBB172_50
; %bb.52:                               ;   in Loop: Header=BB172_51 Depth=1
	global_load_dword v32, v[20:21], off
	ds_read2_b64 v[10:13], v15 offset1:1
	ds_read2_b64 v[6:9], v15 offset0:2 offset1:3
                                        ; implicit-def: $vgpr41
	s_waitcnt lgkmcnt(1)
	v_and_b32_e32 v16, 0x7f800000, v10
	v_cmp_ne_u32_e32 vcc, s17, v16
	s_and_saveexec_b64 s[0:1], vcc
	s_xor_b64 s[0:1], exec, s[0:1]
; %bb.53:                               ;   in Loop: Header=BB172_51 Depth=1
	v_bfe_u32 v16, v10, 16, 1
	v_add3_u32 v41, v10, v16, s18
; %bb.54:                               ;   in Loop: Header=BB172_51 Depth=1
	s_andn2_saveexec_b64 s[0:1], s[0:1]
; %bb.55:                               ;   in Loop: Header=BB172_51 Depth=1
	v_or_b32_e32 v16, 0x10000, v10
	v_cmp_eq_u32_sdwa vcc, v10, v17 src0_sel:WORD_0 src1_sel:DWORD
	s_nop 1
	v_cndmask_b32_e32 v41, v16, v10, vcc
; %bb.56:                               ;   in Loop: Header=BB172_51 Depth=1
	s_or_b64 exec, exec, s[0:1]
	v_and_b32_e32 v10, 0x7f800000, v11
	v_cmp_ne_u32_e32 vcc, s17, v10
                                        ; implicit-def: $vgpr42
	s_and_saveexec_b64 s[0:1], vcc
	s_xor_b64 s[0:1], exec, s[0:1]
; %bb.57:                               ;   in Loop: Header=BB172_51 Depth=1
	v_bfe_u32 v10, v11, 16, 1
	v_add3_u32 v42, v11, v10, s18
; %bb.58:                               ;   in Loop: Header=BB172_51 Depth=1
	s_andn2_saveexec_b64 s[0:1], s[0:1]
; %bb.59:                               ;   in Loop: Header=BB172_51 Depth=1
	v_or_b32_e32 v10, 0x10000, v11
	v_cmp_eq_u32_sdwa vcc, v11, v17 src0_sel:WORD_0 src1_sel:DWORD
	s_nop 1
	v_cndmask_b32_e32 v42, v10, v11, vcc
; %bb.60:                               ;   in Loop: Header=BB172_51 Depth=1
	s_or_b64 exec, exec, s[0:1]
	v_and_b32_e32 v10, 0x7f800000, v12
	v_cmp_ne_u32_e32 vcc, s17, v10
                                        ; implicit-def: $vgpr16
	s_and_saveexec_b64 s[0:1], vcc
	s_xor_b64 s[0:1], exec, s[0:1]
; %bb.61:                               ;   in Loop: Header=BB172_51 Depth=1
	v_bfe_u32 v10, v12, 16, 1
	v_add3_u32 v16, v12, v10, s18
; %bb.62:                               ;   in Loop: Header=BB172_51 Depth=1
	s_andn2_saveexec_b64 s[0:1], s[0:1]
; %bb.63:                               ;   in Loop: Header=BB172_51 Depth=1
	v_or_b32_e32 v10, 0x10000, v12
	v_cmp_eq_u32_sdwa vcc, v12, v17 src0_sel:WORD_0 src1_sel:DWORD
	s_nop 1
	v_cndmask_b32_e32 v16, v10, v12, vcc
; %bb.64:                               ;   in Loop: Header=BB172_51 Depth=1
	s_or_b64 exec, exec, s[0:1]
	v_and_b32_e32 v10, 0x7f800000, v13
	v_cmp_ne_u32_e32 vcc, s17, v10
                                        ; implicit-def: $vgpr28
	s_and_saveexec_b64 s[0:1], vcc
	s_xor_b64 s[0:1], exec, s[0:1]
; %bb.65:                               ;   in Loop: Header=BB172_51 Depth=1
	v_bfe_u32 v10, v13, 16, 1
	v_add3_u32 v28, v13, v10, s18
                                        ; implicit-def: $vgpr10_vgpr11_vgpr12_vgpr13
; %bb.66:                               ;   in Loop: Header=BB172_51 Depth=1
	s_andn2_saveexec_b64 s[0:1], s[0:1]
; %bb.67:                               ;   in Loop: Header=BB172_51 Depth=1
	v_or_b32_e32 v10, 0x10000, v13
	v_cmp_eq_u32_sdwa vcc, v13, v17 src0_sel:WORD_0 src1_sel:DWORD
	s_nop 1
	v_cndmask_b32_e32 v28, v10, v13, vcc
; %bb.68:                               ;   in Loop: Header=BB172_51 Depth=1
	s_or_b64 exec, exec, s[0:1]
	s_waitcnt lgkmcnt(0)
	v_and_b32_e32 v10, 0x7f800000, v6
	v_cmp_ne_u32_e32 vcc, s17, v10
                                        ; implicit-def: $vgpr29
	s_and_saveexec_b64 s[0:1], vcc
	s_xor_b64 s[0:1], exec, s[0:1]
; %bb.69:                               ;   in Loop: Header=BB172_51 Depth=1
	v_bfe_u32 v10, v6, 16, 1
	v_add3_u32 v29, v6, v10, s18
; %bb.70:                               ;   in Loop: Header=BB172_51 Depth=1
	s_andn2_saveexec_b64 s[0:1], s[0:1]
; %bb.71:                               ;   in Loop: Header=BB172_51 Depth=1
	v_or_b32_e32 v10, 0x10000, v6
	v_cmp_eq_u32_sdwa vcc, v6, v17 src0_sel:WORD_0 src1_sel:DWORD
	s_nop 1
	v_cndmask_b32_e32 v29, v10, v6, vcc
; %bb.72:                               ;   in Loop: Header=BB172_51 Depth=1
	s_or_b64 exec, exec, s[0:1]
	v_and_b32_e32 v6, 0x7f800000, v7
	v_cmp_ne_u32_e32 vcc, s17, v6
                                        ; implicit-def: $vgpr30
	s_and_saveexec_b64 s[0:1], vcc
	s_xor_b64 s[0:1], exec, s[0:1]
; %bb.73:                               ;   in Loop: Header=BB172_51 Depth=1
	v_bfe_u32 v6, v7, 16, 1
	v_add3_u32 v30, v7, v6, s18
; %bb.74:                               ;   in Loop: Header=BB172_51 Depth=1
	s_andn2_saveexec_b64 s[0:1], s[0:1]
; %bb.75:                               ;   in Loop: Header=BB172_51 Depth=1
	v_or_b32_e32 v6, 0x10000, v7
	v_cmp_eq_u32_sdwa vcc, v7, v17 src0_sel:WORD_0 src1_sel:DWORD
	s_nop 1
	v_cndmask_b32_e32 v30, v6, v7, vcc
; %bb.76:                               ;   in Loop: Header=BB172_51 Depth=1
	s_or_b64 exec, exec, s[0:1]
	v_and_b32_e32 v6, 0x7f800000, v8
	v_cmp_ne_u32_e32 vcc, s17, v6
                                        ; implicit-def: $vgpr31
	s_and_saveexec_b64 s[0:1], vcc
	s_xor_b64 s[0:1], exec, s[0:1]
; %bb.77:                               ;   in Loop: Header=BB172_51 Depth=1
	v_bfe_u32 v6, v8, 16, 1
	v_add3_u32 v31, v8, v6, s18
; %bb.78:                               ;   in Loop: Header=BB172_51 Depth=1
	s_andn2_saveexec_b64 s[0:1], s[0:1]
; %bb.79:                               ;   in Loop: Header=BB172_51 Depth=1
	v_or_b32_e32 v6, 0x10000, v8
	v_cmp_eq_u32_sdwa vcc, v8, v17 src0_sel:WORD_0 src1_sel:DWORD
	s_nop 1
	v_cndmask_b32_e32 v31, v6, v8, vcc
; %bb.80:                               ;   in Loop: Header=BB172_51 Depth=1
	s_or_b64 exec, exec, s[0:1]
	v_and_b32_e32 v6, 0x7f800000, v9
	v_cmp_ne_u32_e32 vcc, s17, v6
                                        ; implicit-def: $vgpr40
	s_and_saveexec_b64 s[0:1], vcc
	s_xor_b64 s[0:1], exec, s[0:1]
; %bb.81:                               ;   in Loop: Header=BB172_51 Depth=1
	v_bfe_u32 v6, v9, 16, 1
	v_add3_u32 v40, v9, v6, s18
                                        ; implicit-def: $vgpr6_vgpr7_vgpr8_vgpr9
; %bb.82:                               ;   in Loop: Header=BB172_51 Depth=1
	s_andn2_saveexec_b64 s[0:1], s[0:1]
; %bb.83:                               ;   in Loop: Header=BB172_51 Depth=1
	v_or_b32_e32 v6, 0x10000, v9
	v_cmp_eq_u32_sdwa vcc, v9, v17 src0_sel:WORD_0 src1_sel:DWORD
	s_nop 1
	v_cndmask_b32_e32 v40, v6, v9, vcc
; %bb.84:                               ;   in Loop: Header=BB172_51 Depth=1
	s_or_b64 exec, exec, s[0:1]
	s_waitcnt vmcnt(0)
	v_mad_i64_i32 v[6:7], s[0:1], v32, s13, 0
	v_lshl_add_u64 v[10:11], v[6:7], 1, v[18:19]
	global_load_dwordx4 v[6:9], v[10:11], off
	v_add_u32_e32 v32, v26, v1
	v_cmp_eq_u32_e32 vcc, s15, v14
	v_add_u32_e32 v39, 1, v32
	v_add_u32_e32 v38, 2, v32
	;; [unrolled: 1-line block ×7, first 2 shown]
	s_waitcnt vmcnt(0)
	v_lshrrev_b32_e32 v13, 16, v6
	v_lshrrev_b32_e32 v45, 16, v7
	;; [unrolled: 1-line block ×4, first 2 shown]
	s_and_saveexec_b64 s[10:11], vcc
	s_cbranch_execz .LBB172_86
; %bb.85:                               ;   in Loop: Header=BB172_51 Depth=1
	v_cmp_gt_i32_e64 s[0:1], s33, v32
	s_nop 1
	v_cndmask_b32_e64 v6, 0, v6, s[0:1]
	v_cmp_gt_i32_e64 s[0:1], s33, v39
	s_nop 1
	v_cndmask_b32_e64 v13, 0, v13, s[0:1]
	;; [unrolled: 3-line block ×8, first 2 shown]
.LBB172_86:                             ;   in Loop: Header=BB172_51 Depth=1
	s_or_b64 exec, exec, s[10:11]
	v_and_b32_e32 v41, 0xffff0000, v41
	v_lshlrev_b32_e32 v6, 16, v6
	v_mul_f32_e32 v6, v41, v6
	v_and_b32_e32 v12, 0x7f800000, v6
	v_cmp_ne_u32_e64 s[0:1], s17, v12
                                        ; implicit-def: $vgpr12
	s_and_saveexec_b64 s[10:11], s[0:1]
	s_xor_b64 s[0:1], exec, s[10:11]
; %bb.87:                               ;   in Loop: Header=BB172_51 Depth=1
	v_bfe_u32 v12, v6, 16, 1
	v_add3_u32 v12, v6, v12, s18
                                        ; implicit-def: $vgpr6
; %bb.88:                               ;   in Loop: Header=BB172_51 Depth=1
	s_andn2_saveexec_b64 s[10:11], s[0:1]
; %bb.89:                               ;   in Loop: Header=BB172_51 Depth=1
	v_or_b32_e32 v12, 0x10000, v6
	v_cmp_eq_u32_sdwa s[0:1], v6, v17 src0_sel:WORD_0 src1_sel:DWORD
	s_nop 1
	v_cndmask_b32_e64 v12, v12, v6, s[0:1]
; %bb.90:                               ;   in Loop: Header=BB172_51 Depth=1
	s_or_b64 exec, exec, s[10:11]
	v_and_b32_e32 v42, 0xffff0000, v42
	v_lshlrev_b32_e32 v6, 16, v13
	v_mul_f32_e32 v6, v42, v6
	v_and_b32_e32 v13, 0x7f800000, v6
	v_cmp_ne_u32_e64 s[0:1], s17, v13
                                        ; implicit-def: $vgpr13
	s_and_saveexec_b64 s[10:11], s[0:1]
	s_xor_b64 s[0:1], exec, s[10:11]
; %bb.91:                               ;   in Loop: Header=BB172_51 Depth=1
	v_bfe_u32 v13, v6, 16, 1
	v_add3_u32 v13, v6, v13, s18
                                        ; implicit-def: $vgpr6
; %bb.92:                               ;   in Loop: Header=BB172_51 Depth=1
	s_andn2_saveexec_b64 s[10:11], s[0:1]
; %bb.93:                               ;   in Loop: Header=BB172_51 Depth=1
	v_or_b32_e32 v13, 0x10000, v6
	v_cmp_eq_u32_sdwa s[0:1], v6, v17 src0_sel:WORD_0 src1_sel:DWORD
	s_nop 1
	v_cndmask_b32_e64 v13, v13, v6, s[0:1]
; %bb.94:                               ;   in Loop: Header=BB172_51 Depth=1
	s_or_b64 exec, exec, s[10:11]
	v_and_b32_e32 v43, 0xffff0000, v16
	v_lshlrev_b32_e32 v6, 16, v7
	v_mul_f32_e32 v6, v43, v6
	v_and_b32_e32 v7, 0x7f800000, v6
	v_cmp_ne_u32_e64 s[0:1], s17, v7
                                        ; implicit-def: $vgpr16
	s_and_saveexec_b64 s[10:11], s[0:1]
	s_xor_b64 s[0:1], exec, s[10:11]
; %bb.95:                               ;   in Loop: Header=BB172_51 Depth=1
	v_bfe_u32 v7, v6, 16, 1
	v_add3_u32 v16, v6, v7, s18
                                        ; implicit-def: $vgpr6
; %bb.96:                               ;   in Loop: Header=BB172_51 Depth=1
	s_andn2_saveexec_b64 s[10:11], s[0:1]
; %bb.97:                               ;   in Loop: Header=BB172_51 Depth=1
	v_or_b32_e32 v7, 0x10000, v6
	v_cmp_eq_u32_sdwa s[0:1], v6, v17 src0_sel:WORD_0 src1_sel:DWORD
	s_nop 1
	v_cndmask_b32_e64 v16, v7, v6, s[0:1]
; %bb.98:                               ;   in Loop: Header=BB172_51 Depth=1
	s_or_b64 exec, exec, s[10:11]
	v_and_b32_e32 v44, 0xffff0000, v28
	v_lshlrev_b32_e32 v6, 16, v45
	v_mul_f32_e32 v6, v44, v6
	v_and_b32_e32 v7, 0x7f800000, v6
	v_cmp_ne_u32_e64 s[0:1], s17, v7
                                        ; implicit-def: $vgpr28
	s_and_saveexec_b64 s[10:11], s[0:1]
	s_xor_b64 s[0:1], exec, s[10:11]
; %bb.99:                               ;   in Loop: Header=BB172_51 Depth=1
	v_bfe_u32 v7, v6, 16, 1
	v_add3_u32 v28, v6, v7, s18
                                        ; implicit-def: $vgpr6
; %bb.100:                              ;   in Loop: Header=BB172_51 Depth=1
	s_andn2_saveexec_b64 s[10:11], s[0:1]
; %bb.101:                              ;   in Loop: Header=BB172_51 Depth=1
	v_or_b32_e32 v7, 0x10000, v6
	v_cmp_eq_u32_sdwa s[0:1], v6, v17 src0_sel:WORD_0 src1_sel:DWORD
	s_nop 1
	v_cndmask_b32_e64 v28, v7, v6, s[0:1]
; %bb.102:                              ;   in Loop: Header=BB172_51 Depth=1
	s_or_b64 exec, exec, s[10:11]
	v_and_b32_e32 v45, 0xffff0000, v29
	v_lshlrev_b32_e32 v6, 16, v8
	v_mul_f32_e32 v6, v45, v6
	v_and_b32_e32 v7, 0x7f800000, v6
	v_cmp_ne_u32_e64 s[0:1], s17, v7
                                        ; implicit-def: $vgpr29
	s_and_saveexec_b64 s[10:11], s[0:1]
	s_xor_b64 s[0:1], exec, s[10:11]
; %bb.103:                              ;   in Loop: Header=BB172_51 Depth=1
	v_bfe_u32 v7, v6, 16, 1
	v_add3_u32 v29, v6, v7, s18
                                        ; implicit-def: $vgpr6
; %bb.104:                              ;   in Loop: Header=BB172_51 Depth=1
	s_andn2_saveexec_b64 s[10:11], s[0:1]
; %bb.105:                              ;   in Loop: Header=BB172_51 Depth=1
	v_or_b32_e32 v7, 0x10000, v6
	v_cmp_eq_u32_sdwa s[0:1], v6, v17 src0_sel:WORD_0 src1_sel:DWORD
	s_nop 1
	v_cndmask_b32_e64 v29, v7, v6, s[0:1]
; %bb.106:                              ;   in Loop: Header=BB172_51 Depth=1
	s_or_b64 exec, exec, s[10:11]
	v_and_b32_e32 v46, 0xffff0000, v30
	v_lshlrev_b32_e32 v6, 16, v47
	v_mul_f32_e32 v6, v46, v6
	v_and_b32_e32 v7, 0x7f800000, v6
	v_cmp_ne_u32_e64 s[0:1], s17, v7
                                        ; implicit-def: $vgpr30
	s_and_saveexec_b64 s[10:11], s[0:1]
	s_xor_b64 s[0:1], exec, s[10:11]
; %bb.107:                              ;   in Loop: Header=BB172_51 Depth=1
	v_bfe_u32 v7, v6, 16, 1
	v_add3_u32 v30, v6, v7, s18
                                        ; implicit-def: $vgpr6
; %bb.108:                              ;   in Loop: Header=BB172_51 Depth=1
	s_andn2_saveexec_b64 s[10:11], s[0:1]
; %bb.109:                              ;   in Loop: Header=BB172_51 Depth=1
	v_or_b32_e32 v7, 0x10000, v6
	v_cmp_eq_u32_sdwa s[0:1], v6, v17 src0_sel:WORD_0 src1_sel:DWORD
	s_nop 1
	v_cndmask_b32_e64 v30, v7, v6, s[0:1]
; %bb.110:                              ;   in Loop: Header=BB172_51 Depth=1
	s_or_b64 exec, exec, s[10:11]
	v_and_b32_e32 v47, 0xffff0000, v31
	v_lshlrev_b32_e32 v6, 16, v9
	v_mul_f32_e32 v6, v47, v6
	v_and_b32_e32 v7, 0x7f800000, v6
	v_cmp_ne_u32_e64 s[0:1], s17, v7
                                        ; implicit-def: $vgpr31
	s_and_saveexec_b64 s[10:11], s[0:1]
	s_xor_b64 s[0:1], exec, s[10:11]
; %bb.111:                              ;   in Loop: Header=BB172_51 Depth=1
	v_bfe_u32 v7, v6, 16, 1
	v_add3_u32 v31, v6, v7, s18
                                        ; implicit-def: $vgpr6
; %bb.112:                              ;   in Loop: Header=BB172_51 Depth=1
	s_andn2_saveexec_b64 s[10:11], s[0:1]
; %bb.113:                              ;   in Loop: Header=BB172_51 Depth=1
	v_or_b32_e32 v7, 0x10000, v6
	v_cmp_eq_u32_sdwa s[0:1], v6, v17 src0_sel:WORD_0 src1_sel:DWORD
	s_nop 1
	v_cndmask_b32_e64 v31, v7, v6, s[0:1]
; %bb.114:                              ;   in Loop: Header=BB172_51 Depth=1
	s_or_b64 exec, exec, s[10:11]
	v_and_b32_e32 v48, 0xffff0000, v40
	v_lshlrev_b32_e32 v6, 16, v49
	v_mul_f32_e32 v6, v48, v6
	v_and_b32_e32 v7, 0x7f800000, v6
	v_cmp_ne_u32_e64 s[0:1], s17, v7
                                        ; implicit-def: $vgpr40
	s_and_saveexec_b64 s[10:11], s[0:1]
	s_xor_b64 s[0:1], exec, s[10:11]
; %bb.115:                              ;   in Loop: Header=BB172_51 Depth=1
	v_bfe_u32 v7, v6, 16, 1
	v_add3_u32 v40, v6, v7, s18
                                        ; implicit-def: $vgpr6
; %bb.116:                              ;   in Loop: Header=BB172_51 Depth=1
	s_andn2_saveexec_b64 s[10:11], s[0:1]
; %bb.117:                              ;   in Loop: Header=BB172_51 Depth=1
	v_or_b32_e32 v7, 0x10000, v6
	v_cmp_eq_u32_sdwa s[0:1], v6, v17 src0_sel:WORD_0 src1_sel:DWORD
	s_nop 1
	v_cndmask_b32_e64 v40, v7, v6, s[0:1]
; %bb.118:                              ;   in Loop: Header=BB172_51 Depth=1
	s_or_b64 exec, exec, s[10:11]
	global_load_dwordx4 v[6:9], v[10:11], off offset:1024
	s_waitcnt vmcnt(0)
	v_lshrrev_b32_e32 v50, 16, v6
	v_lshrrev_b32_e32 v52, 16, v7
	;; [unrolled: 1-line block ×4, first 2 shown]
	s_and_saveexec_b64 s[10:11], vcc
	s_cbranch_execz .LBB172_120
; %bb.119:                              ;   in Loop: Header=BB172_51 Depth=1
	v_cmp_gt_i32_e64 s[0:1], s33, v32
	s_nop 1
	v_cndmask_b32_e64 v6, 0, v6, s[0:1]
	v_cmp_gt_i32_e64 s[0:1], s33, v39
	s_nop 1
	v_cndmask_b32_e64 v50, 0, v50, s[0:1]
	;; [unrolled: 3-line block ×8, first 2 shown]
.LBB172_120:                            ;   in Loop: Header=BB172_51 Depth=1
	s_or_b64 exec, exec, s[10:11]
	v_lshlrev_b32_e32 v6, 16, v6
	v_mul_f32_e32 v6, v41, v6
	v_and_b32_e32 v49, 0x7f800000, v6
	v_cmp_ne_u32_e64 s[0:1], s17, v49
                                        ; implicit-def: $vgpr49
	s_and_saveexec_b64 s[10:11], s[0:1]
	s_xor_b64 s[0:1], exec, s[10:11]
; %bb.121:                              ;   in Loop: Header=BB172_51 Depth=1
	v_bfe_u32 v49, v6, 16, 1
	v_add3_u32 v49, v6, v49, s18
                                        ; implicit-def: $vgpr6
; %bb.122:                              ;   in Loop: Header=BB172_51 Depth=1
	s_andn2_saveexec_b64 s[10:11], s[0:1]
; %bb.123:                              ;   in Loop: Header=BB172_51 Depth=1
	v_or_b32_e32 v49, 0x10000, v6
	v_cmp_eq_u32_sdwa s[0:1], v6, v17 src0_sel:WORD_0 src1_sel:DWORD
	s_nop 1
	v_cndmask_b32_e64 v49, v49, v6, s[0:1]
; %bb.124:                              ;   in Loop: Header=BB172_51 Depth=1
	s_or_b64 exec, exec, s[10:11]
	v_lshlrev_b32_e32 v6, 16, v50
	v_mul_f32_e32 v6, v42, v6
	v_and_b32_e32 v50, 0x7f800000, v6
	v_cmp_ne_u32_e64 s[0:1], s17, v50
                                        ; implicit-def: $vgpr50
	s_and_saveexec_b64 s[10:11], s[0:1]
	s_xor_b64 s[0:1], exec, s[10:11]
; %bb.125:                              ;   in Loop: Header=BB172_51 Depth=1
	v_bfe_u32 v50, v6, 16, 1
	v_add3_u32 v50, v6, v50, s18
                                        ; implicit-def: $vgpr6
; %bb.126:                              ;   in Loop: Header=BB172_51 Depth=1
	s_andn2_saveexec_b64 s[10:11], s[0:1]
; %bb.127:                              ;   in Loop: Header=BB172_51 Depth=1
	v_or_b32_e32 v50, 0x10000, v6
	v_cmp_eq_u32_sdwa s[0:1], v6, v17 src0_sel:WORD_0 src1_sel:DWORD
	s_nop 1
	v_cndmask_b32_e64 v50, v50, v6, s[0:1]
; %bb.128:                              ;   in Loop: Header=BB172_51 Depth=1
	s_or_b64 exec, exec, s[10:11]
	v_lshlrev_b32_e32 v6, 16, v7
	v_mul_f32_e32 v6, v43, v6
	v_and_b32_e32 v7, 0x7f800000, v6
	v_cmp_ne_u32_e64 s[0:1], s17, v7
                                        ; implicit-def: $vgpr51
	s_and_saveexec_b64 s[10:11], s[0:1]
	s_xor_b64 s[0:1], exec, s[10:11]
; %bb.129:                              ;   in Loop: Header=BB172_51 Depth=1
	v_bfe_u32 v7, v6, 16, 1
	v_add3_u32 v51, v6, v7, s18
                                        ; implicit-def: $vgpr6
; %bb.130:                              ;   in Loop: Header=BB172_51 Depth=1
	s_andn2_saveexec_b64 s[10:11], s[0:1]
; %bb.131:                              ;   in Loop: Header=BB172_51 Depth=1
	v_or_b32_e32 v7, 0x10000, v6
	v_cmp_eq_u32_sdwa s[0:1], v6, v17 src0_sel:WORD_0 src1_sel:DWORD
	s_nop 1
	v_cndmask_b32_e64 v51, v7, v6, s[0:1]
; %bb.132:                              ;   in Loop: Header=BB172_51 Depth=1
	s_or_b64 exec, exec, s[10:11]
	v_lshlrev_b32_e32 v6, 16, v52
	v_mul_f32_e32 v6, v44, v6
	v_and_b32_e32 v7, 0x7f800000, v6
	v_cmp_ne_u32_e64 s[0:1], s17, v7
                                        ; implicit-def: $vgpr52
	s_and_saveexec_b64 s[10:11], s[0:1]
	s_xor_b64 s[0:1], exec, s[10:11]
; %bb.133:                              ;   in Loop: Header=BB172_51 Depth=1
	v_bfe_u32 v7, v6, 16, 1
	v_add3_u32 v52, v6, v7, s18
                                        ; implicit-def: $vgpr6
; %bb.134:                              ;   in Loop: Header=BB172_51 Depth=1
	s_andn2_saveexec_b64 s[10:11], s[0:1]
; %bb.135:                              ;   in Loop: Header=BB172_51 Depth=1
	v_or_b32_e32 v7, 0x10000, v6
	v_cmp_eq_u32_sdwa s[0:1], v6, v17 src0_sel:WORD_0 src1_sel:DWORD
	s_nop 1
	v_cndmask_b32_e64 v52, v7, v6, s[0:1]
; %bb.136:                              ;   in Loop: Header=BB172_51 Depth=1
	s_or_b64 exec, exec, s[10:11]
	v_lshlrev_b32_e32 v6, 16, v8
	v_mul_f32_e32 v6, v45, v6
	v_and_b32_e32 v7, 0x7f800000, v6
	v_cmp_ne_u32_e64 s[0:1], s17, v7
                                        ; implicit-def: $vgpr53
	s_and_saveexec_b64 s[10:11], s[0:1]
	s_xor_b64 s[0:1], exec, s[10:11]
; %bb.137:                              ;   in Loop: Header=BB172_51 Depth=1
	v_bfe_u32 v7, v6, 16, 1
	v_add3_u32 v53, v6, v7, s18
                                        ; implicit-def: $vgpr6
; %bb.138:                              ;   in Loop: Header=BB172_51 Depth=1
	s_andn2_saveexec_b64 s[10:11], s[0:1]
; %bb.139:                              ;   in Loop: Header=BB172_51 Depth=1
	v_or_b32_e32 v7, 0x10000, v6
	v_cmp_eq_u32_sdwa s[0:1], v6, v17 src0_sel:WORD_0 src1_sel:DWORD
	s_nop 1
	v_cndmask_b32_e64 v53, v7, v6, s[0:1]
; %bb.140:                              ;   in Loop: Header=BB172_51 Depth=1
	s_or_b64 exec, exec, s[10:11]
	v_lshlrev_b32_e32 v6, 16, v54
	v_mul_f32_e32 v6, v46, v6
	v_and_b32_e32 v7, 0x7f800000, v6
	v_cmp_ne_u32_e64 s[0:1], s17, v7
                                        ; implicit-def: $vgpr54
	s_and_saveexec_b64 s[10:11], s[0:1]
	s_xor_b64 s[0:1], exec, s[10:11]
; %bb.141:                              ;   in Loop: Header=BB172_51 Depth=1
	v_bfe_u32 v7, v6, 16, 1
	v_add3_u32 v54, v6, v7, s18
                                        ; implicit-def: $vgpr6
; %bb.142:                              ;   in Loop: Header=BB172_51 Depth=1
	s_andn2_saveexec_b64 s[10:11], s[0:1]
; %bb.143:                              ;   in Loop: Header=BB172_51 Depth=1
	v_or_b32_e32 v7, 0x10000, v6
	v_cmp_eq_u32_sdwa s[0:1], v6, v17 src0_sel:WORD_0 src1_sel:DWORD
	s_nop 1
	v_cndmask_b32_e64 v54, v7, v6, s[0:1]
; %bb.144:                              ;   in Loop: Header=BB172_51 Depth=1
	s_or_b64 exec, exec, s[10:11]
	v_lshlrev_b32_e32 v6, 16, v9
	v_mul_f32_e32 v6, v47, v6
	v_and_b32_e32 v7, 0x7f800000, v6
	v_cmp_ne_u32_e64 s[0:1], s17, v7
                                        ; implicit-def: $vgpr55
	s_and_saveexec_b64 s[10:11], s[0:1]
	s_xor_b64 s[0:1], exec, s[10:11]
; %bb.145:                              ;   in Loop: Header=BB172_51 Depth=1
	v_bfe_u32 v7, v6, 16, 1
	v_add3_u32 v55, v6, v7, s18
                                        ; implicit-def: $vgpr6
; %bb.146:                              ;   in Loop: Header=BB172_51 Depth=1
	s_andn2_saveexec_b64 s[10:11], s[0:1]
; %bb.147:                              ;   in Loop: Header=BB172_51 Depth=1
	v_or_b32_e32 v7, 0x10000, v6
	v_cmp_eq_u32_sdwa s[0:1], v6, v17 src0_sel:WORD_0 src1_sel:DWORD
	s_nop 1
	v_cndmask_b32_e64 v55, v7, v6, s[0:1]
; %bb.148:                              ;   in Loop: Header=BB172_51 Depth=1
	s_or_b64 exec, exec, s[10:11]
	v_lshlrev_b32_e32 v6, 16, v56
	v_mul_f32_e32 v6, v48, v6
	v_and_b32_e32 v7, 0x7f800000, v6
	v_cmp_ne_u32_e64 s[0:1], s17, v7
                                        ; implicit-def: $vgpr56
	s_and_saveexec_b64 s[10:11], s[0:1]
	s_xor_b64 s[0:1], exec, s[10:11]
; %bb.149:                              ;   in Loop: Header=BB172_51 Depth=1
	v_bfe_u32 v7, v6, 16, 1
	v_add3_u32 v56, v6, v7, s18
                                        ; implicit-def: $vgpr6
; %bb.150:                              ;   in Loop: Header=BB172_51 Depth=1
	s_andn2_saveexec_b64 s[10:11], s[0:1]
; %bb.151:                              ;   in Loop: Header=BB172_51 Depth=1
	v_or_b32_e32 v7, 0x10000, v6
	v_cmp_eq_u32_sdwa s[0:1], v6, v17 src0_sel:WORD_0 src1_sel:DWORD
	s_nop 1
	v_cndmask_b32_e64 v56, v7, v6, s[0:1]
; %bb.152:                              ;   in Loop: Header=BB172_51 Depth=1
	s_or_b64 exec, exec, s[10:11]
	global_load_dwordx4 v[6:9], v[10:11], off offset:2048
	s_waitcnt vmcnt(0)
	v_lshrrev_b32_e32 v58, 16, v6
	v_lshrrev_b32_e32 v60, 16, v7
	;; [unrolled: 1-line block ×4, first 2 shown]
	s_and_saveexec_b64 s[10:11], vcc
	s_cbranch_execz .LBB172_154
; %bb.153:                              ;   in Loop: Header=BB172_51 Depth=1
	v_cmp_gt_i32_e64 s[0:1], s33, v32
	s_nop 1
	v_cndmask_b32_e64 v6, 0, v6, s[0:1]
	v_cmp_gt_i32_e64 s[0:1], s33, v39
	s_nop 1
	v_cndmask_b32_e64 v58, 0, v58, s[0:1]
	;; [unrolled: 3-line block ×8, first 2 shown]
.LBB172_154:                            ;   in Loop: Header=BB172_51 Depth=1
	s_or_b64 exec, exec, s[10:11]
	v_lshlrev_b32_e32 v6, 16, v6
	v_mul_f32_e32 v6, v41, v6
	v_and_b32_e32 v57, 0x7f800000, v6
	v_cmp_ne_u32_e64 s[0:1], s17, v57
                                        ; implicit-def: $vgpr57
	s_and_saveexec_b64 s[10:11], s[0:1]
	s_xor_b64 s[0:1], exec, s[10:11]
; %bb.155:                              ;   in Loop: Header=BB172_51 Depth=1
	v_bfe_u32 v57, v6, 16, 1
	v_add3_u32 v57, v6, v57, s18
                                        ; implicit-def: $vgpr6
; %bb.156:                              ;   in Loop: Header=BB172_51 Depth=1
	s_andn2_saveexec_b64 s[10:11], s[0:1]
; %bb.157:                              ;   in Loop: Header=BB172_51 Depth=1
	v_or_b32_e32 v57, 0x10000, v6
	v_cmp_eq_u32_sdwa s[0:1], v6, v17 src0_sel:WORD_0 src1_sel:DWORD
	s_nop 1
	v_cndmask_b32_e64 v57, v57, v6, s[0:1]
; %bb.158:                              ;   in Loop: Header=BB172_51 Depth=1
	s_or_b64 exec, exec, s[10:11]
	v_lshlrev_b32_e32 v6, 16, v58
	v_mul_f32_e32 v6, v42, v6
	v_and_b32_e32 v58, 0x7f800000, v6
	v_cmp_ne_u32_e64 s[0:1], s17, v58
                                        ; implicit-def: $vgpr58
	s_and_saveexec_b64 s[10:11], s[0:1]
	s_xor_b64 s[0:1], exec, s[10:11]
; %bb.159:                              ;   in Loop: Header=BB172_51 Depth=1
	v_bfe_u32 v58, v6, 16, 1
	v_add3_u32 v58, v6, v58, s18
                                        ; implicit-def: $vgpr6
; %bb.160:                              ;   in Loop: Header=BB172_51 Depth=1
	s_andn2_saveexec_b64 s[10:11], s[0:1]
; %bb.161:                              ;   in Loop: Header=BB172_51 Depth=1
	v_or_b32_e32 v58, 0x10000, v6
	v_cmp_eq_u32_sdwa s[0:1], v6, v17 src0_sel:WORD_0 src1_sel:DWORD
	s_nop 1
	v_cndmask_b32_e64 v58, v58, v6, s[0:1]
; %bb.162:                              ;   in Loop: Header=BB172_51 Depth=1
	s_or_b64 exec, exec, s[10:11]
	v_lshlrev_b32_e32 v6, 16, v7
	v_mul_f32_e32 v6, v43, v6
	v_and_b32_e32 v7, 0x7f800000, v6
	v_cmp_ne_u32_e64 s[0:1], s17, v7
                                        ; implicit-def: $vgpr59
	s_and_saveexec_b64 s[10:11], s[0:1]
	s_xor_b64 s[0:1], exec, s[10:11]
; %bb.163:                              ;   in Loop: Header=BB172_51 Depth=1
	v_bfe_u32 v7, v6, 16, 1
	v_add3_u32 v59, v6, v7, s18
                                        ; implicit-def: $vgpr6
; %bb.164:                              ;   in Loop: Header=BB172_51 Depth=1
	s_andn2_saveexec_b64 s[10:11], s[0:1]
; %bb.165:                              ;   in Loop: Header=BB172_51 Depth=1
	v_or_b32_e32 v7, 0x10000, v6
	v_cmp_eq_u32_sdwa s[0:1], v6, v17 src0_sel:WORD_0 src1_sel:DWORD
	s_nop 1
	v_cndmask_b32_e64 v59, v7, v6, s[0:1]
; %bb.166:                              ;   in Loop: Header=BB172_51 Depth=1
	s_or_b64 exec, exec, s[10:11]
	v_lshlrev_b32_e32 v6, 16, v60
	v_mul_f32_e32 v6, v44, v6
	v_and_b32_e32 v7, 0x7f800000, v6
	v_cmp_ne_u32_e64 s[0:1], s17, v7
                                        ; implicit-def: $vgpr60
	s_and_saveexec_b64 s[10:11], s[0:1]
	s_xor_b64 s[0:1], exec, s[10:11]
; %bb.167:                              ;   in Loop: Header=BB172_51 Depth=1
	v_bfe_u32 v7, v6, 16, 1
	v_add3_u32 v60, v6, v7, s18
                                        ; implicit-def: $vgpr6
; %bb.168:                              ;   in Loop: Header=BB172_51 Depth=1
	s_andn2_saveexec_b64 s[10:11], s[0:1]
; %bb.169:                              ;   in Loop: Header=BB172_51 Depth=1
	v_or_b32_e32 v7, 0x10000, v6
	v_cmp_eq_u32_sdwa s[0:1], v6, v17 src0_sel:WORD_0 src1_sel:DWORD
	s_nop 1
	v_cndmask_b32_e64 v60, v7, v6, s[0:1]
; %bb.170:                              ;   in Loop: Header=BB172_51 Depth=1
	s_or_b64 exec, exec, s[10:11]
	v_lshlrev_b32_e32 v6, 16, v8
	v_mul_f32_e32 v6, v45, v6
	v_and_b32_e32 v7, 0x7f800000, v6
	v_cmp_ne_u32_e64 s[0:1], s17, v7
                                        ; implicit-def: $vgpr61
	s_and_saveexec_b64 s[10:11], s[0:1]
	s_xor_b64 s[0:1], exec, s[10:11]
; %bb.171:                              ;   in Loop: Header=BB172_51 Depth=1
	v_bfe_u32 v7, v6, 16, 1
	v_add3_u32 v61, v6, v7, s18
                                        ; implicit-def: $vgpr6
; %bb.172:                              ;   in Loop: Header=BB172_51 Depth=1
	s_andn2_saveexec_b64 s[10:11], s[0:1]
; %bb.173:                              ;   in Loop: Header=BB172_51 Depth=1
	v_or_b32_e32 v7, 0x10000, v6
	v_cmp_eq_u32_sdwa s[0:1], v6, v17 src0_sel:WORD_0 src1_sel:DWORD
	s_nop 1
	v_cndmask_b32_e64 v61, v7, v6, s[0:1]
; %bb.174:                              ;   in Loop: Header=BB172_51 Depth=1
	s_or_b64 exec, exec, s[10:11]
	v_lshlrev_b32_e32 v6, 16, v62
	v_mul_f32_e32 v6, v46, v6
	v_and_b32_e32 v7, 0x7f800000, v6
	v_cmp_ne_u32_e64 s[0:1], s17, v7
                                        ; implicit-def: $vgpr62
	s_and_saveexec_b64 s[10:11], s[0:1]
	s_xor_b64 s[0:1], exec, s[10:11]
; %bb.175:                              ;   in Loop: Header=BB172_51 Depth=1
	v_bfe_u32 v7, v6, 16, 1
	v_add3_u32 v62, v6, v7, s18
                                        ; implicit-def: $vgpr6
; %bb.176:                              ;   in Loop: Header=BB172_51 Depth=1
	s_andn2_saveexec_b64 s[10:11], s[0:1]
; %bb.177:                              ;   in Loop: Header=BB172_51 Depth=1
	v_or_b32_e32 v7, 0x10000, v6
	v_cmp_eq_u32_sdwa s[0:1], v6, v17 src0_sel:WORD_0 src1_sel:DWORD
	s_nop 1
	v_cndmask_b32_e64 v62, v7, v6, s[0:1]
; %bb.178:                              ;   in Loop: Header=BB172_51 Depth=1
	s_or_b64 exec, exec, s[10:11]
	v_lshlrev_b32_e32 v6, 16, v9
	v_mul_f32_e32 v6, v47, v6
	v_and_b32_e32 v7, 0x7f800000, v6
	v_cmp_ne_u32_e64 s[0:1], s17, v7
                                        ; implicit-def: $vgpr63
	s_and_saveexec_b64 s[10:11], s[0:1]
	s_xor_b64 s[0:1], exec, s[10:11]
; %bb.179:                              ;   in Loop: Header=BB172_51 Depth=1
	v_bfe_u32 v7, v6, 16, 1
	v_add3_u32 v63, v6, v7, s18
                                        ; implicit-def: $vgpr6
; %bb.180:                              ;   in Loop: Header=BB172_51 Depth=1
	s_andn2_saveexec_b64 s[10:11], s[0:1]
; %bb.181:                              ;   in Loop: Header=BB172_51 Depth=1
	v_or_b32_e32 v7, 0x10000, v6
	v_cmp_eq_u32_sdwa s[0:1], v6, v17 src0_sel:WORD_0 src1_sel:DWORD
	s_nop 1
	v_cndmask_b32_e64 v63, v7, v6, s[0:1]
; %bb.182:                              ;   in Loop: Header=BB172_51 Depth=1
	s_or_b64 exec, exec, s[10:11]
	v_lshlrev_b32_e32 v6, 16, v64
	v_mul_f32_e32 v6, v48, v6
	v_and_b32_e32 v7, 0x7f800000, v6
	v_cmp_ne_u32_e64 s[0:1], s17, v7
                                        ; implicit-def: $vgpr64
	s_and_saveexec_b64 s[10:11], s[0:1]
	s_xor_b64 s[0:1], exec, s[10:11]
; %bb.183:                              ;   in Loop: Header=BB172_51 Depth=1
	v_bfe_u32 v7, v6, 16, 1
	v_add3_u32 v64, v6, v7, s18
                                        ; implicit-def: $vgpr6
; %bb.184:                              ;   in Loop: Header=BB172_51 Depth=1
	s_andn2_saveexec_b64 s[10:11], s[0:1]
; %bb.185:                              ;   in Loop: Header=BB172_51 Depth=1
	v_or_b32_e32 v7, 0x10000, v6
	v_cmp_eq_u32_sdwa s[0:1], v6, v17 src0_sel:WORD_0 src1_sel:DWORD
	s_nop 1
	v_cndmask_b32_e64 v64, v7, v6, s[0:1]
; %bb.186:                              ;   in Loop: Header=BB172_51 Depth=1
	s_or_b64 exec, exec, s[10:11]
	global_load_dwordx4 v[6:9], v[10:11], off offset:3072
	s_waitcnt vmcnt(0)
	v_lshrrev_b32_e32 v10, 16, v6
	v_lshrrev_b32_e32 v66, 16, v7
	;; [unrolled: 1-line block ×4, first 2 shown]
	s_and_saveexec_b64 s[0:1], vcc
	s_cbranch_execz .LBB172_188
; %bb.187:                              ;   in Loop: Header=BB172_51 Depth=1
	v_cmp_gt_i32_e32 vcc, s33, v32
	s_nop 1
	v_cndmask_b32_e32 v6, 0, v6, vcc
	v_cmp_gt_i32_e32 vcc, s33, v39
	s_nop 1
	v_cndmask_b32_e32 v10, 0, v10, vcc
	;; [unrolled: 3-line block ×8, first 2 shown]
.LBB172_188:                            ;   in Loop: Header=BB172_51 Depth=1
	s_or_b64 exec, exec, s[0:1]
	v_lshlrev_b32_e32 v6, 16, v6
	v_mul_f32_e32 v32, v41, v6
	v_and_b32_e32 v6, 0x7f800000, v32
	v_cmp_ne_u32_e32 vcc, s17, v6
                                        ; implicit-def: $vgpr6
	s_and_saveexec_b64 s[0:1], vcc
	s_xor_b64 s[0:1], exec, s[0:1]
; %bb.189:                              ;   in Loop: Header=BB172_51 Depth=1
	v_bfe_u32 v6, v32, 16, 1
	v_add3_u32 v6, v32, v6, s18
                                        ; implicit-def: $vgpr32
; %bb.190:                              ;   in Loop: Header=BB172_51 Depth=1
	s_andn2_saveexec_b64 s[0:1], s[0:1]
; %bb.191:                              ;   in Loop: Header=BB172_51 Depth=1
	v_or_b32_e32 v6, 0x10000, v32
	v_cmp_eq_u32_sdwa vcc, v32, v17 src0_sel:WORD_0 src1_sel:DWORD
	s_nop 1
	v_cndmask_b32_e32 v6, v6, v32, vcc
; %bb.192:                              ;   in Loop: Header=BB172_51 Depth=1
	s_or_b64 exec, exec, s[0:1]
	v_lshlrev_b32_e32 v10, 16, v10
	v_mul_f32_e32 v32, v42, v10
	v_and_b32_e32 v10, 0x7f800000, v32
	v_cmp_ne_u32_e32 vcc, s17, v10
                                        ; implicit-def: $vgpr10
	s_and_saveexec_b64 s[0:1], vcc
	s_xor_b64 s[0:1], exec, s[0:1]
; %bb.193:                              ;   in Loop: Header=BB172_51 Depth=1
	v_bfe_u32 v10, v32, 16, 1
	v_add3_u32 v10, v32, v10, s18
                                        ; implicit-def: $vgpr32
; %bb.194:                              ;   in Loop: Header=BB172_51 Depth=1
	s_andn2_saveexec_b64 s[0:1], s[0:1]
; %bb.195:                              ;   in Loop: Header=BB172_51 Depth=1
	v_or_b32_e32 v10, 0x10000, v32
	v_cmp_eq_u32_sdwa vcc, v32, v17 src0_sel:WORD_0 src1_sel:DWORD
	s_nop 1
	v_cndmask_b32_e32 v10, v10, v32, vcc
; %bb.196:                              ;   in Loop: Header=BB172_51 Depth=1
	s_or_b64 exec, exec, s[0:1]
	v_lshlrev_b32_e32 v7, 16, v7
	v_mul_f32_e32 v32, v43, v7
	v_and_b32_e32 v7, 0x7f800000, v32
	v_cmp_ne_u32_e32 vcc, s17, v7
                                        ; implicit-def: $vgpr7
	s_and_saveexec_b64 s[0:1], vcc
	s_xor_b64 s[0:1], exec, s[0:1]
; %bb.197:                              ;   in Loop: Header=BB172_51 Depth=1
	v_bfe_u32 v7, v32, 16, 1
	v_add3_u32 v7, v32, v7, s18
                                        ; implicit-def: $vgpr32
; %bb.198:                              ;   in Loop: Header=BB172_51 Depth=1
	s_andn2_saveexec_b64 s[0:1], s[0:1]
; %bb.199:                              ;   in Loop: Header=BB172_51 Depth=1
	v_or_b32_e32 v7, 0x10000, v32
	v_cmp_eq_u32_sdwa vcc, v32, v17 src0_sel:WORD_0 src1_sel:DWORD
	s_nop 1
	v_cndmask_b32_e32 v7, v7, v32, vcc
; %bb.200:                              ;   in Loop: Header=BB172_51 Depth=1
	s_or_b64 exec, exec, s[0:1]
	v_lshlrev_b32_e32 v32, 16, v66
	v_mul_f32_e32 v33, v44, v32
	v_and_b32_e32 v32, 0x7f800000, v33
	v_cmp_ne_u32_e32 vcc, s17, v32
                                        ; implicit-def: $vgpr32
	s_and_saveexec_b64 s[0:1], vcc
	s_xor_b64 s[0:1], exec, s[0:1]
; %bb.201:                              ;   in Loop: Header=BB172_51 Depth=1
	v_bfe_u32 v32, v33, 16, 1
	v_add3_u32 v32, v33, v32, s18
                                        ; implicit-def: $vgpr33
; %bb.202:                              ;   in Loop: Header=BB172_51 Depth=1
	s_andn2_saveexec_b64 s[0:1], s[0:1]
; %bb.203:                              ;   in Loop: Header=BB172_51 Depth=1
	v_or_b32_e32 v32, 0x10000, v33
	v_cmp_eq_u32_sdwa vcc, v33, v17 src0_sel:WORD_0 src1_sel:DWORD
	s_nop 1
	v_cndmask_b32_e32 v32, v32, v33, vcc
; %bb.204:                              ;   in Loop: Header=BB172_51 Depth=1
	s_or_b64 exec, exec, s[0:1]
	v_lshlrev_b32_e32 v8, 16, v8
	v_mul_f32_e32 v33, v45, v8
	v_and_b32_e32 v8, 0x7f800000, v33
	v_cmp_ne_u32_e32 vcc, s17, v8
                                        ; implicit-def: $vgpr8
	s_and_saveexec_b64 s[0:1], vcc
	s_xor_b64 s[0:1], exec, s[0:1]
; %bb.205:                              ;   in Loop: Header=BB172_51 Depth=1
	v_bfe_u32 v8, v33, 16, 1
	v_add3_u32 v8, v33, v8, s18
                                        ; implicit-def: $vgpr33
; %bb.206:                              ;   in Loop: Header=BB172_51 Depth=1
	s_andn2_saveexec_b64 s[0:1], s[0:1]
; %bb.207:                              ;   in Loop: Header=BB172_51 Depth=1
	v_or_b32_e32 v8, 0x10000, v33
	v_cmp_eq_u32_sdwa vcc, v33, v17 src0_sel:WORD_0 src1_sel:DWORD
	s_nop 1
	v_cndmask_b32_e32 v8, v8, v33, vcc
; %bb.208:                              ;   in Loop: Header=BB172_51 Depth=1
	s_or_b64 exec, exec, s[0:1]
	v_lshlrev_b32_e32 v33, 16, v65
	v_mul_f32_e32 v34, v46, v33
	v_and_b32_e32 v33, 0x7f800000, v34
	v_cmp_ne_u32_e32 vcc, s17, v33
                                        ; implicit-def: $vgpr33
	s_and_saveexec_b64 s[0:1], vcc
	s_xor_b64 s[0:1], exec, s[0:1]
; %bb.209:                              ;   in Loop: Header=BB172_51 Depth=1
	v_bfe_u32 v33, v34, 16, 1
	v_add3_u32 v33, v34, v33, s18
                                        ; implicit-def: $vgpr34
; %bb.210:                              ;   in Loop: Header=BB172_51 Depth=1
	s_andn2_saveexec_b64 s[0:1], s[0:1]
; %bb.211:                              ;   in Loop: Header=BB172_51 Depth=1
	v_or_b32_e32 v33, 0x10000, v34
	v_cmp_eq_u32_sdwa vcc, v34, v17 src0_sel:WORD_0 src1_sel:DWORD
	s_nop 1
	v_cndmask_b32_e32 v33, v33, v34, vcc
; %bb.212:                              ;   in Loop: Header=BB172_51 Depth=1
	s_or_b64 exec, exec, s[0:1]
	v_lshlrev_b32_e32 v9, 16, v9
	v_mul_f32_e32 v34, v47, v9
	v_and_b32_e32 v9, 0x7f800000, v34
	v_cmp_ne_u32_e32 vcc, s17, v9
                                        ; implicit-def: $vgpr9
	s_and_saveexec_b64 s[0:1], vcc
	s_xor_b64 s[0:1], exec, s[0:1]
; %bb.213:                              ;   in Loop: Header=BB172_51 Depth=1
	v_bfe_u32 v9, v34, 16, 1
	v_add3_u32 v9, v34, v9, s18
                                        ; implicit-def: $vgpr34
; %bb.214:                              ;   in Loop: Header=BB172_51 Depth=1
	s_andn2_saveexec_b64 s[0:1], s[0:1]
; %bb.215:                              ;   in Loop: Header=BB172_51 Depth=1
	v_or_b32_e32 v9, 0x10000, v34
	v_cmp_eq_u32_sdwa vcc, v34, v17 src0_sel:WORD_0 src1_sel:DWORD
	s_nop 1
	v_cndmask_b32_e32 v9, v9, v34, vcc
; %bb.216:                              ;   in Loop: Header=BB172_51 Depth=1
	s_or_b64 exec, exec, s[0:1]
	v_lshlrev_b32_e32 v11, 16, v11
	v_mul_f32_e32 v34, v48, v11
	v_and_b32_e32 v11, 0x7f800000, v34
	v_cmp_ne_u32_e32 vcc, s17, v11
                                        ; implicit-def: $vgpr11
	s_and_saveexec_b64 s[0:1], vcc
	s_xor_b64 s[0:1], exec, s[0:1]
; %bb.217:                              ;   in Loop: Header=BB172_51 Depth=1
	v_bfe_u32 v11, v34, 16, 1
	v_add3_u32 v11, v34, v11, s18
                                        ; implicit-def: $vgpr34
; %bb.218:                              ;   in Loop: Header=BB172_51 Depth=1
	s_andn2_saveexec_b64 s[0:1], s[0:1]
	s_cbranch_execz .LBB172_49
; %bb.219:                              ;   in Loop: Header=BB172_51 Depth=1
	v_or_b32_e32 v11, 0x10000, v34
	v_cmp_eq_u32_sdwa vcc, v34, v17 src0_sel:WORD_0 src1_sel:DWORD
	s_nop 1
	v_cndmask_b32_e32 v11, v11, v34, vcc
	s_branch .LBB172_49
.LBB172_220:
	s_or_b64 exec, exec, s[6:7]
.LBB172_221:
	s_or_b64 exec, exec, s[2:3]
	ds_bpermute_b32 v6, v23, v2
	ds_bpermute_b32 v7, v23, v3
	;; [unrolled: 1-line block ×4, first 2 shown]
	v_and_b32_e32 v1, 0x3c3, v0
	v_cmp_eq_u32_e32 vcc, 64, v1
	s_waitcnt lgkmcnt(2)
	v_pk_add_f32 v[2:3], v[2:3], v[6:7]
	ds_bpermute_b32 v6, v24, v2
	s_waitcnt lgkmcnt(1)
	v_pk_add_f32 v[8:9], v[4:5], v[8:9]
	ds_bpermute_b32 v7, v24, v3
	ds_bpermute_b32 v10, v24, v8
	;; [unrolled: 1-line block ×3, first 2 shown]
	s_waitcnt lgkmcnt(0)
	s_barrier
	v_pk_add_f32 v[4:5], v[2:3], v[6:7]
	v_pk_add_f32 v[2:3], v[8:9], v[10:11]
	s_and_saveexec_b64 s[0:1], vcc
	s_cbranch_execz .LBB172_223
; %bb.222:
	v_add_u32_e32 v1, 0x90, v22
	ds_write2_b32 v1, v4, v5 offset1:16
	ds_write2_b32 v1, v2, v3 offset0:32 offset1:48
.LBB172_223:
	s_or_b64 exec, exec, s[0:1]
	v_cmp_gt_u32_e32 vcc, 64, v0
	s_waitcnt lgkmcnt(0)
	s_barrier
	s_and_saveexec_b64 s[2:3], vcc
	s_cbranch_execz .LBB172_230
; %bb.224:
	v_cmp_eq_u32_e64 s[0:1], 0, v25
	v_lshrrev_b32_e32 v1, 2, v0
	s_and_saveexec_b64 s[6:7], s[0:1]
	s_cbranch_execnz .LBB172_250
; %bb.225:
	s_or_b64 exec, exec, s[6:7]
	s_and_saveexec_b64 s[6:7], s[0:1]
	s_cbranch_execnz .LBB172_251
.LBB172_226:
	s_or_b64 exec, exec, s[6:7]
	s_and_saveexec_b64 s[6:7], s[0:1]
	s_cbranch_execnz .LBB172_252
.LBB172_227:
	s_or_b64 exec, exec, s[6:7]
	s_and_saveexec_b64 s[6:7], s[0:1]
	s_cbranch_execz .LBB172_229
.LBB172_228:
	v_mov_b32_e32 v6, 0x90
	v_lshl_add_u32 v1, v1, 2, v6
	ds_read_b32 v1, v1 offset:192
	s_waitcnt lgkmcnt(0)
	v_add_f32_e32 v3, v3, v1
.LBB172_229:
	s_or_b64 exec, exec, s[6:7]
.LBB172_230:
	s_or_b64 exec, exec, s[2:3]
	s_barrier
	s_and_saveexec_b64 s[0:1], vcc
	s_cbranch_execz .LBB172_249
; %bb.231:
	v_cmp_eq_u32_e32 vcc, 0, v25
	s_and_b64 exec, exec, vcc
	s_cbranch_execz .LBB172_249
; %bb.232:
	s_mov_b32 s0, 0x7f800000
	v_and_b32_e32 v1, 0x7f800000, v4
	v_cmp_ne_u32_e32 vcc, s0, v1
                                        ; implicit-def: $vgpr6
	s_and_saveexec_b64 s[0:1], vcc
	s_xor_b64 s[0:1], exec, s[0:1]
; %bb.233:
	v_bfe_u32 v1, v4, 16, 1
	s_movk_i32 s2, 0x7fff
	v_add3_u32 v6, v4, v1, s2
; %bb.234:
	s_andn2_saveexec_b64 s[0:1], s[0:1]
; %bb.235:
	v_mov_b32_e32 v1, 0
	v_or_b32_e32 v6, 0x10000, v4
	v_cmp_eq_u32_sdwa vcc, v4, v1 src0_sel:WORD_0 src1_sel:DWORD
	s_nop 1
	v_cndmask_b32_e32 v6, v6, v4, vcc
; %bb.236:
	s_or_b64 exec, exec, s[0:1]
	s_mul_i32 s0, s12, s24
	s_mul_i32 s0, s0, s25
	s_lshl_b32 s0, s0, 6
	s_ashr_i32 s1, s0, 31
	s_lshl_b64 s[0:1], s[0:1], 1
	s_add_u32 s2, s28, s0
	s_mul_i32 s0, s12, s26
	s_addc_u32 s3, s29, s1
	s_ashr_i32 s1, s0, 31
	s_lshl_b64 s[0:1], s[0:1], 1
	s_add_u32 s2, s2, s0
	s_addc_u32 s3, s3, s1
	s_lshl_b32 s0, s4, 6
	s_ashr_i32 s1, s0, 31
	s_lshl_b64 s[0:1], s[0:1], 1
	s_add_u32 s0, s2, s0
	v_lshrrev_b32_e32 v0, 1, v0
	s_mov_b32 s2, 0x7f800000
	v_and_b32_e32 v4, 0x7f800000, v5
	s_addc_u32 s1, s3, s1
	v_and_b32_e32 v0, 0x1fe, v0
	v_mov_b32_e32 v1, 0
	v_cmp_ne_u32_e32 vcc, s2, v4
	global_store_short_d16_hi v0, v6, s[0:1]
                                        ; implicit-def: $vgpr4
	s_and_saveexec_b64 s[2:3], vcc
	s_xor_b64 s[2:3], exec, s[2:3]
; %bb.237:
	v_bfe_u32 v4, v5, 16, 1
	s_movk_i32 s4, 0x7fff
	v_add3_u32 v4, v5, v4, s4
; %bb.238:
	s_or_saveexec_b64 s[2:3], s[2:3]
	v_lshl_add_u64 v[6:7], s[0:1], 0, v[0:1]
	s_xor_b64 exec, exec, s[2:3]
; %bb.239:
	v_mov_b32_e32 v0, 0
	v_or_b32_e32 v1, 0x10000, v5
	v_cmp_eq_u32_sdwa vcc, v5, v0 src0_sel:WORD_0 src1_sel:DWORD
	s_nop 1
	v_cndmask_b32_e32 v4, v1, v5, vcc
; %bb.240:
	s_or_b64 exec, exec, s[2:3]
	s_mov_b32 s0, 0x7f800000
	v_and_b32_e32 v0, 0x7f800000, v2
	v_cmp_ne_u32_e32 vcc, s0, v0
	global_store_short_d16_hi v[6:7], v4, off offset:32
                                        ; implicit-def: $vgpr0
	s_and_saveexec_b64 s[0:1], vcc
	s_xor_b64 s[0:1], exec, s[0:1]
; %bb.241:
	v_bfe_u32 v0, v2, 16, 1
	s_movk_i32 s2, 0x7fff
	v_add3_u32 v0, v2, v0, s2
; %bb.242:
	s_andn2_saveexec_b64 s[0:1], s[0:1]
; %bb.243:
	v_mov_b32_e32 v0, 0
	v_or_b32_e32 v1, 0x10000, v2
	v_cmp_eq_u32_sdwa vcc, v2, v0 src0_sel:WORD_0 src1_sel:DWORD
	s_nop 1
	v_cndmask_b32_e32 v0, v1, v2, vcc
; %bb.244:
	s_or_b64 exec, exec, s[0:1]
	global_store_short_d16_hi v[6:7], v0, off offset:64
	s_mov_b32 s0, 0x7f800000
	v_and_b32_e32 v0, 0x7f800000, v3
	v_cmp_ne_u32_e32 vcc, s0, v0
                                        ; implicit-def: $vgpr4
	s_and_saveexec_b64 s[0:1], vcc
	s_xor_b64 s[0:1], exec, s[0:1]
; %bb.245:
	v_bfe_u32 v0, v3, 16, 1
	s_movk_i32 s2, 0x7fff
	v_add3_u32 v4, v3, v0, s2
                                        ; implicit-def: $vgpr0_vgpr1_vgpr2_vgpr3
; %bb.246:
	s_andn2_saveexec_b64 s[0:1], s[0:1]
; %bb.247:
	v_mov_b32_e32 v0, 0
	v_or_b32_e32 v1, 0x10000, v3
	v_cmp_eq_u32_sdwa vcc, v3, v0 src0_sel:WORD_0 src1_sel:DWORD
	s_nop 1
	v_cndmask_b32_e32 v4, v1, v3, vcc
; %bb.248:
	s_or_b64 exec, exec, s[0:1]
	global_store_short_d16_hi v[6:7], v4, off offset:96
.LBB172_249:
	s_endpgm
.LBB172_250:
	v_mov_b32_e32 v6, 0x90
	v_lshl_add_u32 v6, v1, 2, v6
	ds_read_b32 v6, v6
	s_waitcnt lgkmcnt(0)
	v_add_f32_e32 v4, v4, v6
	s_or_b64 exec, exec, s[6:7]
	s_and_saveexec_b64 s[6:7], s[0:1]
	s_cbranch_execz .LBB172_226
.LBB172_251:
	v_mov_b32_e32 v6, 0x90
	v_lshl_add_u32 v6, v1, 2, v6
	ds_read_b32 v6, v6 offset:64
	s_waitcnt lgkmcnt(0)
	v_add_f32_e32 v5, v5, v6
	s_or_b64 exec, exec, s[6:7]
	s_and_saveexec_b64 s[6:7], s[0:1]
	s_cbranch_execz .LBB172_227
.LBB172_252:
	v_mov_b32_e32 v6, 0x90
	v_lshl_add_u32 v6, v1, 2, v6
	ds_read_b32 v6, v6 offset:128
	s_waitcnt lgkmcnt(0)
	v_add_f32_e32 v2, v2, v6
	s_or_b64 exec, exec, s[6:7]
	s_and_saveexec_b64 s[6:7], s[0:1]
	s_cbranch_execnz .LBB172_228
	s_branch .LBB172_229
	.section	.rodata,"a",@progbits
	.p2align	6, 0x0
	.amdhsa_kernel _ZN4vllm25paged_attention_v2_kernelI14__hip_bfloat16S1_Li64ELi32ELi128ELNS_18Fp8KVCacheDataTypeE0ELb1ELi512EEEvPfS3_PT_PKS4_PKT0_SA_ifPKiSC_iPKfiiiSE_SE_iiiii
		.amdhsa_group_segment_fixed_size 144
		.amdhsa_private_segment_fixed_size 0
		.amdhsa_kernarg_size 400
		.amdhsa_user_sgpr_count 2
		.amdhsa_user_sgpr_dispatch_ptr 0
		.amdhsa_user_sgpr_queue_ptr 0
		.amdhsa_user_sgpr_kernarg_segment_ptr 1
		.amdhsa_user_sgpr_dispatch_id 0
		.amdhsa_user_sgpr_kernarg_preload_length 0
		.amdhsa_user_sgpr_kernarg_preload_offset 0
		.amdhsa_user_sgpr_private_segment_size 0
		.amdhsa_uses_dynamic_stack 0
		.amdhsa_enable_private_segment 0
		.amdhsa_system_sgpr_workgroup_id_x 1
		.amdhsa_system_sgpr_workgroup_id_y 1
		.amdhsa_system_sgpr_workgroup_id_z 1
		.amdhsa_system_sgpr_workgroup_info 0
		.amdhsa_system_vgpr_workitem_id 0
		.amdhsa_next_free_vgpr 88
		.amdhsa_next_free_sgpr 52
		.amdhsa_accum_offset 88
		.amdhsa_reserve_vcc 1
		.amdhsa_float_round_mode_32 0
		.amdhsa_float_round_mode_16_64 0
		.amdhsa_float_denorm_mode_32 3
		.amdhsa_float_denorm_mode_16_64 3
		.amdhsa_dx10_clamp 1
		.amdhsa_ieee_mode 1
		.amdhsa_fp16_overflow 0
		.amdhsa_tg_split 0
		.amdhsa_exception_fp_ieee_invalid_op 0
		.amdhsa_exception_fp_denorm_src 0
		.amdhsa_exception_fp_ieee_div_zero 0
		.amdhsa_exception_fp_ieee_overflow 0
		.amdhsa_exception_fp_ieee_underflow 0
		.amdhsa_exception_fp_ieee_inexact 0
		.amdhsa_exception_int_div_zero 0
	.end_amdhsa_kernel
	.section	.text._ZN4vllm25paged_attention_v2_kernelI14__hip_bfloat16S1_Li64ELi32ELi128ELNS_18Fp8KVCacheDataTypeE0ELb1ELi512EEEvPfS3_PT_PKS4_PKT0_SA_ifPKiSC_iPKfiiiSE_SE_iiiii,"axG",@progbits,_ZN4vllm25paged_attention_v2_kernelI14__hip_bfloat16S1_Li64ELi32ELi128ELNS_18Fp8KVCacheDataTypeE0ELb1ELi512EEEvPfS3_PT_PKS4_PKT0_SA_ifPKiSC_iPKfiiiSE_SE_iiiii,comdat
.Lfunc_end172:
	.size	_ZN4vllm25paged_attention_v2_kernelI14__hip_bfloat16S1_Li64ELi32ELi128ELNS_18Fp8KVCacheDataTypeE0ELb1ELi512EEEvPfS3_PT_PKS4_PKT0_SA_ifPKiSC_iPKfiiiSE_SE_iiiii, .Lfunc_end172-_ZN4vllm25paged_attention_v2_kernelI14__hip_bfloat16S1_Li64ELi32ELi128ELNS_18Fp8KVCacheDataTypeE0ELb1ELi512EEEvPfS3_PT_PKS4_PKT0_SA_ifPKiSC_iPKfiiiSE_SE_iiiii
                                        ; -- End function
	.section	.AMDGPU.csdata,"",@progbits
; Kernel info:
; codeLenInByte = 9480
; NumSgprs: 58
; NumVgprs: 88
; NumAgprs: 0
; TotalNumVgprs: 88
; ScratchSize: 0
; MemoryBound: 0
; FloatMode: 240
; IeeeMode: 1
; LDSByteSize: 144 bytes/workgroup (compile time only)
; SGPRBlocks: 7
; VGPRBlocks: 10
; NumSGPRsForWavesPerEU: 58
; NumVGPRsForWavesPerEU: 88
; AccumOffset: 88
; Occupancy: 5
; WaveLimiterHint : 1
; COMPUTE_PGM_RSRC2:SCRATCH_EN: 0
; COMPUTE_PGM_RSRC2:USER_SGPR: 2
; COMPUTE_PGM_RSRC2:TRAP_HANDLER: 0
; COMPUTE_PGM_RSRC2:TGID_X_EN: 1
; COMPUTE_PGM_RSRC2:TGID_Y_EN: 1
; COMPUTE_PGM_RSRC2:TGID_Z_EN: 1
; COMPUTE_PGM_RSRC2:TIDIG_COMP_CNT: 0
; COMPUTE_PGM_RSRC3_GFX90A:ACCUM_OFFSET: 21
; COMPUTE_PGM_RSRC3_GFX90A:TG_SPLIT: 0
	.section	.text._ZN4vllm25paged_attention_v2_kernelI14__hip_bfloat16S1_Li80ELi32ELi128ELNS_18Fp8KVCacheDataTypeE0ELb1ELi512EEEvPfS3_PT_PKS4_PKT0_SA_ifPKiSC_iPKfiiiSE_SE_iiiii,"axG",@progbits,_ZN4vllm25paged_attention_v2_kernelI14__hip_bfloat16S1_Li80ELi32ELi128ELNS_18Fp8KVCacheDataTypeE0ELb1ELi512EEEvPfS3_PT_PKS4_PKT0_SA_ifPKiSC_iPKfiiiSE_SE_iiiii,comdat
	.protected	_ZN4vllm25paged_attention_v2_kernelI14__hip_bfloat16S1_Li80ELi32ELi128ELNS_18Fp8KVCacheDataTypeE0ELb1ELi512EEEvPfS3_PT_PKS4_PKT0_SA_ifPKiSC_iPKfiiiSE_SE_iiiii ; -- Begin function _ZN4vllm25paged_attention_v2_kernelI14__hip_bfloat16S1_Li80ELi32ELi128ELNS_18Fp8KVCacheDataTypeE0ELb1ELi512EEEvPfS3_PT_PKS4_PKT0_SA_ifPKiSC_iPKfiiiSE_SE_iiiii
	.globl	_ZN4vllm25paged_attention_v2_kernelI14__hip_bfloat16S1_Li80ELi32ELi128ELNS_18Fp8KVCacheDataTypeE0ELb1ELi512EEEvPfS3_PT_PKS4_PKT0_SA_ifPKiSC_iPKfiiiSE_SE_iiiii
	.p2align	8
	.type	_ZN4vllm25paged_attention_v2_kernelI14__hip_bfloat16S1_Li80ELi32ELi128ELNS_18Fp8KVCacheDataTypeE0ELb1ELi512EEEvPfS3_PT_PKS4_PKT0_SA_ifPKiSC_iPKfiiiSE_SE_iiiii,@function
_ZN4vllm25paged_attention_v2_kernelI14__hip_bfloat16S1_Li80ELi32ELi128ELNS_18Fp8KVCacheDataTypeE0ELb1ELi512EEEvPfS3_PT_PKS4_PKT0_SA_ifPKiSC_iPKfiiiSE_SE_iiiii: ; @_ZN4vllm25paged_attention_v2_kernelI14__hip_bfloat16S1_Li80ELi32ELi128ELNS_18Fp8KVCacheDataTypeE0ELb1ELi512EEEvPfS3_PT_PKS4_PKT0_SA_ifPKiSC_iPKfiiiSE_SE_iiiii
; %bb.0:
	s_load_dwordx2 s[6:7], s[0:1], 0x40
	s_mov_b32 s24, s3
	s_ashr_i32 s25, s3, 31
	s_lshl_b64 s[8:9], s[24:25], 2
	s_waitcnt lgkmcnt(0)
	s_add_u32 s6, s6, s8
	s_addc_u32 s7, s7, s9
	s_load_dword s33, s[6:7], 0x0
	s_lshl_b32 s5, s4, 9
	s_waitcnt lgkmcnt(0)
	s_cmp_ge_i32 s5, s33
	s_cbranch_scc1 .LBB173_288
; %bb.1:
	s_load_dword s25, s[0:1], 0x90
	s_load_dwordx2 s[38:39], s[0:1], 0x30
	s_waitcnt lgkmcnt(0)
	s_abs_i32 s7, s25
	s_abs_i32 s3, s38
	v_cvt_f32_u32_e32 v1, s3
	s_sub_i32 s8, 0, s3
	s_xor_b32 s6, s25, s38
	s_ashr_i32 s6, s6, 31
	v_rcp_iflag_f32_e32 v1, v1
	s_nop 0
	v_mul_f32_e32 v1, 0x4f7ffffe, v1
	v_cvt_u32_f32_e32 v1, v1
	s_nop 0
	v_readfirstlane_b32 s9, v1
	s_mul_i32 s8, s8, s9
	s_mul_hi_u32 s8, s9, s8
	s_add_i32 s9, s9, s8
	s_mul_hi_u32 s8, s7, s9
	s_mul_i32 s9, s8, s3
	s_sub_i32 s7, s7, s9
	s_add_i32 s10, s8, 1
	s_sub_i32 s9, s7, s3
	s_cmp_ge_u32 s7, s3
	s_cselect_b32 s8, s10, s8
	s_cselect_b32 s7, s9, s7
	s_add_i32 s9, s8, 1
	s_cmp_ge_u32 s7, s3
	s_cselect_b32 s3, s9, s8
	s_xor_b32 s3, s3, s6
	s_sub_i32 s12, s3, s6
	s_abs_i32 s8, s12
	v_cvt_f32_u32_e32 v1, s8
	s_load_dwordx2 s[6:7], s[0:1], 0x50
	s_sub_i32 s10, 0, s8
	s_abs_i32 s9, s2
	v_rcp_iflag_f32_e32 v1, v1
	s_mov_b32 s3, 0
	v_mul_f32_e32 v1, 0x4f7ffffe, v1
	v_cvt_u32_f32_e32 v1, v1
	s_nop 0
	v_readfirstlane_b32 s11, v1
	s_mul_i32 s10, s10, s11
	s_mul_hi_u32 s10, s11, s10
	s_add_i32 s11, s11, s10
	s_waitcnt lgkmcnt(0)
	s_cmp_eq_u64 s[6:7], 0
	s_mul_hi_u32 s10, s9, s11
	s_cbranch_scc1 .LBB173_3
; %bb.2:
	s_ashr_i32 s3, s2, 31
	s_lshl_b64 s[14:15], s[2:3], 2
	s_add_u32 s6, s6, s14
	s_addc_u32 s7, s7, s15
	s_load_dword s3, s[6:7], 0x0
.LBB173_3:
	s_ashr_i32 s16, s12, 31
	s_load_dwordx4 s[12:15], s[0:1], 0x58
	s_ashr_i32 s11, s2, 31
	v_and_b32_e32 v4, 1, v0
	s_waitcnt lgkmcnt(0)
	s_movk_i32 s15, 0x50
	s_mul_i32 s26, s2, 0x50
	v_cmp_gt_u32_e32 vcc, 20, v0
	v_lshlrev_b32_e32 v16, 3, v0
	s_and_saveexec_b64 s[6:7], vcc
	s_cbranch_execz .LBB173_5
; %bb.4:
	s_load_dwordx2 s[18:19], s[0:1], 0x18
	s_mul_i32 s20, s24, s12
	s_ashr_i32 s21, s20, 31
	s_lshl_b64 s[20:21], s[20:21], 1
	v_lshlrev_b32_e32 v1, 2, v0
	s_waitcnt lgkmcnt(0)
	s_add_u32 s12, s18, s20
	s_addc_u32 s17, s19, s21
	s_ashr_i32 s27, s26, 31
	s_lshl_b64 s[18:19], s[26:27], 1
	s_add_u32 s18, s12, s18
	s_addc_u32 s19, s17, s19
	global_load_dwordx2 v[2:3], v16, s[18:19]
	v_and_b32_e32 v1, 0xff8, v1
	v_mad_u32_u24 v1, v4, s15, v1
	s_waitcnt vmcnt(0)
	ds_write_b64 v1, v[2:3]
.LBB173_5:
	s_or_b64 exec, exec, s[6:7]
	s_mul_i32 s7, s10, s8
	s_sub_i32 s7, s9, s7
	s_xor_b32 s6, s11, s16
	s_add_i32 s9, s10, 1
	s_sub_i32 s11, s7, s8
	s_load_dwordx4 s[16:19], s[0:1], 0x78
	s_cmp_ge_u32 s7, s8
	s_cselect_b32 s9, s9, s10
	s_cselect_b32 s7, s11, s7
	s_load_dword s11, s[0:1], 0x88
	s_add_i32 s10, s9, 1
	s_cmp_ge_u32 s7, s8
	s_cselect_b32 s7, s10, s9
	s_waitcnt lgkmcnt(0)
	s_abs_i32 s27, s19
	v_cvt_f32_u32_e32 v1, s27
	s_xor_b32 s7, s7, s6
	s_sub_i32 s10, s7, s6
	s_sub_i32 s6, 0, s27
	v_rcp_iflag_f32_e32 v1, v1
	s_add_i32 s12, s33, -1
	s_abs_i32 s8, s12
	v_mul_f32_e32 v1, 0x4f7ffffe, v1
	v_cvt_u32_f32_e32 v1, v1
	s_barrier
	v_readfirstlane_b32 s46, v1
	s_mul_i32 s6, s6, s46
	s_mul_hi_u32 s6, s46, s6
	s_add_i32 s46, s46, s6
	s_cmp_lt_i32 s11, 0
	s_mul_hi_u32 s9, s8, s46
	s_cbranch_scc0 .LBB173_7
; %bb.6:
	s_mul_i32 s6, s16, s38
	s_add_i32 s6, s10, s6
	s_mul_i32 s6, s6, s11
	s_sub_i32 s47, 1, s6
	s_mov_b64 s[6:7], 0
	s_branch .LBB173_8
.LBB173_7:
	s_mov_b64 s[6:7], -1
                                        ; implicit-def: $sgpr47
.LBB173_8:
	s_load_dwordx2 s[30:31], s[0:1], 0x38
	s_ashr_i32 s12, s12, 31
	s_andn2_b64 vcc, exec, s[6:7]
	s_ashr_i32 s19, s19, 31
	s_cbranch_vccnz .LBB173_10
; %bb.9:
	s_mul_i32 s6, s25, s16
	s_add_i32 s6, s6, s2
	s_mul_i32 s6, s6, s11
	s_add_i32 s47, s6, 1
.LBB173_10:
	s_load_dword s6, s[0:1], 0x48
	s_load_dwordx2 s[36:37], s[0:1], 0x28
	s_load_dword s16, s[0:1], 0x98
	s_load_dwordx4 s[20:23], s[0:1], 0x0
	s_load_dwordx2 s[28:29], s[0:1], 0x10
	s_mul_i32 s7, s9, s27
	s_waitcnt lgkmcnt(0)
	s_mul_i32 s34, s24, s6
	s_sub_i32 s7, s8, s7
	s_ashr_i32 s35, s34, 31
	s_xor_b32 s6, s12, s19
	s_add_i32 s8, s9, 1
	s_sub_i32 s11, s7, s27
	s_cmp_ge_u32 s7, s27
	s_cselect_b32 s8, s8, s9
	s_cselect_b32 s7, s11, s7
	s_add_i32 s9, s8, 1
	s_cmp_ge_u32 s7, s27
	s_cselect_b32 s7, s9, s8
	s_xor_b32 s7, s7, s6
	s_sub_i32 s49, s7, s6
	s_add_i32 s6, s33, 31
	s_ashr_i32 s7, s6, 31
	s_lshr_b32 s7, s7, 27
	s_add_i32 s6, s6, s7
	s_lshl_b32 s38, s4, 4
	s_ashr_i32 s12, s6, 5
	s_add_i32 s6, s38, 16
	v_lshrrev_b32_e32 v20, 6, v0
	s_min_i32 s48, s6, s12
	v_or_b32_e32 v10, s38, v20
	v_cmp_gt_i32_e64 s[8:9], s48, v10
	v_mov_b32_e32 v21, 0xff7fffff
	s_mul_i32 s14, s10, s14
	v_ashrrev_i32_e32 v11, 31, v10
	v_lshl_add_u32 v1, v20, 5, s5
	v_mbcnt_lo_u32_b32 v17, -1, 0
	s_and_saveexec_b64 s[40:41], s[8:9]
	s_cbranch_execz .LBB173_20
; %bb.11:
	s_load_dwordx2 s[0:1], s[0:1], 0x20
	s_ashr_i32 s15, s14, 31
	s_sub_i32 s50, s49, s17
	s_lshl_b64 s[6:7], s[14:15], 1
	v_bfe_u32 v18, v0, 1, 5
	s_waitcnt lgkmcnt(0)
	s_add_u32 s0, s0, s6
	s_addc_u32 s1, s1, s7
	s_abs_i32 s15, s18
	v_cvt_f32_u32_e32 v5, s15
	v_lshlrev_b32_e32 v2, 4, v18
	v_mov_b32_e32 v3, 0
	v_lshl_add_u64 v[6:7], s[0:1], 0, v[2:3]
	v_rcp_iflag_f32_e32 v5, v5
	v_and_b32_e32 v2, 8, v16
	v_lshl_add_u64 v[2:3], v[6:7], 0, v[2:3]
	s_sub_i32 s0, 0, s15
	v_mul_f32_e32 v5, 0x4f7ffffe, v5
	v_cvt_u32_f32_e32 v5, v5
	v_lshlrev_b32_e32 v6, 2, v18
	v_cmp_eq_u32_e32 vcc, 0, v4
	v_mul_u32_u24_e32 v19, 0x50, v4
	v_mul_lo_u32 v4, s0, v5
	s_lshl_b64 s[0:1], s[34:35], 2
	v_lshl_or_b32 v6, v20, 7, v6
	s_add_u32 s0, s30, s0
	v_add_u32_e32 v24, 0xb0, v6
	v_subrev_u32_e32 v6, s33, v18
	v_mbcnt_hi_u32_b32 v27, -1, v17
	v_mul_hi_u32 v4, v5, v4
	s_addc_u32 s1, s31, s1
	v_add_u32_e32 v25, 1, v6
	v_and_b32_e32 v6, 64, v27
	s_mov_b32 s51, s13
	v_cmp_neq_f32_e64 s[6:7], s3, 0
	v_add_u32_e32 v22, v5, v4
	v_lshl_add_u64 v[4:5], v[10:11], 2, s[0:1]
	v_lshl_add_u32 v23, v20, 5, s5
	s_mov_b64 s[42:43], 0
	v_mov_b32_e32 v26, 0xff7fffff
	s_movk_i32 s52, 0x1000
	v_xor_b32_e32 v28, 1, v27
	v_add_u32_e32 v29, 64, v6
	v_mov_b32_e32 v21, 0xff7fffff
	v_mov_b32_e32 v30, v10
	s_branch .LBB173_14
.LBB173_12:                             ;   in Loop: Header=BB173_14 Depth=1
	s_or_b64 exec, exec, s[44:45]
.LBB173_13:                             ;   in Loop: Header=BB173_14 Depth=1
	s_or_b64 exec, exec, s[10:11]
	v_add_u32_e32 v30, 2, v30
	v_cmp_le_i32_e64 s[0:1], s48, v30
	v_lshl_add_u64 v[4:5], v[4:5], 0, 8
	v_add_u32_e32 v23, 64, v23
	s_or_b64 s[42:43], s[0:1], s[42:43]
	v_add_u32_e32 v24, 0x100, v24
	s_andn2_b64 exec, exec, s[42:43]
	s_cbranch_execz .LBB173_19
.LBB173_14:                             ; =>This Inner Loop Header: Depth=1
	s_waitcnt lgkmcnt(0)
	v_sub_u32_e32 v7, 0, v23
	v_max_i32_e32 v7, v23, v7
	v_mul_hi_u32 v8, v7, s46
	v_mul_lo_u32 v9, v8, s27
	v_sub_u32_e32 v7, v7, v9
	v_add_u32_e32 v9, 1, v8
	v_cmp_le_u32_e64 s[0:1], s27, v7
	v_ashrrev_i32_e32 v6, 31, v23
	v_xor_b32_e32 v6, s19, v6
	v_cndmask_b32_e64 v8, v8, v9, s[0:1]
	v_subrev_u32_e32 v9, s27, v7
	v_cndmask_b32_e64 v7, v7, v9, s[0:1]
	v_add_u32_e32 v9, 1, v8
	v_cmp_le_u32_e64 s[0:1], s27, v7
	s_nop 1
	v_cndmask_b32_e64 v7, v8, v9, s[0:1]
	v_xor_b32_e32 v7, v7, v6
	v_sub_u32_e32 v6, v7, v6
	v_add_u32_e32 v7, s47, v6
	v_sub_u32_e32 v9, 0, v7
	v_ashrrev_i32_e32 v8, 31, v7
	v_max_i32_e32 v7, v7, v9
	v_mul_hi_u32 v9, v7, v22
	v_mul_lo_u32 v9, v9, s15
	v_sub_u32_e32 v7, v7, v9
	v_subrev_u32_e32 v9, s15, v7
	v_cmp_le_u32_e64 s[0:1], s15, v7
	v_cmp_ge_i32_e64 s[10:11], s50, v6
	s_nop 0
	v_cndmask_b32_e64 v7, v7, v9, s[0:1]
	v_subrev_u32_e32 v9, s15, v7
	v_cmp_le_u32_e64 s[0:1], s15, v7
	s_nop 1
	v_cndmask_b32_e64 v7, v7, v9, s[0:1]
	v_xor_b32_e32 v7, v7, v8
	v_sub_u32_e32 v7, v7, v8
	v_cmp_ne_u32_e64 s[0:1], 0, v7
	s_and_b64 s[0:1], s[0:1], s[10:11]
	s_and_b64 s[44:45], vcc, s[0:1]
	s_and_saveexec_b64 s[10:11], s[44:45]
	s_cbranch_execz .LBB173_16
; %bb.15:                               ;   in Loop: Header=BB173_14 Depth=1
	ds_write_b32 v24, v26
.LBB173_16:                             ;   in Loop: Header=BB173_14 Depth=1
	s_or_b64 exec, exec, s[10:11]
	s_xor_b64 s[0:1], s[0:1], -1
	s_and_saveexec_b64 s[10:11], s[0:1]
	s_cbranch_execz .LBB173_13
; %bb.17:                               ;   in Loop: Header=BB173_14 Depth=1
	global_load_dword v6, v[4:5], off
	s_waitcnt vmcnt(0)
	v_mad_i64_i32 v[6:7], s[0:1], v6, s51, 0
	v_lshl_add_u64 v[6:7], v[6:7], 1, v[2:3]
	global_load_dwordx2 v[12:13], v[6:7], off
	global_load_dwordx2 v[8:9], v[6:7], off offset:512
	global_load_dwordx2 v[52:53], v[6:7], off offset:1024
	;; [unrolled: 1-line block ×6, first 2 shown]
	ds_read_b128 v[32:35], v19
	ds_read_b128 v[36:39], v19 offset:16
	ds_read_b128 v[40:43], v19 offset:32
	;; [unrolled: 1-line block ×4, first 2 shown]
	s_waitcnt lgkmcnt(4)
	v_lshlrev_b32_e32 v31, 16, v32
	v_and_b32_e32 v79, 0xffff0000, v32
	v_add_co_u32_e64 v32, s[0:1], s52, v6
	v_lshlrev_b32_e32 v60, 16, v33
	v_lshlrev_b32_e32 v61, 16, v34
	v_and_b32_e32 v80, 0xffff0000, v33
	v_and_b32_e32 v34, 0xffff0000, v34
	v_addc_co_u32_e64 v33, s[0:1], 0, v7, s[0:1]
	global_load_dwordx2 v[6:7], v[6:7], off offset:3584
	v_lshlrev_b32_e32 v62, 16, v35
	s_waitcnt lgkmcnt(3)
	v_lshlrev_b32_e32 v63, 16, v36
	v_and_b32_e32 v35, 0xffff0000, v35
	v_and_b32_e32 v36, 0xffff0000, v36
	v_lshlrev_b32_e32 v64, 16, v37
	v_lshlrev_b32_e32 v65, 16, v38
	v_and_b32_e32 v38, 0xffff0000, v38
	v_lshlrev_b32_e32 v66, 16, v39
	s_waitcnt lgkmcnt(2)
	v_lshlrev_b32_e32 v67, 16, v40
	v_and_b32_e32 v37, 0xffff0000, v37
	v_and_b32_e32 v40, 0xffff0000, v40
	v_lshlrev_b32_e32 v68, 16, v41
	v_lshlrev_b32_e32 v69, 16, v42
	v_and_b32_e32 v39, 0xffff0000, v39
	v_and_b32_e32 v42, 0xffff0000, v42
	v_lshlrev_b32_e32 v70, 16, v43
	s_waitcnt lgkmcnt(1)
	v_lshlrev_b32_e32 v71, 16, v44
	v_and_b32_e32 v41, 0xffff0000, v41
	v_and_b32_e32 v44, 0xffff0000, v44
	v_lshlrev_b32_e32 v72, 16, v45
	v_lshlrev_b32_e32 v73, 16, v46
	v_and_b32_e32 v43, 0xffff0000, v43
	;; [unrolled: 9-line block ×3, first 2 shown]
	v_and_b32_e32 v50, 0xffff0000, v50
	v_lshlrev_b32_e32 v78, 16, v51
	v_and_b32_e32 v49, 0xffff0000, v49
	v_and_b32_e32 v51, 0xffff0000, v51
	v_cmp_lt_i32_e64 s[0:1], v28, v29
	s_waitcnt vmcnt(7)
	v_lshlrev_b32_e32 v82, 16, v13
	v_and_b32_e32 v83, 0xffff0000, v13
	s_waitcnt vmcnt(6)
	v_lshlrev_b32_e32 v13, 16, v8
	v_and_b32_e32 v8, 0xffff0000, v8
	v_lshlrev_b32_e32 v81, 16, v12
	v_and_b32_e32 v12, 0xffff0000, v12
	v_mul_f32_e32 v34, v34, v8
	v_lshlrev_b32_e32 v84, 16, v9
	v_and_b32_e32 v85, 0xffff0000, v9
	v_mul_f32_e32 v61, v61, v13
	v_fmac_f32_e32 v34, v79, v12
	global_load_dwordx2 v[8:9], v[32:33], off
	global_load_dwordx2 v[12:13], v[32:33], off offset:512
	s_waitcnt vmcnt(7)
	v_lshlrev_b32_e32 v86, 16, v52
	v_and_b32_e32 v52, 0xffff0000, v52
	v_fmac_f32_e32 v61, v31, v81
	v_mul_f32_e32 v32, v62, v84
	v_lshlrev_b32_e32 v87, 16, v53
	s_waitcnt vmcnt(6)
	v_lshlrev_b32_e32 v88, 16, v54
	v_and_b32_e32 v54, 0xffff0000, v54
	v_fmac_f32_e32 v32, v60, v82
	v_mul_f32_e32 v35, v35, v85
	v_fmac_f32_e32 v61, v63, v86
	v_fmac_f32_e32 v34, v36, v52
	v_and_b32_e32 v53, 0xffff0000, v53
	v_lshlrev_b32_e32 v89, 16, v55
	s_waitcnt vmcnt(5)
	v_lshlrev_b32_e32 v90, 16, v56
	v_and_b32_e32 v56, 0xffff0000, v56
	v_fmac_f32_e32 v35, v80, v83
	v_fmac_f32_e32 v32, v64, v87
	v_fmac_f32_e32 v61, v65, v88
	v_fmac_f32_e32 v34, v38, v54
	v_and_b32_e32 v55, 0xffff0000, v55
	v_lshlrev_b32_e32 v91, 16, v57
	s_waitcnt vmcnt(4)
	v_lshlrev_b32_e32 v92, 16, v58
	v_and_b32_e32 v31, 0xffff0000, v58
	v_fmac_f32_e32 v35, v37, v53
	v_fmac_f32_e32 v32, v66, v89
	;; [unrolled: 9-line block ×4, first 2 shown]
	v_fmac_f32_e32 v61, v71, v81
	v_fmac_f32_e32 v34, v44, v14
	v_and_b32_e32 v15, 0xffff0000, v15
	v_lshlrev_b32_e32 v60, 16, v7
	v_fmac_f32_e32 v35, v43, v59
	v_fmac_f32_e32 v32, v72, v93
	;; [unrolled: 1-line block ×4, first 2 shown]
	v_and_b32_e32 v7, 0xffff0000, v7
	v_fmac_f32_e32 v35, v45, v15
	v_fmac_f32_e32 v32, v74, v60
	;; [unrolled: 1-line block ×3, first 2 shown]
	v_cndmask_b32_e64 v62, v27, v28, s[0:1]
	v_lshlrev_b32_e32 v62, 2, v62
	s_waitcnt vmcnt(1)
	v_lshlrev_b32_e32 v79, 16, v8
	v_and_b32_e32 v8, 0xffff0000, v8
	v_lshlrev_b32_e32 v80, 16, v9
	s_waitcnt vmcnt(0)
	v_lshlrev_b32_e32 v82, 16, v12
	v_and_b32_e32 v12, 0xffff0000, v12
	v_fmac_f32_e32 v61, v75, v79
	v_fmac_f32_e32 v34, v48, v8
	v_and_b32_e32 v9, 0xffff0000, v9
	v_lshlrev_b32_e32 v63, 16, v13
	v_fmac_f32_e32 v32, v76, v80
	v_fmac_f32_e32 v61, v77, v82
	;; [unrolled: 1-line block ×3, first 2 shown]
	v_and_b32_e32 v13, 0xffff0000, v13
	v_fmac_f32_e32 v35, v49, v9
	v_fmac_f32_e32 v32, v78, v63
	v_add_f32_e32 v6, v61, v34
	v_fmac_f32_e32 v35, v51, v13
	v_add_f32_e32 v6, v6, v32
	v_add_f32_e32 v6, v35, v6
	ds_bpermute_b32 v7, v62, v6
	s_and_saveexec_b64 s[44:45], vcc
	s_cbranch_execz .LBB173_12
; %bb.18:                               ;   in Loop: Header=BB173_14 Depth=1
	v_add_u32_e32 v8, v25, v23
	v_cvt_f32_i32_e32 v8, v8
	s_waitcnt lgkmcnt(0)
	v_add_f32_e32 v6, v6, v7
	v_add_u32_e32 v9, v18, v23
	v_cmp_gt_i32_e64 s[0:1], s33, v9
	v_mul_f32_e32 v7, s3, v8
	v_cndmask_b32_e64 v7, 0, v7, s[6:7]
	v_fmac_f32_e32 v7, s39, v6
	v_cndmask_b32_e64 v6, 0, v7, s[0:1]
	ds_write_b32 v24, v6
	v_max_f32_e32 v6, v21, v21
	v_max_f32_e32 v6, v6, v7
	v_cndmask_b32_e64 v21, v21, v6, s[0:1]
	s_branch .LBB173_12
.LBB173_19:
	s_or_b64 exec, exec, s[42:43]
.LBB173_20:
	s_or_b64 exec, exec, s[40:41]
	v_mbcnt_hi_u32_b32 v4, -1, v17
	v_and_b32_e32 v2, 64, v4
	v_add_u32_e32 v9, 64, v2
	v_xor_b32_e32 v2, 32, v4
	v_cmp_lt_i32_e32 vcc, v2, v9
	v_xor_b32_e32 v6, 16, v4
	v_max_f32_e32 v5, v21, v21
	v_cndmask_b32_e32 v2, v4, v2, vcc
	v_lshlrev_b32_e32 v2, 2, v2
	ds_bpermute_b32 v3, v2, v21
	v_cmp_lt_i32_e32 vcc, v6, v9
	s_waitcnt lgkmcnt(1)
	v_xor_b32_e32 v7, 8, v4
	v_xor_b32_e32 v8, 4, v4
	;; [unrolled: 1-line block ×3, first 2 shown]
	s_waitcnt lgkmcnt(0)
	v_max_f32_e32 v3, v3, v3
	v_max_f32_e32 v5, v5, v3
	v_cndmask_b32_e32 v3, v4, v6, vcc
	v_lshlrev_b32_e32 v3, 2, v3
	ds_bpermute_b32 v6, v3, v5
	v_cmp_lt_i32_e32 vcc, v7, v9
	v_and_b32_e32 v22, 63, v0
	s_waitcnt lgkmcnt(0)
	v_max_f32_e32 v6, v6, v6
	v_max_f32_e32 v6, v5, v6
	v_cndmask_b32_e32 v5, v4, v7, vcc
	v_lshlrev_b32_e32 v5, 2, v5
	ds_bpermute_b32 v7, v5, v6
	v_cmp_lt_i32_e32 vcc, v8, v9
	s_waitcnt lgkmcnt(0)
	v_max_f32_e32 v7, v7, v7
	v_max_f32_e32 v7, v6, v7
	v_cndmask_b32_e32 v6, v4, v8, vcc
	v_lshlrev_b32_e32 v6, 2, v6
	ds_bpermute_b32 v8, v6, v7
	v_cmp_lt_i32_e32 vcc, v12, v9
	s_waitcnt lgkmcnt(0)
	v_max_f32_e32 v8, v8, v8
	v_max_f32_e32 v8, v7, v8
	v_cndmask_b32_e32 v7, v4, v12, vcc
	v_lshlrev_b32_e32 v23, 2, v7
	ds_bpermute_b32 v12, v23, v8
	v_cmp_eq_u32_e32 vcc, 0, v22
	v_lshlrev_b32_e32 v7, 2, v20
	s_and_saveexec_b64 s[0:1], vcc
	s_cbranch_execz .LBB173_22
; %bb.21:
	s_waitcnt lgkmcnt(0)
	v_max_f32_e32 v12, v12, v12
	v_max_f32_e32 v8, v8, v8
	;; [unrolled: 1-line block ×3, first 2 shown]
	ds_write_b32 v7, v8 offset:160
.LBB173_22:
	s_or_b64 exec, exec, s[0:1]
	v_cmp_gt_u32_e64 s[0:1], 2, v22
	s_waitcnt lgkmcnt(0)
	v_mov_b32_e32 v12, 0xff7fffff
	v_lshlrev_b32_e32 v8, 2, v22
	s_barrier
	s_and_saveexec_b64 s[6:7], s[0:1]
	s_cbranch_execz .LBB173_24
; %bb.23:
	ds_read_b32 v12, v8 offset:160
.LBB173_24:
	s_or_b64 exec, exec, s[6:7]
	v_xor_b32_e32 v13, 1, v4
	v_cmp_lt_i32_e64 s[6:7], v13, v9
	s_sub_i32 s3, s48, s38
	s_lshl_b32 s3, s3, 5
	v_cndmask_b32_e64 v9, v4, v13, s[6:7]
	v_lshlrev_b32_e32 v24, 2, v9
	s_waitcnt lgkmcnt(0)
	ds_bpermute_b32 v9, v24, v12
	v_max_f32_e32 v12, v12, v12
	v_lshlrev_b32_e32 v4, 2, v4
	s_add_i32 s3, s3, s5
	s_min_i32 s15, s3, s33
	s_waitcnt lgkmcnt(0)
	v_max_f32_e32 v9, v9, v9
	v_max_f32_e32 v12, v12, v9
	v_and_b32_e32 v9, 0x100, v4
	ds_bpermute_b32 v4, v9, v12
	s_sub_i32 s3, s15, s5
	v_cmp_gt_i32_e64 s[6:7], s3, v0
	v_mov_b32_e32 v12, 0
	s_and_saveexec_b64 s[38:39], s[6:7]
	s_cbranch_execz .LBB173_28
; %bb.25:
	v_mov_b32_e32 v12, 0xb0
	v_lshl_add_u32 v13, v0, 2, v12
	s_mov_b64 s[40:41], 0
	v_mov_b32_e32 v12, 0
	v_mov_b32_e32 v14, v0
.LBB173_26:                             ; =>This Inner Loop Header: Depth=1
	ds_read_b32 v15, v13
	v_add_u32_e32 v14, 0x80, v14
	v_cmp_le_i32_e64 s[10:11], s3, v14
	s_or_b64 s[40:41], s[10:11], s[40:41]
	s_waitcnt lgkmcnt(0)
	v_sub_f32_e32 v15, v15, v4
	v_mul_f32_e32 v15, 0x3fb8aa3b, v15
	v_exp_f32_e32 v15, v15
	ds_write_b32 v13, v15
	v_add_f32_e32 v12, v12, v15
	v_add_u32_e32 v13, 0x200, v13
	s_andn2_b64 exec, exec, s[40:41]
	s_cbranch_execnz .LBB173_26
; %bb.27:
	s_or_b64 exec, exec, s[40:41]
.LBB173_28:
	s_or_b64 exec, exec, s[38:39]
	ds_bpermute_b32 v2, v2, v12
	s_waitcnt lgkmcnt(0)
	v_add_f32_e32 v2, v12, v2
	ds_bpermute_b32 v3, v3, v2
	s_waitcnt lgkmcnt(0)
	v_add_f32_e32 v2, v2, v3
	;; [unrolled: 3-line block ×6, first 2 shown]
	s_and_saveexec_b64 s[10:11], vcc
	s_cbranch_execz .LBB173_30
; %bb.29:
	ds_write_b32 v7, v2 offset:168
.LBB173_30:
	s_or_b64 exec, exec, s[10:11]
	s_waitcnt lgkmcnt(0)
	s_barrier
	s_and_saveexec_b64 s[10:11], s[0:1]
	s_cbranch_execz .LBB173_32
; %bb.31:
	ds_read_b32 v2, v8 offset:168
.LBB173_32:
	s_or_b64 exec, exec, s[10:11]
	s_waitcnt lgkmcnt(0)
	ds_bpermute_b32 v3, v24, v2
	s_waitcnt lgkmcnt(0)
	v_add_f32_e32 v2, v2, v3
	ds_bpermute_b32 v5, v9, v2
	s_and_saveexec_b64 s[0:1], s[6:7]
	s_cbranch_execz .LBB173_45
; %bb.33:
	s_waitcnt lgkmcnt(0)
	v_add_f32_e32 v2, 0x358637bd, v5
	v_div_scale_f32 v3, s[6:7], v2, v2, 1.0
	v_rcp_f32_e32 v6, v3
	v_div_scale_f32 v7, vcc, 1.0, v2, 1.0
	s_mov_b64 s[10:11], -1
	v_fma_f32 v8, -v3, v6, 1.0
	v_fmac_f32_e32 v6, v8, v6
	v_mul_f32_e32 v8, v7, v6
	v_fma_f32 v9, -v3, v8, v7
	v_fmac_f32_e32 v8, v9, v6
	v_fma_f32 v3, -v3, v8, v7
	v_div_fmas_f32 v3, v3, v6, v8
	v_div_fixup_f32 v2, v3, v2, 1.0
	v_xad_u32 v3, v0, -1, s15
	v_subrev_u32_e32 v6, s5, v3
	s_movk_i32 s5, 0x7f
	v_cmp_lt_u32_e32 vcc, s5, v6
	v_mov_b32_e32 v3, v0
	s_and_saveexec_b64 s[6:7], vcc
	s_cbranch_execz .LBB173_42
; %bb.34:
	v_lshrrev_b32_e32 v6, 7, v6
	v_add_u32_e32 v8, -1, v6
	v_lshrrev_b32_e32 v7, 1, v8
	v_mov_b32_e32 v3, v2
	v_add_u32_e32 v7, 1, v7
	v_cmp_lt_u32_e32 vcc, 13, v8
	v_mov_b32_e32 v12, 0
	s_and_saveexec_b64 s[10:11], vcc
	s_cbranch_execz .LBB173_38
; %bb.35:
	v_mov_b32_e32 v9, 0xb0
	v_and_b32_e32 v8, -8, v7
	v_lshl_add_u32 v9, v0, 2, v9
	s_mov_b32 s5, 0
	s_mov_b64 s[38:39], 0
.LBB173_36:                             ; =>This Inner Loop Header: Depth=1
	ds_read2st64_b32 v[12:13], v9 offset1:2
	ds_read2st64_b32 v[14:15], v9 offset0:4 offset1:6
	ds_read2st64_b32 v[18:19], v9 offset0:8 offset1:10
	ds_read2st64_b32 v[26:27], v9 offset0:12 offset1:14
	v_add_u32_e32 v8, -8, v8
	s_waitcnt lgkmcnt(3)
	v_pk_mul_f32 v[12:13], v[2:3], v[12:13]
	s_waitcnt lgkmcnt(2)
	v_pk_mul_f32 v[14:15], v[2:3], v[14:15]
	ds_write2st64_b32 v9, v12, v13 offset1:2
	ds_write2st64_b32 v9, v14, v15 offset0:4 offset1:6
	ds_read2st64_b32 v[14:15], v9 offset0:16 offset1:18
	s_waitcnt lgkmcnt(4)
	v_pk_mul_f32 v[12:13], v[2:3], v[18:19]
	ds_write2st64_b32 v9, v12, v13 offset0:8 offset1:10
	s_waitcnt lgkmcnt(4)
	v_pk_mul_f32 v[12:13], v[2:3], v[26:27]
	ds_write2st64_b32 v9, v12, v13 offset0:12 offset1:14
	ds_read2st64_b32 v[12:13], v9 offset0:20 offset1:22
	s_waitcnt lgkmcnt(3)
	v_pk_mul_f32 v[14:15], v[2:3], v[14:15]
	ds_read2st64_b32 v[18:19], v9 offset0:24 offset1:26
	ds_write2st64_b32 v9, v14, v15 offset0:16 offset1:18
	ds_read2st64_b32 v[14:15], v9 offset0:28 offset1:30
	s_waitcnt lgkmcnt(3)
	v_pk_mul_f32 v[12:13], v[2:3], v[12:13]
	ds_write2st64_b32 v9, v12, v13 offset0:20 offset1:22
	s_waitcnt lgkmcnt(3)
	v_pk_mul_f32 v[12:13], v[2:3], v[18:19]
	ds_write2st64_b32 v9, v12, v13 offset0:24 offset1:26
	s_waitcnt lgkmcnt(2)
	v_pk_mul_f32 v[12:13], v[2:3], v[14:15]
	s_add_i32 s5, s5, 16
	v_cmp_eq_u32_e32 vcc, 0, v8
	ds_write2st64_b32 v9, v12, v13 offset0:28 offset1:30
	v_add_u32_e32 v9, 0x2000, v9
	s_or_b64 s[38:39], vcc, s[38:39]
	v_mov_b32_e32 v12, s5
	s_andn2_b64 exec, exec, s[38:39]
	s_cbranch_execnz .LBB173_36
; %bb.37:
	s_or_b64 exec, exec, s[38:39]
.LBB173_38:
	s_or_b64 exec, exec, s[10:11]
	v_and_b32_e32 v7, 7, v7
	v_cmp_ne_u32_e32 vcc, 0, v7
	s_and_saveexec_b64 s[10:11], vcc
	s_cbranch_execz .LBB173_41
; %bb.39:
	v_lshlrev_b32_e32 v8, 9, v12
	v_lshlrev_b32_e32 v9, 2, v0
	s_movk_i32 s5, 0xb0
	v_add3_u32 v8, v8, v9, s5
	s_mov_b64 s[38:39], 0
.LBB173_40:                             ; =>This Inner Loop Header: Depth=1
	ds_read2st64_b32 v[12:13], v8 offset1:2
	v_add_u32_e32 v7, -1, v7
	v_cmp_eq_u32_e32 vcc, 0, v7
	s_or_b64 s[38:39], vcc, s[38:39]
	s_waitcnt lgkmcnt(0)
	v_pk_mul_f32 v[12:13], v[2:3], v[12:13]
	ds_write2st64_b32 v8, v12, v13 offset1:2
	v_add_u32_e32 v8, 0x400, v8
	s_andn2_b64 exec, exec, s[38:39]
	s_cbranch_execnz .LBB173_40
.LBB173_41:
	s_or_b64 exec, exec, s[10:11]
	v_add_u32_e32 v6, 1, v6
	v_and_b32_e32 v7, 0x3fffffe, v6
	v_cmp_ne_u32_e32 vcc, v6, v7
	v_lshl_add_u32 v3, v7, 7, v0
	s_orn2_b64 s[10:11], vcc, exec
.LBB173_42:
	s_or_b64 exec, exec, s[6:7]
	s_and_b64 exec, exec, s[10:11]
	s_cbranch_execz .LBB173_45
; %bb.43:
	v_mov_b32_e32 v6, 0xb0
	v_lshl_add_u32 v6, v3, 2, v6
	s_mov_b64 s[6:7], 0
.LBB173_44:                             ; =>This Inner Loop Header: Depth=1
	ds_read_b32 v7, v6
	v_add_u32_e32 v3, 0x80, v3
	v_cmp_le_i32_e32 vcc, s3, v3
	s_or_b64 s[6:7], vcc, s[6:7]
	s_waitcnt lgkmcnt(0)
	v_mul_f32_e32 v7, v2, v7
	ds_write_b32 v6, v7
	v_add_u32_e32 v6, 0x200, v6
	s_andn2_b64 exec, exec, s[6:7]
	s_cbranch_execnz .LBB173_44
.LBB173_45:
	s_or_b64 exec, exec, s[0:1]
	v_cmp_eq_u32_e32 vcc, 0, v0
	s_waitcnt lgkmcnt(0)
	s_barrier
	s_and_saveexec_b64 s[0:1], vcc
	s_cbranch_execz .LBB173_47
; %bb.46:
	s_mul_i32 s3, s16, s24
	s_mul_i32 s6, s3, s25
	s_ashr_i32 s7, s6, 31
	s_lshl_b64 s[6:7], s[6:7], 2
	s_add_u32 s5, s22, s6
	s_mul_i32 s2, s16, s2
	s_addc_u32 s10, s23, s7
	s_ashr_i32 s3, s2, 31
	s_lshl_b64 s[2:3], s[2:3], 2
	s_add_u32 s15, s5, s2
	s_addc_u32 s23, s10, s3
	s_ashr_i32 s5, s4, 31
	s_lshl_b64 s[10:11], s[4:5], 2
	s_add_u32 s22, s15, s10
	s_addc_u32 s23, s23, s11
	s_add_u32 s5, s20, s6
	s_addc_u32 s6, s21, s7
	;; [unrolled: 2-line block ×3, first 2 shown]
	s_add_u32 s2, s2, s10
	v_mov_b32_e32 v2, 0
	s_addc_u32 s3, s3, s11
	global_store_dword v2, v4, s[22:23]
	global_store_dword v2, v5, s[2:3]
.LBB173_47:
	s_or_b64 exec, exec, s[0:1]
	v_mov_b32_e32 v26, 0
	v_and_b32_e32 v25, 3, v0
	v_mov_b32_e32 v13, 0
	v_mov_b32_e32 v12, 0
	;; [unrolled: 1-line block ×4, first 2 shown]
	s_and_saveexec_b64 s[2:3], s[8:9]
	s_cbranch_execz .LBB173_255
; %bb.48:
	s_ashr_i32 s15, s14, 31
	s_sub_i32 s5, s49, s17
	s_lshl_b64 s[0:1], s[14:15], 1
	s_add_u32 s6, s36, s0
	s_addc_u32 s7, s37, s1
	s_abs_i32 s14, s18
	v_cvt_f32_u32_e32 v2, s14
	s_sub_i32 s0, 0, s14
	s_add_i32 s17, s12, -1
	v_mov_b32_e32 v17, 0
	v_rcp_iflag_f32_e32 v3, v2
	v_and_b32_e32 v2, 0x1f8, v16
	v_or_b32_e32 v4, 0x800, v2
	v_and_b32_e32 v27, 24, v16
	v_mul_f32_e32 v3, 0x4f7ffffe, v3
	v_cvt_u32_f32_e32 v3, v3
	s_mov_b32 s15, s13
	s_mov_b64 s[8:9], 0
	s_mov_b32 s18, 0x7f800000
	v_mul_lo_u32 v5, s0, v3
	v_mul_hi_u32 v5, v3, v5
	s_lshl_b64 s[0:1], s[34:35], 2
	v_add_u32_e32 v28, v3, v5
	s_add_u32 s0, s30, s0
	v_lshlrev_b32_e32 v3, 5, v25
	s_addc_u32 s1, s31, s1
	v_lshl_or_b32 v3, v20, 7, v3
	v_lshl_add_u64 v[18:19], v[10:11], 2, s[0:1]
	v_add_u32_e32 v11, 0xb0, v3
	s_movk_i32 s20, 0x7fff
	v_lshlrev_b32_e32 v16, 1, v2
	v_lshlrev_b32_e32 v20, 1, v4
	v_mov_b32_e32 v14, v17
	v_mov_b32_e32 v15, v17
	;; [unrolled: 1-line block ×5, first 2 shown]
	s_branch .LBB173_51
.LBB173_49:                             ;   in Loop: Header=BB173_51 Depth=1
	s_or_b64 exec, exec, s[0:1]
	v_and_b32_e32 v43, 0xffff0000, v70
	v_and_b32_e32 v42, 0xffff0000, v9
	;; [unrolled: 1-line block ×8, first 2 shown]
	v_pk_add_f32 v[8:9], v[8:9], v[42:43]
	v_pk_add_f32 v[38:39], v[40:41], v[38:39]
	v_add_f32_e32 v8, v8, v9
	v_add_f32_e32 v8, v8, v38
	;; [unrolled: 1-line block ×3, first 2 shown]
	v_and_b32_e32 v41, 0xffff0000, v64
	v_and_b32_e32 v40, 0xffff0000, v62
	;; [unrolled: 1-line block ×4, first 2 shown]
	v_add_f32_e32 v13, v13, v8
	v_and_b32_e32 v9, 0xffff0000, v68
	v_and_b32_e32 v8, 0xffff0000, v66
	;; [unrolled: 1-line block ×4, first 2 shown]
	v_pk_add_f32 v[40:41], v[42:43], v[40:41]
	v_pk_add_f32 v[8:9], v[38:39], v[8:9]
	v_add_f32_e32 v38, v40, v41
	v_add_f32_e32 v8, v38, v8
	;; [unrolled: 1-line block ×3, first 2 shown]
	v_and_b32_e32 v41, 0xffff0000, v56
	v_and_b32_e32 v40, 0xffff0000, v54
	;; [unrolled: 1-line block ×4, first 2 shown]
	v_add_f32_e32 v12, v12, v8
	v_and_b32_e32 v9, 0xffff0000, v60
	v_and_b32_e32 v8, 0xffff0000, v58
	;; [unrolled: 1-line block ×4, first 2 shown]
	v_pk_add_f32 v[40:41], v[42:43], v[40:41]
	v_pk_add_f32 v[8:9], v[38:39], v[8:9]
	v_add_f32_e32 v38, v40, v41
	v_add_f32_e32 v8, v38, v8
	;; [unrolled: 1-line block ×4, first 2 shown]
	v_and_b32_e32 v8, 0xffff0000, v34
	v_and_b32_e32 v34, 0xffff0000, v33
	;; [unrolled: 1-line block ×8, first 2 shown]
	v_pk_add_f32 v[30:31], v[30:31], v[32:33]
	v_pk_add_f32 v[8:9], v[34:35], v[8:9]
	v_add_f32_e32 v29, v30, v31
	v_add_f32_e32 v8, v29, v8
	v_add_f32_e32 v8, v8, v9
	v_and_b32_e32 v9, 0xffff0000, v7
	v_and_b32_e32 v7, 0xffff0000, v21
	;; [unrolled: 1-line block ×5, first 2 shown]
	v_add_f32_e32 v14, v14, v8
	v_and_b32_e32 v8, 0xffff0000, v37
	v_and_b32_e32 v5, 0xffff0000, v5
	v_and_b32_e32 v4, 0xffff0000, v4
	v_pk_add_f32 v[2:3], v[2:3], v[6:7]
	v_pk_add_f32 v[4:5], v[4:5], v[8:9]
	v_add_f32_e32 v2, v2, v3
	v_add_f32_e32 v2, v2, v4
	;; [unrolled: 1-line block ×4, first 2 shown]
.LBB173_50:                             ;   in Loop: Header=BB173_51 Depth=1
	s_or_b64 exec, exec, s[10:11]
	v_add_u32_e32 v10, 2, v10
	v_cmp_le_i32_e32 vcc, s48, v10
	v_lshl_add_u64 v[18:19], v[18:19], 0, 8
	v_add_u32_e32 v1, 64, v1
	s_or_b64 s[8:9], vcc, s[8:9]
	v_add_u32_e32 v11, 0x100, v11
	s_andn2_b64 exec, exec, s[8:9]
	s_cbranch_execz .LBB173_254
.LBB173_51:                             ; =>This Inner Loop Header: Depth=1
	v_sub_u32_e32 v3, 0, v1
	v_max_i32_e32 v3, v1, v3
	v_mul_hi_u32 v4, v3, s46
	v_mul_lo_u32 v5, v4, s27
	v_sub_u32_e32 v3, v3, v5
	v_add_u32_e32 v5, 1, v4
	v_cmp_le_u32_e32 vcc, s27, v3
	v_ashrrev_i32_e32 v2, 31, v1
	v_xor_b32_e32 v2, s19, v2
	v_cndmask_b32_e32 v4, v4, v5, vcc
	v_subrev_u32_e32 v5, s27, v3
	v_cndmask_b32_e32 v3, v3, v5, vcc
	v_add_u32_e32 v5, 1, v4
	v_cmp_le_u32_e32 vcc, s27, v3
	s_nop 1
	v_cndmask_b32_e32 v3, v4, v5, vcc
	v_xor_b32_e32 v3, v3, v2
	v_sub_u32_e32 v2, v3, v2
	v_add_u32_e32 v3, s47, v2
	v_sub_u32_e32 v5, 0, v3
	v_ashrrev_i32_e32 v4, 31, v3
	v_max_i32_e32 v3, v3, v5
	v_mul_hi_u32 v5, v3, v28
	v_mul_lo_u32 v5, v5, s14
	v_sub_u32_e32 v3, v3, v5
	v_subrev_u32_e32 v5, s14, v3
	v_cmp_le_u32_e32 vcc, s14, v3
	v_cmp_lt_i32_e64 s[0:1], s5, v2
	s_nop 0
	v_cndmask_b32_e32 v3, v3, v5, vcc
	v_subrev_u32_e32 v5, s14, v3
	v_cmp_le_u32_e32 vcc, s14, v3
	s_nop 1
	v_cndmask_b32_e32 v3, v3, v5, vcc
	v_xor_b32_e32 v3, v3, v4
	v_sub_u32_e32 v3, v3, v4
	v_cmp_eq_u32_e32 vcc, 0, v3
	s_or_b64 s[0:1], vcc, s[0:1]
	s_and_saveexec_b64 s[10:11], s[0:1]
	s_cbranch_execz .LBB173_50
; %bb.52:                               ;   in Loop: Header=BB173_51 Depth=1
	global_load_dword v36, v[18:19], off
	ds_read2_b64 v[6:9], v11 offset1:1
	ds_read2_b64 v[2:5], v11 offset0:2 offset1:3
                                        ; implicit-def: $vgpr29
	s_waitcnt lgkmcnt(1)
	v_and_b32_e32 v21, 0x7f800000, v6
	v_cmp_ne_u32_e32 vcc, s18, v21
	s_and_saveexec_b64 s[0:1], vcc
	s_xor_b64 s[0:1], exec, s[0:1]
; %bb.53:                               ;   in Loop: Header=BB173_51 Depth=1
	v_bfe_u32 v21, v6, 16, 1
	v_add3_u32 v29, v6, v21, s20
; %bb.54:                               ;   in Loop: Header=BB173_51 Depth=1
	s_andn2_saveexec_b64 s[0:1], s[0:1]
; %bb.55:                               ;   in Loop: Header=BB173_51 Depth=1
	v_or_b32_e32 v21, 0x10000, v6
	v_cmp_eq_u32_sdwa vcc, v6, v17 src0_sel:WORD_0 src1_sel:DWORD
	s_nop 1
	v_cndmask_b32_e32 v29, v21, v6, vcc
; %bb.56:                               ;   in Loop: Header=BB173_51 Depth=1
	s_or_b64 exec, exec, s[0:1]
	v_and_b32_e32 v6, 0x7f800000, v7
	v_cmp_ne_u32_e32 vcc, s18, v6
                                        ; implicit-def: $vgpr30
	s_and_saveexec_b64 s[0:1], vcc
	s_xor_b64 s[0:1], exec, s[0:1]
; %bb.57:                               ;   in Loop: Header=BB173_51 Depth=1
	v_bfe_u32 v6, v7, 16, 1
	v_add3_u32 v30, v7, v6, s20
; %bb.58:                               ;   in Loop: Header=BB173_51 Depth=1
	s_andn2_saveexec_b64 s[0:1], s[0:1]
; %bb.59:                               ;   in Loop: Header=BB173_51 Depth=1
	v_or_b32_e32 v6, 0x10000, v7
	v_cmp_eq_u32_sdwa vcc, v7, v17 src0_sel:WORD_0 src1_sel:DWORD
	s_nop 1
	v_cndmask_b32_e32 v30, v6, v7, vcc
; %bb.60:                               ;   in Loop: Header=BB173_51 Depth=1
	s_or_b64 exec, exec, s[0:1]
	v_and_b32_e32 v6, 0x7f800000, v8
	v_cmp_ne_u32_e32 vcc, s18, v6
                                        ; implicit-def: $vgpr31
	s_and_saveexec_b64 s[0:1], vcc
	s_xor_b64 s[0:1], exec, s[0:1]
; %bb.61:                               ;   in Loop: Header=BB173_51 Depth=1
	v_bfe_u32 v6, v8, 16, 1
	v_add3_u32 v31, v8, v6, s20
; %bb.62:                               ;   in Loop: Header=BB173_51 Depth=1
	s_andn2_saveexec_b64 s[0:1], s[0:1]
; %bb.63:                               ;   in Loop: Header=BB173_51 Depth=1
	v_or_b32_e32 v6, 0x10000, v8
	v_cmp_eq_u32_sdwa vcc, v8, v17 src0_sel:WORD_0 src1_sel:DWORD
	s_nop 1
	v_cndmask_b32_e32 v31, v6, v8, vcc
; %bb.64:                               ;   in Loop: Header=BB173_51 Depth=1
	s_or_b64 exec, exec, s[0:1]
	v_and_b32_e32 v6, 0x7f800000, v9
	v_cmp_ne_u32_e32 vcc, s18, v6
                                        ; implicit-def: $vgpr32
	s_and_saveexec_b64 s[0:1], vcc
	s_xor_b64 s[0:1], exec, s[0:1]
; %bb.65:                               ;   in Loop: Header=BB173_51 Depth=1
	v_bfe_u32 v6, v9, 16, 1
	v_add3_u32 v32, v9, v6, s20
                                        ; implicit-def: $vgpr6_vgpr7_vgpr8_vgpr9
; %bb.66:                               ;   in Loop: Header=BB173_51 Depth=1
	s_andn2_saveexec_b64 s[0:1], s[0:1]
; %bb.67:                               ;   in Loop: Header=BB173_51 Depth=1
	v_or_b32_e32 v6, 0x10000, v9
	v_cmp_eq_u32_sdwa vcc, v9, v17 src0_sel:WORD_0 src1_sel:DWORD
	s_nop 1
	v_cndmask_b32_e32 v32, v6, v9, vcc
; %bb.68:                               ;   in Loop: Header=BB173_51 Depth=1
	s_or_b64 exec, exec, s[0:1]
	s_waitcnt lgkmcnt(0)
	v_and_b32_e32 v6, 0x7f800000, v2
	v_cmp_ne_u32_e32 vcc, s18, v6
                                        ; implicit-def: $vgpr33
	s_and_saveexec_b64 s[0:1], vcc
	s_xor_b64 s[0:1], exec, s[0:1]
; %bb.69:                               ;   in Loop: Header=BB173_51 Depth=1
	v_bfe_u32 v6, v2, 16, 1
	v_add3_u32 v33, v2, v6, s20
; %bb.70:                               ;   in Loop: Header=BB173_51 Depth=1
	s_andn2_saveexec_b64 s[0:1], s[0:1]
; %bb.71:                               ;   in Loop: Header=BB173_51 Depth=1
	v_or_b32_e32 v6, 0x10000, v2
	v_cmp_eq_u32_sdwa vcc, v2, v17 src0_sel:WORD_0 src1_sel:DWORD
	s_nop 1
	v_cndmask_b32_e32 v33, v6, v2, vcc
; %bb.72:                               ;   in Loop: Header=BB173_51 Depth=1
	s_or_b64 exec, exec, s[0:1]
	v_and_b32_e32 v2, 0x7f800000, v3
	v_cmp_ne_u32_e32 vcc, s18, v2
                                        ; implicit-def: $vgpr34
	s_and_saveexec_b64 s[0:1], vcc
	s_xor_b64 s[0:1], exec, s[0:1]
; %bb.73:                               ;   in Loop: Header=BB173_51 Depth=1
	v_bfe_u32 v2, v3, 16, 1
	v_add3_u32 v34, v3, v2, s20
; %bb.74:                               ;   in Loop: Header=BB173_51 Depth=1
	s_andn2_saveexec_b64 s[0:1], s[0:1]
; %bb.75:                               ;   in Loop: Header=BB173_51 Depth=1
	v_or_b32_e32 v2, 0x10000, v3
	v_cmp_eq_u32_sdwa vcc, v3, v17 src0_sel:WORD_0 src1_sel:DWORD
	s_nop 1
	v_cndmask_b32_e32 v34, v2, v3, vcc
; %bb.76:                               ;   in Loop: Header=BB173_51 Depth=1
	s_or_b64 exec, exec, s[0:1]
	v_and_b32_e32 v2, 0x7f800000, v4
	v_cmp_ne_u32_e32 vcc, s18, v2
                                        ; implicit-def: $vgpr35
	s_and_saveexec_b64 s[0:1], vcc
	s_xor_b64 s[0:1], exec, s[0:1]
; %bb.77:                               ;   in Loop: Header=BB173_51 Depth=1
	v_bfe_u32 v2, v4, 16, 1
	v_add3_u32 v35, v4, v2, s20
; %bb.78:                               ;   in Loop: Header=BB173_51 Depth=1
	s_andn2_saveexec_b64 s[0:1], s[0:1]
; %bb.79:                               ;   in Loop: Header=BB173_51 Depth=1
	v_or_b32_e32 v2, 0x10000, v4
	v_cmp_eq_u32_sdwa vcc, v4, v17 src0_sel:WORD_0 src1_sel:DWORD
	s_nop 1
	v_cndmask_b32_e32 v35, v2, v4, vcc
; %bb.80:                               ;   in Loop: Header=BB173_51 Depth=1
	s_or_b64 exec, exec, s[0:1]
	v_and_b32_e32 v2, 0x7f800000, v5
	v_cmp_ne_u32_e32 vcc, s18, v2
                                        ; implicit-def: $vgpr21
	s_and_saveexec_b64 s[0:1], vcc
	s_xor_b64 s[0:1], exec, s[0:1]
; %bb.81:                               ;   in Loop: Header=BB173_51 Depth=1
	v_bfe_u32 v2, v5, 16, 1
	v_add3_u32 v21, v5, v2, s20
                                        ; implicit-def: $vgpr2_vgpr3_vgpr4_vgpr5
; %bb.82:                               ;   in Loop: Header=BB173_51 Depth=1
	s_andn2_saveexec_b64 s[0:1], s[0:1]
; %bb.83:                               ;   in Loop: Header=BB173_51 Depth=1
	v_or_b32_e32 v2, 0x10000, v5
	v_cmp_eq_u32_sdwa vcc, v5, v17 src0_sel:WORD_0 src1_sel:DWORD
	s_nop 1
	v_cndmask_b32_e32 v21, v2, v5, vcc
; %bb.84:                               ;   in Loop: Header=BB173_51 Depth=1
	s_or_b64 exec, exec, s[0:1]
	s_waitcnt vmcnt(0)
	v_mad_i64_i32 v[2:3], s[0:1], v36, s15, 0
	v_lshl_add_u64 v[6:7], v[2:3], 1, s[6:7]
	v_lshl_add_u64 v[8:9], v[6:7], 0, v[16:17]
	global_load_dwordx4 v[2:5], v[8:9], off
	v_add_u32_e32 v37, v27, v1
	v_cmp_eq_u32_e32 vcc, s17, v10
	v_add_u32_e32 v44, 1, v37
	v_add_u32_e32 v43, 2, v37
	;; [unrolled: 1-line block ×7, first 2 shown]
	s_waitcnt vmcnt(0)
	v_lshrrev_b32_e32 v47, 16, v2
	v_lshrrev_b32_e32 v49, 16, v3
	;; [unrolled: 1-line block ×4, first 2 shown]
	s_and_saveexec_b64 s[12:13], vcc
	s_cbranch_execz .LBB173_86
; %bb.85:                               ;   in Loop: Header=BB173_51 Depth=1
	v_cmp_gt_i32_e64 s[0:1], s33, v37
	s_nop 1
	v_cndmask_b32_e64 v2, 0, v2, s[0:1]
	v_cmp_gt_i32_e64 s[0:1], s33, v44
	s_nop 1
	v_cndmask_b32_e64 v47, 0, v47, s[0:1]
	;; [unrolled: 3-line block ×8, first 2 shown]
.LBB173_86:                             ;   in Loop: Header=BB173_51 Depth=1
	s_or_b64 exec, exec, s[12:13]
	v_and_b32_e32 v45, 0xffff0000, v29
	v_lshlrev_b32_e32 v2, 16, v2
	v_mul_f32_e32 v2, v45, v2
	v_and_b32_e32 v29, 0x7f800000, v2
	v_cmp_ne_u32_e64 s[0:1], s18, v29
                                        ; implicit-def: $vgpr29
	s_and_saveexec_b64 s[12:13], s[0:1]
	s_xor_b64 s[0:1], exec, s[12:13]
; %bb.87:                               ;   in Loop: Header=BB173_51 Depth=1
	v_bfe_u32 v29, v2, 16, 1
	v_add3_u32 v29, v2, v29, s20
                                        ; implicit-def: $vgpr2
; %bb.88:                               ;   in Loop: Header=BB173_51 Depth=1
	s_andn2_saveexec_b64 s[12:13], s[0:1]
; %bb.89:                               ;   in Loop: Header=BB173_51 Depth=1
	v_or_b32_e32 v29, 0x10000, v2
	v_cmp_eq_u32_sdwa s[0:1], v2, v17 src0_sel:WORD_0 src1_sel:DWORD
	s_nop 1
	v_cndmask_b32_e64 v29, v29, v2, s[0:1]
; %bb.90:                               ;   in Loop: Header=BB173_51 Depth=1
	s_or_b64 exec, exec, s[12:13]
	v_and_b32_e32 v46, 0xffff0000, v30
	v_lshlrev_b32_e32 v2, 16, v47
	v_mul_f32_e32 v2, v46, v2
	v_and_b32_e32 v30, 0x7f800000, v2
	v_cmp_ne_u32_e64 s[0:1], s18, v30
                                        ; implicit-def: $vgpr30
	s_and_saveexec_b64 s[12:13], s[0:1]
	s_xor_b64 s[0:1], exec, s[12:13]
; %bb.91:                               ;   in Loop: Header=BB173_51 Depth=1
	v_bfe_u32 v30, v2, 16, 1
	v_add3_u32 v30, v2, v30, s20
                                        ; implicit-def: $vgpr2
; %bb.92:                               ;   in Loop: Header=BB173_51 Depth=1
	s_andn2_saveexec_b64 s[12:13], s[0:1]
; %bb.93:                               ;   in Loop: Header=BB173_51 Depth=1
	v_or_b32_e32 v30, 0x10000, v2
	v_cmp_eq_u32_sdwa s[0:1], v2, v17 src0_sel:WORD_0 src1_sel:DWORD
	s_nop 1
	v_cndmask_b32_e64 v30, v30, v2, s[0:1]
; %bb.94:                               ;   in Loop: Header=BB173_51 Depth=1
	s_or_b64 exec, exec, s[12:13]
	v_and_b32_e32 v47, 0xffff0000, v31
	v_lshlrev_b32_e32 v2, 16, v3
	v_mul_f32_e32 v2, v47, v2
	v_and_b32_e32 v3, 0x7f800000, v2
	v_cmp_ne_u32_e64 s[0:1], s18, v3
                                        ; implicit-def: $vgpr31
	s_and_saveexec_b64 s[12:13], s[0:1]
	s_xor_b64 s[0:1], exec, s[12:13]
; %bb.95:                               ;   in Loop: Header=BB173_51 Depth=1
	v_bfe_u32 v3, v2, 16, 1
	v_add3_u32 v31, v2, v3, s20
                                        ; implicit-def: $vgpr2
; %bb.96:                               ;   in Loop: Header=BB173_51 Depth=1
	s_andn2_saveexec_b64 s[12:13], s[0:1]
; %bb.97:                               ;   in Loop: Header=BB173_51 Depth=1
	v_or_b32_e32 v3, 0x10000, v2
	v_cmp_eq_u32_sdwa s[0:1], v2, v17 src0_sel:WORD_0 src1_sel:DWORD
	s_nop 1
	v_cndmask_b32_e64 v31, v3, v2, s[0:1]
; %bb.98:                               ;   in Loop: Header=BB173_51 Depth=1
	s_or_b64 exec, exec, s[12:13]
	v_and_b32_e32 v48, 0xffff0000, v32
	v_lshlrev_b32_e32 v2, 16, v49
	v_mul_f32_e32 v2, v48, v2
	v_and_b32_e32 v3, 0x7f800000, v2
	v_cmp_ne_u32_e64 s[0:1], s18, v3
                                        ; implicit-def: $vgpr32
	s_and_saveexec_b64 s[12:13], s[0:1]
	s_xor_b64 s[0:1], exec, s[12:13]
; %bb.99:                               ;   in Loop: Header=BB173_51 Depth=1
	v_bfe_u32 v3, v2, 16, 1
	v_add3_u32 v32, v2, v3, s20
                                        ; implicit-def: $vgpr2
; %bb.100:                              ;   in Loop: Header=BB173_51 Depth=1
	s_andn2_saveexec_b64 s[12:13], s[0:1]
; %bb.101:                              ;   in Loop: Header=BB173_51 Depth=1
	v_or_b32_e32 v3, 0x10000, v2
	v_cmp_eq_u32_sdwa s[0:1], v2, v17 src0_sel:WORD_0 src1_sel:DWORD
	s_nop 1
	v_cndmask_b32_e64 v32, v3, v2, s[0:1]
; %bb.102:                              ;   in Loop: Header=BB173_51 Depth=1
	s_or_b64 exec, exec, s[12:13]
	v_and_b32_e32 v49, 0xffff0000, v33
	v_lshlrev_b32_e32 v2, 16, v4
	v_mul_f32_e32 v2, v49, v2
	v_and_b32_e32 v3, 0x7f800000, v2
	v_cmp_ne_u32_e64 s[0:1], s18, v3
                                        ; implicit-def: $vgpr33
	s_and_saveexec_b64 s[12:13], s[0:1]
	s_xor_b64 s[0:1], exec, s[12:13]
; %bb.103:                              ;   in Loop: Header=BB173_51 Depth=1
	v_bfe_u32 v3, v2, 16, 1
	v_add3_u32 v33, v2, v3, s20
                                        ; implicit-def: $vgpr2
; %bb.104:                              ;   in Loop: Header=BB173_51 Depth=1
	s_andn2_saveexec_b64 s[12:13], s[0:1]
; %bb.105:                              ;   in Loop: Header=BB173_51 Depth=1
	v_or_b32_e32 v3, 0x10000, v2
	v_cmp_eq_u32_sdwa s[0:1], v2, v17 src0_sel:WORD_0 src1_sel:DWORD
	s_nop 1
	v_cndmask_b32_e64 v33, v3, v2, s[0:1]
; %bb.106:                              ;   in Loop: Header=BB173_51 Depth=1
	s_or_b64 exec, exec, s[12:13]
	v_and_b32_e32 v50, 0xffff0000, v34
	v_lshlrev_b32_e32 v2, 16, v51
	v_mul_f32_e32 v2, v50, v2
	v_and_b32_e32 v3, 0x7f800000, v2
	v_cmp_ne_u32_e64 s[0:1], s18, v3
                                        ; implicit-def: $vgpr34
	s_and_saveexec_b64 s[12:13], s[0:1]
	s_xor_b64 s[0:1], exec, s[12:13]
; %bb.107:                              ;   in Loop: Header=BB173_51 Depth=1
	v_bfe_u32 v3, v2, 16, 1
	v_add3_u32 v34, v2, v3, s20
                                        ; implicit-def: $vgpr2
; %bb.108:                              ;   in Loop: Header=BB173_51 Depth=1
	s_andn2_saveexec_b64 s[12:13], s[0:1]
; %bb.109:                              ;   in Loop: Header=BB173_51 Depth=1
	v_or_b32_e32 v3, 0x10000, v2
	v_cmp_eq_u32_sdwa s[0:1], v2, v17 src0_sel:WORD_0 src1_sel:DWORD
	s_nop 1
	v_cndmask_b32_e64 v34, v3, v2, s[0:1]
; %bb.110:                              ;   in Loop: Header=BB173_51 Depth=1
	s_or_b64 exec, exec, s[12:13]
	v_and_b32_e32 v51, 0xffff0000, v35
	v_lshlrev_b32_e32 v2, 16, v5
	v_mul_f32_e32 v2, v51, v2
	v_and_b32_e32 v3, 0x7f800000, v2
	v_cmp_ne_u32_e64 s[0:1], s18, v3
                                        ; implicit-def: $vgpr35
	s_and_saveexec_b64 s[12:13], s[0:1]
	s_xor_b64 s[0:1], exec, s[12:13]
; %bb.111:                              ;   in Loop: Header=BB173_51 Depth=1
	v_bfe_u32 v3, v2, 16, 1
	v_add3_u32 v35, v2, v3, s20
                                        ; implicit-def: $vgpr2
; %bb.112:                              ;   in Loop: Header=BB173_51 Depth=1
	s_andn2_saveexec_b64 s[12:13], s[0:1]
; %bb.113:                              ;   in Loop: Header=BB173_51 Depth=1
	v_or_b32_e32 v3, 0x10000, v2
	v_cmp_eq_u32_sdwa s[0:1], v2, v17 src0_sel:WORD_0 src1_sel:DWORD
	s_nop 1
	v_cndmask_b32_e64 v35, v3, v2, s[0:1]
; %bb.114:                              ;   in Loop: Header=BB173_51 Depth=1
	s_or_b64 exec, exec, s[12:13]
	v_and_b32_e32 v52, 0xffff0000, v21
	v_lshlrev_b32_e32 v2, 16, v36
	v_mul_f32_e32 v2, v52, v2
	v_and_b32_e32 v3, 0x7f800000, v2
	v_cmp_ne_u32_e64 s[0:1], s18, v3
                                        ; implicit-def: $vgpr36
	s_and_saveexec_b64 s[12:13], s[0:1]
	s_xor_b64 s[0:1], exec, s[12:13]
; %bb.115:                              ;   in Loop: Header=BB173_51 Depth=1
	v_bfe_u32 v3, v2, 16, 1
	v_add3_u32 v36, v2, v3, s20
                                        ; implicit-def: $vgpr2
; %bb.116:                              ;   in Loop: Header=BB173_51 Depth=1
	s_andn2_saveexec_b64 s[12:13], s[0:1]
; %bb.117:                              ;   in Loop: Header=BB173_51 Depth=1
	v_or_b32_e32 v3, 0x10000, v2
	v_cmp_eq_u32_sdwa s[0:1], v2, v17 src0_sel:WORD_0 src1_sel:DWORD
	s_nop 1
	v_cndmask_b32_e64 v36, v3, v2, s[0:1]
; %bb.118:                              ;   in Loop: Header=BB173_51 Depth=1
	s_or_b64 exec, exec, s[12:13]
	global_load_dwordx4 v[2:5], v[8:9], off offset:1024
	s_waitcnt vmcnt(0)
	v_lshrrev_b32_e32 v54, 16, v2
	v_lshrrev_b32_e32 v56, 16, v3
	;; [unrolled: 1-line block ×4, first 2 shown]
	s_and_saveexec_b64 s[12:13], vcc
	s_cbranch_execz .LBB173_120
; %bb.119:                              ;   in Loop: Header=BB173_51 Depth=1
	v_cmp_gt_i32_e64 s[0:1], s33, v37
	s_nop 1
	v_cndmask_b32_e64 v2, 0, v2, s[0:1]
	v_cmp_gt_i32_e64 s[0:1], s33, v44
	s_nop 1
	v_cndmask_b32_e64 v54, 0, v54, s[0:1]
	;; [unrolled: 3-line block ×8, first 2 shown]
.LBB173_120:                            ;   in Loop: Header=BB173_51 Depth=1
	s_or_b64 exec, exec, s[12:13]
	v_lshlrev_b32_e32 v2, 16, v2
	v_mul_f32_e32 v2, v45, v2
	v_and_b32_e32 v53, 0x7f800000, v2
	v_cmp_ne_u32_e64 s[0:1], s18, v53
                                        ; implicit-def: $vgpr53
	s_and_saveexec_b64 s[12:13], s[0:1]
	s_xor_b64 s[0:1], exec, s[12:13]
; %bb.121:                              ;   in Loop: Header=BB173_51 Depth=1
	v_bfe_u32 v53, v2, 16, 1
	v_add3_u32 v53, v2, v53, s20
                                        ; implicit-def: $vgpr2
; %bb.122:                              ;   in Loop: Header=BB173_51 Depth=1
	s_andn2_saveexec_b64 s[12:13], s[0:1]
; %bb.123:                              ;   in Loop: Header=BB173_51 Depth=1
	v_or_b32_e32 v53, 0x10000, v2
	v_cmp_eq_u32_sdwa s[0:1], v2, v17 src0_sel:WORD_0 src1_sel:DWORD
	s_nop 1
	v_cndmask_b32_e64 v53, v53, v2, s[0:1]
; %bb.124:                              ;   in Loop: Header=BB173_51 Depth=1
	s_or_b64 exec, exec, s[12:13]
	v_lshlrev_b32_e32 v2, 16, v54
	v_mul_f32_e32 v2, v46, v2
	v_and_b32_e32 v54, 0x7f800000, v2
	v_cmp_ne_u32_e64 s[0:1], s18, v54
                                        ; implicit-def: $vgpr54
	s_and_saveexec_b64 s[12:13], s[0:1]
	s_xor_b64 s[0:1], exec, s[12:13]
; %bb.125:                              ;   in Loop: Header=BB173_51 Depth=1
	v_bfe_u32 v54, v2, 16, 1
	v_add3_u32 v54, v2, v54, s20
                                        ; implicit-def: $vgpr2
; %bb.126:                              ;   in Loop: Header=BB173_51 Depth=1
	s_andn2_saveexec_b64 s[12:13], s[0:1]
; %bb.127:                              ;   in Loop: Header=BB173_51 Depth=1
	v_or_b32_e32 v54, 0x10000, v2
	v_cmp_eq_u32_sdwa s[0:1], v2, v17 src0_sel:WORD_0 src1_sel:DWORD
	s_nop 1
	v_cndmask_b32_e64 v54, v54, v2, s[0:1]
; %bb.128:                              ;   in Loop: Header=BB173_51 Depth=1
	s_or_b64 exec, exec, s[12:13]
	v_lshlrev_b32_e32 v2, 16, v3
	v_mul_f32_e32 v2, v47, v2
	v_and_b32_e32 v3, 0x7f800000, v2
	v_cmp_ne_u32_e64 s[0:1], s18, v3
                                        ; implicit-def: $vgpr55
	s_and_saveexec_b64 s[12:13], s[0:1]
	s_xor_b64 s[0:1], exec, s[12:13]
; %bb.129:                              ;   in Loop: Header=BB173_51 Depth=1
	v_bfe_u32 v3, v2, 16, 1
	v_add3_u32 v55, v2, v3, s20
                                        ; implicit-def: $vgpr2
; %bb.130:                              ;   in Loop: Header=BB173_51 Depth=1
	s_andn2_saveexec_b64 s[12:13], s[0:1]
; %bb.131:                              ;   in Loop: Header=BB173_51 Depth=1
	v_or_b32_e32 v3, 0x10000, v2
	v_cmp_eq_u32_sdwa s[0:1], v2, v17 src0_sel:WORD_0 src1_sel:DWORD
	s_nop 1
	v_cndmask_b32_e64 v55, v3, v2, s[0:1]
; %bb.132:                              ;   in Loop: Header=BB173_51 Depth=1
	s_or_b64 exec, exec, s[12:13]
	v_lshlrev_b32_e32 v2, 16, v56
	v_mul_f32_e32 v2, v48, v2
	v_and_b32_e32 v3, 0x7f800000, v2
	v_cmp_ne_u32_e64 s[0:1], s18, v3
                                        ; implicit-def: $vgpr56
	s_and_saveexec_b64 s[12:13], s[0:1]
	s_xor_b64 s[0:1], exec, s[12:13]
; %bb.133:                              ;   in Loop: Header=BB173_51 Depth=1
	v_bfe_u32 v3, v2, 16, 1
	v_add3_u32 v56, v2, v3, s20
                                        ; implicit-def: $vgpr2
; %bb.134:                              ;   in Loop: Header=BB173_51 Depth=1
	s_andn2_saveexec_b64 s[12:13], s[0:1]
; %bb.135:                              ;   in Loop: Header=BB173_51 Depth=1
	v_or_b32_e32 v3, 0x10000, v2
	v_cmp_eq_u32_sdwa s[0:1], v2, v17 src0_sel:WORD_0 src1_sel:DWORD
	s_nop 1
	v_cndmask_b32_e64 v56, v3, v2, s[0:1]
; %bb.136:                              ;   in Loop: Header=BB173_51 Depth=1
	s_or_b64 exec, exec, s[12:13]
	v_lshlrev_b32_e32 v2, 16, v4
	v_mul_f32_e32 v2, v49, v2
	v_and_b32_e32 v3, 0x7f800000, v2
	v_cmp_ne_u32_e64 s[0:1], s18, v3
                                        ; implicit-def: $vgpr57
	s_and_saveexec_b64 s[12:13], s[0:1]
	s_xor_b64 s[0:1], exec, s[12:13]
; %bb.137:                              ;   in Loop: Header=BB173_51 Depth=1
	v_bfe_u32 v3, v2, 16, 1
	v_add3_u32 v57, v2, v3, s20
                                        ; implicit-def: $vgpr2
; %bb.138:                              ;   in Loop: Header=BB173_51 Depth=1
	s_andn2_saveexec_b64 s[12:13], s[0:1]
; %bb.139:                              ;   in Loop: Header=BB173_51 Depth=1
	v_or_b32_e32 v3, 0x10000, v2
	v_cmp_eq_u32_sdwa s[0:1], v2, v17 src0_sel:WORD_0 src1_sel:DWORD
	s_nop 1
	v_cndmask_b32_e64 v57, v3, v2, s[0:1]
; %bb.140:                              ;   in Loop: Header=BB173_51 Depth=1
	s_or_b64 exec, exec, s[12:13]
	v_lshlrev_b32_e32 v2, 16, v58
	v_mul_f32_e32 v2, v50, v2
	v_and_b32_e32 v3, 0x7f800000, v2
	v_cmp_ne_u32_e64 s[0:1], s18, v3
                                        ; implicit-def: $vgpr58
	s_and_saveexec_b64 s[12:13], s[0:1]
	s_xor_b64 s[0:1], exec, s[12:13]
; %bb.141:                              ;   in Loop: Header=BB173_51 Depth=1
	v_bfe_u32 v3, v2, 16, 1
	v_add3_u32 v58, v2, v3, s20
                                        ; implicit-def: $vgpr2
; %bb.142:                              ;   in Loop: Header=BB173_51 Depth=1
	s_andn2_saveexec_b64 s[12:13], s[0:1]
; %bb.143:                              ;   in Loop: Header=BB173_51 Depth=1
	v_or_b32_e32 v3, 0x10000, v2
	v_cmp_eq_u32_sdwa s[0:1], v2, v17 src0_sel:WORD_0 src1_sel:DWORD
	s_nop 1
	v_cndmask_b32_e64 v58, v3, v2, s[0:1]
; %bb.144:                              ;   in Loop: Header=BB173_51 Depth=1
	s_or_b64 exec, exec, s[12:13]
	v_lshlrev_b32_e32 v2, 16, v5
	v_mul_f32_e32 v2, v51, v2
	v_and_b32_e32 v3, 0x7f800000, v2
	v_cmp_ne_u32_e64 s[0:1], s18, v3
                                        ; implicit-def: $vgpr59
	s_and_saveexec_b64 s[12:13], s[0:1]
	s_xor_b64 s[0:1], exec, s[12:13]
; %bb.145:                              ;   in Loop: Header=BB173_51 Depth=1
	v_bfe_u32 v3, v2, 16, 1
	v_add3_u32 v59, v2, v3, s20
                                        ; implicit-def: $vgpr2
; %bb.146:                              ;   in Loop: Header=BB173_51 Depth=1
	s_andn2_saveexec_b64 s[12:13], s[0:1]
; %bb.147:                              ;   in Loop: Header=BB173_51 Depth=1
	v_or_b32_e32 v3, 0x10000, v2
	v_cmp_eq_u32_sdwa s[0:1], v2, v17 src0_sel:WORD_0 src1_sel:DWORD
	s_nop 1
	v_cndmask_b32_e64 v59, v3, v2, s[0:1]
; %bb.148:                              ;   in Loop: Header=BB173_51 Depth=1
	s_or_b64 exec, exec, s[12:13]
	v_lshlrev_b32_e32 v2, 16, v21
	v_mul_f32_e32 v2, v52, v2
	v_and_b32_e32 v3, 0x7f800000, v2
	v_cmp_ne_u32_e64 s[0:1], s18, v3
                                        ; implicit-def: $vgpr60
	s_and_saveexec_b64 s[12:13], s[0:1]
	s_xor_b64 s[0:1], exec, s[12:13]
; %bb.149:                              ;   in Loop: Header=BB173_51 Depth=1
	v_bfe_u32 v3, v2, 16, 1
	v_add3_u32 v60, v2, v3, s20
                                        ; implicit-def: $vgpr2
; %bb.150:                              ;   in Loop: Header=BB173_51 Depth=1
	s_andn2_saveexec_b64 s[12:13], s[0:1]
; %bb.151:                              ;   in Loop: Header=BB173_51 Depth=1
	v_or_b32_e32 v3, 0x10000, v2
	v_cmp_eq_u32_sdwa s[0:1], v2, v17 src0_sel:WORD_0 src1_sel:DWORD
	s_nop 1
	v_cndmask_b32_e64 v60, v3, v2, s[0:1]
; %bb.152:                              ;   in Loop: Header=BB173_51 Depth=1
	s_or_b64 exec, exec, s[12:13]
	global_load_dwordx4 v[2:5], v[8:9], off offset:2048
	s_waitcnt vmcnt(0)
	v_lshrrev_b32_e32 v62, 16, v2
	v_lshrrev_b32_e32 v64, 16, v3
	;; [unrolled: 1-line block ×4, first 2 shown]
	s_and_saveexec_b64 s[12:13], vcc
	s_cbranch_execz .LBB173_154
; %bb.153:                              ;   in Loop: Header=BB173_51 Depth=1
	v_cmp_gt_i32_e64 s[0:1], s33, v37
	s_nop 1
	v_cndmask_b32_e64 v2, 0, v2, s[0:1]
	v_cmp_gt_i32_e64 s[0:1], s33, v44
	s_nop 1
	v_cndmask_b32_e64 v62, 0, v62, s[0:1]
	;; [unrolled: 3-line block ×8, first 2 shown]
.LBB173_154:                            ;   in Loop: Header=BB173_51 Depth=1
	s_or_b64 exec, exec, s[12:13]
	v_lshlrev_b32_e32 v2, 16, v2
	v_mul_f32_e32 v2, v45, v2
	v_and_b32_e32 v61, 0x7f800000, v2
	v_cmp_ne_u32_e64 s[0:1], s18, v61
                                        ; implicit-def: $vgpr61
	s_and_saveexec_b64 s[12:13], s[0:1]
	s_xor_b64 s[0:1], exec, s[12:13]
; %bb.155:                              ;   in Loop: Header=BB173_51 Depth=1
	v_bfe_u32 v61, v2, 16, 1
	v_add3_u32 v61, v2, v61, s20
                                        ; implicit-def: $vgpr2
; %bb.156:                              ;   in Loop: Header=BB173_51 Depth=1
	s_andn2_saveexec_b64 s[12:13], s[0:1]
; %bb.157:                              ;   in Loop: Header=BB173_51 Depth=1
	v_or_b32_e32 v61, 0x10000, v2
	v_cmp_eq_u32_sdwa s[0:1], v2, v17 src0_sel:WORD_0 src1_sel:DWORD
	s_nop 1
	v_cndmask_b32_e64 v61, v61, v2, s[0:1]
; %bb.158:                              ;   in Loop: Header=BB173_51 Depth=1
	s_or_b64 exec, exec, s[12:13]
	v_lshlrev_b32_e32 v2, 16, v62
	v_mul_f32_e32 v2, v46, v2
	v_and_b32_e32 v62, 0x7f800000, v2
	v_cmp_ne_u32_e64 s[0:1], s18, v62
                                        ; implicit-def: $vgpr62
	s_and_saveexec_b64 s[12:13], s[0:1]
	s_xor_b64 s[0:1], exec, s[12:13]
; %bb.159:                              ;   in Loop: Header=BB173_51 Depth=1
	v_bfe_u32 v62, v2, 16, 1
	v_add3_u32 v62, v2, v62, s20
                                        ; implicit-def: $vgpr2
; %bb.160:                              ;   in Loop: Header=BB173_51 Depth=1
	s_andn2_saveexec_b64 s[12:13], s[0:1]
; %bb.161:                              ;   in Loop: Header=BB173_51 Depth=1
	v_or_b32_e32 v62, 0x10000, v2
	v_cmp_eq_u32_sdwa s[0:1], v2, v17 src0_sel:WORD_0 src1_sel:DWORD
	s_nop 1
	v_cndmask_b32_e64 v62, v62, v2, s[0:1]
; %bb.162:                              ;   in Loop: Header=BB173_51 Depth=1
	s_or_b64 exec, exec, s[12:13]
	v_lshlrev_b32_e32 v2, 16, v3
	v_mul_f32_e32 v2, v47, v2
	v_and_b32_e32 v3, 0x7f800000, v2
	v_cmp_ne_u32_e64 s[0:1], s18, v3
                                        ; implicit-def: $vgpr63
	s_and_saveexec_b64 s[12:13], s[0:1]
	s_xor_b64 s[0:1], exec, s[12:13]
; %bb.163:                              ;   in Loop: Header=BB173_51 Depth=1
	v_bfe_u32 v3, v2, 16, 1
	v_add3_u32 v63, v2, v3, s20
                                        ; implicit-def: $vgpr2
; %bb.164:                              ;   in Loop: Header=BB173_51 Depth=1
	s_andn2_saveexec_b64 s[12:13], s[0:1]
; %bb.165:                              ;   in Loop: Header=BB173_51 Depth=1
	v_or_b32_e32 v3, 0x10000, v2
	v_cmp_eq_u32_sdwa s[0:1], v2, v17 src0_sel:WORD_0 src1_sel:DWORD
	s_nop 1
	v_cndmask_b32_e64 v63, v3, v2, s[0:1]
; %bb.166:                              ;   in Loop: Header=BB173_51 Depth=1
	s_or_b64 exec, exec, s[12:13]
	v_lshlrev_b32_e32 v2, 16, v64
	v_mul_f32_e32 v2, v48, v2
	v_and_b32_e32 v3, 0x7f800000, v2
	v_cmp_ne_u32_e64 s[0:1], s18, v3
                                        ; implicit-def: $vgpr64
	s_and_saveexec_b64 s[12:13], s[0:1]
	s_xor_b64 s[0:1], exec, s[12:13]
; %bb.167:                              ;   in Loop: Header=BB173_51 Depth=1
	v_bfe_u32 v3, v2, 16, 1
	v_add3_u32 v64, v2, v3, s20
                                        ; implicit-def: $vgpr2
; %bb.168:                              ;   in Loop: Header=BB173_51 Depth=1
	s_andn2_saveexec_b64 s[12:13], s[0:1]
; %bb.169:                              ;   in Loop: Header=BB173_51 Depth=1
	v_or_b32_e32 v3, 0x10000, v2
	v_cmp_eq_u32_sdwa s[0:1], v2, v17 src0_sel:WORD_0 src1_sel:DWORD
	s_nop 1
	v_cndmask_b32_e64 v64, v3, v2, s[0:1]
; %bb.170:                              ;   in Loop: Header=BB173_51 Depth=1
	s_or_b64 exec, exec, s[12:13]
	v_lshlrev_b32_e32 v2, 16, v4
	v_mul_f32_e32 v2, v49, v2
	v_and_b32_e32 v3, 0x7f800000, v2
	v_cmp_ne_u32_e64 s[0:1], s18, v3
                                        ; implicit-def: $vgpr65
	s_and_saveexec_b64 s[12:13], s[0:1]
	s_xor_b64 s[0:1], exec, s[12:13]
; %bb.171:                              ;   in Loop: Header=BB173_51 Depth=1
	v_bfe_u32 v3, v2, 16, 1
	v_add3_u32 v65, v2, v3, s20
                                        ; implicit-def: $vgpr2
; %bb.172:                              ;   in Loop: Header=BB173_51 Depth=1
	s_andn2_saveexec_b64 s[12:13], s[0:1]
; %bb.173:                              ;   in Loop: Header=BB173_51 Depth=1
	v_or_b32_e32 v3, 0x10000, v2
	v_cmp_eq_u32_sdwa s[0:1], v2, v17 src0_sel:WORD_0 src1_sel:DWORD
	s_nop 1
	v_cndmask_b32_e64 v65, v3, v2, s[0:1]
; %bb.174:                              ;   in Loop: Header=BB173_51 Depth=1
	s_or_b64 exec, exec, s[12:13]
	v_lshlrev_b32_e32 v2, 16, v66
	v_mul_f32_e32 v2, v50, v2
	v_and_b32_e32 v3, 0x7f800000, v2
	v_cmp_ne_u32_e64 s[0:1], s18, v3
                                        ; implicit-def: $vgpr66
	s_and_saveexec_b64 s[12:13], s[0:1]
	s_xor_b64 s[0:1], exec, s[12:13]
; %bb.175:                              ;   in Loop: Header=BB173_51 Depth=1
	v_bfe_u32 v3, v2, 16, 1
	v_add3_u32 v66, v2, v3, s20
                                        ; implicit-def: $vgpr2
; %bb.176:                              ;   in Loop: Header=BB173_51 Depth=1
	s_andn2_saveexec_b64 s[12:13], s[0:1]
; %bb.177:                              ;   in Loop: Header=BB173_51 Depth=1
	v_or_b32_e32 v3, 0x10000, v2
	v_cmp_eq_u32_sdwa s[0:1], v2, v17 src0_sel:WORD_0 src1_sel:DWORD
	s_nop 1
	v_cndmask_b32_e64 v66, v3, v2, s[0:1]
; %bb.178:                              ;   in Loop: Header=BB173_51 Depth=1
	s_or_b64 exec, exec, s[12:13]
	v_lshlrev_b32_e32 v2, 16, v5
	v_mul_f32_e32 v2, v51, v2
	v_and_b32_e32 v3, 0x7f800000, v2
	v_cmp_ne_u32_e64 s[0:1], s18, v3
                                        ; implicit-def: $vgpr67
	s_and_saveexec_b64 s[12:13], s[0:1]
	s_xor_b64 s[0:1], exec, s[12:13]
; %bb.179:                              ;   in Loop: Header=BB173_51 Depth=1
	v_bfe_u32 v3, v2, 16, 1
	v_add3_u32 v67, v2, v3, s20
                                        ; implicit-def: $vgpr2
; %bb.180:                              ;   in Loop: Header=BB173_51 Depth=1
	s_andn2_saveexec_b64 s[12:13], s[0:1]
; %bb.181:                              ;   in Loop: Header=BB173_51 Depth=1
	v_or_b32_e32 v3, 0x10000, v2
	v_cmp_eq_u32_sdwa s[0:1], v2, v17 src0_sel:WORD_0 src1_sel:DWORD
	s_nop 1
	v_cndmask_b32_e64 v67, v3, v2, s[0:1]
; %bb.182:                              ;   in Loop: Header=BB173_51 Depth=1
	s_or_b64 exec, exec, s[12:13]
	v_lshlrev_b32_e32 v2, 16, v21
	v_mul_f32_e32 v2, v52, v2
	v_and_b32_e32 v3, 0x7f800000, v2
	v_cmp_ne_u32_e64 s[0:1], s18, v3
                                        ; implicit-def: $vgpr68
	s_and_saveexec_b64 s[12:13], s[0:1]
	s_xor_b64 s[0:1], exec, s[12:13]
; %bb.183:                              ;   in Loop: Header=BB173_51 Depth=1
	v_bfe_u32 v3, v2, 16, 1
	v_add3_u32 v68, v2, v3, s20
                                        ; implicit-def: $vgpr2
; %bb.184:                              ;   in Loop: Header=BB173_51 Depth=1
	s_andn2_saveexec_b64 s[12:13], s[0:1]
; %bb.185:                              ;   in Loop: Header=BB173_51 Depth=1
	v_or_b32_e32 v3, 0x10000, v2
	v_cmp_eq_u32_sdwa s[0:1], v2, v17 src0_sel:WORD_0 src1_sel:DWORD
	s_nop 1
	v_cndmask_b32_e64 v68, v3, v2, s[0:1]
; %bb.186:                              ;   in Loop: Header=BB173_51 Depth=1
	s_or_b64 exec, exec, s[12:13]
	global_load_dwordx4 v[2:5], v[8:9], off offset:3072
	s_waitcnt vmcnt(0)
	v_lshrrev_b32_e32 v9, 16, v2
	v_lshrrev_b32_e32 v70, 16, v3
	;; [unrolled: 1-line block ×4, first 2 shown]
	s_and_saveexec_b64 s[12:13], vcc
	s_cbranch_execz .LBB173_188
; %bb.187:                              ;   in Loop: Header=BB173_51 Depth=1
	v_cmp_gt_i32_e64 s[0:1], s33, v37
	s_nop 1
	v_cndmask_b32_e64 v2, 0, v2, s[0:1]
	v_cmp_gt_i32_e64 s[0:1], s33, v44
	s_nop 1
	v_cndmask_b32_e64 v9, 0, v9, s[0:1]
	v_cmp_gt_i32_e64 s[0:1], s33, v43
	s_nop 1
	v_cndmask_b32_e64 v3, 0, v3, s[0:1]
	v_cmp_gt_i32_e64 s[0:1], s33, v41
	s_nop 1
	v_cndmask_b32_e64 v70, 0, v70, s[0:1]
	v_cmp_gt_i32_e64 s[0:1], s33, v40
	s_nop 1
	v_cndmask_b32_e64 v4, 0, v4, s[0:1]
	v_cmp_gt_i32_e64 s[0:1], s33, v39
	s_nop 1
	v_cndmask_b32_e64 v72, 0, v72, s[0:1]
	v_cmp_gt_i32_e64 s[0:1], s33, v38
	s_nop 1
	v_cndmask_b32_e64 v5, 0, v5, s[0:1]
	v_cmp_gt_i32_e64 s[0:1], s33, v42
	s_nop 1
	v_cndmask_b32_e64 v21, 0, v21, s[0:1]
.LBB173_188:                            ;   in Loop: Header=BB173_51 Depth=1
	s_or_b64 exec, exec, s[12:13]
	v_lshlrev_b32_e32 v2, 16, v2
	v_mul_f32_e32 v2, v45, v2
	v_and_b32_e32 v8, 0x7f800000, v2
	v_cmp_ne_u32_e64 s[0:1], s18, v8
                                        ; implicit-def: $vgpr8
	s_and_saveexec_b64 s[12:13], s[0:1]
	s_xor_b64 s[0:1], exec, s[12:13]
; %bb.189:                              ;   in Loop: Header=BB173_51 Depth=1
	v_bfe_u32 v8, v2, 16, 1
	v_add3_u32 v8, v2, v8, s20
                                        ; implicit-def: $vgpr2
; %bb.190:                              ;   in Loop: Header=BB173_51 Depth=1
	s_andn2_saveexec_b64 s[12:13], s[0:1]
; %bb.191:                              ;   in Loop: Header=BB173_51 Depth=1
	v_or_b32_e32 v8, 0x10000, v2
	v_cmp_eq_u32_sdwa s[0:1], v2, v17 src0_sel:WORD_0 src1_sel:DWORD
	s_nop 1
	v_cndmask_b32_e64 v8, v8, v2, s[0:1]
; %bb.192:                              ;   in Loop: Header=BB173_51 Depth=1
	s_or_b64 exec, exec, s[12:13]
	v_lshlrev_b32_e32 v2, 16, v9
	v_mul_f32_e32 v2, v46, v2
	v_and_b32_e32 v9, 0x7f800000, v2
	v_cmp_ne_u32_e64 s[0:1], s18, v9
                                        ; implicit-def: $vgpr9
	s_and_saveexec_b64 s[12:13], s[0:1]
	s_xor_b64 s[0:1], exec, s[12:13]
; %bb.193:                              ;   in Loop: Header=BB173_51 Depth=1
	v_bfe_u32 v9, v2, 16, 1
	v_add3_u32 v9, v2, v9, s20
                                        ; implicit-def: $vgpr2
; %bb.194:                              ;   in Loop: Header=BB173_51 Depth=1
	s_andn2_saveexec_b64 s[12:13], s[0:1]
; %bb.195:                              ;   in Loop: Header=BB173_51 Depth=1
	v_or_b32_e32 v9, 0x10000, v2
	v_cmp_eq_u32_sdwa s[0:1], v2, v17 src0_sel:WORD_0 src1_sel:DWORD
	s_nop 1
	v_cndmask_b32_e64 v9, v9, v2, s[0:1]
; %bb.196:                              ;   in Loop: Header=BB173_51 Depth=1
	s_or_b64 exec, exec, s[12:13]
	v_lshlrev_b32_e32 v2, 16, v3
	v_mul_f32_e32 v2, v47, v2
	v_and_b32_e32 v3, 0x7f800000, v2
	v_cmp_ne_u32_e64 s[0:1], s18, v3
                                        ; implicit-def: $vgpr69
	s_and_saveexec_b64 s[12:13], s[0:1]
	s_xor_b64 s[0:1], exec, s[12:13]
; %bb.197:                              ;   in Loop: Header=BB173_51 Depth=1
	v_bfe_u32 v3, v2, 16, 1
	v_add3_u32 v69, v2, v3, s20
                                        ; implicit-def: $vgpr2
; %bb.198:                              ;   in Loop: Header=BB173_51 Depth=1
	s_andn2_saveexec_b64 s[12:13], s[0:1]
; %bb.199:                              ;   in Loop: Header=BB173_51 Depth=1
	v_or_b32_e32 v3, 0x10000, v2
	v_cmp_eq_u32_sdwa s[0:1], v2, v17 src0_sel:WORD_0 src1_sel:DWORD
	s_nop 1
	v_cndmask_b32_e64 v69, v3, v2, s[0:1]
; %bb.200:                              ;   in Loop: Header=BB173_51 Depth=1
	s_or_b64 exec, exec, s[12:13]
	v_lshlrev_b32_e32 v2, 16, v70
	v_mul_f32_e32 v2, v48, v2
	v_and_b32_e32 v3, 0x7f800000, v2
	v_cmp_ne_u32_e64 s[0:1], s18, v3
                                        ; implicit-def: $vgpr70
	s_and_saveexec_b64 s[12:13], s[0:1]
	s_xor_b64 s[0:1], exec, s[12:13]
; %bb.201:                              ;   in Loop: Header=BB173_51 Depth=1
	v_bfe_u32 v3, v2, 16, 1
	v_add3_u32 v70, v2, v3, s20
                                        ; implicit-def: $vgpr2
; %bb.202:                              ;   in Loop: Header=BB173_51 Depth=1
	s_andn2_saveexec_b64 s[12:13], s[0:1]
; %bb.203:                              ;   in Loop: Header=BB173_51 Depth=1
	v_or_b32_e32 v3, 0x10000, v2
	v_cmp_eq_u32_sdwa s[0:1], v2, v17 src0_sel:WORD_0 src1_sel:DWORD
	s_nop 1
	v_cndmask_b32_e64 v70, v3, v2, s[0:1]
; %bb.204:                              ;   in Loop: Header=BB173_51 Depth=1
	s_or_b64 exec, exec, s[12:13]
	v_lshlrev_b32_e32 v2, 16, v4
	v_mul_f32_e32 v2, v49, v2
	v_and_b32_e32 v3, 0x7f800000, v2
	v_cmp_ne_u32_e64 s[0:1], s18, v3
                                        ; implicit-def: $vgpr71
	s_and_saveexec_b64 s[12:13], s[0:1]
	s_xor_b64 s[0:1], exec, s[12:13]
; %bb.205:                              ;   in Loop: Header=BB173_51 Depth=1
	v_bfe_u32 v3, v2, 16, 1
	v_add3_u32 v71, v2, v3, s20
                                        ; implicit-def: $vgpr2
; %bb.206:                              ;   in Loop: Header=BB173_51 Depth=1
	s_andn2_saveexec_b64 s[12:13], s[0:1]
; %bb.207:                              ;   in Loop: Header=BB173_51 Depth=1
	v_or_b32_e32 v3, 0x10000, v2
	v_cmp_eq_u32_sdwa s[0:1], v2, v17 src0_sel:WORD_0 src1_sel:DWORD
	s_nop 1
	v_cndmask_b32_e64 v71, v3, v2, s[0:1]
; %bb.208:                              ;   in Loop: Header=BB173_51 Depth=1
	s_or_b64 exec, exec, s[12:13]
	v_lshlrev_b32_e32 v2, 16, v72
	v_mul_f32_e32 v2, v50, v2
	v_and_b32_e32 v3, 0x7f800000, v2
	v_cmp_ne_u32_e64 s[0:1], s18, v3
                                        ; implicit-def: $vgpr72
	s_and_saveexec_b64 s[12:13], s[0:1]
	s_xor_b64 s[0:1], exec, s[12:13]
; %bb.209:                              ;   in Loop: Header=BB173_51 Depth=1
	v_bfe_u32 v3, v2, 16, 1
	v_add3_u32 v72, v2, v3, s20
                                        ; implicit-def: $vgpr2
; %bb.210:                              ;   in Loop: Header=BB173_51 Depth=1
	s_andn2_saveexec_b64 s[12:13], s[0:1]
; %bb.211:                              ;   in Loop: Header=BB173_51 Depth=1
	v_or_b32_e32 v3, 0x10000, v2
	v_cmp_eq_u32_sdwa s[0:1], v2, v17 src0_sel:WORD_0 src1_sel:DWORD
	s_nop 1
	v_cndmask_b32_e64 v72, v3, v2, s[0:1]
; %bb.212:                              ;   in Loop: Header=BB173_51 Depth=1
	s_or_b64 exec, exec, s[12:13]
	v_lshlrev_b32_e32 v2, 16, v5
	v_mul_f32_e32 v2, v51, v2
	v_and_b32_e32 v3, 0x7f800000, v2
	v_cmp_ne_u32_e64 s[0:1], s18, v3
                                        ; implicit-def: $vgpr73
	s_and_saveexec_b64 s[12:13], s[0:1]
	s_xor_b64 s[0:1], exec, s[12:13]
; %bb.213:                              ;   in Loop: Header=BB173_51 Depth=1
	v_bfe_u32 v3, v2, 16, 1
	v_add3_u32 v73, v2, v3, s20
                                        ; implicit-def: $vgpr2
; %bb.214:                              ;   in Loop: Header=BB173_51 Depth=1
	s_andn2_saveexec_b64 s[12:13], s[0:1]
; %bb.215:                              ;   in Loop: Header=BB173_51 Depth=1
	v_or_b32_e32 v3, 0x10000, v2
	v_cmp_eq_u32_sdwa s[0:1], v2, v17 src0_sel:WORD_0 src1_sel:DWORD
	s_nop 1
	v_cndmask_b32_e64 v73, v3, v2, s[0:1]
; %bb.216:                              ;   in Loop: Header=BB173_51 Depth=1
	s_or_b64 exec, exec, s[12:13]
	v_lshlrev_b32_e32 v2, 16, v21
	v_mul_f32_e32 v2, v52, v2
	v_and_b32_e32 v3, 0x7f800000, v2
	v_cmp_ne_u32_e64 s[0:1], s18, v3
                                        ; implicit-def: $vgpr74
	s_and_saveexec_b64 s[12:13], s[0:1]
	s_xor_b64 s[0:1], exec, s[12:13]
; %bb.217:                              ;   in Loop: Header=BB173_51 Depth=1
	v_bfe_u32 v3, v2, 16, 1
	v_add3_u32 v74, v2, v3, s20
                                        ; implicit-def: $vgpr2
; %bb.218:                              ;   in Loop: Header=BB173_51 Depth=1
	s_andn2_saveexec_b64 s[12:13], s[0:1]
; %bb.219:                              ;   in Loop: Header=BB173_51 Depth=1
	v_or_b32_e32 v3, 0x10000, v2
	v_cmp_eq_u32_sdwa s[0:1], v2, v17 src0_sel:WORD_0 src1_sel:DWORD
	s_nop 1
	v_cndmask_b32_e64 v74, v3, v2, s[0:1]
; %bb.220:                              ;   in Loop: Header=BB173_51 Depth=1
	s_or_b64 exec, exec, s[12:13]
	v_mov_b32_e32 v21, v17
	v_lshl_add_u64 v[2:3], v[6:7], 0, v[20:21]
	global_load_dwordx4 v[2:5], v[2:3], off
	s_waitcnt vmcnt(0)
	v_lshrrev_b32_e32 v6, 16, v2
	v_lshrrev_b32_e32 v21, 16, v3
	;; [unrolled: 1-line block ×4, first 2 shown]
	s_and_saveexec_b64 s[0:1], vcc
	s_cbranch_execz .LBB173_222
; %bb.221:                              ;   in Loop: Header=BB173_51 Depth=1
	v_cmp_gt_i32_e32 vcc, s33, v37
	s_nop 1
	v_cndmask_b32_e32 v2, 0, v2, vcc
	v_cmp_gt_i32_e32 vcc, s33, v44
	s_nop 1
	v_cndmask_b32_e32 v6, 0, v6, vcc
	;; [unrolled: 3-line block ×8, first 2 shown]
.LBB173_222:                            ;   in Loop: Header=BB173_51 Depth=1
	s_or_b64 exec, exec, s[0:1]
	v_lshlrev_b32_e32 v2, 16, v2
	v_mul_f32_e32 v37, v45, v2
	v_and_b32_e32 v2, 0x7f800000, v37
	v_cmp_ne_u32_e32 vcc, s18, v2
                                        ; implicit-def: $vgpr2
	s_and_saveexec_b64 s[0:1], vcc
	s_xor_b64 s[0:1], exec, s[0:1]
; %bb.223:                              ;   in Loop: Header=BB173_51 Depth=1
	v_bfe_u32 v2, v37, 16, 1
	v_add3_u32 v2, v37, v2, s20
                                        ; implicit-def: $vgpr37
; %bb.224:                              ;   in Loop: Header=BB173_51 Depth=1
	s_andn2_saveexec_b64 s[0:1], s[0:1]
; %bb.225:                              ;   in Loop: Header=BB173_51 Depth=1
	v_or_b32_e32 v2, 0x10000, v37
	v_cmp_eq_u32_sdwa vcc, v37, v17 src0_sel:WORD_0 src1_sel:DWORD
	s_nop 1
	v_cndmask_b32_e32 v2, v2, v37, vcc
; %bb.226:                              ;   in Loop: Header=BB173_51 Depth=1
	s_or_b64 exec, exec, s[0:1]
	v_lshlrev_b32_e32 v6, 16, v6
	v_mul_f32_e32 v37, v46, v6
	v_and_b32_e32 v6, 0x7f800000, v37
	v_cmp_ne_u32_e32 vcc, s18, v6
                                        ; implicit-def: $vgpr6
	s_and_saveexec_b64 s[0:1], vcc
	s_xor_b64 s[0:1], exec, s[0:1]
; %bb.227:                              ;   in Loop: Header=BB173_51 Depth=1
	v_bfe_u32 v6, v37, 16, 1
	v_add3_u32 v6, v37, v6, s20
                                        ; implicit-def: $vgpr37
; %bb.228:                              ;   in Loop: Header=BB173_51 Depth=1
	s_andn2_saveexec_b64 s[0:1], s[0:1]
; %bb.229:                              ;   in Loop: Header=BB173_51 Depth=1
	v_or_b32_e32 v6, 0x10000, v37
	v_cmp_eq_u32_sdwa vcc, v37, v17 src0_sel:WORD_0 src1_sel:DWORD
	s_nop 1
	v_cndmask_b32_e32 v6, v6, v37, vcc
; %bb.230:                              ;   in Loop: Header=BB173_51 Depth=1
	s_or_b64 exec, exec, s[0:1]
	v_lshlrev_b32_e32 v3, 16, v3
	v_mul_f32_e32 v37, v47, v3
	v_and_b32_e32 v3, 0x7f800000, v37
	v_cmp_ne_u32_e32 vcc, s18, v3
                                        ; implicit-def: $vgpr3
	s_and_saveexec_b64 s[0:1], vcc
	s_xor_b64 s[0:1], exec, s[0:1]
; %bb.231:                              ;   in Loop: Header=BB173_51 Depth=1
	v_bfe_u32 v3, v37, 16, 1
	v_add3_u32 v3, v37, v3, s20
                                        ; implicit-def: $vgpr37
; %bb.232:                              ;   in Loop: Header=BB173_51 Depth=1
	s_andn2_saveexec_b64 s[0:1], s[0:1]
; %bb.233:                              ;   in Loop: Header=BB173_51 Depth=1
	v_or_b32_e32 v3, 0x10000, v37
	v_cmp_eq_u32_sdwa vcc, v37, v17 src0_sel:WORD_0 src1_sel:DWORD
	s_nop 1
	v_cndmask_b32_e32 v3, v3, v37, vcc
; %bb.234:                              ;   in Loop: Header=BB173_51 Depth=1
	s_or_b64 exec, exec, s[0:1]
	v_lshlrev_b32_e32 v21, 16, v21
	v_mul_f32_e32 v37, v48, v21
	v_and_b32_e32 v21, 0x7f800000, v37
	v_cmp_ne_u32_e32 vcc, s18, v21
                                        ; implicit-def: $vgpr21
	s_and_saveexec_b64 s[0:1], vcc
	s_xor_b64 s[0:1], exec, s[0:1]
; %bb.235:                              ;   in Loop: Header=BB173_51 Depth=1
	v_bfe_u32 v21, v37, 16, 1
	v_add3_u32 v21, v37, v21, s20
                                        ; implicit-def: $vgpr37
; %bb.236:                              ;   in Loop: Header=BB173_51 Depth=1
	s_andn2_saveexec_b64 s[0:1], s[0:1]
; %bb.237:                              ;   in Loop: Header=BB173_51 Depth=1
	v_or_b32_e32 v21, 0x10000, v37
	v_cmp_eq_u32_sdwa vcc, v37, v17 src0_sel:WORD_0 src1_sel:DWORD
	s_nop 1
	v_cndmask_b32_e32 v21, v21, v37, vcc
; %bb.238:                              ;   in Loop: Header=BB173_51 Depth=1
	s_or_b64 exec, exec, s[0:1]
	v_lshlrev_b32_e32 v4, 16, v4
	v_mul_f32_e32 v37, v49, v4
	v_and_b32_e32 v4, 0x7f800000, v37
	v_cmp_ne_u32_e32 vcc, s18, v4
                                        ; implicit-def: $vgpr4
	s_and_saveexec_b64 s[0:1], vcc
	s_xor_b64 s[0:1], exec, s[0:1]
; %bb.239:                              ;   in Loop: Header=BB173_51 Depth=1
	v_bfe_u32 v4, v37, 16, 1
	v_add3_u32 v4, v37, v4, s20
                                        ; implicit-def: $vgpr37
; %bb.240:                              ;   in Loop: Header=BB173_51 Depth=1
	s_andn2_saveexec_b64 s[0:1], s[0:1]
; %bb.241:                              ;   in Loop: Header=BB173_51 Depth=1
	v_or_b32_e32 v4, 0x10000, v37
	v_cmp_eq_u32_sdwa vcc, v37, v17 src0_sel:WORD_0 src1_sel:DWORD
	s_nop 1
	v_cndmask_b32_e32 v4, v4, v37, vcc
; %bb.242:                              ;   in Loop: Header=BB173_51 Depth=1
	s_or_b64 exec, exec, s[0:1]
	v_lshlrev_b32_e32 v37, 16, v75
	v_mul_f32_e32 v38, v50, v37
	v_and_b32_e32 v37, 0x7f800000, v38
	v_cmp_ne_u32_e32 vcc, s18, v37
                                        ; implicit-def: $vgpr37
	s_and_saveexec_b64 s[0:1], vcc
	s_xor_b64 s[0:1], exec, s[0:1]
; %bb.243:                              ;   in Loop: Header=BB173_51 Depth=1
	v_bfe_u32 v37, v38, 16, 1
	v_add3_u32 v37, v38, v37, s20
                                        ; implicit-def: $vgpr38
; %bb.244:                              ;   in Loop: Header=BB173_51 Depth=1
	s_andn2_saveexec_b64 s[0:1], s[0:1]
; %bb.245:                              ;   in Loop: Header=BB173_51 Depth=1
	v_or_b32_e32 v37, 0x10000, v38
	v_cmp_eq_u32_sdwa vcc, v38, v17 src0_sel:WORD_0 src1_sel:DWORD
	s_nop 1
	v_cndmask_b32_e32 v37, v37, v38, vcc
; %bb.246:                              ;   in Loop: Header=BB173_51 Depth=1
	s_or_b64 exec, exec, s[0:1]
	v_lshlrev_b32_e32 v5, 16, v5
	v_mul_f32_e32 v38, v51, v5
	v_and_b32_e32 v5, 0x7f800000, v38
	v_cmp_ne_u32_e32 vcc, s18, v5
                                        ; implicit-def: $vgpr5
	s_and_saveexec_b64 s[0:1], vcc
	s_xor_b64 s[0:1], exec, s[0:1]
; %bb.247:                              ;   in Loop: Header=BB173_51 Depth=1
	v_bfe_u32 v5, v38, 16, 1
	v_add3_u32 v5, v38, v5, s20
                                        ; implicit-def: $vgpr38
; %bb.248:                              ;   in Loop: Header=BB173_51 Depth=1
	s_andn2_saveexec_b64 s[0:1], s[0:1]
; %bb.249:                              ;   in Loop: Header=BB173_51 Depth=1
	v_or_b32_e32 v5, 0x10000, v38
	v_cmp_eq_u32_sdwa vcc, v38, v17 src0_sel:WORD_0 src1_sel:DWORD
	s_nop 1
	v_cndmask_b32_e32 v5, v5, v38, vcc
; %bb.250:                              ;   in Loop: Header=BB173_51 Depth=1
	s_or_b64 exec, exec, s[0:1]
	v_lshlrev_b32_e32 v7, 16, v7
	v_mul_f32_e32 v38, v52, v7
	v_and_b32_e32 v7, 0x7f800000, v38
	v_cmp_ne_u32_e32 vcc, s18, v7
                                        ; implicit-def: $vgpr7
	s_and_saveexec_b64 s[0:1], vcc
	s_xor_b64 s[0:1], exec, s[0:1]
; %bb.251:                              ;   in Loop: Header=BB173_51 Depth=1
	v_bfe_u32 v7, v38, 16, 1
	v_add3_u32 v7, v38, v7, s20
                                        ; implicit-def: $vgpr38
; %bb.252:                              ;   in Loop: Header=BB173_51 Depth=1
	s_andn2_saveexec_b64 s[0:1], s[0:1]
	s_cbranch_execz .LBB173_49
; %bb.253:                              ;   in Loop: Header=BB173_51 Depth=1
	v_or_b32_e32 v7, 0x10000, v38
	v_cmp_eq_u32_sdwa vcc, v38, v17 src0_sel:WORD_0 src1_sel:DWORD
	s_nop 1
	v_cndmask_b32_e32 v7, v7, v38, vcc
	s_branch .LBB173_49
.LBB173_254:
	s_or_b64 exec, exec, s[8:9]
.LBB173_255:
	s_or_b64 exec, exec, s[2:3]
	ds_bpermute_b32 v2, v23, v14
	ds_bpermute_b32 v3, v23, v15
	ds_bpermute_b32 v4, v23, v12
	ds_bpermute_b32 v5, v23, v13
	ds_bpermute_b32 v1, v23, v26
	s_waitcnt lgkmcnt(0)
	v_pk_add_f32 v[2:3], v[14:15], v[2:3]
	ds_bpermute_b32 v6, v24, v2
	v_pk_add_f32 v[4:5], v[12:13], v[4:5]
	v_add_f32_e32 v1, v26, v1
	ds_bpermute_b32 v7, v24, v3
	ds_bpermute_b32 v8, v24, v4
	;; [unrolled: 1-line block ×4, first 2 shown]
	s_barrier
	s_waitcnt lgkmcnt(3)
	v_pk_add_f32 v[6:7], v[2:3], v[6:7]
	s_waitcnt lgkmcnt(0)
	v_pk_add_f32 v[2:3], v[4:5], v[8:9]
	v_add_f32_e32 v4, v1, v10
	v_and_b32_e32 v1, 0x3c3, v0
	v_cmp_eq_u32_e32 vcc, 64, v1
	s_and_saveexec_b64 s[0:1], vcc
	s_cbranch_execz .LBB173_257
; %bb.256:
	v_add_u32_e32 v1, 0xb0, v22
	ds_write2_b32 v1, v6, v7 offset1:16
	ds_write2_b32 v1, v2, v3 offset0:32 offset1:48
	ds_write_b32 v1, v4 offset:256
.LBB173_257:
	s_or_b64 exec, exec, s[0:1]
	v_cmp_gt_u32_e32 vcc, 64, v0
	s_waitcnt lgkmcnt(0)
	s_barrier
	s_and_saveexec_b64 s[2:3], vcc
	s_cbranch_execz .LBB173_265
; %bb.258:
	v_cmp_eq_u32_e64 s[0:1], 0, v25
	v_lshrrev_b32_e32 v1, 2, v0
	s_and_saveexec_b64 s[6:7], s[0:1]
	s_cbranch_execnz .LBB173_289
; %bb.259:
	s_or_b64 exec, exec, s[6:7]
	s_and_saveexec_b64 s[6:7], s[0:1]
	s_cbranch_execnz .LBB173_290
.LBB173_260:
	s_or_b64 exec, exec, s[6:7]
	s_and_saveexec_b64 s[6:7], s[0:1]
	s_cbranch_execnz .LBB173_291
.LBB173_261:
	s_or_b64 exec, exec, s[6:7]
	s_and_saveexec_b64 s[6:7], s[0:1]
	s_cbranch_execnz .LBB173_292
.LBB173_262:
	s_or_b64 exec, exec, s[6:7]
	s_and_saveexec_b64 s[6:7], s[0:1]
	s_cbranch_execz .LBB173_264
.LBB173_263:
	v_mov_b32_e32 v5, 0xb0
	v_lshl_add_u32 v1, v1, 2, v5
	ds_read_b32 v1, v1 offset:256
	s_waitcnt lgkmcnt(0)
	v_add_f32_e32 v4, v4, v1
.LBB173_264:
	s_or_b64 exec, exec, s[6:7]
.LBB173_265:
	s_or_b64 exec, exec, s[2:3]
	s_barrier
	s_and_saveexec_b64 s[0:1], vcc
	s_cbranch_execz .LBB173_288
; %bb.266:
	v_cmp_eq_u32_e32 vcc, 0, v25
	s_and_b64 exec, exec, vcc
	s_cbranch_execz .LBB173_288
; %bb.267:
	s_mov_b32 s0, 0x7f800000
	v_and_b32_e32 v1, 0x7f800000, v6
	v_cmp_ne_u32_e32 vcc, s0, v1
                                        ; implicit-def: $vgpr5
	s_and_saveexec_b64 s[0:1], vcc
	s_xor_b64 s[0:1], exec, s[0:1]
; %bb.268:
	v_bfe_u32 v1, v6, 16, 1
	s_movk_i32 s2, 0x7fff
	v_add3_u32 v5, v6, v1, s2
; %bb.269:
	s_andn2_saveexec_b64 s[0:1], s[0:1]
; %bb.270:
	v_mov_b32_e32 v1, 0
	v_or_b32_e32 v5, 0x10000, v6
	v_cmp_eq_u32_sdwa vcc, v6, v1 src0_sel:WORD_0 src1_sel:DWORD
	s_nop 1
	v_cndmask_b32_e32 v5, v5, v6, vcc
; %bb.271:
	s_or_b64 exec, exec, s[0:1]
	s_mul_i32 s0, s16, s24
	s_mul_i32 s0, s0, s25
	s_mulk_i32 s0, 0x50
	s_ashr_i32 s1, s0, 31
	s_lshl_b64 s[0:1], s[0:1], 1
	s_add_u32 s2, s28, s0
	s_mul_i32 s0, s16, s26
	s_addc_u32 s3, s29, s1
	s_ashr_i32 s1, s0, 31
	s_lshl_b64 s[0:1], s[0:1], 1
	s_add_u32 s2, s2, s0
	s_mul_i32 s0, s4, 0x50
	s_addc_u32 s3, s3, s1
	s_ashr_i32 s1, s0, 31
	s_lshl_b64 s[0:1], s[0:1], 1
	s_add_u32 s0, s2, s0
	v_lshrrev_b32_e32 v0, 1, v0
	s_addc_u32 s1, s3, s1
	v_and_b32_e32 v0, 0x1fe, v0
	global_store_short_d16_hi v0, v5, s[0:1]
	s_mov_b32 s2, 0x7f800000
	v_and_b32_e32 v5, 0x7f800000, v7
	v_mov_b32_e32 v1, 0
	v_cmp_ne_u32_e32 vcc, s2, v5
                                        ; implicit-def: $vgpr5
	s_and_saveexec_b64 s[2:3], vcc
	s_xor_b64 s[2:3], exec, s[2:3]
; %bb.272:
	v_bfe_u32 v5, v7, 16, 1
	s_movk_i32 s4, 0x7fff
	v_add3_u32 v5, v7, v5, s4
; %bb.273:
	s_or_saveexec_b64 s[2:3], s[2:3]
	v_lshl_add_u64 v[8:9], s[0:1], 0, v[0:1]
	s_xor_b64 exec, exec, s[2:3]
; %bb.274:
	v_mov_b32_e32 v0, 0
	v_or_b32_e32 v1, 0x10000, v7
	v_cmp_eq_u32_sdwa vcc, v7, v0 src0_sel:WORD_0 src1_sel:DWORD
	s_nop 1
	v_cndmask_b32_e32 v5, v1, v7, vcc
; %bb.275:
	s_or_b64 exec, exec, s[2:3]
	s_mov_b32 s0, 0x7f800000
	v_and_b32_e32 v0, 0x7f800000, v2
	v_cmp_ne_u32_e32 vcc, s0, v0
	global_store_short_d16_hi v[8:9], v5, off offset:32
                                        ; implicit-def: $vgpr0
	s_and_saveexec_b64 s[0:1], vcc
	s_xor_b64 s[0:1], exec, s[0:1]
; %bb.276:
	v_bfe_u32 v0, v2, 16, 1
	s_movk_i32 s2, 0x7fff
	v_add3_u32 v0, v2, v0, s2
; %bb.277:
	s_andn2_saveexec_b64 s[0:1], s[0:1]
; %bb.278:
	v_mov_b32_e32 v0, 0
	v_or_b32_e32 v1, 0x10000, v2
	v_cmp_eq_u32_sdwa vcc, v2, v0 src0_sel:WORD_0 src1_sel:DWORD
	s_nop 1
	v_cndmask_b32_e32 v0, v1, v2, vcc
; %bb.279:
	s_or_b64 exec, exec, s[0:1]
	global_store_short_d16_hi v[8:9], v0, off offset:64
	s_mov_b32 s0, 0x7f800000
	v_and_b32_e32 v0, 0x7f800000, v3
	v_cmp_ne_u32_e32 vcc, s0, v0
                                        ; implicit-def: $vgpr0
	s_and_saveexec_b64 s[0:1], vcc
	s_xor_b64 s[0:1], exec, s[0:1]
; %bb.280:
	v_bfe_u32 v0, v3, 16, 1
	s_movk_i32 s2, 0x7fff
	v_add3_u32 v0, v3, v0, s2
; %bb.281:
	s_andn2_saveexec_b64 s[0:1], s[0:1]
; %bb.282:
	v_mov_b32_e32 v0, 0
	v_or_b32_e32 v1, 0x10000, v3
	v_cmp_eq_u32_sdwa vcc, v3, v0 src0_sel:WORD_0 src1_sel:DWORD
	s_nop 1
	v_cndmask_b32_e32 v0, v1, v3, vcc
; %bb.283:
	s_or_b64 exec, exec, s[0:1]
	global_store_short_d16_hi v[8:9], v0, off offset:96
	s_mov_b32 s0, 0x7f800000
	v_and_b32_e32 v0, 0x7f800000, v4
	v_cmp_ne_u32_e32 vcc, s0, v0
                                        ; implicit-def: $vgpr5
	s_and_saveexec_b64 s[0:1], vcc
	s_xor_b64 s[0:1], exec, s[0:1]
; %bb.284:
	v_bfe_u32 v0, v4, 16, 1
	s_movk_i32 s2, 0x7fff
	v_add3_u32 v5, v4, v0, s2
                                        ; implicit-def: $vgpr0_vgpr1_vgpr2_vgpr3_vgpr4
; %bb.285:
	s_andn2_saveexec_b64 s[0:1], s[0:1]
; %bb.286:
	v_mov_b32_e32 v0, 0
	v_or_b32_e32 v1, 0x10000, v4
	v_cmp_eq_u32_sdwa vcc, v4, v0 src0_sel:WORD_0 src1_sel:DWORD
	s_nop 1
	v_cndmask_b32_e32 v5, v1, v4, vcc
; %bb.287:
	s_or_b64 exec, exec, s[0:1]
	global_store_short_d16_hi v[8:9], v5, off offset:128
.LBB173_288:
	s_endpgm
.LBB173_289:
	v_mov_b32_e32 v5, 0xb0
	v_lshl_add_u32 v5, v1, 2, v5
	ds_read_b32 v5, v5
	s_waitcnt lgkmcnt(0)
	v_add_f32_e32 v6, v6, v5
	s_or_b64 exec, exec, s[6:7]
	s_and_saveexec_b64 s[6:7], s[0:1]
	s_cbranch_execz .LBB173_260
.LBB173_290:
	v_mov_b32_e32 v5, 0xb0
	v_lshl_add_u32 v5, v1, 2, v5
	ds_read_b32 v5, v5 offset:64
	s_waitcnt lgkmcnt(0)
	v_add_f32_e32 v7, v7, v5
	s_or_b64 exec, exec, s[6:7]
	s_and_saveexec_b64 s[6:7], s[0:1]
	s_cbranch_execz .LBB173_261
.LBB173_291:
	v_mov_b32_e32 v5, 0xb0
	v_lshl_add_u32 v5, v1, 2, v5
	ds_read_b32 v5, v5 offset:128
	s_waitcnt lgkmcnt(0)
	v_add_f32_e32 v2, v2, v5
	s_or_b64 exec, exec, s[6:7]
	s_and_saveexec_b64 s[6:7], s[0:1]
	s_cbranch_execz .LBB173_262
.LBB173_292:
	v_mov_b32_e32 v5, 0xb0
	v_lshl_add_u32 v5, v1, 2, v5
	ds_read_b32 v5, v5 offset:192
	s_waitcnt lgkmcnt(0)
	v_add_f32_e32 v3, v3, v5
	s_or_b64 exec, exec, s[6:7]
	s_and_saveexec_b64 s[6:7], s[0:1]
	s_cbranch_execnz .LBB173_263
	s_branch .LBB173_264
	.section	.rodata,"a",@progbits
	.p2align	6, 0x0
	.amdhsa_kernel _ZN4vllm25paged_attention_v2_kernelI14__hip_bfloat16S1_Li80ELi32ELi128ELNS_18Fp8KVCacheDataTypeE0ELb1ELi512EEEvPfS3_PT_PKS4_PKT0_SA_ifPKiSC_iPKfiiiSE_SE_iiiii
		.amdhsa_group_segment_fixed_size 176
		.amdhsa_private_segment_fixed_size 0
		.amdhsa_kernarg_size 400
		.amdhsa_user_sgpr_count 2
		.amdhsa_user_sgpr_dispatch_ptr 0
		.amdhsa_user_sgpr_queue_ptr 0
		.amdhsa_user_sgpr_kernarg_segment_ptr 1
		.amdhsa_user_sgpr_dispatch_id 0
		.amdhsa_user_sgpr_kernarg_preload_length 0
		.amdhsa_user_sgpr_kernarg_preload_offset 0
		.amdhsa_user_sgpr_private_segment_size 0
		.amdhsa_uses_dynamic_stack 0
		.amdhsa_enable_private_segment 0
		.amdhsa_system_sgpr_workgroup_id_x 1
		.amdhsa_system_sgpr_workgroup_id_y 1
		.amdhsa_system_sgpr_workgroup_id_z 1
		.amdhsa_system_sgpr_workgroup_info 0
		.amdhsa_system_vgpr_workitem_id 0
		.amdhsa_next_free_vgpr 94
		.amdhsa_next_free_sgpr 53
		.amdhsa_accum_offset 96
		.amdhsa_reserve_vcc 1
		.amdhsa_float_round_mode_32 0
		.amdhsa_float_round_mode_16_64 0
		.amdhsa_float_denorm_mode_32 3
		.amdhsa_float_denorm_mode_16_64 3
		.amdhsa_dx10_clamp 1
		.amdhsa_ieee_mode 1
		.amdhsa_fp16_overflow 0
		.amdhsa_tg_split 0
		.amdhsa_exception_fp_ieee_invalid_op 0
		.amdhsa_exception_fp_denorm_src 0
		.amdhsa_exception_fp_ieee_div_zero 0
		.amdhsa_exception_fp_ieee_overflow 0
		.amdhsa_exception_fp_ieee_underflow 0
		.amdhsa_exception_fp_ieee_inexact 0
		.amdhsa_exception_int_div_zero 0
	.end_amdhsa_kernel
	.section	.text._ZN4vllm25paged_attention_v2_kernelI14__hip_bfloat16S1_Li80ELi32ELi128ELNS_18Fp8KVCacheDataTypeE0ELb1ELi512EEEvPfS3_PT_PKS4_PKT0_SA_ifPKiSC_iPKfiiiSE_SE_iiiii,"axG",@progbits,_ZN4vllm25paged_attention_v2_kernelI14__hip_bfloat16S1_Li80ELi32ELi128ELNS_18Fp8KVCacheDataTypeE0ELb1ELi512EEEvPfS3_PT_PKS4_PKT0_SA_ifPKiSC_iPKfiiiSE_SE_iiiii,comdat
.Lfunc_end173:
	.size	_ZN4vllm25paged_attention_v2_kernelI14__hip_bfloat16S1_Li80ELi32ELi128ELNS_18Fp8KVCacheDataTypeE0ELb1ELi512EEEvPfS3_PT_PKS4_PKT0_SA_ifPKiSC_iPKfiiiSE_SE_iiiii, .Lfunc_end173-_ZN4vllm25paged_attention_v2_kernelI14__hip_bfloat16S1_Li80ELi32ELi128ELNS_18Fp8KVCacheDataTypeE0ELb1ELi512EEEvPfS3_PT_PKS4_PKT0_SA_ifPKiSC_iPKfiiiSE_SE_iiiii
                                        ; -- End function
	.section	.AMDGPU.csdata,"",@progbits
; Kernel info:
; codeLenInByte = 10860
; NumSgprs: 59
; NumVgprs: 94
; NumAgprs: 0
; TotalNumVgprs: 94
; ScratchSize: 0
; MemoryBound: 0
; FloatMode: 240
; IeeeMode: 1
; LDSByteSize: 176 bytes/workgroup (compile time only)
; SGPRBlocks: 7
; VGPRBlocks: 11
; NumSGPRsForWavesPerEU: 59
; NumVGPRsForWavesPerEU: 94
; AccumOffset: 96
; Occupancy: 5
; WaveLimiterHint : 1
; COMPUTE_PGM_RSRC2:SCRATCH_EN: 0
; COMPUTE_PGM_RSRC2:USER_SGPR: 2
; COMPUTE_PGM_RSRC2:TRAP_HANDLER: 0
; COMPUTE_PGM_RSRC2:TGID_X_EN: 1
; COMPUTE_PGM_RSRC2:TGID_Y_EN: 1
; COMPUTE_PGM_RSRC2:TGID_Z_EN: 1
; COMPUTE_PGM_RSRC2:TIDIG_COMP_CNT: 0
; COMPUTE_PGM_RSRC3_GFX90A:ACCUM_OFFSET: 23
; COMPUTE_PGM_RSRC3_GFX90A:TG_SPLIT: 0
	.section	.text._ZN4vllm25paged_attention_v2_kernelI14__hip_bfloat16S1_Li96ELi32ELi128ELNS_18Fp8KVCacheDataTypeE0ELb1ELi512EEEvPfS3_PT_PKS4_PKT0_SA_ifPKiSC_iPKfiiiSE_SE_iiiii,"axG",@progbits,_ZN4vllm25paged_attention_v2_kernelI14__hip_bfloat16S1_Li96ELi32ELi128ELNS_18Fp8KVCacheDataTypeE0ELb1ELi512EEEvPfS3_PT_PKS4_PKT0_SA_ifPKiSC_iPKfiiiSE_SE_iiiii,comdat
	.protected	_ZN4vllm25paged_attention_v2_kernelI14__hip_bfloat16S1_Li96ELi32ELi128ELNS_18Fp8KVCacheDataTypeE0ELb1ELi512EEEvPfS3_PT_PKS4_PKT0_SA_ifPKiSC_iPKfiiiSE_SE_iiiii ; -- Begin function _ZN4vllm25paged_attention_v2_kernelI14__hip_bfloat16S1_Li96ELi32ELi128ELNS_18Fp8KVCacheDataTypeE0ELb1ELi512EEEvPfS3_PT_PKS4_PKT0_SA_ifPKiSC_iPKfiiiSE_SE_iiiii
	.globl	_ZN4vllm25paged_attention_v2_kernelI14__hip_bfloat16S1_Li96ELi32ELi128ELNS_18Fp8KVCacheDataTypeE0ELb1ELi512EEEvPfS3_PT_PKS4_PKT0_SA_ifPKiSC_iPKfiiiSE_SE_iiiii
	.p2align	8
	.type	_ZN4vllm25paged_attention_v2_kernelI14__hip_bfloat16S1_Li96ELi32ELi128ELNS_18Fp8KVCacheDataTypeE0ELb1ELi512EEEvPfS3_PT_PKS4_PKT0_SA_ifPKiSC_iPKfiiiSE_SE_iiiii,@function
_ZN4vllm25paged_attention_v2_kernelI14__hip_bfloat16S1_Li96ELi32ELi128ELNS_18Fp8KVCacheDataTypeE0ELb1ELi512EEEvPfS3_PT_PKS4_PKT0_SA_ifPKiSC_iPKfiiiSE_SE_iiiii: ; @_ZN4vllm25paged_attention_v2_kernelI14__hip_bfloat16S1_Li96ELi32ELi128ELNS_18Fp8KVCacheDataTypeE0ELb1ELi512EEEvPfS3_PT_PKS4_PKT0_SA_ifPKiSC_iPKfiiiSE_SE_iiiii
; %bb.0:
	s_load_dwordx2 s[6:7], s[0:1], 0x40
	s_mov_b32 s24, s3
	s_ashr_i32 s25, s3, 31
	s_lshl_b64 s[8:9], s[24:25], 2
	s_waitcnt lgkmcnt(0)
	s_add_u32 s6, s6, s8
	s_addc_u32 s7, s7, s9
	s_load_dword s33, s[6:7], 0x0
	s_lshl_b32 s5, s4, 9
	s_waitcnt lgkmcnt(0)
	s_cmp_ge_i32 s5, s33
	s_cbranch_scc1 .LBB174_327
; %bb.1:
	s_load_dword s25, s[0:1], 0x90
	s_load_dwordx2 s[38:39], s[0:1], 0x30
	s_waitcnt lgkmcnt(0)
	s_abs_i32 s7, s25
	s_abs_i32 s3, s38
	v_cvt_f32_u32_e32 v1, s3
	s_sub_i32 s8, 0, s3
	s_xor_b32 s6, s25, s38
	s_ashr_i32 s6, s6, 31
	v_rcp_iflag_f32_e32 v1, v1
	s_nop 0
	v_mul_f32_e32 v1, 0x4f7ffffe, v1
	v_cvt_u32_f32_e32 v1, v1
	s_nop 0
	v_readfirstlane_b32 s9, v1
	s_mul_i32 s8, s8, s9
	s_mul_hi_u32 s8, s9, s8
	s_add_i32 s9, s9, s8
	s_mul_hi_u32 s8, s7, s9
	s_mul_i32 s9, s8, s3
	s_sub_i32 s7, s7, s9
	s_add_i32 s10, s8, 1
	s_sub_i32 s9, s7, s3
	s_cmp_ge_u32 s7, s3
	s_cselect_b32 s8, s10, s8
	s_cselect_b32 s7, s9, s7
	s_add_i32 s9, s8, 1
	s_cmp_ge_u32 s7, s3
	s_cselect_b32 s3, s9, s8
	s_xor_b32 s3, s3, s6
	s_sub_i32 s12, s3, s6
	s_abs_i32 s8, s12
	v_cvt_f32_u32_e32 v1, s8
	s_load_dwordx2 s[6:7], s[0:1], 0x50
	s_sub_i32 s10, 0, s8
	s_abs_i32 s9, s2
	v_rcp_iflag_f32_e32 v1, v1
	s_mov_b32 s3, 0
	v_mul_f32_e32 v1, 0x4f7ffffe, v1
	v_cvt_u32_f32_e32 v1, v1
	s_nop 0
	v_readfirstlane_b32 s11, v1
	s_mul_i32 s10, s10, s11
	s_mul_hi_u32 s10, s11, s10
	s_add_i32 s11, s11, s10
	s_waitcnt lgkmcnt(0)
	s_cmp_eq_u64 s[6:7], 0
	s_mul_hi_u32 s10, s9, s11
	s_cbranch_scc1 .LBB174_3
; %bb.2:
	s_ashr_i32 s3, s2, 31
	s_lshl_b64 s[14:15], s[2:3], 2
	s_add_u32 s6, s6, s14
	s_addc_u32 s7, s7, s15
	s_load_dword s3, s[6:7], 0x0
.LBB174_3:
	s_ashr_i32 s16, s12, 31
	s_load_dwordx4 s[12:15], s[0:1], 0x58
	s_ashr_i32 s11, s2, 31
	v_and_b32_e32 v4, 1, v0
	s_waitcnt lgkmcnt(0)
	s_movk_i32 s15, 0x60
	s_mul_i32 s26, s2, 0x60
	v_cmp_gt_u32_e32 vcc, 24, v0
	v_lshlrev_b32_e32 v18, 3, v0
	s_and_saveexec_b64 s[6:7], vcc
	s_cbranch_execz .LBB174_5
; %bb.4:
	s_load_dwordx2 s[18:19], s[0:1], 0x18
	s_mul_i32 s20, s24, s12
	s_ashr_i32 s21, s20, 31
	s_lshl_b64 s[20:21], s[20:21], 1
	v_lshlrev_b32_e32 v1, 2, v0
	s_waitcnt lgkmcnt(0)
	s_add_u32 s12, s18, s20
	s_addc_u32 s17, s19, s21
	s_ashr_i32 s27, s26, 31
	s_lshl_b64 s[18:19], s[26:27], 1
	s_add_u32 s18, s12, s18
	s_addc_u32 s19, s17, s19
	global_load_dwordx2 v[2:3], v18, s[18:19]
	v_and_b32_e32 v1, 0xff8, v1
	v_mad_u32_u24 v1, v4, s15, v1
	s_waitcnt vmcnt(0)
	ds_write_b64 v1, v[2:3]
.LBB174_5:
	s_or_b64 exec, exec, s[6:7]
	s_mul_i32 s7, s10, s8
	s_sub_i32 s7, s9, s7
	s_xor_b32 s6, s11, s16
	s_add_i32 s9, s10, 1
	s_sub_i32 s11, s7, s8
	s_load_dwordx4 s[16:19], s[0:1], 0x78
	s_cmp_ge_u32 s7, s8
	s_cselect_b32 s9, s9, s10
	s_cselect_b32 s7, s11, s7
	s_load_dword s11, s[0:1], 0x88
	s_add_i32 s10, s9, 1
	s_cmp_ge_u32 s7, s8
	s_cselect_b32 s7, s10, s9
	s_waitcnt lgkmcnt(0)
	s_abs_i32 s27, s19
	v_cvt_f32_u32_e32 v1, s27
	s_xor_b32 s7, s7, s6
	s_sub_i32 s10, s7, s6
	s_sub_i32 s6, 0, s27
	v_rcp_iflag_f32_e32 v1, v1
	s_add_i32 s12, s33, -1
	s_abs_i32 s8, s12
	v_mul_f32_e32 v1, 0x4f7ffffe, v1
	v_cvt_u32_f32_e32 v1, v1
	s_barrier
	v_readfirstlane_b32 s46, v1
	s_mul_i32 s6, s6, s46
	s_mul_hi_u32 s6, s46, s6
	s_add_i32 s46, s46, s6
	s_cmp_lt_i32 s11, 0
	s_mul_hi_u32 s9, s8, s46
	s_cbranch_scc0 .LBB174_7
; %bb.6:
	s_mul_i32 s6, s16, s38
	s_add_i32 s6, s10, s6
	s_mul_i32 s6, s6, s11
	s_sub_i32 s47, 1, s6
	s_mov_b64 s[6:7], 0
	s_branch .LBB174_8
.LBB174_7:
	s_mov_b64 s[6:7], -1
                                        ; implicit-def: $sgpr47
.LBB174_8:
	s_load_dwordx2 s[30:31], s[0:1], 0x38
	s_ashr_i32 s12, s12, 31
	s_andn2_b64 vcc, exec, s[6:7]
	s_ashr_i32 s19, s19, 31
	s_cbranch_vccnz .LBB174_10
; %bb.9:
	s_mul_i32 s6, s25, s16
	s_add_i32 s6, s6, s2
	s_mul_i32 s6, s6, s11
	s_add_i32 s47, s6, 1
.LBB174_10:
	s_load_dword s6, s[0:1], 0x48
	s_load_dwordx2 s[36:37], s[0:1], 0x28
	s_load_dword s16, s[0:1], 0x98
	s_load_dwordx4 s[20:23], s[0:1], 0x0
	s_load_dwordx2 s[28:29], s[0:1], 0x10
	s_mul_i32 s7, s9, s27
	s_waitcnt lgkmcnt(0)
	s_mul_i32 s34, s24, s6
	s_sub_i32 s7, s8, s7
	s_ashr_i32 s35, s34, 31
	s_xor_b32 s6, s12, s19
	s_add_i32 s8, s9, 1
	s_sub_i32 s11, s7, s27
	s_cmp_ge_u32 s7, s27
	s_cselect_b32 s8, s8, s9
	s_cselect_b32 s7, s11, s7
	s_add_i32 s9, s8, 1
	s_cmp_ge_u32 s7, s27
	s_cselect_b32 s7, s9, s8
	s_xor_b32 s7, s7, s6
	s_sub_i32 s49, s7, s6
	s_add_i32 s6, s33, 31
	s_ashr_i32 s7, s6, 31
	s_lshr_b32 s7, s7, 27
	s_add_i32 s6, s6, s7
	s_lshl_b32 s38, s4, 4
	s_ashr_i32 s12, s6, 5
	s_add_i32 s6, s38, 16
	v_lshrrev_b32_e32 v22, 6, v0
	s_min_i32 s48, s6, s12
	v_or_b32_e32 v10, s38, v22
	v_cmp_gt_i32_e64 s[8:9], s48, v10
	v_mov_b32_e32 v23, 0xff7fffff
	s_mul_i32 s14, s10, s14
	v_ashrrev_i32_e32 v11, 31, v10
	v_lshl_add_u32 v1, v22, 5, s5
	v_mbcnt_lo_u32_b32 v19, -1, 0
	s_and_saveexec_b64 s[40:41], s[8:9]
	s_cbranch_execz .LBB174_20
; %bb.11:
	s_load_dwordx2 s[0:1], s[0:1], 0x20
	s_ashr_i32 s15, s14, 31
	s_sub_i32 s50, s49, s17
	s_lshl_b64 s[6:7], s[14:15], 1
	v_bfe_u32 v20, v0, 1, 5
	s_waitcnt lgkmcnt(0)
	s_add_u32 s0, s0, s6
	s_addc_u32 s1, s1, s7
	s_abs_i32 s15, s18
	v_cvt_f32_u32_e32 v5, s15
	v_lshlrev_b32_e32 v2, 4, v20
	v_mov_b32_e32 v3, 0
	v_lshl_add_u64 v[6:7], s[0:1], 0, v[2:3]
	v_rcp_iflag_f32_e32 v5, v5
	v_and_b32_e32 v2, 8, v18
	v_lshl_add_u64 v[2:3], v[6:7], 0, v[2:3]
	s_sub_i32 s0, 0, s15
	v_mul_f32_e32 v5, 0x4f7ffffe, v5
	v_cvt_u32_f32_e32 v5, v5
	v_lshlrev_b32_e32 v6, 2, v20
	v_cmp_eq_u32_e32 vcc, 0, v4
	v_mul_u32_u24_e32 v21, 0x60, v4
	v_mul_lo_u32 v4, s0, v5
	s_lshl_b64 s[0:1], s[34:35], 2
	v_lshl_or_b32 v6, v22, 7, v6
	s_add_u32 s0, s30, s0
	v_add_u32_e32 v26, 0xd0, v6
	v_subrev_u32_e32 v6, s33, v20
	v_mbcnt_hi_u32_b32 v29, -1, v19
	v_mul_hi_u32 v4, v5, v4
	s_addc_u32 s1, s31, s1
	v_add_u32_e32 v27, 1, v6
	v_and_b32_e32 v6, 64, v29
	s_mov_b32 s51, s13
	v_cmp_neq_f32_e64 s[6:7], s3, 0
	v_add_u32_e32 v24, v5, v4
	v_lshl_add_u64 v[4:5], v[10:11], 2, s[0:1]
	v_lshl_add_u32 v25, v22, 5, s5
	s_mov_b64 s[42:43], 0
	v_mov_b32_e32 v28, 0xff7fffff
	s_movk_i32 s52, 0x1000
	v_xor_b32_e32 v30, 1, v29
	v_add_u32_e32 v31, 64, v6
	v_mov_b32_e32 v23, 0xff7fffff
	v_mov_b32_e32 v32, v10
	s_branch .LBB174_14
.LBB174_12:                             ;   in Loop: Header=BB174_14 Depth=1
	s_or_b64 exec, exec, s[44:45]
.LBB174_13:                             ;   in Loop: Header=BB174_14 Depth=1
	s_or_b64 exec, exec, s[10:11]
	v_add_u32_e32 v32, 2, v32
	v_cmp_le_i32_e64 s[0:1], s48, v32
	v_lshl_add_u64 v[4:5], v[4:5], 0, 8
	v_add_u32_e32 v25, 64, v25
	s_or_b64 s[42:43], s[0:1], s[42:43]
	v_add_u32_e32 v26, 0x100, v26
	s_andn2_b64 exec, exec, s[42:43]
	s_cbranch_execz .LBB174_19
.LBB174_14:                             ; =>This Inner Loop Header: Depth=1
	s_waitcnt lgkmcnt(0)
	v_sub_u32_e32 v7, 0, v25
	v_max_i32_e32 v7, v25, v7
	v_mul_hi_u32 v8, v7, s46
	v_mul_lo_u32 v9, v8, s27
	v_sub_u32_e32 v7, v7, v9
	v_add_u32_e32 v9, 1, v8
	v_cmp_le_u32_e64 s[0:1], s27, v7
	v_ashrrev_i32_e32 v6, 31, v25
	v_xor_b32_e32 v6, s19, v6
	v_cndmask_b32_e64 v8, v8, v9, s[0:1]
	v_subrev_u32_e32 v9, s27, v7
	v_cndmask_b32_e64 v7, v7, v9, s[0:1]
	v_add_u32_e32 v9, 1, v8
	v_cmp_le_u32_e64 s[0:1], s27, v7
	s_nop 1
	v_cndmask_b32_e64 v7, v8, v9, s[0:1]
	v_xor_b32_e32 v7, v7, v6
	v_sub_u32_e32 v6, v7, v6
	v_add_u32_e32 v7, s47, v6
	v_sub_u32_e32 v9, 0, v7
	v_ashrrev_i32_e32 v8, 31, v7
	v_max_i32_e32 v7, v7, v9
	v_mul_hi_u32 v9, v7, v24
	v_mul_lo_u32 v9, v9, s15
	v_sub_u32_e32 v7, v7, v9
	v_subrev_u32_e32 v9, s15, v7
	v_cmp_le_u32_e64 s[0:1], s15, v7
	v_cmp_ge_i32_e64 s[10:11], s50, v6
	s_nop 0
	v_cndmask_b32_e64 v7, v7, v9, s[0:1]
	v_subrev_u32_e32 v9, s15, v7
	v_cmp_le_u32_e64 s[0:1], s15, v7
	s_nop 1
	v_cndmask_b32_e64 v7, v7, v9, s[0:1]
	v_xor_b32_e32 v7, v7, v8
	v_sub_u32_e32 v7, v7, v8
	v_cmp_ne_u32_e64 s[0:1], 0, v7
	s_and_b64 s[0:1], s[0:1], s[10:11]
	s_and_b64 s[44:45], vcc, s[0:1]
	s_and_saveexec_b64 s[10:11], s[44:45]
	s_cbranch_execz .LBB174_16
; %bb.15:                               ;   in Loop: Header=BB174_14 Depth=1
	ds_write_b32 v26, v28
.LBB174_16:                             ;   in Loop: Header=BB174_14 Depth=1
	s_or_b64 exec, exec, s[10:11]
	s_xor_b64 s[0:1], s[0:1], -1
	s_and_saveexec_b64 s[10:11], s[0:1]
	s_cbranch_execz .LBB174_13
; %bb.17:                               ;   in Loop: Header=BB174_14 Depth=1
	global_load_dword v6, v[4:5], off
	s_waitcnt vmcnt(0)
	v_mad_i64_i32 v[6:7], s[0:1], v6, s51, 0
	v_lshl_add_u64 v[8:9], v[6:7], 1, v[2:3]
	global_load_dwordx2 v[6:7], v[8:9], off offset:1024
	global_load_dwordx2 v[14:15], v[8:9], off offset:1536
	global_load_dwordx2 v[58:59], v[8:9], off offset:512
	global_load_dwordx2 v[60:61], v[8:9], off
	global_load_dwordx2 v[62:63], v[8:9], off offset:2048
	global_load_dwordx2 v[64:65], v[8:9], off offset:2560
	ds_read_b128 v[34:37], v21
	ds_read_b128 v[38:41], v21 offset:16
	ds_read_b128 v[42:45], v21 offset:32
	;; [unrolled: 1-line block ×3, first 2 shown]
	global_load_dwordx2 v[16:17], v[8:9], off offset:3072
	ds_read_b128 v[50:53], v21 offset:64
	ds_read_b128 v[54:57], v21 offset:80
	global_load_dwordx2 v[12:13], v[8:9], off offset:3584
	v_add_co_u32_e64 v8, s[0:1], s52, v8
	s_waitcnt lgkmcnt(5)
	v_lshlrev_b32_e32 v67, 16, v36
	v_addc_co_u32_e64 v9, s[0:1], 0, v9, s[0:1]
	v_and_b32_e32 v36, 0xffff0000, v36
	v_lshlrev_b32_e32 v33, 16, v34
	v_lshlrev_b32_e32 v68, 16, v37
	v_and_b32_e32 v34, 0xffff0000, v34
	v_lshlrev_b32_e32 v66, 16, v35
	s_waitcnt lgkmcnt(4)
	v_lshlrev_b32_e32 v69, 16, v38
	v_and_b32_e32 v37, 0xffff0000, v37
	v_and_b32_e32 v38, 0xffff0000, v38
	v_lshlrev_b32_e32 v70, 16, v39
	v_lshlrev_b32_e32 v71, 16, v40
	v_and_b32_e32 v35, 0xffff0000, v35
	v_and_b32_e32 v40, 0xffff0000, v40
	v_lshlrev_b32_e32 v72, 16, v41
	s_waitcnt lgkmcnt(3)
	v_lshlrev_b32_e32 v73, 16, v42
	v_and_b32_e32 v39, 0xffff0000, v39
	v_and_b32_e32 v42, 0xffff0000, v42
	v_lshlrev_b32_e32 v74, 16, v43
	v_lshlrev_b32_e32 v75, 16, v44
	v_and_b32_e32 v41, 0xffff0000, v41
	;; [unrolled: 9-line block ×5, first 2 shown]
	v_and_b32_e32 v56, 0xffff0000, v56
	v_lshlrev_b32_e32 v88, 16, v57
	v_and_b32_e32 v55, 0xffff0000, v55
	v_and_b32_e32 v57, 0xffff0000, v57
	v_cmp_lt_i32_e64 s[0:1], v30, v31
	s_waitcnt vmcnt(7)
	v_lshlrev_b32_e32 v93, 16, v6
	v_and_b32_e32 v94, 0xffff0000, v6
	v_lshlrev_b32_e32 v95, 16, v7
	v_and_b32_e32 v96, 0xffff0000, v7
	global_load_dwordx2 v[6:7], v[8:9], off
	s_waitcnt vmcnt(7)
	v_lshlrev_b32_e32 v97, 16, v14
	v_and_b32_e32 v98, 0xffff0000, v14
	v_lshlrev_b32_e32 v99, 16, v15
	v_and_b32_e32 v100, 0xffff0000, v15
	s_waitcnt vmcnt(1)
	v_lshlrev_b32_e32 v107, 16, v12
	v_and_b32_e32 v108, 0xffff0000, v12
	v_lshlrev_b32_e32 v109, 16, v13
	v_and_b32_e32 v110, 0xffff0000, v13
	global_load_dwordx2 v[12:13], v[8:9], off offset:512
	global_load_dwordx2 v[14:15], v[8:9], off offset:1024
	s_nop 0
	global_load_dwordx2 v[8:9], v[8:9], off offset:1536
	v_lshlrev_b32_e32 v89, 16, v58
	v_and_b32_e32 v58, 0xffff0000, v58
	v_lshlrev_b32_e32 v90, 16, v60
	v_and_b32_e32 v60, 0xffff0000, v60
	v_lshlrev_b32_e32 v92, 16, v59
	v_mul_f32_e32 v67, v67, v89
	v_mul_f32_e32 v36, v36, v58
	v_lshlrev_b32_e32 v91, 16, v61
	v_and_b32_e32 v59, 0xffff0000, v59
	v_fmac_f32_e32 v67, v33, v90
	v_mul_f32_e32 v33, v68, v92
	v_fmac_f32_e32 v36, v34, v60
	v_and_b32_e32 v61, 0xffff0000, v61
	v_mul_f32_e32 v37, v37, v59
	v_fmac_f32_e32 v33, v66, v91
	v_fmac_f32_e32 v67, v69, v93
	;; [unrolled: 1-line block ×3, first 2 shown]
	v_lshlrev_b32_e32 v101, 16, v62
	v_and_b32_e32 v62, 0xffff0000, v62
	v_fmac_f32_e32 v37, v35, v61
	v_fmac_f32_e32 v33, v70, v95
	;; [unrolled: 1-line block ×4, first 2 shown]
	v_lshlrev_b32_e32 v102, 16, v63
	v_lshlrev_b32_e32 v103, 16, v64
	v_and_b32_e32 v64, 0xffff0000, v64
	v_fmac_f32_e32 v37, v39, v96
	v_fmac_f32_e32 v33, v72, v99
	;; [unrolled: 1-line block ×4, first 2 shown]
	v_and_b32_e32 v63, 0xffff0000, v63
	v_lshlrev_b32_e32 v104, 16, v65
	v_lshlrev_b32_e32 v105, 16, v16
	v_and_b32_e32 v16, 0xffff0000, v16
	v_fmac_f32_e32 v37, v41, v100
	v_fmac_f32_e32 v33, v74, v102
	;; [unrolled: 1-line block ×4, first 2 shown]
	v_and_b32_e32 v65, 0xffff0000, v65
	v_lshlrev_b32_e32 v106, 16, v17
	v_fmac_f32_e32 v37, v43, v63
	v_fmac_f32_e32 v33, v76, v104
	;; [unrolled: 1-line block ×4, first 2 shown]
	v_and_b32_e32 v17, 0xffff0000, v17
	v_fmac_f32_e32 v37, v45, v65
	v_fmac_f32_e32 v33, v78, v106
	;; [unrolled: 1-line block ×7, first 2 shown]
	v_cndmask_b32_e64 v58, v29, v30, s[0:1]
	v_lshlrev_b32_e32 v58, 2, v58
	s_waitcnt vmcnt(3)
	v_lshlrev_b32_e32 v59, 16, v6
	v_and_b32_e32 v6, 0xffff0000, v6
	v_lshlrev_b32_e32 v34, 16, v7
	v_fmac_f32_e32 v67, v81, v59
	v_fmac_f32_e32 v36, v50, v6
	v_and_b32_e32 v7, 0xffff0000, v7
	v_fmac_f32_e32 v33, v82, v34
	v_fmac_f32_e32 v37, v51, v7
	s_waitcnt vmcnt(2)
	v_lshlrev_b32_e32 v60, 16, v12
	v_and_b32_e32 v12, 0xffff0000, v12
	v_lshlrev_b32_e32 v66, 16, v13
	s_waitcnt vmcnt(1)
	v_lshlrev_b32_e32 v68, 16, v14
	v_and_b32_e32 v14, 0xffff0000, v14
	v_fmac_f32_e32 v67, v83, v60
	v_fmac_f32_e32 v36, v52, v12
	v_and_b32_e32 v13, 0xffff0000, v13
	v_lshlrev_b32_e32 v35, 16, v15
	s_waitcnt vmcnt(0)
	v_lshlrev_b32_e32 v61, 16, v8
	v_and_b32_e32 v8, 0xffff0000, v8
	v_fmac_f32_e32 v33, v84, v66
	v_fmac_f32_e32 v67, v85, v68
	v_fmac_f32_e32 v36, v54, v14
	v_and_b32_e32 v15, 0xffff0000, v15
	v_lshlrev_b32_e32 v69, 16, v9
	v_fmac_f32_e32 v37, v53, v13
	v_fmac_f32_e32 v33, v86, v35
	;; [unrolled: 1-line block ×4, first 2 shown]
	v_and_b32_e32 v9, 0xffff0000, v9
	v_fmac_f32_e32 v37, v55, v15
	v_fmac_f32_e32 v33, v88, v69
	v_add_f32_e32 v6, v67, v36
	v_fmac_f32_e32 v37, v57, v9
	v_add_f32_e32 v6, v6, v33
	v_add_f32_e32 v6, v37, v6
	ds_bpermute_b32 v7, v58, v6
	s_and_saveexec_b64 s[44:45], vcc
	s_cbranch_execz .LBB174_12
; %bb.18:                               ;   in Loop: Header=BB174_14 Depth=1
	v_add_u32_e32 v8, v27, v25
	v_cvt_f32_i32_e32 v8, v8
	s_waitcnt lgkmcnt(0)
	v_add_f32_e32 v6, v6, v7
	v_add_u32_e32 v9, v20, v25
	v_cmp_gt_i32_e64 s[0:1], s33, v9
	v_mul_f32_e32 v7, s3, v8
	v_cndmask_b32_e64 v7, 0, v7, s[6:7]
	v_fmac_f32_e32 v7, s39, v6
	v_cndmask_b32_e64 v6, 0, v7, s[0:1]
	ds_write_b32 v26, v6
	v_max_f32_e32 v6, v23, v23
	v_max_f32_e32 v6, v6, v7
	v_cndmask_b32_e64 v23, v23, v6, s[0:1]
	s_branch .LBB174_12
.LBB174_19:
	s_or_b64 exec, exec, s[42:43]
.LBB174_20:
	s_or_b64 exec, exec, s[40:41]
	v_mbcnt_hi_u32_b32 v4, -1, v19
	v_and_b32_e32 v2, 64, v4
	v_add_u32_e32 v9, 64, v2
	v_xor_b32_e32 v2, 32, v4
	v_cmp_lt_i32_e32 vcc, v2, v9
	v_xor_b32_e32 v6, 16, v4
	v_max_f32_e32 v5, v23, v23
	v_cndmask_b32_e32 v2, v4, v2, vcc
	v_lshlrev_b32_e32 v2, 2, v2
	ds_bpermute_b32 v3, v2, v23
	v_cmp_lt_i32_e32 vcc, v6, v9
	s_waitcnt lgkmcnt(1)
	v_xor_b32_e32 v7, 8, v4
	v_xor_b32_e32 v8, 4, v4
	;; [unrolled: 1-line block ×3, first 2 shown]
	s_waitcnt lgkmcnt(0)
	v_max_f32_e32 v3, v3, v3
	v_max_f32_e32 v5, v5, v3
	v_cndmask_b32_e32 v3, v4, v6, vcc
	v_lshlrev_b32_e32 v3, 2, v3
	ds_bpermute_b32 v6, v3, v5
	v_cmp_lt_i32_e32 vcc, v7, v9
	v_and_b32_e32 v26, 63, v0
	s_waitcnt lgkmcnt(0)
	v_max_f32_e32 v6, v6, v6
	v_max_f32_e32 v6, v5, v6
	v_cndmask_b32_e32 v5, v4, v7, vcc
	v_lshlrev_b32_e32 v5, 2, v5
	ds_bpermute_b32 v7, v5, v6
	v_cmp_lt_i32_e32 vcc, v8, v9
	s_waitcnt lgkmcnt(0)
	v_max_f32_e32 v7, v7, v7
	v_max_f32_e32 v7, v6, v7
	v_cndmask_b32_e32 v6, v4, v8, vcc
	v_lshlrev_b32_e32 v6, 2, v6
	ds_bpermute_b32 v8, v6, v7
	v_cmp_lt_i32_e32 vcc, v12, v9
	s_waitcnt lgkmcnt(0)
	v_max_f32_e32 v8, v8, v8
	v_max_f32_e32 v8, v7, v8
	v_cndmask_b32_e32 v7, v4, v12, vcc
	v_lshlrev_b32_e32 v27, 2, v7
	ds_bpermute_b32 v12, v27, v8
	v_cmp_eq_u32_e32 vcc, 0, v26
	v_lshlrev_b32_e32 v7, 2, v22
	s_and_saveexec_b64 s[0:1], vcc
	s_cbranch_execz .LBB174_22
; %bb.21:
	s_waitcnt lgkmcnt(0)
	v_max_f32_e32 v12, v12, v12
	v_max_f32_e32 v8, v8, v8
	;; [unrolled: 1-line block ×3, first 2 shown]
	ds_write_b32 v7, v8 offset:192
.LBB174_22:
	s_or_b64 exec, exec, s[0:1]
	v_cmp_gt_u32_e64 s[0:1], 2, v26
	s_waitcnt lgkmcnt(0)
	v_mov_b32_e32 v12, 0xff7fffff
	v_lshlrev_b32_e32 v8, 2, v26
	s_barrier
	s_and_saveexec_b64 s[6:7], s[0:1]
	s_cbranch_execz .LBB174_24
; %bb.23:
	ds_read_b32 v12, v8 offset:192
.LBB174_24:
	s_or_b64 exec, exec, s[6:7]
	v_xor_b32_e32 v13, 1, v4
	v_cmp_lt_i32_e64 s[6:7], v13, v9
	s_sub_i32 s3, s48, s38
	s_lshl_b32 s3, s3, 5
	v_cndmask_b32_e64 v9, v4, v13, s[6:7]
	v_lshlrev_b32_e32 v28, 2, v9
	s_waitcnt lgkmcnt(0)
	ds_bpermute_b32 v9, v28, v12
	v_max_f32_e32 v12, v12, v12
	v_lshlrev_b32_e32 v4, 2, v4
	s_add_i32 s3, s3, s5
	s_min_i32 s15, s3, s33
	s_waitcnt lgkmcnt(0)
	v_max_f32_e32 v9, v9, v9
	v_max_f32_e32 v12, v12, v9
	v_and_b32_e32 v9, 0x100, v4
	ds_bpermute_b32 v4, v9, v12
	s_sub_i32 s3, s15, s5
	v_cmp_gt_i32_e64 s[6:7], s3, v0
	v_mov_b32_e32 v12, 0
	s_and_saveexec_b64 s[38:39], s[6:7]
	s_cbranch_execz .LBB174_28
; %bb.25:
	v_mov_b32_e32 v12, 0xd0
	v_lshl_add_u32 v13, v0, 2, v12
	s_mov_b64 s[40:41], 0
	v_mov_b32_e32 v12, 0
	v_mov_b32_e32 v14, v0
.LBB174_26:                             ; =>This Inner Loop Header: Depth=1
	ds_read_b32 v15, v13
	v_add_u32_e32 v14, 0x80, v14
	v_cmp_le_i32_e64 s[10:11], s3, v14
	s_or_b64 s[40:41], s[10:11], s[40:41]
	s_waitcnt lgkmcnt(0)
	v_sub_f32_e32 v15, v15, v4
	v_mul_f32_e32 v15, 0x3fb8aa3b, v15
	v_exp_f32_e32 v15, v15
	ds_write_b32 v13, v15
	v_add_f32_e32 v12, v12, v15
	v_add_u32_e32 v13, 0x200, v13
	s_andn2_b64 exec, exec, s[40:41]
	s_cbranch_execnz .LBB174_26
; %bb.27:
	s_or_b64 exec, exec, s[40:41]
.LBB174_28:
	s_or_b64 exec, exec, s[38:39]
	ds_bpermute_b32 v2, v2, v12
	s_waitcnt lgkmcnt(0)
	v_add_f32_e32 v2, v12, v2
	ds_bpermute_b32 v3, v3, v2
	s_waitcnt lgkmcnt(0)
	v_add_f32_e32 v2, v2, v3
	;; [unrolled: 3-line block ×6, first 2 shown]
	s_and_saveexec_b64 s[10:11], vcc
	s_cbranch_execz .LBB174_30
; %bb.29:
	ds_write_b32 v7, v2 offset:200
.LBB174_30:
	s_or_b64 exec, exec, s[10:11]
	s_waitcnt lgkmcnt(0)
	s_barrier
	s_and_saveexec_b64 s[10:11], s[0:1]
	s_cbranch_execz .LBB174_32
; %bb.31:
	ds_read_b32 v2, v8 offset:200
.LBB174_32:
	s_or_b64 exec, exec, s[10:11]
	s_waitcnt lgkmcnt(0)
	ds_bpermute_b32 v3, v28, v2
	s_waitcnt lgkmcnt(0)
	v_add_f32_e32 v2, v2, v3
	ds_bpermute_b32 v5, v9, v2
	s_and_saveexec_b64 s[0:1], s[6:7]
	s_cbranch_execz .LBB174_45
; %bb.33:
	s_waitcnt lgkmcnt(0)
	v_add_f32_e32 v2, 0x358637bd, v5
	v_div_scale_f32 v3, s[6:7], v2, v2, 1.0
	v_rcp_f32_e32 v6, v3
	v_div_scale_f32 v7, vcc, 1.0, v2, 1.0
	s_mov_b64 s[10:11], -1
	v_fma_f32 v8, -v3, v6, 1.0
	v_fmac_f32_e32 v6, v8, v6
	v_mul_f32_e32 v8, v7, v6
	v_fma_f32 v9, -v3, v8, v7
	v_fmac_f32_e32 v8, v9, v6
	v_fma_f32 v3, -v3, v8, v7
	v_div_fmas_f32 v3, v3, v6, v8
	v_div_fixup_f32 v2, v3, v2, 1.0
	v_xad_u32 v3, v0, -1, s15
	v_subrev_u32_e32 v6, s5, v3
	s_movk_i32 s5, 0x7f
	v_cmp_lt_u32_e32 vcc, s5, v6
	v_mov_b32_e32 v3, v0
	s_and_saveexec_b64 s[6:7], vcc
	s_cbranch_execz .LBB174_42
; %bb.34:
	v_lshrrev_b32_e32 v6, 7, v6
	v_add_u32_e32 v8, -1, v6
	v_lshrrev_b32_e32 v7, 1, v8
	v_mov_b32_e32 v3, v2
	v_add_u32_e32 v7, 1, v7
	v_cmp_lt_u32_e32 vcc, 13, v8
	v_mov_b32_e32 v12, 0
	s_and_saveexec_b64 s[10:11], vcc
	s_cbranch_execz .LBB174_38
; %bb.35:
	v_mov_b32_e32 v9, 0xd0
	v_and_b32_e32 v8, -8, v7
	v_lshl_add_u32 v9, v0, 2, v9
	s_mov_b32 s5, 0
	s_mov_b64 s[38:39], 0
.LBB174_36:                             ; =>This Inner Loop Header: Depth=1
	ds_read2st64_b32 v[12:13], v9 offset1:2
	ds_read2st64_b32 v[14:15], v9 offset0:4 offset1:6
	ds_read2st64_b32 v[16:17], v9 offset0:8 offset1:10
	;; [unrolled: 1-line block ×3, first 2 shown]
	v_add_u32_e32 v8, -8, v8
	s_waitcnt lgkmcnt(3)
	v_pk_mul_f32 v[12:13], v[2:3], v[12:13]
	s_waitcnt lgkmcnt(2)
	v_pk_mul_f32 v[14:15], v[2:3], v[14:15]
	ds_write2st64_b32 v9, v12, v13 offset1:2
	ds_write2st64_b32 v9, v14, v15 offset0:4 offset1:6
	ds_read2st64_b32 v[14:15], v9 offset0:16 offset1:18
	s_waitcnt lgkmcnt(4)
	v_pk_mul_f32 v[12:13], v[2:3], v[16:17]
	ds_write2st64_b32 v9, v12, v13 offset0:8 offset1:10
	s_waitcnt lgkmcnt(4)
	v_pk_mul_f32 v[12:13], v[2:3], v[20:21]
	ds_write2st64_b32 v9, v12, v13 offset0:12 offset1:14
	ds_read2st64_b32 v[12:13], v9 offset0:20 offset1:22
	s_waitcnt lgkmcnt(3)
	v_pk_mul_f32 v[14:15], v[2:3], v[14:15]
	ds_read2st64_b32 v[16:17], v9 offset0:24 offset1:26
	ds_write2st64_b32 v9, v14, v15 offset0:16 offset1:18
	ds_read2st64_b32 v[14:15], v9 offset0:28 offset1:30
	s_waitcnt lgkmcnt(3)
	v_pk_mul_f32 v[12:13], v[2:3], v[12:13]
	ds_write2st64_b32 v9, v12, v13 offset0:20 offset1:22
	s_waitcnt lgkmcnt(3)
	v_pk_mul_f32 v[12:13], v[2:3], v[16:17]
	ds_write2st64_b32 v9, v12, v13 offset0:24 offset1:26
	s_waitcnt lgkmcnt(2)
	v_pk_mul_f32 v[12:13], v[2:3], v[14:15]
	s_add_i32 s5, s5, 16
	v_cmp_eq_u32_e32 vcc, 0, v8
	ds_write2st64_b32 v9, v12, v13 offset0:28 offset1:30
	v_add_u32_e32 v9, 0x2000, v9
	s_or_b64 s[38:39], vcc, s[38:39]
	v_mov_b32_e32 v12, s5
	s_andn2_b64 exec, exec, s[38:39]
	s_cbranch_execnz .LBB174_36
; %bb.37:
	s_or_b64 exec, exec, s[38:39]
.LBB174_38:
	s_or_b64 exec, exec, s[10:11]
	v_and_b32_e32 v7, 7, v7
	v_cmp_ne_u32_e32 vcc, 0, v7
	s_and_saveexec_b64 s[10:11], vcc
	s_cbranch_execz .LBB174_41
; %bb.39:
	v_lshlrev_b32_e32 v8, 9, v12
	v_lshlrev_b32_e32 v9, 2, v0
	s_movk_i32 s5, 0xd0
	v_add3_u32 v8, v8, v9, s5
	s_mov_b64 s[38:39], 0
.LBB174_40:                             ; =>This Inner Loop Header: Depth=1
	ds_read2st64_b32 v[12:13], v8 offset1:2
	v_add_u32_e32 v7, -1, v7
	v_cmp_eq_u32_e32 vcc, 0, v7
	s_or_b64 s[38:39], vcc, s[38:39]
	s_waitcnt lgkmcnt(0)
	v_pk_mul_f32 v[12:13], v[2:3], v[12:13]
	ds_write2st64_b32 v8, v12, v13 offset1:2
	v_add_u32_e32 v8, 0x400, v8
	s_andn2_b64 exec, exec, s[38:39]
	s_cbranch_execnz .LBB174_40
.LBB174_41:
	s_or_b64 exec, exec, s[10:11]
	v_add_u32_e32 v6, 1, v6
	v_and_b32_e32 v7, 0x3fffffe, v6
	v_cmp_ne_u32_e32 vcc, v6, v7
	v_lshl_add_u32 v3, v7, 7, v0
	s_orn2_b64 s[10:11], vcc, exec
.LBB174_42:
	s_or_b64 exec, exec, s[6:7]
	s_and_b64 exec, exec, s[10:11]
	s_cbranch_execz .LBB174_45
; %bb.43:
	v_mov_b32_e32 v6, 0xd0
	v_lshl_add_u32 v6, v3, 2, v6
	s_mov_b64 s[6:7], 0
.LBB174_44:                             ; =>This Inner Loop Header: Depth=1
	ds_read_b32 v7, v6
	v_add_u32_e32 v3, 0x80, v3
	v_cmp_le_i32_e32 vcc, s3, v3
	s_or_b64 s[6:7], vcc, s[6:7]
	s_waitcnt lgkmcnt(0)
	v_mul_f32_e32 v7, v2, v7
	ds_write_b32 v6, v7
	v_add_u32_e32 v6, 0x200, v6
	s_andn2_b64 exec, exec, s[6:7]
	s_cbranch_execnz .LBB174_44
.LBB174_45:
	s_or_b64 exec, exec, s[0:1]
	v_cmp_eq_u32_e32 vcc, 0, v0
	s_waitcnt lgkmcnt(0)
	s_barrier
	s_and_saveexec_b64 s[0:1], vcc
	s_cbranch_execz .LBB174_47
; %bb.46:
	s_mul_i32 s3, s16, s24
	s_mul_i32 s6, s3, s25
	s_ashr_i32 s7, s6, 31
	s_lshl_b64 s[6:7], s[6:7], 2
	s_add_u32 s5, s22, s6
	s_mul_i32 s2, s16, s2
	s_addc_u32 s10, s23, s7
	s_ashr_i32 s3, s2, 31
	s_lshl_b64 s[2:3], s[2:3], 2
	s_add_u32 s15, s5, s2
	s_addc_u32 s23, s10, s3
	s_ashr_i32 s5, s4, 31
	s_lshl_b64 s[10:11], s[4:5], 2
	s_add_u32 s22, s15, s10
	s_addc_u32 s23, s23, s11
	s_add_u32 s5, s20, s6
	s_addc_u32 s6, s21, s7
	;; [unrolled: 2-line block ×3, first 2 shown]
	s_add_u32 s2, s2, s10
	v_mov_b32_e32 v2, 0
	s_addc_u32 s3, s3, s11
	global_store_dword v2, v4, s[22:23]
	global_store_dword v2, v5, s[2:3]
.LBB174_47:
	s_or_b64 exec, exec, s[0:1]
	v_mov_b32_e32 v13, 0
	v_and_b32_e32 v29, 3, v0
	v_mov_b32_e32 v12, 0
	v_mov_b32_e32 v15, 0
	;; [unrolled: 1-line block ×5, first 2 shown]
	s_and_saveexec_b64 s[2:3], s[8:9]
	s_cbranch_execz .LBB174_289
; %bb.48:
	s_ashr_i32 s15, s14, 31
	s_sub_i32 s5, s49, s17
	s_lshl_b64 s[0:1], s[14:15], 1
	s_add_u32 s6, s36, s0
	s_addc_u32 s7, s37, s1
	s_abs_i32 s14, s18
	v_cvt_f32_u32_e32 v2, s14
	s_sub_i32 s0, 0, s14
	s_add_i32 s17, s12, -1
	v_mov_b32_e32 v19, 0
	v_rcp_iflag_f32_e32 v3, v2
	v_and_b32_e32 v2, 0x1f8, v18
	v_or_b32_e32 v4, 0x800, v2
	v_or_b32_e32 v6, 0xa00, v2
	v_mul_f32_e32 v3, 0x4f7ffffe, v3
	v_cvt_u32_f32_e32 v3, v3
	v_and_b32_e32 v30, 24, v18
	s_mov_b32 s15, s13
	s_mov_b64 s[8:9], 0
	v_mul_lo_u32 v5, s0, v3
	v_mul_hi_u32 v5, v3, v5
	s_lshl_b64 s[0:1], s[34:35], 2
	v_add_u32_e32 v31, v3, v5
	s_add_u32 s0, s30, s0
	v_lshlrev_b32_e32 v3, 5, v29
	s_addc_u32 s1, s31, s1
	v_lshl_or_b32 v3, v22, 7, v3
	v_lshl_add_u64 v[20:21], v[10:11], 2, s[0:1]
	v_add_u32_e32 v11, 0xd0, v3
	s_mov_b32 s18, 0x7f800000
	s_movk_i32 s20, 0x7fff
	v_lshlrev_b32_e32 v18, 1, v2
	v_lshlrev_b32_e32 v22, 1, v4
	;; [unrolled: 1-line block ×3, first 2 shown]
	v_mov_b32_e32 v16, v19
	v_mov_b32_e32 v17, v19
	v_mov_b32_e32 v14, v19
	v_mov_b32_e32 v15, v19
	v_mov_b32_e32 v12, v19
	v_mov_b32_e32 v13, v19
	s_branch .LBB174_51
.LBB174_49:                             ;   in Loop: Header=BB174_51 Depth=1
	s_or_b64 exec, exec, s[0:1]
	v_and_b32_e32 v47, 0xffff0000, v80
	v_and_b32_e32 v46, 0xffff0000, v78
	v_and_b32_e32 v49, 0xffff0000, v79
	v_and_b32_e32 v48, 0xffff0000, v23
	v_and_b32_e32 v43, 0xffff0000, v84
	v_and_b32_e32 v42, 0xffff0000, v82
	v_and_b32_e32 v45, 0xffff0000, v83
	v_and_b32_e32 v44, 0xffff0000, v81
	v_pk_add_f32 v[46:47], v[48:49], v[46:47]
	v_pk_add_f32 v[42:43], v[44:45], v[42:43]
	v_add_f32_e32 v23, v46, v47
	v_add_f32_e32 v23, v23, v42
	v_and_b32_e32 v47, 0xffff0000, v73
	v_and_b32_e32 v46, 0xffff0000, v9
	;; [unrolled: 1-line block ×4, first 2 shown]
	v_add_f32_e32 v23, v23, v43
	v_and_b32_e32 v43, 0xffff0000, v77
	v_and_b32_e32 v42, 0xffff0000, v75
	;; [unrolled: 1-line block ×4, first 2 shown]
	v_pk_add_f32 v[8:9], v[8:9], v[46:47]
	v_pk_add_f32 v[42:43], v[44:45], v[42:43]
	v_add_f32_e32 v8, v8, v9
	v_add_f32_e32 v8, v8, v42
	;; [unrolled: 1-line block ×3, first 2 shown]
	v_and_b32_e32 v45, 0xffff0000, v67
	v_and_b32_e32 v44, 0xffff0000, v65
	;; [unrolled: 1-line block ×4, first 2 shown]
	v_add_f32_e32 v15, v15, v8
	v_and_b32_e32 v9, 0xffff0000, v71
	v_and_b32_e32 v8, 0xffff0000, v69
	;; [unrolled: 1-line block ×4, first 2 shown]
	v_pk_add_f32 v[44:45], v[46:47], v[44:45]
	v_add_f32_e32 v12, v12, v23
	v_pk_add_f32 v[8:9], v[42:43], v[8:9]
	v_add_f32_e32 v23, v44, v45
	v_add_f32_e32 v8, v23, v8
	;; [unrolled: 1-line block ×3, first 2 shown]
	v_and_b32_e32 v45, 0xffff0000, v59
	v_and_b32_e32 v44, 0xffff0000, v57
	;; [unrolled: 1-line block ×4, first 2 shown]
	v_add_f32_e32 v14, v14, v8
	v_and_b32_e32 v9, 0xffff0000, v63
	v_and_b32_e32 v8, 0xffff0000, v61
	v_and_b32_e32 v43, 0xffff0000, v62
	v_and_b32_e32 v42, 0xffff0000, v60
	v_pk_add_f32 v[44:45], v[46:47], v[44:45]
	v_pk_add_f32 v[8:9], v[42:43], v[8:9]
	v_add_f32_e32 v23, v44, v45
	v_add_f32_e32 v8, v23, v8
	;; [unrolled: 1-line block ×4, first 2 shown]
	v_and_b32_e32 v9, 0xffff0000, v39
	v_and_b32_e32 v8, 0xffff0000, v37
	;; [unrolled: 1-line block ×8, first 2 shown]
	v_pk_add_f32 v[32:33], v[32:33], v[38:39]
	v_pk_add_f32 v[8:9], v[36:37], v[8:9]
	v_add_f32_e32 v23, v32, v33
	v_add_f32_e32 v8, v23, v8
	;; [unrolled: 1-line block ×3, first 2 shown]
	v_and_b32_e32 v9, 0xffff0000, v7
	v_and_b32_e32 v7, 0xffff0000, v25
	;; [unrolled: 1-line block ×5, first 2 shown]
	v_add_f32_e32 v16, v16, v8
	v_and_b32_e32 v8, 0xffff0000, v40
	v_and_b32_e32 v5, 0xffff0000, v5
	;; [unrolled: 1-line block ×3, first 2 shown]
	v_pk_add_f32 v[2:3], v[2:3], v[6:7]
	v_pk_add_f32 v[4:5], v[4:5], v[8:9]
	v_add_f32_e32 v2, v2, v3
	v_add_f32_e32 v2, v2, v4
	;; [unrolled: 1-line block ×4, first 2 shown]
.LBB174_50:                             ;   in Loop: Header=BB174_51 Depth=1
	s_or_b64 exec, exec, s[10:11]
	v_add_u32_e32 v10, 2, v10
	v_cmp_le_i32_e32 vcc, s48, v10
	v_lshl_add_u64 v[20:21], v[20:21], 0, 8
	v_add_u32_e32 v1, 64, v1
	s_or_b64 s[8:9], vcc, s[8:9]
	v_add_u32_e32 v11, 0x100, v11
	s_andn2_b64 exec, exec, s[8:9]
	s_cbranch_execz .LBB174_288
.LBB174_51:                             ; =>This Inner Loop Header: Depth=1
	v_sub_u32_e32 v3, 0, v1
	v_max_i32_e32 v3, v1, v3
	v_mul_hi_u32 v4, v3, s46
	v_mul_lo_u32 v5, v4, s27
	v_sub_u32_e32 v3, v3, v5
	v_add_u32_e32 v5, 1, v4
	v_cmp_le_u32_e32 vcc, s27, v3
	v_ashrrev_i32_e32 v2, 31, v1
	v_xor_b32_e32 v2, s19, v2
	v_cndmask_b32_e32 v4, v4, v5, vcc
	v_subrev_u32_e32 v5, s27, v3
	v_cndmask_b32_e32 v3, v3, v5, vcc
	v_add_u32_e32 v5, 1, v4
	v_cmp_le_u32_e32 vcc, s27, v3
	s_nop 1
	v_cndmask_b32_e32 v3, v4, v5, vcc
	v_xor_b32_e32 v3, v3, v2
	v_sub_u32_e32 v2, v3, v2
	v_add_u32_e32 v3, s47, v2
	v_sub_u32_e32 v5, 0, v3
	v_ashrrev_i32_e32 v4, 31, v3
	v_max_i32_e32 v3, v3, v5
	v_mul_hi_u32 v5, v3, v31
	v_mul_lo_u32 v5, v5, s14
	v_sub_u32_e32 v3, v3, v5
	v_subrev_u32_e32 v5, s14, v3
	v_cmp_le_u32_e32 vcc, s14, v3
	v_cmp_lt_i32_e64 s[0:1], s5, v2
	s_nop 0
	v_cndmask_b32_e32 v3, v3, v5, vcc
	v_subrev_u32_e32 v5, s14, v3
	v_cmp_le_u32_e32 vcc, s14, v3
	s_nop 1
	v_cndmask_b32_e32 v3, v3, v5, vcc
	v_xor_b32_e32 v3, v3, v4
	v_sub_u32_e32 v3, v3, v4
	v_cmp_eq_u32_e32 vcc, 0, v3
	s_or_b64 s[0:1], vcc, s[0:1]
	s_and_saveexec_b64 s[10:11], s[0:1]
	s_cbranch_execz .LBB174_50
; %bb.52:                               ;   in Loop: Header=BB174_51 Depth=1
	global_load_dword v38, v[20:21], off
	ds_read2_b64 v[6:9], v11 offset1:1
	ds_read2_b64 v[2:5], v11 offset0:2 offset1:3
                                        ; implicit-def: $vgpr32
	s_waitcnt lgkmcnt(1)
	v_and_b32_e32 v23, 0x7f800000, v6
	v_cmp_ne_u32_e32 vcc, s18, v23
	s_and_saveexec_b64 s[0:1], vcc
	s_xor_b64 s[0:1], exec, s[0:1]
; %bb.53:                               ;   in Loop: Header=BB174_51 Depth=1
	v_bfe_u32 v23, v6, 16, 1
	v_add3_u32 v32, v6, v23, s20
; %bb.54:                               ;   in Loop: Header=BB174_51 Depth=1
	s_andn2_saveexec_b64 s[0:1], s[0:1]
; %bb.55:                               ;   in Loop: Header=BB174_51 Depth=1
	v_or_b32_e32 v23, 0x10000, v6
	v_cmp_eq_u32_sdwa vcc, v6, v19 src0_sel:WORD_0 src1_sel:DWORD
	s_nop 1
	v_cndmask_b32_e32 v32, v23, v6, vcc
; %bb.56:                               ;   in Loop: Header=BB174_51 Depth=1
	s_or_b64 exec, exec, s[0:1]
	v_and_b32_e32 v6, 0x7f800000, v7
	v_cmp_ne_u32_e32 vcc, s18, v6
                                        ; implicit-def: $vgpr33
	s_and_saveexec_b64 s[0:1], vcc
	s_xor_b64 s[0:1], exec, s[0:1]
; %bb.57:                               ;   in Loop: Header=BB174_51 Depth=1
	v_bfe_u32 v6, v7, 16, 1
	v_add3_u32 v33, v7, v6, s20
; %bb.58:                               ;   in Loop: Header=BB174_51 Depth=1
	s_andn2_saveexec_b64 s[0:1], s[0:1]
; %bb.59:                               ;   in Loop: Header=BB174_51 Depth=1
	v_or_b32_e32 v6, 0x10000, v7
	v_cmp_eq_u32_sdwa vcc, v7, v19 src0_sel:WORD_0 src1_sel:DWORD
	s_nop 1
	v_cndmask_b32_e32 v33, v6, v7, vcc
; %bb.60:                               ;   in Loop: Header=BB174_51 Depth=1
	s_or_b64 exec, exec, s[0:1]
	v_and_b32_e32 v6, 0x7f800000, v8
	v_cmp_ne_u32_e32 vcc, s18, v6
                                        ; implicit-def: $vgpr34
	s_and_saveexec_b64 s[0:1], vcc
	s_xor_b64 s[0:1], exec, s[0:1]
; %bb.61:                               ;   in Loop: Header=BB174_51 Depth=1
	v_bfe_u32 v6, v8, 16, 1
	v_add3_u32 v34, v8, v6, s20
; %bb.62:                               ;   in Loop: Header=BB174_51 Depth=1
	s_andn2_saveexec_b64 s[0:1], s[0:1]
; %bb.63:                               ;   in Loop: Header=BB174_51 Depth=1
	v_or_b32_e32 v6, 0x10000, v8
	v_cmp_eq_u32_sdwa vcc, v8, v19 src0_sel:WORD_0 src1_sel:DWORD
	s_nop 1
	v_cndmask_b32_e32 v34, v6, v8, vcc
; %bb.64:                               ;   in Loop: Header=BB174_51 Depth=1
	s_or_b64 exec, exec, s[0:1]
	v_and_b32_e32 v6, 0x7f800000, v9
	v_cmp_ne_u32_e32 vcc, s18, v6
                                        ; implicit-def: $vgpr35
	s_and_saveexec_b64 s[0:1], vcc
	s_xor_b64 s[0:1], exec, s[0:1]
; %bb.65:                               ;   in Loop: Header=BB174_51 Depth=1
	v_bfe_u32 v6, v9, 16, 1
	v_add3_u32 v35, v9, v6, s20
                                        ; implicit-def: $vgpr6_vgpr7_vgpr8_vgpr9
; %bb.66:                               ;   in Loop: Header=BB174_51 Depth=1
	s_andn2_saveexec_b64 s[0:1], s[0:1]
; %bb.67:                               ;   in Loop: Header=BB174_51 Depth=1
	v_or_b32_e32 v6, 0x10000, v9
	v_cmp_eq_u32_sdwa vcc, v9, v19 src0_sel:WORD_0 src1_sel:DWORD
	s_nop 1
	v_cndmask_b32_e32 v35, v6, v9, vcc
; %bb.68:                               ;   in Loop: Header=BB174_51 Depth=1
	s_or_b64 exec, exec, s[0:1]
	s_waitcnt lgkmcnt(0)
	v_and_b32_e32 v6, 0x7f800000, v2
	v_cmp_ne_u32_e32 vcc, s18, v6
                                        ; implicit-def: $vgpr36
	s_and_saveexec_b64 s[0:1], vcc
	s_xor_b64 s[0:1], exec, s[0:1]
; %bb.69:                               ;   in Loop: Header=BB174_51 Depth=1
	v_bfe_u32 v6, v2, 16, 1
	v_add3_u32 v36, v2, v6, s20
; %bb.70:                               ;   in Loop: Header=BB174_51 Depth=1
	s_andn2_saveexec_b64 s[0:1], s[0:1]
; %bb.71:                               ;   in Loop: Header=BB174_51 Depth=1
	v_or_b32_e32 v6, 0x10000, v2
	v_cmp_eq_u32_sdwa vcc, v2, v19 src0_sel:WORD_0 src1_sel:DWORD
	s_nop 1
	v_cndmask_b32_e32 v36, v6, v2, vcc
; %bb.72:                               ;   in Loop: Header=BB174_51 Depth=1
	s_or_b64 exec, exec, s[0:1]
	v_and_b32_e32 v2, 0x7f800000, v3
	v_cmp_ne_u32_e32 vcc, s18, v2
                                        ; implicit-def: $vgpr37
	s_and_saveexec_b64 s[0:1], vcc
	s_xor_b64 s[0:1], exec, s[0:1]
; %bb.73:                               ;   in Loop: Header=BB174_51 Depth=1
	v_bfe_u32 v2, v3, 16, 1
	v_add3_u32 v37, v3, v2, s20
; %bb.74:                               ;   in Loop: Header=BB174_51 Depth=1
	s_andn2_saveexec_b64 s[0:1], s[0:1]
; %bb.75:                               ;   in Loop: Header=BB174_51 Depth=1
	v_or_b32_e32 v2, 0x10000, v3
	v_cmp_eq_u32_sdwa vcc, v3, v19 src0_sel:WORD_0 src1_sel:DWORD
	s_nop 1
	v_cndmask_b32_e32 v37, v2, v3, vcc
; %bb.76:                               ;   in Loop: Header=BB174_51 Depth=1
	s_or_b64 exec, exec, s[0:1]
	v_and_b32_e32 v2, 0x7f800000, v4
	v_cmp_ne_u32_e32 vcc, s18, v2
                                        ; implicit-def: $vgpr25
	s_and_saveexec_b64 s[0:1], vcc
	s_xor_b64 s[0:1], exec, s[0:1]
; %bb.77:                               ;   in Loop: Header=BB174_51 Depth=1
	v_bfe_u32 v2, v4, 16, 1
	v_add3_u32 v25, v4, v2, s20
; %bb.78:                               ;   in Loop: Header=BB174_51 Depth=1
	s_andn2_saveexec_b64 s[0:1], s[0:1]
; %bb.79:                               ;   in Loop: Header=BB174_51 Depth=1
	v_or_b32_e32 v2, 0x10000, v4
	v_cmp_eq_u32_sdwa vcc, v4, v19 src0_sel:WORD_0 src1_sel:DWORD
	s_nop 1
	v_cndmask_b32_e32 v25, v2, v4, vcc
; %bb.80:                               ;   in Loop: Header=BB174_51 Depth=1
	s_or_b64 exec, exec, s[0:1]
	v_and_b32_e32 v2, 0x7f800000, v5
	v_cmp_ne_u32_e32 vcc, s18, v2
                                        ; implicit-def: $vgpr23
	s_and_saveexec_b64 s[0:1], vcc
	s_xor_b64 s[0:1], exec, s[0:1]
; %bb.81:                               ;   in Loop: Header=BB174_51 Depth=1
	v_bfe_u32 v2, v5, 16, 1
	v_add3_u32 v23, v5, v2, s20
                                        ; implicit-def: $vgpr2_vgpr3_vgpr4_vgpr5
; %bb.82:                               ;   in Loop: Header=BB174_51 Depth=1
	s_andn2_saveexec_b64 s[0:1], s[0:1]
; %bb.83:                               ;   in Loop: Header=BB174_51 Depth=1
	v_or_b32_e32 v2, 0x10000, v5
	v_cmp_eq_u32_sdwa vcc, v5, v19 src0_sel:WORD_0 src1_sel:DWORD
	s_nop 1
	v_cndmask_b32_e32 v23, v2, v5, vcc
; %bb.84:                               ;   in Loop: Header=BB174_51 Depth=1
	s_or_b64 exec, exec, s[0:1]
	s_waitcnt vmcnt(0)
	v_mad_i64_i32 v[2:3], s[0:1], v38, s15, 0
	v_lshl_add_u64 v[6:7], v[2:3], 1, s[6:7]
	v_lshl_add_u64 v[8:9], v[6:7], 0, v[18:19]
	global_load_dwordx4 v[2:5], v[8:9], off
	v_add_u32_e32 v40, v30, v1
	v_cmp_eq_u32_e32 vcc, s17, v10
	v_add_u32_e32 v47, 1, v40
	v_add_u32_e32 v46, 2, v40
	;; [unrolled: 1-line block ×7, first 2 shown]
	s_waitcnt vmcnt(0)
	v_lshrrev_b32_e32 v50, 16, v2
	v_lshrrev_b32_e32 v52, 16, v3
	;; [unrolled: 1-line block ×4, first 2 shown]
	s_and_saveexec_b64 s[12:13], vcc
	s_cbranch_execz .LBB174_86
; %bb.85:                               ;   in Loop: Header=BB174_51 Depth=1
	v_cmp_gt_i32_e64 s[0:1], s33, v40
	s_nop 1
	v_cndmask_b32_e64 v2, 0, v2, s[0:1]
	v_cmp_gt_i32_e64 s[0:1], s33, v47
	s_nop 1
	v_cndmask_b32_e64 v50, 0, v50, s[0:1]
	v_cmp_gt_i32_e64 s[0:1], s33, v46
	s_nop 1
	v_cndmask_b32_e64 v3, 0, v3, s[0:1]
	v_cmp_gt_i32_e64 s[0:1], s33, v44
	s_nop 1
	v_cndmask_b32_e64 v52, 0, v52, s[0:1]
	v_cmp_gt_i32_e64 s[0:1], s33, v43
	s_nop 1
	v_cndmask_b32_e64 v4, 0, v4, s[0:1]
	v_cmp_gt_i32_e64 s[0:1], s33, v42
	s_nop 1
	v_cndmask_b32_e64 v38, 0, v38, s[0:1]
	v_cmp_gt_i32_e64 s[0:1], s33, v41
	s_nop 1
	v_cndmask_b32_e64 v5, 0, v5, s[0:1]
	v_cmp_gt_i32_e64 s[0:1], s33, v45
	s_nop 1
	v_cndmask_b32_e64 v39, 0, v39, s[0:1]
.LBB174_86:                             ;   in Loop: Header=BB174_51 Depth=1
	s_or_b64 exec, exec, s[12:13]
	v_and_b32_e32 v48, 0xffff0000, v32
	v_lshlrev_b32_e32 v2, 16, v2
	v_mul_f32_e32 v2, v48, v2
	v_and_b32_e32 v32, 0x7f800000, v2
	v_cmp_ne_u32_e64 s[0:1], s18, v32
                                        ; implicit-def: $vgpr32
	s_and_saveexec_b64 s[12:13], s[0:1]
	s_xor_b64 s[0:1], exec, s[12:13]
; %bb.87:                               ;   in Loop: Header=BB174_51 Depth=1
	v_bfe_u32 v32, v2, 16, 1
	v_add3_u32 v32, v2, v32, s20
                                        ; implicit-def: $vgpr2
; %bb.88:                               ;   in Loop: Header=BB174_51 Depth=1
	s_andn2_saveexec_b64 s[12:13], s[0:1]
; %bb.89:                               ;   in Loop: Header=BB174_51 Depth=1
	v_or_b32_e32 v32, 0x10000, v2
	v_cmp_eq_u32_sdwa s[0:1], v2, v19 src0_sel:WORD_0 src1_sel:DWORD
	s_nop 1
	v_cndmask_b32_e64 v32, v32, v2, s[0:1]
; %bb.90:                               ;   in Loop: Header=BB174_51 Depth=1
	s_or_b64 exec, exec, s[12:13]
	v_and_b32_e32 v49, 0xffff0000, v33
	v_lshlrev_b32_e32 v2, 16, v50
	v_mul_f32_e32 v2, v49, v2
	v_and_b32_e32 v33, 0x7f800000, v2
	v_cmp_ne_u32_e64 s[0:1], s18, v33
                                        ; implicit-def: $vgpr33
	s_and_saveexec_b64 s[12:13], s[0:1]
	s_xor_b64 s[0:1], exec, s[12:13]
; %bb.91:                               ;   in Loop: Header=BB174_51 Depth=1
	v_bfe_u32 v33, v2, 16, 1
	v_add3_u32 v33, v2, v33, s20
                                        ; implicit-def: $vgpr2
; %bb.92:                               ;   in Loop: Header=BB174_51 Depth=1
	s_andn2_saveexec_b64 s[12:13], s[0:1]
; %bb.93:                               ;   in Loop: Header=BB174_51 Depth=1
	v_or_b32_e32 v33, 0x10000, v2
	v_cmp_eq_u32_sdwa s[0:1], v2, v19 src0_sel:WORD_0 src1_sel:DWORD
	s_nop 1
	v_cndmask_b32_e64 v33, v33, v2, s[0:1]
; %bb.94:                               ;   in Loop: Header=BB174_51 Depth=1
	s_or_b64 exec, exec, s[12:13]
	v_and_b32_e32 v50, 0xffff0000, v34
	v_lshlrev_b32_e32 v2, 16, v3
	v_mul_f32_e32 v2, v50, v2
	v_and_b32_e32 v3, 0x7f800000, v2
	v_cmp_ne_u32_e64 s[0:1], s18, v3
                                        ; implicit-def: $vgpr34
	s_and_saveexec_b64 s[12:13], s[0:1]
	s_xor_b64 s[0:1], exec, s[12:13]
; %bb.95:                               ;   in Loop: Header=BB174_51 Depth=1
	v_bfe_u32 v3, v2, 16, 1
	v_add3_u32 v34, v2, v3, s20
                                        ; implicit-def: $vgpr2
; %bb.96:                               ;   in Loop: Header=BB174_51 Depth=1
	s_andn2_saveexec_b64 s[12:13], s[0:1]
; %bb.97:                               ;   in Loop: Header=BB174_51 Depth=1
	v_or_b32_e32 v3, 0x10000, v2
	v_cmp_eq_u32_sdwa s[0:1], v2, v19 src0_sel:WORD_0 src1_sel:DWORD
	s_nop 1
	v_cndmask_b32_e64 v34, v3, v2, s[0:1]
; %bb.98:                               ;   in Loop: Header=BB174_51 Depth=1
	s_or_b64 exec, exec, s[12:13]
	v_and_b32_e32 v51, 0xffff0000, v35
	v_lshlrev_b32_e32 v2, 16, v52
	v_mul_f32_e32 v2, v51, v2
	v_and_b32_e32 v3, 0x7f800000, v2
	v_cmp_ne_u32_e64 s[0:1], s18, v3
                                        ; implicit-def: $vgpr35
	s_and_saveexec_b64 s[12:13], s[0:1]
	s_xor_b64 s[0:1], exec, s[12:13]
; %bb.99:                               ;   in Loop: Header=BB174_51 Depth=1
	v_bfe_u32 v3, v2, 16, 1
	v_add3_u32 v35, v2, v3, s20
                                        ; implicit-def: $vgpr2
; %bb.100:                              ;   in Loop: Header=BB174_51 Depth=1
	s_andn2_saveexec_b64 s[12:13], s[0:1]
; %bb.101:                              ;   in Loop: Header=BB174_51 Depth=1
	v_or_b32_e32 v3, 0x10000, v2
	v_cmp_eq_u32_sdwa s[0:1], v2, v19 src0_sel:WORD_0 src1_sel:DWORD
	s_nop 1
	v_cndmask_b32_e64 v35, v3, v2, s[0:1]
; %bb.102:                              ;   in Loop: Header=BB174_51 Depth=1
	s_or_b64 exec, exec, s[12:13]
	v_and_b32_e32 v52, 0xffff0000, v36
	v_lshlrev_b32_e32 v2, 16, v4
	v_mul_f32_e32 v2, v52, v2
	v_and_b32_e32 v3, 0x7f800000, v2
	v_cmp_ne_u32_e64 s[0:1], s18, v3
                                        ; implicit-def: $vgpr36
	s_and_saveexec_b64 s[12:13], s[0:1]
	s_xor_b64 s[0:1], exec, s[12:13]
; %bb.103:                              ;   in Loop: Header=BB174_51 Depth=1
	v_bfe_u32 v3, v2, 16, 1
	v_add3_u32 v36, v2, v3, s20
                                        ; implicit-def: $vgpr2
; %bb.104:                              ;   in Loop: Header=BB174_51 Depth=1
	s_andn2_saveexec_b64 s[12:13], s[0:1]
; %bb.105:                              ;   in Loop: Header=BB174_51 Depth=1
	v_or_b32_e32 v3, 0x10000, v2
	v_cmp_eq_u32_sdwa s[0:1], v2, v19 src0_sel:WORD_0 src1_sel:DWORD
	s_nop 1
	v_cndmask_b32_e64 v36, v3, v2, s[0:1]
; %bb.106:                              ;   in Loop: Header=BB174_51 Depth=1
	s_or_b64 exec, exec, s[12:13]
	v_and_b32_e32 v53, 0xffff0000, v37
	v_lshlrev_b32_e32 v2, 16, v38
	v_mul_f32_e32 v2, v53, v2
	v_and_b32_e32 v3, 0x7f800000, v2
	v_cmp_ne_u32_e64 s[0:1], s18, v3
                                        ; implicit-def: $vgpr37
	s_and_saveexec_b64 s[12:13], s[0:1]
	s_xor_b64 s[0:1], exec, s[12:13]
; %bb.107:                              ;   in Loop: Header=BB174_51 Depth=1
	v_bfe_u32 v3, v2, 16, 1
	v_add3_u32 v37, v2, v3, s20
                                        ; implicit-def: $vgpr2
; %bb.108:                              ;   in Loop: Header=BB174_51 Depth=1
	s_andn2_saveexec_b64 s[12:13], s[0:1]
; %bb.109:                              ;   in Loop: Header=BB174_51 Depth=1
	v_or_b32_e32 v3, 0x10000, v2
	v_cmp_eq_u32_sdwa s[0:1], v2, v19 src0_sel:WORD_0 src1_sel:DWORD
	s_nop 1
	v_cndmask_b32_e64 v37, v3, v2, s[0:1]
; %bb.110:                              ;   in Loop: Header=BB174_51 Depth=1
	s_or_b64 exec, exec, s[12:13]
	v_and_b32_e32 v54, 0xffff0000, v25
	v_lshlrev_b32_e32 v2, 16, v5
	v_mul_f32_e32 v2, v54, v2
	v_and_b32_e32 v3, 0x7f800000, v2
	v_cmp_ne_u32_e64 s[0:1], s18, v3
                                        ; implicit-def: $vgpr38
	s_and_saveexec_b64 s[12:13], s[0:1]
	s_xor_b64 s[0:1], exec, s[12:13]
; %bb.111:                              ;   in Loop: Header=BB174_51 Depth=1
	v_bfe_u32 v3, v2, 16, 1
	v_add3_u32 v38, v2, v3, s20
                                        ; implicit-def: $vgpr2
; %bb.112:                              ;   in Loop: Header=BB174_51 Depth=1
	s_andn2_saveexec_b64 s[12:13], s[0:1]
; %bb.113:                              ;   in Loop: Header=BB174_51 Depth=1
	v_or_b32_e32 v3, 0x10000, v2
	v_cmp_eq_u32_sdwa s[0:1], v2, v19 src0_sel:WORD_0 src1_sel:DWORD
	s_nop 1
	v_cndmask_b32_e64 v38, v3, v2, s[0:1]
; %bb.114:                              ;   in Loop: Header=BB174_51 Depth=1
	s_or_b64 exec, exec, s[12:13]
	v_and_b32_e32 v55, 0xffff0000, v23
	v_lshlrev_b32_e32 v2, 16, v39
	v_mul_f32_e32 v2, v55, v2
	v_and_b32_e32 v3, 0x7f800000, v2
	v_cmp_ne_u32_e64 s[0:1], s18, v3
                                        ; implicit-def: $vgpr39
	s_and_saveexec_b64 s[12:13], s[0:1]
	s_xor_b64 s[0:1], exec, s[12:13]
; %bb.115:                              ;   in Loop: Header=BB174_51 Depth=1
	v_bfe_u32 v3, v2, 16, 1
	v_add3_u32 v39, v2, v3, s20
                                        ; implicit-def: $vgpr2
; %bb.116:                              ;   in Loop: Header=BB174_51 Depth=1
	s_andn2_saveexec_b64 s[12:13], s[0:1]
; %bb.117:                              ;   in Loop: Header=BB174_51 Depth=1
	v_or_b32_e32 v3, 0x10000, v2
	v_cmp_eq_u32_sdwa s[0:1], v2, v19 src0_sel:WORD_0 src1_sel:DWORD
	s_nop 1
	v_cndmask_b32_e64 v39, v3, v2, s[0:1]
; %bb.118:                              ;   in Loop: Header=BB174_51 Depth=1
	s_or_b64 exec, exec, s[12:13]
	global_load_dwordx4 v[2:5], v[8:9], off offset:1024
	s_waitcnt vmcnt(0)
	v_lshrrev_b32_e32 v57, 16, v2
	v_lshrrev_b32_e32 v59, 16, v3
	;; [unrolled: 1-line block ×4, first 2 shown]
	s_and_saveexec_b64 s[12:13], vcc
	s_cbranch_execz .LBB174_120
; %bb.119:                              ;   in Loop: Header=BB174_51 Depth=1
	v_cmp_gt_i32_e64 s[0:1], s33, v40
	s_nop 1
	v_cndmask_b32_e64 v2, 0, v2, s[0:1]
	v_cmp_gt_i32_e64 s[0:1], s33, v47
	s_nop 1
	v_cndmask_b32_e64 v57, 0, v57, s[0:1]
	;; [unrolled: 3-line block ×8, first 2 shown]
.LBB174_120:                            ;   in Loop: Header=BB174_51 Depth=1
	s_or_b64 exec, exec, s[12:13]
	v_lshlrev_b32_e32 v2, 16, v2
	v_mul_f32_e32 v2, v48, v2
	v_and_b32_e32 v56, 0x7f800000, v2
	v_cmp_ne_u32_e64 s[0:1], s18, v56
                                        ; implicit-def: $vgpr56
	s_and_saveexec_b64 s[12:13], s[0:1]
	s_xor_b64 s[0:1], exec, s[12:13]
; %bb.121:                              ;   in Loop: Header=BB174_51 Depth=1
	v_bfe_u32 v56, v2, 16, 1
	v_add3_u32 v56, v2, v56, s20
                                        ; implicit-def: $vgpr2
; %bb.122:                              ;   in Loop: Header=BB174_51 Depth=1
	s_andn2_saveexec_b64 s[12:13], s[0:1]
; %bb.123:                              ;   in Loop: Header=BB174_51 Depth=1
	v_or_b32_e32 v56, 0x10000, v2
	v_cmp_eq_u32_sdwa s[0:1], v2, v19 src0_sel:WORD_0 src1_sel:DWORD
	s_nop 1
	v_cndmask_b32_e64 v56, v56, v2, s[0:1]
; %bb.124:                              ;   in Loop: Header=BB174_51 Depth=1
	s_or_b64 exec, exec, s[12:13]
	v_lshlrev_b32_e32 v2, 16, v57
	v_mul_f32_e32 v2, v49, v2
	v_and_b32_e32 v57, 0x7f800000, v2
	v_cmp_ne_u32_e64 s[0:1], s18, v57
                                        ; implicit-def: $vgpr57
	s_and_saveexec_b64 s[12:13], s[0:1]
	s_xor_b64 s[0:1], exec, s[12:13]
; %bb.125:                              ;   in Loop: Header=BB174_51 Depth=1
	v_bfe_u32 v57, v2, 16, 1
	v_add3_u32 v57, v2, v57, s20
                                        ; implicit-def: $vgpr2
; %bb.126:                              ;   in Loop: Header=BB174_51 Depth=1
	s_andn2_saveexec_b64 s[12:13], s[0:1]
; %bb.127:                              ;   in Loop: Header=BB174_51 Depth=1
	v_or_b32_e32 v57, 0x10000, v2
	v_cmp_eq_u32_sdwa s[0:1], v2, v19 src0_sel:WORD_0 src1_sel:DWORD
	s_nop 1
	v_cndmask_b32_e64 v57, v57, v2, s[0:1]
; %bb.128:                              ;   in Loop: Header=BB174_51 Depth=1
	s_or_b64 exec, exec, s[12:13]
	v_lshlrev_b32_e32 v2, 16, v3
	v_mul_f32_e32 v2, v50, v2
	v_and_b32_e32 v3, 0x7f800000, v2
	v_cmp_ne_u32_e64 s[0:1], s18, v3
                                        ; implicit-def: $vgpr58
	s_and_saveexec_b64 s[12:13], s[0:1]
	s_xor_b64 s[0:1], exec, s[12:13]
; %bb.129:                              ;   in Loop: Header=BB174_51 Depth=1
	v_bfe_u32 v3, v2, 16, 1
	v_add3_u32 v58, v2, v3, s20
                                        ; implicit-def: $vgpr2
; %bb.130:                              ;   in Loop: Header=BB174_51 Depth=1
	s_andn2_saveexec_b64 s[12:13], s[0:1]
; %bb.131:                              ;   in Loop: Header=BB174_51 Depth=1
	v_or_b32_e32 v3, 0x10000, v2
	v_cmp_eq_u32_sdwa s[0:1], v2, v19 src0_sel:WORD_0 src1_sel:DWORD
	s_nop 1
	v_cndmask_b32_e64 v58, v3, v2, s[0:1]
; %bb.132:                              ;   in Loop: Header=BB174_51 Depth=1
	s_or_b64 exec, exec, s[12:13]
	v_lshlrev_b32_e32 v2, 16, v59
	v_mul_f32_e32 v2, v51, v2
	v_and_b32_e32 v3, 0x7f800000, v2
	v_cmp_ne_u32_e64 s[0:1], s18, v3
                                        ; implicit-def: $vgpr59
	s_and_saveexec_b64 s[12:13], s[0:1]
	s_xor_b64 s[0:1], exec, s[12:13]
; %bb.133:                              ;   in Loop: Header=BB174_51 Depth=1
	v_bfe_u32 v3, v2, 16, 1
	v_add3_u32 v59, v2, v3, s20
                                        ; implicit-def: $vgpr2
; %bb.134:                              ;   in Loop: Header=BB174_51 Depth=1
	s_andn2_saveexec_b64 s[12:13], s[0:1]
; %bb.135:                              ;   in Loop: Header=BB174_51 Depth=1
	v_or_b32_e32 v3, 0x10000, v2
	v_cmp_eq_u32_sdwa s[0:1], v2, v19 src0_sel:WORD_0 src1_sel:DWORD
	s_nop 1
	v_cndmask_b32_e64 v59, v3, v2, s[0:1]
; %bb.136:                              ;   in Loop: Header=BB174_51 Depth=1
	s_or_b64 exec, exec, s[12:13]
	v_lshlrev_b32_e32 v2, 16, v4
	v_mul_f32_e32 v2, v52, v2
	v_and_b32_e32 v3, 0x7f800000, v2
	v_cmp_ne_u32_e64 s[0:1], s18, v3
                                        ; implicit-def: $vgpr60
	s_and_saveexec_b64 s[12:13], s[0:1]
	s_xor_b64 s[0:1], exec, s[12:13]
; %bb.137:                              ;   in Loop: Header=BB174_51 Depth=1
	v_bfe_u32 v3, v2, 16, 1
	v_add3_u32 v60, v2, v3, s20
                                        ; implicit-def: $vgpr2
; %bb.138:                              ;   in Loop: Header=BB174_51 Depth=1
	s_andn2_saveexec_b64 s[12:13], s[0:1]
; %bb.139:                              ;   in Loop: Header=BB174_51 Depth=1
	v_or_b32_e32 v3, 0x10000, v2
	v_cmp_eq_u32_sdwa s[0:1], v2, v19 src0_sel:WORD_0 src1_sel:DWORD
	s_nop 1
	v_cndmask_b32_e64 v60, v3, v2, s[0:1]
; %bb.140:                              ;   in Loop: Header=BB174_51 Depth=1
	s_or_b64 exec, exec, s[12:13]
	v_lshlrev_b32_e32 v2, 16, v25
	v_mul_f32_e32 v2, v53, v2
	v_and_b32_e32 v3, 0x7f800000, v2
	v_cmp_ne_u32_e64 s[0:1], s18, v3
                                        ; implicit-def: $vgpr61
	s_and_saveexec_b64 s[12:13], s[0:1]
	s_xor_b64 s[0:1], exec, s[12:13]
; %bb.141:                              ;   in Loop: Header=BB174_51 Depth=1
	v_bfe_u32 v3, v2, 16, 1
	v_add3_u32 v61, v2, v3, s20
                                        ; implicit-def: $vgpr2
; %bb.142:                              ;   in Loop: Header=BB174_51 Depth=1
	s_andn2_saveexec_b64 s[12:13], s[0:1]
; %bb.143:                              ;   in Loop: Header=BB174_51 Depth=1
	v_or_b32_e32 v3, 0x10000, v2
	v_cmp_eq_u32_sdwa s[0:1], v2, v19 src0_sel:WORD_0 src1_sel:DWORD
	s_nop 1
	v_cndmask_b32_e64 v61, v3, v2, s[0:1]
; %bb.144:                              ;   in Loop: Header=BB174_51 Depth=1
	s_or_b64 exec, exec, s[12:13]
	v_lshlrev_b32_e32 v2, 16, v5
	v_mul_f32_e32 v2, v54, v2
	v_and_b32_e32 v3, 0x7f800000, v2
	v_cmp_ne_u32_e64 s[0:1], s18, v3
                                        ; implicit-def: $vgpr62
	s_and_saveexec_b64 s[12:13], s[0:1]
	s_xor_b64 s[0:1], exec, s[12:13]
; %bb.145:                              ;   in Loop: Header=BB174_51 Depth=1
	v_bfe_u32 v3, v2, 16, 1
	v_add3_u32 v62, v2, v3, s20
                                        ; implicit-def: $vgpr2
; %bb.146:                              ;   in Loop: Header=BB174_51 Depth=1
	s_andn2_saveexec_b64 s[12:13], s[0:1]
; %bb.147:                              ;   in Loop: Header=BB174_51 Depth=1
	v_or_b32_e32 v3, 0x10000, v2
	v_cmp_eq_u32_sdwa s[0:1], v2, v19 src0_sel:WORD_0 src1_sel:DWORD
	s_nop 1
	v_cndmask_b32_e64 v62, v3, v2, s[0:1]
; %bb.148:                              ;   in Loop: Header=BB174_51 Depth=1
	s_or_b64 exec, exec, s[12:13]
	v_lshlrev_b32_e32 v2, 16, v23
	v_mul_f32_e32 v2, v55, v2
	v_and_b32_e32 v3, 0x7f800000, v2
	v_cmp_ne_u32_e64 s[0:1], s18, v3
                                        ; implicit-def: $vgpr63
	s_and_saveexec_b64 s[12:13], s[0:1]
	s_xor_b64 s[0:1], exec, s[12:13]
; %bb.149:                              ;   in Loop: Header=BB174_51 Depth=1
	v_bfe_u32 v3, v2, 16, 1
	v_add3_u32 v63, v2, v3, s20
                                        ; implicit-def: $vgpr2
; %bb.150:                              ;   in Loop: Header=BB174_51 Depth=1
	s_andn2_saveexec_b64 s[12:13], s[0:1]
; %bb.151:                              ;   in Loop: Header=BB174_51 Depth=1
	v_or_b32_e32 v3, 0x10000, v2
	v_cmp_eq_u32_sdwa s[0:1], v2, v19 src0_sel:WORD_0 src1_sel:DWORD
	s_nop 1
	v_cndmask_b32_e64 v63, v3, v2, s[0:1]
; %bb.152:                              ;   in Loop: Header=BB174_51 Depth=1
	s_or_b64 exec, exec, s[12:13]
	global_load_dwordx4 v[2:5], v[8:9], off offset:2048
	s_waitcnt vmcnt(0)
	v_lshrrev_b32_e32 v65, 16, v2
	v_lshrrev_b32_e32 v67, 16, v3
	;; [unrolled: 1-line block ×4, first 2 shown]
	s_and_saveexec_b64 s[12:13], vcc
	s_cbranch_execz .LBB174_154
; %bb.153:                              ;   in Loop: Header=BB174_51 Depth=1
	v_cmp_gt_i32_e64 s[0:1], s33, v40
	s_nop 1
	v_cndmask_b32_e64 v2, 0, v2, s[0:1]
	v_cmp_gt_i32_e64 s[0:1], s33, v47
	s_nop 1
	v_cndmask_b32_e64 v65, 0, v65, s[0:1]
	;; [unrolled: 3-line block ×8, first 2 shown]
.LBB174_154:                            ;   in Loop: Header=BB174_51 Depth=1
	s_or_b64 exec, exec, s[12:13]
	v_lshlrev_b32_e32 v2, 16, v2
	v_mul_f32_e32 v2, v48, v2
	v_and_b32_e32 v64, 0x7f800000, v2
	v_cmp_ne_u32_e64 s[0:1], s18, v64
                                        ; implicit-def: $vgpr64
	s_and_saveexec_b64 s[12:13], s[0:1]
	s_xor_b64 s[0:1], exec, s[12:13]
; %bb.155:                              ;   in Loop: Header=BB174_51 Depth=1
	v_bfe_u32 v64, v2, 16, 1
	v_add3_u32 v64, v2, v64, s20
                                        ; implicit-def: $vgpr2
; %bb.156:                              ;   in Loop: Header=BB174_51 Depth=1
	s_andn2_saveexec_b64 s[12:13], s[0:1]
; %bb.157:                              ;   in Loop: Header=BB174_51 Depth=1
	v_or_b32_e32 v64, 0x10000, v2
	v_cmp_eq_u32_sdwa s[0:1], v2, v19 src0_sel:WORD_0 src1_sel:DWORD
	s_nop 1
	v_cndmask_b32_e64 v64, v64, v2, s[0:1]
; %bb.158:                              ;   in Loop: Header=BB174_51 Depth=1
	s_or_b64 exec, exec, s[12:13]
	v_lshlrev_b32_e32 v2, 16, v65
	v_mul_f32_e32 v2, v49, v2
	v_and_b32_e32 v65, 0x7f800000, v2
	v_cmp_ne_u32_e64 s[0:1], s18, v65
                                        ; implicit-def: $vgpr65
	s_and_saveexec_b64 s[12:13], s[0:1]
	s_xor_b64 s[0:1], exec, s[12:13]
; %bb.159:                              ;   in Loop: Header=BB174_51 Depth=1
	v_bfe_u32 v65, v2, 16, 1
	v_add3_u32 v65, v2, v65, s20
                                        ; implicit-def: $vgpr2
; %bb.160:                              ;   in Loop: Header=BB174_51 Depth=1
	s_andn2_saveexec_b64 s[12:13], s[0:1]
; %bb.161:                              ;   in Loop: Header=BB174_51 Depth=1
	v_or_b32_e32 v65, 0x10000, v2
	v_cmp_eq_u32_sdwa s[0:1], v2, v19 src0_sel:WORD_0 src1_sel:DWORD
	s_nop 1
	v_cndmask_b32_e64 v65, v65, v2, s[0:1]
; %bb.162:                              ;   in Loop: Header=BB174_51 Depth=1
	s_or_b64 exec, exec, s[12:13]
	v_lshlrev_b32_e32 v2, 16, v3
	v_mul_f32_e32 v2, v50, v2
	v_and_b32_e32 v3, 0x7f800000, v2
	v_cmp_ne_u32_e64 s[0:1], s18, v3
                                        ; implicit-def: $vgpr66
	s_and_saveexec_b64 s[12:13], s[0:1]
	s_xor_b64 s[0:1], exec, s[12:13]
; %bb.163:                              ;   in Loop: Header=BB174_51 Depth=1
	v_bfe_u32 v3, v2, 16, 1
	v_add3_u32 v66, v2, v3, s20
                                        ; implicit-def: $vgpr2
; %bb.164:                              ;   in Loop: Header=BB174_51 Depth=1
	s_andn2_saveexec_b64 s[12:13], s[0:1]
; %bb.165:                              ;   in Loop: Header=BB174_51 Depth=1
	v_or_b32_e32 v3, 0x10000, v2
	v_cmp_eq_u32_sdwa s[0:1], v2, v19 src0_sel:WORD_0 src1_sel:DWORD
	s_nop 1
	v_cndmask_b32_e64 v66, v3, v2, s[0:1]
; %bb.166:                              ;   in Loop: Header=BB174_51 Depth=1
	s_or_b64 exec, exec, s[12:13]
	v_lshlrev_b32_e32 v2, 16, v67
	v_mul_f32_e32 v2, v51, v2
	v_and_b32_e32 v3, 0x7f800000, v2
	v_cmp_ne_u32_e64 s[0:1], s18, v3
                                        ; implicit-def: $vgpr67
	s_and_saveexec_b64 s[12:13], s[0:1]
	s_xor_b64 s[0:1], exec, s[12:13]
; %bb.167:                              ;   in Loop: Header=BB174_51 Depth=1
	v_bfe_u32 v3, v2, 16, 1
	v_add3_u32 v67, v2, v3, s20
                                        ; implicit-def: $vgpr2
; %bb.168:                              ;   in Loop: Header=BB174_51 Depth=1
	s_andn2_saveexec_b64 s[12:13], s[0:1]
; %bb.169:                              ;   in Loop: Header=BB174_51 Depth=1
	v_or_b32_e32 v3, 0x10000, v2
	v_cmp_eq_u32_sdwa s[0:1], v2, v19 src0_sel:WORD_0 src1_sel:DWORD
	s_nop 1
	v_cndmask_b32_e64 v67, v3, v2, s[0:1]
; %bb.170:                              ;   in Loop: Header=BB174_51 Depth=1
	s_or_b64 exec, exec, s[12:13]
	v_lshlrev_b32_e32 v2, 16, v4
	v_mul_f32_e32 v2, v52, v2
	v_and_b32_e32 v3, 0x7f800000, v2
	v_cmp_ne_u32_e64 s[0:1], s18, v3
                                        ; implicit-def: $vgpr68
	s_and_saveexec_b64 s[12:13], s[0:1]
	s_xor_b64 s[0:1], exec, s[12:13]
; %bb.171:                              ;   in Loop: Header=BB174_51 Depth=1
	v_bfe_u32 v3, v2, 16, 1
	v_add3_u32 v68, v2, v3, s20
                                        ; implicit-def: $vgpr2
; %bb.172:                              ;   in Loop: Header=BB174_51 Depth=1
	s_andn2_saveexec_b64 s[12:13], s[0:1]
; %bb.173:                              ;   in Loop: Header=BB174_51 Depth=1
	v_or_b32_e32 v3, 0x10000, v2
	v_cmp_eq_u32_sdwa s[0:1], v2, v19 src0_sel:WORD_0 src1_sel:DWORD
	s_nop 1
	v_cndmask_b32_e64 v68, v3, v2, s[0:1]
; %bb.174:                              ;   in Loop: Header=BB174_51 Depth=1
	s_or_b64 exec, exec, s[12:13]
	v_lshlrev_b32_e32 v2, 16, v25
	v_mul_f32_e32 v2, v53, v2
	v_and_b32_e32 v3, 0x7f800000, v2
	v_cmp_ne_u32_e64 s[0:1], s18, v3
                                        ; implicit-def: $vgpr69
	s_and_saveexec_b64 s[12:13], s[0:1]
	s_xor_b64 s[0:1], exec, s[12:13]
; %bb.175:                              ;   in Loop: Header=BB174_51 Depth=1
	v_bfe_u32 v3, v2, 16, 1
	v_add3_u32 v69, v2, v3, s20
                                        ; implicit-def: $vgpr2
; %bb.176:                              ;   in Loop: Header=BB174_51 Depth=1
	s_andn2_saveexec_b64 s[12:13], s[0:1]
; %bb.177:                              ;   in Loop: Header=BB174_51 Depth=1
	v_or_b32_e32 v3, 0x10000, v2
	v_cmp_eq_u32_sdwa s[0:1], v2, v19 src0_sel:WORD_0 src1_sel:DWORD
	s_nop 1
	v_cndmask_b32_e64 v69, v3, v2, s[0:1]
; %bb.178:                              ;   in Loop: Header=BB174_51 Depth=1
	s_or_b64 exec, exec, s[12:13]
	v_lshlrev_b32_e32 v2, 16, v5
	v_mul_f32_e32 v2, v54, v2
	v_and_b32_e32 v3, 0x7f800000, v2
	v_cmp_ne_u32_e64 s[0:1], s18, v3
                                        ; implicit-def: $vgpr70
	s_and_saveexec_b64 s[12:13], s[0:1]
	s_xor_b64 s[0:1], exec, s[12:13]
; %bb.179:                              ;   in Loop: Header=BB174_51 Depth=1
	v_bfe_u32 v3, v2, 16, 1
	v_add3_u32 v70, v2, v3, s20
                                        ; implicit-def: $vgpr2
; %bb.180:                              ;   in Loop: Header=BB174_51 Depth=1
	s_andn2_saveexec_b64 s[12:13], s[0:1]
; %bb.181:                              ;   in Loop: Header=BB174_51 Depth=1
	v_or_b32_e32 v3, 0x10000, v2
	v_cmp_eq_u32_sdwa s[0:1], v2, v19 src0_sel:WORD_0 src1_sel:DWORD
	s_nop 1
	v_cndmask_b32_e64 v70, v3, v2, s[0:1]
; %bb.182:                              ;   in Loop: Header=BB174_51 Depth=1
	s_or_b64 exec, exec, s[12:13]
	v_lshlrev_b32_e32 v2, 16, v23
	v_mul_f32_e32 v2, v55, v2
	v_and_b32_e32 v3, 0x7f800000, v2
	v_cmp_ne_u32_e64 s[0:1], s18, v3
                                        ; implicit-def: $vgpr71
	s_and_saveexec_b64 s[12:13], s[0:1]
	s_xor_b64 s[0:1], exec, s[12:13]
; %bb.183:                              ;   in Loop: Header=BB174_51 Depth=1
	v_bfe_u32 v3, v2, 16, 1
	v_add3_u32 v71, v2, v3, s20
                                        ; implicit-def: $vgpr2
; %bb.184:                              ;   in Loop: Header=BB174_51 Depth=1
	s_andn2_saveexec_b64 s[12:13], s[0:1]
; %bb.185:                              ;   in Loop: Header=BB174_51 Depth=1
	v_or_b32_e32 v3, 0x10000, v2
	v_cmp_eq_u32_sdwa s[0:1], v2, v19 src0_sel:WORD_0 src1_sel:DWORD
	s_nop 1
	v_cndmask_b32_e64 v71, v3, v2, s[0:1]
; %bb.186:                              ;   in Loop: Header=BB174_51 Depth=1
	s_or_b64 exec, exec, s[12:13]
	global_load_dwordx4 v[2:5], v[8:9], off offset:3072
	s_waitcnt vmcnt(0)
	v_lshrrev_b32_e32 v9, 16, v2
	v_lshrrev_b32_e32 v73, 16, v3
	;; [unrolled: 1-line block ×4, first 2 shown]
	s_and_saveexec_b64 s[12:13], vcc
	s_cbranch_execz .LBB174_188
; %bb.187:                              ;   in Loop: Header=BB174_51 Depth=1
	v_cmp_gt_i32_e64 s[0:1], s33, v40
	s_nop 1
	v_cndmask_b32_e64 v2, 0, v2, s[0:1]
	v_cmp_gt_i32_e64 s[0:1], s33, v47
	s_nop 1
	v_cndmask_b32_e64 v9, 0, v9, s[0:1]
	;; [unrolled: 3-line block ×8, first 2 shown]
.LBB174_188:                            ;   in Loop: Header=BB174_51 Depth=1
	s_or_b64 exec, exec, s[12:13]
	v_lshlrev_b32_e32 v2, 16, v2
	v_mul_f32_e32 v2, v48, v2
	v_and_b32_e32 v8, 0x7f800000, v2
	v_cmp_ne_u32_e64 s[0:1], s18, v8
                                        ; implicit-def: $vgpr8
	s_and_saveexec_b64 s[12:13], s[0:1]
	s_xor_b64 s[0:1], exec, s[12:13]
; %bb.189:                              ;   in Loop: Header=BB174_51 Depth=1
	v_bfe_u32 v8, v2, 16, 1
	v_add3_u32 v8, v2, v8, s20
                                        ; implicit-def: $vgpr2
; %bb.190:                              ;   in Loop: Header=BB174_51 Depth=1
	s_andn2_saveexec_b64 s[12:13], s[0:1]
; %bb.191:                              ;   in Loop: Header=BB174_51 Depth=1
	v_or_b32_e32 v8, 0x10000, v2
	v_cmp_eq_u32_sdwa s[0:1], v2, v19 src0_sel:WORD_0 src1_sel:DWORD
	s_nop 1
	v_cndmask_b32_e64 v8, v8, v2, s[0:1]
; %bb.192:                              ;   in Loop: Header=BB174_51 Depth=1
	s_or_b64 exec, exec, s[12:13]
	v_lshlrev_b32_e32 v2, 16, v9
	v_mul_f32_e32 v2, v49, v2
	v_and_b32_e32 v9, 0x7f800000, v2
	v_cmp_ne_u32_e64 s[0:1], s18, v9
                                        ; implicit-def: $vgpr9
	s_and_saveexec_b64 s[12:13], s[0:1]
	s_xor_b64 s[0:1], exec, s[12:13]
; %bb.193:                              ;   in Loop: Header=BB174_51 Depth=1
	v_bfe_u32 v9, v2, 16, 1
	v_add3_u32 v9, v2, v9, s20
                                        ; implicit-def: $vgpr2
; %bb.194:                              ;   in Loop: Header=BB174_51 Depth=1
	s_andn2_saveexec_b64 s[12:13], s[0:1]
; %bb.195:                              ;   in Loop: Header=BB174_51 Depth=1
	v_or_b32_e32 v9, 0x10000, v2
	v_cmp_eq_u32_sdwa s[0:1], v2, v19 src0_sel:WORD_0 src1_sel:DWORD
	s_nop 1
	v_cndmask_b32_e64 v9, v9, v2, s[0:1]
; %bb.196:                              ;   in Loop: Header=BB174_51 Depth=1
	s_or_b64 exec, exec, s[12:13]
	v_lshlrev_b32_e32 v2, 16, v3
	v_mul_f32_e32 v2, v50, v2
	v_and_b32_e32 v3, 0x7f800000, v2
	v_cmp_ne_u32_e64 s[0:1], s18, v3
                                        ; implicit-def: $vgpr72
	s_and_saveexec_b64 s[12:13], s[0:1]
	s_xor_b64 s[0:1], exec, s[12:13]
; %bb.197:                              ;   in Loop: Header=BB174_51 Depth=1
	v_bfe_u32 v3, v2, 16, 1
	v_add3_u32 v72, v2, v3, s20
                                        ; implicit-def: $vgpr2
; %bb.198:                              ;   in Loop: Header=BB174_51 Depth=1
	s_andn2_saveexec_b64 s[12:13], s[0:1]
; %bb.199:                              ;   in Loop: Header=BB174_51 Depth=1
	v_or_b32_e32 v3, 0x10000, v2
	v_cmp_eq_u32_sdwa s[0:1], v2, v19 src0_sel:WORD_0 src1_sel:DWORD
	s_nop 1
	v_cndmask_b32_e64 v72, v3, v2, s[0:1]
; %bb.200:                              ;   in Loop: Header=BB174_51 Depth=1
	s_or_b64 exec, exec, s[12:13]
	v_lshlrev_b32_e32 v2, 16, v73
	v_mul_f32_e32 v2, v51, v2
	v_and_b32_e32 v3, 0x7f800000, v2
	v_cmp_ne_u32_e64 s[0:1], s18, v3
                                        ; implicit-def: $vgpr73
	s_and_saveexec_b64 s[12:13], s[0:1]
	s_xor_b64 s[0:1], exec, s[12:13]
; %bb.201:                              ;   in Loop: Header=BB174_51 Depth=1
	v_bfe_u32 v3, v2, 16, 1
	v_add3_u32 v73, v2, v3, s20
                                        ; implicit-def: $vgpr2
; %bb.202:                              ;   in Loop: Header=BB174_51 Depth=1
	s_andn2_saveexec_b64 s[12:13], s[0:1]
; %bb.203:                              ;   in Loop: Header=BB174_51 Depth=1
	v_or_b32_e32 v3, 0x10000, v2
	v_cmp_eq_u32_sdwa s[0:1], v2, v19 src0_sel:WORD_0 src1_sel:DWORD
	s_nop 1
	v_cndmask_b32_e64 v73, v3, v2, s[0:1]
; %bb.204:                              ;   in Loop: Header=BB174_51 Depth=1
	s_or_b64 exec, exec, s[12:13]
	v_lshlrev_b32_e32 v2, 16, v4
	v_mul_f32_e32 v2, v52, v2
	v_and_b32_e32 v3, 0x7f800000, v2
	v_cmp_ne_u32_e64 s[0:1], s18, v3
                                        ; implicit-def: $vgpr74
	s_and_saveexec_b64 s[12:13], s[0:1]
	s_xor_b64 s[0:1], exec, s[12:13]
; %bb.205:                              ;   in Loop: Header=BB174_51 Depth=1
	v_bfe_u32 v3, v2, 16, 1
	v_add3_u32 v74, v2, v3, s20
                                        ; implicit-def: $vgpr2
; %bb.206:                              ;   in Loop: Header=BB174_51 Depth=1
	s_andn2_saveexec_b64 s[12:13], s[0:1]
; %bb.207:                              ;   in Loop: Header=BB174_51 Depth=1
	v_or_b32_e32 v3, 0x10000, v2
	v_cmp_eq_u32_sdwa s[0:1], v2, v19 src0_sel:WORD_0 src1_sel:DWORD
	s_nop 1
	v_cndmask_b32_e64 v74, v3, v2, s[0:1]
; %bb.208:                              ;   in Loop: Header=BB174_51 Depth=1
	s_or_b64 exec, exec, s[12:13]
	v_lshlrev_b32_e32 v2, 16, v25
	v_mul_f32_e32 v2, v53, v2
	v_and_b32_e32 v3, 0x7f800000, v2
	v_cmp_ne_u32_e64 s[0:1], s18, v3
                                        ; implicit-def: $vgpr75
	s_and_saveexec_b64 s[12:13], s[0:1]
	s_xor_b64 s[0:1], exec, s[12:13]
; %bb.209:                              ;   in Loop: Header=BB174_51 Depth=1
	v_bfe_u32 v3, v2, 16, 1
	v_add3_u32 v75, v2, v3, s20
                                        ; implicit-def: $vgpr2
; %bb.210:                              ;   in Loop: Header=BB174_51 Depth=1
	s_andn2_saveexec_b64 s[12:13], s[0:1]
; %bb.211:                              ;   in Loop: Header=BB174_51 Depth=1
	v_or_b32_e32 v3, 0x10000, v2
	v_cmp_eq_u32_sdwa s[0:1], v2, v19 src0_sel:WORD_0 src1_sel:DWORD
	s_nop 1
	v_cndmask_b32_e64 v75, v3, v2, s[0:1]
; %bb.212:                              ;   in Loop: Header=BB174_51 Depth=1
	s_or_b64 exec, exec, s[12:13]
	v_lshlrev_b32_e32 v2, 16, v5
	v_mul_f32_e32 v2, v54, v2
	v_and_b32_e32 v3, 0x7f800000, v2
	v_cmp_ne_u32_e64 s[0:1], s18, v3
                                        ; implicit-def: $vgpr76
	s_and_saveexec_b64 s[12:13], s[0:1]
	s_xor_b64 s[0:1], exec, s[12:13]
; %bb.213:                              ;   in Loop: Header=BB174_51 Depth=1
	v_bfe_u32 v3, v2, 16, 1
	v_add3_u32 v76, v2, v3, s20
                                        ; implicit-def: $vgpr2
; %bb.214:                              ;   in Loop: Header=BB174_51 Depth=1
	s_andn2_saveexec_b64 s[12:13], s[0:1]
; %bb.215:                              ;   in Loop: Header=BB174_51 Depth=1
	v_or_b32_e32 v3, 0x10000, v2
	v_cmp_eq_u32_sdwa s[0:1], v2, v19 src0_sel:WORD_0 src1_sel:DWORD
	s_nop 1
	v_cndmask_b32_e64 v76, v3, v2, s[0:1]
; %bb.216:                              ;   in Loop: Header=BB174_51 Depth=1
	s_or_b64 exec, exec, s[12:13]
	v_lshlrev_b32_e32 v2, 16, v23
	v_mul_f32_e32 v2, v55, v2
	v_and_b32_e32 v3, 0x7f800000, v2
	v_cmp_ne_u32_e64 s[0:1], s18, v3
                                        ; implicit-def: $vgpr77
	s_and_saveexec_b64 s[12:13], s[0:1]
	s_xor_b64 s[0:1], exec, s[12:13]
; %bb.217:                              ;   in Loop: Header=BB174_51 Depth=1
	v_bfe_u32 v3, v2, 16, 1
	v_add3_u32 v77, v2, v3, s20
                                        ; implicit-def: $vgpr2
; %bb.218:                              ;   in Loop: Header=BB174_51 Depth=1
	s_andn2_saveexec_b64 s[12:13], s[0:1]
; %bb.219:                              ;   in Loop: Header=BB174_51 Depth=1
	v_or_b32_e32 v3, 0x10000, v2
	v_cmp_eq_u32_sdwa s[0:1], v2, v19 src0_sel:WORD_0 src1_sel:DWORD
	s_nop 1
	v_cndmask_b32_e64 v77, v3, v2, s[0:1]
; %bb.220:                              ;   in Loop: Header=BB174_51 Depth=1
	s_or_b64 exec, exec, s[12:13]
	v_mov_b32_e32 v23, v19
	v_lshl_add_u64 v[2:3], v[6:7], 0, v[22:23]
	global_load_dwordx4 v[2:5], v[2:3], off
	s_waitcnt vmcnt(0)
	v_lshrrev_b32_e32 v78, 16, v2
	v_lshrrev_b32_e32 v80, 16, v3
	v_lshrrev_b32_e32 v82, 16, v4
	v_lshrrev_b32_e32 v25, 16, v5
	s_and_saveexec_b64 s[12:13], vcc
	s_cbranch_execz .LBB174_222
; %bb.221:                              ;   in Loop: Header=BB174_51 Depth=1
	v_cmp_gt_i32_e64 s[0:1], s33, v40
	s_nop 1
	v_cndmask_b32_e64 v2, 0, v2, s[0:1]
	v_cmp_gt_i32_e64 s[0:1], s33, v47
	s_nop 1
	v_cndmask_b32_e64 v78, 0, v78, s[0:1]
	;; [unrolled: 3-line block ×8, first 2 shown]
.LBB174_222:                            ;   in Loop: Header=BB174_51 Depth=1
	s_or_b64 exec, exec, s[12:13]
	v_lshlrev_b32_e32 v2, 16, v2
	v_mul_f32_e32 v2, v48, v2
	v_and_b32_e32 v23, 0x7f800000, v2
	v_cmp_ne_u32_e64 s[0:1], s18, v23
                                        ; implicit-def: $vgpr23
	s_and_saveexec_b64 s[12:13], s[0:1]
	s_xor_b64 s[0:1], exec, s[12:13]
; %bb.223:                              ;   in Loop: Header=BB174_51 Depth=1
	v_bfe_u32 v23, v2, 16, 1
	v_add3_u32 v23, v2, v23, s20
                                        ; implicit-def: $vgpr2
; %bb.224:                              ;   in Loop: Header=BB174_51 Depth=1
	s_andn2_saveexec_b64 s[12:13], s[0:1]
; %bb.225:                              ;   in Loop: Header=BB174_51 Depth=1
	v_or_b32_e32 v23, 0x10000, v2
	v_cmp_eq_u32_sdwa s[0:1], v2, v19 src0_sel:WORD_0 src1_sel:DWORD
	s_nop 1
	v_cndmask_b32_e64 v23, v23, v2, s[0:1]
; %bb.226:                              ;   in Loop: Header=BB174_51 Depth=1
	s_or_b64 exec, exec, s[12:13]
	v_lshlrev_b32_e32 v2, 16, v78
	v_mul_f32_e32 v2, v49, v2
	v_and_b32_e32 v78, 0x7f800000, v2
	v_cmp_ne_u32_e64 s[0:1], s18, v78
                                        ; implicit-def: $vgpr78
	s_and_saveexec_b64 s[12:13], s[0:1]
	s_xor_b64 s[0:1], exec, s[12:13]
; %bb.227:                              ;   in Loop: Header=BB174_51 Depth=1
	v_bfe_u32 v78, v2, 16, 1
	v_add3_u32 v78, v2, v78, s20
                                        ; implicit-def: $vgpr2
; %bb.228:                              ;   in Loop: Header=BB174_51 Depth=1
	s_andn2_saveexec_b64 s[12:13], s[0:1]
; %bb.229:                              ;   in Loop: Header=BB174_51 Depth=1
	v_or_b32_e32 v78, 0x10000, v2
	v_cmp_eq_u32_sdwa s[0:1], v2, v19 src0_sel:WORD_0 src1_sel:DWORD
	s_nop 1
	v_cndmask_b32_e64 v78, v78, v2, s[0:1]
; %bb.230:                              ;   in Loop: Header=BB174_51 Depth=1
	s_or_b64 exec, exec, s[12:13]
	v_lshlrev_b32_e32 v2, 16, v3
	v_mul_f32_e32 v2, v50, v2
	v_and_b32_e32 v3, 0x7f800000, v2
	v_cmp_ne_u32_e64 s[0:1], s18, v3
                                        ; implicit-def: $vgpr79
	s_and_saveexec_b64 s[12:13], s[0:1]
	s_xor_b64 s[0:1], exec, s[12:13]
; %bb.231:                              ;   in Loop: Header=BB174_51 Depth=1
	v_bfe_u32 v3, v2, 16, 1
	v_add3_u32 v79, v2, v3, s20
                                        ; implicit-def: $vgpr2
; %bb.232:                              ;   in Loop: Header=BB174_51 Depth=1
	s_andn2_saveexec_b64 s[12:13], s[0:1]
; %bb.233:                              ;   in Loop: Header=BB174_51 Depth=1
	v_or_b32_e32 v3, 0x10000, v2
	v_cmp_eq_u32_sdwa s[0:1], v2, v19 src0_sel:WORD_0 src1_sel:DWORD
	s_nop 1
	v_cndmask_b32_e64 v79, v3, v2, s[0:1]
; %bb.234:                              ;   in Loop: Header=BB174_51 Depth=1
	s_or_b64 exec, exec, s[12:13]
	v_lshlrev_b32_e32 v2, 16, v80
	v_mul_f32_e32 v2, v51, v2
	v_and_b32_e32 v3, 0x7f800000, v2
	v_cmp_ne_u32_e64 s[0:1], s18, v3
                                        ; implicit-def: $vgpr80
	s_and_saveexec_b64 s[12:13], s[0:1]
	s_xor_b64 s[0:1], exec, s[12:13]
; %bb.235:                              ;   in Loop: Header=BB174_51 Depth=1
	v_bfe_u32 v3, v2, 16, 1
	v_add3_u32 v80, v2, v3, s20
                                        ; implicit-def: $vgpr2
; %bb.236:                              ;   in Loop: Header=BB174_51 Depth=1
	s_andn2_saveexec_b64 s[12:13], s[0:1]
; %bb.237:                              ;   in Loop: Header=BB174_51 Depth=1
	v_or_b32_e32 v3, 0x10000, v2
	v_cmp_eq_u32_sdwa s[0:1], v2, v19 src0_sel:WORD_0 src1_sel:DWORD
	s_nop 1
	v_cndmask_b32_e64 v80, v3, v2, s[0:1]
; %bb.238:                              ;   in Loop: Header=BB174_51 Depth=1
	s_or_b64 exec, exec, s[12:13]
	v_lshlrev_b32_e32 v2, 16, v4
	v_mul_f32_e32 v2, v52, v2
	v_and_b32_e32 v3, 0x7f800000, v2
	v_cmp_ne_u32_e64 s[0:1], s18, v3
                                        ; implicit-def: $vgpr81
	s_and_saveexec_b64 s[12:13], s[0:1]
	s_xor_b64 s[0:1], exec, s[12:13]
; %bb.239:                              ;   in Loop: Header=BB174_51 Depth=1
	v_bfe_u32 v3, v2, 16, 1
	v_add3_u32 v81, v2, v3, s20
                                        ; implicit-def: $vgpr2
; %bb.240:                              ;   in Loop: Header=BB174_51 Depth=1
	s_andn2_saveexec_b64 s[12:13], s[0:1]
; %bb.241:                              ;   in Loop: Header=BB174_51 Depth=1
	v_or_b32_e32 v3, 0x10000, v2
	v_cmp_eq_u32_sdwa s[0:1], v2, v19 src0_sel:WORD_0 src1_sel:DWORD
	s_nop 1
	v_cndmask_b32_e64 v81, v3, v2, s[0:1]
; %bb.242:                              ;   in Loop: Header=BB174_51 Depth=1
	s_or_b64 exec, exec, s[12:13]
	v_lshlrev_b32_e32 v2, 16, v82
	v_mul_f32_e32 v2, v53, v2
	v_and_b32_e32 v3, 0x7f800000, v2
	v_cmp_ne_u32_e64 s[0:1], s18, v3
                                        ; implicit-def: $vgpr82
	s_and_saveexec_b64 s[12:13], s[0:1]
	s_xor_b64 s[0:1], exec, s[12:13]
; %bb.243:                              ;   in Loop: Header=BB174_51 Depth=1
	v_bfe_u32 v3, v2, 16, 1
	v_add3_u32 v82, v2, v3, s20
                                        ; implicit-def: $vgpr2
; %bb.244:                              ;   in Loop: Header=BB174_51 Depth=1
	s_andn2_saveexec_b64 s[12:13], s[0:1]
; %bb.245:                              ;   in Loop: Header=BB174_51 Depth=1
	v_or_b32_e32 v3, 0x10000, v2
	v_cmp_eq_u32_sdwa s[0:1], v2, v19 src0_sel:WORD_0 src1_sel:DWORD
	s_nop 1
	v_cndmask_b32_e64 v82, v3, v2, s[0:1]
; %bb.246:                              ;   in Loop: Header=BB174_51 Depth=1
	s_or_b64 exec, exec, s[12:13]
	v_lshlrev_b32_e32 v2, 16, v5
	v_mul_f32_e32 v2, v54, v2
	v_and_b32_e32 v3, 0x7f800000, v2
	v_cmp_ne_u32_e64 s[0:1], s18, v3
                                        ; implicit-def: $vgpr83
	s_and_saveexec_b64 s[12:13], s[0:1]
	s_xor_b64 s[0:1], exec, s[12:13]
; %bb.247:                              ;   in Loop: Header=BB174_51 Depth=1
	v_bfe_u32 v3, v2, 16, 1
	v_add3_u32 v83, v2, v3, s20
                                        ; implicit-def: $vgpr2
; %bb.248:                              ;   in Loop: Header=BB174_51 Depth=1
	s_andn2_saveexec_b64 s[12:13], s[0:1]
; %bb.249:                              ;   in Loop: Header=BB174_51 Depth=1
	v_or_b32_e32 v3, 0x10000, v2
	v_cmp_eq_u32_sdwa s[0:1], v2, v19 src0_sel:WORD_0 src1_sel:DWORD
	s_nop 1
	v_cndmask_b32_e64 v83, v3, v2, s[0:1]
; %bb.250:                              ;   in Loop: Header=BB174_51 Depth=1
	s_or_b64 exec, exec, s[12:13]
	v_lshlrev_b32_e32 v2, 16, v25
	v_mul_f32_e32 v2, v55, v2
	v_and_b32_e32 v3, 0x7f800000, v2
	v_cmp_ne_u32_e64 s[0:1], s18, v3
                                        ; implicit-def: $vgpr84
	s_and_saveexec_b64 s[12:13], s[0:1]
	s_xor_b64 s[0:1], exec, s[12:13]
; %bb.251:                              ;   in Loop: Header=BB174_51 Depth=1
	v_bfe_u32 v3, v2, 16, 1
	v_add3_u32 v84, v2, v3, s20
                                        ; implicit-def: $vgpr2
; %bb.252:                              ;   in Loop: Header=BB174_51 Depth=1
	s_andn2_saveexec_b64 s[12:13], s[0:1]
; %bb.253:                              ;   in Loop: Header=BB174_51 Depth=1
	v_or_b32_e32 v3, 0x10000, v2
	v_cmp_eq_u32_sdwa s[0:1], v2, v19 src0_sel:WORD_0 src1_sel:DWORD
	s_nop 1
	v_cndmask_b32_e64 v84, v3, v2, s[0:1]
; %bb.254:                              ;   in Loop: Header=BB174_51 Depth=1
	s_or_b64 exec, exec, s[12:13]
	v_mov_b32_e32 v25, v19
	v_lshl_add_u64 v[2:3], v[6:7], 0, v[24:25]
	global_load_dwordx4 v[2:5], v[2:3], off
	s_waitcnt vmcnt(0)
	v_lshrrev_b32_e32 v6, 16, v2
	v_lshrrev_b32_e32 v25, 16, v3
	;; [unrolled: 1-line block ×4, first 2 shown]
	s_and_saveexec_b64 s[0:1], vcc
	s_cbranch_execz .LBB174_256
; %bb.255:                              ;   in Loop: Header=BB174_51 Depth=1
	v_cmp_gt_i32_e32 vcc, s33, v40
	s_nop 1
	v_cndmask_b32_e32 v2, 0, v2, vcc
	v_cmp_gt_i32_e32 vcc, s33, v47
	s_nop 1
	v_cndmask_b32_e32 v6, 0, v6, vcc
	;; [unrolled: 3-line block ×8, first 2 shown]
.LBB174_256:                            ;   in Loop: Header=BB174_51 Depth=1
	s_or_b64 exec, exec, s[0:1]
	v_lshlrev_b32_e32 v2, 16, v2
	v_mul_f32_e32 v40, v48, v2
	v_and_b32_e32 v2, 0x7f800000, v40
	v_cmp_ne_u32_e32 vcc, s18, v2
                                        ; implicit-def: $vgpr2
	s_and_saveexec_b64 s[0:1], vcc
	s_xor_b64 s[0:1], exec, s[0:1]
; %bb.257:                              ;   in Loop: Header=BB174_51 Depth=1
	v_bfe_u32 v2, v40, 16, 1
	v_add3_u32 v2, v40, v2, s20
                                        ; implicit-def: $vgpr40
; %bb.258:                              ;   in Loop: Header=BB174_51 Depth=1
	s_andn2_saveexec_b64 s[0:1], s[0:1]
; %bb.259:                              ;   in Loop: Header=BB174_51 Depth=1
	v_or_b32_e32 v2, 0x10000, v40
	v_cmp_eq_u32_sdwa vcc, v40, v19 src0_sel:WORD_0 src1_sel:DWORD
	s_nop 1
	v_cndmask_b32_e32 v2, v2, v40, vcc
; %bb.260:                              ;   in Loop: Header=BB174_51 Depth=1
	s_or_b64 exec, exec, s[0:1]
	v_lshlrev_b32_e32 v6, 16, v6
	v_mul_f32_e32 v40, v49, v6
	v_and_b32_e32 v6, 0x7f800000, v40
	v_cmp_ne_u32_e32 vcc, s18, v6
                                        ; implicit-def: $vgpr6
	s_and_saveexec_b64 s[0:1], vcc
	s_xor_b64 s[0:1], exec, s[0:1]
; %bb.261:                              ;   in Loop: Header=BB174_51 Depth=1
	v_bfe_u32 v6, v40, 16, 1
	v_add3_u32 v6, v40, v6, s20
                                        ; implicit-def: $vgpr40
; %bb.262:                              ;   in Loop: Header=BB174_51 Depth=1
	s_andn2_saveexec_b64 s[0:1], s[0:1]
; %bb.263:                              ;   in Loop: Header=BB174_51 Depth=1
	v_or_b32_e32 v6, 0x10000, v40
	v_cmp_eq_u32_sdwa vcc, v40, v19 src0_sel:WORD_0 src1_sel:DWORD
	s_nop 1
	v_cndmask_b32_e32 v6, v6, v40, vcc
; %bb.264:                              ;   in Loop: Header=BB174_51 Depth=1
	s_or_b64 exec, exec, s[0:1]
	v_lshlrev_b32_e32 v3, 16, v3
	v_mul_f32_e32 v40, v50, v3
	v_and_b32_e32 v3, 0x7f800000, v40
	v_cmp_ne_u32_e32 vcc, s18, v3
                                        ; implicit-def: $vgpr3
	s_and_saveexec_b64 s[0:1], vcc
	s_xor_b64 s[0:1], exec, s[0:1]
; %bb.265:                              ;   in Loop: Header=BB174_51 Depth=1
	v_bfe_u32 v3, v40, 16, 1
	v_add3_u32 v3, v40, v3, s20
                                        ; implicit-def: $vgpr40
; %bb.266:                              ;   in Loop: Header=BB174_51 Depth=1
	s_andn2_saveexec_b64 s[0:1], s[0:1]
; %bb.267:                              ;   in Loop: Header=BB174_51 Depth=1
	v_or_b32_e32 v3, 0x10000, v40
	v_cmp_eq_u32_sdwa vcc, v40, v19 src0_sel:WORD_0 src1_sel:DWORD
	s_nop 1
	v_cndmask_b32_e32 v3, v3, v40, vcc
; %bb.268:                              ;   in Loop: Header=BB174_51 Depth=1
	s_or_b64 exec, exec, s[0:1]
	v_lshlrev_b32_e32 v25, 16, v25
	v_mul_f32_e32 v40, v51, v25
	v_and_b32_e32 v25, 0x7f800000, v40
	v_cmp_ne_u32_e32 vcc, s18, v25
                                        ; implicit-def: $vgpr25
	s_and_saveexec_b64 s[0:1], vcc
	s_xor_b64 s[0:1], exec, s[0:1]
; %bb.269:                              ;   in Loop: Header=BB174_51 Depth=1
	v_bfe_u32 v25, v40, 16, 1
	v_add3_u32 v25, v40, v25, s20
                                        ; implicit-def: $vgpr40
; %bb.270:                              ;   in Loop: Header=BB174_51 Depth=1
	s_andn2_saveexec_b64 s[0:1], s[0:1]
; %bb.271:                              ;   in Loop: Header=BB174_51 Depth=1
	v_or_b32_e32 v25, 0x10000, v40
	v_cmp_eq_u32_sdwa vcc, v40, v19 src0_sel:WORD_0 src1_sel:DWORD
	s_nop 1
	v_cndmask_b32_e32 v25, v25, v40, vcc
; %bb.272:                              ;   in Loop: Header=BB174_51 Depth=1
	s_or_b64 exec, exec, s[0:1]
	v_lshlrev_b32_e32 v4, 16, v4
	v_mul_f32_e32 v40, v52, v4
	v_and_b32_e32 v4, 0x7f800000, v40
	v_cmp_ne_u32_e32 vcc, s18, v4
                                        ; implicit-def: $vgpr4
	s_and_saveexec_b64 s[0:1], vcc
	s_xor_b64 s[0:1], exec, s[0:1]
; %bb.273:                              ;   in Loop: Header=BB174_51 Depth=1
	v_bfe_u32 v4, v40, 16, 1
	v_add3_u32 v4, v40, v4, s20
                                        ; implicit-def: $vgpr40
; %bb.274:                              ;   in Loop: Header=BB174_51 Depth=1
	s_andn2_saveexec_b64 s[0:1], s[0:1]
; %bb.275:                              ;   in Loop: Header=BB174_51 Depth=1
	v_or_b32_e32 v4, 0x10000, v40
	v_cmp_eq_u32_sdwa vcc, v40, v19 src0_sel:WORD_0 src1_sel:DWORD
	s_nop 1
	v_cndmask_b32_e32 v4, v4, v40, vcc
; %bb.276:                              ;   in Loop: Header=BB174_51 Depth=1
	s_or_b64 exec, exec, s[0:1]
	v_lshlrev_b32_e32 v40, 16, v85
	v_mul_f32_e32 v41, v53, v40
	v_and_b32_e32 v40, 0x7f800000, v41
	v_cmp_ne_u32_e32 vcc, s18, v40
                                        ; implicit-def: $vgpr40
	s_and_saveexec_b64 s[0:1], vcc
	s_xor_b64 s[0:1], exec, s[0:1]
; %bb.277:                              ;   in Loop: Header=BB174_51 Depth=1
	v_bfe_u32 v40, v41, 16, 1
	v_add3_u32 v40, v41, v40, s20
                                        ; implicit-def: $vgpr41
; %bb.278:                              ;   in Loop: Header=BB174_51 Depth=1
	s_andn2_saveexec_b64 s[0:1], s[0:1]
; %bb.279:                              ;   in Loop: Header=BB174_51 Depth=1
	v_or_b32_e32 v40, 0x10000, v41
	v_cmp_eq_u32_sdwa vcc, v41, v19 src0_sel:WORD_0 src1_sel:DWORD
	s_nop 1
	v_cndmask_b32_e32 v40, v40, v41, vcc
; %bb.280:                              ;   in Loop: Header=BB174_51 Depth=1
	s_or_b64 exec, exec, s[0:1]
	v_lshlrev_b32_e32 v5, 16, v5
	v_mul_f32_e32 v41, v54, v5
	v_and_b32_e32 v5, 0x7f800000, v41
	v_cmp_ne_u32_e32 vcc, s18, v5
                                        ; implicit-def: $vgpr5
	s_and_saveexec_b64 s[0:1], vcc
	s_xor_b64 s[0:1], exec, s[0:1]
; %bb.281:                              ;   in Loop: Header=BB174_51 Depth=1
	v_bfe_u32 v5, v41, 16, 1
	v_add3_u32 v5, v41, v5, s20
                                        ; implicit-def: $vgpr41
; %bb.282:                              ;   in Loop: Header=BB174_51 Depth=1
	s_andn2_saveexec_b64 s[0:1], s[0:1]
; %bb.283:                              ;   in Loop: Header=BB174_51 Depth=1
	v_or_b32_e32 v5, 0x10000, v41
	v_cmp_eq_u32_sdwa vcc, v41, v19 src0_sel:WORD_0 src1_sel:DWORD
	s_nop 1
	v_cndmask_b32_e32 v5, v5, v41, vcc
; %bb.284:                              ;   in Loop: Header=BB174_51 Depth=1
	s_or_b64 exec, exec, s[0:1]
	v_lshlrev_b32_e32 v7, 16, v7
	v_mul_f32_e32 v41, v55, v7
	v_and_b32_e32 v7, 0x7f800000, v41
	v_cmp_ne_u32_e32 vcc, s18, v7
                                        ; implicit-def: $vgpr7
	s_and_saveexec_b64 s[0:1], vcc
	s_xor_b64 s[0:1], exec, s[0:1]
; %bb.285:                              ;   in Loop: Header=BB174_51 Depth=1
	v_bfe_u32 v7, v41, 16, 1
	v_add3_u32 v7, v41, v7, s20
                                        ; implicit-def: $vgpr41
; %bb.286:                              ;   in Loop: Header=BB174_51 Depth=1
	s_andn2_saveexec_b64 s[0:1], s[0:1]
	s_cbranch_execz .LBB174_49
; %bb.287:                              ;   in Loop: Header=BB174_51 Depth=1
	v_or_b32_e32 v7, 0x10000, v41
	v_cmp_eq_u32_sdwa vcc, v41, v19 src0_sel:WORD_0 src1_sel:DWORD
	s_nop 1
	v_cndmask_b32_e32 v7, v7, v41, vcc
	s_branch .LBB174_49
.LBB174_288:
	s_or_b64 exec, exec, s[8:9]
.LBB174_289:
	s_or_b64 exec, exec, s[2:3]
	ds_bpermute_b32 v2, v27, v16
	ds_bpermute_b32 v3, v27, v17
	;; [unrolled: 1-line block ×6, first 2 shown]
	s_waitcnt lgkmcnt(4)
	v_pk_add_f32 v[2:3], v[16:17], v[2:3]
	ds_bpermute_b32 v8, v28, v2
	s_waitcnt lgkmcnt(3)
	v_pk_add_f32 v[4:5], v[14:15], v[4:5]
	ds_bpermute_b32 v9, v28, v3
	;; [unrolled: 3-line block ×3, first 2 shown]
	ds_bpermute_b32 v11, v28, v5
	ds_bpermute_b32 v14, v28, v12
	;; [unrolled: 1-line block ×3, first 2 shown]
	v_and_b32_e32 v1, 0x3c3, v0
	s_waitcnt lgkmcnt(4)
	v_pk_add_f32 v[6:7], v[2:3], v[8:9]
	s_waitcnt lgkmcnt(2)
	v_pk_add_f32 v[2:3], v[4:5], v[10:11]
	v_cmp_eq_u32_e32 vcc, 64, v1
	s_waitcnt lgkmcnt(0)
	v_pk_add_f32 v[4:5], v[12:13], v[14:15]
	s_barrier
	s_and_saveexec_b64 s[0:1], vcc
	s_cbranch_execz .LBB174_291
; %bb.290:
	v_add_u32_e32 v1, 0xd0, v26
	ds_write2_b32 v1, v6, v7 offset1:16
	ds_write2_b32 v1, v2, v3 offset0:32 offset1:48
	ds_write2_b32 v1, v4, v5 offset0:64 offset1:80
.LBB174_291:
	s_or_b64 exec, exec, s[0:1]
	v_cmp_gt_u32_e32 vcc, 64, v0
	s_waitcnt lgkmcnt(0)
	s_barrier
	s_and_saveexec_b64 s[2:3], vcc
	s_cbranch_execz .LBB174_300
; %bb.292:
	v_cmp_eq_u32_e64 s[0:1], 0, v29
	v_lshrrev_b32_e32 v1, 2, v0
	s_and_saveexec_b64 s[6:7], s[0:1]
	s_cbranch_execnz .LBB174_328
; %bb.293:
	s_or_b64 exec, exec, s[6:7]
	s_and_saveexec_b64 s[6:7], s[0:1]
	s_cbranch_execnz .LBB174_329
.LBB174_294:
	s_or_b64 exec, exec, s[6:7]
	s_and_saveexec_b64 s[6:7], s[0:1]
	s_cbranch_execnz .LBB174_330
.LBB174_295:
	s_or_b64 exec, exec, s[6:7]
	s_and_saveexec_b64 s[6:7], s[0:1]
	s_cbranch_execnz .LBB174_331
.LBB174_296:
	s_or_b64 exec, exec, s[6:7]
	s_and_saveexec_b64 s[6:7], s[0:1]
	s_cbranch_execnz .LBB174_332
.LBB174_297:
	s_or_b64 exec, exec, s[6:7]
	s_and_saveexec_b64 s[6:7], s[0:1]
	s_cbranch_execz .LBB174_299
.LBB174_298:
	v_mov_b32_e32 v8, 0xd0
	v_lshl_add_u32 v1, v1, 2, v8
	ds_read_b32 v1, v1 offset:320
	s_waitcnt lgkmcnt(0)
	v_add_f32_e32 v5, v5, v1
.LBB174_299:
	s_or_b64 exec, exec, s[6:7]
.LBB174_300:
	s_or_b64 exec, exec, s[2:3]
	s_barrier
	s_and_saveexec_b64 s[0:1], vcc
	s_cbranch_execz .LBB174_327
; %bb.301:
	v_cmp_eq_u32_e32 vcc, 0, v29
	s_and_b64 exec, exec, vcc
	s_cbranch_execz .LBB174_327
; %bb.302:
	s_mov_b32 s0, 0x7f800000
	v_and_b32_e32 v1, 0x7f800000, v6
	v_cmp_ne_u32_e32 vcc, s0, v1
                                        ; implicit-def: $vgpr8
	s_and_saveexec_b64 s[0:1], vcc
	s_xor_b64 s[0:1], exec, s[0:1]
; %bb.303:
	v_bfe_u32 v1, v6, 16, 1
	s_movk_i32 s2, 0x7fff
	v_add3_u32 v8, v6, v1, s2
; %bb.304:
	s_andn2_saveexec_b64 s[0:1], s[0:1]
; %bb.305:
	v_mov_b32_e32 v1, 0
	v_or_b32_e32 v8, 0x10000, v6
	v_cmp_eq_u32_sdwa vcc, v6, v1 src0_sel:WORD_0 src1_sel:DWORD
	s_nop 1
	v_cndmask_b32_e32 v8, v8, v6, vcc
; %bb.306:
	s_or_b64 exec, exec, s[0:1]
	s_mul_i32 s0, s16, s24
	s_mul_i32 s0, s0, s25
	s_mulk_i32 s0, 0x60
	s_ashr_i32 s1, s0, 31
	s_lshl_b64 s[0:1], s[0:1], 1
	s_add_u32 s2, s28, s0
	s_mul_i32 s0, s16, s26
	s_addc_u32 s3, s29, s1
	s_ashr_i32 s1, s0, 31
	s_lshl_b64 s[0:1], s[0:1], 1
	s_add_u32 s2, s2, s0
	s_mul_i32 s0, s4, 0x60
	s_addc_u32 s3, s3, s1
	s_ashr_i32 s1, s0, 31
	s_lshl_b64 s[0:1], s[0:1], 1
	s_add_u32 s0, s2, s0
	v_lshrrev_b32_e32 v0, 1, v0
	s_mov_b32 s2, 0x7f800000
	v_and_b32_e32 v6, 0x7f800000, v7
	s_addc_u32 s1, s3, s1
	v_and_b32_e32 v0, 0x1fe, v0
	v_mov_b32_e32 v1, 0
	v_cmp_ne_u32_e32 vcc, s2, v6
	global_store_short_d16_hi v0, v8, s[0:1]
                                        ; implicit-def: $vgpr6
	s_and_saveexec_b64 s[2:3], vcc
	s_xor_b64 s[2:3], exec, s[2:3]
; %bb.307:
	v_bfe_u32 v6, v7, 16, 1
	s_movk_i32 s4, 0x7fff
	v_add3_u32 v6, v7, v6, s4
; %bb.308:
	s_or_saveexec_b64 s[2:3], s[2:3]
	v_lshl_add_u64 v[8:9], s[0:1], 0, v[0:1]
	s_xor_b64 exec, exec, s[2:3]
; %bb.309:
	v_mov_b32_e32 v0, 0
	v_or_b32_e32 v1, 0x10000, v7
	v_cmp_eq_u32_sdwa vcc, v7, v0 src0_sel:WORD_0 src1_sel:DWORD
	s_nop 1
	v_cndmask_b32_e32 v6, v1, v7, vcc
; %bb.310:
	s_or_b64 exec, exec, s[2:3]
	s_mov_b32 s0, 0x7f800000
	v_and_b32_e32 v0, 0x7f800000, v2
	v_cmp_ne_u32_e32 vcc, s0, v0
	global_store_short_d16_hi v[8:9], v6, off offset:32
                                        ; implicit-def: $vgpr0
	s_and_saveexec_b64 s[0:1], vcc
	s_xor_b64 s[0:1], exec, s[0:1]
; %bb.311:
	v_bfe_u32 v0, v2, 16, 1
	s_movk_i32 s2, 0x7fff
	v_add3_u32 v0, v2, v0, s2
; %bb.312:
	s_andn2_saveexec_b64 s[0:1], s[0:1]
; %bb.313:
	v_mov_b32_e32 v0, 0
	v_or_b32_e32 v1, 0x10000, v2
	v_cmp_eq_u32_sdwa vcc, v2, v0 src0_sel:WORD_0 src1_sel:DWORD
	s_nop 1
	v_cndmask_b32_e32 v0, v1, v2, vcc
; %bb.314:
	s_or_b64 exec, exec, s[0:1]
	global_store_short_d16_hi v[8:9], v0, off offset:64
	s_mov_b32 s0, 0x7f800000
	v_and_b32_e32 v0, 0x7f800000, v3
	v_cmp_ne_u32_e32 vcc, s0, v0
                                        ; implicit-def: $vgpr0
	s_and_saveexec_b64 s[0:1], vcc
	s_xor_b64 s[0:1], exec, s[0:1]
; %bb.315:
	v_bfe_u32 v0, v3, 16, 1
	s_movk_i32 s2, 0x7fff
	v_add3_u32 v0, v3, v0, s2
; %bb.316:
	s_andn2_saveexec_b64 s[0:1], s[0:1]
; %bb.317:
	v_mov_b32_e32 v0, 0
	v_or_b32_e32 v1, 0x10000, v3
	v_cmp_eq_u32_sdwa vcc, v3, v0 src0_sel:WORD_0 src1_sel:DWORD
	s_nop 1
	v_cndmask_b32_e32 v0, v1, v3, vcc
; %bb.318:
	s_or_b64 exec, exec, s[0:1]
	global_store_short_d16_hi v[8:9], v0, off offset:96
	s_mov_b32 s0, 0x7f800000
	v_and_b32_e32 v0, 0x7f800000, v4
	v_cmp_ne_u32_e32 vcc, s0, v0
	;; [unrolled: 21-line block ×3, first 2 shown]
                                        ; implicit-def: $vgpr6
	s_and_saveexec_b64 s[0:1], vcc
	s_xor_b64 s[0:1], exec, s[0:1]
; %bb.323:
	v_bfe_u32 v0, v5, 16, 1
	s_movk_i32 s2, 0x7fff
	v_add3_u32 v6, v5, v0, s2
                                        ; implicit-def: $vgpr0_vgpr1_vgpr2_vgpr3_vgpr4_vgpr5
; %bb.324:
	s_andn2_saveexec_b64 s[0:1], s[0:1]
; %bb.325:
	v_mov_b32_e32 v0, 0
	v_or_b32_e32 v1, 0x10000, v5
	v_cmp_eq_u32_sdwa vcc, v5, v0 src0_sel:WORD_0 src1_sel:DWORD
	s_nop 1
	v_cndmask_b32_e32 v6, v1, v5, vcc
; %bb.326:
	s_or_b64 exec, exec, s[0:1]
	global_store_short_d16_hi v[8:9], v6, off offset:160
.LBB174_327:
	s_endpgm
.LBB174_328:
	v_mov_b32_e32 v8, 0xd0
	v_lshl_add_u32 v8, v1, 2, v8
	ds_read_b32 v8, v8
	s_waitcnt lgkmcnt(0)
	v_add_f32_e32 v6, v6, v8
	s_or_b64 exec, exec, s[6:7]
	s_and_saveexec_b64 s[6:7], s[0:1]
	s_cbranch_execz .LBB174_294
.LBB174_329:
	v_mov_b32_e32 v8, 0xd0
	v_lshl_add_u32 v8, v1, 2, v8
	ds_read_b32 v8, v8 offset:64
	s_waitcnt lgkmcnt(0)
	v_add_f32_e32 v7, v7, v8
	s_or_b64 exec, exec, s[6:7]
	s_and_saveexec_b64 s[6:7], s[0:1]
	s_cbranch_execz .LBB174_295
.LBB174_330:
	v_mov_b32_e32 v8, 0xd0
	v_lshl_add_u32 v8, v1, 2, v8
	ds_read_b32 v8, v8 offset:128
	s_waitcnt lgkmcnt(0)
	v_add_f32_e32 v2, v2, v8
	s_or_b64 exec, exec, s[6:7]
	s_and_saveexec_b64 s[6:7], s[0:1]
	s_cbranch_execz .LBB174_296
.LBB174_331:
	v_mov_b32_e32 v8, 0xd0
	v_lshl_add_u32 v8, v1, 2, v8
	ds_read_b32 v8, v8 offset:192
	s_waitcnt lgkmcnt(0)
	v_add_f32_e32 v3, v3, v8
	s_or_b64 exec, exec, s[6:7]
	s_and_saveexec_b64 s[6:7], s[0:1]
	s_cbranch_execz .LBB174_297
.LBB174_332:
	v_mov_b32_e32 v8, 0xd0
	v_lshl_add_u32 v8, v1, 2, v8
	ds_read_b32 v8, v8 offset:256
	s_waitcnt lgkmcnt(0)
	v_add_f32_e32 v4, v4, v8
	s_or_b64 exec, exec, s[6:7]
	s_and_saveexec_b64 s[6:7], s[0:1]
	s_cbranch_execnz .LBB174_298
	s_branch .LBB174_299
	.section	.rodata,"a",@progbits
	.p2align	6, 0x0
	.amdhsa_kernel _ZN4vllm25paged_attention_v2_kernelI14__hip_bfloat16S1_Li96ELi32ELi128ELNS_18Fp8KVCacheDataTypeE0ELb1ELi512EEEvPfS3_PT_PKS4_PKT0_SA_ifPKiSC_iPKfiiiSE_SE_iiiii
		.amdhsa_group_segment_fixed_size 208
		.amdhsa_private_segment_fixed_size 0
		.amdhsa_kernarg_size 400
		.amdhsa_user_sgpr_count 2
		.amdhsa_user_sgpr_dispatch_ptr 0
		.amdhsa_user_sgpr_queue_ptr 0
		.amdhsa_user_sgpr_kernarg_segment_ptr 1
		.amdhsa_user_sgpr_dispatch_id 0
		.amdhsa_user_sgpr_kernarg_preload_length 0
		.amdhsa_user_sgpr_kernarg_preload_offset 0
		.amdhsa_user_sgpr_private_segment_size 0
		.amdhsa_uses_dynamic_stack 0
		.amdhsa_enable_private_segment 0
		.amdhsa_system_sgpr_workgroup_id_x 1
		.amdhsa_system_sgpr_workgroup_id_y 1
		.amdhsa_system_sgpr_workgroup_id_z 1
		.amdhsa_system_sgpr_workgroup_info 0
		.amdhsa_system_vgpr_workitem_id 0
		.amdhsa_next_free_vgpr 111
		.amdhsa_next_free_sgpr 53
		.amdhsa_accum_offset 112
		.amdhsa_reserve_vcc 1
		.amdhsa_float_round_mode_32 0
		.amdhsa_float_round_mode_16_64 0
		.amdhsa_float_denorm_mode_32 3
		.amdhsa_float_denorm_mode_16_64 3
		.amdhsa_dx10_clamp 1
		.amdhsa_ieee_mode 1
		.amdhsa_fp16_overflow 0
		.amdhsa_tg_split 0
		.amdhsa_exception_fp_ieee_invalid_op 0
		.amdhsa_exception_fp_denorm_src 0
		.amdhsa_exception_fp_ieee_div_zero 0
		.amdhsa_exception_fp_ieee_overflow 0
		.amdhsa_exception_fp_ieee_underflow 0
		.amdhsa_exception_fp_ieee_inexact 0
		.amdhsa_exception_int_div_zero 0
	.end_amdhsa_kernel
	.section	.text._ZN4vllm25paged_attention_v2_kernelI14__hip_bfloat16S1_Li96ELi32ELi128ELNS_18Fp8KVCacheDataTypeE0ELb1ELi512EEEvPfS3_PT_PKS4_PKT0_SA_ifPKiSC_iPKfiiiSE_SE_iiiii,"axG",@progbits,_ZN4vllm25paged_attention_v2_kernelI14__hip_bfloat16S1_Li96ELi32ELi128ELNS_18Fp8KVCacheDataTypeE0ELb1ELi512EEEvPfS3_PT_PKS4_PKT0_SA_ifPKiSC_iPKfiiiSE_SE_iiiii,comdat
.Lfunc_end174:
	.size	_ZN4vllm25paged_attention_v2_kernelI14__hip_bfloat16S1_Li96ELi32ELi128ELNS_18Fp8KVCacheDataTypeE0ELb1ELi512EEEvPfS3_PT_PKS4_PKT0_SA_ifPKiSC_iPKfiiiSE_SE_iiiii, .Lfunc_end174-_ZN4vllm25paged_attention_v2_kernelI14__hip_bfloat16S1_Li96ELi32ELi128ELNS_18Fp8KVCacheDataTypeE0ELb1ELi512EEEvPfS3_PT_PKS4_PKT0_SA_ifPKiSC_iPKfiiiSE_SE_iiiii
                                        ; -- End function
	.section	.AMDGPU.csdata,"",@progbits
; Kernel info:
; codeLenInByte = 12192
; NumSgprs: 59
; NumVgprs: 111
; NumAgprs: 0
; TotalNumVgprs: 111
; ScratchSize: 0
; MemoryBound: 0
; FloatMode: 240
; IeeeMode: 1
; LDSByteSize: 208 bytes/workgroup (compile time only)
; SGPRBlocks: 7
; VGPRBlocks: 13
; NumSGPRsForWavesPerEU: 59
; NumVGPRsForWavesPerEU: 111
; AccumOffset: 112
; Occupancy: 4
; WaveLimiterHint : 1
; COMPUTE_PGM_RSRC2:SCRATCH_EN: 0
; COMPUTE_PGM_RSRC2:USER_SGPR: 2
; COMPUTE_PGM_RSRC2:TRAP_HANDLER: 0
; COMPUTE_PGM_RSRC2:TGID_X_EN: 1
; COMPUTE_PGM_RSRC2:TGID_Y_EN: 1
; COMPUTE_PGM_RSRC2:TGID_Z_EN: 1
; COMPUTE_PGM_RSRC2:TIDIG_COMP_CNT: 0
; COMPUTE_PGM_RSRC3_GFX90A:ACCUM_OFFSET: 27
; COMPUTE_PGM_RSRC3_GFX90A:TG_SPLIT: 0
	.section	.text._ZN4vllm25paged_attention_v2_kernelI14__hip_bfloat16S1_Li112ELi32ELi128ELNS_18Fp8KVCacheDataTypeE0ELb1ELi512EEEvPfS3_PT_PKS4_PKT0_SA_ifPKiSC_iPKfiiiSE_SE_iiiii,"axG",@progbits,_ZN4vllm25paged_attention_v2_kernelI14__hip_bfloat16S1_Li112ELi32ELi128ELNS_18Fp8KVCacheDataTypeE0ELb1ELi512EEEvPfS3_PT_PKS4_PKT0_SA_ifPKiSC_iPKfiiiSE_SE_iiiii,comdat
	.protected	_ZN4vllm25paged_attention_v2_kernelI14__hip_bfloat16S1_Li112ELi32ELi128ELNS_18Fp8KVCacheDataTypeE0ELb1ELi512EEEvPfS3_PT_PKS4_PKT0_SA_ifPKiSC_iPKfiiiSE_SE_iiiii ; -- Begin function _ZN4vllm25paged_attention_v2_kernelI14__hip_bfloat16S1_Li112ELi32ELi128ELNS_18Fp8KVCacheDataTypeE0ELb1ELi512EEEvPfS3_PT_PKS4_PKT0_SA_ifPKiSC_iPKfiiiSE_SE_iiiii
	.globl	_ZN4vllm25paged_attention_v2_kernelI14__hip_bfloat16S1_Li112ELi32ELi128ELNS_18Fp8KVCacheDataTypeE0ELb1ELi512EEEvPfS3_PT_PKS4_PKT0_SA_ifPKiSC_iPKfiiiSE_SE_iiiii
	.p2align	8
	.type	_ZN4vllm25paged_attention_v2_kernelI14__hip_bfloat16S1_Li112ELi32ELi128ELNS_18Fp8KVCacheDataTypeE0ELb1ELi512EEEvPfS3_PT_PKS4_PKT0_SA_ifPKiSC_iPKfiiiSE_SE_iiiii,@function
_ZN4vllm25paged_attention_v2_kernelI14__hip_bfloat16S1_Li112ELi32ELi128ELNS_18Fp8KVCacheDataTypeE0ELb1ELi512EEEvPfS3_PT_PKS4_PKT0_SA_ifPKiSC_iPKfiiiSE_SE_iiiii: ; @_ZN4vllm25paged_attention_v2_kernelI14__hip_bfloat16S1_Li112ELi32ELi128ELNS_18Fp8KVCacheDataTypeE0ELb1ELi512EEEvPfS3_PT_PKS4_PKT0_SA_ifPKiSC_iPKfiiiSE_SE_iiiii
; %bb.0:
	s_load_dwordx2 s[6:7], s[0:1], 0x40
	s_mov_b32 s24, s3
	s_ashr_i32 s25, s3, 31
	s_lshl_b64 s[8:9], s[24:25], 2
	s_waitcnt lgkmcnt(0)
	s_add_u32 s6, s6, s8
	s_addc_u32 s7, s7, s9
	s_load_dword s33, s[6:7], 0x0
	s_lshl_b32 s5, s4, 9
	s_waitcnt lgkmcnt(0)
	s_cmp_ge_i32 s5, s33
	s_cbranch_scc1 .LBB175_366
; %bb.1:
	s_load_dword s25, s[0:1], 0x90
	s_load_dwordx2 s[38:39], s[0:1], 0x30
	s_waitcnt lgkmcnt(0)
	s_abs_i32 s7, s25
	s_abs_i32 s3, s38
	v_cvt_f32_u32_e32 v1, s3
	s_sub_i32 s8, 0, s3
	s_xor_b32 s6, s25, s38
	s_ashr_i32 s6, s6, 31
	v_rcp_iflag_f32_e32 v1, v1
	s_nop 0
	v_mul_f32_e32 v1, 0x4f7ffffe, v1
	v_cvt_u32_f32_e32 v1, v1
	s_nop 0
	v_readfirstlane_b32 s9, v1
	s_mul_i32 s8, s8, s9
	s_mul_hi_u32 s8, s9, s8
	s_add_i32 s9, s9, s8
	s_mul_hi_u32 s8, s7, s9
	s_mul_i32 s9, s8, s3
	s_sub_i32 s7, s7, s9
	s_add_i32 s10, s8, 1
	s_sub_i32 s9, s7, s3
	s_cmp_ge_u32 s7, s3
	s_cselect_b32 s8, s10, s8
	s_cselect_b32 s7, s9, s7
	s_add_i32 s9, s8, 1
	s_cmp_ge_u32 s7, s3
	s_cselect_b32 s3, s9, s8
	s_xor_b32 s3, s3, s6
	s_sub_i32 s12, s3, s6
	s_abs_i32 s8, s12
	v_cvt_f32_u32_e32 v1, s8
	s_load_dwordx2 s[6:7], s[0:1], 0x50
	s_sub_i32 s10, 0, s8
	s_abs_i32 s9, s2
	v_rcp_iflag_f32_e32 v1, v1
	s_mov_b32 s3, 0
	v_mul_f32_e32 v1, 0x4f7ffffe, v1
	v_cvt_u32_f32_e32 v1, v1
	s_nop 0
	v_readfirstlane_b32 s11, v1
	s_mul_i32 s10, s10, s11
	s_mul_hi_u32 s10, s11, s10
	s_add_i32 s11, s11, s10
	s_waitcnt lgkmcnt(0)
	s_cmp_eq_u64 s[6:7], 0
	s_mul_hi_u32 s10, s9, s11
	s_cbranch_scc1 .LBB175_3
; %bb.2:
	s_ashr_i32 s3, s2, 31
	s_lshl_b64 s[14:15], s[2:3], 2
	s_add_u32 s6, s6, s14
	s_addc_u32 s7, s7, s15
	s_load_dword s3, s[6:7], 0x0
.LBB175_3:
	s_ashr_i32 s16, s12, 31
	s_load_dwordx4 s[12:15], s[0:1], 0x58
	s_ashr_i32 s11, s2, 31
	v_and_b32_e32 v2, 1, v0
	s_waitcnt lgkmcnt(0)
	s_movk_i32 s15, 0x70
	s_mul_i32 s26, s2, 0x70
	v_cmp_gt_u32_e32 vcc, 28, v0
	v_lshlrev_b32_e32 v58, 3, v0
	s_and_saveexec_b64 s[6:7], vcc
	s_cbranch_execz .LBB175_5
; %bb.4:
	s_load_dwordx2 s[18:19], s[0:1], 0x18
	s_mul_i32 s20, s24, s12
	s_ashr_i32 s21, s20, 31
	s_lshl_b64 s[20:21], s[20:21], 1
	v_lshlrev_b32_e32 v1, 2, v0
	s_waitcnt lgkmcnt(0)
	s_add_u32 s12, s18, s20
	s_addc_u32 s17, s19, s21
	s_ashr_i32 s27, s26, 31
	s_lshl_b64 s[18:19], s[26:27], 1
	s_add_u32 s18, s12, s18
	s_addc_u32 s19, s17, s19
	global_load_dwordx2 v[4:5], v58, s[18:19]
	v_and_b32_e32 v1, 0xff8, v1
	v_mad_u32_u24 v1, v2, s15, v1
	s_waitcnt vmcnt(0)
	ds_write_b64 v1, v[4:5]
.LBB175_5:
	s_or_b64 exec, exec, s[6:7]
	s_mul_i32 s7, s10, s8
	s_sub_i32 s7, s9, s7
	s_xor_b32 s6, s11, s16
	s_add_i32 s9, s10, 1
	s_sub_i32 s11, s7, s8
	s_load_dwordx4 s[16:19], s[0:1], 0x78
	s_cmp_ge_u32 s7, s8
	s_cselect_b32 s9, s9, s10
	s_cselect_b32 s7, s11, s7
	s_load_dword s11, s[0:1], 0x88
	s_add_i32 s10, s9, 1
	s_cmp_ge_u32 s7, s8
	s_cselect_b32 s7, s10, s9
	s_waitcnt lgkmcnt(0)
	s_abs_i32 s27, s19
	v_cvt_f32_u32_e32 v1, s27
	s_xor_b32 s7, s7, s6
	s_sub_i32 s10, s7, s6
	s_sub_i32 s6, 0, s27
	v_rcp_iflag_f32_e32 v1, v1
	s_add_i32 s12, s33, -1
	s_abs_i32 s8, s12
	v_mul_f32_e32 v1, 0x4f7ffffe, v1
	v_cvt_u32_f32_e32 v1, v1
	s_barrier
	v_readfirstlane_b32 s46, v1
	s_mul_i32 s6, s6, s46
	s_mul_hi_u32 s6, s46, s6
	s_add_i32 s46, s46, s6
	s_cmp_lt_i32 s11, 0
	s_mul_hi_u32 s9, s8, s46
	s_cbranch_scc0 .LBB175_7
; %bb.6:
	s_mul_i32 s6, s16, s38
	s_add_i32 s6, s10, s6
	s_mul_i32 s6, s6, s11
	s_sub_i32 s47, 1, s6
	s_mov_b64 s[6:7], 0
	s_branch .LBB175_8
.LBB175_7:
	s_mov_b64 s[6:7], -1
                                        ; implicit-def: $sgpr47
.LBB175_8:
	s_load_dwordx2 s[30:31], s[0:1], 0x38
	s_ashr_i32 s12, s12, 31
	s_andn2_b64 vcc, exec, s[6:7]
	s_ashr_i32 s19, s19, 31
	s_cbranch_vccnz .LBB175_10
; %bb.9:
	s_mul_i32 s6, s25, s16
	s_add_i32 s6, s6, s2
	s_mul_i32 s6, s6, s11
	s_add_i32 s47, s6, 1
.LBB175_10:
	s_load_dword s6, s[0:1], 0x48
	s_load_dwordx2 s[36:37], s[0:1], 0x28
	s_load_dword s16, s[0:1], 0x98
	s_load_dwordx4 s[20:23], s[0:1], 0x0
	s_load_dwordx2 s[28:29], s[0:1], 0x10
	s_mul_i32 s7, s9, s27
	s_waitcnt lgkmcnt(0)
	s_mul_i32 s34, s24, s6
	s_sub_i32 s7, s8, s7
	s_ashr_i32 s35, s34, 31
	s_xor_b32 s6, s12, s19
	s_add_i32 s8, s9, 1
	s_sub_i32 s11, s7, s27
	s_cmp_ge_u32 s7, s27
	s_cselect_b32 s8, s8, s9
	s_cselect_b32 s7, s11, s7
	s_add_i32 s9, s8, 1
	s_cmp_ge_u32 s7, s27
	s_cselect_b32 s7, s9, s8
	s_xor_b32 s7, s7, s6
	s_sub_i32 s49, s7, s6
	s_add_i32 s6, s33, 31
	s_ashr_i32 s7, s6, 31
	s_lshr_b32 s7, s7, 27
	s_add_i32 s6, s6, s7
	s_lshl_b32 s38, s4, 4
	s_ashr_i32 s12, s6, 5
	s_add_i32 s6, s38, 16
	v_lshrrev_b32_e32 v59, 6, v0
	s_min_i32 s48, s6, s12
	v_or_b32_e32 v30, s38, v59
	v_cmp_gt_i32_e64 s[8:9], s48, v30
	v_mov_b32_e32 v63, 0xff7fffff
	s_mul_i32 s14, s10, s14
	v_ashrrev_i32_e32 v31, 31, v30
	v_lshl_add_u32 v1, v59, 5, s5
	v_mbcnt_lo_u32_b32 v60, -1, 0
	s_and_saveexec_b64 s[40:41], s[8:9]
	s_cbranch_execz .LBB175_20
; %bb.11:
	s_load_dwordx2 s[0:1], s[0:1], 0x20
	s_ashr_i32 s15, s14, 31
	s_sub_i32 s50, s49, s17
	s_lshl_b64 s[6:7], s[14:15], 1
	v_bfe_u32 v61, v0, 1, 5
	s_waitcnt lgkmcnt(0)
	s_add_u32 s0, s0, s6
	s_addc_u32 s1, s1, s7
	s_abs_i32 s15, s18
	v_cvt_f32_u32_e32 v3, s15
	v_lshlrev_b32_e32 v4, 4, v61
	v_mov_b32_e32 v5, 0
	v_lshl_add_u64 v[6:7], s[0:1], 0, v[4:5]
	v_rcp_iflag_f32_e32 v3, v3
	s_sub_i32 s0, 0, s15
	v_cmp_eq_u32_e32 vcc, 0, v2
	v_mul_u32_u24_e32 v62, 0x70, v2
	v_mul_f32_e32 v3, 0x4f7ffffe, v3
	v_cvt_u32_f32_e32 v3, v3
	v_mbcnt_hi_u32_b32 v69, -1, v60
	v_and_b32_e32 v4, 8, v58
	s_mov_b32 s51, s13
	v_mul_lo_u32 v2, s0, v3
	v_mul_hi_u32 v2, v3, v2
	v_add_u32_e32 v64, v3, v2
	v_lshlrev_b32_e32 v2, 2, v61
	s_lshl_b64 s[0:1], s[34:35], 2
	v_lshl_or_b32 v2, v59, 7, v2
	s_add_u32 s0, s30, s0
	v_add_u32_e32 v66, 0xf0, v2
	v_subrev_u32_e32 v2, s33, v61
	s_addc_u32 s1, s31, s1
	v_add_u32_e32 v67, 1, v2
	v_and_b32_e32 v2, 64, v69
	v_lshl_add_u64 v[32:33], v[6:7], 0, v[4:5]
	v_cmp_neq_f32_e64 s[6:7], s3, 0
	v_lshl_add_u64 v[34:35], v[30:31], 2, s[0:1]
	v_lshl_add_u32 v65, v59, 5, s5
	s_mov_b64 s[42:43], 0
	v_mov_b32_e32 v68, 0xff7fffff
	s_movk_i32 s52, 0x1000
	v_xor_b32_e32 v70, 1, v69
	v_add_u32_e32 v71, 64, v2
	v_mov_b32_e32 v63, 0xff7fffff
	v_mov_b32_e32 v72, v30
	s_branch .LBB175_14
.LBB175_12:                             ;   in Loop: Header=BB175_14 Depth=1
	s_or_b64 exec, exec, s[44:45]
.LBB175_13:                             ;   in Loop: Header=BB175_14 Depth=1
	s_or_b64 exec, exec, s[10:11]
	v_add_u32_e32 v72, 2, v72
	v_cmp_le_i32_e64 s[0:1], s48, v72
	v_lshl_add_u64 v[34:35], v[34:35], 0, 8
	v_add_u32_e32 v65, 64, v65
	s_or_b64 s[42:43], s[0:1], s[42:43]
	v_add_u32_e32 v66, 0x100, v66
	s_andn2_b64 exec, exec, s[42:43]
	s_cbranch_execz .LBB175_19
.LBB175_14:                             ; =>This Inner Loop Header: Depth=1
	s_waitcnt lgkmcnt(0)
	v_sub_u32_e32 v3, 0, v65
	v_max_i32_e32 v3, v65, v3
	v_mul_hi_u32 v4, v3, s46
	v_mul_lo_u32 v5, v4, s27
	v_sub_u32_e32 v3, v3, v5
	v_add_u32_e32 v5, 1, v4
	v_cmp_le_u32_e64 s[0:1], s27, v3
	v_ashrrev_i32_e32 v2, 31, v65
	v_xor_b32_e32 v2, s19, v2
	v_cndmask_b32_e64 v4, v4, v5, s[0:1]
	v_subrev_u32_e32 v5, s27, v3
	v_cndmask_b32_e64 v3, v3, v5, s[0:1]
	v_add_u32_e32 v5, 1, v4
	v_cmp_le_u32_e64 s[0:1], s27, v3
	s_nop 1
	v_cndmask_b32_e64 v3, v4, v5, s[0:1]
	v_xor_b32_e32 v3, v3, v2
	v_sub_u32_e32 v2, v3, v2
	v_add_u32_e32 v3, s47, v2
	v_sub_u32_e32 v5, 0, v3
	v_ashrrev_i32_e32 v4, 31, v3
	v_max_i32_e32 v3, v3, v5
	v_mul_hi_u32 v5, v3, v64
	v_mul_lo_u32 v5, v5, s15
	v_sub_u32_e32 v3, v3, v5
	v_subrev_u32_e32 v5, s15, v3
	v_cmp_le_u32_e64 s[0:1], s15, v3
	v_cmp_ge_i32_e64 s[10:11], s50, v2
	s_nop 0
	v_cndmask_b32_e64 v3, v3, v5, s[0:1]
	v_subrev_u32_e32 v5, s15, v3
	v_cmp_le_u32_e64 s[0:1], s15, v3
	s_nop 1
	v_cndmask_b32_e64 v3, v3, v5, s[0:1]
	v_xor_b32_e32 v3, v3, v4
	v_sub_u32_e32 v3, v3, v4
	v_cmp_ne_u32_e64 s[0:1], 0, v3
	s_and_b64 s[0:1], s[0:1], s[10:11]
	s_and_b64 s[44:45], vcc, s[0:1]
	s_and_saveexec_b64 s[10:11], s[44:45]
	s_cbranch_execz .LBB175_16
; %bb.15:                               ;   in Loop: Header=BB175_14 Depth=1
	ds_write_b32 v66, v68
.LBB175_16:                             ;   in Loop: Header=BB175_14 Depth=1
	s_or_b64 exec, exec, s[10:11]
	s_xor_b64 s[0:1], s[0:1], -1
	s_and_saveexec_b64 s[10:11], s[0:1]
	s_cbranch_execz .LBB175_13
; %bb.17:                               ;   in Loop: Header=BB175_14 Depth=1
	global_load_dword v2, v[34:35], off
	s_waitcnt vmcnt(0)
	v_mad_i64_i32 v[2:3], s[0:1], v2, s51, 0
	v_lshl_add_u64 v[38:39], v[2:3], 1, v[32:33]
	global_load_dwordx2 v[36:37], v[38:39], off offset:1024
	global_load_dwordx2 v[40:41], v[38:39], off offset:1536
	global_load_dwordx2 v[42:43], v[38:39], off offset:512
	global_load_dwordx2 v[44:45], v[38:39], off
	ds_read_b128 v[26:29], v62
	ds_read_b128 v[22:25], v62 offset:16
	ds_read_b128 v[18:21], v62 offset:32
	;; [unrolled: 1-line block ×6, first 2 shown]
	global_load_dwordx2 v[48:49], v[38:39], off offset:2048
	global_load_dwordx2 v[50:51], v[38:39], off offset:2560
	;; [unrolled: 1-line block ×4, first 2 shown]
	v_cmp_lt_i32_e64 s[0:1], v70, v71
	s_waitcnt lgkmcnt(6)
	v_lshlrev_b32_e32 v74, 16, v26
	v_lshlrev_b32_e32 v75, 16, v27
	v_cndmask_b32_e64 v46, v69, v70, s[0:1]
	v_add_co_u32_e64 v56, s[0:1], s52, v38
	v_lshlrev_b32_e32 v73, 2, v46
	s_nop 0
	v_addc_co_u32_e64 v57, s[0:1], 0, v39, s[0:1]
	global_load_dwordx2 v[38:39], v[56:57], off
	global_load_dwordx2 v[46:47], v[56:57], off offset:512
	v_and_b32_e32 v98, 0xffff0000, v26
	v_and_b32_e32 v99, 0xffff0000, v27
	global_load_dwordx2 v[26:27], v[56:57], off offset:1024
	v_lshlrev_b32_e32 v76, 16, v28
	s_waitcnt lgkmcnt(5)
	v_lshlrev_b32_e32 v78, 16, v22
	v_lshlrev_b32_e32 v79, 16, v23
	s_waitcnt lgkmcnt(1)
	v_lshlrev_b32_e32 v94, 16, v6
	v_and_b32_e32 v100, 0xffff0000, v22
	v_and_b32_e32 v101, 0xffff0000, v23
	global_load_dwordx2 v[22:23], v[56:57], off offset:1536
	v_and_b32_e32 v102, 0xffff0000, v6
	v_lshlrev_b32_e32 v95, 16, v7
	v_and_b32_e32 v103, 0xffff0000, v7
	v_lshlrev_b32_e32 v77, 16, v29
	v_and_b32_e32 v28, 0xffff0000, v28
	s_waitcnt lgkmcnt(0)
	v_lshlrev_b32_e32 v106, 16, v2
	v_lshlrev_b32_e32 v108, 16, v3
	v_and_b32_e32 v29, 0xffff0000, v29
	v_lshlrev_b32_e32 v80, 16, v24
	v_and_b32_e32 v24, 0xffff0000, v24
	v_lshlrev_b32_e32 v81, 16, v25
	v_lshlrev_b32_e32 v82, 16, v18
	v_and_b32_e32 v18, 0xffff0000, v18
	v_lshlrev_b32_e32 v83, 16, v19
	v_lshlrev_b32_e32 v84, 16, v20
	v_and_b32_e32 v25, 0xffff0000, v25
	v_and_b32_e32 v20, 0xffff0000, v20
	v_lshlrev_b32_e32 v85, 16, v21
	v_lshlrev_b32_e32 v86, 16, v14
	v_and_b32_e32 v19, 0xffff0000, v19
	;; [unrolled: 4-line block ×5, first 2 shown]
	v_and_b32_e32 v12, 0xffff0000, v12
	v_lshlrev_b32_e32 v93, 16, v13
	v_and_b32_e32 v11, 0xffff0000, v11
	v_lshlrev_b32_e32 v96, 16, v8
	v_and_b32_e32 v13, 0xffff0000, v13
	v_and_b32_e32 v8, 0xffff0000, v8
	v_lshlrev_b32_e32 v97, 16, v9
	v_and_b32_e32 v9, 0xffff0000, v9
	s_waitcnt vmcnt(11)
	v_lshlrev_b32_e32 v107, 16, v36
	v_and_b32_e32 v36, 0xffff0000, v36
	s_waitcnt vmcnt(9)
	v_lshlrev_b32_e32 v6, 16, v42
	s_waitcnt vmcnt(8)
	v_lshlrev_b32_e32 v7, 16, v44
	v_mul_f32_e32 v76, v76, v6
	v_lshlrev_b32_e32 v105, 16, v43
	v_fmac_f32_e32 v76, v74, v7
	global_load_dwordx2 v[6:7], v[56:57], off offset:2048
	v_and_b32_e32 v42, 0xffff0000, v42
	v_lshlrev_b32_e32 v104, 16, v45
	v_mul_f32_e32 v77, v77, v105
	v_mul_f32_e32 v28, v28, v42
	v_and_b32_e32 v42, 0xffff0000, v2
	v_fmac_f32_e32 v77, v75, v104
	v_and_b32_e32 v75, 0xffff0000, v3
	global_load_dwordx2 v[2:3], v[56:57], off offset:2560
	v_and_b32_e32 v44, 0xffff0000, v44
	v_and_b32_e32 v43, 0xffff0000, v43
	v_fmac_f32_e32 v28, v98, v44
	v_and_b32_e32 v45, 0xffff0000, v45
	v_lshlrev_b32_e32 v74, 16, v37
	v_lshlrev_b32_e32 v105, 16, v40
	v_and_b32_e32 v40, 0xffff0000, v40
	v_mul_f32_e32 v29, v29, v43
	v_fmac_f32_e32 v28, v100, v36
	v_and_b32_e32 v37, 0xffff0000, v37
	v_lshlrev_b32_e32 v44, 16, v41
	v_fmac_f32_e32 v29, v99, v45
	s_waitcnt vmcnt(9)
	v_and_b32_e32 v45, 0xffff0000, v48
	v_fmac_f32_e32 v77, v79, v74
	v_fmac_f32_e32 v28, v24, v40
	v_and_b32_e32 v41, 0xffff0000, v41
	v_lshlrev_b32_e32 v43, 16, v48
	v_lshlrev_b32_e32 v48, 16, v49
	s_waitcnt vmcnt(8)
	v_lshlrev_b32_e32 v56, 16, v50
	v_fmac_f32_e32 v76, v78, v107
	v_and_b32_e32 v50, 0xffff0000, v50
	v_fmac_f32_e32 v29, v101, v37
	v_fmac_f32_e32 v77, v81, v44
	v_fmac_f32_e32 v28, v18, v45
	v_and_b32_e32 v49, 0xffff0000, v49
	v_lshlrev_b32_e32 v57, 16, v51
	s_waitcnt vmcnt(7)
	v_and_b32_e32 v36, 0xffff0000, v52
	v_fmac_f32_e32 v76, v80, v105
	v_fmac_f32_e32 v29, v25, v41
	v_fmac_f32_e32 v77, v83, v48
	v_fmac_f32_e32 v28, v20, v50
	v_and_b32_e32 v51, 0xffff0000, v51
	v_lshlrev_b32_e32 v78, 16, v52
	v_lshlrev_b32_e32 v52, 16, v53
	s_waitcnt vmcnt(6)
	v_lshlrev_b32_e32 v98, 16, v54
	v_and_b32_e32 v54, 0xffff0000, v54
	v_fmac_f32_e32 v76, v82, v43
	v_fmac_f32_e32 v29, v19, v49
	v_fmac_f32_e32 v77, v85, v57
	v_fmac_f32_e32 v28, v14, v36
	v_and_b32_e32 v53, 0xffff0000, v53
	v_lshlrev_b32_e32 v74, 16, v55
	s_waitcnt vmcnt(5)
	v_and_b32_e32 v37, 0xffff0000, v38
	v_fmac_f32_e32 v76, v84, v56
	v_fmac_f32_e32 v29, v21, v51
	v_fmac_f32_e32 v77, v87, v52
	v_fmac_f32_e32 v28, v16, v54
	v_and_b32_e32 v55, 0xffff0000, v55
	v_lshlrev_b32_e32 v79, 16, v38
	v_lshlrev_b32_e32 v38, 16, v39
	s_waitcnt vmcnt(4)
	v_lshlrev_b32_e32 v99, 16, v46
	v_and_b32_e32 v46, 0xffff0000, v46
	v_fmac_f32_e32 v76, v86, v78
	;; [unrolled: 18-line block ×3, first 2 shown]
	v_fmac_f32_e32 v29, v11, v39
	v_fmac_f32_e32 v77, v93, v80
	;; [unrolled: 1-line block ×3, first 2 shown]
	v_and_b32_e32 v27, 0xffff0000, v27
	v_fmac_f32_e32 v76, v92, v99
	v_fmac_f32_e32 v29, v13, v47
	;; [unrolled: 1-line block ×4, first 2 shown]
	v_lshlrev_b32_e32 v8, 16, v23
	v_fmac_f32_e32 v76, v94, v100
	v_fmac_f32_e32 v29, v103, v27
	v_and_b32_e32 v10, 0xffff0000, v23
	v_fmac_f32_e32 v77, v97, v8
	s_waitcnt vmcnt(1)
	v_lshlrev_b32_e32 v8, 16, v6
	v_and_b32_e32 v6, 0xffff0000, v6
	v_fmac_f32_e32 v76, v96, v40
	v_fmac_f32_e32 v29, v9, v10
	;; [unrolled: 1-line block ×3, first 2 shown]
	v_lshlrev_b32_e32 v6, 16, v7
	v_and_b32_e32 v7, 0xffff0000, v7
	v_fmac_f32_e32 v76, v106, v8
	v_fmac_f32_e32 v77, v108, v6
	;; [unrolled: 1-line block ×3, first 2 shown]
	v_lshlrev_b32_e32 v6, 16, v4
	v_and_b32_e32 v4, 0xffff0000, v4
	s_waitcnt vmcnt(0)
	v_lshlrev_b32_e32 v7, 16, v2
	v_and_b32_e32 v2, 0xffff0000, v2
	v_fmac_f32_e32 v76, v7, v6
	v_fmac_f32_e32 v28, v2, v4
	v_lshlrev_b32_e32 v2, 16, v5
	v_and_b32_e32 v4, 0xffff0000, v5
	v_lshlrev_b32_e32 v5, 16, v3
	v_and_b32_e32 v3, 0xffff0000, v3
	v_fmac_f32_e32 v77, v5, v2
	v_add_f32_e32 v2, v76, v28
	v_fmac_f32_e32 v29, v3, v4
	v_add_f32_e32 v2, v2, v77
	v_add_f32_e32 v2, v29, v2
	ds_bpermute_b32 v3, v73, v2
	s_and_saveexec_b64 s[44:45], vcc
	s_cbranch_execz .LBB175_12
; %bb.18:                               ;   in Loop: Header=BB175_14 Depth=1
	v_add_u32_e32 v4, v67, v65
	v_cvt_f32_i32_e32 v4, v4
	s_waitcnt lgkmcnt(0)
	v_add_f32_e32 v2, v2, v3
	v_add_u32_e32 v5, v61, v65
	v_cmp_gt_i32_e64 s[0:1], s33, v5
	v_mul_f32_e32 v3, s3, v4
	v_cndmask_b32_e64 v3, 0, v3, s[6:7]
	v_fmac_f32_e32 v3, s39, v2
	v_cndmask_b32_e64 v2, 0, v3, s[0:1]
	ds_write_b32 v66, v2
	v_max_f32_e32 v2, v63, v63
	v_max_f32_e32 v2, v2, v3
	v_cndmask_b32_e64 v63, v63, v2, s[0:1]
	s_branch .LBB175_12
.LBB175_19:
	s_or_b64 exec, exec, s[42:43]
.LBB175_20:
	s_or_b64 exec, exec, s[40:41]
	v_mbcnt_hi_u32_b32 v4, -1, v60
	v_and_b32_e32 v2, 64, v4
	v_add_u32_e32 v9, 64, v2
	v_xor_b32_e32 v2, 32, v4
	v_cmp_lt_i32_e32 vcc, v2, v9
	v_xor_b32_e32 v6, 16, v4
	v_max_f32_e32 v5, v63, v63
	v_cndmask_b32_e32 v2, v4, v2, vcc
	v_lshlrev_b32_e32 v2, 2, v2
	s_waitcnt lgkmcnt(0)
	ds_bpermute_b32 v3, v2, v63
	v_cmp_lt_i32_e32 vcc, v6, v9
	v_xor_b32_e32 v7, 8, v4
	v_xor_b32_e32 v8, 4, v4
	;; [unrolled: 1-line block ×3, first 2 shown]
	s_waitcnt lgkmcnt(0)
	v_max_f32_e32 v3, v3, v3
	v_max_f32_e32 v5, v5, v3
	v_cndmask_b32_e32 v3, v4, v6, vcc
	v_lshlrev_b32_e32 v3, 2, v3
	ds_bpermute_b32 v6, v3, v5
	v_cmp_lt_i32_e32 vcc, v7, v9
	v_and_b32_e32 v26, 63, v0
	s_waitcnt lgkmcnt(0)
	v_max_f32_e32 v6, v6, v6
	v_max_f32_e32 v6, v5, v6
	v_cndmask_b32_e32 v5, v4, v7, vcc
	v_lshlrev_b32_e32 v5, 2, v5
	ds_bpermute_b32 v7, v5, v6
	v_cmp_lt_i32_e32 vcc, v8, v9
	s_waitcnt lgkmcnt(0)
	v_max_f32_e32 v7, v7, v7
	v_max_f32_e32 v7, v6, v7
	v_cndmask_b32_e32 v6, v4, v8, vcc
	v_lshlrev_b32_e32 v6, 2, v6
	ds_bpermute_b32 v8, v6, v7
	v_cmp_lt_i32_e32 vcc, v10, v9
	s_waitcnt lgkmcnt(0)
	v_max_f32_e32 v8, v8, v8
	v_max_f32_e32 v8, v7, v8
	v_cndmask_b32_e32 v7, v4, v10, vcc
	v_lshlrev_b32_e32 v27, 2, v7
	ds_bpermute_b32 v10, v27, v8
	v_cmp_eq_u32_e32 vcc, 0, v26
	v_lshlrev_b32_e32 v7, 2, v59
	s_and_saveexec_b64 s[0:1], vcc
	s_cbranch_execz .LBB175_22
; %bb.21:
	s_waitcnt lgkmcnt(0)
	v_max_f32_e32 v10, v10, v10
	v_max_f32_e32 v8, v8, v8
	;; [unrolled: 1-line block ×3, first 2 shown]
	ds_write_b32 v7, v8 offset:224
.LBB175_22:
	s_or_b64 exec, exec, s[0:1]
	v_cmp_gt_u32_e64 s[0:1], 2, v26
	s_waitcnt lgkmcnt(0)
	v_mov_b32_e32 v10, 0xff7fffff
	v_lshlrev_b32_e32 v8, 2, v26
	s_barrier
	s_and_saveexec_b64 s[6:7], s[0:1]
	s_cbranch_execz .LBB175_24
; %bb.23:
	ds_read_b32 v10, v8 offset:224
.LBB175_24:
	s_or_b64 exec, exec, s[6:7]
	v_xor_b32_e32 v11, 1, v4
	v_cmp_lt_i32_e64 s[6:7], v11, v9
	s_sub_i32 s3, s48, s38
	s_lshl_b32 s3, s3, 5
	v_cndmask_b32_e64 v9, v4, v11, s[6:7]
	v_lshlrev_b32_e32 v28, 2, v9
	s_waitcnt lgkmcnt(0)
	ds_bpermute_b32 v9, v28, v10
	v_max_f32_e32 v10, v10, v10
	v_lshlrev_b32_e32 v4, 2, v4
	s_add_i32 s3, s3, s5
	s_min_i32 s15, s3, s33
	s_waitcnt lgkmcnt(0)
	v_max_f32_e32 v9, v9, v9
	v_max_f32_e32 v10, v10, v9
	v_and_b32_e32 v9, 0x100, v4
	ds_bpermute_b32 v4, v9, v10
	s_sub_i32 s3, s15, s5
	v_cmp_gt_i32_e64 s[6:7], s3, v0
	v_mov_b32_e32 v10, 0
	s_and_saveexec_b64 s[38:39], s[6:7]
	s_cbranch_execz .LBB175_28
; %bb.25:
	v_mov_b32_e32 v10, 0xf0
	v_lshl_add_u32 v11, v0, 2, v10
	s_mov_b64 s[40:41], 0
	v_mov_b32_e32 v10, 0
	v_mov_b32_e32 v12, v0
.LBB175_26:                             ; =>This Inner Loop Header: Depth=1
	ds_read_b32 v13, v11
	v_add_u32_e32 v12, 0x80, v12
	v_cmp_le_i32_e64 s[10:11], s3, v12
	s_or_b64 s[40:41], s[10:11], s[40:41]
	s_waitcnt lgkmcnt(0)
	v_sub_f32_e32 v13, v13, v4
	v_mul_f32_e32 v13, 0x3fb8aa3b, v13
	v_exp_f32_e32 v13, v13
	ds_write_b32 v11, v13
	v_add_f32_e32 v10, v10, v13
	v_add_u32_e32 v11, 0x200, v11
	s_andn2_b64 exec, exec, s[40:41]
	s_cbranch_execnz .LBB175_26
; %bb.27:
	s_or_b64 exec, exec, s[40:41]
.LBB175_28:
	s_or_b64 exec, exec, s[38:39]
	ds_bpermute_b32 v2, v2, v10
	s_waitcnt lgkmcnt(0)
	v_add_f32_e32 v2, v10, v2
	ds_bpermute_b32 v3, v3, v2
	s_waitcnt lgkmcnt(0)
	v_add_f32_e32 v2, v2, v3
	;; [unrolled: 3-line block ×6, first 2 shown]
	s_and_saveexec_b64 s[10:11], vcc
	s_cbranch_execz .LBB175_30
; %bb.29:
	ds_write_b32 v7, v2 offset:232
.LBB175_30:
	s_or_b64 exec, exec, s[10:11]
	s_waitcnt lgkmcnt(0)
	s_barrier
	s_and_saveexec_b64 s[10:11], s[0:1]
	s_cbranch_execz .LBB175_32
; %bb.31:
	ds_read_b32 v2, v8 offset:232
.LBB175_32:
	s_or_b64 exec, exec, s[10:11]
	s_waitcnt lgkmcnt(0)
	ds_bpermute_b32 v3, v28, v2
	s_waitcnt lgkmcnt(0)
	v_add_f32_e32 v2, v2, v3
	ds_bpermute_b32 v5, v9, v2
	s_and_saveexec_b64 s[0:1], s[6:7]
	s_cbranch_execz .LBB175_45
; %bb.33:
	s_waitcnt lgkmcnt(0)
	v_add_f32_e32 v2, 0x358637bd, v5
	v_div_scale_f32 v3, s[6:7], v2, v2, 1.0
	v_rcp_f32_e32 v6, v3
	v_div_scale_f32 v7, vcc, 1.0, v2, 1.0
	s_mov_b64 s[10:11], -1
	v_fma_f32 v8, -v3, v6, 1.0
	v_fmac_f32_e32 v6, v8, v6
	v_mul_f32_e32 v8, v7, v6
	v_fma_f32 v9, -v3, v8, v7
	v_fmac_f32_e32 v8, v9, v6
	v_fma_f32 v3, -v3, v8, v7
	v_div_fmas_f32 v3, v3, v6, v8
	v_div_fixup_f32 v2, v3, v2, 1.0
	v_xad_u32 v3, v0, -1, s15
	v_subrev_u32_e32 v6, s5, v3
	s_movk_i32 s5, 0x7f
	v_cmp_lt_u32_e32 vcc, s5, v6
	v_mov_b32_e32 v3, v0
	s_and_saveexec_b64 s[6:7], vcc
	s_cbranch_execz .LBB175_42
; %bb.34:
	v_lshrrev_b32_e32 v6, 7, v6
	v_add_u32_e32 v8, -1, v6
	v_lshrrev_b32_e32 v7, 1, v8
	v_mov_b32_e32 v3, v2
	v_add_u32_e32 v7, 1, v7
	v_cmp_lt_u32_e32 vcc, 13, v8
	v_mov_b32_e32 v10, 0
	s_and_saveexec_b64 s[10:11], vcc
	s_cbranch_execz .LBB175_38
; %bb.35:
	v_mov_b32_e32 v9, 0xf0
	v_and_b32_e32 v8, -8, v7
	v_lshl_add_u32 v9, v0, 2, v9
	s_mov_b32 s5, 0
	s_mov_b64 s[38:39], 0
.LBB175_36:                             ; =>This Inner Loop Header: Depth=1
	ds_read2st64_b32 v[10:11], v9 offset1:2
	ds_read2st64_b32 v[12:13], v9 offset0:4 offset1:6
	ds_read2st64_b32 v[14:15], v9 offset0:8 offset1:10
	ds_read2st64_b32 v[16:17], v9 offset0:12 offset1:14
	v_add_u32_e32 v8, -8, v8
	s_waitcnt lgkmcnt(3)
	v_pk_mul_f32 v[10:11], v[2:3], v[10:11]
	s_waitcnt lgkmcnt(2)
	v_pk_mul_f32 v[12:13], v[2:3], v[12:13]
	ds_write2st64_b32 v9, v10, v11 offset1:2
	ds_write2st64_b32 v9, v12, v13 offset0:4 offset1:6
	ds_read2st64_b32 v[12:13], v9 offset0:16 offset1:18
	s_waitcnt lgkmcnt(4)
	v_pk_mul_f32 v[10:11], v[2:3], v[14:15]
	ds_write2st64_b32 v9, v10, v11 offset0:8 offset1:10
	s_waitcnt lgkmcnt(4)
	v_pk_mul_f32 v[10:11], v[2:3], v[16:17]
	ds_write2st64_b32 v9, v10, v11 offset0:12 offset1:14
	ds_read2st64_b32 v[10:11], v9 offset0:20 offset1:22
	s_waitcnt lgkmcnt(3)
	v_pk_mul_f32 v[12:13], v[2:3], v[12:13]
	ds_read2st64_b32 v[14:15], v9 offset0:24 offset1:26
	ds_write2st64_b32 v9, v12, v13 offset0:16 offset1:18
	ds_read2st64_b32 v[12:13], v9 offset0:28 offset1:30
	s_waitcnt lgkmcnt(3)
	v_pk_mul_f32 v[10:11], v[2:3], v[10:11]
	ds_write2st64_b32 v9, v10, v11 offset0:20 offset1:22
	s_waitcnt lgkmcnt(3)
	v_pk_mul_f32 v[10:11], v[2:3], v[14:15]
	ds_write2st64_b32 v9, v10, v11 offset0:24 offset1:26
	s_waitcnt lgkmcnt(2)
	v_pk_mul_f32 v[10:11], v[2:3], v[12:13]
	s_add_i32 s5, s5, 16
	v_cmp_eq_u32_e32 vcc, 0, v8
	ds_write2st64_b32 v9, v10, v11 offset0:28 offset1:30
	v_add_u32_e32 v9, 0x2000, v9
	s_or_b64 s[38:39], vcc, s[38:39]
	v_mov_b32_e32 v10, s5
	s_andn2_b64 exec, exec, s[38:39]
	s_cbranch_execnz .LBB175_36
; %bb.37:
	s_or_b64 exec, exec, s[38:39]
.LBB175_38:
	s_or_b64 exec, exec, s[10:11]
	v_and_b32_e32 v7, 7, v7
	v_cmp_ne_u32_e32 vcc, 0, v7
	s_and_saveexec_b64 s[10:11], vcc
	s_cbranch_execz .LBB175_41
; %bb.39:
	v_lshlrev_b32_e32 v8, 9, v10
	v_lshlrev_b32_e32 v9, 2, v0
	s_movk_i32 s5, 0xf0
	v_add3_u32 v8, v8, v9, s5
	s_mov_b64 s[38:39], 0
.LBB175_40:                             ; =>This Inner Loop Header: Depth=1
	ds_read2st64_b32 v[10:11], v8 offset1:2
	v_add_u32_e32 v7, -1, v7
	v_cmp_eq_u32_e32 vcc, 0, v7
	s_or_b64 s[38:39], vcc, s[38:39]
	s_waitcnt lgkmcnt(0)
	v_pk_mul_f32 v[10:11], v[2:3], v[10:11]
	ds_write2st64_b32 v8, v10, v11 offset1:2
	v_add_u32_e32 v8, 0x400, v8
	s_andn2_b64 exec, exec, s[38:39]
	s_cbranch_execnz .LBB175_40
.LBB175_41:
	s_or_b64 exec, exec, s[10:11]
	v_add_u32_e32 v6, 1, v6
	v_and_b32_e32 v7, 0x3fffffe, v6
	v_cmp_ne_u32_e32 vcc, v6, v7
	v_lshl_add_u32 v3, v7, 7, v0
	s_orn2_b64 s[10:11], vcc, exec
.LBB175_42:
	s_or_b64 exec, exec, s[6:7]
	s_and_b64 exec, exec, s[10:11]
	s_cbranch_execz .LBB175_45
; %bb.43:
	v_mov_b32_e32 v6, 0xf0
	v_lshl_add_u32 v6, v3, 2, v6
	s_mov_b64 s[6:7], 0
.LBB175_44:                             ; =>This Inner Loop Header: Depth=1
	ds_read_b32 v7, v6
	v_add_u32_e32 v3, 0x80, v3
	v_cmp_le_i32_e32 vcc, s3, v3
	s_or_b64 s[6:7], vcc, s[6:7]
	s_waitcnt lgkmcnt(0)
	v_mul_f32_e32 v7, v2, v7
	ds_write_b32 v6, v7
	v_add_u32_e32 v6, 0x200, v6
	s_andn2_b64 exec, exec, s[6:7]
	s_cbranch_execnz .LBB175_44
.LBB175_45:
	s_or_b64 exec, exec, s[0:1]
	v_cmp_eq_u32_e32 vcc, 0, v0
	s_waitcnt lgkmcnt(0)
	s_barrier
	s_and_saveexec_b64 s[0:1], vcc
	s_cbranch_execz .LBB175_47
; %bb.46:
	s_mul_i32 s3, s16, s24
	s_mul_i32 s6, s3, s25
	s_ashr_i32 s7, s6, 31
	s_lshl_b64 s[6:7], s[6:7], 2
	s_add_u32 s5, s22, s6
	s_mul_i32 s2, s16, s2
	s_addc_u32 s10, s23, s7
	s_ashr_i32 s3, s2, 31
	s_lshl_b64 s[2:3], s[2:3], 2
	s_add_u32 s15, s5, s2
	s_addc_u32 s23, s10, s3
	s_ashr_i32 s5, s4, 31
	s_lshl_b64 s[10:11], s[4:5], 2
	s_add_u32 s22, s15, s10
	s_addc_u32 s23, s23, s11
	s_add_u32 s5, s20, s6
	s_addc_u32 s6, s21, s7
	;; [unrolled: 2-line block ×3, first 2 shown]
	s_add_u32 s2, s2, s10
	v_mov_b32_e32 v2, 0
	s_addc_u32 s3, s3, s11
	global_store_dword v2, v4, s[22:23]
	global_store_dword v2, v5, s[2:3]
.LBB175_47:
	s_or_b64 exec, exec, s[0:1]
	v_mov_b32_e32 v32, 0
	v_and_b32_e32 v29, 3, v0
	v_mov_b32_e32 v11, 0
	v_mov_b32_e32 v10, 0
	;; [unrolled: 1-line block ×6, first 2 shown]
	s_and_saveexec_b64 s[2:3], s[8:9]
	s_cbranch_execz .LBB175_323
; %bb.48:
	s_ashr_i32 s15, s14, 31
	s_sub_i32 s5, s49, s17
	s_lshl_b64 s[0:1], s[14:15], 1
	s_add_u32 s6, s36, s0
	s_addc_u32 s7, s37, s1
	s_abs_i32 s14, s18
	v_cvt_f32_u32_e32 v2, s14
	s_sub_i32 s0, 0, s14
	s_add_i32 s17, s12, -1
	v_mov_b32_e32 v17, 0
	v_rcp_iflag_f32_e32 v3, v2
	v_and_b32_e32 v2, 0x1f8, v58
	v_or_b32_e32 v4, 0x800, v2
	v_or_b32_e32 v6, 0xa00, v2
	v_mul_f32_e32 v3, 0x4f7ffffe, v3
	v_cvt_u32_f32_e32 v3, v3
	v_or_b32_e32 v8, 0xc00, v2
	v_and_b32_e32 v33, 24, v58
	s_mov_b32 s15, s13
	v_mul_lo_u32 v5, s0, v3
	v_mul_hi_u32 v5, v3, v5
	s_lshl_b64 s[0:1], s[34:35], 2
	v_add_u32_e32 v34, v3, v5
	s_add_u32 s0, s30, s0
	v_lshlrev_b32_e32 v3, 5, v29
	s_addc_u32 s1, s31, s1
	v_lshl_or_b32 v3, v59, 7, v3
	v_lshl_add_u64 v[18:19], v[30:31], 2, s[0:1]
	v_add_u32_e32 v31, 0xf0, v3
	s_mov_b64 s[8:9], 0
	s_mov_b32 s18, 0x7f800000
	s_movk_i32 s20, 0x7fff
	v_lshlrev_b32_e32 v16, 1, v2
	v_lshlrev_b32_e32 v20, 1, v4
	;; [unrolled: 1-line block ×4, first 2 shown]
	v_mov_b32_e32 v14, v17
	v_mov_b32_e32 v15, v17
	;; [unrolled: 1-line block ×7, first 2 shown]
	s_branch .LBB175_51
.LBB175_49:                             ;   in Loop: Header=BB175_51 Depth=1
	s_or_b64 exec, exec, s[0:1]
	v_and_b32_e32 v49, 0xffff0000, v90
	v_and_b32_e32 v48, 0xffff0000, v88
	;; [unrolled: 1-line block ×8, first 2 shown]
	v_pk_add_f32 v[48:49], v[52:53], v[48:49]
	v_pk_add_f32 v[44:45], v[46:47], v[44:45]
	v_add_f32_e32 v23, v48, v49
	v_add_f32_e32 v23, v23, v44
	v_and_b32_e32 v49, 0xffff0000, v83
	v_and_b32_e32 v48, 0xffff0000, v81
	;; [unrolled: 1-line block ×4, first 2 shown]
	v_add_f32_e32 v23, v23, v45
	v_and_b32_e32 v45, 0xffff0000, v87
	v_and_b32_e32 v44, 0xffff0000, v85
	;; [unrolled: 1-line block ×4, first 2 shown]
	v_pk_add_f32 v[48:49], v[52:53], v[48:49]
	v_pk_add_f32 v[44:45], v[46:47], v[44:45]
	v_add_f32_e32 v21, v48, v49
	v_add_f32_e32 v21, v21, v44
	v_and_b32_e32 v49, 0xffff0000, v76
	v_and_b32_e32 v48, 0xffff0000, v9
	;; [unrolled: 1-line block ×4, first 2 shown]
	v_add_f32_e32 v21, v21, v45
	v_and_b32_e32 v45, 0xffff0000, v80
	v_and_b32_e32 v44, 0xffff0000, v78
	;; [unrolled: 1-line block ×4, first 2 shown]
	v_pk_add_f32 v[8:9], v[8:9], v[48:49]
	v_pk_add_f32 v[44:45], v[46:47], v[44:45]
	v_add_f32_e32 v8, v8, v9
	v_add_f32_e32 v8, v8, v44
	;; [unrolled: 1-line block ×3, first 2 shown]
	v_and_b32_e32 v47, 0xffff0000, v70
	v_and_b32_e32 v46, 0xffff0000, v68
	;; [unrolled: 1-line block ×4, first 2 shown]
	v_add_f32_e32 v13, v13, v8
	v_and_b32_e32 v9, 0xffff0000, v74
	v_and_b32_e32 v8, 0xffff0000, v72
	;; [unrolled: 1-line block ×4, first 2 shown]
	v_pk_add_f32 v[46:47], v[48:49], v[46:47]
	v_add_f32_e32 v10, v10, v21
	v_pk_add_f32 v[8:9], v[44:45], v[8:9]
	v_add_f32_e32 v21, v46, v47
	v_add_f32_e32 v8, v21, v8
	;; [unrolled: 1-line block ×3, first 2 shown]
	v_and_b32_e32 v47, 0xffff0000, v62
	v_and_b32_e32 v46, 0xffff0000, v60
	;; [unrolled: 1-line block ×4, first 2 shown]
	v_add_f32_e32 v12, v12, v8
	v_and_b32_e32 v9, 0xffff0000, v66
	v_and_b32_e32 v8, 0xffff0000, v64
	;; [unrolled: 1-line block ×4, first 2 shown]
	v_pk_add_f32 v[46:47], v[48:49], v[46:47]
	v_pk_add_f32 v[8:9], v[44:45], v[8:9]
	v_add_f32_e32 v21, v46, v47
	v_add_f32_e32 v8, v21, v8
	;; [unrolled: 1-line block ×4, first 2 shown]
	v_and_b32_e32 v8, 0xffff0000, v40
	v_and_b32_e32 v40, 0xffff0000, v39
	;; [unrolled: 1-line block ×8, first 2 shown]
	v_pk_add_f32 v[36:37], v[36:37], v[38:39]
	v_pk_add_f32 v[8:9], v[40:41], v[8:9]
	v_add_f32_e32 v21, v36, v37
	v_add_f32_e32 v8, v21, v8
	v_add_f32_e32 v8, v8, v9
	v_and_b32_e32 v7, 0xffff0000, v7
	v_and_b32_e32 v6, 0xffff0000, v6
	;; [unrolled: 1-line block ×4, first 2 shown]
	v_add_f32_e32 v14, v14, v8
	v_and_b32_e32 v9, 0xffff0000, v25
	v_and_b32_e32 v8, 0xffff0000, v43
	;; [unrolled: 1-line block ×4, first 2 shown]
	v_pk_add_f32 v[2:3], v[2:3], v[6:7]
	v_pk_add_f32 v[4:5], v[4:5], v[8:9]
	v_add_f32_e32 v2, v2, v3
	v_add_f32_e32 v2, v2, v4
	;; [unrolled: 1-line block ×5, first 2 shown]
.LBB175_50:                             ;   in Loop: Header=BB175_51 Depth=1
	s_or_b64 exec, exec, s[10:11]
	v_add_u32_e32 v30, 2, v30
	v_cmp_le_i32_e32 vcc, s48, v30
	v_lshl_add_u64 v[18:19], v[18:19], 0, 8
	v_add_u32_e32 v1, 64, v1
	s_or_b64 s[8:9], vcc, s[8:9]
	v_add_u32_e32 v31, 0x100, v31
	s_andn2_b64 exec, exec, s[8:9]
	s_cbranch_execz .LBB175_322
.LBB175_51:                             ; =>This Inner Loop Header: Depth=1
	v_sub_u32_e32 v3, 0, v1
	v_max_i32_e32 v3, v1, v3
	v_mul_hi_u32 v4, v3, s46
	v_mul_lo_u32 v5, v4, s27
	v_sub_u32_e32 v3, v3, v5
	v_add_u32_e32 v5, 1, v4
	v_cmp_le_u32_e32 vcc, s27, v3
	v_ashrrev_i32_e32 v2, 31, v1
	v_xor_b32_e32 v2, s19, v2
	v_cndmask_b32_e32 v4, v4, v5, vcc
	v_subrev_u32_e32 v5, s27, v3
	v_cndmask_b32_e32 v3, v3, v5, vcc
	v_add_u32_e32 v5, 1, v4
	v_cmp_le_u32_e32 vcc, s27, v3
	s_nop 1
	v_cndmask_b32_e32 v3, v4, v5, vcc
	v_xor_b32_e32 v3, v3, v2
	v_sub_u32_e32 v2, v3, v2
	v_add_u32_e32 v3, s47, v2
	v_sub_u32_e32 v5, 0, v3
	v_ashrrev_i32_e32 v4, 31, v3
	v_max_i32_e32 v3, v3, v5
	v_mul_hi_u32 v5, v3, v34
	v_mul_lo_u32 v5, v5, s14
	v_sub_u32_e32 v3, v3, v5
	v_subrev_u32_e32 v5, s14, v3
	v_cmp_le_u32_e32 vcc, s14, v3
	v_cmp_lt_i32_e64 s[0:1], s5, v2
	s_nop 0
	v_cndmask_b32_e32 v3, v3, v5, vcc
	v_subrev_u32_e32 v5, s14, v3
	v_cmp_le_u32_e32 vcc, s14, v3
	s_nop 1
	v_cndmask_b32_e32 v3, v3, v5, vcc
	v_xor_b32_e32 v3, v3, v4
	v_sub_u32_e32 v3, v3, v4
	v_cmp_eq_u32_e32 vcc, 0, v3
	s_or_b64 s[0:1], vcc, s[0:1]
	s_and_saveexec_b64 s[10:11], s[0:1]
	s_cbranch_execz .LBB175_50
; %bb.52:                               ;   in Loop: Header=BB175_51 Depth=1
	global_load_dword v40, v[18:19], off
	ds_read2_b64 v[6:9], v31 offset1:1
	ds_read2_b64 v[2:5], v31 offset0:2 offset1:3
                                        ; implicit-def: $vgpr35
	s_waitcnt lgkmcnt(1)
	v_and_b32_e32 v21, 0x7f800000, v6
	v_cmp_ne_u32_e32 vcc, s18, v21
	s_and_saveexec_b64 s[0:1], vcc
	s_xor_b64 s[0:1], exec, s[0:1]
; %bb.53:                               ;   in Loop: Header=BB175_51 Depth=1
	v_bfe_u32 v21, v6, 16, 1
	v_add3_u32 v35, v6, v21, s20
; %bb.54:                               ;   in Loop: Header=BB175_51 Depth=1
	s_andn2_saveexec_b64 s[0:1], s[0:1]
; %bb.55:                               ;   in Loop: Header=BB175_51 Depth=1
	v_or_b32_e32 v21, 0x10000, v6
	v_cmp_eq_u32_sdwa vcc, v6, v17 src0_sel:WORD_0 src1_sel:DWORD
	s_nop 1
	v_cndmask_b32_e32 v35, v21, v6, vcc
; %bb.56:                               ;   in Loop: Header=BB175_51 Depth=1
	s_or_b64 exec, exec, s[0:1]
	v_and_b32_e32 v6, 0x7f800000, v7
	v_cmp_ne_u32_e32 vcc, s18, v6
                                        ; implicit-def: $vgpr36
	s_and_saveexec_b64 s[0:1], vcc
	s_xor_b64 s[0:1], exec, s[0:1]
; %bb.57:                               ;   in Loop: Header=BB175_51 Depth=1
	v_bfe_u32 v6, v7, 16, 1
	v_add3_u32 v36, v7, v6, s20
; %bb.58:                               ;   in Loop: Header=BB175_51 Depth=1
	s_andn2_saveexec_b64 s[0:1], s[0:1]
; %bb.59:                               ;   in Loop: Header=BB175_51 Depth=1
	v_or_b32_e32 v6, 0x10000, v7
	v_cmp_eq_u32_sdwa vcc, v7, v17 src0_sel:WORD_0 src1_sel:DWORD
	s_nop 1
	v_cndmask_b32_e32 v36, v6, v7, vcc
; %bb.60:                               ;   in Loop: Header=BB175_51 Depth=1
	s_or_b64 exec, exec, s[0:1]
	v_and_b32_e32 v6, 0x7f800000, v8
	v_cmp_ne_u32_e32 vcc, s18, v6
                                        ; implicit-def: $vgpr37
	s_and_saveexec_b64 s[0:1], vcc
	s_xor_b64 s[0:1], exec, s[0:1]
; %bb.61:                               ;   in Loop: Header=BB175_51 Depth=1
	v_bfe_u32 v6, v8, 16, 1
	v_add3_u32 v37, v8, v6, s20
; %bb.62:                               ;   in Loop: Header=BB175_51 Depth=1
	s_andn2_saveexec_b64 s[0:1], s[0:1]
; %bb.63:                               ;   in Loop: Header=BB175_51 Depth=1
	v_or_b32_e32 v6, 0x10000, v8
	v_cmp_eq_u32_sdwa vcc, v8, v17 src0_sel:WORD_0 src1_sel:DWORD
	s_nop 1
	v_cndmask_b32_e32 v37, v6, v8, vcc
; %bb.64:                               ;   in Loop: Header=BB175_51 Depth=1
	s_or_b64 exec, exec, s[0:1]
	v_and_b32_e32 v6, 0x7f800000, v9
	v_cmp_ne_u32_e32 vcc, s18, v6
                                        ; implicit-def: $vgpr38
	s_and_saveexec_b64 s[0:1], vcc
	s_xor_b64 s[0:1], exec, s[0:1]
; %bb.65:                               ;   in Loop: Header=BB175_51 Depth=1
	v_bfe_u32 v6, v9, 16, 1
	v_add3_u32 v38, v9, v6, s20
                                        ; implicit-def: $vgpr6_vgpr7_vgpr8_vgpr9
; %bb.66:                               ;   in Loop: Header=BB175_51 Depth=1
	s_andn2_saveexec_b64 s[0:1], s[0:1]
; %bb.67:                               ;   in Loop: Header=BB175_51 Depth=1
	v_or_b32_e32 v6, 0x10000, v9
	v_cmp_eq_u32_sdwa vcc, v9, v17 src0_sel:WORD_0 src1_sel:DWORD
	s_nop 1
	v_cndmask_b32_e32 v38, v6, v9, vcc
; %bb.68:                               ;   in Loop: Header=BB175_51 Depth=1
	s_or_b64 exec, exec, s[0:1]
	s_waitcnt lgkmcnt(0)
	v_and_b32_e32 v6, 0x7f800000, v2
	v_cmp_ne_u32_e32 vcc, s18, v6
                                        ; implicit-def: $vgpr39
	s_and_saveexec_b64 s[0:1], vcc
	s_xor_b64 s[0:1], exec, s[0:1]
; %bb.69:                               ;   in Loop: Header=BB175_51 Depth=1
	v_bfe_u32 v6, v2, 16, 1
	v_add3_u32 v39, v2, v6, s20
; %bb.70:                               ;   in Loop: Header=BB175_51 Depth=1
	s_andn2_saveexec_b64 s[0:1], s[0:1]
; %bb.71:                               ;   in Loop: Header=BB175_51 Depth=1
	v_or_b32_e32 v6, 0x10000, v2
	v_cmp_eq_u32_sdwa vcc, v2, v17 src0_sel:WORD_0 src1_sel:DWORD
	s_nop 1
	v_cndmask_b32_e32 v39, v6, v2, vcc
; %bb.72:                               ;   in Loop: Header=BB175_51 Depth=1
	s_or_b64 exec, exec, s[0:1]
	v_and_b32_e32 v2, 0x7f800000, v3
	v_cmp_ne_u32_e32 vcc, s18, v2
                                        ; implicit-def: $vgpr25
	s_and_saveexec_b64 s[0:1], vcc
	s_xor_b64 s[0:1], exec, s[0:1]
; %bb.73:                               ;   in Loop: Header=BB175_51 Depth=1
	v_bfe_u32 v2, v3, 16, 1
	v_add3_u32 v25, v3, v2, s20
; %bb.74:                               ;   in Loop: Header=BB175_51 Depth=1
	s_andn2_saveexec_b64 s[0:1], s[0:1]
; %bb.75:                               ;   in Loop: Header=BB175_51 Depth=1
	v_or_b32_e32 v2, 0x10000, v3
	v_cmp_eq_u32_sdwa vcc, v3, v17 src0_sel:WORD_0 src1_sel:DWORD
	s_nop 1
	v_cndmask_b32_e32 v25, v2, v3, vcc
; %bb.76:                               ;   in Loop: Header=BB175_51 Depth=1
	s_or_b64 exec, exec, s[0:1]
	v_and_b32_e32 v2, 0x7f800000, v4
	v_cmp_ne_u32_e32 vcc, s18, v2
                                        ; implicit-def: $vgpr23
	s_and_saveexec_b64 s[0:1], vcc
	s_xor_b64 s[0:1], exec, s[0:1]
; %bb.77:                               ;   in Loop: Header=BB175_51 Depth=1
	v_bfe_u32 v2, v4, 16, 1
	v_add3_u32 v23, v4, v2, s20
; %bb.78:                               ;   in Loop: Header=BB175_51 Depth=1
	s_andn2_saveexec_b64 s[0:1], s[0:1]
; %bb.79:                               ;   in Loop: Header=BB175_51 Depth=1
	v_or_b32_e32 v2, 0x10000, v4
	v_cmp_eq_u32_sdwa vcc, v4, v17 src0_sel:WORD_0 src1_sel:DWORD
	s_nop 1
	v_cndmask_b32_e32 v23, v2, v4, vcc
; %bb.80:                               ;   in Loop: Header=BB175_51 Depth=1
	s_or_b64 exec, exec, s[0:1]
	v_and_b32_e32 v2, 0x7f800000, v5
	v_cmp_ne_u32_e32 vcc, s18, v2
                                        ; implicit-def: $vgpr21
	s_and_saveexec_b64 s[0:1], vcc
	s_xor_b64 s[0:1], exec, s[0:1]
; %bb.81:                               ;   in Loop: Header=BB175_51 Depth=1
	v_bfe_u32 v2, v5, 16, 1
	v_add3_u32 v21, v5, v2, s20
                                        ; implicit-def: $vgpr2_vgpr3_vgpr4_vgpr5
; %bb.82:                               ;   in Loop: Header=BB175_51 Depth=1
	s_andn2_saveexec_b64 s[0:1], s[0:1]
; %bb.83:                               ;   in Loop: Header=BB175_51 Depth=1
	v_or_b32_e32 v2, 0x10000, v5
	v_cmp_eq_u32_sdwa vcc, v5, v17 src0_sel:WORD_0 src1_sel:DWORD
	s_nop 1
	v_cndmask_b32_e32 v21, v2, v5, vcc
; %bb.84:                               ;   in Loop: Header=BB175_51 Depth=1
	s_or_b64 exec, exec, s[0:1]
	s_waitcnt vmcnt(0)
	v_mad_i64_i32 v[2:3], s[0:1], v40, s15, 0
	v_lshl_add_u64 v[6:7], v[2:3], 1, s[6:7]
	v_lshl_add_u64 v[8:9], v[6:7], 0, v[16:17]
	global_load_dwordx4 v[2:5], v[8:9], off
	v_add_u32_e32 v43, v33, v1
	v_cmp_eq_u32_e32 vcc, s17, v30
	v_add_u32_e32 v50, 1, v43
	v_add_u32_e32 v49, 2, v43
	;; [unrolled: 1-line block ×7, first 2 shown]
	s_waitcnt vmcnt(0)
	v_lshrrev_b32_e32 v51, 16, v2
	v_lshrrev_b32_e32 v41, 16, v3
	;; [unrolled: 1-line block ×4, first 2 shown]
	s_and_saveexec_b64 s[12:13], vcc
	s_cbranch_execz .LBB175_86
; %bb.85:                               ;   in Loop: Header=BB175_51 Depth=1
	v_cmp_gt_i32_e64 s[0:1], s33, v43
	s_nop 1
	v_cndmask_b32_e64 v2, 0, v2, s[0:1]
	v_cmp_gt_i32_e64 s[0:1], s33, v50
	s_nop 1
	v_cndmask_b32_e64 v51, 0, v51, s[0:1]
	;; [unrolled: 3-line block ×8, first 2 shown]
.LBB175_86:                             ;   in Loop: Header=BB175_51 Depth=1
	s_or_b64 exec, exec, s[12:13]
	v_and_b32_e32 v52, 0xffff0000, v35
	v_lshlrev_b32_e32 v2, 16, v2
	v_mul_f32_e32 v2, v52, v2
	v_and_b32_e32 v35, 0x7f800000, v2
	v_cmp_ne_u32_e64 s[0:1], s18, v35
                                        ; implicit-def: $vgpr35
	s_and_saveexec_b64 s[12:13], s[0:1]
	s_xor_b64 s[0:1], exec, s[12:13]
; %bb.87:                               ;   in Loop: Header=BB175_51 Depth=1
	v_bfe_u32 v35, v2, 16, 1
	v_add3_u32 v35, v2, v35, s20
                                        ; implicit-def: $vgpr2
; %bb.88:                               ;   in Loop: Header=BB175_51 Depth=1
	s_andn2_saveexec_b64 s[12:13], s[0:1]
; %bb.89:                               ;   in Loop: Header=BB175_51 Depth=1
	v_or_b32_e32 v35, 0x10000, v2
	v_cmp_eq_u32_sdwa s[0:1], v2, v17 src0_sel:WORD_0 src1_sel:DWORD
	s_nop 1
	v_cndmask_b32_e64 v35, v35, v2, s[0:1]
; %bb.90:                               ;   in Loop: Header=BB175_51 Depth=1
	s_or_b64 exec, exec, s[12:13]
	v_and_b32_e32 v53, 0xffff0000, v36
	v_lshlrev_b32_e32 v2, 16, v51
	v_mul_f32_e32 v2, v53, v2
	v_and_b32_e32 v36, 0x7f800000, v2
	v_cmp_ne_u32_e64 s[0:1], s18, v36
                                        ; implicit-def: $vgpr36
	s_and_saveexec_b64 s[12:13], s[0:1]
	s_xor_b64 s[0:1], exec, s[12:13]
; %bb.91:                               ;   in Loop: Header=BB175_51 Depth=1
	v_bfe_u32 v36, v2, 16, 1
	v_add3_u32 v36, v2, v36, s20
                                        ; implicit-def: $vgpr2
; %bb.92:                               ;   in Loop: Header=BB175_51 Depth=1
	s_andn2_saveexec_b64 s[12:13], s[0:1]
; %bb.93:                               ;   in Loop: Header=BB175_51 Depth=1
	v_or_b32_e32 v36, 0x10000, v2
	v_cmp_eq_u32_sdwa s[0:1], v2, v17 src0_sel:WORD_0 src1_sel:DWORD
	s_nop 1
	v_cndmask_b32_e64 v36, v36, v2, s[0:1]
; %bb.94:                               ;   in Loop: Header=BB175_51 Depth=1
	s_or_b64 exec, exec, s[12:13]
	v_and_b32_e32 v54, 0xffff0000, v37
	v_lshlrev_b32_e32 v2, 16, v3
	v_mul_f32_e32 v2, v54, v2
	v_and_b32_e32 v3, 0x7f800000, v2
	v_cmp_ne_u32_e64 s[0:1], s18, v3
                                        ; implicit-def: $vgpr37
	s_and_saveexec_b64 s[12:13], s[0:1]
	s_xor_b64 s[0:1], exec, s[12:13]
; %bb.95:                               ;   in Loop: Header=BB175_51 Depth=1
	v_bfe_u32 v3, v2, 16, 1
	v_add3_u32 v37, v2, v3, s20
                                        ; implicit-def: $vgpr2
; %bb.96:                               ;   in Loop: Header=BB175_51 Depth=1
	s_andn2_saveexec_b64 s[12:13], s[0:1]
; %bb.97:                               ;   in Loop: Header=BB175_51 Depth=1
	v_or_b32_e32 v3, 0x10000, v2
	v_cmp_eq_u32_sdwa s[0:1], v2, v17 src0_sel:WORD_0 src1_sel:DWORD
	s_nop 1
	v_cndmask_b32_e64 v37, v3, v2, s[0:1]
; %bb.98:                               ;   in Loop: Header=BB175_51 Depth=1
	s_or_b64 exec, exec, s[12:13]
	v_and_b32_e32 v55, 0xffff0000, v38
	v_lshlrev_b32_e32 v2, 16, v41
	v_mul_f32_e32 v2, v55, v2
	v_and_b32_e32 v3, 0x7f800000, v2
	v_cmp_ne_u32_e64 s[0:1], s18, v3
                                        ; implicit-def: $vgpr38
	s_and_saveexec_b64 s[12:13], s[0:1]
	s_xor_b64 s[0:1], exec, s[12:13]
; %bb.99:                               ;   in Loop: Header=BB175_51 Depth=1
	v_bfe_u32 v3, v2, 16, 1
	v_add3_u32 v38, v2, v3, s20
                                        ; implicit-def: $vgpr2
; %bb.100:                              ;   in Loop: Header=BB175_51 Depth=1
	s_andn2_saveexec_b64 s[12:13], s[0:1]
; %bb.101:                              ;   in Loop: Header=BB175_51 Depth=1
	v_or_b32_e32 v3, 0x10000, v2
	v_cmp_eq_u32_sdwa s[0:1], v2, v17 src0_sel:WORD_0 src1_sel:DWORD
	s_nop 1
	v_cndmask_b32_e64 v38, v3, v2, s[0:1]
; %bb.102:                              ;   in Loop: Header=BB175_51 Depth=1
	s_or_b64 exec, exec, s[12:13]
	v_and_b32_e32 v56, 0xffff0000, v39
	v_lshlrev_b32_e32 v2, 16, v4
	v_mul_f32_e32 v2, v56, v2
	v_and_b32_e32 v3, 0x7f800000, v2
	v_cmp_ne_u32_e64 s[0:1], s18, v3
                                        ; implicit-def: $vgpr39
	s_and_saveexec_b64 s[12:13], s[0:1]
	s_xor_b64 s[0:1], exec, s[12:13]
; %bb.103:                              ;   in Loop: Header=BB175_51 Depth=1
	v_bfe_u32 v3, v2, 16, 1
	v_add3_u32 v39, v2, v3, s20
                                        ; implicit-def: $vgpr2
; %bb.104:                              ;   in Loop: Header=BB175_51 Depth=1
	s_andn2_saveexec_b64 s[12:13], s[0:1]
; %bb.105:                              ;   in Loop: Header=BB175_51 Depth=1
	v_or_b32_e32 v3, 0x10000, v2
	v_cmp_eq_u32_sdwa s[0:1], v2, v17 src0_sel:WORD_0 src1_sel:DWORD
	s_nop 1
	v_cndmask_b32_e64 v39, v3, v2, s[0:1]
; %bb.106:                              ;   in Loop: Header=BB175_51 Depth=1
	s_or_b64 exec, exec, s[12:13]
	v_and_b32_e32 v57, 0xffff0000, v25
	v_lshlrev_b32_e32 v2, 16, v40
	v_mul_f32_e32 v2, v57, v2
	v_and_b32_e32 v3, 0x7f800000, v2
	v_cmp_ne_u32_e64 s[0:1], s18, v3
                                        ; implicit-def: $vgpr40
	s_and_saveexec_b64 s[12:13], s[0:1]
	s_xor_b64 s[0:1], exec, s[12:13]
; %bb.107:                              ;   in Loop: Header=BB175_51 Depth=1
	v_bfe_u32 v3, v2, 16, 1
	v_add3_u32 v40, v2, v3, s20
                                        ; implicit-def: $vgpr2
; %bb.108:                              ;   in Loop: Header=BB175_51 Depth=1
	s_andn2_saveexec_b64 s[12:13], s[0:1]
; %bb.109:                              ;   in Loop: Header=BB175_51 Depth=1
	v_or_b32_e32 v3, 0x10000, v2
	v_cmp_eq_u32_sdwa s[0:1], v2, v17 src0_sel:WORD_0 src1_sel:DWORD
	s_nop 1
	v_cndmask_b32_e64 v40, v3, v2, s[0:1]
; %bb.110:                              ;   in Loop: Header=BB175_51 Depth=1
	s_or_b64 exec, exec, s[12:13]
	v_and_b32_e32 v58, 0xffff0000, v23
	v_lshlrev_b32_e32 v2, 16, v5
	v_mul_f32_e32 v2, v58, v2
	v_and_b32_e32 v3, 0x7f800000, v2
	v_cmp_ne_u32_e64 s[0:1], s18, v3
                                        ; implicit-def: $vgpr41
	s_and_saveexec_b64 s[12:13], s[0:1]
	s_xor_b64 s[0:1], exec, s[12:13]
; %bb.111:                              ;   in Loop: Header=BB175_51 Depth=1
	v_bfe_u32 v3, v2, 16, 1
	v_add3_u32 v41, v2, v3, s20
                                        ; implicit-def: $vgpr2
; %bb.112:                              ;   in Loop: Header=BB175_51 Depth=1
	s_andn2_saveexec_b64 s[12:13], s[0:1]
; %bb.113:                              ;   in Loop: Header=BB175_51 Depth=1
	v_or_b32_e32 v3, 0x10000, v2
	v_cmp_eq_u32_sdwa s[0:1], v2, v17 src0_sel:WORD_0 src1_sel:DWORD
	s_nop 1
	v_cndmask_b32_e64 v41, v3, v2, s[0:1]
; %bb.114:                              ;   in Loop: Header=BB175_51 Depth=1
	s_or_b64 exec, exec, s[12:13]
	v_and_b32_e32 v59, 0xffff0000, v21
	v_lshlrev_b32_e32 v2, 16, v42
	v_mul_f32_e32 v2, v59, v2
	v_and_b32_e32 v3, 0x7f800000, v2
	v_cmp_ne_u32_e64 s[0:1], s18, v3
                                        ; implicit-def: $vgpr42
	s_and_saveexec_b64 s[12:13], s[0:1]
	s_xor_b64 s[0:1], exec, s[12:13]
; %bb.115:                              ;   in Loop: Header=BB175_51 Depth=1
	v_bfe_u32 v3, v2, 16, 1
	v_add3_u32 v42, v2, v3, s20
                                        ; implicit-def: $vgpr2
; %bb.116:                              ;   in Loop: Header=BB175_51 Depth=1
	s_andn2_saveexec_b64 s[12:13], s[0:1]
; %bb.117:                              ;   in Loop: Header=BB175_51 Depth=1
	v_or_b32_e32 v3, 0x10000, v2
	v_cmp_eq_u32_sdwa s[0:1], v2, v17 src0_sel:WORD_0 src1_sel:DWORD
	s_nop 1
	v_cndmask_b32_e64 v42, v3, v2, s[0:1]
; %bb.118:                              ;   in Loop: Header=BB175_51 Depth=1
	s_or_b64 exec, exec, s[12:13]
	global_load_dwordx4 v[2:5], v[8:9], off offset:1024
	s_waitcnt vmcnt(0)
	v_lshrrev_b32_e32 v60, 16, v2
	v_lshrrev_b32_e32 v25, 16, v3
	;; [unrolled: 1-line block ×4, first 2 shown]
	s_and_saveexec_b64 s[12:13], vcc
	s_cbranch_execz .LBB175_120
; %bb.119:                              ;   in Loop: Header=BB175_51 Depth=1
	v_cmp_gt_i32_e64 s[0:1], s33, v43
	s_nop 1
	v_cndmask_b32_e64 v2, 0, v2, s[0:1]
	v_cmp_gt_i32_e64 s[0:1], s33, v50
	s_nop 1
	v_cndmask_b32_e64 v60, 0, v60, s[0:1]
	;; [unrolled: 3-line block ×8, first 2 shown]
.LBB175_120:                            ;   in Loop: Header=BB175_51 Depth=1
	s_or_b64 exec, exec, s[12:13]
	v_lshlrev_b32_e32 v2, 16, v2
	v_mul_f32_e32 v2, v52, v2
	v_and_b32_e32 v51, 0x7f800000, v2
	v_cmp_ne_u32_e64 s[0:1], s18, v51
                                        ; implicit-def: $vgpr51
	s_and_saveexec_b64 s[12:13], s[0:1]
	s_xor_b64 s[0:1], exec, s[12:13]
; %bb.121:                              ;   in Loop: Header=BB175_51 Depth=1
	v_bfe_u32 v51, v2, 16, 1
	v_add3_u32 v51, v2, v51, s20
                                        ; implicit-def: $vgpr2
; %bb.122:                              ;   in Loop: Header=BB175_51 Depth=1
	s_andn2_saveexec_b64 s[12:13], s[0:1]
; %bb.123:                              ;   in Loop: Header=BB175_51 Depth=1
	v_or_b32_e32 v51, 0x10000, v2
	v_cmp_eq_u32_sdwa s[0:1], v2, v17 src0_sel:WORD_0 src1_sel:DWORD
	s_nop 1
	v_cndmask_b32_e64 v51, v51, v2, s[0:1]
; %bb.124:                              ;   in Loop: Header=BB175_51 Depth=1
	s_or_b64 exec, exec, s[12:13]
	v_lshlrev_b32_e32 v2, 16, v60
	v_mul_f32_e32 v2, v53, v2
	v_and_b32_e32 v60, 0x7f800000, v2
	v_cmp_ne_u32_e64 s[0:1], s18, v60
                                        ; implicit-def: $vgpr60
	s_and_saveexec_b64 s[12:13], s[0:1]
	s_xor_b64 s[0:1], exec, s[12:13]
; %bb.125:                              ;   in Loop: Header=BB175_51 Depth=1
	v_bfe_u32 v60, v2, 16, 1
	v_add3_u32 v60, v2, v60, s20
                                        ; implicit-def: $vgpr2
; %bb.126:                              ;   in Loop: Header=BB175_51 Depth=1
	s_andn2_saveexec_b64 s[12:13], s[0:1]
; %bb.127:                              ;   in Loop: Header=BB175_51 Depth=1
	v_or_b32_e32 v60, 0x10000, v2
	v_cmp_eq_u32_sdwa s[0:1], v2, v17 src0_sel:WORD_0 src1_sel:DWORD
	s_nop 1
	v_cndmask_b32_e64 v60, v60, v2, s[0:1]
; %bb.128:                              ;   in Loop: Header=BB175_51 Depth=1
	s_or_b64 exec, exec, s[12:13]
	v_lshlrev_b32_e32 v2, 16, v3
	v_mul_f32_e32 v2, v54, v2
	v_and_b32_e32 v3, 0x7f800000, v2
	v_cmp_ne_u32_e64 s[0:1], s18, v3
                                        ; implicit-def: $vgpr61
	s_and_saveexec_b64 s[12:13], s[0:1]
	s_xor_b64 s[0:1], exec, s[12:13]
; %bb.129:                              ;   in Loop: Header=BB175_51 Depth=1
	v_bfe_u32 v3, v2, 16, 1
	v_add3_u32 v61, v2, v3, s20
                                        ; implicit-def: $vgpr2
; %bb.130:                              ;   in Loop: Header=BB175_51 Depth=1
	s_andn2_saveexec_b64 s[12:13], s[0:1]
; %bb.131:                              ;   in Loop: Header=BB175_51 Depth=1
	v_or_b32_e32 v3, 0x10000, v2
	v_cmp_eq_u32_sdwa s[0:1], v2, v17 src0_sel:WORD_0 src1_sel:DWORD
	s_nop 1
	v_cndmask_b32_e64 v61, v3, v2, s[0:1]
; %bb.132:                              ;   in Loop: Header=BB175_51 Depth=1
	s_or_b64 exec, exec, s[12:13]
	v_lshlrev_b32_e32 v2, 16, v25
	v_mul_f32_e32 v2, v55, v2
	v_and_b32_e32 v3, 0x7f800000, v2
	v_cmp_ne_u32_e64 s[0:1], s18, v3
                                        ; implicit-def: $vgpr62
	s_and_saveexec_b64 s[12:13], s[0:1]
	s_xor_b64 s[0:1], exec, s[12:13]
; %bb.133:                              ;   in Loop: Header=BB175_51 Depth=1
	v_bfe_u32 v3, v2, 16, 1
	v_add3_u32 v62, v2, v3, s20
                                        ; implicit-def: $vgpr2
; %bb.134:                              ;   in Loop: Header=BB175_51 Depth=1
	s_andn2_saveexec_b64 s[12:13], s[0:1]
; %bb.135:                              ;   in Loop: Header=BB175_51 Depth=1
	v_or_b32_e32 v3, 0x10000, v2
	v_cmp_eq_u32_sdwa s[0:1], v2, v17 src0_sel:WORD_0 src1_sel:DWORD
	s_nop 1
	v_cndmask_b32_e64 v62, v3, v2, s[0:1]
; %bb.136:                              ;   in Loop: Header=BB175_51 Depth=1
	s_or_b64 exec, exec, s[12:13]
	v_lshlrev_b32_e32 v2, 16, v4
	v_mul_f32_e32 v2, v56, v2
	v_and_b32_e32 v3, 0x7f800000, v2
	v_cmp_ne_u32_e64 s[0:1], s18, v3
                                        ; implicit-def: $vgpr63
	s_and_saveexec_b64 s[12:13], s[0:1]
	s_xor_b64 s[0:1], exec, s[12:13]
; %bb.137:                              ;   in Loop: Header=BB175_51 Depth=1
	v_bfe_u32 v3, v2, 16, 1
	v_add3_u32 v63, v2, v3, s20
                                        ; implicit-def: $vgpr2
; %bb.138:                              ;   in Loop: Header=BB175_51 Depth=1
	s_andn2_saveexec_b64 s[12:13], s[0:1]
; %bb.139:                              ;   in Loop: Header=BB175_51 Depth=1
	v_or_b32_e32 v3, 0x10000, v2
	v_cmp_eq_u32_sdwa s[0:1], v2, v17 src0_sel:WORD_0 src1_sel:DWORD
	s_nop 1
	v_cndmask_b32_e64 v63, v3, v2, s[0:1]
; %bb.140:                              ;   in Loop: Header=BB175_51 Depth=1
	s_or_b64 exec, exec, s[12:13]
	v_lshlrev_b32_e32 v2, 16, v23
	v_mul_f32_e32 v2, v57, v2
	v_and_b32_e32 v3, 0x7f800000, v2
	v_cmp_ne_u32_e64 s[0:1], s18, v3
                                        ; implicit-def: $vgpr64
	s_and_saveexec_b64 s[12:13], s[0:1]
	s_xor_b64 s[0:1], exec, s[12:13]
; %bb.141:                              ;   in Loop: Header=BB175_51 Depth=1
	v_bfe_u32 v3, v2, 16, 1
	v_add3_u32 v64, v2, v3, s20
                                        ; implicit-def: $vgpr2
; %bb.142:                              ;   in Loop: Header=BB175_51 Depth=1
	s_andn2_saveexec_b64 s[12:13], s[0:1]
; %bb.143:                              ;   in Loop: Header=BB175_51 Depth=1
	v_or_b32_e32 v3, 0x10000, v2
	v_cmp_eq_u32_sdwa s[0:1], v2, v17 src0_sel:WORD_0 src1_sel:DWORD
	s_nop 1
	v_cndmask_b32_e64 v64, v3, v2, s[0:1]
; %bb.144:                              ;   in Loop: Header=BB175_51 Depth=1
	s_or_b64 exec, exec, s[12:13]
	v_lshlrev_b32_e32 v2, 16, v5
	v_mul_f32_e32 v2, v58, v2
	v_and_b32_e32 v3, 0x7f800000, v2
	v_cmp_ne_u32_e64 s[0:1], s18, v3
                                        ; implicit-def: $vgpr65
	s_and_saveexec_b64 s[12:13], s[0:1]
	s_xor_b64 s[0:1], exec, s[12:13]
; %bb.145:                              ;   in Loop: Header=BB175_51 Depth=1
	v_bfe_u32 v3, v2, 16, 1
	v_add3_u32 v65, v2, v3, s20
                                        ; implicit-def: $vgpr2
; %bb.146:                              ;   in Loop: Header=BB175_51 Depth=1
	s_andn2_saveexec_b64 s[12:13], s[0:1]
; %bb.147:                              ;   in Loop: Header=BB175_51 Depth=1
	v_or_b32_e32 v3, 0x10000, v2
	v_cmp_eq_u32_sdwa s[0:1], v2, v17 src0_sel:WORD_0 src1_sel:DWORD
	s_nop 1
	v_cndmask_b32_e64 v65, v3, v2, s[0:1]
; %bb.148:                              ;   in Loop: Header=BB175_51 Depth=1
	s_or_b64 exec, exec, s[12:13]
	v_lshlrev_b32_e32 v2, 16, v21
	v_mul_f32_e32 v2, v59, v2
	v_and_b32_e32 v3, 0x7f800000, v2
	v_cmp_ne_u32_e64 s[0:1], s18, v3
                                        ; implicit-def: $vgpr66
	s_and_saveexec_b64 s[12:13], s[0:1]
	s_xor_b64 s[0:1], exec, s[12:13]
; %bb.149:                              ;   in Loop: Header=BB175_51 Depth=1
	v_bfe_u32 v3, v2, 16, 1
	v_add3_u32 v66, v2, v3, s20
                                        ; implicit-def: $vgpr2
; %bb.150:                              ;   in Loop: Header=BB175_51 Depth=1
	s_andn2_saveexec_b64 s[12:13], s[0:1]
; %bb.151:                              ;   in Loop: Header=BB175_51 Depth=1
	v_or_b32_e32 v3, 0x10000, v2
	v_cmp_eq_u32_sdwa s[0:1], v2, v17 src0_sel:WORD_0 src1_sel:DWORD
	s_nop 1
	v_cndmask_b32_e64 v66, v3, v2, s[0:1]
; %bb.152:                              ;   in Loop: Header=BB175_51 Depth=1
	s_or_b64 exec, exec, s[12:13]
	global_load_dwordx4 v[2:5], v[8:9], off offset:2048
	s_waitcnt vmcnt(0)
	v_lshrrev_b32_e32 v68, 16, v2
	v_lshrrev_b32_e32 v25, 16, v3
	v_lshrrev_b32_e32 v23, 16, v4
	v_lshrrev_b32_e32 v21, 16, v5
	s_and_saveexec_b64 s[12:13], vcc
	s_cbranch_execz .LBB175_154
; %bb.153:                              ;   in Loop: Header=BB175_51 Depth=1
	v_cmp_gt_i32_e64 s[0:1], s33, v43
	s_nop 1
	v_cndmask_b32_e64 v2, 0, v2, s[0:1]
	v_cmp_gt_i32_e64 s[0:1], s33, v50
	s_nop 1
	v_cndmask_b32_e64 v68, 0, v68, s[0:1]
	;; [unrolled: 3-line block ×8, first 2 shown]
.LBB175_154:                            ;   in Loop: Header=BB175_51 Depth=1
	s_or_b64 exec, exec, s[12:13]
	v_lshlrev_b32_e32 v2, 16, v2
	v_mul_f32_e32 v2, v52, v2
	v_and_b32_e32 v67, 0x7f800000, v2
	v_cmp_ne_u32_e64 s[0:1], s18, v67
                                        ; implicit-def: $vgpr67
	s_and_saveexec_b64 s[12:13], s[0:1]
	s_xor_b64 s[0:1], exec, s[12:13]
; %bb.155:                              ;   in Loop: Header=BB175_51 Depth=1
	v_bfe_u32 v67, v2, 16, 1
	v_add3_u32 v67, v2, v67, s20
                                        ; implicit-def: $vgpr2
; %bb.156:                              ;   in Loop: Header=BB175_51 Depth=1
	s_andn2_saveexec_b64 s[12:13], s[0:1]
; %bb.157:                              ;   in Loop: Header=BB175_51 Depth=1
	v_or_b32_e32 v67, 0x10000, v2
	v_cmp_eq_u32_sdwa s[0:1], v2, v17 src0_sel:WORD_0 src1_sel:DWORD
	s_nop 1
	v_cndmask_b32_e64 v67, v67, v2, s[0:1]
; %bb.158:                              ;   in Loop: Header=BB175_51 Depth=1
	s_or_b64 exec, exec, s[12:13]
	v_lshlrev_b32_e32 v2, 16, v68
	v_mul_f32_e32 v2, v53, v2
	v_and_b32_e32 v68, 0x7f800000, v2
	v_cmp_ne_u32_e64 s[0:1], s18, v68
                                        ; implicit-def: $vgpr68
	s_and_saveexec_b64 s[12:13], s[0:1]
	s_xor_b64 s[0:1], exec, s[12:13]
; %bb.159:                              ;   in Loop: Header=BB175_51 Depth=1
	v_bfe_u32 v68, v2, 16, 1
	v_add3_u32 v68, v2, v68, s20
                                        ; implicit-def: $vgpr2
; %bb.160:                              ;   in Loop: Header=BB175_51 Depth=1
	s_andn2_saveexec_b64 s[12:13], s[0:1]
; %bb.161:                              ;   in Loop: Header=BB175_51 Depth=1
	v_or_b32_e32 v68, 0x10000, v2
	v_cmp_eq_u32_sdwa s[0:1], v2, v17 src0_sel:WORD_0 src1_sel:DWORD
	s_nop 1
	v_cndmask_b32_e64 v68, v68, v2, s[0:1]
; %bb.162:                              ;   in Loop: Header=BB175_51 Depth=1
	s_or_b64 exec, exec, s[12:13]
	v_lshlrev_b32_e32 v2, 16, v3
	v_mul_f32_e32 v2, v54, v2
	v_and_b32_e32 v3, 0x7f800000, v2
	v_cmp_ne_u32_e64 s[0:1], s18, v3
                                        ; implicit-def: $vgpr69
	s_and_saveexec_b64 s[12:13], s[0:1]
	s_xor_b64 s[0:1], exec, s[12:13]
; %bb.163:                              ;   in Loop: Header=BB175_51 Depth=1
	v_bfe_u32 v3, v2, 16, 1
	v_add3_u32 v69, v2, v3, s20
                                        ; implicit-def: $vgpr2
; %bb.164:                              ;   in Loop: Header=BB175_51 Depth=1
	s_andn2_saveexec_b64 s[12:13], s[0:1]
; %bb.165:                              ;   in Loop: Header=BB175_51 Depth=1
	v_or_b32_e32 v3, 0x10000, v2
	v_cmp_eq_u32_sdwa s[0:1], v2, v17 src0_sel:WORD_0 src1_sel:DWORD
	s_nop 1
	v_cndmask_b32_e64 v69, v3, v2, s[0:1]
; %bb.166:                              ;   in Loop: Header=BB175_51 Depth=1
	s_or_b64 exec, exec, s[12:13]
	v_lshlrev_b32_e32 v2, 16, v25
	v_mul_f32_e32 v2, v55, v2
	v_and_b32_e32 v3, 0x7f800000, v2
	v_cmp_ne_u32_e64 s[0:1], s18, v3
                                        ; implicit-def: $vgpr70
	s_and_saveexec_b64 s[12:13], s[0:1]
	s_xor_b64 s[0:1], exec, s[12:13]
; %bb.167:                              ;   in Loop: Header=BB175_51 Depth=1
	v_bfe_u32 v3, v2, 16, 1
	v_add3_u32 v70, v2, v3, s20
                                        ; implicit-def: $vgpr2
; %bb.168:                              ;   in Loop: Header=BB175_51 Depth=1
	s_andn2_saveexec_b64 s[12:13], s[0:1]
; %bb.169:                              ;   in Loop: Header=BB175_51 Depth=1
	v_or_b32_e32 v3, 0x10000, v2
	v_cmp_eq_u32_sdwa s[0:1], v2, v17 src0_sel:WORD_0 src1_sel:DWORD
	s_nop 1
	v_cndmask_b32_e64 v70, v3, v2, s[0:1]
; %bb.170:                              ;   in Loop: Header=BB175_51 Depth=1
	s_or_b64 exec, exec, s[12:13]
	v_lshlrev_b32_e32 v2, 16, v4
	v_mul_f32_e32 v2, v56, v2
	v_and_b32_e32 v3, 0x7f800000, v2
	v_cmp_ne_u32_e64 s[0:1], s18, v3
                                        ; implicit-def: $vgpr71
	s_and_saveexec_b64 s[12:13], s[0:1]
	s_xor_b64 s[0:1], exec, s[12:13]
; %bb.171:                              ;   in Loop: Header=BB175_51 Depth=1
	v_bfe_u32 v3, v2, 16, 1
	v_add3_u32 v71, v2, v3, s20
                                        ; implicit-def: $vgpr2
; %bb.172:                              ;   in Loop: Header=BB175_51 Depth=1
	s_andn2_saveexec_b64 s[12:13], s[0:1]
; %bb.173:                              ;   in Loop: Header=BB175_51 Depth=1
	v_or_b32_e32 v3, 0x10000, v2
	v_cmp_eq_u32_sdwa s[0:1], v2, v17 src0_sel:WORD_0 src1_sel:DWORD
	s_nop 1
	v_cndmask_b32_e64 v71, v3, v2, s[0:1]
; %bb.174:                              ;   in Loop: Header=BB175_51 Depth=1
	s_or_b64 exec, exec, s[12:13]
	v_lshlrev_b32_e32 v2, 16, v23
	v_mul_f32_e32 v2, v57, v2
	v_and_b32_e32 v3, 0x7f800000, v2
	v_cmp_ne_u32_e64 s[0:1], s18, v3
                                        ; implicit-def: $vgpr72
	s_and_saveexec_b64 s[12:13], s[0:1]
	s_xor_b64 s[0:1], exec, s[12:13]
; %bb.175:                              ;   in Loop: Header=BB175_51 Depth=1
	v_bfe_u32 v3, v2, 16, 1
	v_add3_u32 v72, v2, v3, s20
                                        ; implicit-def: $vgpr2
; %bb.176:                              ;   in Loop: Header=BB175_51 Depth=1
	s_andn2_saveexec_b64 s[12:13], s[0:1]
; %bb.177:                              ;   in Loop: Header=BB175_51 Depth=1
	v_or_b32_e32 v3, 0x10000, v2
	v_cmp_eq_u32_sdwa s[0:1], v2, v17 src0_sel:WORD_0 src1_sel:DWORD
	s_nop 1
	v_cndmask_b32_e64 v72, v3, v2, s[0:1]
; %bb.178:                              ;   in Loop: Header=BB175_51 Depth=1
	s_or_b64 exec, exec, s[12:13]
	v_lshlrev_b32_e32 v2, 16, v5
	v_mul_f32_e32 v2, v58, v2
	v_and_b32_e32 v3, 0x7f800000, v2
	v_cmp_ne_u32_e64 s[0:1], s18, v3
                                        ; implicit-def: $vgpr73
	s_and_saveexec_b64 s[12:13], s[0:1]
	s_xor_b64 s[0:1], exec, s[12:13]
; %bb.179:                              ;   in Loop: Header=BB175_51 Depth=1
	v_bfe_u32 v3, v2, 16, 1
	v_add3_u32 v73, v2, v3, s20
                                        ; implicit-def: $vgpr2
; %bb.180:                              ;   in Loop: Header=BB175_51 Depth=1
	s_andn2_saveexec_b64 s[12:13], s[0:1]
; %bb.181:                              ;   in Loop: Header=BB175_51 Depth=1
	v_or_b32_e32 v3, 0x10000, v2
	v_cmp_eq_u32_sdwa s[0:1], v2, v17 src0_sel:WORD_0 src1_sel:DWORD
	s_nop 1
	v_cndmask_b32_e64 v73, v3, v2, s[0:1]
; %bb.182:                              ;   in Loop: Header=BB175_51 Depth=1
	s_or_b64 exec, exec, s[12:13]
	v_lshlrev_b32_e32 v2, 16, v21
	v_mul_f32_e32 v2, v59, v2
	v_and_b32_e32 v3, 0x7f800000, v2
	v_cmp_ne_u32_e64 s[0:1], s18, v3
                                        ; implicit-def: $vgpr74
	s_and_saveexec_b64 s[12:13], s[0:1]
	s_xor_b64 s[0:1], exec, s[12:13]
; %bb.183:                              ;   in Loop: Header=BB175_51 Depth=1
	v_bfe_u32 v3, v2, 16, 1
	v_add3_u32 v74, v2, v3, s20
                                        ; implicit-def: $vgpr2
; %bb.184:                              ;   in Loop: Header=BB175_51 Depth=1
	s_andn2_saveexec_b64 s[12:13], s[0:1]
; %bb.185:                              ;   in Loop: Header=BB175_51 Depth=1
	v_or_b32_e32 v3, 0x10000, v2
	v_cmp_eq_u32_sdwa s[0:1], v2, v17 src0_sel:WORD_0 src1_sel:DWORD
	s_nop 1
	v_cndmask_b32_e64 v74, v3, v2, s[0:1]
; %bb.186:                              ;   in Loop: Header=BB175_51 Depth=1
	s_or_b64 exec, exec, s[12:13]
	global_load_dwordx4 v[2:5], v[8:9], off offset:3072
	s_waitcnt vmcnt(0)
	v_lshrrev_b32_e32 v9, 16, v2
	v_lshrrev_b32_e32 v25, 16, v3
	;; [unrolled: 1-line block ×4, first 2 shown]
	s_and_saveexec_b64 s[12:13], vcc
	s_cbranch_execz .LBB175_188
; %bb.187:                              ;   in Loop: Header=BB175_51 Depth=1
	v_cmp_gt_i32_e64 s[0:1], s33, v43
	s_nop 1
	v_cndmask_b32_e64 v2, 0, v2, s[0:1]
	v_cmp_gt_i32_e64 s[0:1], s33, v50
	s_nop 1
	v_cndmask_b32_e64 v9, 0, v9, s[0:1]
	;; [unrolled: 3-line block ×8, first 2 shown]
.LBB175_188:                            ;   in Loop: Header=BB175_51 Depth=1
	s_or_b64 exec, exec, s[12:13]
	v_lshlrev_b32_e32 v2, 16, v2
	v_mul_f32_e32 v2, v52, v2
	v_and_b32_e32 v8, 0x7f800000, v2
	v_cmp_ne_u32_e64 s[0:1], s18, v8
                                        ; implicit-def: $vgpr8
	s_and_saveexec_b64 s[12:13], s[0:1]
	s_xor_b64 s[0:1], exec, s[12:13]
; %bb.189:                              ;   in Loop: Header=BB175_51 Depth=1
	v_bfe_u32 v8, v2, 16, 1
	v_add3_u32 v8, v2, v8, s20
                                        ; implicit-def: $vgpr2
; %bb.190:                              ;   in Loop: Header=BB175_51 Depth=1
	s_andn2_saveexec_b64 s[12:13], s[0:1]
; %bb.191:                              ;   in Loop: Header=BB175_51 Depth=1
	v_or_b32_e32 v8, 0x10000, v2
	v_cmp_eq_u32_sdwa s[0:1], v2, v17 src0_sel:WORD_0 src1_sel:DWORD
	s_nop 1
	v_cndmask_b32_e64 v8, v8, v2, s[0:1]
; %bb.192:                              ;   in Loop: Header=BB175_51 Depth=1
	s_or_b64 exec, exec, s[12:13]
	v_lshlrev_b32_e32 v2, 16, v9
	v_mul_f32_e32 v2, v53, v2
	v_and_b32_e32 v9, 0x7f800000, v2
	v_cmp_ne_u32_e64 s[0:1], s18, v9
                                        ; implicit-def: $vgpr9
	s_and_saveexec_b64 s[12:13], s[0:1]
	s_xor_b64 s[0:1], exec, s[12:13]
; %bb.193:                              ;   in Loop: Header=BB175_51 Depth=1
	v_bfe_u32 v9, v2, 16, 1
	v_add3_u32 v9, v2, v9, s20
                                        ; implicit-def: $vgpr2
; %bb.194:                              ;   in Loop: Header=BB175_51 Depth=1
	s_andn2_saveexec_b64 s[12:13], s[0:1]
; %bb.195:                              ;   in Loop: Header=BB175_51 Depth=1
	v_or_b32_e32 v9, 0x10000, v2
	v_cmp_eq_u32_sdwa s[0:1], v2, v17 src0_sel:WORD_0 src1_sel:DWORD
	s_nop 1
	v_cndmask_b32_e64 v9, v9, v2, s[0:1]
; %bb.196:                              ;   in Loop: Header=BB175_51 Depth=1
	s_or_b64 exec, exec, s[12:13]
	v_lshlrev_b32_e32 v2, 16, v3
	v_mul_f32_e32 v2, v54, v2
	v_and_b32_e32 v3, 0x7f800000, v2
	v_cmp_ne_u32_e64 s[0:1], s18, v3
                                        ; implicit-def: $vgpr75
	s_and_saveexec_b64 s[12:13], s[0:1]
	s_xor_b64 s[0:1], exec, s[12:13]
; %bb.197:                              ;   in Loop: Header=BB175_51 Depth=1
	v_bfe_u32 v3, v2, 16, 1
	v_add3_u32 v75, v2, v3, s20
                                        ; implicit-def: $vgpr2
; %bb.198:                              ;   in Loop: Header=BB175_51 Depth=1
	s_andn2_saveexec_b64 s[12:13], s[0:1]
; %bb.199:                              ;   in Loop: Header=BB175_51 Depth=1
	v_or_b32_e32 v3, 0x10000, v2
	v_cmp_eq_u32_sdwa s[0:1], v2, v17 src0_sel:WORD_0 src1_sel:DWORD
	s_nop 1
	v_cndmask_b32_e64 v75, v3, v2, s[0:1]
; %bb.200:                              ;   in Loop: Header=BB175_51 Depth=1
	s_or_b64 exec, exec, s[12:13]
	v_lshlrev_b32_e32 v2, 16, v25
	v_mul_f32_e32 v2, v55, v2
	v_and_b32_e32 v3, 0x7f800000, v2
	v_cmp_ne_u32_e64 s[0:1], s18, v3
                                        ; implicit-def: $vgpr76
	s_and_saveexec_b64 s[12:13], s[0:1]
	s_xor_b64 s[0:1], exec, s[12:13]
; %bb.201:                              ;   in Loop: Header=BB175_51 Depth=1
	v_bfe_u32 v3, v2, 16, 1
	v_add3_u32 v76, v2, v3, s20
                                        ; implicit-def: $vgpr2
; %bb.202:                              ;   in Loop: Header=BB175_51 Depth=1
	s_andn2_saveexec_b64 s[12:13], s[0:1]
; %bb.203:                              ;   in Loop: Header=BB175_51 Depth=1
	v_or_b32_e32 v3, 0x10000, v2
	v_cmp_eq_u32_sdwa s[0:1], v2, v17 src0_sel:WORD_0 src1_sel:DWORD
	s_nop 1
	v_cndmask_b32_e64 v76, v3, v2, s[0:1]
; %bb.204:                              ;   in Loop: Header=BB175_51 Depth=1
	s_or_b64 exec, exec, s[12:13]
	v_lshlrev_b32_e32 v2, 16, v4
	v_mul_f32_e32 v2, v56, v2
	v_and_b32_e32 v3, 0x7f800000, v2
	v_cmp_ne_u32_e64 s[0:1], s18, v3
                                        ; implicit-def: $vgpr77
	s_and_saveexec_b64 s[12:13], s[0:1]
	s_xor_b64 s[0:1], exec, s[12:13]
; %bb.205:                              ;   in Loop: Header=BB175_51 Depth=1
	v_bfe_u32 v3, v2, 16, 1
	v_add3_u32 v77, v2, v3, s20
                                        ; implicit-def: $vgpr2
; %bb.206:                              ;   in Loop: Header=BB175_51 Depth=1
	s_andn2_saveexec_b64 s[12:13], s[0:1]
; %bb.207:                              ;   in Loop: Header=BB175_51 Depth=1
	v_or_b32_e32 v3, 0x10000, v2
	v_cmp_eq_u32_sdwa s[0:1], v2, v17 src0_sel:WORD_0 src1_sel:DWORD
	s_nop 1
	v_cndmask_b32_e64 v77, v3, v2, s[0:1]
; %bb.208:                              ;   in Loop: Header=BB175_51 Depth=1
	s_or_b64 exec, exec, s[12:13]
	v_lshlrev_b32_e32 v2, 16, v23
	v_mul_f32_e32 v2, v57, v2
	v_and_b32_e32 v3, 0x7f800000, v2
	v_cmp_ne_u32_e64 s[0:1], s18, v3
                                        ; implicit-def: $vgpr78
	s_and_saveexec_b64 s[12:13], s[0:1]
	s_xor_b64 s[0:1], exec, s[12:13]
; %bb.209:                              ;   in Loop: Header=BB175_51 Depth=1
	v_bfe_u32 v3, v2, 16, 1
	v_add3_u32 v78, v2, v3, s20
                                        ; implicit-def: $vgpr2
; %bb.210:                              ;   in Loop: Header=BB175_51 Depth=1
	s_andn2_saveexec_b64 s[12:13], s[0:1]
; %bb.211:                              ;   in Loop: Header=BB175_51 Depth=1
	v_or_b32_e32 v3, 0x10000, v2
	v_cmp_eq_u32_sdwa s[0:1], v2, v17 src0_sel:WORD_0 src1_sel:DWORD
	s_nop 1
	v_cndmask_b32_e64 v78, v3, v2, s[0:1]
; %bb.212:                              ;   in Loop: Header=BB175_51 Depth=1
	s_or_b64 exec, exec, s[12:13]
	v_lshlrev_b32_e32 v2, 16, v5
	v_mul_f32_e32 v2, v58, v2
	v_and_b32_e32 v3, 0x7f800000, v2
	v_cmp_ne_u32_e64 s[0:1], s18, v3
                                        ; implicit-def: $vgpr79
	s_and_saveexec_b64 s[12:13], s[0:1]
	s_xor_b64 s[0:1], exec, s[12:13]
; %bb.213:                              ;   in Loop: Header=BB175_51 Depth=1
	v_bfe_u32 v3, v2, 16, 1
	v_add3_u32 v79, v2, v3, s20
                                        ; implicit-def: $vgpr2
; %bb.214:                              ;   in Loop: Header=BB175_51 Depth=1
	s_andn2_saveexec_b64 s[12:13], s[0:1]
; %bb.215:                              ;   in Loop: Header=BB175_51 Depth=1
	v_or_b32_e32 v3, 0x10000, v2
	v_cmp_eq_u32_sdwa s[0:1], v2, v17 src0_sel:WORD_0 src1_sel:DWORD
	s_nop 1
	v_cndmask_b32_e64 v79, v3, v2, s[0:1]
; %bb.216:                              ;   in Loop: Header=BB175_51 Depth=1
	s_or_b64 exec, exec, s[12:13]
	v_lshlrev_b32_e32 v2, 16, v21
	v_mul_f32_e32 v2, v59, v2
	v_and_b32_e32 v3, 0x7f800000, v2
	v_cmp_ne_u32_e64 s[0:1], s18, v3
                                        ; implicit-def: $vgpr80
	s_and_saveexec_b64 s[12:13], s[0:1]
	s_xor_b64 s[0:1], exec, s[12:13]
; %bb.217:                              ;   in Loop: Header=BB175_51 Depth=1
	v_bfe_u32 v3, v2, 16, 1
	v_add3_u32 v80, v2, v3, s20
                                        ; implicit-def: $vgpr2
; %bb.218:                              ;   in Loop: Header=BB175_51 Depth=1
	s_andn2_saveexec_b64 s[12:13], s[0:1]
; %bb.219:                              ;   in Loop: Header=BB175_51 Depth=1
	v_or_b32_e32 v3, 0x10000, v2
	v_cmp_eq_u32_sdwa s[0:1], v2, v17 src0_sel:WORD_0 src1_sel:DWORD
	s_nop 1
	v_cndmask_b32_e64 v80, v3, v2, s[0:1]
; %bb.220:                              ;   in Loop: Header=BB175_51 Depth=1
	s_or_b64 exec, exec, s[12:13]
	v_mov_b32_e32 v21, v17
	v_lshl_add_u64 v[2:3], v[6:7], 0, v[20:21]
	global_load_dwordx4 v[2:5], v[2:3], off
	s_waitcnt vmcnt(0)
	v_lshrrev_b32_e32 v81, 16, v2
	v_lshrrev_b32_e32 v83, 16, v3
	;; [unrolled: 1-line block ×4, first 2 shown]
	s_and_saveexec_b64 s[12:13], vcc
	s_cbranch_execz .LBB175_222
; %bb.221:                              ;   in Loop: Header=BB175_51 Depth=1
	v_cmp_gt_i32_e64 s[0:1], s33, v43
	s_nop 1
	v_cndmask_b32_e64 v2, 0, v2, s[0:1]
	v_cmp_gt_i32_e64 s[0:1], s33, v50
	s_nop 1
	v_cndmask_b32_e64 v81, 0, v81, s[0:1]
	;; [unrolled: 3-line block ×8, first 2 shown]
.LBB175_222:                            ;   in Loop: Header=BB175_51 Depth=1
	s_or_b64 exec, exec, s[12:13]
	v_lshlrev_b32_e32 v2, 16, v2
	v_mul_f32_e32 v2, v52, v2
	v_and_b32_e32 v21, 0x7f800000, v2
	v_cmp_ne_u32_e64 s[0:1], s18, v21
                                        ; implicit-def: $vgpr21
	s_and_saveexec_b64 s[12:13], s[0:1]
	s_xor_b64 s[0:1], exec, s[12:13]
; %bb.223:                              ;   in Loop: Header=BB175_51 Depth=1
	v_bfe_u32 v21, v2, 16, 1
	v_add3_u32 v21, v2, v21, s20
                                        ; implicit-def: $vgpr2
; %bb.224:                              ;   in Loop: Header=BB175_51 Depth=1
	s_andn2_saveexec_b64 s[12:13], s[0:1]
; %bb.225:                              ;   in Loop: Header=BB175_51 Depth=1
	v_or_b32_e32 v21, 0x10000, v2
	v_cmp_eq_u32_sdwa s[0:1], v2, v17 src0_sel:WORD_0 src1_sel:DWORD
	s_nop 1
	v_cndmask_b32_e64 v21, v21, v2, s[0:1]
; %bb.226:                              ;   in Loop: Header=BB175_51 Depth=1
	s_or_b64 exec, exec, s[12:13]
	v_lshlrev_b32_e32 v2, 16, v81
	v_mul_f32_e32 v2, v53, v2
	v_and_b32_e32 v81, 0x7f800000, v2
	v_cmp_ne_u32_e64 s[0:1], s18, v81
                                        ; implicit-def: $vgpr81
	s_and_saveexec_b64 s[12:13], s[0:1]
	s_xor_b64 s[0:1], exec, s[12:13]
; %bb.227:                              ;   in Loop: Header=BB175_51 Depth=1
	v_bfe_u32 v81, v2, 16, 1
	v_add3_u32 v81, v2, v81, s20
                                        ; implicit-def: $vgpr2
; %bb.228:                              ;   in Loop: Header=BB175_51 Depth=1
	s_andn2_saveexec_b64 s[12:13], s[0:1]
; %bb.229:                              ;   in Loop: Header=BB175_51 Depth=1
	v_or_b32_e32 v81, 0x10000, v2
	v_cmp_eq_u32_sdwa s[0:1], v2, v17 src0_sel:WORD_0 src1_sel:DWORD
	s_nop 1
	v_cndmask_b32_e64 v81, v81, v2, s[0:1]
; %bb.230:                              ;   in Loop: Header=BB175_51 Depth=1
	s_or_b64 exec, exec, s[12:13]
	v_lshlrev_b32_e32 v2, 16, v3
	v_mul_f32_e32 v2, v54, v2
	v_and_b32_e32 v3, 0x7f800000, v2
	v_cmp_ne_u32_e64 s[0:1], s18, v3
                                        ; implicit-def: $vgpr82
	s_and_saveexec_b64 s[12:13], s[0:1]
	s_xor_b64 s[0:1], exec, s[12:13]
; %bb.231:                              ;   in Loop: Header=BB175_51 Depth=1
	v_bfe_u32 v3, v2, 16, 1
	v_add3_u32 v82, v2, v3, s20
                                        ; implicit-def: $vgpr2
; %bb.232:                              ;   in Loop: Header=BB175_51 Depth=1
	s_andn2_saveexec_b64 s[12:13], s[0:1]
; %bb.233:                              ;   in Loop: Header=BB175_51 Depth=1
	v_or_b32_e32 v3, 0x10000, v2
	v_cmp_eq_u32_sdwa s[0:1], v2, v17 src0_sel:WORD_0 src1_sel:DWORD
	s_nop 1
	v_cndmask_b32_e64 v82, v3, v2, s[0:1]
; %bb.234:                              ;   in Loop: Header=BB175_51 Depth=1
	s_or_b64 exec, exec, s[12:13]
	v_lshlrev_b32_e32 v2, 16, v83
	v_mul_f32_e32 v2, v55, v2
	v_and_b32_e32 v3, 0x7f800000, v2
	v_cmp_ne_u32_e64 s[0:1], s18, v3
                                        ; implicit-def: $vgpr83
	s_and_saveexec_b64 s[12:13], s[0:1]
	s_xor_b64 s[0:1], exec, s[12:13]
; %bb.235:                              ;   in Loop: Header=BB175_51 Depth=1
	v_bfe_u32 v3, v2, 16, 1
	v_add3_u32 v83, v2, v3, s20
                                        ; implicit-def: $vgpr2
; %bb.236:                              ;   in Loop: Header=BB175_51 Depth=1
	s_andn2_saveexec_b64 s[12:13], s[0:1]
; %bb.237:                              ;   in Loop: Header=BB175_51 Depth=1
	v_or_b32_e32 v3, 0x10000, v2
	v_cmp_eq_u32_sdwa s[0:1], v2, v17 src0_sel:WORD_0 src1_sel:DWORD
	s_nop 1
	v_cndmask_b32_e64 v83, v3, v2, s[0:1]
; %bb.238:                              ;   in Loop: Header=BB175_51 Depth=1
	s_or_b64 exec, exec, s[12:13]
	v_lshlrev_b32_e32 v2, 16, v4
	v_mul_f32_e32 v2, v56, v2
	v_and_b32_e32 v3, 0x7f800000, v2
	v_cmp_ne_u32_e64 s[0:1], s18, v3
                                        ; implicit-def: $vgpr84
	s_and_saveexec_b64 s[12:13], s[0:1]
	s_xor_b64 s[0:1], exec, s[12:13]
; %bb.239:                              ;   in Loop: Header=BB175_51 Depth=1
	v_bfe_u32 v3, v2, 16, 1
	v_add3_u32 v84, v2, v3, s20
                                        ; implicit-def: $vgpr2
; %bb.240:                              ;   in Loop: Header=BB175_51 Depth=1
	s_andn2_saveexec_b64 s[12:13], s[0:1]
; %bb.241:                              ;   in Loop: Header=BB175_51 Depth=1
	v_or_b32_e32 v3, 0x10000, v2
	v_cmp_eq_u32_sdwa s[0:1], v2, v17 src0_sel:WORD_0 src1_sel:DWORD
	s_nop 1
	v_cndmask_b32_e64 v84, v3, v2, s[0:1]
; %bb.242:                              ;   in Loop: Header=BB175_51 Depth=1
	s_or_b64 exec, exec, s[12:13]
	v_lshlrev_b32_e32 v2, 16, v25
	v_mul_f32_e32 v2, v57, v2
	v_and_b32_e32 v3, 0x7f800000, v2
	v_cmp_ne_u32_e64 s[0:1], s18, v3
                                        ; implicit-def: $vgpr85
	s_and_saveexec_b64 s[12:13], s[0:1]
	s_xor_b64 s[0:1], exec, s[12:13]
; %bb.243:                              ;   in Loop: Header=BB175_51 Depth=1
	v_bfe_u32 v3, v2, 16, 1
	v_add3_u32 v85, v2, v3, s20
                                        ; implicit-def: $vgpr2
; %bb.244:                              ;   in Loop: Header=BB175_51 Depth=1
	s_andn2_saveexec_b64 s[12:13], s[0:1]
; %bb.245:                              ;   in Loop: Header=BB175_51 Depth=1
	v_or_b32_e32 v3, 0x10000, v2
	v_cmp_eq_u32_sdwa s[0:1], v2, v17 src0_sel:WORD_0 src1_sel:DWORD
	s_nop 1
	v_cndmask_b32_e64 v85, v3, v2, s[0:1]
; %bb.246:                              ;   in Loop: Header=BB175_51 Depth=1
	s_or_b64 exec, exec, s[12:13]
	v_lshlrev_b32_e32 v2, 16, v5
	v_mul_f32_e32 v2, v58, v2
	v_and_b32_e32 v3, 0x7f800000, v2
	v_cmp_ne_u32_e64 s[0:1], s18, v3
                                        ; implicit-def: $vgpr86
	s_and_saveexec_b64 s[12:13], s[0:1]
	s_xor_b64 s[0:1], exec, s[12:13]
; %bb.247:                              ;   in Loop: Header=BB175_51 Depth=1
	v_bfe_u32 v3, v2, 16, 1
	v_add3_u32 v86, v2, v3, s20
                                        ; implicit-def: $vgpr2
; %bb.248:                              ;   in Loop: Header=BB175_51 Depth=1
	s_andn2_saveexec_b64 s[12:13], s[0:1]
; %bb.249:                              ;   in Loop: Header=BB175_51 Depth=1
	v_or_b32_e32 v3, 0x10000, v2
	v_cmp_eq_u32_sdwa s[0:1], v2, v17 src0_sel:WORD_0 src1_sel:DWORD
	s_nop 1
	v_cndmask_b32_e64 v86, v3, v2, s[0:1]
; %bb.250:                              ;   in Loop: Header=BB175_51 Depth=1
	s_or_b64 exec, exec, s[12:13]
	v_lshlrev_b32_e32 v2, 16, v23
	v_mul_f32_e32 v2, v59, v2
	v_and_b32_e32 v3, 0x7f800000, v2
	v_cmp_ne_u32_e64 s[0:1], s18, v3
                                        ; implicit-def: $vgpr87
	s_and_saveexec_b64 s[12:13], s[0:1]
	s_xor_b64 s[0:1], exec, s[12:13]
; %bb.251:                              ;   in Loop: Header=BB175_51 Depth=1
	v_bfe_u32 v3, v2, 16, 1
	v_add3_u32 v87, v2, v3, s20
                                        ; implicit-def: $vgpr2
; %bb.252:                              ;   in Loop: Header=BB175_51 Depth=1
	s_andn2_saveexec_b64 s[12:13], s[0:1]
; %bb.253:                              ;   in Loop: Header=BB175_51 Depth=1
	v_or_b32_e32 v3, 0x10000, v2
	v_cmp_eq_u32_sdwa s[0:1], v2, v17 src0_sel:WORD_0 src1_sel:DWORD
	s_nop 1
	v_cndmask_b32_e64 v87, v3, v2, s[0:1]
; %bb.254:                              ;   in Loop: Header=BB175_51 Depth=1
	s_or_b64 exec, exec, s[12:13]
	v_mov_b32_e32 v23, v17
	v_lshl_add_u64 v[2:3], v[6:7], 0, v[22:23]
	global_load_dwordx4 v[2:5], v[2:3], off
	s_waitcnt vmcnt(0)
	v_lshrrev_b32_e32 v88, 16, v2
	v_lshrrev_b32_e32 v90, 16, v3
	v_lshrrev_b32_e32 v92, 16, v4
	v_lshrrev_b32_e32 v25, 16, v5
	s_and_saveexec_b64 s[12:13], vcc
	s_cbranch_execz .LBB175_256
; %bb.255:                              ;   in Loop: Header=BB175_51 Depth=1
	v_cmp_gt_i32_e64 s[0:1], s33, v43
	s_nop 1
	v_cndmask_b32_e64 v2, 0, v2, s[0:1]
	v_cmp_gt_i32_e64 s[0:1], s33, v50
	s_nop 1
	v_cndmask_b32_e64 v88, 0, v88, s[0:1]
	;; [unrolled: 3-line block ×8, first 2 shown]
.LBB175_256:                            ;   in Loop: Header=BB175_51 Depth=1
	s_or_b64 exec, exec, s[12:13]
	v_lshlrev_b32_e32 v2, 16, v2
	v_mul_f32_e32 v2, v52, v2
	v_and_b32_e32 v23, 0x7f800000, v2
	v_cmp_ne_u32_e64 s[0:1], s18, v23
                                        ; implicit-def: $vgpr23
	s_and_saveexec_b64 s[12:13], s[0:1]
	s_xor_b64 s[0:1], exec, s[12:13]
; %bb.257:                              ;   in Loop: Header=BB175_51 Depth=1
	v_bfe_u32 v23, v2, 16, 1
	v_add3_u32 v23, v2, v23, s20
                                        ; implicit-def: $vgpr2
; %bb.258:                              ;   in Loop: Header=BB175_51 Depth=1
	s_andn2_saveexec_b64 s[12:13], s[0:1]
; %bb.259:                              ;   in Loop: Header=BB175_51 Depth=1
	v_or_b32_e32 v23, 0x10000, v2
	v_cmp_eq_u32_sdwa s[0:1], v2, v17 src0_sel:WORD_0 src1_sel:DWORD
	s_nop 1
	v_cndmask_b32_e64 v23, v23, v2, s[0:1]
; %bb.260:                              ;   in Loop: Header=BB175_51 Depth=1
	s_or_b64 exec, exec, s[12:13]
	v_lshlrev_b32_e32 v2, 16, v88
	v_mul_f32_e32 v2, v53, v2
	v_and_b32_e32 v88, 0x7f800000, v2
	v_cmp_ne_u32_e64 s[0:1], s18, v88
                                        ; implicit-def: $vgpr88
	s_and_saveexec_b64 s[12:13], s[0:1]
	s_xor_b64 s[0:1], exec, s[12:13]
; %bb.261:                              ;   in Loop: Header=BB175_51 Depth=1
	v_bfe_u32 v88, v2, 16, 1
	v_add3_u32 v88, v2, v88, s20
                                        ; implicit-def: $vgpr2
; %bb.262:                              ;   in Loop: Header=BB175_51 Depth=1
	s_andn2_saveexec_b64 s[12:13], s[0:1]
; %bb.263:                              ;   in Loop: Header=BB175_51 Depth=1
	v_or_b32_e32 v88, 0x10000, v2
	v_cmp_eq_u32_sdwa s[0:1], v2, v17 src0_sel:WORD_0 src1_sel:DWORD
	s_nop 1
	v_cndmask_b32_e64 v88, v88, v2, s[0:1]
; %bb.264:                              ;   in Loop: Header=BB175_51 Depth=1
	s_or_b64 exec, exec, s[12:13]
	v_lshlrev_b32_e32 v2, 16, v3
	v_mul_f32_e32 v2, v54, v2
	v_and_b32_e32 v3, 0x7f800000, v2
	v_cmp_ne_u32_e64 s[0:1], s18, v3
                                        ; implicit-def: $vgpr89
	s_and_saveexec_b64 s[12:13], s[0:1]
	s_xor_b64 s[0:1], exec, s[12:13]
; %bb.265:                              ;   in Loop: Header=BB175_51 Depth=1
	v_bfe_u32 v3, v2, 16, 1
	v_add3_u32 v89, v2, v3, s20
                                        ; implicit-def: $vgpr2
; %bb.266:                              ;   in Loop: Header=BB175_51 Depth=1
	s_andn2_saveexec_b64 s[12:13], s[0:1]
; %bb.267:                              ;   in Loop: Header=BB175_51 Depth=1
	v_or_b32_e32 v3, 0x10000, v2
	v_cmp_eq_u32_sdwa s[0:1], v2, v17 src0_sel:WORD_0 src1_sel:DWORD
	s_nop 1
	v_cndmask_b32_e64 v89, v3, v2, s[0:1]
; %bb.268:                              ;   in Loop: Header=BB175_51 Depth=1
	s_or_b64 exec, exec, s[12:13]
	v_lshlrev_b32_e32 v2, 16, v90
	v_mul_f32_e32 v2, v55, v2
	v_and_b32_e32 v3, 0x7f800000, v2
	v_cmp_ne_u32_e64 s[0:1], s18, v3
                                        ; implicit-def: $vgpr90
	s_and_saveexec_b64 s[12:13], s[0:1]
	s_xor_b64 s[0:1], exec, s[12:13]
; %bb.269:                              ;   in Loop: Header=BB175_51 Depth=1
	v_bfe_u32 v3, v2, 16, 1
	v_add3_u32 v90, v2, v3, s20
                                        ; implicit-def: $vgpr2
; %bb.270:                              ;   in Loop: Header=BB175_51 Depth=1
	s_andn2_saveexec_b64 s[12:13], s[0:1]
; %bb.271:                              ;   in Loop: Header=BB175_51 Depth=1
	v_or_b32_e32 v3, 0x10000, v2
	v_cmp_eq_u32_sdwa s[0:1], v2, v17 src0_sel:WORD_0 src1_sel:DWORD
	s_nop 1
	v_cndmask_b32_e64 v90, v3, v2, s[0:1]
; %bb.272:                              ;   in Loop: Header=BB175_51 Depth=1
	s_or_b64 exec, exec, s[12:13]
	v_lshlrev_b32_e32 v2, 16, v4
	v_mul_f32_e32 v2, v56, v2
	v_and_b32_e32 v3, 0x7f800000, v2
	v_cmp_ne_u32_e64 s[0:1], s18, v3
                                        ; implicit-def: $vgpr91
	s_and_saveexec_b64 s[12:13], s[0:1]
	s_xor_b64 s[0:1], exec, s[12:13]
; %bb.273:                              ;   in Loop: Header=BB175_51 Depth=1
	v_bfe_u32 v3, v2, 16, 1
	v_add3_u32 v91, v2, v3, s20
                                        ; implicit-def: $vgpr2
; %bb.274:                              ;   in Loop: Header=BB175_51 Depth=1
	s_andn2_saveexec_b64 s[12:13], s[0:1]
; %bb.275:                              ;   in Loop: Header=BB175_51 Depth=1
	v_or_b32_e32 v3, 0x10000, v2
	v_cmp_eq_u32_sdwa s[0:1], v2, v17 src0_sel:WORD_0 src1_sel:DWORD
	s_nop 1
	v_cndmask_b32_e64 v91, v3, v2, s[0:1]
; %bb.276:                              ;   in Loop: Header=BB175_51 Depth=1
	s_or_b64 exec, exec, s[12:13]
	v_lshlrev_b32_e32 v2, 16, v92
	v_mul_f32_e32 v2, v57, v2
	v_and_b32_e32 v3, 0x7f800000, v2
	v_cmp_ne_u32_e64 s[0:1], s18, v3
                                        ; implicit-def: $vgpr92
	s_and_saveexec_b64 s[12:13], s[0:1]
	s_xor_b64 s[0:1], exec, s[12:13]
; %bb.277:                              ;   in Loop: Header=BB175_51 Depth=1
	v_bfe_u32 v3, v2, 16, 1
	v_add3_u32 v92, v2, v3, s20
                                        ; implicit-def: $vgpr2
; %bb.278:                              ;   in Loop: Header=BB175_51 Depth=1
	s_andn2_saveexec_b64 s[12:13], s[0:1]
; %bb.279:                              ;   in Loop: Header=BB175_51 Depth=1
	v_or_b32_e32 v3, 0x10000, v2
	v_cmp_eq_u32_sdwa s[0:1], v2, v17 src0_sel:WORD_0 src1_sel:DWORD
	s_nop 1
	v_cndmask_b32_e64 v92, v3, v2, s[0:1]
; %bb.280:                              ;   in Loop: Header=BB175_51 Depth=1
	s_or_b64 exec, exec, s[12:13]
	v_lshlrev_b32_e32 v2, 16, v5
	v_mul_f32_e32 v2, v58, v2
	v_and_b32_e32 v3, 0x7f800000, v2
	v_cmp_ne_u32_e64 s[0:1], s18, v3
                                        ; implicit-def: $vgpr93
	s_and_saveexec_b64 s[12:13], s[0:1]
	s_xor_b64 s[0:1], exec, s[12:13]
; %bb.281:                              ;   in Loop: Header=BB175_51 Depth=1
	v_bfe_u32 v3, v2, 16, 1
	v_add3_u32 v93, v2, v3, s20
                                        ; implicit-def: $vgpr2
; %bb.282:                              ;   in Loop: Header=BB175_51 Depth=1
	s_andn2_saveexec_b64 s[12:13], s[0:1]
; %bb.283:                              ;   in Loop: Header=BB175_51 Depth=1
	v_or_b32_e32 v3, 0x10000, v2
	v_cmp_eq_u32_sdwa s[0:1], v2, v17 src0_sel:WORD_0 src1_sel:DWORD
	s_nop 1
	v_cndmask_b32_e64 v93, v3, v2, s[0:1]
; %bb.284:                              ;   in Loop: Header=BB175_51 Depth=1
	s_or_b64 exec, exec, s[12:13]
	v_lshlrev_b32_e32 v2, 16, v25
	v_mul_f32_e32 v2, v59, v2
	v_and_b32_e32 v3, 0x7f800000, v2
	v_cmp_ne_u32_e64 s[0:1], s18, v3
                                        ; implicit-def: $vgpr94
	s_and_saveexec_b64 s[12:13], s[0:1]
	s_xor_b64 s[0:1], exec, s[12:13]
; %bb.285:                              ;   in Loop: Header=BB175_51 Depth=1
	v_bfe_u32 v3, v2, 16, 1
	v_add3_u32 v94, v2, v3, s20
                                        ; implicit-def: $vgpr2
; %bb.286:                              ;   in Loop: Header=BB175_51 Depth=1
	s_andn2_saveexec_b64 s[12:13], s[0:1]
; %bb.287:                              ;   in Loop: Header=BB175_51 Depth=1
	v_or_b32_e32 v3, 0x10000, v2
	v_cmp_eq_u32_sdwa s[0:1], v2, v17 src0_sel:WORD_0 src1_sel:DWORD
	s_nop 1
	v_cndmask_b32_e64 v94, v3, v2, s[0:1]
; %bb.288:                              ;   in Loop: Header=BB175_51 Depth=1
	s_or_b64 exec, exec, s[12:13]
	v_mov_b32_e32 v25, v17
	v_lshl_add_u64 v[2:3], v[6:7], 0, v[24:25]
	global_load_dwordx4 v[2:5], v[2:3], off
	s_waitcnt vmcnt(0)
	v_lshrrev_b32_e32 v6, 16, v2
	v_lshrrev_b32_e32 v7, 16, v3
	;; [unrolled: 1-line block ×4, first 2 shown]
	s_and_saveexec_b64 s[0:1], vcc
	s_cbranch_execz .LBB175_290
; %bb.289:                              ;   in Loop: Header=BB175_51 Depth=1
	v_cmp_gt_i32_e32 vcc, s33, v43
	s_nop 1
	v_cndmask_b32_e32 v2, 0, v2, vcc
	v_cmp_gt_i32_e32 vcc, s33, v50
	s_nop 1
	v_cndmask_b32_e32 v6, 0, v6, vcc
	;; [unrolled: 3-line block ×8, first 2 shown]
.LBB175_290:                            ;   in Loop: Header=BB175_51 Depth=1
	s_or_b64 exec, exec, s[0:1]
	v_lshlrev_b32_e32 v2, 16, v2
	v_mul_f32_e32 v43, v52, v2
	v_and_b32_e32 v2, 0x7f800000, v43
	v_cmp_ne_u32_e32 vcc, s18, v2
                                        ; implicit-def: $vgpr2
	s_and_saveexec_b64 s[0:1], vcc
	s_xor_b64 s[0:1], exec, s[0:1]
; %bb.291:                              ;   in Loop: Header=BB175_51 Depth=1
	v_bfe_u32 v2, v43, 16, 1
	v_add3_u32 v2, v43, v2, s20
                                        ; implicit-def: $vgpr43
; %bb.292:                              ;   in Loop: Header=BB175_51 Depth=1
	s_andn2_saveexec_b64 s[0:1], s[0:1]
; %bb.293:                              ;   in Loop: Header=BB175_51 Depth=1
	v_or_b32_e32 v2, 0x10000, v43
	v_cmp_eq_u32_sdwa vcc, v43, v17 src0_sel:WORD_0 src1_sel:DWORD
	s_nop 1
	v_cndmask_b32_e32 v2, v2, v43, vcc
; %bb.294:                              ;   in Loop: Header=BB175_51 Depth=1
	s_or_b64 exec, exec, s[0:1]
	v_lshlrev_b32_e32 v6, 16, v6
	v_mul_f32_e32 v43, v53, v6
	v_and_b32_e32 v6, 0x7f800000, v43
	v_cmp_ne_u32_e32 vcc, s18, v6
                                        ; implicit-def: $vgpr6
	s_and_saveexec_b64 s[0:1], vcc
	s_xor_b64 s[0:1], exec, s[0:1]
; %bb.295:                              ;   in Loop: Header=BB175_51 Depth=1
	v_bfe_u32 v6, v43, 16, 1
	v_add3_u32 v6, v43, v6, s20
                                        ; implicit-def: $vgpr43
; %bb.296:                              ;   in Loop: Header=BB175_51 Depth=1
	s_andn2_saveexec_b64 s[0:1], s[0:1]
; %bb.297:                              ;   in Loop: Header=BB175_51 Depth=1
	v_or_b32_e32 v6, 0x10000, v43
	v_cmp_eq_u32_sdwa vcc, v43, v17 src0_sel:WORD_0 src1_sel:DWORD
	s_nop 1
	v_cndmask_b32_e32 v6, v6, v43, vcc
; %bb.298:                              ;   in Loop: Header=BB175_51 Depth=1
	s_or_b64 exec, exec, s[0:1]
	v_lshlrev_b32_e32 v3, 16, v3
	v_mul_f32_e32 v43, v54, v3
	v_and_b32_e32 v3, 0x7f800000, v43
	v_cmp_ne_u32_e32 vcc, s18, v3
                                        ; implicit-def: $vgpr3
	s_and_saveexec_b64 s[0:1], vcc
	s_xor_b64 s[0:1], exec, s[0:1]
; %bb.299:                              ;   in Loop: Header=BB175_51 Depth=1
	v_bfe_u32 v3, v43, 16, 1
	v_add3_u32 v3, v43, v3, s20
                                        ; implicit-def: $vgpr43
; %bb.300:                              ;   in Loop: Header=BB175_51 Depth=1
	s_andn2_saveexec_b64 s[0:1], s[0:1]
; %bb.301:                              ;   in Loop: Header=BB175_51 Depth=1
	v_or_b32_e32 v3, 0x10000, v43
	v_cmp_eq_u32_sdwa vcc, v43, v17 src0_sel:WORD_0 src1_sel:DWORD
	s_nop 1
	v_cndmask_b32_e32 v3, v3, v43, vcc
; %bb.302:                              ;   in Loop: Header=BB175_51 Depth=1
	s_or_b64 exec, exec, s[0:1]
	v_lshlrev_b32_e32 v7, 16, v7
	v_mul_f32_e32 v43, v55, v7
	v_and_b32_e32 v7, 0x7f800000, v43
	v_cmp_ne_u32_e32 vcc, s18, v7
                                        ; implicit-def: $vgpr7
	s_and_saveexec_b64 s[0:1], vcc
	s_xor_b64 s[0:1], exec, s[0:1]
; %bb.303:                              ;   in Loop: Header=BB175_51 Depth=1
	v_bfe_u32 v7, v43, 16, 1
	v_add3_u32 v7, v43, v7, s20
                                        ; implicit-def: $vgpr43
; %bb.304:                              ;   in Loop: Header=BB175_51 Depth=1
	s_andn2_saveexec_b64 s[0:1], s[0:1]
; %bb.305:                              ;   in Loop: Header=BB175_51 Depth=1
	v_or_b32_e32 v7, 0x10000, v43
	v_cmp_eq_u32_sdwa vcc, v43, v17 src0_sel:WORD_0 src1_sel:DWORD
	s_nop 1
	v_cndmask_b32_e32 v7, v7, v43, vcc
; %bb.306:                              ;   in Loop: Header=BB175_51 Depth=1
	s_or_b64 exec, exec, s[0:1]
	v_lshlrev_b32_e32 v4, 16, v4
	v_mul_f32_e32 v43, v56, v4
	v_and_b32_e32 v4, 0x7f800000, v43
	v_cmp_ne_u32_e32 vcc, s18, v4
                                        ; implicit-def: $vgpr4
	s_and_saveexec_b64 s[0:1], vcc
	s_xor_b64 s[0:1], exec, s[0:1]
; %bb.307:                              ;   in Loop: Header=BB175_51 Depth=1
	v_bfe_u32 v4, v43, 16, 1
	v_add3_u32 v4, v43, v4, s20
                                        ; implicit-def: $vgpr43
; %bb.308:                              ;   in Loop: Header=BB175_51 Depth=1
	s_andn2_saveexec_b64 s[0:1], s[0:1]
; %bb.309:                              ;   in Loop: Header=BB175_51 Depth=1
	v_or_b32_e32 v4, 0x10000, v43
	v_cmp_eq_u32_sdwa vcc, v43, v17 src0_sel:WORD_0 src1_sel:DWORD
	s_nop 1
	v_cndmask_b32_e32 v4, v4, v43, vcc
; %bb.310:                              ;   in Loop: Header=BB175_51 Depth=1
	s_or_b64 exec, exec, s[0:1]
	v_lshlrev_b32_e32 v43, 16, v95
	v_mul_f32_e32 v44, v57, v43
	v_and_b32_e32 v43, 0x7f800000, v44
	v_cmp_ne_u32_e32 vcc, s18, v43
                                        ; implicit-def: $vgpr43
	s_and_saveexec_b64 s[0:1], vcc
	s_xor_b64 s[0:1], exec, s[0:1]
; %bb.311:                              ;   in Loop: Header=BB175_51 Depth=1
	v_bfe_u32 v43, v44, 16, 1
	v_add3_u32 v43, v44, v43, s20
                                        ; implicit-def: $vgpr44
; %bb.312:                              ;   in Loop: Header=BB175_51 Depth=1
	s_andn2_saveexec_b64 s[0:1], s[0:1]
; %bb.313:                              ;   in Loop: Header=BB175_51 Depth=1
	v_or_b32_e32 v43, 0x10000, v44
	v_cmp_eq_u32_sdwa vcc, v44, v17 src0_sel:WORD_0 src1_sel:DWORD
	s_nop 1
	v_cndmask_b32_e32 v43, v43, v44, vcc
; %bb.314:                              ;   in Loop: Header=BB175_51 Depth=1
	s_or_b64 exec, exec, s[0:1]
	v_lshlrev_b32_e32 v5, 16, v5
	v_mul_f32_e32 v44, v58, v5
	v_and_b32_e32 v5, 0x7f800000, v44
	v_cmp_ne_u32_e32 vcc, s18, v5
                                        ; implicit-def: $vgpr5
	s_and_saveexec_b64 s[0:1], vcc
	s_xor_b64 s[0:1], exec, s[0:1]
; %bb.315:                              ;   in Loop: Header=BB175_51 Depth=1
	v_bfe_u32 v5, v44, 16, 1
	v_add3_u32 v5, v44, v5, s20
                                        ; implicit-def: $vgpr44
; %bb.316:                              ;   in Loop: Header=BB175_51 Depth=1
	s_andn2_saveexec_b64 s[0:1], s[0:1]
; %bb.317:                              ;   in Loop: Header=BB175_51 Depth=1
	v_or_b32_e32 v5, 0x10000, v44
	v_cmp_eq_u32_sdwa vcc, v44, v17 src0_sel:WORD_0 src1_sel:DWORD
	s_nop 1
	v_cndmask_b32_e32 v5, v5, v44, vcc
; %bb.318:                              ;   in Loop: Header=BB175_51 Depth=1
	s_or_b64 exec, exec, s[0:1]
	v_lshlrev_b32_e32 v25, 16, v25
	v_mul_f32_e32 v44, v59, v25
	v_and_b32_e32 v25, 0x7f800000, v44
	v_cmp_ne_u32_e32 vcc, s18, v25
                                        ; implicit-def: $vgpr25
	s_and_saveexec_b64 s[0:1], vcc
	s_xor_b64 s[0:1], exec, s[0:1]
; %bb.319:                              ;   in Loop: Header=BB175_51 Depth=1
	v_bfe_u32 v25, v44, 16, 1
	v_add3_u32 v25, v44, v25, s20
                                        ; implicit-def: $vgpr44
; %bb.320:                              ;   in Loop: Header=BB175_51 Depth=1
	s_andn2_saveexec_b64 s[0:1], s[0:1]
	s_cbranch_execz .LBB175_49
; %bb.321:                              ;   in Loop: Header=BB175_51 Depth=1
	v_or_b32_e32 v25, 0x10000, v44
	v_cmp_eq_u32_sdwa vcc, v44, v17 src0_sel:WORD_0 src1_sel:DWORD
	s_nop 1
	v_cndmask_b32_e32 v25, v25, v44, vcc
	s_branch .LBB175_49
.LBB175_322:
	s_or_b64 exec, exec, s[8:9]
.LBB175_323:
	s_or_b64 exec, exec, s[2:3]
	ds_bpermute_b32 v2, v27, v14
	ds_bpermute_b32 v3, v27, v15
	;; [unrolled: 1-line block ×7, first 2 shown]
	s_waitcnt lgkmcnt(5)
	v_pk_add_f32 v[2:3], v[14:15], v[2:3]
	s_waitcnt lgkmcnt(4)
	v_add_f32_e32 v1, v32, v1
	ds_bpermute_b32 v6, v28, v2
	ds_bpermute_b32 v7, v28, v3
	s_waitcnt lgkmcnt(4)
	v_pk_add_f32 v[4:5], v[12:13], v[4:5]
	s_waitcnt lgkmcnt(2)
	v_pk_add_f32 v[10:11], v[10:11], v[8:9]
	ds_bpermute_b32 v16, v28, v1
	ds_bpermute_b32 v12, v28, v4
	;; [unrolled: 1-line block ×5, first 2 shown]
	s_waitcnt lgkmcnt(5)
	v_pk_add_f32 v[8:9], v[2:3], v[6:7]
	s_waitcnt lgkmcnt(4)
	v_add_f32_e32 v6, v1, v16
	v_and_b32_e32 v1, 0x3c3, v0
	s_waitcnt lgkmcnt(2)
	v_pk_add_f32 v[4:5], v[4:5], v[12:13]
	s_waitcnt lgkmcnt(0)
	v_pk_add_f32 v[2:3], v[10:11], v[14:15]
	v_cmp_eq_u32_e32 vcc, 64, v1
	s_barrier
	s_and_saveexec_b64 s[0:1], vcc
	s_cbranch_execz .LBB175_325
; %bb.324:
	v_add_u32_e32 v1, 0xf0, v26
	ds_write2_b32 v1, v8, v9 offset1:16
	ds_write2_b32 v1, v4, v5 offset0:32 offset1:48
	ds_write2_b32 v1, v2, v3 offset0:64 offset1:80
	ds_write_b32 v1, v6 offset:384
.LBB175_325:
	s_or_b64 exec, exec, s[0:1]
	v_cmp_gt_u32_e32 vcc, 64, v0
	s_waitcnt lgkmcnt(0)
	s_barrier
	s_and_saveexec_b64 s[2:3], vcc
	s_cbranch_execz .LBB175_335
; %bb.326:
	v_cmp_eq_u32_e64 s[0:1], 0, v29
	v_lshrrev_b32_e32 v1, 2, v0
	s_and_saveexec_b64 s[6:7], s[0:1]
	s_cbranch_execnz .LBB175_367
; %bb.327:
	s_or_b64 exec, exec, s[6:7]
	s_and_saveexec_b64 s[6:7], s[0:1]
	s_cbranch_execnz .LBB175_368
.LBB175_328:
	s_or_b64 exec, exec, s[6:7]
	s_and_saveexec_b64 s[6:7], s[0:1]
	s_cbranch_execnz .LBB175_369
.LBB175_329:
	s_or_b64 exec, exec, s[6:7]
	s_and_saveexec_b64 s[6:7], s[0:1]
	s_cbranch_execnz .LBB175_370
.LBB175_330:
	s_or_b64 exec, exec, s[6:7]
	s_and_saveexec_b64 s[6:7], s[0:1]
	s_cbranch_execnz .LBB175_371
.LBB175_331:
	s_or_b64 exec, exec, s[6:7]
	s_and_saveexec_b64 s[6:7], s[0:1]
	s_cbranch_execnz .LBB175_372
.LBB175_332:
	s_or_b64 exec, exec, s[6:7]
	s_and_saveexec_b64 s[6:7], s[0:1]
	s_cbranch_execz .LBB175_334
.LBB175_333:
	v_mov_b32_e32 v7, 0xf0
	v_lshl_add_u32 v1, v1, 2, v7
	ds_read_b32 v1, v1 offset:384
	s_waitcnt lgkmcnt(0)
	v_add_f32_e32 v6, v6, v1
.LBB175_334:
	s_or_b64 exec, exec, s[6:7]
.LBB175_335:
	s_or_b64 exec, exec, s[2:3]
	s_barrier
	s_and_saveexec_b64 s[0:1], vcc
	s_cbranch_execz .LBB175_366
; %bb.336:
	v_cmp_eq_u32_e32 vcc, 0, v29
	s_and_b64 exec, exec, vcc
	s_cbranch_execz .LBB175_366
; %bb.337:
	s_mov_b32 s0, 0x7f800000
	v_and_b32_e32 v1, 0x7f800000, v8
	v_cmp_ne_u32_e32 vcc, s0, v1
                                        ; implicit-def: $vgpr7
	s_and_saveexec_b64 s[0:1], vcc
	s_xor_b64 s[0:1], exec, s[0:1]
; %bb.338:
	v_bfe_u32 v1, v8, 16, 1
	s_movk_i32 s2, 0x7fff
	v_add3_u32 v7, v8, v1, s2
; %bb.339:
	s_andn2_saveexec_b64 s[0:1], s[0:1]
; %bb.340:
	v_mov_b32_e32 v1, 0
	v_or_b32_e32 v7, 0x10000, v8
	v_cmp_eq_u32_sdwa vcc, v8, v1 src0_sel:WORD_0 src1_sel:DWORD
	s_nop 1
	v_cndmask_b32_e32 v7, v7, v8, vcc
; %bb.341:
	s_or_b64 exec, exec, s[0:1]
	s_mul_i32 s0, s16, s24
	s_mul_i32 s0, s0, s25
	s_mulk_i32 s0, 0x70
	s_ashr_i32 s1, s0, 31
	s_lshl_b64 s[0:1], s[0:1], 1
	s_add_u32 s2, s28, s0
	s_mul_i32 s0, s16, s26
	s_addc_u32 s3, s29, s1
	s_ashr_i32 s1, s0, 31
	s_lshl_b64 s[0:1], s[0:1], 1
	s_add_u32 s2, s2, s0
	s_mul_i32 s0, s4, 0x70
	s_addc_u32 s3, s3, s1
	s_ashr_i32 s1, s0, 31
	s_lshl_b64 s[0:1], s[0:1], 1
	s_add_u32 s0, s2, s0
	v_lshrrev_b32_e32 v0, 1, v0
	s_addc_u32 s1, s3, s1
	v_and_b32_e32 v0, 0x1fe, v0
	global_store_short_d16_hi v0, v7, s[0:1]
	s_mov_b32 s2, 0x7f800000
	v_and_b32_e32 v7, 0x7f800000, v9
	v_mov_b32_e32 v1, 0
	v_cmp_ne_u32_e32 vcc, s2, v7
                                        ; implicit-def: $vgpr7
	s_and_saveexec_b64 s[2:3], vcc
	s_xor_b64 s[2:3], exec, s[2:3]
; %bb.342:
	v_bfe_u32 v7, v9, 16, 1
	s_movk_i32 s4, 0x7fff
	v_add3_u32 v7, v9, v7, s4
; %bb.343:
	s_or_saveexec_b64 s[2:3], s[2:3]
	v_lshl_add_u64 v[10:11], s[0:1], 0, v[0:1]
	s_xor_b64 exec, exec, s[2:3]
; %bb.344:
	v_mov_b32_e32 v0, 0
	v_or_b32_e32 v1, 0x10000, v9
	v_cmp_eq_u32_sdwa vcc, v9, v0 src0_sel:WORD_0 src1_sel:DWORD
	s_nop 1
	v_cndmask_b32_e32 v7, v1, v9, vcc
; %bb.345:
	s_or_b64 exec, exec, s[2:3]
	s_mov_b32 s0, 0x7f800000
	v_and_b32_e32 v0, 0x7f800000, v4
	v_cmp_ne_u32_e32 vcc, s0, v0
	global_store_short_d16_hi v[10:11], v7, off offset:32
                                        ; implicit-def: $vgpr0
	s_and_saveexec_b64 s[0:1], vcc
	s_xor_b64 s[0:1], exec, s[0:1]
; %bb.346:
	v_bfe_u32 v0, v4, 16, 1
	s_movk_i32 s2, 0x7fff
	v_add3_u32 v0, v4, v0, s2
; %bb.347:
	s_andn2_saveexec_b64 s[0:1], s[0:1]
; %bb.348:
	v_mov_b32_e32 v0, 0
	v_or_b32_e32 v1, 0x10000, v4
	v_cmp_eq_u32_sdwa vcc, v4, v0 src0_sel:WORD_0 src1_sel:DWORD
	s_nop 1
	v_cndmask_b32_e32 v0, v1, v4, vcc
; %bb.349:
	s_or_b64 exec, exec, s[0:1]
	global_store_short_d16_hi v[10:11], v0, off offset:64
	s_mov_b32 s0, 0x7f800000
	v_and_b32_e32 v0, 0x7f800000, v5
	v_cmp_ne_u32_e32 vcc, s0, v0
                                        ; implicit-def: $vgpr0
	s_and_saveexec_b64 s[0:1], vcc
	s_xor_b64 s[0:1], exec, s[0:1]
; %bb.350:
	v_bfe_u32 v0, v5, 16, 1
	s_movk_i32 s2, 0x7fff
	v_add3_u32 v0, v5, v0, s2
; %bb.351:
	s_andn2_saveexec_b64 s[0:1], s[0:1]
; %bb.352:
	v_mov_b32_e32 v0, 0
	v_or_b32_e32 v1, 0x10000, v5
	v_cmp_eq_u32_sdwa vcc, v5, v0 src0_sel:WORD_0 src1_sel:DWORD
	s_nop 1
	v_cndmask_b32_e32 v0, v1, v5, vcc
; %bb.353:
	s_or_b64 exec, exec, s[0:1]
	global_store_short_d16_hi v[10:11], v0, off offset:96
	s_mov_b32 s0, 0x7f800000
	v_and_b32_e32 v0, 0x7f800000, v2
	v_cmp_ne_u32_e32 vcc, s0, v0
	;; [unrolled: 21-line block ×4, first 2 shown]
                                        ; implicit-def: $vgpr7
	s_and_saveexec_b64 s[0:1], vcc
	s_xor_b64 s[0:1], exec, s[0:1]
; %bb.362:
	v_bfe_u32 v0, v6, 16, 1
	s_movk_i32 s2, 0x7fff
	v_add3_u32 v7, v6, v0, s2
                                        ; implicit-def: $vgpr0_vgpr1_vgpr2_vgpr3_vgpr4_vgpr5_vgpr6
; %bb.363:
	s_andn2_saveexec_b64 s[0:1], s[0:1]
; %bb.364:
	v_mov_b32_e32 v0, 0
	v_or_b32_e32 v1, 0x10000, v6
	v_cmp_eq_u32_sdwa vcc, v6, v0 src0_sel:WORD_0 src1_sel:DWORD
	s_nop 1
	v_cndmask_b32_e32 v7, v1, v6, vcc
; %bb.365:
	s_or_b64 exec, exec, s[0:1]
	global_store_short_d16_hi v[10:11], v7, off offset:192
.LBB175_366:
	s_endpgm
.LBB175_367:
	v_mov_b32_e32 v7, 0xf0
	v_lshl_add_u32 v7, v1, 2, v7
	ds_read_b32 v7, v7
	s_waitcnt lgkmcnt(0)
	v_add_f32_e32 v8, v8, v7
	s_or_b64 exec, exec, s[6:7]
	s_and_saveexec_b64 s[6:7], s[0:1]
	s_cbranch_execz .LBB175_328
.LBB175_368:
	v_mov_b32_e32 v7, 0xf0
	v_lshl_add_u32 v7, v1, 2, v7
	ds_read_b32 v7, v7 offset:64
	s_waitcnt lgkmcnt(0)
	v_add_f32_e32 v9, v9, v7
	s_or_b64 exec, exec, s[6:7]
	s_and_saveexec_b64 s[6:7], s[0:1]
	s_cbranch_execz .LBB175_329
.LBB175_369:
	v_mov_b32_e32 v7, 0xf0
	v_lshl_add_u32 v7, v1, 2, v7
	ds_read_b32 v7, v7 offset:128
	s_waitcnt lgkmcnt(0)
	v_add_f32_e32 v4, v4, v7
	s_or_b64 exec, exec, s[6:7]
	s_and_saveexec_b64 s[6:7], s[0:1]
	s_cbranch_execz .LBB175_330
.LBB175_370:
	v_mov_b32_e32 v7, 0xf0
	v_lshl_add_u32 v7, v1, 2, v7
	ds_read_b32 v7, v7 offset:192
	s_waitcnt lgkmcnt(0)
	v_add_f32_e32 v5, v5, v7
	s_or_b64 exec, exec, s[6:7]
	s_and_saveexec_b64 s[6:7], s[0:1]
	s_cbranch_execz .LBB175_331
.LBB175_371:
	v_mov_b32_e32 v7, 0xf0
	v_lshl_add_u32 v7, v1, 2, v7
	ds_read_b32 v7, v7 offset:256
	s_waitcnt lgkmcnt(0)
	v_add_f32_e32 v2, v2, v7
	s_or_b64 exec, exec, s[6:7]
	s_and_saveexec_b64 s[6:7], s[0:1]
	s_cbranch_execz .LBB175_332
.LBB175_372:
	v_mov_b32_e32 v7, 0xf0
	v_lshl_add_u32 v7, v1, 2, v7
	ds_read_b32 v7, v7 offset:320
	s_waitcnt lgkmcnt(0)
	v_add_f32_e32 v3, v3, v7
	s_or_b64 exec, exec, s[6:7]
	s_and_saveexec_b64 s[6:7], s[0:1]
	s_cbranch_execnz .LBB175_333
	s_branch .LBB175_334
	.section	.rodata,"a",@progbits
	.p2align	6, 0x0
	.amdhsa_kernel _ZN4vllm25paged_attention_v2_kernelI14__hip_bfloat16S1_Li112ELi32ELi128ELNS_18Fp8KVCacheDataTypeE0ELb1ELi512EEEvPfS3_PT_PKS4_PKT0_SA_ifPKiSC_iPKfiiiSE_SE_iiiii
		.amdhsa_group_segment_fixed_size 240
		.amdhsa_private_segment_fixed_size 0
		.amdhsa_kernarg_size 400
		.amdhsa_user_sgpr_count 2
		.amdhsa_user_sgpr_dispatch_ptr 0
		.amdhsa_user_sgpr_queue_ptr 0
		.amdhsa_user_sgpr_kernarg_segment_ptr 1
		.amdhsa_user_sgpr_dispatch_id 0
		.amdhsa_user_sgpr_kernarg_preload_length 0
		.amdhsa_user_sgpr_kernarg_preload_offset 0
		.amdhsa_user_sgpr_private_segment_size 0
		.amdhsa_uses_dynamic_stack 0
		.amdhsa_enable_private_segment 0
		.amdhsa_system_sgpr_workgroup_id_x 1
		.amdhsa_system_sgpr_workgroup_id_y 1
		.amdhsa_system_sgpr_workgroup_id_z 1
		.amdhsa_system_sgpr_workgroup_info 0
		.amdhsa_system_vgpr_workitem_id 0
		.amdhsa_next_free_vgpr 109
		.amdhsa_next_free_sgpr 53
		.amdhsa_accum_offset 112
		.amdhsa_reserve_vcc 1
		.amdhsa_float_round_mode_32 0
		.amdhsa_float_round_mode_16_64 0
		.amdhsa_float_denorm_mode_32 3
		.amdhsa_float_denorm_mode_16_64 3
		.amdhsa_dx10_clamp 1
		.amdhsa_ieee_mode 1
		.amdhsa_fp16_overflow 0
		.amdhsa_tg_split 0
		.amdhsa_exception_fp_ieee_invalid_op 0
		.amdhsa_exception_fp_denorm_src 0
		.amdhsa_exception_fp_ieee_div_zero 0
		.amdhsa_exception_fp_ieee_overflow 0
		.amdhsa_exception_fp_ieee_underflow 0
		.amdhsa_exception_fp_ieee_inexact 0
		.amdhsa_exception_int_div_zero 0
	.end_amdhsa_kernel
	.section	.text._ZN4vllm25paged_attention_v2_kernelI14__hip_bfloat16S1_Li112ELi32ELi128ELNS_18Fp8KVCacheDataTypeE0ELb1ELi512EEEvPfS3_PT_PKS4_PKT0_SA_ifPKiSC_iPKfiiiSE_SE_iiiii,"axG",@progbits,_ZN4vllm25paged_attention_v2_kernelI14__hip_bfloat16S1_Li112ELi32ELi128ELNS_18Fp8KVCacheDataTypeE0ELb1ELi512EEEvPfS3_PT_PKS4_PKT0_SA_ifPKiSC_iPKfiiiSE_SE_iiiii,comdat
.Lfunc_end175:
	.size	_ZN4vllm25paged_attention_v2_kernelI14__hip_bfloat16S1_Li112ELi32ELi128ELNS_18Fp8KVCacheDataTypeE0ELb1ELi512EEEvPfS3_PT_PKS4_PKT0_SA_ifPKiSC_iPKfiiiSE_SE_iiiii, .Lfunc_end175-_ZN4vllm25paged_attention_v2_kernelI14__hip_bfloat16S1_Li112ELi32ELi128ELNS_18Fp8KVCacheDataTypeE0ELb1ELi512EEEvPfS3_PT_PKS4_PKT0_SA_ifPKiSC_iPKfiiiSE_SE_iiiii
                                        ; -- End function
	.section	.AMDGPU.csdata,"",@progbits
; Kernel info:
; codeLenInByte = 13548
; NumSgprs: 59
; NumVgprs: 109
; NumAgprs: 0
; TotalNumVgprs: 109
; ScratchSize: 0
; MemoryBound: 0
; FloatMode: 240
; IeeeMode: 1
; LDSByteSize: 240 bytes/workgroup (compile time only)
; SGPRBlocks: 7
; VGPRBlocks: 13
; NumSGPRsForWavesPerEU: 59
; NumVGPRsForWavesPerEU: 109
; AccumOffset: 112
; Occupancy: 4
; WaveLimiterHint : 1
; COMPUTE_PGM_RSRC2:SCRATCH_EN: 0
; COMPUTE_PGM_RSRC2:USER_SGPR: 2
; COMPUTE_PGM_RSRC2:TRAP_HANDLER: 0
; COMPUTE_PGM_RSRC2:TGID_X_EN: 1
; COMPUTE_PGM_RSRC2:TGID_Y_EN: 1
; COMPUTE_PGM_RSRC2:TGID_Z_EN: 1
; COMPUTE_PGM_RSRC2:TIDIG_COMP_CNT: 0
; COMPUTE_PGM_RSRC3_GFX90A:ACCUM_OFFSET: 27
; COMPUTE_PGM_RSRC3_GFX90A:TG_SPLIT: 0
	.section	.text._ZN4vllm25paged_attention_v2_kernelI14__hip_bfloat16S1_Li120ELi32ELi128ELNS_18Fp8KVCacheDataTypeE0ELb1ELi512EEEvPfS3_PT_PKS4_PKT0_SA_ifPKiSC_iPKfiiiSE_SE_iiiii,"axG",@progbits,_ZN4vllm25paged_attention_v2_kernelI14__hip_bfloat16S1_Li120ELi32ELi128ELNS_18Fp8KVCacheDataTypeE0ELb1ELi512EEEvPfS3_PT_PKS4_PKT0_SA_ifPKiSC_iPKfiiiSE_SE_iiiii,comdat
	.protected	_ZN4vllm25paged_attention_v2_kernelI14__hip_bfloat16S1_Li120ELi32ELi128ELNS_18Fp8KVCacheDataTypeE0ELb1ELi512EEEvPfS3_PT_PKS4_PKT0_SA_ifPKiSC_iPKfiiiSE_SE_iiiii ; -- Begin function _ZN4vllm25paged_attention_v2_kernelI14__hip_bfloat16S1_Li120ELi32ELi128ELNS_18Fp8KVCacheDataTypeE0ELb1ELi512EEEvPfS3_PT_PKS4_PKT0_SA_ifPKiSC_iPKfiiiSE_SE_iiiii
	.globl	_ZN4vllm25paged_attention_v2_kernelI14__hip_bfloat16S1_Li120ELi32ELi128ELNS_18Fp8KVCacheDataTypeE0ELb1ELi512EEEvPfS3_PT_PKS4_PKT0_SA_ifPKiSC_iPKfiiiSE_SE_iiiii
	.p2align	8
	.type	_ZN4vllm25paged_attention_v2_kernelI14__hip_bfloat16S1_Li120ELi32ELi128ELNS_18Fp8KVCacheDataTypeE0ELb1ELi512EEEvPfS3_PT_PKS4_PKT0_SA_ifPKiSC_iPKfiiiSE_SE_iiiii,@function
_ZN4vllm25paged_attention_v2_kernelI14__hip_bfloat16S1_Li120ELi32ELi128ELNS_18Fp8KVCacheDataTypeE0ELb1ELi512EEEvPfS3_PT_PKS4_PKT0_SA_ifPKiSC_iPKfiiiSE_SE_iiiii: ; @_ZN4vllm25paged_attention_v2_kernelI14__hip_bfloat16S1_Li120ELi32ELi128ELNS_18Fp8KVCacheDataTypeE0ELb1ELi512EEEvPfS3_PT_PKS4_PKT0_SA_ifPKiSC_iPKfiiiSE_SE_iiiii
; %bb.0:
	s_load_dwordx2 s[6:7], s[0:1], 0x40
	s_mov_b32 s28, s3
	s_ashr_i32 s29, s3, 31
	s_lshl_b64 s[8:9], s[28:29], 2
	s_waitcnt lgkmcnt(0)
	s_add_u32 s6, s6, s8
	s_addc_u32 s7, s7, s9
	s_load_dword s29, s[6:7], 0x0
	s_lshl_b32 s49, s4, 9
	s_waitcnt lgkmcnt(0)
	s_cmp_ge_i32 s49, s29
	s_cbranch_scc1 .LBB176_413
; %bb.1:
	s_load_dword s5, s[0:1], 0x90
	s_load_dwordx2 s[38:39], s[0:1], 0x30
	s_mov_b32 s50, 0
	s_waitcnt lgkmcnt(0)
	s_abs_i32 s7, s5
	s_abs_i32 s3, s38
	v_cvt_f32_u32_e32 v1, s3
	s_sub_i32 s8, 0, s3
	s_xor_b32 s6, s5, s38
	s_ashr_i32 s6, s6, 31
	v_rcp_iflag_f32_e32 v1, v1
	s_nop 0
	v_mul_f32_e32 v1, 0x4f7ffffe, v1
	v_cvt_u32_f32_e32 v1, v1
	s_nop 0
	v_readfirstlane_b32 s9, v1
	s_mul_i32 s8, s8, s9
	s_mul_hi_u32 s8, s9, s8
	s_add_i32 s9, s9, s8
	s_mul_hi_u32 s8, s7, s9
	s_mul_i32 s9, s8, s3
	s_sub_i32 s7, s7, s9
	s_add_i32 s10, s8, 1
	s_sub_i32 s9, s7, s3
	s_cmp_ge_u32 s7, s3
	s_cselect_b32 s8, s10, s8
	s_cselect_b32 s7, s9, s7
	s_add_i32 s9, s8, 1
	s_cmp_ge_u32 s7, s3
	s_cselect_b32 s3, s9, s8
	s_xor_b32 s3, s3, s6
	s_sub_i32 s11, s3, s6
	s_abs_i32 s8, s11
	v_cvt_f32_u32_e32 v1, s8
	s_load_dwordx2 s[6:7], s[0:1], 0x50
	s_sub_i32 s3, 0, s8
	s_abs_i32 s9, s2
	v_rcp_iflag_f32_e32 v1, v1
	s_nop 0
	v_mul_f32_e32 v1, 0x4f7ffffe, v1
	v_cvt_u32_f32_e32 v1, v1
	s_nop 0
	v_readfirstlane_b32 s10, v1
	s_mul_i32 s3, s3, s10
	s_mul_hi_u32 s3, s10, s3
	s_add_i32 s10, s10, s3
	s_waitcnt lgkmcnt(0)
	s_cmp_eq_u64 s[6:7], 0
	s_mul_hi_u32 s10, s9, s10
	s_cbranch_scc1 .LBB176_3
; %bb.2:
	s_ashr_i32 s3, s2, 31
	s_lshl_b64 s[12:13], s[2:3], 2
	s_add_u32 s6, s6, s12
	s_addc_u32 s7, s7, s13
	s_load_dword s50, s[6:7], 0x0
.LBB176_3:
	s_load_dwordx4 s[12:15], s[0:1], 0x58
	s_ashr_i32 s3, s2, 31
	s_ashr_i32 s11, s11, 31
	v_and_b32_e32 v2, 1, v0
	s_waitcnt lgkmcnt(0)
	s_movk_i32 s15, 0x78
	s_mul_i32 s24, s2, 0x78
	v_cmp_gt_u32_e32 vcc, 30, v0
	v_lshlrev_b32_e32 v36, 3, v0
	s_and_saveexec_b64 s[6:7], vcc
	s_cbranch_execz .LBB176_5
; %bb.4:
	s_load_dwordx2 s[16:17], s[0:1], 0x18
	s_mul_i32 s18, s28, s12
	s_ashr_i32 s19, s18, 31
	s_lshl_b64 s[18:19], s[18:19], 1
	v_lshlrev_b32_e32 v1, 2, v0
	s_waitcnt lgkmcnt(0)
	s_add_u32 s12, s16, s18
	s_addc_u32 s18, s17, s19
	s_ashr_i32 s25, s24, 31
	s_lshl_b64 s[16:17], s[24:25], 1
	s_add_u32 s16, s12, s16
	s_addc_u32 s17, s18, s17
	global_load_dwordx2 v[4:5], v36, s[16:17]
	v_and_b32_e32 v1, 0xff8, v1
	v_mad_u32_u24 v1, v2, s15, v1
	s_waitcnt vmcnt(0)
	ds_write_b64 v1, v[4:5]
.LBB176_5:
	s_or_b64 exec, exec, s[6:7]
	s_mul_i32 s6, s10, s8
	s_sub_i32 s6, s9, s6
	s_xor_b32 s3, s3, s11
	s_add_i32 s7, s10, 1
	s_sub_i32 s9, s6, s8
	s_load_dwordx4 s[16:19], s[0:1], 0x78
	s_cmp_ge_u32 s6, s8
	s_cselect_b32 s7, s7, s10
	s_cselect_b32 s6, s9, s6
	s_add_i32 s9, s7, 1
	s_cmp_ge_u32 s6, s8
	s_cselect_b32 s6, s9, s7
	s_load_dword s9, s[0:1], 0x88
	s_waitcnt lgkmcnt(0)
	s_abs_i32 s25, s19
	v_cvt_f32_u32_e32 v1, s25
	s_xor_b32 s6, s6, s3
	s_sub_i32 s10, s6, s3
	s_sub_i32 s6, 0, s25
	v_rcp_iflag_f32_e32 v1, v1
	s_add_i32 s11, s29, -1
	s_abs_i32 s3, s11
	v_mul_f32_e32 v1, 0x4f7ffffe, v1
	v_cvt_u32_f32_e32 v1, v1
	s_barrier
	v_readfirstlane_b32 s33, v1
	s_mul_i32 s6, s6, s33
	s_mul_hi_u32 s6, s33, s6
	s_add_i32 s33, s33, s6
	s_cmp_lt_i32 s9, 0
	s_mul_hi_u32 s8, s3, s33
	s_cbranch_scc0 .LBB176_7
; %bb.6:
	s_mul_i32 s6, s16, s38
	s_add_i32 s6, s10, s6
	s_mul_i32 s6, s6, s9
	s_sub_i32 s46, 1, s6
	s_mov_b64 s[6:7], 0
	s_branch .LBB176_8
.LBB176_7:
	s_mov_b64 s[6:7], -1
                                        ; implicit-def: $sgpr46
.LBB176_8:
	s_load_dwordx2 s[30:31], s[0:1], 0x38
	s_ashr_i32 s11, s11, 31
	s_andn2_b64 vcc, exec, s[6:7]
	s_ashr_i32 s47, s19, 31
	s_cbranch_vccnz .LBB176_10
; %bb.9:
	s_mul_i32 s6, s5, s16
	s_add_i32 s6, s6, s2
	s_mul_i32 s6, s6, s9
	s_add_i32 s46, s6, 1
.LBB176_10:
	s_load_dword s6, s[0:1], 0x48
	s_load_dwordx2 s[36:37], s[0:1], 0x28
	s_load_dword s19, s[0:1], 0x98
	s_load_dwordx4 s[20:23], s[0:1], 0x0
	s_load_dwordx2 s[26:27], s[0:1], 0x10
	s_mul_i32 s7, s8, s25
	s_waitcnt lgkmcnt(0)
	s_mul_i32 s34, s28, s6
	s_sub_i32 s3, s3, s7
	s_ashr_i32 s35, s34, 31
	s_xor_b32 s6, s11, s47
	s_add_i32 s7, s8, 1
	s_sub_i32 s9, s3, s25
	s_cmp_ge_u32 s3, s25
	s_cselect_b32 s7, s7, s8
	s_cselect_b32 s3, s9, s3
	s_add_i32 s8, s7, 1
	s_cmp_ge_u32 s3, s25
	s_cselect_b32 s3, s8, s7
	s_xor_b32 s3, s3, s6
	s_sub_i32 s12, s3, s6
	s_add_i32 s3, s29, 31
	s_ashr_i32 s6, s3, 31
	s_lshr_b32 s6, s6, 27
	s_add_i32 s3, s3, s6
	s_lshl_b32 s16, s4, 4
	s_ashr_i32 s3, s3, 5
	s_add_i32 s6, s16, 16
	v_lshrrev_b32_e32 v38, 6, v0
	s_min_i32 s48, s6, s3
	v_or_b32_e32 v10, s16, v38
	v_cmp_gt_i32_e64 s[8:9], s48, v10
	v_mov_b32_e32 v35, 0xff7fffff
	s_mul_i32 s14, s10, s14
	v_ashrrev_i32_e32 v11, 31, v10
	v_lshl_add_u32 v1, v38, 5, s49
	v_mbcnt_lo_u32_b32 v32, -1, 0
	s_and_saveexec_b64 s[40:41], s[8:9]
	s_cbranch_execz .LBB176_20
; %bb.11:
	s_load_dwordx2 s[0:1], s[0:1], 0x20
	s_ashr_i32 s15, s14, 31
	s_sub_i32 s38, s12, s17
	s_lshl_b64 s[6:7], s[14:15], 1
	v_bfe_u32 v33, v0, 1, 5
	s_waitcnt lgkmcnt(0)
	s_add_u32 s0, s0, s6
	s_addc_u32 s1, s1, s7
	s_abs_i32 s15, s18
	v_cvt_f32_u32_e32 v3, s15
	v_lshlrev_b32_e32 v4, 4, v33
	v_mov_b32_e32 v5, 0
	v_lshl_add_u64 v[6:7], s[0:1], 0, v[4:5]
	v_rcp_iflag_f32_e32 v3, v3
	s_sub_i32 s0, 0, s15
	v_cmp_eq_u32_e32 vcc, 0, v2
	v_mul_u32_u24_e32 v34, 0x78, v2
	v_mul_f32_e32 v3, 0x4f7ffffe, v3
	v_cvt_u32_f32_e32 v3, v3
	v_mbcnt_hi_u32_b32 v43, -1, v32
	v_and_b32_e32 v4, 8, v36
	s_mov_b32 s51, s13
	v_mul_lo_u32 v2, s0, v3
	v_mul_hi_u32 v2, v3, v2
	v_add_u32_e32 v37, v3, v2
	v_lshlrev_b32_e32 v2, 2, v33
	s_lshl_b64 s[0:1], s[34:35], 2
	v_lshl_or_b32 v2, v38, 7, v2
	s_add_u32 s0, s30, s0
	v_add_u32_e32 v40, 0x100, v2
	v_subrev_u32_e32 v2, s29, v33
	s_addc_u32 s1, s31, s1
	v_add_u32_e32 v41, 1, v2
	v_and_b32_e32 v2, 64, v43
	v_lshl_add_u64 v[6:7], v[6:7], 0, v[4:5]
	v_cmp_neq_f32_e64 s[6:7], s50, 0
	v_lshl_add_u64 v[8:9], v[10:11], 2, s[0:1]
	v_lshl_add_u32 v39, v38, 5, s49
	s_mov_b64 s[42:43], 0
	v_mov_b32_e32 v42, 0xff7fffff
	s_movk_i32 s52, 0x1000
	v_xor_b32_e32 v44, 1, v43
	v_add_u32_e32 v45, 64, v2
	v_mov_b32_e32 v35, 0xff7fffff
	v_mov_b32_e32 v46, v10
	s_branch .LBB176_14
.LBB176_12:                             ;   in Loop: Header=BB176_14 Depth=1
	s_or_b64 exec, exec, s[44:45]
.LBB176_13:                             ;   in Loop: Header=BB176_14 Depth=1
	s_or_b64 exec, exec, s[10:11]
	v_add_u32_e32 v46, 2, v46
	v_cmp_le_i32_e64 s[0:1], s48, v46
	v_lshl_add_u64 v[8:9], v[8:9], 0, 8
	v_add_u32_e32 v39, 64, v39
	s_or_b64 s[42:43], s[0:1], s[42:43]
	v_add_u32_e32 v40, 0x100, v40
	s_andn2_b64 exec, exec, s[42:43]
	s_cbranch_execz .LBB176_19
.LBB176_14:                             ; =>This Inner Loop Header: Depth=1
	s_waitcnt lgkmcnt(0)
	v_sub_u32_e32 v3, 0, v39
	v_max_i32_e32 v3, v39, v3
	v_mul_hi_u32 v4, v3, s33
	v_mul_lo_u32 v5, v4, s25
	v_sub_u32_e32 v3, v3, v5
	v_add_u32_e32 v5, 1, v4
	v_cmp_le_u32_e64 s[0:1], s25, v3
	v_ashrrev_i32_e32 v2, 31, v39
	v_xor_b32_e32 v2, s47, v2
	v_cndmask_b32_e64 v4, v4, v5, s[0:1]
	v_subrev_u32_e32 v5, s25, v3
	v_cndmask_b32_e64 v3, v3, v5, s[0:1]
	v_add_u32_e32 v5, 1, v4
	v_cmp_le_u32_e64 s[0:1], s25, v3
	s_nop 1
	v_cndmask_b32_e64 v3, v4, v5, s[0:1]
	v_xor_b32_e32 v3, v3, v2
	v_sub_u32_e32 v2, v3, v2
	v_add_u32_e32 v3, s46, v2
	v_sub_u32_e32 v5, 0, v3
	v_ashrrev_i32_e32 v4, 31, v3
	v_max_i32_e32 v3, v3, v5
	v_mul_hi_u32 v5, v3, v37
	v_mul_lo_u32 v5, v5, s15
	v_sub_u32_e32 v3, v3, v5
	v_subrev_u32_e32 v5, s15, v3
	v_cmp_le_u32_e64 s[0:1], s15, v3
	v_cmp_ge_i32_e64 s[10:11], s38, v2
	s_nop 0
	v_cndmask_b32_e64 v3, v3, v5, s[0:1]
	v_subrev_u32_e32 v5, s15, v3
	v_cmp_le_u32_e64 s[0:1], s15, v3
	s_nop 1
	v_cndmask_b32_e64 v3, v3, v5, s[0:1]
	v_xor_b32_e32 v3, v3, v4
	v_sub_u32_e32 v3, v3, v4
	v_cmp_ne_u32_e64 s[0:1], 0, v3
	s_and_b64 s[0:1], s[0:1], s[10:11]
	s_and_b64 s[44:45], vcc, s[0:1]
	s_and_saveexec_b64 s[10:11], s[44:45]
	s_cbranch_execz .LBB176_16
; %bb.15:                               ;   in Loop: Header=BB176_14 Depth=1
	ds_write_b32 v40, v42
.LBB176_16:                             ;   in Loop: Header=BB176_14 Depth=1
	s_or_b64 exec, exec, s[10:11]
	s_xor_b64 s[0:1], s[0:1], -1
	s_and_saveexec_b64 s[10:11], s[0:1]
	s_cbranch_execz .LBB176_13
; %bb.17:                               ;   in Loop: Header=BB176_14 Depth=1
	global_load_dword v67, v[8:9], off
	ds_read2_b64 v[12:15], v34 offset1:1
	ds_read2_b64 v[16:19], v34 offset0:2 offset1:3
	ds_read2_b64 v[20:23], v34 offset0:4 offset1:5
	;; [unrolled: 1-line block ×5, first 2 shown]
	s_waitcnt lgkmcnt(5)
	v_lshlrev_b32_e32 v68, 16, v12
	v_lshlrev_b32_e32 v70, 16, v13
	v_and_b32_e32 v85, 0xffff0000, v12
	v_and_b32_e32 v86, 0xffff0000, v13
	v_lshlrev_b32_e32 v69, 16, v14
	v_lshlrev_b32_e32 v73, 16, v15
	s_waitcnt lgkmcnt(4)
	v_lshlrev_b32_e32 v78, 16, v16
	v_lshlrev_b32_e32 v79, 16, v17
	;; [unrolled: 1-line block ×4, first 2 shown]
	v_and_b32_e32 v87, 0xffff0000, v14
	v_and_b32_e32 v88, 0xffff0000, v15
	;; [unrolled: 1-line block ×6, first 2 shown]
	s_waitcnt lgkmcnt(3)
	v_lshlrev_b32_e32 v82, 16, v20
	v_and_b32_e32 v93, 0xffff0000, v20
	v_lshlrev_b32_e32 v83, 16, v21
	v_and_b32_e32 v94, 0xffff0000, v21
	v_lshlrev_b32_e32 v84, 16, v22
	s_waitcnt lgkmcnt(2)
	v_lshlrev_b32_e32 v2, 16, v24
	v_lshlrev_b32_e32 v72, 16, v25
	s_waitcnt lgkmcnt(1)
	v_lshlrev_b32_e32 v52, 16, v30
	v_lshlrev_b32_e32 v51, 16, v31
	v_and_b32_e32 v95, 0xffff0000, v22
	v_and_b32_e32 v4, 0xffff0000, v24
	v_and_b32_e32 v71, 0xffff0000, v25
	v_and_b32_e32 v60, 0xffff0000, v30
	v_and_b32_e32 v59, 0xffff0000, v31
	v_lshlrev_b32_e32 v64, 16, v26
	v_lshlrev_b32_e32 v54, 16, v28
	;; [unrolled: 1-line block ×3, first 2 shown]
	v_and_b32_e32 v66, 0xffff0000, v26
	v_and_b32_e32 v62, 0xffff0000, v28
	;; [unrolled: 1-line block ×3, first 2 shown]
	v_lshlrev_b32_e32 v63, 16, v27
	v_and_b32_e32 v65, 0xffff0000, v27
	v_lshlrev_b32_e32 v3, 16, v23
	v_and_b32_e32 v5, 0xffff0000, v23
	s_waitcnt lgkmcnt(0)
	v_lshlrev_b32_e32 v50, 16, v74
	v_and_b32_e32 v58, 0xffff0000, v74
	v_lshlrev_b32_e32 v49, 16, v75
	v_and_b32_e32 v56, 0xffff0000, v76
	;; [unrolled: 2-line block ×4, first 2 shown]
	s_waitcnt vmcnt(0)
	v_mad_i64_i32 v[12:13], s[0:1], v67, s51, 0
	v_lshl_add_u64 v[12:13], v[12:13], 1, v[6:7]
	global_load_dwordx2 v[14:15], v[12:13], off offset:512
	global_load_dwordx2 v[16:17], v[12:13], off offset:1024
	global_load_dwordx2 v[18:19], v[12:13], off offset:1536
	v_add_co_u32_e64 v26, s[0:1], s52, v12
	global_load_dwordx2 v[30:31], v[12:13], off offset:2560
	global_load_dwordx2 v[24:25], v[12:13], off offset:3584
	v_addc_co_u32_e64 v27, s[0:1], 0, v13, s[0:1]
	v_cmp_lt_i32_e64 s[0:1], v44, v45
	global_load_dwordx2 v[28:29], v[12:13], off offset:3072
	s_waitcnt vmcnt(5)
	v_lshlrev_b32_e32 v20, 16, v14
	v_mul_f32_e32 v67, v69, v20
	global_load_dwordx2 v[20:21], v[12:13], off
	v_and_b32_e32 v14, 0xffff0000, v14
	s_waitcnt vmcnt(0)
	v_lshlrev_b32_e32 v22, 16, v20
	v_fmac_f32_e32 v67, v68, v22
	v_mul_f32_e32 v68, v87, v14
	v_and_b32_e32 v14, 0xffff0000, v20
	v_fmac_f32_e32 v68, v85, v14
	v_lshlrev_b32_e32 v14, 16, v15
	v_mul_f32_e32 v69, v73, v14
	v_lshlrev_b32_e32 v14, 16, v21
	v_and_b32_e32 v15, 0xffff0000, v15
	v_fmac_f32_e32 v69, v70, v14
	v_and_b32_e32 v14, 0xffff0000, v21
	v_mul_f32_e32 v70, v88, v15
	v_fmac_f32_e32 v70, v86, v14
	v_lshlrev_b32_e32 v14, 16, v16
	v_and_b32_e32 v15, 0xffff0000, v16
	v_fmac_f32_e32 v67, v78, v14
	v_fmac_f32_e32 v68, v89, v15
	global_load_dwordx2 v[14:15], v[12:13], off offset:2048
	v_lshlrev_b32_e32 v16, 16, v17
	v_and_b32_e32 v17, 0xffff0000, v17
	v_lshlrev_b32_e32 v20, 16, v18
	v_lshlrev_b32_e32 v21, 16, v19
	v_fmac_f32_e32 v69, v79, v16
	global_load_dwordx2 v[22:23], v[26:27], off
	v_and_b32_e32 v18, 0xffff0000, v18
	v_and_b32_e32 v19, 0xffff0000, v19
	v_fmac_f32_e32 v70, v90, v17
	v_fmac_f32_e32 v67, v80, v20
	;; [unrolled: 1-line block ×3, first 2 shown]
	global_load_dwordx2 v[20:21], v[26:27], off offset:512
	v_fmac_f32_e32 v68, v91, v18
	v_fmac_f32_e32 v70, v92, v19
	global_load_dwordx2 v[18:19], v[26:27], off offset:1024
	global_load_dwordx2 v[16:17], v[26:27], off offset:1536
	v_lshlrev_b32_e32 v74, 16, v28
	s_waitcnt vmcnt(4)
	v_lshlrev_b32_e32 v12, 16, v14
	v_and_b32_e32 v13, 0xffff0000, v14
	v_lshlrev_b32_e32 v14, 16, v15
	v_and_b32_e32 v73, 0xffff0000, v15
	v_fmac_f32_e32 v69, v83, v14
	global_load_dwordx2 v[14:15], v[26:27], off offset:2048
	v_fmac_f32_e32 v67, v82, v12
	v_lshlrev_b32_e32 v12, 16, v30
	v_fmac_f32_e32 v68, v93, v13
	v_fmac_f32_e32 v67, v84, v12
	global_load_dwordx2 v[12:13], v[26:27], off offset:2560
	v_and_b32_e32 v30, 0xffff0000, v30
	global_load_dwordx2 v[26:27], v[26:27], off offset:3072
	v_fmac_f32_e32 v70, v94, v73
	v_fmac_f32_e32 v68, v95, v30
	v_cndmask_b32_e64 v73, v43, v44, s[0:1]
	v_lshlrev_b32_e32 v30, 16, v31
	v_and_b32_e32 v31, 0xffff0000, v31
	v_fmac_f32_e32 v69, v3, v30
	v_and_b32_e32 v3, 0xffff0000, v28
	v_fmac_f32_e32 v70, v5, v31
	v_lshlrev_b32_e32 v28, 2, v73
	v_lshlrev_b32_e32 v73, 16, v29
	v_and_b32_e32 v29, 0xffff0000, v29
	v_fmac_f32_e32 v67, v2, v74
	v_fmac_f32_e32 v68, v4, v3
	;; [unrolled: 1-line block ×3, first 2 shown]
	v_lshlrev_b32_e32 v29, 16, v24
	v_and_b32_e32 v24, 0xffff0000, v24
	v_fmac_f32_e32 v69, v72, v73
	v_fmac_f32_e32 v67, v64, v29
	v_lshlrev_b32_e32 v29, 16, v25
	s_waitcnt vmcnt(6)
	v_lshlrev_b32_e32 v64, 16, v22
	v_fmac_f32_e32 v68, v66, v24
	v_and_b32_e32 v22, 0xffff0000, v22
	ds_read2_b64 v[2:5], v34 offset0:12 offset1:13
	ds_read_b64 v[30:31], v34 offset:112
	v_and_b32_e32 v25, 0xffff0000, v25
	v_lshlrev_b32_e32 v24, 16, v23
	s_waitcnt vmcnt(5)
	v_lshlrev_b32_e32 v66, 16, v20
	v_fmac_f32_e32 v69, v63, v29
	v_and_b32_e32 v20, 0xffff0000, v20
	v_fmac_f32_e32 v68, v62, v22
	v_and_b32_e32 v23, 0xffff0000, v23
	v_lshlrev_b32_e32 v29, 16, v21
	s_waitcnt vmcnt(4)
	v_lshlrev_b32_e32 v63, 16, v18
	v_fmac_f32_e32 v70, v65, v25
	v_and_b32_e32 v18, 0xffff0000, v18
	v_fmac_f32_e32 v69, v53, v24
	v_fmac_f32_e32 v68, v60, v20
	v_and_b32_e32 v21, 0xffff0000, v21
	v_lshlrev_b32_e32 v25, 16, v19
	v_fmac_f32_e32 v67, v54, v64
	v_fmac_f32_e32 v70, v61, v23
	;; [unrolled: 1-line block ×4, first 2 shown]
	s_waitcnt vmcnt(3)
	v_lshlrev_b32_e32 v18, 16, v16
	v_and_b32_e32 v16, 0xffff0000, v16
	v_and_b32_e32 v19, 0xffff0000, v19
	v_fmac_f32_e32 v67, v52, v66
	v_fmac_f32_e32 v70, v59, v21
	;; [unrolled: 1-line block ×4, first 2 shown]
	v_lshlrev_b32_e32 v16, 16, v17
	s_waitcnt lgkmcnt(1)
	v_lshlrev_b32_e32 v72, 16, v2
	v_and_b32_e32 v2, 0xffff0000, v2
	v_fmac_f32_e32 v67, v50, v63
	v_fmac_f32_e32 v70, v57, v19
	v_and_b32_e32 v17, 0xffff0000, v17
	v_fmac_f32_e32 v69, v47, v16
	v_lshlrev_b32_e32 v73, 16, v3
	v_and_b32_e32 v3, 0xffff0000, v3
	v_fmac_f32_e32 v67, v48, v18
	v_fmac_f32_e32 v70, v55, v17
	s_waitcnt vmcnt(2)
	v_lshlrev_b32_e32 v16, 16, v14
	v_and_b32_e32 v14, 0xffff0000, v14
	v_fmac_f32_e32 v68, v2, v14
	v_lshlrev_b32_e32 v2, 16, v15
	v_and_b32_e32 v14, 0xffff0000, v15
	v_fmac_f32_e32 v67, v72, v16
	v_fmac_f32_e32 v69, v73, v2
	;; [unrolled: 1-line block ×3, first 2 shown]
	v_lshlrev_b32_e32 v2, 16, v4
	v_and_b32_e32 v3, 0xffff0000, v4
	s_waitcnt vmcnt(1)
	v_lshlrev_b32_e32 v4, 16, v12
	v_and_b32_e32 v12, 0xffff0000, v12
	v_fmac_f32_e32 v67, v4, v2
	v_fmac_f32_e32 v68, v12, v3
	v_lshlrev_b32_e32 v2, 16, v5
	v_and_b32_e32 v3, 0xffff0000, v5
	v_lshlrev_b32_e32 v4, 16, v13
	v_and_b32_e32 v5, 0xffff0000, v13
	v_fmac_f32_e32 v69, v4, v2
	v_fmac_f32_e32 v70, v5, v3
	s_waitcnt lgkmcnt(0)
	v_lshlrev_b32_e32 v2, 16, v30
	v_and_b32_e32 v3, 0xffff0000, v30
	s_waitcnt vmcnt(0)
	v_lshlrev_b32_e32 v4, 16, v26
	v_and_b32_e32 v5, 0xffff0000, v26
	v_fmac_f32_e32 v67, v4, v2
	v_fmac_f32_e32 v68, v5, v3
	v_lshlrev_b32_e32 v2, 16, v31
	v_lshlrev_b32_e32 v4, 16, v27
	v_and_b32_e32 v3, 0xffff0000, v31
	v_and_b32_e32 v5, 0xffff0000, v27
	v_fmac_f32_e32 v69, v4, v2
	v_add_f32_e32 v2, v67, v68
	v_fmac_f32_e32 v70, v5, v3
	v_add_f32_e32 v2, v2, v69
	v_add_f32_e32 v2, v70, v2
	ds_bpermute_b32 v3, v28, v2
	s_and_saveexec_b64 s[44:45], vcc
	s_cbranch_execz .LBB176_12
; %bb.18:                               ;   in Loop: Header=BB176_14 Depth=1
	v_add_u32_e32 v4, v41, v39
	v_cvt_f32_i32_e32 v4, v4
	s_waitcnt lgkmcnt(0)
	v_add_f32_e32 v2, v2, v3
	v_add_u32_e32 v5, v33, v39
	v_cmp_gt_i32_e64 s[0:1], s29, v5
	v_mul_f32_e32 v3, s50, v4
	v_cndmask_b32_e64 v3, 0, v3, s[6:7]
	v_fmac_f32_e32 v3, s39, v2
	v_cndmask_b32_e64 v2, 0, v3, s[0:1]
	ds_write_b32 v40, v2
	v_max_f32_e32 v2, v35, v35
	v_max_f32_e32 v2, v2, v3
	v_cndmask_b32_e64 v35, v35, v2, s[0:1]
	s_branch .LBB176_12
.LBB176_19:
	s_or_b64 exec, exec, s[42:43]
.LBB176_20:
	s_or_b64 exec, exec, s[40:41]
	v_mbcnt_hi_u32_b32 v5, -1, v32
	v_and_b32_e32 v2, 64, v5
	v_add_u32_e32 v12, 64, v2
	v_xor_b32_e32 v2, 32, v5
	v_cmp_lt_i32_e32 vcc, v2, v12
	v_xor_b32_e32 v6, 16, v5
	v_max_f32_e32 v4, v35, v35
	v_cndmask_b32_e32 v2, v5, v2, vcc
	v_lshlrev_b32_e32 v2, 2, v2
	s_waitcnt lgkmcnt(0)
	ds_bpermute_b32 v3, v2, v35
	v_cmp_lt_i32_e32 vcc, v6, v12
	v_xor_b32_e32 v7, 8, v5
	v_xor_b32_e32 v8, 4, v5
	;; [unrolled: 1-line block ×3, first 2 shown]
	s_waitcnt lgkmcnt(0)
	v_max_f32_e32 v3, v3, v3
	v_max_f32_e32 v4, v4, v3
	v_cndmask_b32_e32 v3, v5, v6, vcc
	v_lshlrev_b32_e32 v3, 2, v3
	ds_bpermute_b32 v6, v3, v4
	v_cmp_lt_i32_e32 vcc, v7, v12
	s_waitcnt lgkmcnt(0)
	v_max_f32_e32 v6, v6, v6
	v_max_f32_e32 v4, v4, v6
	v_cndmask_b32_e32 v6, v5, v7, vcc
	v_lshlrev_b32_e32 v6, 2, v6
	ds_bpermute_b32 v7, v6, v4
	v_cmp_lt_i32_e32 vcc, v8, v12
	;; [unrolled: 7-line block ×3, first 2 shown]
	s_waitcnt lgkmcnt(0)
	v_max_f32_e32 v8, v8, v8
	v_max_f32_e32 v9, v4, v8
	v_cndmask_b32_e32 v4, v5, v13, vcc
	v_lshlrev_b32_e32 v32, 2, v4
	ds_bpermute_b32 v13, v32, v9
	v_and_b32_e32 v4, 63, v0
	v_cmp_eq_u32_e32 vcc, 0, v4
	v_lshlrev_b32_e32 v8, 2, v38
	s_and_saveexec_b64 s[0:1], vcc
	s_cbranch_execz .LBB176_22
; %bb.21:
	s_waitcnt lgkmcnt(0)
	v_max_f32_e32 v13, v13, v13
	v_max_f32_e32 v9, v9, v9
	v_max_f32_e32 v9, v9, v13
	ds_write_b32 v8, v9 offset:240
.LBB176_22:
	s_or_b64 exec, exec, s[0:1]
	v_cmp_gt_u32_e64 s[0:1], 2, v4
	s_waitcnt lgkmcnt(0)
	v_mov_b32_e32 v13, 0xff7fffff
	v_lshlrev_b32_e32 v9, 2, v4
	s_barrier
	s_and_saveexec_b64 s[6:7], s[0:1]
	s_cbranch_execz .LBB176_24
; %bb.23:
	ds_read_b32 v13, v9 offset:240
.LBB176_24:
	s_or_b64 exec, exec, s[6:7]
	v_xor_b32_e32 v14, 1, v5
	v_cmp_lt_i32_e64 s[6:7], v14, v12
	s_nop 1
	v_cndmask_b32_e64 v12, v5, v14, s[6:7]
	v_lshlrev_b32_e32 v33, 2, v12
	s_waitcnt lgkmcnt(0)
	ds_bpermute_b32 v12, v33, v13
	v_max_f32_e32 v13, v13, v13
	v_lshlrev_b32_e32 v5, 2, v5
	s_sub_i32 s6, s48, s16
	s_lshl_b32 s6, s6, 5
	s_waitcnt lgkmcnt(0)
	v_max_f32_e32 v12, v12, v12
	v_max_f32_e32 v13, v13, v12
	v_and_b32_e32 v12, 0x100, v5
	ds_bpermute_b32 v5, v12, v13
	s_add_i32 s6, s6, s49
	s_min_i32 s16, s6, s29
	s_sub_i32 s15, s16, s49
	v_cmp_gt_i32_e64 s[6:7], s15, v0
	v_mov_b32_e32 v13, 0
	s_and_saveexec_b64 s[38:39], s[6:7]
	s_cbranch_execz .LBB176_28
; %bb.25:
	v_mov_b32_e32 v13, 0x100
	v_lshl_add_u32 v14, v0, 2, v13
	s_mov_b64 s[40:41], 0
	v_mov_b32_e32 v13, 0
	v_mov_b32_e32 v15, v0
.LBB176_26:                             ; =>This Inner Loop Header: Depth=1
	ds_read_b32 v16, v14
	v_add_u32_e32 v15, 0x80, v15
	v_cmp_le_i32_e64 s[10:11], s15, v15
	s_or_b64 s[40:41], s[10:11], s[40:41]
	s_waitcnt lgkmcnt(0)
	v_sub_f32_e32 v16, v16, v5
	v_mul_f32_e32 v16, 0x3fb8aa3b, v16
	v_exp_f32_e32 v16, v16
	ds_write_b32 v14, v16
	v_add_f32_e32 v13, v13, v16
	v_add_u32_e32 v14, 0x200, v14
	s_andn2_b64 exec, exec, s[40:41]
	s_cbranch_execnz .LBB176_26
; %bb.27:
	s_or_b64 exec, exec, s[40:41]
.LBB176_28:
	s_or_b64 exec, exec, s[38:39]
	ds_bpermute_b32 v2, v2, v13
	s_waitcnt lgkmcnt(0)
	v_add_f32_e32 v2, v13, v2
	ds_bpermute_b32 v3, v3, v2
	s_waitcnt lgkmcnt(0)
	v_add_f32_e32 v2, v2, v3
	ds_bpermute_b32 v3, v6, v2
	s_waitcnt lgkmcnt(0)
	v_add_f32_e32 v2, v2, v3
	ds_bpermute_b32 v3, v7, v2
	s_waitcnt lgkmcnt(0)
	v_add_f32_e32 v2, v2, v3
	ds_bpermute_b32 v3, v32, v2
	s_waitcnt lgkmcnt(0)
	v_add_f32_e32 v2, v2, v3
	ds_bpermute_b32 v3, v33, v2
	s_waitcnt lgkmcnt(0)
	v_add_f32_e32 v2, v2, v3
	s_and_saveexec_b64 s[10:11], vcc
	s_cbranch_execz .LBB176_30
; %bb.29:
	ds_write_b32 v8, v2 offset:248
.LBB176_30:
	s_or_b64 exec, exec, s[10:11]
	s_waitcnt lgkmcnt(0)
	s_barrier
	s_and_saveexec_b64 s[10:11], s[0:1]
	s_cbranch_execz .LBB176_32
; %bb.31:
	ds_read_b32 v2, v9 offset:248
.LBB176_32:
	s_or_b64 exec, exec, s[10:11]
	s_waitcnt lgkmcnt(0)
	ds_bpermute_b32 v3, v33, v2
	s_waitcnt lgkmcnt(0)
	v_add_f32_e32 v2, v2, v3
	ds_bpermute_b32 v6, v12, v2
	s_and_saveexec_b64 s[0:1], s[6:7]
	s_cbranch_execz .LBB176_45
; %bb.33:
	s_waitcnt lgkmcnt(0)
	v_add_f32_e32 v2, 0x358637bd, v6
	v_div_scale_f32 v3, s[6:7], v2, v2, 1.0
	v_rcp_f32_e32 v7, v3
	v_div_scale_f32 v8, vcc, 1.0, v2, 1.0
	s_movk_i32 s6, 0x7f
	v_fma_f32 v9, -v3, v7, 1.0
	v_fmac_f32_e32 v7, v9, v7
	v_mul_f32_e32 v9, v8, v7
	v_fma_f32 v12, -v3, v9, v8
	v_fmac_f32_e32 v9, v12, v7
	v_fma_f32 v3, -v3, v9, v8
	v_div_fmas_f32 v3, v3, v7, v9
	v_div_fixup_f32 v2, v3, v2, 1.0
	v_xad_u32 v3, v0, -1, s16
	v_subrev_u32_e32 v7, s49, v3
	v_cmp_lt_u32_e32 vcc, s6, v7
	s_mov_b64 s[10:11], -1
	v_mov_b32_e32 v3, v0
	s_and_saveexec_b64 s[6:7], vcc
	s_cbranch_execz .LBB176_42
; %bb.34:
	v_lshrrev_b32_e32 v7, 7, v7
	v_add_u32_e32 v9, -1, v7
	v_lshrrev_b32_e32 v8, 1, v9
	v_mov_b32_e32 v3, v2
	v_add_u32_e32 v8, 1, v8
	v_cmp_lt_u32_e32 vcc, 13, v9
	v_mov_b32_e32 v13, 0
	s_and_saveexec_b64 s[10:11], vcc
	s_cbranch_execz .LBB176_38
; %bb.35:
	v_mov_b32_e32 v12, 0x100
	v_and_b32_e32 v9, -8, v8
	v_lshl_add_u32 v12, v0, 2, v12
	s_mov_b32 s16, 0
	s_mov_b64 s[38:39], 0
.LBB176_36:                             ; =>This Inner Loop Header: Depth=1
	ds_read2st64_b32 v[14:15], v12 offset1:2
	ds_read2st64_b32 v[16:17], v12 offset0:4 offset1:6
	ds_read2st64_b32 v[18:19], v12 offset0:8 offset1:10
	;; [unrolled: 1-line block ×3, first 2 shown]
	v_add_u32_e32 v9, -8, v9
	s_waitcnt lgkmcnt(3)
	v_pk_mul_f32 v[14:15], v[2:3], v[14:15]
	s_waitcnt lgkmcnt(2)
	v_pk_mul_f32 v[16:17], v[2:3], v[16:17]
	ds_write2st64_b32 v12, v14, v15 offset1:2
	ds_write2st64_b32 v12, v16, v17 offset0:4 offset1:6
	ds_read2st64_b32 v[16:17], v12 offset0:16 offset1:18
	s_waitcnt lgkmcnt(4)
	v_pk_mul_f32 v[14:15], v[2:3], v[18:19]
	ds_write2st64_b32 v12, v14, v15 offset0:8 offset1:10
	s_waitcnt lgkmcnt(4)
	v_pk_mul_f32 v[14:15], v[2:3], v[20:21]
	ds_write2st64_b32 v12, v14, v15 offset0:12 offset1:14
	ds_read2st64_b32 v[14:15], v12 offset0:20 offset1:22
	s_waitcnt lgkmcnt(3)
	v_pk_mul_f32 v[16:17], v[2:3], v[16:17]
	ds_read2st64_b32 v[18:19], v12 offset0:24 offset1:26
	ds_write2st64_b32 v12, v16, v17 offset0:16 offset1:18
	ds_read2st64_b32 v[16:17], v12 offset0:28 offset1:30
	s_waitcnt lgkmcnt(3)
	v_pk_mul_f32 v[14:15], v[2:3], v[14:15]
	ds_write2st64_b32 v12, v14, v15 offset0:20 offset1:22
	s_waitcnt lgkmcnt(3)
	v_pk_mul_f32 v[14:15], v[2:3], v[18:19]
	ds_write2st64_b32 v12, v14, v15 offset0:24 offset1:26
	s_waitcnt lgkmcnt(2)
	v_pk_mul_f32 v[14:15], v[2:3], v[16:17]
	s_add_i32 s16, s16, 16
	v_cmp_eq_u32_e32 vcc, 0, v9
	ds_write2st64_b32 v12, v14, v15 offset0:28 offset1:30
	v_add_u32_e32 v12, 0x2000, v12
	s_or_b64 s[38:39], vcc, s[38:39]
	v_mov_b32_e32 v13, s16
	s_andn2_b64 exec, exec, s[38:39]
	s_cbranch_execnz .LBB176_36
; %bb.37:
	s_or_b64 exec, exec, s[38:39]
.LBB176_38:
	s_or_b64 exec, exec, s[10:11]
	v_and_b32_e32 v8, 7, v8
	v_cmp_ne_u32_e32 vcc, 0, v8
	s_and_saveexec_b64 s[10:11], vcc
	s_cbranch_execz .LBB176_41
; %bb.39:
	v_lshlrev_b32_e32 v9, 9, v13
	v_lshlrev_b32_e32 v12, 2, v0
	s_movk_i32 s16, 0x100
	v_add3_u32 v9, v9, v12, s16
	s_mov_b64 s[38:39], 0
.LBB176_40:                             ; =>This Inner Loop Header: Depth=1
	ds_read2st64_b32 v[12:13], v9 offset1:2
	v_add_u32_e32 v8, -1, v8
	v_cmp_eq_u32_e32 vcc, 0, v8
	s_or_b64 s[38:39], vcc, s[38:39]
	s_waitcnt lgkmcnt(0)
	v_pk_mul_f32 v[12:13], v[2:3], v[12:13]
	ds_write2st64_b32 v9, v12, v13 offset1:2
	v_add_u32_e32 v9, 0x400, v9
	s_andn2_b64 exec, exec, s[38:39]
	s_cbranch_execnz .LBB176_40
.LBB176_41:
	s_or_b64 exec, exec, s[10:11]
	v_add_u32_e32 v7, 1, v7
	v_and_b32_e32 v8, 0x3fffffe, v7
	v_cmp_ne_u32_e32 vcc, v7, v8
	v_lshl_add_u32 v3, v8, 7, v0
	s_orn2_b64 s[10:11], vcc, exec
.LBB176_42:
	s_or_b64 exec, exec, s[6:7]
	s_and_b64 exec, exec, s[10:11]
	s_cbranch_execz .LBB176_45
; %bb.43:
	v_mov_b32_e32 v7, 0x100
	v_lshl_add_u32 v7, v3, 2, v7
	s_mov_b64 s[6:7], 0
.LBB176_44:                             ; =>This Inner Loop Header: Depth=1
	ds_read_b32 v8, v7
	v_add_u32_e32 v3, 0x80, v3
	v_cmp_le_i32_e32 vcc, s15, v3
	s_or_b64 s[6:7], vcc, s[6:7]
	s_waitcnt lgkmcnt(0)
	v_mul_f32_e32 v8, v2, v8
	ds_write_b32 v7, v8
	v_add_u32_e32 v7, 0x200, v7
	s_andn2_b64 exec, exec, s[6:7]
	s_cbranch_execnz .LBB176_44
.LBB176_45:
	s_or_b64 exec, exec, s[0:1]
	s_mul_i32 s0, s19, s28
	v_cmp_eq_u32_e32 vcc, 0, v0
	s_mul_i32 s6, s0, s5
	s_waitcnt lgkmcnt(0)
	s_barrier
	s_and_saveexec_b64 s[0:1], vcc
	s_cbranch_execz .LBB176_47
; %bb.46:
	s_ashr_i32 s7, s6, 31
	s_lshl_b64 s[10:11], s[6:7], 2
	s_add_u32 s5, s22, s10
	s_mul_i32 s22, s19, s2
	s_addc_u32 s7, s23, s11
	s_ashr_i32 s23, s22, 31
	s_lshl_b64 s[22:23], s[22:23], 2
	s_add_u32 s2, s5, s22
	s_addc_u32 s7, s7, s23
	s_ashr_i32 s5, s4, 31
	s_lshl_b64 s[38:39], s[4:5], 2
	s_add_u32 s40, s2, s38
	s_addc_u32 s41, s7, s39
	s_add_u32 s2, s20, s10
	s_addc_u32 s5, s21, s11
	;; [unrolled: 2-line block ×3, first 2 shown]
	s_add_u32 s10, s2, s38
	v_mov_b32_e32 v2, 0
	s_addc_u32 s11, s5, s39
	global_store_dword v2, v5, s[40:41]
	global_store_dword v2, v6, s[10:11]
.LBB176_47:
	s_or_b64 exec, exec, s[0:1]
	v_mov_b32_e32 v13, 0
	v_lshrrev_b32_e32 v35, 2, v4
	v_and_b32_e32 v34, 3, v0
	v_mov_b32_e32 v12, 0
	v_mov_b32_e32 v15, 0
	;; [unrolled: 1-line block ×7, first 2 shown]
	s_and_saveexec_b64 s[10:11], s[8:9]
	s_cbranch_execz .LBB176_359
; %bb.48:
	s_ashr_i32 s15, s14, 31
	s_sub_i32 s5, s12, s17
	s_lshl_b64 s[0:1], s[14:15], 1
	s_add_u32 s8, s36, s0
	s_addc_u32 s9, s37, s1
	s_abs_i32 s18, s18
	v_cvt_f32_u32_e32 v3, s18
	v_or_b32_e32 v5, 0x70, v35
	s_movk_i32 s0, 0x78
	v_and_b32_e32 v36, 24, v36
	v_rcp_iflag_f32_e32 v3, v3
	v_cmp_gt_u32_e32 vcc, s0, v5
	s_sub_i32 s0, 0, s18
	v_lshl_or_b32 v12, v5, 5, v36
	v_mul_f32_e32 v3, 0x4f7ffffe, v3
	v_cvt_u32_f32_e32 v3, v3
	s_add_i32 s20, s3, -1
	v_lshl_or_b32 v2, v35, 5, v36
	v_mov_b32_e32 v21, 0
	v_mul_lo_u32 v5, s0, v3
	v_mul_hi_u32 v5, v3, v5
	s_lshl_b64 s[0:1], s[34:35], 2
	v_add_u32_e32 v37, v3, v5
	s_add_u32 s0, s30, s0
	v_lshlrev_b32_e32 v3, 5, v34
	v_or_b32_e32 v4, 0x800, v2
	v_or_b32_e32 v6, 0xa00, v2
	;; [unrolled: 1-line block ×3, first 2 shown]
	s_addc_u32 s1, s31, s1
	v_lshl_or_b32 v3, v38, 7, v3
	s_mov_b32 s7, s13
	v_lshl_add_u64 v[22:23], v[10:11], 2, s[0:1]
	v_add_u32_e32 v11, 0x100, v3
	s_mov_b64 s[12:13], 0
	s_mov_b32 s21, 0x7f800000
	s_movk_i32 s22, 0x7fff
	v_lshlrev_b32_e32 v20, 1, v2
	v_lshlrev_b32_e32 v24, 1, v4
	;; [unrolled: 1-line block ×5, first 2 shown]
	v_mov_b32_e32 v18, v21
	v_mov_b32_e32 v19, v21
	v_mov_b32_e32 v16, v21
	v_mov_b32_e32 v17, v21
	v_mov_b32_e32 v14, v21
	v_mov_b32_e32 v15, v21
	v_mov_b32_e32 v12, v21
	v_mov_b32_e32 v13, v21
	s_branch .LBB176_52
.LBB176_49:                             ;   in Loop: Header=BB176_52 Depth=1
	s_or_b64 exec, exec, s[16:17]
	v_and_b32_e32 v51, 0xffff0000, v45
	v_and_b32_e32 v50, 0xffff0000, v7
	;; [unrolled: 1-line block ×8, first 2 shown]
	v_pk_add_f32 v[2:3], v[2:3], v[50:51]
	v_pk_add_f32 v[4:5], v[4:5], v[48:49]
	v_add_f32_e32 v2, v2, v3
	v_add_f32_e32 v2, v2, v4
	;; [unrolled: 1-line block ×4, first 2 shown]
.LBB176_50:                             ;   in Loop: Header=BB176_52 Depth=1
	s_or_b64 exec, exec, s[2:3]
	v_and_b32_e32 v7, 0xffff0000, v41
	v_and_b32_e32 v6, 0xffff0000, v39
	v_and_b32_e32 v39, 0xffff0000, v40
	v_and_b32_e32 v38, 0xffff0000, v38
	v_and_b32_e32 v3, 0xffff0000, v46
	v_and_b32_e32 v2, 0xffff0000, v43
	v_and_b32_e32 v5, 0xffff0000, v44
	v_and_b32_e32 v4, 0xffff0000, v42
	v_pk_add_f32 v[6:7], v[38:39], v[6:7]
	v_pk_add_f32 v[2:3], v[4:5], v[2:3]
	v_add_f32_e32 v4, v6, v7
	v_add_f32_e32 v2, v4, v2
	v_add_f32_e32 v2, v2, v3
	v_and_b32_e32 v7, 0xffff0000, v58
	v_and_b32_e32 v6, 0xffff0000, v56
	v_and_b32_e32 v39, 0xffff0000, v57
	v_and_b32_e32 v38, 0xffff0000, v55
	v_add_f32_e32 v18, v18, v2
	v_and_b32_e32 v3, 0xffff0000, v62
	v_and_b32_e32 v2, 0xffff0000, v60
	v_and_b32_e32 v5, 0xffff0000, v61
	v_and_b32_e32 v4, 0xffff0000, v59
	v_pk_add_f32 v[6:7], v[38:39], v[6:7]
	v_pk_add_f32 v[2:3], v[4:5], v[2:3]
	v_add_f32_e32 v4, v6, v7
	v_add_f32_e32 v2, v4, v2
	v_add_f32_e32 v2, v2, v3
	v_and_b32_e32 v7, 0xffff0000, v66
	v_and_b32_e32 v6, 0xffff0000, v64
	v_and_b32_e32 v39, 0xffff0000, v65
	v_and_b32_e32 v38, 0xffff0000, v63
	v_add_f32_e32 v19, v19, v2
	v_and_b32_e32 v3, 0xffff0000, v70
	v_and_b32_e32 v2, 0xffff0000, v68
	v_and_b32_e32 v5, 0xffff0000, v69
	v_and_b32_e32 v4, 0xffff0000, v67
	;; [unrolled: 14-line block ×6, first 2 shown]
	v_pk_add_f32 v[6:7], v[8:9], v[6:7]
	v_pk_add_f32 v[2:3], v[4:5], v[2:3]
	v_add_f32_e32 v4, v6, v7
	v_add_f32_e32 v2, v4, v2
	;; [unrolled: 1-line block ×4, first 2 shown]
.LBB176_51:                             ;   in Loop: Header=BB176_52 Depth=1
	s_or_b64 exec, exec, s[14:15]
	v_add_u32_e32 v10, 2, v10
	v_cmp_le_i32_e64 s[0:1], s48, v10
	v_lshl_add_u64 v[22:23], v[22:23], 0, 8
	v_add_u32_e32 v1, 64, v1
	s_or_b64 s[12:13], s[0:1], s[12:13]
	v_add_u32_e32 v11, 0x100, v11
	s_andn2_b64 exec, exec, s[12:13]
	s_cbranch_execz .LBB176_358
.LBB176_52:                             ; =>This Inner Loop Header: Depth=1
	v_sub_u32_e32 v3, 0, v1
	v_max_i32_e32 v3, v1, v3
	v_mul_hi_u32 v4, v3, s33
	v_mul_lo_u32 v5, v4, s25
	v_sub_u32_e32 v3, v3, v5
	v_add_u32_e32 v5, 1, v4
	v_cmp_le_u32_e64 s[0:1], s25, v3
	v_ashrrev_i32_e32 v2, 31, v1
	v_xor_b32_e32 v2, s47, v2
	v_cndmask_b32_e64 v4, v4, v5, s[0:1]
	v_subrev_u32_e32 v5, s25, v3
	v_cndmask_b32_e64 v3, v3, v5, s[0:1]
	v_add_u32_e32 v5, 1, v4
	v_cmp_le_u32_e64 s[0:1], s25, v3
	s_nop 1
	v_cndmask_b32_e64 v3, v4, v5, s[0:1]
	v_xor_b32_e32 v3, v3, v2
	v_sub_u32_e32 v2, v3, v2
	v_add_u32_e32 v3, s46, v2
	v_sub_u32_e32 v5, 0, v3
	v_ashrrev_i32_e32 v4, 31, v3
	v_max_i32_e32 v3, v3, v5
	v_mul_hi_u32 v5, v3, v37
	v_mul_lo_u32 v5, v5, s18
	v_sub_u32_e32 v3, v3, v5
	v_subrev_u32_e32 v5, s18, v3
	v_cmp_le_u32_e64 s[0:1], s18, v3
	v_cmp_lt_i32_e64 s[2:3], s5, v2
	s_nop 0
	v_cndmask_b32_e64 v3, v3, v5, s[0:1]
	v_subrev_u32_e32 v5, s18, v3
	v_cmp_le_u32_e64 s[0:1], s18, v3
	s_nop 1
	v_cndmask_b32_e64 v3, v3, v5, s[0:1]
	v_xor_b32_e32 v3, v3, v4
	v_sub_u32_e32 v3, v3, v4
	v_cmp_eq_u32_e64 s[0:1], 0, v3
	s_or_b64 s[0:1], s[0:1], s[2:3]
	s_and_saveexec_b64 s[14:15], s[0:1]
	s_cbranch_execz .LBB176_51
; %bb.53:                               ;   in Loop: Header=BB176_52 Depth=1
	global_load_dword v42, v[22:23], off
	ds_read2_b64 v[6:9], v11 offset1:1
	ds_read2_b64 v[2:5], v11 offset0:2 offset1:3
                                        ; implicit-def: $vgpr38
	s_waitcnt lgkmcnt(1)
	v_and_b32_e32 v25, 0x7f800000, v6
	v_cmp_ne_u32_e64 s[0:1], s21, v25
	s_and_saveexec_b64 s[2:3], s[0:1]
	s_xor_b64 s[0:1], exec, s[2:3]
; %bb.54:                               ;   in Loop: Header=BB176_52 Depth=1
	v_bfe_u32 v25, v6, 16, 1
	v_add3_u32 v38, v6, v25, s22
; %bb.55:                               ;   in Loop: Header=BB176_52 Depth=1
	s_andn2_saveexec_b64 s[2:3], s[0:1]
; %bb.56:                               ;   in Loop: Header=BB176_52 Depth=1
	v_or_b32_e32 v25, 0x10000, v6
	v_cmp_eq_u32_sdwa s[0:1], v6, v21 src0_sel:WORD_0 src1_sel:DWORD
	s_nop 1
	v_cndmask_b32_e64 v38, v25, v6, s[0:1]
; %bb.57:                               ;   in Loop: Header=BB176_52 Depth=1
	s_or_b64 exec, exec, s[2:3]
	v_and_b32_e32 v6, 0x7f800000, v7
	v_cmp_ne_u32_e64 s[0:1], s21, v6
                                        ; implicit-def: $vgpr39
	s_and_saveexec_b64 s[2:3], s[0:1]
	s_xor_b64 s[0:1], exec, s[2:3]
; %bb.58:                               ;   in Loop: Header=BB176_52 Depth=1
	v_bfe_u32 v6, v7, 16, 1
	v_add3_u32 v39, v7, v6, s22
; %bb.59:                               ;   in Loop: Header=BB176_52 Depth=1
	s_andn2_saveexec_b64 s[2:3], s[0:1]
; %bb.60:                               ;   in Loop: Header=BB176_52 Depth=1
	v_or_b32_e32 v6, 0x10000, v7
	v_cmp_eq_u32_sdwa s[0:1], v7, v21 src0_sel:WORD_0 src1_sel:DWORD
	s_nop 1
	v_cndmask_b32_e64 v39, v6, v7, s[0:1]
; %bb.61:                               ;   in Loop: Header=BB176_52 Depth=1
	s_or_b64 exec, exec, s[2:3]
	v_and_b32_e32 v6, 0x7f800000, v8
	v_cmp_ne_u32_e64 s[0:1], s21, v6
                                        ; implicit-def: $vgpr40
	s_and_saveexec_b64 s[2:3], s[0:1]
	s_xor_b64 s[0:1], exec, s[2:3]
; %bb.62:                               ;   in Loop: Header=BB176_52 Depth=1
	v_bfe_u32 v6, v8, 16, 1
	v_add3_u32 v40, v8, v6, s22
; %bb.63:                               ;   in Loop: Header=BB176_52 Depth=1
	s_andn2_saveexec_b64 s[2:3], s[0:1]
; %bb.64:                               ;   in Loop: Header=BB176_52 Depth=1
	v_or_b32_e32 v6, 0x10000, v8
	v_cmp_eq_u32_sdwa s[0:1], v8, v21 src0_sel:WORD_0 src1_sel:DWORD
	s_nop 1
	v_cndmask_b32_e64 v40, v6, v8, s[0:1]
; %bb.65:                               ;   in Loop: Header=BB176_52 Depth=1
	s_or_b64 exec, exec, s[2:3]
	v_and_b32_e32 v6, 0x7f800000, v9
	v_cmp_ne_u32_e64 s[0:1], s21, v6
                                        ; implicit-def: $vgpr41
	s_and_saveexec_b64 s[2:3], s[0:1]
	s_xor_b64 s[0:1], exec, s[2:3]
; %bb.66:                               ;   in Loop: Header=BB176_52 Depth=1
	v_bfe_u32 v6, v9, 16, 1
	v_add3_u32 v41, v9, v6, s22
                                        ; implicit-def: $vgpr6_vgpr7_vgpr8_vgpr9
; %bb.67:                               ;   in Loop: Header=BB176_52 Depth=1
	s_andn2_saveexec_b64 s[2:3], s[0:1]
; %bb.68:                               ;   in Loop: Header=BB176_52 Depth=1
	v_or_b32_e32 v6, 0x10000, v9
	v_cmp_eq_u32_sdwa s[0:1], v9, v21 src0_sel:WORD_0 src1_sel:DWORD
	s_nop 1
	v_cndmask_b32_e64 v41, v6, v9, s[0:1]
; %bb.69:                               ;   in Loop: Header=BB176_52 Depth=1
	s_or_b64 exec, exec, s[2:3]
	s_waitcnt lgkmcnt(0)
	v_and_b32_e32 v6, 0x7f800000, v2
	v_cmp_ne_u32_e64 s[0:1], s21, v6
                                        ; implicit-def: $vgpr31
	s_and_saveexec_b64 s[2:3], s[0:1]
	s_xor_b64 s[0:1], exec, s[2:3]
; %bb.70:                               ;   in Loop: Header=BB176_52 Depth=1
	v_bfe_u32 v6, v2, 16, 1
	v_add3_u32 v31, v2, v6, s22
; %bb.71:                               ;   in Loop: Header=BB176_52 Depth=1
	s_andn2_saveexec_b64 s[2:3], s[0:1]
; %bb.72:                               ;   in Loop: Header=BB176_52 Depth=1
	v_or_b32_e32 v6, 0x10000, v2
	v_cmp_eq_u32_sdwa s[0:1], v2, v21 src0_sel:WORD_0 src1_sel:DWORD
	s_nop 1
	v_cndmask_b32_e64 v31, v6, v2, s[0:1]
; %bb.73:                               ;   in Loop: Header=BB176_52 Depth=1
	s_or_b64 exec, exec, s[2:3]
	v_and_b32_e32 v2, 0x7f800000, v3
	v_cmp_ne_u32_e64 s[0:1], s21, v2
                                        ; implicit-def: $vgpr29
	s_and_saveexec_b64 s[2:3], s[0:1]
	s_xor_b64 s[0:1], exec, s[2:3]
; %bb.74:                               ;   in Loop: Header=BB176_52 Depth=1
	v_bfe_u32 v2, v3, 16, 1
	v_add3_u32 v29, v3, v2, s22
; %bb.75:                               ;   in Loop: Header=BB176_52 Depth=1
	s_andn2_saveexec_b64 s[2:3], s[0:1]
; %bb.76:                               ;   in Loop: Header=BB176_52 Depth=1
	v_or_b32_e32 v2, 0x10000, v3
	v_cmp_eq_u32_sdwa s[0:1], v3, v21 src0_sel:WORD_0 src1_sel:DWORD
	s_nop 1
	v_cndmask_b32_e64 v29, v2, v3, s[0:1]
; %bb.77:                               ;   in Loop: Header=BB176_52 Depth=1
	s_or_b64 exec, exec, s[2:3]
	v_and_b32_e32 v2, 0x7f800000, v4
	v_cmp_ne_u32_e64 s[0:1], s21, v2
                                        ; implicit-def: $vgpr27
	s_and_saveexec_b64 s[2:3], s[0:1]
	s_xor_b64 s[0:1], exec, s[2:3]
; %bb.78:                               ;   in Loop: Header=BB176_52 Depth=1
	v_bfe_u32 v2, v4, 16, 1
	v_add3_u32 v27, v4, v2, s22
; %bb.79:                               ;   in Loop: Header=BB176_52 Depth=1
	s_andn2_saveexec_b64 s[2:3], s[0:1]
; %bb.80:                               ;   in Loop: Header=BB176_52 Depth=1
	v_or_b32_e32 v2, 0x10000, v4
	v_cmp_eq_u32_sdwa s[0:1], v4, v21 src0_sel:WORD_0 src1_sel:DWORD
	s_nop 1
	v_cndmask_b32_e64 v27, v2, v4, s[0:1]
; %bb.81:                               ;   in Loop: Header=BB176_52 Depth=1
	s_or_b64 exec, exec, s[2:3]
	v_and_b32_e32 v2, 0x7f800000, v5
	v_cmp_ne_u32_e64 s[0:1], s21, v2
                                        ; implicit-def: $vgpr25
	s_and_saveexec_b64 s[2:3], s[0:1]
	s_xor_b64 s[0:1], exec, s[2:3]
; %bb.82:                               ;   in Loop: Header=BB176_52 Depth=1
	v_bfe_u32 v2, v5, 16, 1
	v_add3_u32 v25, v5, v2, s22
                                        ; implicit-def: $vgpr2_vgpr3_vgpr4_vgpr5
; %bb.83:                               ;   in Loop: Header=BB176_52 Depth=1
	s_andn2_saveexec_b64 s[2:3], s[0:1]
; %bb.84:                               ;   in Loop: Header=BB176_52 Depth=1
	v_or_b32_e32 v2, 0x10000, v5
	v_cmp_eq_u32_sdwa s[0:1], v5, v21 src0_sel:WORD_0 src1_sel:DWORD
	s_nop 1
	v_cndmask_b32_e64 v25, v2, v5, s[0:1]
; %bb.85:                               ;   in Loop: Header=BB176_52 Depth=1
	s_or_b64 exec, exec, s[2:3]
	s_waitcnt vmcnt(0)
	v_mad_i64_i32 v[2:3], s[0:1], v42, s7, 0
	v_lshl_add_u64 v[6:7], v[2:3], 1, s[8:9]
	v_lshl_add_u64 v[8:9], v[6:7], 0, v[20:21]
	global_load_dwordx4 v[2:5], v[8:9], off
	v_add_u32_e32 v45, v36, v1
	v_cmp_eq_u32_e64 s[0:1], s20, v10
	s_waitcnt vmcnt(0)
	v_lshrrev_b32_e32 v44, 16, v2
	v_lshrrev_b32_e32 v42, 16, v3
	;; [unrolled: 1-line block ×4, first 2 shown]
	s_and_saveexec_b64 s[16:17], s[0:1]
	s_cbranch_execz .LBB176_87
; %bb.86:                               ;   in Loop: Header=BB176_52 Depth=1
	v_cmp_gt_i32_e64 s[2:3], s29, v45
	v_add_u32_e32 v47, 1, v45
	s_nop 0
	v_cndmask_b32_e64 v2, 0, v2, s[2:3]
	v_cmp_gt_i32_e64 s[2:3], s29, v47
	v_add_u32_e32 v47, 2, v45
	s_nop 0
	v_cndmask_b32_e64 v44, 0, v44, s[2:3]
	;; [unrolled: 4-line block ×7, first 2 shown]
	v_cmp_gt_i32_e64 s[2:3], s29, v47
	s_nop 1
	v_cndmask_b32_e64 v46, 0, v46, s[2:3]
.LBB176_87:                             ;   in Loop: Header=BB176_52 Depth=1
	s_or_b64 exec, exec, s[16:17]
	v_and_b32_e32 v47, 0xffff0000, v38
	v_lshlrev_b32_e32 v2, 16, v2
	v_mul_f32_e32 v2, v47, v2
	v_and_b32_e32 v38, 0x7f800000, v2
	v_cmp_ne_u32_e64 s[2:3], s21, v38
                                        ; implicit-def: $vgpr38
	s_and_saveexec_b64 s[16:17], s[2:3]
	s_xor_b64 s[2:3], exec, s[16:17]
; %bb.88:                               ;   in Loop: Header=BB176_52 Depth=1
	v_bfe_u32 v38, v2, 16, 1
	v_add3_u32 v38, v2, v38, s22
                                        ; implicit-def: $vgpr2
; %bb.89:                               ;   in Loop: Header=BB176_52 Depth=1
	s_andn2_saveexec_b64 s[16:17], s[2:3]
; %bb.90:                               ;   in Loop: Header=BB176_52 Depth=1
	v_or_b32_e32 v38, 0x10000, v2
	v_cmp_eq_u32_sdwa s[2:3], v2, v21 src0_sel:WORD_0 src1_sel:DWORD
	s_nop 1
	v_cndmask_b32_e64 v38, v38, v2, s[2:3]
; %bb.91:                               ;   in Loop: Header=BB176_52 Depth=1
	s_or_b64 exec, exec, s[16:17]
	v_and_b32_e32 v48, 0xffff0000, v39
	v_lshlrev_b32_e32 v2, 16, v44
	v_mul_f32_e32 v2, v48, v2
	v_and_b32_e32 v39, 0x7f800000, v2
	v_cmp_ne_u32_e64 s[2:3], s21, v39
                                        ; implicit-def: $vgpr39
	s_and_saveexec_b64 s[16:17], s[2:3]
	s_xor_b64 s[2:3], exec, s[16:17]
; %bb.92:                               ;   in Loop: Header=BB176_52 Depth=1
	v_bfe_u32 v39, v2, 16, 1
	v_add3_u32 v39, v2, v39, s22
                                        ; implicit-def: $vgpr2
; %bb.93:                               ;   in Loop: Header=BB176_52 Depth=1
	s_andn2_saveexec_b64 s[16:17], s[2:3]
; %bb.94:                               ;   in Loop: Header=BB176_52 Depth=1
	v_or_b32_e32 v39, 0x10000, v2
	v_cmp_eq_u32_sdwa s[2:3], v2, v21 src0_sel:WORD_0 src1_sel:DWORD
	s_nop 1
	v_cndmask_b32_e64 v39, v39, v2, s[2:3]
; %bb.95:                               ;   in Loop: Header=BB176_52 Depth=1
	s_or_b64 exec, exec, s[16:17]
	v_and_b32_e32 v49, 0xffff0000, v40
	v_lshlrev_b32_e32 v2, 16, v3
	v_mul_f32_e32 v2, v49, v2
	v_and_b32_e32 v3, 0x7f800000, v2
	v_cmp_ne_u32_e64 s[2:3], s21, v3
                                        ; implicit-def: $vgpr40
	s_and_saveexec_b64 s[16:17], s[2:3]
	s_xor_b64 s[2:3], exec, s[16:17]
; %bb.96:                               ;   in Loop: Header=BB176_52 Depth=1
	v_bfe_u32 v3, v2, 16, 1
	v_add3_u32 v40, v2, v3, s22
                                        ; implicit-def: $vgpr2
; %bb.97:                               ;   in Loop: Header=BB176_52 Depth=1
	s_andn2_saveexec_b64 s[16:17], s[2:3]
; %bb.98:                               ;   in Loop: Header=BB176_52 Depth=1
	v_or_b32_e32 v3, 0x10000, v2
	v_cmp_eq_u32_sdwa s[2:3], v2, v21 src0_sel:WORD_0 src1_sel:DWORD
	s_nop 1
	v_cndmask_b32_e64 v40, v3, v2, s[2:3]
; %bb.99:                               ;   in Loop: Header=BB176_52 Depth=1
	s_or_b64 exec, exec, s[16:17]
	v_and_b32_e32 v50, 0xffff0000, v41
	v_lshlrev_b32_e32 v2, 16, v42
	v_mul_f32_e32 v2, v50, v2
	v_and_b32_e32 v3, 0x7f800000, v2
	v_cmp_ne_u32_e64 s[2:3], s21, v3
                                        ; implicit-def: $vgpr41
	s_and_saveexec_b64 s[16:17], s[2:3]
	s_xor_b64 s[2:3], exec, s[16:17]
; %bb.100:                              ;   in Loop: Header=BB176_52 Depth=1
	v_bfe_u32 v3, v2, 16, 1
	v_add3_u32 v41, v2, v3, s22
                                        ; implicit-def: $vgpr2
; %bb.101:                              ;   in Loop: Header=BB176_52 Depth=1
	s_andn2_saveexec_b64 s[16:17], s[2:3]
; %bb.102:                              ;   in Loop: Header=BB176_52 Depth=1
	v_or_b32_e32 v3, 0x10000, v2
	v_cmp_eq_u32_sdwa s[2:3], v2, v21 src0_sel:WORD_0 src1_sel:DWORD
	s_nop 1
	v_cndmask_b32_e64 v41, v3, v2, s[2:3]
; %bb.103:                              ;   in Loop: Header=BB176_52 Depth=1
	s_or_b64 exec, exec, s[16:17]
	v_and_b32_e32 v51, 0xffff0000, v31
	v_lshlrev_b32_e32 v2, 16, v4
	v_mul_f32_e32 v2, v51, v2
	v_and_b32_e32 v3, 0x7f800000, v2
	v_cmp_ne_u32_e64 s[2:3], s21, v3
                                        ; implicit-def: $vgpr42
	s_and_saveexec_b64 s[16:17], s[2:3]
	s_xor_b64 s[2:3], exec, s[16:17]
; %bb.104:                              ;   in Loop: Header=BB176_52 Depth=1
	v_bfe_u32 v3, v2, 16, 1
	v_add3_u32 v42, v2, v3, s22
                                        ; implicit-def: $vgpr2
; %bb.105:                              ;   in Loop: Header=BB176_52 Depth=1
	s_andn2_saveexec_b64 s[16:17], s[2:3]
; %bb.106:                              ;   in Loop: Header=BB176_52 Depth=1
	v_or_b32_e32 v3, 0x10000, v2
	v_cmp_eq_u32_sdwa s[2:3], v2, v21 src0_sel:WORD_0 src1_sel:DWORD
	s_nop 1
	v_cndmask_b32_e64 v42, v3, v2, s[2:3]
; %bb.107:                              ;   in Loop: Header=BB176_52 Depth=1
	s_or_b64 exec, exec, s[16:17]
	v_and_b32_e32 v52, 0xffff0000, v29
	v_lshlrev_b32_e32 v2, 16, v43
	v_mul_f32_e32 v2, v52, v2
	v_and_b32_e32 v3, 0x7f800000, v2
	v_cmp_ne_u32_e64 s[2:3], s21, v3
                                        ; implicit-def: $vgpr43
	s_and_saveexec_b64 s[16:17], s[2:3]
	s_xor_b64 s[2:3], exec, s[16:17]
; %bb.108:                              ;   in Loop: Header=BB176_52 Depth=1
	v_bfe_u32 v3, v2, 16, 1
	v_add3_u32 v43, v2, v3, s22
                                        ; implicit-def: $vgpr2
; %bb.109:                              ;   in Loop: Header=BB176_52 Depth=1
	s_andn2_saveexec_b64 s[16:17], s[2:3]
; %bb.110:                              ;   in Loop: Header=BB176_52 Depth=1
	v_or_b32_e32 v3, 0x10000, v2
	v_cmp_eq_u32_sdwa s[2:3], v2, v21 src0_sel:WORD_0 src1_sel:DWORD
	s_nop 1
	v_cndmask_b32_e64 v43, v3, v2, s[2:3]
; %bb.111:                              ;   in Loop: Header=BB176_52 Depth=1
	s_or_b64 exec, exec, s[16:17]
	v_and_b32_e32 v53, 0xffff0000, v27
	v_lshlrev_b32_e32 v2, 16, v5
	v_mul_f32_e32 v2, v53, v2
	v_and_b32_e32 v3, 0x7f800000, v2
	v_cmp_ne_u32_e64 s[2:3], s21, v3
                                        ; implicit-def: $vgpr44
	s_and_saveexec_b64 s[16:17], s[2:3]
	s_xor_b64 s[2:3], exec, s[16:17]
; %bb.112:                              ;   in Loop: Header=BB176_52 Depth=1
	v_bfe_u32 v3, v2, 16, 1
	v_add3_u32 v44, v2, v3, s22
                                        ; implicit-def: $vgpr2
; %bb.113:                              ;   in Loop: Header=BB176_52 Depth=1
	s_andn2_saveexec_b64 s[16:17], s[2:3]
; %bb.114:                              ;   in Loop: Header=BB176_52 Depth=1
	v_or_b32_e32 v3, 0x10000, v2
	v_cmp_eq_u32_sdwa s[2:3], v2, v21 src0_sel:WORD_0 src1_sel:DWORD
	s_nop 1
	v_cndmask_b32_e64 v44, v3, v2, s[2:3]
; %bb.115:                              ;   in Loop: Header=BB176_52 Depth=1
	s_or_b64 exec, exec, s[16:17]
	v_and_b32_e32 v54, 0xffff0000, v25
	v_lshlrev_b32_e32 v2, 16, v46
	v_mul_f32_e32 v2, v54, v2
	v_and_b32_e32 v3, 0x7f800000, v2
	v_cmp_ne_u32_e64 s[2:3], s21, v3
                                        ; implicit-def: $vgpr46
	s_and_saveexec_b64 s[16:17], s[2:3]
	s_xor_b64 s[2:3], exec, s[16:17]
; %bb.116:                              ;   in Loop: Header=BB176_52 Depth=1
	v_bfe_u32 v3, v2, 16, 1
	v_add3_u32 v46, v2, v3, s22
                                        ; implicit-def: $vgpr2
; %bb.117:                              ;   in Loop: Header=BB176_52 Depth=1
	s_andn2_saveexec_b64 s[16:17], s[2:3]
; %bb.118:                              ;   in Loop: Header=BB176_52 Depth=1
	v_or_b32_e32 v3, 0x10000, v2
	v_cmp_eq_u32_sdwa s[2:3], v2, v21 src0_sel:WORD_0 src1_sel:DWORD
	s_nop 1
	v_cndmask_b32_e64 v46, v3, v2, s[2:3]
; %bb.119:                              ;   in Loop: Header=BB176_52 Depth=1
	s_or_b64 exec, exec, s[16:17]
	global_load_dwordx4 v[2:5], v[8:9], off offset:1024
	s_waitcnt vmcnt(0)
	v_lshrrev_b32_e32 v31, 16, v2
	v_lshrrev_b32_e32 v29, 16, v3
	v_lshrrev_b32_e32 v27, 16, v4
	v_lshrrev_b32_e32 v25, 16, v5
	s_and_saveexec_b64 s[16:17], s[0:1]
	s_cbranch_execz .LBB176_121
; %bb.120:                              ;   in Loop: Header=BB176_52 Depth=1
	v_cmp_gt_i32_e64 s[2:3], s29, v45
	v_add_u32_e32 v55, 1, v45
	s_nop 0
	v_cndmask_b32_e64 v2, 0, v2, s[2:3]
	v_cmp_gt_i32_e64 s[2:3], s29, v55
	v_add_u32_e32 v55, 2, v45
	s_nop 0
	v_cndmask_b32_e64 v31, 0, v31, s[2:3]
	;; [unrolled: 4-line block ×7, first 2 shown]
	v_cmp_gt_i32_e64 s[2:3], s29, v55
	s_nop 1
	v_cndmask_b32_e64 v25, 0, v25, s[2:3]
.LBB176_121:                            ;   in Loop: Header=BB176_52 Depth=1
	s_or_b64 exec, exec, s[16:17]
	v_lshlrev_b32_e32 v2, 16, v2
	v_mul_f32_e32 v2, v47, v2
	v_and_b32_e32 v55, 0x7f800000, v2
	v_cmp_ne_u32_e64 s[2:3], s21, v55
                                        ; implicit-def: $vgpr55
	s_and_saveexec_b64 s[16:17], s[2:3]
	s_xor_b64 s[2:3], exec, s[16:17]
; %bb.122:                              ;   in Loop: Header=BB176_52 Depth=1
	v_bfe_u32 v55, v2, 16, 1
	v_add3_u32 v55, v2, v55, s22
                                        ; implicit-def: $vgpr2
; %bb.123:                              ;   in Loop: Header=BB176_52 Depth=1
	s_andn2_saveexec_b64 s[16:17], s[2:3]
; %bb.124:                              ;   in Loop: Header=BB176_52 Depth=1
	v_or_b32_e32 v55, 0x10000, v2
	v_cmp_eq_u32_sdwa s[2:3], v2, v21 src0_sel:WORD_0 src1_sel:DWORD
	s_nop 1
	v_cndmask_b32_e64 v55, v55, v2, s[2:3]
; %bb.125:                              ;   in Loop: Header=BB176_52 Depth=1
	s_or_b64 exec, exec, s[16:17]
	v_lshlrev_b32_e32 v2, 16, v31
	v_mul_f32_e32 v2, v48, v2
	v_and_b32_e32 v31, 0x7f800000, v2
	v_cmp_ne_u32_e64 s[2:3], s21, v31
                                        ; implicit-def: $vgpr56
	s_and_saveexec_b64 s[16:17], s[2:3]
	s_xor_b64 s[2:3], exec, s[16:17]
; %bb.126:                              ;   in Loop: Header=BB176_52 Depth=1
	v_bfe_u32 v31, v2, 16, 1
	v_add3_u32 v56, v2, v31, s22
                                        ; implicit-def: $vgpr2
; %bb.127:                              ;   in Loop: Header=BB176_52 Depth=1
	s_andn2_saveexec_b64 s[16:17], s[2:3]
; %bb.128:                              ;   in Loop: Header=BB176_52 Depth=1
	v_or_b32_e32 v31, 0x10000, v2
	v_cmp_eq_u32_sdwa s[2:3], v2, v21 src0_sel:WORD_0 src1_sel:DWORD
	s_nop 1
	v_cndmask_b32_e64 v56, v31, v2, s[2:3]
; %bb.129:                              ;   in Loop: Header=BB176_52 Depth=1
	s_or_b64 exec, exec, s[16:17]
	v_lshlrev_b32_e32 v2, 16, v3
	v_mul_f32_e32 v2, v49, v2
	v_and_b32_e32 v3, 0x7f800000, v2
	v_cmp_ne_u32_e64 s[2:3], s21, v3
                                        ; implicit-def: $vgpr57
	s_and_saveexec_b64 s[16:17], s[2:3]
	s_xor_b64 s[2:3], exec, s[16:17]
; %bb.130:                              ;   in Loop: Header=BB176_52 Depth=1
	v_bfe_u32 v3, v2, 16, 1
	v_add3_u32 v57, v2, v3, s22
                                        ; implicit-def: $vgpr2
; %bb.131:                              ;   in Loop: Header=BB176_52 Depth=1
	s_andn2_saveexec_b64 s[16:17], s[2:3]
; %bb.132:                              ;   in Loop: Header=BB176_52 Depth=1
	v_or_b32_e32 v3, 0x10000, v2
	v_cmp_eq_u32_sdwa s[2:3], v2, v21 src0_sel:WORD_0 src1_sel:DWORD
	s_nop 1
	v_cndmask_b32_e64 v57, v3, v2, s[2:3]
; %bb.133:                              ;   in Loop: Header=BB176_52 Depth=1
	s_or_b64 exec, exec, s[16:17]
	v_lshlrev_b32_e32 v2, 16, v29
	v_mul_f32_e32 v2, v50, v2
	v_and_b32_e32 v3, 0x7f800000, v2
	v_cmp_ne_u32_e64 s[2:3], s21, v3
                                        ; implicit-def: $vgpr58
	s_and_saveexec_b64 s[16:17], s[2:3]
	s_xor_b64 s[2:3], exec, s[16:17]
; %bb.134:                              ;   in Loop: Header=BB176_52 Depth=1
	v_bfe_u32 v3, v2, 16, 1
	v_add3_u32 v58, v2, v3, s22
                                        ; implicit-def: $vgpr2
; %bb.135:                              ;   in Loop: Header=BB176_52 Depth=1
	s_andn2_saveexec_b64 s[16:17], s[2:3]
; %bb.136:                              ;   in Loop: Header=BB176_52 Depth=1
	v_or_b32_e32 v3, 0x10000, v2
	v_cmp_eq_u32_sdwa s[2:3], v2, v21 src0_sel:WORD_0 src1_sel:DWORD
	s_nop 1
	v_cndmask_b32_e64 v58, v3, v2, s[2:3]
; %bb.137:                              ;   in Loop: Header=BB176_52 Depth=1
	s_or_b64 exec, exec, s[16:17]
	v_lshlrev_b32_e32 v2, 16, v4
	v_mul_f32_e32 v2, v51, v2
	v_and_b32_e32 v3, 0x7f800000, v2
	v_cmp_ne_u32_e64 s[2:3], s21, v3
                                        ; implicit-def: $vgpr59
	s_and_saveexec_b64 s[16:17], s[2:3]
	s_xor_b64 s[2:3], exec, s[16:17]
; %bb.138:                              ;   in Loop: Header=BB176_52 Depth=1
	v_bfe_u32 v3, v2, 16, 1
	v_add3_u32 v59, v2, v3, s22
                                        ; implicit-def: $vgpr2
; %bb.139:                              ;   in Loop: Header=BB176_52 Depth=1
	s_andn2_saveexec_b64 s[16:17], s[2:3]
; %bb.140:                              ;   in Loop: Header=BB176_52 Depth=1
	v_or_b32_e32 v3, 0x10000, v2
	v_cmp_eq_u32_sdwa s[2:3], v2, v21 src0_sel:WORD_0 src1_sel:DWORD
	s_nop 1
	v_cndmask_b32_e64 v59, v3, v2, s[2:3]
; %bb.141:                              ;   in Loop: Header=BB176_52 Depth=1
	s_or_b64 exec, exec, s[16:17]
	v_lshlrev_b32_e32 v2, 16, v27
	v_mul_f32_e32 v2, v52, v2
	v_and_b32_e32 v3, 0x7f800000, v2
	v_cmp_ne_u32_e64 s[2:3], s21, v3
                                        ; implicit-def: $vgpr60
	s_and_saveexec_b64 s[16:17], s[2:3]
	s_xor_b64 s[2:3], exec, s[16:17]
; %bb.142:                              ;   in Loop: Header=BB176_52 Depth=1
	v_bfe_u32 v3, v2, 16, 1
	v_add3_u32 v60, v2, v3, s22
                                        ; implicit-def: $vgpr2
; %bb.143:                              ;   in Loop: Header=BB176_52 Depth=1
	s_andn2_saveexec_b64 s[16:17], s[2:3]
; %bb.144:                              ;   in Loop: Header=BB176_52 Depth=1
	v_or_b32_e32 v3, 0x10000, v2
	v_cmp_eq_u32_sdwa s[2:3], v2, v21 src0_sel:WORD_0 src1_sel:DWORD
	s_nop 1
	v_cndmask_b32_e64 v60, v3, v2, s[2:3]
; %bb.145:                              ;   in Loop: Header=BB176_52 Depth=1
	s_or_b64 exec, exec, s[16:17]
	v_lshlrev_b32_e32 v2, 16, v5
	v_mul_f32_e32 v2, v53, v2
	v_and_b32_e32 v3, 0x7f800000, v2
	v_cmp_ne_u32_e64 s[2:3], s21, v3
                                        ; implicit-def: $vgpr61
	s_and_saveexec_b64 s[16:17], s[2:3]
	s_xor_b64 s[2:3], exec, s[16:17]
; %bb.146:                              ;   in Loop: Header=BB176_52 Depth=1
	v_bfe_u32 v3, v2, 16, 1
	v_add3_u32 v61, v2, v3, s22
                                        ; implicit-def: $vgpr2
; %bb.147:                              ;   in Loop: Header=BB176_52 Depth=1
	s_andn2_saveexec_b64 s[16:17], s[2:3]
; %bb.148:                              ;   in Loop: Header=BB176_52 Depth=1
	v_or_b32_e32 v3, 0x10000, v2
	v_cmp_eq_u32_sdwa s[2:3], v2, v21 src0_sel:WORD_0 src1_sel:DWORD
	s_nop 1
	v_cndmask_b32_e64 v61, v3, v2, s[2:3]
; %bb.149:                              ;   in Loop: Header=BB176_52 Depth=1
	s_or_b64 exec, exec, s[16:17]
	v_lshlrev_b32_e32 v2, 16, v25
	v_mul_f32_e32 v2, v54, v2
	v_and_b32_e32 v3, 0x7f800000, v2
	v_cmp_ne_u32_e64 s[2:3], s21, v3
                                        ; implicit-def: $vgpr62
	s_and_saveexec_b64 s[16:17], s[2:3]
	s_xor_b64 s[2:3], exec, s[16:17]
; %bb.150:                              ;   in Loop: Header=BB176_52 Depth=1
	v_bfe_u32 v3, v2, 16, 1
	v_add3_u32 v62, v2, v3, s22
                                        ; implicit-def: $vgpr2
; %bb.151:                              ;   in Loop: Header=BB176_52 Depth=1
	s_andn2_saveexec_b64 s[16:17], s[2:3]
; %bb.152:                              ;   in Loop: Header=BB176_52 Depth=1
	v_or_b32_e32 v3, 0x10000, v2
	v_cmp_eq_u32_sdwa s[2:3], v2, v21 src0_sel:WORD_0 src1_sel:DWORD
	s_nop 1
	v_cndmask_b32_e64 v62, v3, v2, s[2:3]
; %bb.153:                              ;   in Loop: Header=BB176_52 Depth=1
	s_or_b64 exec, exec, s[16:17]
	global_load_dwordx4 v[2:5], v[8:9], off offset:2048
	s_waitcnt vmcnt(0)
	v_lshrrev_b32_e32 v31, 16, v2
	v_lshrrev_b32_e32 v29, 16, v3
	;; [unrolled: 1-line block ×4, first 2 shown]
	s_and_saveexec_b64 s[16:17], s[0:1]
	s_cbranch_execz .LBB176_155
; %bb.154:                              ;   in Loop: Header=BB176_52 Depth=1
	v_cmp_gt_i32_e64 s[2:3], s29, v45
	v_add_u32_e32 v63, 1, v45
	s_nop 0
	v_cndmask_b32_e64 v2, 0, v2, s[2:3]
	v_cmp_gt_i32_e64 s[2:3], s29, v63
	v_add_u32_e32 v63, 2, v45
	s_nop 0
	v_cndmask_b32_e64 v31, 0, v31, s[2:3]
	;; [unrolled: 4-line block ×7, first 2 shown]
	v_cmp_gt_i32_e64 s[2:3], s29, v63
	s_nop 1
	v_cndmask_b32_e64 v25, 0, v25, s[2:3]
.LBB176_155:                            ;   in Loop: Header=BB176_52 Depth=1
	s_or_b64 exec, exec, s[16:17]
	v_lshlrev_b32_e32 v2, 16, v2
	v_mul_f32_e32 v2, v47, v2
	v_and_b32_e32 v63, 0x7f800000, v2
	v_cmp_ne_u32_e64 s[2:3], s21, v63
                                        ; implicit-def: $vgpr63
	s_and_saveexec_b64 s[16:17], s[2:3]
	s_xor_b64 s[2:3], exec, s[16:17]
; %bb.156:                              ;   in Loop: Header=BB176_52 Depth=1
	v_bfe_u32 v63, v2, 16, 1
	v_add3_u32 v63, v2, v63, s22
                                        ; implicit-def: $vgpr2
; %bb.157:                              ;   in Loop: Header=BB176_52 Depth=1
	s_andn2_saveexec_b64 s[16:17], s[2:3]
; %bb.158:                              ;   in Loop: Header=BB176_52 Depth=1
	v_or_b32_e32 v63, 0x10000, v2
	v_cmp_eq_u32_sdwa s[2:3], v2, v21 src0_sel:WORD_0 src1_sel:DWORD
	s_nop 1
	v_cndmask_b32_e64 v63, v63, v2, s[2:3]
; %bb.159:                              ;   in Loop: Header=BB176_52 Depth=1
	s_or_b64 exec, exec, s[16:17]
	v_lshlrev_b32_e32 v2, 16, v31
	v_mul_f32_e32 v2, v48, v2
	v_and_b32_e32 v31, 0x7f800000, v2
	v_cmp_ne_u32_e64 s[2:3], s21, v31
                                        ; implicit-def: $vgpr64
	s_and_saveexec_b64 s[16:17], s[2:3]
	s_xor_b64 s[2:3], exec, s[16:17]
; %bb.160:                              ;   in Loop: Header=BB176_52 Depth=1
	v_bfe_u32 v31, v2, 16, 1
	v_add3_u32 v64, v2, v31, s22
                                        ; implicit-def: $vgpr2
; %bb.161:                              ;   in Loop: Header=BB176_52 Depth=1
	s_andn2_saveexec_b64 s[16:17], s[2:3]
; %bb.162:                              ;   in Loop: Header=BB176_52 Depth=1
	v_or_b32_e32 v31, 0x10000, v2
	v_cmp_eq_u32_sdwa s[2:3], v2, v21 src0_sel:WORD_0 src1_sel:DWORD
	s_nop 1
	v_cndmask_b32_e64 v64, v31, v2, s[2:3]
; %bb.163:                              ;   in Loop: Header=BB176_52 Depth=1
	s_or_b64 exec, exec, s[16:17]
	v_lshlrev_b32_e32 v2, 16, v3
	v_mul_f32_e32 v2, v49, v2
	v_and_b32_e32 v3, 0x7f800000, v2
	v_cmp_ne_u32_e64 s[2:3], s21, v3
                                        ; implicit-def: $vgpr65
	s_and_saveexec_b64 s[16:17], s[2:3]
	s_xor_b64 s[2:3], exec, s[16:17]
; %bb.164:                              ;   in Loop: Header=BB176_52 Depth=1
	v_bfe_u32 v3, v2, 16, 1
	v_add3_u32 v65, v2, v3, s22
                                        ; implicit-def: $vgpr2
; %bb.165:                              ;   in Loop: Header=BB176_52 Depth=1
	s_andn2_saveexec_b64 s[16:17], s[2:3]
; %bb.166:                              ;   in Loop: Header=BB176_52 Depth=1
	v_or_b32_e32 v3, 0x10000, v2
	v_cmp_eq_u32_sdwa s[2:3], v2, v21 src0_sel:WORD_0 src1_sel:DWORD
	s_nop 1
	v_cndmask_b32_e64 v65, v3, v2, s[2:3]
; %bb.167:                              ;   in Loop: Header=BB176_52 Depth=1
	s_or_b64 exec, exec, s[16:17]
	v_lshlrev_b32_e32 v2, 16, v29
	v_mul_f32_e32 v2, v50, v2
	v_and_b32_e32 v3, 0x7f800000, v2
	v_cmp_ne_u32_e64 s[2:3], s21, v3
                                        ; implicit-def: $vgpr66
	s_and_saveexec_b64 s[16:17], s[2:3]
	s_xor_b64 s[2:3], exec, s[16:17]
; %bb.168:                              ;   in Loop: Header=BB176_52 Depth=1
	v_bfe_u32 v3, v2, 16, 1
	v_add3_u32 v66, v2, v3, s22
                                        ; implicit-def: $vgpr2
; %bb.169:                              ;   in Loop: Header=BB176_52 Depth=1
	s_andn2_saveexec_b64 s[16:17], s[2:3]
; %bb.170:                              ;   in Loop: Header=BB176_52 Depth=1
	v_or_b32_e32 v3, 0x10000, v2
	v_cmp_eq_u32_sdwa s[2:3], v2, v21 src0_sel:WORD_0 src1_sel:DWORD
	s_nop 1
	v_cndmask_b32_e64 v66, v3, v2, s[2:3]
; %bb.171:                              ;   in Loop: Header=BB176_52 Depth=1
	s_or_b64 exec, exec, s[16:17]
	v_lshlrev_b32_e32 v2, 16, v4
	v_mul_f32_e32 v2, v51, v2
	v_and_b32_e32 v3, 0x7f800000, v2
	v_cmp_ne_u32_e64 s[2:3], s21, v3
                                        ; implicit-def: $vgpr67
	s_and_saveexec_b64 s[16:17], s[2:3]
	s_xor_b64 s[2:3], exec, s[16:17]
; %bb.172:                              ;   in Loop: Header=BB176_52 Depth=1
	v_bfe_u32 v3, v2, 16, 1
	v_add3_u32 v67, v2, v3, s22
                                        ; implicit-def: $vgpr2
; %bb.173:                              ;   in Loop: Header=BB176_52 Depth=1
	s_andn2_saveexec_b64 s[16:17], s[2:3]
; %bb.174:                              ;   in Loop: Header=BB176_52 Depth=1
	v_or_b32_e32 v3, 0x10000, v2
	v_cmp_eq_u32_sdwa s[2:3], v2, v21 src0_sel:WORD_0 src1_sel:DWORD
	s_nop 1
	v_cndmask_b32_e64 v67, v3, v2, s[2:3]
; %bb.175:                              ;   in Loop: Header=BB176_52 Depth=1
	s_or_b64 exec, exec, s[16:17]
	v_lshlrev_b32_e32 v2, 16, v27
	v_mul_f32_e32 v2, v52, v2
	v_and_b32_e32 v3, 0x7f800000, v2
	v_cmp_ne_u32_e64 s[2:3], s21, v3
                                        ; implicit-def: $vgpr68
	s_and_saveexec_b64 s[16:17], s[2:3]
	s_xor_b64 s[2:3], exec, s[16:17]
; %bb.176:                              ;   in Loop: Header=BB176_52 Depth=1
	v_bfe_u32 v3, v2, 16, 1
	v_add3_u32 v68, v2, v3, s22
                                        ; implicit-def: $vgpr2
; %bb.177:                              ;   in Loop: Header=BB176_52 Depth=1
	s_andn2_saveexec_b64 s[16:17], s[2:3]
; %bb.178:                              ;   in Loop: Header=BB176_52 Depth=1
	v_or_b32_e32 v3, 0x10000, v2
	v_cmp_eq_u32_sdwa s[2:3], v2, v21 src0_sel:WORD_0 src1_sel:DWORD
	s_nop 1
	v_cndmask_b32_e64 v68, v3, v2, s[2:3]
; %bb.179:                              ;   in Loop: Header=BB176_52 Depth=1
	s_or_b64 exec, exec, s[16:17]
	v_lshlrev_b32_e32 v2, 16, v5
	v_mul_f32_e32 v2, v53, v2
	v_and_b32_e32 v3, 0x7f800000, v2
	v_cmp_ne_u32_e64 s[2:3], s21, v3
                                        ; implicit-def: $vgpr69
	s_and_saveexec_b64 s[16:17], s[2:3]
	s_xor_b64 s[2:3], exec, s[16:17]
; %bb.180:                              ;   in Loop: Header=BB176_52 Depth=1
	v_bfe_u32 v3, v2, 16, 1
	v_add3_u32 v69, v2, v3, s22
                                        ; implicit-def: $vgpr2
; %bb.181:                              ;   in Loop: Header=BB176_52 Depth=1
	s_andn2_saveexec_b64 s[16:17], s[2:3]
; %bb.182:                              ;   in Loop: Header=BB176_52 Depth=1
	v_or_b32_e32 v3, 0x10000, v2
	v_cmp_eq_u32_sdwa s[2:3], v2, v21 src0_sel:WORD_0 src1_sel:DWORD
	s_nop 1
	v_cndmask_b32_e64 v69, v3, v2, s[2:3]
; %bb.183:                              ;   in Loop: Header=BB176_52 Depth=1
	s_or_b64 exec, exec, s[16:17]
	v_lshlrev_b32_e32 v2, 16, v25
	v_mul_f32_e32 v2, v54, v2
	v_and_b32_e32 v3, 0x7f800000, v2
	v_cmp_ne_u32_e64 s[2:3], s21, v3
                                        ; implicit-def: $vgpr70
	s_and_saveexec_b64 s[16:17], s[2:3]
	s_xor_b64 s[2:3], exec, s[16:17]
; %bb.184:                              ;   in Loop: Header=BB176_52 Depth=1
	v_bfe_u32 v3, v2, 16, 1
	v_add3_u32 v70, v2, v3, s22
                                        ; implicit-def: $vgpr2
; %bb.185:                              ;   in Loop: Header=BB176_52 Depth=1
	s_andn2_saveexec_b64 s[16:17], s[2:3]
; %bb.186:                              ;   in Loop: Header=BB176_52 Depth=1
	v_or_b32_e32 v3, 0x10000, v2
	v_cmp_eq_u32_sdwa s[2:3], v2, v21 src0_sel:WORD_0 src1_sel:DWORD
	s_nop 1
	v_cndmask_b32_e64 v70, v3, v2, s[2:3]
; %bb.187:                              ;   in Loop: Header=BB176_52 Depth=1
	s_or_b64 exec, exec, s[16:17]
	global_load_dwordx4 v[2:5], v[8:9], off offset:3072
	s_waitcnt vmcnt(0)
	v_lshrrev_b32_e32 v9, 16, v2
	v_lshrrev_b32_e32 v29, 16, v3
	;; [unrolled: 1-line block ×4, first 2 shown]
	s_and_saveexec_b64 s[16:17], s[0:1]
	s_cbranch_execz .LBB176_189
; %bb.188:                              ;   in Loop: Header=BB176_52 Depth=1
	v_cmp_gt_i32_e64 s[2:3], s29, v45
	v_add_u32_e32 v8, 1, v45
	s_nop 0
	v_cndmask_b32_e64 v2, 0, v2, s[2:3]
	v_cmp_gt_i32_e64 s[2:3], s29, v8
	v_add_u32_e32 v8, 2, v45
	s_nop 0
	v_cndmask_b32_e64 v9, 0, v9, s[2:3]
	;; [unrolled: 4-line block ×7, first 2 shown]
	v_cmp_gt_i32_e64 s[2:3], s29, v8
	s_nop 1
	v_cndmask_b32_e64 v25, 0, v25, s[2:3]
.LBB176_189:                            ;   in Loop: Header=BB176_52 Depth=1
	s_or_b64 exec, exec, s[16:17]
	v_lshlrev_b32_e32 v2, 16, v2
	v_mul_f32_e32 v2, v47, v2
	v_and_b32_e32 v8, 0x7f800000, v2
	v_cmp_ne_u32_e64 s[2:3], s21, v8
                                        ; implicit-def: $vgpr8
	s_and_saveexec_b64 s[16:17], s[2:3]
	s_xor_b64 s[2:3], exec, s[16:17]
; %bb.190:                              ;   in Loop: Header=BB176_52 Depth=1
	v_bfe_u32 v8, v2, 16, 1
	v_add3_u32 v8, v2, v8, s22
                                        ; implicit-def: $vgpr2
; %bb.191:                              ;   in Loop: Header=BB176_52 Depth=1
	s_andn2_saveexec_b64 s[16:17], s[2:3]
; %bb.192:                              ;   in Loop: Header=BB176_52 Depth=1
	v_or_b32_e32 v8, 0x10000, v2
	v_cmp_eq_u32_sdwa s[2:3], v2, v21 src0_sel:WORD_0 src1_sel:DWORD
	s_nop 1
	v_cndmask_b32_e64 v8, v8, v2, s[2:3]
; %bb.193:                              ;   in Loop: Header=BB176_52 Depth=1
	s_or_b64 exec, exec, s[16:17]
	v_lshlrev_b32_e32 v2, 16, v9
	v_mul_f32_e32 v2, v48, v2
	v_and_b32_e32 v9, 0x7f800000, v2
	v_cmp_ne_u32_e64 s[2:3], s21, v9
                                        ; implicit-def: $vgpr9
	s_and_saveexec_b64 s[16:17], s[2:3]
	s_xor_b64 s[2:3], exec, s[16:17]
; %bb.194:                              ;   in Loop: Header=BB176_52 Depth=1
	v_bfe_u32 v9, v2, 16, 1
	v_add3_u32 v9, v2, v9, s22
                                        ; implicit-def: $vgpr2
; %bb.195:                              ;   in Loop: Header=BB176_52 Depth=1
	s_andn2_saveexec_b64 s[16:17], s[2:3]
; %bb.196:                              ;   in Loop: Header=BB176_52 Depth=1
	v_or_b32_e32 v9, 0x10000, v2
	v_cmp_eq_u32_sdwa s[2:3], v2, v21 src0_sel:WORD_0 src1_sel:DWORD
	s_nop 1
	v_cndmask_b32_e64 v9, v9, v2, s[2:3]
; %bb.197:                              ;   in Loop: Header=BB176_52 Depth=1
	s_or_b64 exec, exec, s[16:17]
	v_lshlrev_b32_e32 v2, 16, v3
	v_mul_f32_e32 v2, v49, v2
	v_and_b32_e32 v3, 0x7f800000, v2
	v_cmp_ne_u32_e64 s[2:3], s21, v3
                                        ; implicit-def: $vgpr71
	s_and_saveexec_b64 s[16:17], s[2:3]
	s_xor_b64 s[2:3], exec, s[16:17]
; %bb.198:                              ;   in Loop: Header=BB176_52 Depth=1
	v_bfe_u32 v3, v2, 16, 1
	v_add3_u32 v71, v2, v3, s22
                                        ; implicit-def: $vgpr2
; %bb.199:                              ;   in Loop: Header=BB176_52 Depth=1
	s_andn2_saveexec_b64 s[16:17], s[2:3]
; %bb.200:                              ;   in Loop: Header=BB176_52 Depth=1
	v_or_b32_e32 v3, 0x10000, v2
	v_cmp_eq_u32_sdwa s[2:3], v2, v21 src0_sel:WORD_0 src1_sel:DWORD
	s_nop 1
	v_cndmask_b32_e64 v71, v3, v2, s[2:3]
; %bb.201:                              ;   in Loop: Header=BB176_52 Depth=1
	s_or_b64 exec, exec, s[16:17]
	v_lshlrev_b32_e32 v2, 16, v29
	v_mul_f32_e32 v2, v50, v2
	v_and_b32_e32 v3, 0x7f800000, v2
	v_cmp_ne_u32_e64 s[2:3], s21, v3
                                        ; implicit-def: $vgpr72
	s_and_saveexec_b64 s[16:17], s[2:3]
	s_xor_b64 s[2:3], exec, s[16:17]
; %bb.202:                              ;   in Loop: Header=BB176_52 Depth=1
	v_bfe_u32 v3, v2, 16, 1
	v_add3_u32 v72, v2, v3, s22
                                        ; implicit-def: $vgpr2
; %bb.203:                              ;   in Loop: Header=BB176_52 Depth=1
	s_andn2_saveexec_b64 s[16:17], s[2:3]
; %bb.204:                              ;   in Loop: Header=BB176_52 Depth=1
	v_or_b32_e32 v3, 0x10000, v2
	v_cmp_eq_u32_sdwa s[2:3], v2, v21 src0_sel:WORD_0 src1_sel:DWORD
	s_nop 1
	v_cndmask_b32_e64 v72, v3, v2, s[2:3]
; %bb.205:                              ;   in Loop: Header=BB176_52 Depth=1
	s_or_b64 exec, exec, s[16:17]
	v_lshlrev_b32_e32 v2, 16, v4
	v_mul_f32_e32 v2, v51, v2
	v_and_b32_e32 v3, 0x7f800000, v2
	v_cmp_ne_u32_e64 s[2:3], s21, v3
                                        ; implicit-def: $vgpr73
	s_and_saveexec_b64 s[16:17], s[2:3]
	s_xor_b64 s[2:3], exec, s[16:17]
; %bb.206:                              ;   in Loop: Header=BB176_52 Depth=1
	v_bfe_u32 v3, v2, 16, 1
	v_add3_u32 v73, v2, v3, s22
                                        ; implicit-def: $vgpr2
; %bb.207:                              ;   in Loop: Header=BB176_52 Depth=1
	s_andn2_saveexec_b64 s[16:17], s[2:3]
; %bb.208:                              ;   in Loop: Header=BB176_52 Depth=1
	v_or_b32_e32 v3, 0x10000, v2
	v_cmp_eq_u32_sdwa s[2:3], v2, v21 src0_sel:WORD_0 src1_sel:DWORD
	s_nop 1
	v_cndmask_b32_e64 v73, v3, v2, s[2:3]
; %bb.209:                              ;   in Loop: Header=BB176_52 Depth=1
	s_or_b64 exec, exec, s[16:17]
	v_lshlrev_b32_e32 v2, 16, v27
	v_mul_f32_e32 v2, v52, v2
	v_and_b32_e32 v3, 0x7f800000, v2
	v_cmp_ne_u32_e64 s[2:3], s21, v3
                                        ; implicit-def: $vgpr74
	s_and_saveexec_b64 s[16:17], s[2:3]
	s_xor_b64 s[2:3], exec, s[16:17]
; %bb.210:                              ;   in Loop: Header=BB176_52 Depth=1
	v_bfe_u32 v3, v2, 16, 1
	v_add3_u32 v74, v2, v3, s22
                                        ; implicit-def: $vgpr2
; %bb.211:                              ;   in Loop: Header=BB176_52 Depth=1
	s_andn2_saveexec_b64 s[16:17], s[2:3]
; %bb.212:                              ;   in Loop: Header=BB176_52 Depth=1
	v_or_b32_e32 v3, 0x10000, v2
	v_cmp_eq_u32_sdwa s[2:3], v2, v21 src0_sel:WORD_0 src1_sel:DWORD
	s_nop 1
	v_cndmask_b32_e64 v74, v3, v2, s[2:3]
; %bb.213:                              ;   in Loop: Header=BB176_52 Depth=1
	s_or_b64 exec, exec, s[16:17]
	v_lshlrev_b32_e32 v2, 16, v5
	v_mul_f32_e32 v2, v53, v2
	v_and_b32_e32 v3, 0x7f800000, v2
	v_cmp_ne_u32_e64 s[2:3], s21, v3
                                        ; implicit-def: $vgpr75
	s_and_saveexec_b64 s[16:17], s[2:3]
	s_xor_b64 s[2:3], exec, s[16:17]
; %bb.214:                              ;   in Loop: Header=BB176_52 Depth=1
	v_bfe_u32 v3, v2, 16, 1
	v_add3_u32 v75, v2, v3, s22
                                        ; implicit-def: $vgpr2
; %bb.215:                              ;   in Loop: Header=BB176_52 Depth=1
	s_andn2_saveexec_b64 s[16:17], s[2:3]
; %bb.216:                              ;   in Loop: Header=BB176_52 Depth=1
	v_or_b32_e32 v3, 0x10000, v2
	v_cmp_eq_u32_sdwa s[2:3], v2, v21 src0_sel:WORD_0 src1_sel:DWORD
	s_nop 1
	v_cndmask_b32_e64 v75, v3, v2, s[2:3]
; %bb.217:                              ;   in Loop: Header=BB176_52 Depth=1
	s_or_b64 exec, exec, s[16:17]
	v_lshlrev_b32_e32 v2, 16, v25
	v_mul_f32_e32 v2, v54, v2
	v_and_b32_e32 v3, 0x7f800000, v2
	v_cmp_ne_u32_e64 s[2:3], s21, v3
                                        ; implicit-def: $vgpr76
	s_and_saveexec_b64 s[16:17], s[2:3]
	s_xor_b64 s[2:3], exec, s[16:17]
; %bb.218:                              ;   in Loop: Header=BB176_52 Depth=1
	v_bfe_u32 v3, v2, 16, 1
	v_add3_u32 v76, v2, v3, s22
                                        ; implicit-def: $vgpr2
; %bb.219:                              ;   in Loop: Header=BB176_52 Depth=1
	s_andn2_saveexec_b64 s[16:17], s[2:3]
; %bb.220:                              ;   in Loop: Header=BB176_52 Depth=1
	v_or_b32_e32 v3, 0x10000, v2
	v_cmp_eq_u32_sdwa s[2:3], v2, v21 src0_sel:WORD_0 src1_sel:DWORD
	s_nop 1
	v_cndmask_b32_e64 v76, v3, v2, s[2:3]
; %bb.221:                              ;   in Loop: Header=BB176_52 Depth=1
	s_or_b64 exec, exec, s[16:17]
	v_mov_b32_e32 v25, v21
	v_lshl_add_u64 v[2:3], v[6:7], 0, v[24:25]
	global_load_dwordx4 v[2:5], v[2:3], off
	s_waitcnt vmcnt(0)
	v_lshrrev_b32_e32 v77, 16, v2
	v_lshrrev_b32_e32 v31, 16, v3
	;; [unrolled: 1-line block ×4, first 2 shown]
	s_and_saveexec_b64 s[16:17], s[0:1]
	s_cbranch_execz .LBB176_223
; %bb.222:                              ;   in Loop: Header=BB176_52 Depth=1
	v_cmp_gt_i32_e64 s[2:3], s29, v45
	v_add_u32_e32 v25, 1, v45
	s_nop 0
	v_cndmask_b32_e64 v2, 0, v2, s[2:3]
	v_cmp_gt_i32_e64 s[2:3], s29, v25
	v_add_u32_e32 v25, 2, v45
	s_nop 0
	v_cndmask_b32_e64 v77, 0, v77, s[2:3]
	;; [unrolled: 4-line block ×7, first 2 shown]
	v_cmp_gt_i32_e64 s[2:3], s29, v25
	s_nop 1
	v_cndmask_b32_e64 v27, 0, v27, s[2:3]
.LBB176_223:                            ;   in Loop: Header=BB176_52 Depth=1
	s_or_b64 exec, exec, s[16:17]
	v_lshlrev_b32_e32 v2, 16, v2
	v_mul_f32_e32 v2, v47, v2
	v_and_b32_e32 v25, 0x7f800000, v2
	v_cmp_ne_u32_e64 s[2:3], s21, v25
                                        ; implicit-def: $vgpr25
	s_and_saveexec_b64 s[16:17], s[2:3]
	s_xor_b64 s[2:3], exec, s[16:17]
; %bb.224:                              ;   in Loop: Header=BB176_52 Depth=1
	v_bfe_u32 v25, v2, 16, 1
	v_add3_u32 v25, v2, v25, s22
                                        ; implicit-def: $vgpr2
; %bb.225:                              ;   in Loop: Header=BB176_52 Depth=1
	s_andn2_saveexec_b64 s[16:17], s[2:3]
; %bb.226:                              ;   in Loop: Header=BB176_52 Depth=1
	v_or_b32_e32 v25, 0x10000, v2
	v_cmp_eq_u32_sdwa s[2:3], v2, v21 src0_sel:WORD_0 src1_sel:DWORD
	s_nop 1
	v_cndmask_b32_e64 v25, v25, v2, s[2:3]
; %bb.227:                              ;   in Loop: Header=BB176_52 Depth=1
	s_or_b64 exec, exec, s[16:17]
	v_lshlrev_b32_e32 v2, 16, v77
	v_mul_f32_e32 v2, v48, v2
	v_and_b32_e32 v77, 0x7f800000, v2
	v_cmp_ne_u32_e64 s[2:3], s21, v77
                                        ; implicit-def: $vgpr77
	s_and_saveexec_b64 s[16:17], s[2:3]
	s_xor_b64 s[2:3], exec, s[16:17]
; %bb.228:                              ;   in Loop: Header=BB176_52 Depth=1
	v_bfe_u32 v77, v2, 16, 1
	v_add3_u32 v77, v2, v77, s22
                                        ; implicit-def: $vgpr2
; %bb.229:                              ;   in Loop: Header=BB176_52 Depth=1
	s_andn2_saveexec_b64 s[16:17], s[2:3]
; %bb.230:                              ;   in Loop: Header=BB176_52 Depth=1
	v_or_b32_e32 v77, 0x10000, v2
	v_cmp_eq_u32_sdwa s[2:3], v2, v21 src0_sel:WORD_0 src1_sel:DWORD
	s_nop 1
	v_cndmask_b32_e64 v77, v77, v2, s[2:3]
; %bb.231:                              ;   in Loop: Header=BB176_52 Depth=1
	s_or_b64 exec, exec, s[16:17]
	v_lshlrev_b32_e32 v2, 16, v3
	v_mul_f32_e32 v2, v49, v2
	v_and_b32_e32 v3, 0x7f800000, v2
	v_cmp_ne_u32_e64 s[2:3], s21, v3
                                        ; implicit-def: $vgpr78
	s_and_saveexec_b64 s[16:17], s[2:3]
	s_xor_b64 s[2:3], exec, s[16:17]
; %bb.232:                              ;   in Loop: Header=BB176_52 Depth=1
	v_bfe_u32 v3, v2, 16, 1
	v_add3_u32 v78, v2, v3, s22
                                        ; implicit-def: $vgpr2
; %bb.233:                              ;   in Loop: Header=BB176_52 Depth=1
	s_andn2_saveexec_b64 s[16:17], s[2:3]
; %bb.234:                              ;   in Loop: Header=BB176_52 Depth=1
	v_or_b32_e32 v3, 0x10000, v2
	v_cmp_eq_u32_sdwa s[2:3], v2, v21 src0_sel:WORD_0 src1_sel:DWORD
	s_nop 1
	v_cndmask_b32_e64 v78, v3, v2, s[2:3]
; %bb.235:                              ;   in Loop: Header=BB176_52 Depth=1
	s_or_b64 exec, exec, s[16:17]
	v_lshlrev_b32_e32 v2, 16, v31
	v_mul_f32_e32 v2, v50, v2
	v_and_b32_e32 v3, 0x7f800000, v2
	v_cmp_ne_u32_e64 s[2:3], s21, v3
                                        ; implicit-def: $vgpr79
	s_and_saveexec_b64 s[16:17], s[2:3]
	s_xor_b64 s[2:3], exec, s[16:17]
; %bb.236:                              ;   in Loop: Header=BB176_52 Depth=1
	v_bfe_u32 v3, v2, 16, 1
	v_add3_u32 v79, v2, v3, s22
                                        ; implicit-def: $vgpr2
; %bb.237:                              ;   in Loop: Header=BB176_52 Depth=1
	s_andn2_saveexec_b64 s[16:17], s[2:3]
; %bb.238:                              ;   in Loop: Header=BB176_52 Depth=1
	v_or_b32_e32 v3, 0x10000, v2
	v_cmp_eq_u32_sdwa s[2:3], v2, v21 src0_sel:WORD_0 src1_sel:DWORD
	s_nop 1
	v_cndmask_b32_e64 v79, v3, v2, s[2:3]
; %bb.239:                              ;   in Loop: Header=BB176_52 Depth=1
	s_or_b64 exec, exec, s[16:17]
	v_lshlrev_b32_e32 v2, 16, v4
	v_mul_f32_e32 v2, v51, v2
	v_and_b32_e32 v3, 0x7f800000, v2
	v_cmp_ne_u32_e64 s[2:3], s21, v3
                                        ; implicit-def: $vgpr80
	s_and_saveexec_b64 s[16:17], s[2:3]
	s_xor_b64 s[2:3], exec, s[16:17]
; %bb.240:                              ;   in Loop: Header=BB176_52 Depth=1
	v_bfe_u32 v3, v2, 16, 1
	v_add3_u32 v80, v2, v3, s22
                                        ; implicit-def: $vgpr2
; %bb.241:                              ;   in Loop: Header=BB176_52 Depth=1
	s_andn2_saveexec_b64 s[16:17], s[2:3]
; %bb.242:                              ;   in Loop: Header=BB176_52 Depth=1
	v_or_b32_e32 v3, 0x10000, v2
	v_cmp_eq_u32_sdwa s[2:3], v2, v21 src0_sel:WORD_0 src1_sel:DWORD
	s_nop 1
	v_cndmask_b32_e64 v80, v3, v2, s[2:3]
; %bb.243:                              ;   in Loop: Header=BB176_52 Depth=1
	s_or_b64 exec, exec, s[16:17]
	v_lshlrev_b32_e32 v2, 16, v29
	v_mul_f32_e32 v2, v52, v2
	v_and_b32_e32 v3, 0x7f800000, v2
	v_cmp_ne_u32_e64 s[2:3], s21, v3
                                        ; implicit-def: $vgpr81
	s_and_saveexec_b64 s[16:17], s[2:3]
	s_xor_b64 s[2:3], exec, s[16:17]
; %bb.244:                              ;   in Loop: Header=BB176_52 Depth=1
	v_bfe_u32 v3, v2, 16, 1
	v_add3_u32 v81, v2, v3, s22
                                        ; implicit-def: $vgpr2
; %bb.245:                              ;   in Loop: Header=BB176_52 Depth=1
	s_andn2_saveexec_b64 s[16:17], s[2:3]
; %bb.246:                              ;   in Loop: Header=BB176_52 Depth=1
	v_or_b32_e32 v3, 0x10000, v2
	v_cmp_eq_u32_sdwa s[2:3], v2, v21 src0_sel:WORD_0 src1_sel:DWORD
	s_nop 1
	v_cndmask_b32_e64 v81, v3, v2, s[2:3]
; %bb.247:                              ;   in Loop: Header=BB176_52 Depth=1
	s_or_b64 exec, exec, s[16:17]
	v_lshlrev_b32_e32 v2, 16, v5
	v_mul_f32_e32 v2, v53, v2
	v_and_b32_e32 v3, 0x7f800000, v2
	v_cmp_ne_u32_e64 s[2:3], s21, v3
                                        ; implicit-def: $vgpr82
	s_and_saveexec_b64 s[16:17], s[2:3]
	s_xor_b64 s[2:3], exec, s[16:17]
; %bb.248:                              ;   in Loop: Header=BB176_52 Depth=1
	v_bfe_u32 v3, v2, 16, 1
	v_add3_u32 v82, v2, v3, s22
                                        ; implicit-def: $vgpr2
; %bb.249:                              ;   in Loop: Header=BB176_52 Depth=1
	s_andn2_saveexec_b64 s[16:17], s[2:3]
; %bb.250:                              ;   in Loop: Header=BB176_52 Depth=1
	v_or_b32_e32 v3, 0x10000, v2
	v_cmp_eq_u32_sdwa s[2:3], v2, v21 src0_sel:WORD_0 src1_sel:DWORD
	s_nop 1
	v_cndmask_b32_e64 v82, v3, v2, s[2:3]
; %bb.251:                              ;   in Loop: Header=BB176_52 Depth=1
	s_or_b64 exec, exec, s[16:17]
	v_lshlrev_b32_e32 v2, 16, v27
	v_mul_f32_e32 v2, v54, v2
	v_and_b32_e32 v3, 0x7f800000, v2
	v_cmp_ne_u32_e64 s[2:3], s21, v3
                                        ; implicit-def: $vgpr83
	s_and_saveexec_b64 s[16:17], s[2:3]
	s_xor_b64 s[2:3], exec, s[16:17]
; %bb.252:                              ;   in Loop: Header=BB176_52 Depth=1
	v_bfe_u32 v3, v2, 16, 1
	v_add3_u32 v83, v2, v3, s22
                                        ; implicit-def: $vgpr2
; %bb.253:                              ;   in Loop: Header=BB176_52 Depth=1
	s_andn2_saveexec_b64 s[16:17], s[2:3]
; %bb.254:                              ;   in Loop: Header=BB176_52 Depth=1
	v_or_b32_e32 v3, 0x10000, v2
	v_cmp_eq_u32_sdwa s[2:3], v2, v21 src0_sel:WORD_0 src1_sel:DWORD
	s_nop 1
	v_cndmask_b32_e64 v83, v3, v2, s[2:3]
; %bb.255:                              ;   in Loop: Header=BB176_52 Depth=1
	s_or_b64 exec, exec, s[16:17]
	v_mov_b32_e32 v27, v21
	v_lshl_add_u64 v[2:3], v[6:7], 0, v[26:27]
	global_load_dwordx4 v[2:5], v[2:3], off
	s_waitcnt vmcnt(0)
	v_lshrrev_b32_e32 v84, 16, v2
	v_lshrrev_b32_e32 v86, 16, v3
	;; [unrolled: 1-line block ×4, first 2 shown]
	s_and_saveexec_b64 s[16:17], s[0:1]
	s_cbranch_execz .LBB176_257
; %bb.256:                              ;   in Loop: Header=BB176_52 Depth=1
	v_cmp_gt_i32_e64 s[2:3], s29, v45
	v_add_u32_e32 v27, 1, v45
	s_nop 0
	v_cndmask_b32_e64 v2, 0, v2, s[2:3]
	v_cmp_gt_i32_e64 s[2:3], s29, v27
	v_add_u32_e32 v27, 2, v45
	s_nop 0
	v_cndmask_b32_e64 v84, 0, v84, s[2:3]
	;; [unrolled: 4-line block ×7, first 2 shown]
	v_cmp_gt_i32_e64 s[2:3], s29, v27
	s_nop 1
	v_cndmask_b32_e64 v29, 0, v29, s[2:3]
.LBB176_257:                            ;   in Loop: Header=BB176_52 Depth=1
	s_or_b64 exec, exec, s[16:17]
	v_lshlrev_b32_e32 v2, 16, v2
	v_mul_f32_e32 v2, v47, v2
	v_and_b32_e32 v27, 0x7f800000, v2
	v_cmp_ne_u32_e64 s[2:3], s21, v27
                                        ; implicit-def: $vgpr27
	s_and_saveexec_b64 s[16:17], s[2:3]
	s_xor_b64 s[2:3], exec, s[16:17]
; %bb.258:                              ;   in Loop: Header=BB176_52 Depth=1
	v_bfe_u32 v27, v2, 16, 1
	v_add3_u32 v27, v2, v27, s22
                                        ; implicit-def: $vgpr2
; %bb.259:                              ;   in Loop: Header=BB176_52 Depth=1
	s_andn2_saveexec_b64 s[16:17], s[2:3]
; %bb.260:                              ;   in Loop: Header=BB176_52 Depth=1
	v_or_b32_e32 v27, 0x10000, v2
	v_cmp_eq_u32_sdwa s[2:3], v2, v21 src0_sel:WORD_0 src1_sel:DWORD
	s_nop 1
	v_cndmask_b32_e64 v27, v27, v2, s[2:3]
; %bb.261:                              ;   in Loop: Header=BB176_52 Depth=1
	s_or_b64 exec, exec, s[16:17]
	v_lshlrev_b32_e32 v2, 16, v84
	v_mul_f32_e32 v2, v48, v2
	v_and_b32_e32 v84, 0x7f800000, v2
	v_cmp_ne_u32_e64 s[2:3], s21, v84
                                        ; implicit-def: $vgpr84
	s_and_saveexec_b64 s[16:17], s[2:3]
	s_xor_b64 s[2:3], exec, s[16:17]
; %bb.262:                              ;   in Loop: Header=BB176_52 Depth=1
	v_bfe_u32 v84, v2, 16, 1
	v_add3_u32 v84, v2, v84, s22
                                        ; implicit-def: $vgpr2
; %bb.263:                              ;   in Loop: Header=BB176_52 Depth=1
	s_andn2_saveexec_b64 s[16:17], s[2:3]
; %bb.264:                              ;   in Loop: Header=BB176_52 Depth=1
	v_or_b32_e32 v84, 0x10000, v2
	v_cmp_eq_u32_sdwa s[2:3], v2, v21 src0_sel:WORD_0 src1_sel:DWORD
	s_nop 1
	v_cndmask_b32_e64 v84, v84, v2, s[2:3]
; %bb.265:                              ;   in Loop: Header=BB176_52 Depth=1
	s_or_b64 exec, exec, s[16:17]
	v_lshlrev_b32_e32 v2, 16, v3
	v_mul_f32_e32 v2, v49, v2
	v_and_b32_e32 v3, 0x7f800000, v2
	v_cmp_ne_u32_e64 s[2:3], s21, v3
                                        ; implicit-def: $vgpr85
	s_and_saveexec_b64 s[16:17], s[2:3]
	s_xor_b64 s[2:3], exec, s[16:17]
; %bb.266:                              ;   in Loop: Header=BB176_52 Depth=1
	v_bfe_u32 v3, v2, 16, 1
	v_add3_u32 v85, v2, v3, s22
                                        ; implicit-def: $vgpr2
; %bb.267:                              ;   in Loop: Header=BB176_52 Depth=1
	s_andn2_saveexec_b64 s[16:17], s[2:3]
; %bb.268:                              ;   in Loop: Header=BB176_52 Depth=1
	v_or_b32_e32 v3, 0x10000, v2
	v_cmp_eq_u32_sdwa s[2:3], v2, v21 src0_sel:WORD_0 src1_sel:DWORD
	s_nop 1
	v_cndmask_b32_e64 v85, v3, v2, s[2:3]
; %bb.269:                              ;   in Loop: Header=BB176_52 Depth=1
	s_or_b64 exec, exec, s[16:17]
	v_lshlrev_b32_e32 v2, 16, v86
	v_mul_f32_e32 v2, v50, v2
	v_and_b32_e32 v3, 0x7f800000, v2
	v_cmp_ne_u32_e64 s[2:3], s21, v3
                                        ; implicit-def: $vgpr86
	s_and_saveexec_b64 s[16:17], s[2:3]
	s_xor_b64 s[2:3], exec, s[16:17]
; %bb.270:                              ;   in Loop: Header=BB176_52 Depth=1
	v_bfe_u32 v3, v2, 16, 1
	v_add3_u32 v86, v2, v3, s22
                                        ; implicit-def: $vgpr2
; %bb.271:                              ;   in Loop: Header=BB176_52 Depth=1
	s_andn2_saveexec_b64 s[16:17], s[2:3]
; %bb.272:                              ;   in Loop: Header=BB176_52 Depth=1
	v_or_b32_e32 v3, 0x10000, v2
	v_cmp_eq_u32_sdwa s[2:3], v2, v21 src0_sel:WORD_0 src1_sel:DWORD
	s_nop 1
	v_cndmask_b32_e64 v86, v3, v2, s[2:3]
; %bb.273:                              ;   in Loop: Header=BB176_52 Depth=1
	s_or_b64 exec, exec, s[16:17]
	v_lshlrev_b32_e32 v2, 16, v4
	v_mul_f32_e32 v2, v51, v2
	v_and_b32_e32 v3, 0x7f800000, v2
	v_cmp_ne_u32_e64 s[2:3], s21, v3
                                        ; implicit-def: $vgpr87
	s_and_saveexec_b64 s[16:17], s[2:3]
	s_xor_b64 s[2:3], exec, s[16:17]
; %bb.274:                              ;   in Loop: Header=BB176_52 Depth=1
	v_bfe_u32 v3, v2, 16, 1
	v_add3_u32 v87, v2, v3, s22
                                        ; implicit-def: $vgpr2
; %bb.275:                              ;   in Loop: Header=BB176_52 Depth=1
	s_andn2_saveexec_b64 s[16:17], s[2:3]
; %bb.276:                              ;   in Loop: Header=BB176_52 Depth=1
	v_or_b32_e32 v3, 0x10000, v2
	v_cmp_eq_u32_sdwa s[2:3], v2, v21 src0_sel:WORD_0 src1_sel:DWORD
	s_nop 1
	v_cndmask_b32_e64 v87, v3, v2, s[2:3]
; %bb.277:                              ;   in Loop: Header=BB176_52 Depth=1
	s_or_b64 exec, exec, s[16:17]
	v_lshlrev_b32_e32 v2, 16, v31
	v_mul_f32_e32 v2, v52, v2
	v_and_b32_e32 v3, 0x7f800000, v2
	v_cmp_ne_u32_e64 s[2:3], s21, v3
                                        ; implicit-def: $vgpr88
	s_and_saveexec_b64 s[16:17], s[2:3]
	s_xor_b64 s[2:3], exec, s[16:17]
; %bb.278:                              ;   in Loop: Header=BB176_52 Depth=1
	v_bfe_u32 v3, v2, 16, 1
	v_add3_u32 v88, v2, v3, s22
                                        ; implicit-def: $vgpr2
; %bb.279:                              ;   in Loop: Header=BB176_52 Depth=1
	s_andn2_saveexec_b64 s[16:17], s[2:3]
; %bb.280:                              ;   in Loop: Header=BB176_52 Depth=1
	v_or_b32_e32 v3, 0x10000, v2
	v_cmp_eq_u32_sdwa s[2:3], v2, v21 src0_sel:WORD_0 src1_sel:DWORD
	s_nop 1
	v_cndmask_b32_e64 v88, v3, v2, s[2:3]
; %bb.281:                              ;   in Loop: Header=BB176_52 Depth=1
	s_or_b64 exec, exec, s[16:17]
	v_lshlrev_b32_e32 v2, 16, v5
	v_mul_f32_e32 v2, v53, v2
	v_and_b32_e32 v3, 0x7f800000, v2
	v_cmp_ne_u32_e64 s[2:3], s21, v3
                                        ; implicit-def: $vgpr89
	s_and_saveexec_b64 s[16:17], s[2:3]
	s_xor_b64 s[2:3], exec, s[16:17]
; %bb.282:                              ;   in Loop: Header=BB176_52 Depth=1
	v_bfe_u32 v3, v2, 16, 1
	v_add3_u32 v89, v2, v3, s22
                                        ; implicit-def: $vgpr2
; %bb.283:                              ;   in Loop: Header=BB176_52 Depth=1
	s_andn2_saveexec_b64 s[16:17], s[2:3]
; %bb.284:                              ;   in Loop: Header=BB176_52 Depth=1
	v_or_b32_e32 v3, 0x10000, v2
	v_cmp_eq_u32_sdwa s[2:3], v2, v21 src0_sel:WORD_0 src1_sel:DWORD
	s_nop 1
	v_cndmask_b32_e64 v89, v3, v2, s[2:3]
; %bb.285:                              ;   in Loop: Header=BB176_52 Depth=1
	s_or_b64 exec, exec, s[16:17]
	v_lshlrev_b32_e32 v2, 16, v29
	v_mul_f32_e32 v2, v54, v2
	v_and_b32_e32 v3, 0x7f800000, v2
	v_cmp_ne_u32_e64 s[2:3], s21, v3
                                        ; implicit-def: $vgpr90
	s_and_saveexec_b64 s[16:17], s[2:3]
	s_xor_b64 s[2:3], exec, s[16:17]
; %bb.286:                              ;   in Loop: Header=BB176_52 Depth=1
	v_bfe_u32 v3, v2, 16, 1
	v_add3_u32 v90, v2, v3, s22
                                        ; implicit-def: $vgpr2
; %bb.287:                              ;   in Loop: Header=BB176_52 Depth=1
	s_andn2_saveexec_b64 s[16:17], s[2:3]
; %bb.288:                              ;   in Loop: Header=BB176_52 Depth=1
	v_or_b32_e32 v3, 0x10000, v2
	v_cmp_eq_u32_sdwa s[2:3], v2, v21 src0_sel:WORD_0 src1_sel:DWORD
	s_nop 1
	v_cndmask_b32_e64 v90, v3, v2, s[2:3]
; %bb.289:                              ;   in Loop: Header=BB176_52 Depth=1
	s_or_b64 exec, exec, s[16:17]
	v_mov_b32_e32 v29, v21
	v_lshl_add_u64 v[2:3], v[6:7], 0, v[28:29]
	global_load_dwordx4 v[2:5], v[2:3], off
	s_waitcnt vmcnt(0)
	v_lshrrev_b32_e32 v91, 16, v2
	v_lshrrev_b32_e32 v93, 16, v3
	;; [unrolled: 1-line block ×4, first 2 shown]
	s_and_saveexec_b64 s[16:17], s[0:1]
	s_cbranch_execz .LBB176_291
; %bb.290:                              ;   in Loop: Header=BB176_52 Depth=1
	v_cmp_gt_i32_e64 s[2:3], s29, v45
	v_add_u32_e32 v29, 1, v45
	s_nop 0
	v_cndmask_b32_e64 v2, 0, v2, s[2:3]
	v_cmp_gt_i32_e64 s[2:3], s29, v29
	v_add_u32_e32 v29, 2, v45
	s_nop 0
	v_cndmask_b32_e64 v91, 0, v91, s[2:3]
	;; [unrolled: 4-line block ×7, first 2 shown]
	v_cmp_gt_i32_e64 s[2:3], s29, v29
	s_nop 1
	v_cndmask_b32_e64 v31, 0, v31, s[2:3]
.LBB176_291:                            ;   in Loop: Header=BB176_52 Depth=1
	s_or_b64 exec, exec, s[16:17]
	v_lshlrev_b32_e32 v2, 16, v2
	v_mul_f32_e32 v2, v47, v2
	v_and_b32_e32 v29, 0x7f800000, v2
	v_cmp_ne_u32_e64 s[2:3], s21, v29
                                        ; implicit-def: $vgpr29
	s_and_saveexec_b64 s[16:17], s[2:3]
	s_xor_b64 s[2:3], exec, s[16:17]
; %bb.292:                              ;   in Loop: Header=BB176_52 Depth=1
	v_bfe_u32 v29, v2, 16, 1
	v_add3_u32 v29, v2, v29, s22
                                        ; implicit-def: $vgpr2
; %bb.293:                              ;   in Loop: Header=BB176_52 Depth=1
	s_andn2_saveexec_b64 s[16:17], s[2:3]
; %bb.294:                              ;   in Loop: Header=BB176_52 Depth=1
	v_or_b32_e32 v29, 0x10000, v2
	v_cmp_eq_u32_sdwa s[2:3], v2, v21 src0_sel:WORD_0 src1_sel:DWORD
	s_nop 1
	v_cndmask_b32_e64 v29, v29, v2, s[2:3]
; %bb.295:                              ;   in Loop: Header=BB176_52 Depth=1
	s_or_b64 exec, exec, s[16:17]
	v_lshlrev_b32_e32 v2, 16, v91
	v_mul_f32_e32 v2, v48, v2
	v_and_b32_e32 v91, 0x7f800000, v2
	v_cmp_ne_u32_e64 s[2:3], s21, v91
                                        ; implicit-def: $vgpr91
	s_and_saveexec_b64 s[16:17], s[2:3]
	s_xor_b64 s[2:3], exec, s[16:17]
; %bb.296:                              ;   in Loop: Header=BB176_52 Depth=1
	v_bfe_u32 v91, v2, 16, 1
	v_add3_u32 v91, v2, v91, s22
                                        ; implicit-def: $vgpr2
; %bb.297:                              ;   in Loop: Header=BB176_52 Depth=1
	s_andn2_saveexec_b64 s[16:17], s[2:3]
; %bb.298:                              ;   in Loop: Header=BB176_52 Depth=1
	v_or_b32_e32 v91, 0x10000, v2
	v_cmp_eq_u32_sdwa s[2:3], v2, v21 src0_sel:WORD_0 src1_sel:DWORD
	s_nop 1
	v_cndmask_b32_e64 v91, v91, v2, s[2:3]
; %bb.299:                              ;   in Loop: Header=BB176_52 Depth=1
	s_or_b64 exec, exec, s[16:17]
	v_lshlrev_b32_e32 v2, 16, v3
	v_mul_f32_e32 v2, v49, v2
	v_and_b32_e32 v3, 0x7f800000, v2
	v_cmp_ne_u32_e64 s[2:3], s21, v3
                                        ; implicit-def: $vgpr92
	s_and_saveexec_b64 s[16:17], s[2:3]
	s_xor_b64 s[2:3], exec, s[16:17]
; %bb.300:                              ;   in Loop: Header=BB176_52 Depth=1
	v_bfe_u32 v3, v2, 16, 1
	v_add3_u32 v92, v2, v3, s22
                                        ; implicit-def: $vgpr2
; %bb.301:                              ;   in Loop: Header=BB176_52 Depth=1
	s_andn2_saveexec_b64 s[16:17], s[2:3]
; %bb.302:                              ;   in Loop: Header=BB176_52 Depth=1
	v_or_b32_e32 v3, 0x10000, v2
	v_cmp_eq_u32_sdwa s[2:3], v2, v21 src0_sel:WORD_0 src1_sel:DWORD
	s_nop 1
	v_cndmask_b32_e64 v92, v3, v2, s[2:3]
; %bb.303:                              ;   in Loop: Header=BB176_52 Depth=1
	s_or_b64 exec, exec, s[16:17]
	v_lshlrev_b32_e32 v2, 16, v93
	v_mul_f32_e32 v2, v50, v2
	v_and_b32_e32 v3, 0x7f800000, v2
	v_cmp_ne_u32_e64 s[2:3], s21, v3
                                        ; implicit-def: $vgpr93
	s_and_saveexec_b64 s[16:17], s[2:3]
	s_xor_b64 s[2:3], exec, s[16:17]
; %bb.304:                              ;   in Loop: Header=BB176_52 Depth=1
	v_bfe_u32 v3, v2, 16, 1
	v_add3_u32 v93, v2, v3, s22
                                        ; implicit-def: $vgpr2
; %bb.305:                              ;   in Loop: Header=BB176_52 Depth=1
	s_andn2_saveexec_b64 s[16:17], s[2:3]
; %bb.306:                              ;   in Loop: Header=BB176_52 Depth=1
	v_or_b32_e32 v3, 0x10000, v2
	v_cmp_eq_u32_sdwa s[2:3], v2, v21 src0_sel:WORD_0 src1_sel:DWORD
	s_nop 1
	v_cndmask_b32_e64 v93, v3, v2, s[2:3]
; %bb.307:                              ;   in Loop: Header=BB176_52 Depth=1
	s_or_b64 exec, exec, s[16:17]
	v_lshlrev_b32_e32 v2, 16, v4
	v_mul_f32_e32 v2, v51, v2
	v_and_b32_e32 v3, 0x7f800000, v2
	v_cmp_ne_u32_e64 s[2:3], s21, v3
                                        ; implicit-def: $vgpr94
	s_and_saveexec_b64 s[16:17], s[2:3]
	s_xor_b64 s[2:3], exec, s[16:17]
; %bb.308:                              ;   in Loop: Header=BB176_52 Depth=1
	v_bfe_u32 v3, v2, 16, 1
	v_add3_u32 v94, v2, v3, s22
                                        ; implicit-def: $vgpr2
; %bb.309:                              ;   in Loop: Header=BB176_52 Depth=1
	s_andn2_saveexec_b64 s[16:17], s[2:3]
; %bb.310:                              ;   in Loop: Header=BB176_52 Depth=1
	v_or_b32_e32 v3, 0x10000, v2
	v_cmp_eq_u32_sdwa s[2:3], v2, v21 src0_sel:WORD_0 src1_sel:DWORD
	s_nop 1
	v_cndmask_b32_e64 v94, v3, v2, s[2:3]
; %bb.311:                              ;   in Loop: Header=BB176_52 Depth=1
	s_or_b64 exec, exec, s[16:17]
	v_lshlrev_b32_e32 v2, 16, v95
	v_mul_f32_e32 v2, v52, v2
	v_and_b32_e32 v3, 0x7f800000, v2
	v_cmp_ne_u32_e64 s[2:3], s21, v3
                                        ; implicit-def: $vgpr95
	s_and_saveexec_b64 s[16:17], s[2:3]
	s_xor_b64 s[2:3], exec, s[16:17]
; %bb.312:                              ;   in Loop: Header=BB176_52 Depth=1
	v_bfe_u32 v3, v2, 16, 1
	v_add3_u32 v95, v2, v3, s22
                                        ; implicit-def: $vgpr2
; %bb.313:                              ;   in Loop: Header=BB176_52 Depth=1
	s_andn2_saveexec_b64 s[16:17], s[2:3]
; %bb.314:                              ;   in Loop: Header=BB176_52 Depth=1
	v_or_b32_e32 v3, 0x10000, v2
	v_cmp_eq_u32_sdwa s[2:3], v2, v21 src0_sel:WORD_0 src1_sel:DWORD
	s_nop 1
	v_cndmask_b32_e64 v95, v3, v2, s[2:3]
; %bb.315:                              ;   in Loop: Header=BB176_52 Depth=1
	s_or_b64 exec, exec, s[16:17]
	v_lshlrev_b32_e32 v2, 16, v5
	v_mul_f32_e32 v2, v53, v2
	v_and_b32_e32 v3, 0x7f800000, v2
	v_cmp_ne_u32_e64 s[2:3], s21, v3
                                        ; implicit-def: $vgpr96
	s_and_saveexec_b64 s[16:17], s[2:3]
	s_xor_b64 s[2:3], exec, s[16:17]
; %bb.316:                              ;   in Loop: Header=BB176_52 Depth=1
	v_bfe_u32 v3, v2, 16, 1
	v_add3_u32 v96, v2, v3, s22
                                        ; implicit-def: $vgpr2
; %bb.317:                              ;   in Loop: Header=BB176_52 Depth=1
	s_andn2_saveexec_b64 s[16:17], s[2:3]
; %bb.318:                              ;   in Loop: Header=BB176_52 Depth=1
	v_or_b32_e32 v3, 0x10000, v2
	v_cmp_eq_u32_sdwa s[2:3], v2, v21 src0_sel:WORD_0 src1_sel:DWORD
	s_nop 1
	v_cndmask_b32_e64 v96, v3, v2, s[2:3]
; %bb.319:                              ;   in Loop: Header=BB176_52 Depth=1
	s_or_b64 exec, exec, s[16:17]
	v_lshlrev_b32_e32 v2, 16, v31
	v_mul_f32_e32 v2, v54, v2
	v_and_b32_e32 v3, 0x7f800000, v2
	v_cmp_ne_u32_e64 s[2:3], s21, v3
                                        ; implicit-def: $vgpr97
	s_and_saveexec_b64 s[16:17], s[2:3]
	s_xor_b64 s[2:3], exec, s[16:17]
	s_cbranch_execnz .LBB176_322
; %bb.320:                              ;   in Loop: Header=BB176_52 Depth=1
	s_andn2_saveexec_b64 s[16:17], s[2:3]
	s_cbranch_execnz .LBB176_323
.LBB176_321:                            ;   in Loop: Header=BB176_52 Depth=1
	s_or_b64 exec, exec, s[16:17]
	s_and_saveexec_b64 s[2:3], vcc
	s_cbranch_execz .LBB176_50
	s_branch .LBB176_324
.LBB176_322:                            ;   in Loop: Header=BB176_52 Depth=1
	v_bfe_u32 v3, v2, 16, 1
	v_add3_u32 v97, v2, v3, s22
                                        ; implicit-def: $vgpr2
	s_andn2_saveexec_b64 s[16:17], s[2:3]
	s_cbranch_execz .LBB176_321
.LBB176_323:                            ;   in Loop: Header=BB176_52 Depth=1
	v_or_b32_e32 v3, 0x10000, v2
	v_cmp_eq_u32_sdwa s[2:3], v2, v21 src0_sel:WORD_0 src1_sel:DWORD
	s_nop 1
	v_cndmask_b32_e64 v97, v3, v2, s[2:3]
	s_or_b64 exec, exec, s[16:17]
	s_and_saveexec_b64 s[2:3], vcc
	s_cbranch_execz .LBB176_50
.LBB176_324:                            ;   in Loop: Header=BB176_52 Depth=1
	v_mov_b32_e32 v31, v21
	v_lshl_add_u64 v[2:3], v[6:7], 0, v[30:31]
	global_load_dwordx4 v[2:5], v[2:3], off
	s_waitcnt vmcnt(0)
	v_lshrrev_b32_e32 v7, 16, v2
	v_lshrrev_b32_e32 v98, 16, v3
	;; [unrolled: 1-line block ×4, first 2 shown]
	s_and_saveexec_b64 s[16:17], s[0:1]
	s_cbranch_execz .LBB176_326
; %bb.325:                              ;   in Loop: Header=BB176_52 Depth=1
	v_cmp_gt_i32_e64 s[0:1], s29, v45
	v_add_u32_e32 v99, 1, v45
	s_nop 0
	v_cndmask_b32_e64 v2, 0, v2, s[0:1]
	v_cmp_gt_i32_e64 s[0:1], s29, v99
	v_add_u32_e32 v99, 2, v45
	s_nop 0
	v_cndmask_b32_e64 v7, 0, v7, s[0:1]
	;; [unrolled: 4-line block ×5, first 2 shown]
	v_cmp_gt_i32_e64 s[0:1], s29, v99
	v_add_u32_e32 v99, 6, v45
	v_add_u32_e32 v45, 7, v45
	v_cndmask_b32_e64 v31, 0, v31, s[0:1]
	v_cmp_gt_i32_e64 s[0:1], s29, v99
	s_nop 1
	v_cndmask_b32_e64 v5, 0, v5, s[0:1]
	v_cmp_gt_i32_e64 s[0:1], s29, v45
	s_nop 1
	v_cndmask_b32_e64 v6, 0, v6, s[0:1]
.LBB176_326:                            ;   in Loop: Header=BB176_52 Depth=1
	s_or_b64 exec, exec, s[16:17]
	v_lshlrev_b32_e32 v2, 16, v2
	v_mul_f32_e32 v45, v47, v2
	v_and_b32_e32 v2, 0x7f800000, v45
	v_cmp_ne_u32_e64 s[0:1], s21, v2
                                        ; implicit-def: $vgpr2
	s_and_saveexec_b64 s[16:17], s[0:1]
	s_xor_b64 s[0:1], exec, s[16:17]
; %bb.327:                              ;   in Loop: Header=BB176_52 Depth=1
	v_bfe_u32 v2, v45, 16, 1
	v_add3_u32 v2, v45, v2, s22
                                        ; implicit-def: $vgpr45
; %bb.328:                              ;   in Loop: Header=BB176_52 Depth=1
	s_andn2_saveexec_b64 s[16:17], s[0:1]
; %bb.329:                              ;   in Loop: Header=BB176_52 Depth=1
	v_or_b32_e32 v2, 0x10000, v45
	v_cmp_eq_u32_sdwa s[0:1], v45, v21 src0_sel:WORD_0 src1_sel:DWORD
	s_nop 1
	v_cndmask_b32_e64 v2, v2, v45, s[0:1]
; %bb.330:                              ;   in Loop: Header=BB176_52 Depth=1
	s_or_b64 exec, exec, s[16:17]
	v_lshlrev_b32_e32 v7, 16, v7
	v_mul_f32_e32 v45, v48, v7
	v_and_b32_e32 v7, 0x7f800000, v45
	v_cmp_ne_u32_e64 s[0:1], s21, v7
                                        ; implicit-def: $vgpr7
	s_and_saveexec_b64 s[16:17], s[0:1]
	s_xor_b64 s[0:1], exec, s[16:17]
; %bb.331:                              ;   in Loop: Header=BB176_52 Depth=1
	v_bfe_u32 v7, v45, 16, 1
	v_add3_u32 v7, v45, v7, s22
                                        ; implicit-def: $vgpr45
; %bb.332:                              ;   in Loop: Header=BB176_52 Depth=1
	s_andn2_saveexec_b64 s[16:17], s[0:1]
; %bb.333:                              ;   in Loop: Header=BB176_52 Depth=1
	v_or_b32_e32 v7, 0x10000, v45
	v_cmp_eq_u32_sdwa s[0:1], v45, v21 src0_sel:WORD_0 src1_sel:DWORD
	s_nop 1
	v_cndmask_b32_e64 v7, v7, v45, s[0:1]
; %bb.334:                              ;   in Loop: Header=BB176_52 Depth=1
	s_or_b64 exec, exec, s[16:17]
	v_lshlrev_b32_e32 v3, 16, v3
	v_mul_f32_e32 v45, v49, v3
	v_and_b32_e32 v3, 0x7f800000, v45
	v_cmp_ne_u32_e64 s[0:1], s21, v3
                                        ; implicit-def: $vgpr3
	s_and_saveexec_b64 s[16:17], s[0:1]
	s_xor_b64 s[0:1], exec, s[16:17]
; %bb.335:                              ;   in Loop: Header=BB176_52 Depth=1
	v_bfe_u32 v3, v45, 16, 1
	v_add3_u32 v3, v45, v3, s22
                                        ; implicit-def: $vgpr45
; %bb.336:                              ;   in Loop: Header=BB176_52 Depth=1
	s_andn2_saveexec_b64 s[16:17], s[0:1]
; %bb.337:                              ;   in Loop: Header=BB176_52 Depth=1
	v_or_b32_e32 v3, 0x10000, v45
	v_cmp_eq_u32_sdwa s[0:1], v45, v21 src0_sel:WORD_0 src1_sel:DWORD
	s_nop 1
	v_cndmask_b32_e64 v3, v3, v45, s[0:1]
; %bb.338:                              ;   in Loop: Header=BB176_52 Depth=1
	s_or_b64 exec, exec, s[16:17]
	v_lshlrev_b32_e32 v45, 16, v98
	v_mul_f32_e32 v47, v50, v45
	v_and_b32_e32 v45, 0x7f800000, v47
	v_cmp_ne_u32_e64 s[0:1], s21, v45
                                        ; implicit-def: $vgpr45
	s_and_saveexec_b64 s[16:17], s[0:1]
	s_xor_b64 s[0:1], exec, s[16:17]
; %bb.339:                              ;   in Loop: Header=BB176_52 Depth=1
	v_bfe_u32 v45, v47, 16, 1
	v_add3_u32 v45, v47, v45, s22
                                        ; implicit-def: $vgpr47
; %bb.340:                              ;   in Loop: Header=BB176_52 Depth=1
	s_andn2_saveexec_b64 s[16:17], s[0:1]
; %bb.341:                              ;   in Loop: Header=BB176_52 Depth=1
	v_or_b32_e32 v45, 0x10000, v47
	v_cmp_eq_u32_sdwa s[0:1], v47, v21 src0_sel:WORD_0 src1_sel:DWORD
	s_nop 1
	v_cndmask_b32_e64 v45, v45, v47, s[0:1]
; %bb.342:                              ;   in Loop: Header=BB176_52 Depth=1
	s_or_b64 exec, exec, s[16:17]
	v_lshlrev_b32_e32 v4, 16, v4
	v_mul_f32_e32 v47, v51, v4
	v_and_b32_e32 v4, 0x7f800000, v47
	v_cmp_ne_u32_e64 s[0:1], s21, v4
                                        ; implicit-def: $vgpr4
	s_and_saveexec_b64 s[16:17], s[0:1]
	s_xor_b64 s[0:1], exec, s[16:17]
; %bb.343:                              ;   in Loop: Header=BB176_52 Depth=1
	v_bfe_u32 v4, v47, 16, 1
	v_add3_u32 v4, v47, v4, s22
                                        ; implicit-def: $vgpr47
; %bb.344:                              ;   in Loop: Header=BB176_52 Depth=1
	s_andn2_saveexec_b64 s[16:17], s[0:1]
; %bb.345:                              ;   in Loop: Header=BB176_52 Depth=1
	v_or_b32_e32 v4, 0x10000, v47
	v_cmp_eq_u32_sdwa s[0:1], v47, v21 src0_sel:WORD_0 src1_sel:DWORD
	s_nop 1
	v_cndmask_b32_e64 v4, v4, v47, s[0:1]
; %bb.346:                              ;   in Loop: Header=BB176_52 Depth=1
	s_or_b64 exec, exec, s[16:17]
	v_lshlrev_b32_e32 v31, 16, v31
	v_mul_f32_e32 v47, v52, v31
	v_and_b32_e32 v31, 0x7f800000, v47
	v_cmp_ne_u32_e64 s[0:1], s21, v31
                                        ; implicit-def: $vgpr31
	s_and_saveexec_b64 s[16:17], s[0:1]
	s_xor_b64 s[0:1], exec, s[16:17]
; %bb.347:                              ;   in Loop: Header=BB176_52 Depth=1
	v_bfe_u32 v31, v47, 16, 1
	v_add3_u32 v31, v47, v31, s22
                                        ; implicit-def: $vgpr47
; %bb.348:                              ;   in Loop: Header=BB176_52 Depth=1
	s_andn2_saveexec_b64 s[16:17], s[0:1]
; %bb.349:                              ;   in Loop: Header=BB176_52 Depth=1
	v_or_b32_e32 v31, 0x10000, v47
	v_cmp_eq_u32_sdwa s[0:1], v47, v21 src0_sel:WORD_0 src1_sel:DWORD
	s_nop 1
	v_cndmask_b32_e64 v31, v31, v47, s[0:1]
; %bb.350:                              ;   in Loop: Header=BB176_52 Depth=1
	s_or_b64 exec, exec, s[16:17]
	v_lshlrev_b32_e32 v5, 16, v5
	v_mul_f32_e32 v47, v53, v5
	v_and_b32_e32 v5, 0x7f800000, v47
	v_cmp_ne_u32_e64 s[0:1], s21, v5
                                        ; implicit-def: $vgpr5
	s_and_saveexec_b64 s[16:17], s[0:1]
	s_xor_b64 s[0:1], exec, s[16:17]
; %bb.351:                              ;   in Loop: Header=BB176_52 Depth=1
	v_bfe_u32 v5, v47, 16, 1
	v_add3_u32 v5, v47, v5, s22
                                        ; implicit-def: $vgpr47
; %bb.352:                              ;   in Loop: Header=BB176_52 Depth=1
	s_andn2_saveexec_b64 s[16:17], s[0:1]
; %bb.353:                              ;   in Loop: Header=BB176_52 Depth=1
	v_or_b32_e32 v5, 0x10000, v47
	v_cmp_eq_u32_sdwa s[0:1], v47, v21 src0_sel:WORD_0 src1_sel:DWORD
	s_nop 1
	v_cndmask_b32_e64 v5, v5, v47, s[0:1]
; %bb.354:                              ;   in Loop: Header=BB176_52 Depth=1
	s_or_b64 exec, exec, s[16:17]
	v_lshlrev_b32_e32 v6, 16, v6
	v_mul_f32_e32 v6, v54, v6
	v_and_b32_e32 v47, 0x7f800000, v6
	v_cmp_ne_u32_e64 s[0:1], s21, v47
                                        ; implicit-def: $vgpr47
	s_and_saveexec_b64 s[16:17], s[0:1]
	s_xor_b64 s[0:1], exec, s[16:17]
; %bb.355:                              ;   in Loop: Header=BB176_52 Depth=1
	v_bfe_u32 v47, v6, 16, 1
	v_add3_u32 v47, v6, v47, s22
                                        ; implicit-def: $vgpr6
; %bb.356:                              ;   in Loop: Header=BB176_52 Depth=1
	s_andn2_saveexec_b64 s[16:17], s[0:1]
	s_cbranch_execz .LBB176_49
; %bb.357:                              ;   in Loop: Header=BB176_52 Depth=1
	v_or_b32_e32 v47, 0x10000, v6
	v_cmp_eq_u32_sdwa s[0:1], v6, v21 src0_sel:WORD_0 src1_sel:DWORD
	s_nop 1
	v_cndmask_b32_e64 v47, v47, v6, s[0:1]
	s_branch .LBB176_49
.LBB176_358:
	s_or_b64 exec, exec, s[12:13]
.LBB176_359:
	s_or_b64 exec, exec, s[10:11]
	ds_bpermute_b32 v4, v32, v16
	ds_bpermute_b32 v5, v32, v17
	;; [unrolled: 1-line block ×6, first 2 shown]
	s_waitcnt lgkmcnt(4)
	v_pk_add_f32 v[4:5], v[16:17], v[4:5]
	ds_bpermute_b32 v16, v32, v12
	ds_bpermute_b32 v17, v32, v13
	s_waitcnt lgkmcnt(4)
	v_pk_add_f32 v[2:3], v[18:19], v[2:3]
	s_waitcnt lgkmcnt(2)
	v_pk_add_f32 v[14:15], v[14:15], v[8:9]
	ds_bpermute_b32 v6, v33, v2
	ds_bpermute_b32 v7, v33, v3
	s_waitcnt lgkmcnt(2)
	v_pk_add_f32 v[12:13], v[12:13], v[16:17]
	ds_bpermute_b32 v10, v33, v4
	ds_bpermute_b32 v11, v33, v5
	;; [unrolled: 1-line block ×6, first 2 shown]
	v_and_b32_e32 v1, 0x3c0, v0
	s_waitcnt lgkmcnt(6)
	v_pk_add_f32 v[8:9], v[2:3], v[6:7]
	s_waitcnt lgkmcnt(4)
	v_pk_add_f32 v[4:5], v[4:5], v[10:11]
	;; [unrolled: 2-line block ×4, first 2 shown]
	v_cmp_eq_u32_e32 vcc, 64, v1
	s_barrier
	s_and_saveexec_b64 s[2:3], vcc
	s_cbranch_execz .LBB176_364
; %bb.360:
	v_cmp_eq_u32_e32 vcc, 0, v34
	s_and_saveexec_b64 s[0:1], vcc
	s_cbranch_execz .LBB176_362
; %bb.361:
	v_mov_b32_e32 v1, 0x100
	v_lshl_add_u32 v1, v35, 2, v1
	ds_write2_b32 v1, v8, v9 offset1:16
	ds_write2_b32 v1, v4, v5 offset0:32 offset1:48
	ds_write2_b32 v1, v2, v3 offset0:64 offset1:80
	ds_write_b32 v1, v6 offset:384
.LBB176_362:
	s_or_b64 exec, exec, s[0:1]
	v_or_b32_e32 v1, 0x70, v35
	s_movk_i32 s0, 0x78
	v_cmp_gt_u32_e64 s[0:1], s0, v1
	s_and_b64 s[0:1], vcc, s[0:1]
	s_and_b64 exec, exec, s[0:1]
	s_cbranch_execz .LBB176_364
; %bb.363:
	v_mov_b32_e32 v1, 0x100
	v_lshl_add_u32 v1, v35, 2, v1
	ds_write_b32 v1, v7 offset:448
.LBB176_364:
	s_or_b64 exec, exec, s[2:3]
	v_cmp_gt_u32_e32 vcc, 64, v0
	v_lshrrev_b32_e32 v10, 2, v0
	s_waitcnt lgkmcnt(0)
	s_barrier
	s_and_saveexec_b64 s[8:9], vcc
	s_cbranch_execz .LBB176_376
; %bb.365:
	v_cmp_eq_u32_e64 s[0:1], 0, v34
	s_and_saveexec_b64 s[2:3], s[0:1]
	s_cbranch_execnz .LBB176_414
; %bb.366:
	s_or_b64 exec, exec, s[2:3]
	s_and_saveexec_b64 s[2:3], s[0:1]
	s_cbranch_execnz .LBB176_415
.LBB176_367:
	s_or_b64 exec, exec, s[2:3]
	s_and_saveexec_b64 s[2:3], s[0:1]
	s_cbranch_execnz .LBB176_416
.LBB176_368:
	s_or_b64 exec, exec, s[2:3]
	s_and_saveexec_b64 s[2:3], s[0:1]
	s_cbranch_execnz .LBB176_417
.LBB176_369:
	s_or_b64 exec, exec, s[2:3]
	s_and_saveexec_b64 s[2:3], s[0:1]
	s_cbranch_execnz .LBB176_418
.LBB176_370:
	s_or_b64 exec, exec, s[2:3]
	s_and_saveexec_b64 s[2:3], s[0:1]
	s_cbranch_execnz .LBB176_419
.LBB176_371:
	s_or_b64 exec, exec, s[2:3]
	s_and_saveexec_b64 s[2:3], s[0:1]
	s_cbranch_execz .LBB176_373
.LBB176_372:
	v_mov_b32_e32 v0, 0x100
	v_lshl_add_u32 v0, v10, 2, v0
	ds_read_b32 v0, v0 offset:384
	s_waitcnt lgkmcnt(0)
	v_add_f32_e32 v6, v6, v0
.LBB176_373:
	s_or_b64 exec, exec, s[2:3]
	v_or_b32_e32 v0, 0x70, v10
	s_movk_i32 s2, 0x78
	v_cmp_gt_u32_e64 s[2:3], s2, v0
	s_and_b64 s[2:3], s[0:1], s[2:3]
	s_and_saveexec_b64 s[0:1], s[2:3]
	s_cbranch_execz .LBB176_375
; %bb.374:
	v_mov_b32_e32 v0, 0x100
	v_lshl_add_u32 v0, v10, 2, v0
	ds_read_b32 v0, v0 offset:448
	s_waitcnt lgkmcnt(0)
	v_add_f32_e32 v7, v7, v0
.LBB176_375:
	s_or_b64 exec, exec, s[0:1]
.LBB176_376:
	s_or_b64 exec, exec, s[8:9]
	s_barrier
	s_and_saveexec_b64 s[0:1], vcc
	s_cbranch_execz .LBB176_413
; %bb.377:
	s_mul_i32 s0, s6, 0x78
	s_ashr_i32 s1, s0, 31
	s_lshl_b64 s[0:1], s[0:1], 1
	s_add_u32 s2, s26, s0
	s_mul_i32 s0, s19, s24
	s_addc_u32 s3, s27, s1
	s_ashr_i32 s1, s0, 31
	s_lshl_b64 s[0:1], s[0:1], 1
	s_add_u32 s2, s2, s0
	s_mul_i32 s0, s4, 0x78
	s_addc_u32 s3, s3, s1
	s_ashr_i32 s1, s0, 31
	s_lshl_b64 s[0:1], s[0:1], 1
	s_add_u32 s2, s2, s0
	s_addc_u32 s3, s3, s1
	v_cmp_eq_u32_e32 vcc, 0, v34
	s_and_saveexec_b64 s[4:5], vcc
	s_cbranch_execz .LBB176_407
; %bb.378:
	s_mov_b32 s0, 0x7f800000
	v_and_b32_e32 v0, 0x7f800000, v8
	v_cmp_ne_u32_e64 s[0:1], s0, v0
                                        ; implicit-def: $vgpr11
	s_and_saveexec_b64 s[6:7], s[0:1]
	s_xor_b64 s[0:1], exec, s[6:7]
; %bb.379:
	v_bfe_u32 v0, v8, 16, 1
	s_movk_i32 s6, 0x7fff
	v_add3_u32 v11, v8, v0, s6
; %bb.380:
	s_andn2_saveexec_b64 s[6:7], s[0:1]
; %bb.381:
	v_mov_b32_e32 v0, 0
	v_or_b32_e32 v1, 0x10000, v8
	v_cmp_eq_u32_sdwa s[0:1], v8, v0 src0_sel:WORD_0 src1_sel:DWORD
	s_nop 1
	v_cndmask_b32_e64 v11, v1, v8, s[0:1]
; %bb.382:
	s_or_b64 exec, exec, s[6:7]
	s_mov_b32 s0, 0x7f800000
	v_and_b32_e32 v8, 0x7f800000, v9
	v_lshlrev_b32_e32 v0, 1, v10
	v_mov_b32_e32 v1, 0
	v_cmp_ne_u32_e64 s[0:1], s0, v8
	global_store_short_d16_hi v0, v11, s[2:3]
                                        ; implicit-def: $vgpr8
	s_and_saveexec_b64 s[6:7], s[0:1]
	s_xor_b64 s[0:1], exec, s[6:7]
; %bb.383:
	v_bfe_u32 v8, v9, 16, 1
	s_movk_i32 s6, 0x7fff
	v_add3_u32 v8, v9, v8, s6
; %bb.384:
	s_or_saveexec_b64 s[6:7], s[0:1]
	v_lshl_add_u64 v[0:1], s[2:3], 0, v[0:1]
	s_xor_b64 exec, exec, s[6:7]
; %bb.385:
	v_mov_b32_e32 v8, 0
	v_or_b32_e32 v11, 0x10000, v9
	v_cmp_eq_u32_sdwa s[0:1], v9, v8 src0_sel:WORD_0 src1_sel:DWORD
	s_nop 1
	v_cndmask_b32_e64 v8, v11, v9, s[0:1]
; %bb.386:
	s_or_b64 exec, exec, s[6:7]
	global_store_short_d16_hi v[0:1], v8, off offset:32
	s_mov_b32 s0, 0x7f800000
	v_and_b32_e32 v8, 0x7f800000, v4
	v_cmp_ne_u32_e64 s[0:1], s0, v8
                                        ; implicit-def: $vgpr8
	s_and_saveexec_b64 s[6:7], s[0:1]
	s_xor_b64 s[0:1], exec, s[6:7]
; %bb.387:
	v_bfe_u32 v8, v4, 16, 1
	s_movk_i32 s6, 0x7fff
	v_add3_u32 v8, v4, v8, s6
; %bb.388:
	s_andn2_saveexec_b64 s[6:7], s[0:1]
; %bb.389:
	v_mov_b32_e32 v8, 0
	v_or_b32_e32 v9, 0x10000, v4
	v_cmp_eq_u32_sdwa s[0:1], v4, v8 src0_sel:WORD_0 src1_sel:DWORD
	s_nop 1
	v_cndmask_b32_e64 v8, v9, v4, s[0:1]
; %bb.390:
	s_or_b64 exec, exec, s[6:7]
	s_mov_b32 s0, 0x7f800000
	v_and_b32_e32 v4, 0x7f800000, v5
	v_cmp_ne_u32_e64 s[0:1], s0, v4
	global_store_short_d16_hi v[0:1], v8, off offset:64
                                        ; implicit-def: $vgpr4
	s_and_saveexec_b64 s[6:7], s[0:1]
	s_xor_b64 s[0:1], exec, s[6:7]
; %bb.391:
	v_bfe_u32 v4, v5, 16, 1
	s_movk_i32 s6, 0x7fff
	v_add3_u32 v4, v5, v4, s6
; %bb.392:
	s_andn2_saveexec_b64 s[6:7], s[0:1]
; %bb.393:
	v_mov_b32_e32 v4, 0
	v_or_b32_e32 v8, 0x10000, v5
	v_cmp_eq_u32_sdwa s[0:1], v5, v4 src0_sel:WORD_0 src1_sel:DWORD
	s_nop 1
	v_cndmask_b32_e64 v4, v8, v5, s[0:1]
; %bb.394:
	s_or_b64 exec, exec, s[6:7]
	global_store_short_d16_hi v[0:1], v4, off offset:96
	s_mov_b32 s0, 0x7f800000
	v_and_b32_e32 v4, 0x7f800000, v2
	v_cmp_ne_u32_e64 s[0:1], s0, v4
                                        ; implicit-def: $vgpr4
	s_and_saveexec_b64 s[6:7], s[0:1]
	s_xor_b64 s[0:1], exec, s[6:7]
; %bb.395:
	v_bfe_u32 v4, v2, 16, 1
	s_movk_i32 s6, 0x7fff
	v_add3_u32 v4, v2, v4, s6
; %bb.396:
	s_andn2_saveexec_b64 s[6:7], s[0:1]
; %bb.397:
	v_mov_b32_e32 v4, 0
	v_or_b32_e32 v5, 0x10000, v2
	v_cmp_eq_u32_sdwa s[0:1], v2, v4 src0_sel:WORD_0 src1_sel:DWORD
	s_nop 1
	v_cndmask_b32_e64 v4, v5, v2, s[0:1]
; %bb.398:
	s_or_b64 exec, exec, s[6:7]
	s_mov_b32 s0, 0x7f800000
	v_and_b32_e32 v2, 0x7f800000, v3
	v_cmp_ne_u32_e64 s[0:1], s0, v2
	global_store_short_d16_hi v[0:1], v4, off offset:128
                                        ; implicit-def: $vgpr2
	s_and_saveexec_b64 s[6:7], s[0:1]
	s_xor_b64 s[0:1], exec, s[6:7]
; %bb.399:
	v_bfe_u32 v2, v3, 16, 1
	s_movk_i32 s6, 0x7fff
	v_add3_u32 v2, v3, v2, s6
; %bb.400:
	s_andn2_saveexec_b64 s[6:7], s[0:1]
; %bb.401:
	v_mov_b32_e32 v2, 0
	v_or_b32_e32 v4, 0x10000, v3
	v_cmp_eq_u32_sdwa s[0:1], v3, v2 src0_sel:WORD_0 src1_sel:DWORD
	s_nop 1
	v_cndmask_b32_e64 v2, v4, v3, s[0:1]
; %bb.402:
	s_or_b64 exec, exec, s[6:7]
	global_store_short_d16_hi v[0:1], v2, off offset:160
	s_mov_b32 s0, 0x7f800000
	v_and_b32_e32 v2, 0x7f800000, v6
	v_cmp_ne_u32_e64 s[0:1], s0, v2
                                        ; implicit-def: $vgpr2
	s_and_saveexec_b64 s[6:7], s[0:1]
	s_xor_b64 s[0:1], exec, s[6:7]
; %bb.403:
	v_bfe_u32 v2, v6, 16, 1
	s_movk_i32 s6, 0x7fff
	v_add3_u32 v2, v6, v2, s6
; %bb.404:
	s_andn2_saveexec_b64 s[6:7], s[0:1]
; %bb.405:
	v_mov_b32_e32 v2, 0
	v_or_b32_e32 v3, 0x10000, v6
	v_cmp_eq_u32_sdwa s[0:1], v6, v2 src0_sel:WORD_0 src1_sel:DWORD
	s_nop 1
	v_cndmask_b32_e64 v2, v3, v6, s[0:1]
; %bb.406:
	s_or_b64 exec, exec, s[6:7]
	global_store_short_d16_hi v[0:1], v2, off offset:192
.LBB176_407:
	s_or_b64 exec, exec, s[4:5]
	v_or_b32_e32 v0, 0x70, v10
	s_movk_i32 s0, 0x78
	v_cmp_gt_u32_e64 s[0:1], s0, v0
	s_and_b64 s[0:1], vcc, s[0:1]
	s_and_b64 exec, exec, s[0:1]
	s_cbranch_execz .LBB176_413
; %bb.408:
	s_mov_b32 s0, 0x7f800000
	v_and_b32_e32 v0, 0x7f800000, v7
	v_cmp_ne_u32_e32 vcc, s0, v0
                                        ; implicit-def: $vgpr8
	s_and_saveexec_b64 s[0:1], vcc
	s_xor_b64 s[0:1], exec, s[0:1]
; %bb.409:
	v_bfe_u32 v0, v7, 16, 1
	s_movk_i32 s4, 0x7fff
	v_add3_u32 v8, v7, v0, s4
                                        ; implicit-def: $vgpr0_vgpr1_vgpr2_vgpr3_vgpr4_vgpr5_vgpr6_vgpr7
; %bb.410:
	s_andn2_saveexec_b64 s[0:1], s[0:1]
; %bb.411:
	v_mov_b32_e32 v0, 0
	v_or_b32_e32 v1, 0x10000, v7
	v_cmp_eq_u32_sdwa vcc, v7, v0 src0_sel:WORD_0 src1_sel:DWORD
	s_nop 1
	v_cndmask_b32_e32 v8, v1, v7, vcc
; %bb.412:
	s_or_b64 exec, exec, s[0:1]
	v_lshlrev_b32_e32 v0, 1, v10
	global_store_short_d16_hi v0, v8, s[2:3] offset:224
.LBB176_413:
	s_endpgm
.LBB176_414:
	v_mov_b32_e32 v0, 0x100
	v_lshl_add_u32 v0, v10, 2, v0
	ds_read_b32 v0, v0
	s_waitcnt lgkmcnt(0)
	v_add_f32_e32 v8, v8, v0
	s_or_b64 exec, exec, s[2:3]
	s_and_saveexec_b64 s[2:3], s[0:1]
	s_cbranch_execz .LBB176_367
.LBB176_415:
	v_mov_b32_e32 v0, 0x100
	v_lshl_add_u32 v0, v10, 2, v0
	ds_read_b32 v0, v0 offset:64
	s_waitcnt lgkmcnt(0)
	v_add_f32_e32 v9, v9, v0
	s_or_b64 exec, exec, s[2:3]
	s_and_saveexec_b64 s[2:3], s[0:1]
	s_cbranch_execz .LBB176_368
.LBB176_416:
	v_mov_b32_e32 v0, 0x100
	v_lshl_add_u32 v0, v10, 2, v0
	ds_read_b32 v0, v0 offset:128
	s_waitcnt lgkmcnt(0)
	v_add_f32_e32 v4, v4, v0
	s_or_b64 exec, exec, s[2:3]
	s_and_saveexec_b64 s[2:3], s[0:1]
	s_cbranch_execz .LBB176_369
.LBB176_417:
	v_mov_b32_e32 v0, 0x100
	v_lshl_add_u32 v0, v10, 2, v0
	ds_read_b32 v0, v0 offset:192
	s_waitcnt lgkmcnt(0)
	v_add_f32_e32 v5, v5, v0
	s_or_b64 exec, exec, s[2:3]
	s_and_saveexec_b64 s[2:3], s[0:1]
	s_cbranch_execz .LBB176_370
.LBB176_418:
	v_mov_b32_e32 v0, 0x100
	v_lshl_add_u32 v0, v10, 2, v0
	ds_read_b32 v0, v0 offset:256
	s_waitcnt lgkmcnt(0)
	v_add_f32_e32 v2, v2, v0
	s_or_b64 exec, exec, s[2:3]
	s_and_saveexec_b64 s[2:3], s[0:1]
	s_cbranch_execz .LBB176_371
.LBB176_419:
	v_mov_b32_e32 v0, 0x100
	v_lshl_add_u32 v0, v10, 2, v0
	ds_read_b32 v0, v0 offset:320
	s_waitcnt lgkmcnt(0)
	v_add_f32_e32 v3, v3, v0
	s_or_b64 exec, exec, s[2:3]
	s_and_saveexec_b64 s[2:3], s[0:1]
	s_cbranch_execnz .LBB176_372
	s_branch .LBB176_373
	.section	.rodata,"a",@progbits
	.p2align	6, 0x0
	.amdhsa_kernel _ZN4vllm25paged_attention_v2_kernelI14__hip_bfloat16S1_Li120ELi32ELi128ELNS_18Fp8KVCacheDataTypeE0ELb1ELi512EEEvPfS3_PT_PKS4_PKT0_SA_ifPKiSC_iPKfiiiSE_SE_iiiii
		.amdhsa_group_segment_fixed_size 256
		.amdhsa_private_segment_fixed_size 0
		.amdhsa_kernarg_size 400
		.amdhsa_user_sgpr_count 2
		.amdhsa_user_sgpr_dispatch_ptr 0
		.amdhsa_user_sgpr_queue_ptr 0
		.amdhsa_user_sgpr_kernarg_segment_ptr 1
		.amdhsa_user_sgpr_dispatch_id 0
		.amdhsa_user_sgpr_kernarg_preload_length 0
		.amdhsa_user_sgpr_kernarg_preload_offset 0
		.amdhsa_user_sgpr_private_segment_size 0
		.amdhsa_uses_dynamic_stack 0
		.amdhsa_enable_private_segment 0
		.amdhsa_system_sgpr_workgroup_id_x 1
		.amdhsa_system_sgpr_workgroup_id_y 1
		.amdhsa_system_sgpr_workgroup_id_z 1
		.amdhsa_system_sgpr_workgroup_info 0
		.amdhsa_system_vgpr_workitem_id 0
		.amdhsa_next_free_vgpr 100
		.amdhsa_next_free_sgpr 53
		.amdhsa_accum_offset 100
		.amdhsa_reserve_vcc 1
		.amdhsa_float_round_mode_32 0
		.amdhsa_float_round_mode_16_64 0
		.amdhsa_float_denorm_mode_32 3
		.amdhsa_float_denorm_mode_16_64 3
		.amdhsa_dx10_clamp 1
		.amdhsa_ieee_mode 1
		.amdhsa_fp16_overflow 0
		.amdhsa_tg_split 0
		.amdhsa_exception_fp_ieee_invalid_op 0
		.amdhsa_exception_fp_denorm_src 0
		.amdhsa_exception_fp_ieee_div_zero 0
		.amdhsa_exception_fp_ieee_overflow 0
		.amdhsa_exception_fp_ieee_underflow 0
		.amdhsa_exception_fp_ieee_inexact 0
		.amdhsa_exception_int_div_zero 0
	.end_amdhsa_kernel
	.section	.text._ZN4vllm25paged_attention_v2_kernelI14__hip_bfloat16S1_Li120ELi32ELi128ELNS_18Fp8KVCacheDataTypeE0ELb1ELi512EEEvPfS3_PT_PKS4_PKT0_SA_ifPKiSC_iPKfiiiSE_SE_iiiii,"axG",@progbits,_ZN4vllm25paged_attention_v2_kernelI14__hip_bfloat16S1_Li120ELi32ELi128ELNS_18Fp8KVCacheDataTypeE0ELb1ELi512EEEvPfS3_PT_PKS4_PKT0_SA_ifPKiSC_iPKfiiiSE_SE_iiiii,comdat
.Lfunc_end176:
	.size	_ZN4vllm25paged_attention_v2_kernelI14__hip_bfloat16S1_Li120ELi32ELi128ELNS_18Fp8KVCacheDataTypeE0ELb1ELi512EEEvPfS3_PT_PKS4_PKT0_SA_ifPKiSC_iPKfiiiSE_SE_iiiii, .Lfunc_end176-_ZN4vllm25paged_attention_v2_kernelI14__hip_bfloat16S1_Li120ELi32ELi128ELNS_18Fp8KVCacheDataTypeE0ELb1ELi512EEEvPfS3_PT_PKS4_PKT0_SA_ifPKiSC_iPKfiiiSE_SE_iiiii
                                        ; -- End function
	.section	.AMDGPU.csdata,"",@progbits
; Kernel info:
; codeLenInByte = 15480
; NumSgprs: 59
; NumVgprs: 100
; NumAgprs: 0
; TotalNumVgprs: 100
; ScratchSize: 0
; MemoryBound: 0
; FloatMode: 240
; IeeeMode: 1
; LDSByteSize: 256 bytes/workgroup (compile time only)
; SGPRBlocks: 7
; VGPRBlocks: 12
; NumSGPRsForWavesPerEU: 59
; NumVGPRsForWavesPerEU: 100
; AccumOffset: 100
; Occupancy: 4
; WaveLimiterHint : 1
; COMPUTE_PGM_RSRC2:SCRATCH_EN: 0
; COMPUTE_PGM_RSRC2:USER_SGPR: 2
; COMPUTE_PGM_RSRC2:TRAP_HANDLER: 0
; COMPUTE_PGM_RSRC2:TGID_X_EN: 1
; COMPUTE_PGM_RSRC2:TGID_Y_EN: 1
; COMPUTE_PGM_RSRC2:TGID_Z_EN: 1
; COMPUTE_PGM_RSRC2:TIDIG_COMP_CNT: 0
; COMPUTE_PGM_RSRC3_GFX90A:ACCUM_OFFSET: 24
; COMPUTE_PGM_RSRC3_GFX90A:TG_SPLIT: 0
	.section	.text._ZN4vllm25paged_attention_v2_kernelI14__hip_bfloat16S1_Li128ELi32ELi128ELNS_18Fp8KVCacheDataTypeE0ELb1ELi512EEEvPfS3_PT_PKS4_PKT0_SA_ifPKiSC_iPKfiiiSE_SE_iiiii,"axG",@progbits,_ZN4vllm25paged_attention_v2_kernelI14__hip_bfloat16S1_Li128ELi32ELi128ELNS_18Fp8KVCacheDataTypeE0ELb1ELi512EEEvPfS3_PT_PKS4_PKT0_SA_ifPKiSC_iPKfiiiSE_SE_iiiii,comdat
	.protected	_ZN4vllm25paged_attention_v2_kernelI14__hip_bfloat16S1_Li128ELi32ELi128ELNS_18Fp8KVCacheDataTypeE0ELb1ELi512EEEvPfS3_PT_PKS4_PKT0_SA_ifPKiSC_iPKfiiiSE_SE_iiiii ; -- Begin function _ZN4vllm25paged_attention_v2_kernelI14__hip_bfloat16S1_Li128ELi32ELi128ELNS_18Fp8KVCacheDataTypeE0ELb1ELi512EEEvPfS3_PT_PKS4_PKT0_SA_ifPKiSC_iPKfiiiSE_SE_iiiii
	.globl	_ZN4vllm25paged_attention_v2_kernelI14__hip_bfloat16S1_Li128ELi32ELi128ELNS_18Fp8KVCacheDataTypeE0ELb1ELi512EEEvPfS3_PT_PKS4_PKT0_SA_ifPKiSC_iPKfiiiSE_SE_iiiii
	.p2align	8
	.type	_ZN4vllm25paged_attention_v2_kernelI14__hip_bfloat16S1_Li128ELi32ELi128ELNS_18Fp8KVCacheDataTypeE0ELb1ELi512EEEvPfS3_PT_PKS4_PKT0_SA_ifPKiSC_iPKfiiiSE_SE_iiiii,@function
_ZN4vllm25paged_attention_v2_kernelI14__hip_bfloat16S1_Li128ELi32ELi128ELNS_18Fp8KVCacheDataTypeE0ELb1ELi512EEEvPfS3_PT_PKS4_PKT0_SA_ifPKiSC_iPKfiiiSE_SE_iiiii: ; @_ZN4vllm25paged_attention_v2_kernelI14__hip_bfloat16S1_Li128ELi32ELi128ELNS_18Fp8KVCacheDataTypeE0ELb1ELi512EEEvPfS3_PT_PKS4_PKT0_SA_ifPKiSC_iPKfiiiSE_SE_iiiii
; %bb.0:
	s_load_dwordx2 s[6:7], s[0:1], 0x40
	s_mov_b32 s24, s3
	s_ashr_i32 s25, s3, 31
	s_lshl_b64 s[8:9], s[24:25], 2
	s_waitcnt lgkmcnt(0)
	s_add_u32 s6, s6, s8
	s_addc_u32 s7, s7, s9
	s_load_dword s33, s[6:7], 0x0
	s_lshl_b32 s5, s4, 9
	s_waitcnt lgkmcnt(0)
	s_cmp_ge_i32 s5, s33
	s_cbranch_scc1 .LBB177_405
; %bb.1:
	s_load_dword s25, s[0:1], 0x90
	s_load_dwordx2 s[38:39], s[0:1], 0x30
	s_waitcnt lgkmcnt(0)
	s_abs_i32 s7, s25
	s_abs_i32 s3, s38
	v_cvt_f32_u32_e32 v1, s3
	s_sub_i32 s8, 0, s3
	s_xor_b32 s6, s25, s38
	s_ashr_i32 s6, s6, 31
	v_rcp_iflag_f32_e32 v1, v1
	s_nop 0
	v_mul_f32_e32 v1, 0x4f7ffffe, v1
	v_cvt_u32_f32_e32 v1, v1
	s_nop 0
	v_readfirstlane_b32 s9, v1
	s_mul_i32 s8, s8, s9
	s_mul_hi_u32 s8, s9, s8
	s_add_i32 s9, s9, s8
	s_mul_hi_u32 s8, s7, s9
	s_mul_i32 s9, s8, s3
	s_sub_i32 s7, s7, s9
	s_add_i32 s10, s8, 1
	s_sub_i32 s9, s7, s3
	s_cmp_ge_u32 s7, s3
	s_cselect_b32 s8, s10, s8
	s_cselect_b32 s7, s9, s7
	s_add_i32 s9, s8, 1
	s_cmp_ge_u32 s7, s3
	s_cselect_b32 s3, s9, s8
	s_xor_b32 s3, s3, s6
	s_sub_i32 s12, s3, s6
	s_abs_i32 s8, s12
	v_cvt_f32_u32_e32 v1, s8
	s_load_dwordx2 s[6:7], s[0:1], 0x50
	s_sub_i32 s10, 0, s8
	s_abs_i32 s9, s2
	v_rcp_iflag_f32_e32 v1, v1
	s_mov_b32 s3, 0
	v_mul_f32_e32 v1, 0x4f7ffffe, v1
	v_cvt_u32_f32_e32 v1, v1
	s_nop 0
	v_readfirstlane_b32 s11, v1
	s_mul_i32 s10, s10, s11
	s_mul_hi_u32 s10, s11, s10
	s_add_i32 s11, s11, s10
	s_waitcnt lgkmcnt(0)
	s_cmp_eq_u64 s[6:7], 0
	s_mul_hi_u32 s10, s9, s11
	s_cbranch_scc1 .LBB177_3
; %bb.2:
	s_ashr_i32 s3, s2, 31
	s_lshl_b64 s[14:15], s[2:3], 2
	s_add_u32 s6, s6, s14
	s_addc_u32 s7, s7, s15
	s_load_dword s3, s[6:7], 0x0
.LBB177_3:
	s_ashr_i32 s16, s12, 31
	s_load_dwordx4 s[12:15], s[0:1], 0x58
	s_ashr_i32 s11, s2, 31
	v_and_b32_e32 v2, 1, v0
	s_lshl_b32 s26, s2, 7
	v_cmp_gt_u32_e32 vcc, 32, v0
	v_lshlrev_b32_e32 v37, 3, v0
	s_and_saveexec_b64 s[6:7], vcc
	s_cbranch_execz .LBB177_5
; %bb.4:
	s_load_dwordx2 s[18:19], s[0:1], 0x18
	s_waitcnt lgkmcnt(0)
	s_mul_i32 s20, s24, s12
	s_ashr_i32 s21, s20, 31
	s_lshl_b64 s[20:21], s[20:21], 1
	v_lshlrev_b32_e32 v1, 2, v0
	s_add_u32 s12, s18, s20
	s_addc_u32 s15, s19, s21
	s_ashr_i32 s27, s26, 31
	s_lshl_b64 s[18:19], s[26:27], 1
	s_add_u32 s18, s12, s18
	s_addc_u32 s19, s15, s19
	global_load_dwordx2 v[4:5], v37, s[18:19]
	v_and_b32_e32 v1, 0xff8, v1
	v_lshl_add_u32 v1, v2, 7, v1
	s_waitcnt vmcnt(0)
	ds_write_b64 v1, v[4:5]
.LBB177_5:
	s_or_b64 exec, exec, s[6:7]
	s_mul_i32 s7, s10, s8
	s_sub_i32 s7, s9, s7
	s_xor_b32 s6, s11, s16
	s_add_i32 s9, s10, 1
	s_sub_i32 s11, s7, s8
	s_load_dwordx4 s[16:19], s[0:1], 0x78
	s_cmp_ge_u32 s7, s8
	s_cselect_b32 s9, s9, s10
	s_cselect_b32 s7, s11, s7
	s_load_dword s11, s[0:1], 0x88
	s_add_i32 s10, s9, 1
	s_cmp_ge_u32 s7, s8
	s_cselect_b32 s7, s10, s9
	s_waitcnt lgkmcnt(0)
	s_abs_i32 s27, s19
	v_cvt_f32_u32_e32 v1, s27
	s_xor_b32 s7, s7, s6
	s_sub_i32 s10, s7, s6
	s_sub_i32 s6, 0, s27
	v_rcp_iflag_f32_e32 v1, v1
	s_add_i32 s12, s33, -1
	s_abs_i32 s8, s12
	v_mul_f32_e32 v1, 0x4f7ffffe, v1
	v_cvt_u32_f32_e32 v1, v1
	s_barrier
	v_readfirstlane_b32 s46, v1
	s_mul_i32 s6, s6, s46
	s_mul_hi_u32 s6, s46, s6
	s_add_i32 s46, s46, s6
	s_cmp_lt_i32 s11, 0
	s_mul_hi_u32 s9, s8, s46
	s_cbranch_scc0 .LBB177_7
; %bb.6:
	s_mul_i32 s6, s16, s38
	s_add_i32 s6, s10, s6
	s_mul_i32 s6, s6, s11
	s_sub_i32 s47, 1, s6
	s_mov_b64 s[6:7], 0
	s_branch .LBB177_8
.LBB177_7:
	s_mov_b64 s[6:7], -1
                                        ; implicit-def: $sgpr47
.LBB177_8:
	s_load_dwordx2 s[30:31], s[0:1], 0x38
	s_ashr_i32 s12, s12, 31
	s_andn2_b64 vcc, exec, s[6:7]
	s_ashr_i32 s19, s19, 31
	s_cbranch_vccnz .LBB177_10
; %bb.9:
	s_mul_i32 s6, s25, s16
	s_add_i32 s6, s6, s2
	s_mul_i32 s6, s6, s11
	s_add_i32 s47, s6, 1
.LBB177_10:
	s_load_dword s6, s[0:1], 0x48
	s_load_dwordx2 s[36:37], s[0:1], 0x28
	s_load_dword s16, s[0:1], 0x98
	s_load_dwordx4 s[20:23], s[0:1], 0x0
	s_load_dwordx2 s[28:29], s[0:1], 0x10
	s_mul_i32 s7, s9, s27
	s_waitcnt lgkmcnt(0)
	s_mul_i32 s34, s24, s6
	s_sub_i32 s7, s8, s7
	s_ashr_i32 s35, s34, 31
	s_xor_b32 s6, s12, s19
	s_add_i32 s8, s9, 1
	s_sub_i32 s11, s7, s27
	s_cmp_ge_u32 s7, s27
	s_cselect_b32 s8, s8, s9
	s_cselect_b32 s7, s11, s7
	s_add_i32 s9, s8, 1
	s_cmp_ge_u32 s7, s27
	s_cselect_b32 s7, s9, s8
	s_xor_b32 s7, s7, s6
	s_sub_i32 s49, s7, s6
	s_add_i32 s6, s33, 31
	s_ashr_i32 s7, s6, 31
	s_lshr_b32 s7, s7, 27
	s_add_i32 s6, s6, s7
	s_lshl_b32 s38, s4, 4
	s_ashr_i32 s12, s6, 5
	s_add_i32 s6, s38, 16
	v_lshrrev_b32_e32 v38, 6, v0
	s_min_i32 s48, s6, s12
	v_or_b32_e32 v10, s38, v38
	v_cmp_gt_i32_e64 s[8:9], s48, v10
	v_mov_b32_e32 v39, 0xff7fffff
	s_mul_i32 s14, s10, s14
	v_ashrrev_i32_e32 v11, 31, v10
	v_lshl_add_u32 v1, v38, 5, s5
	v_mbcnt_lo_u32_b32 v34, -1, 0
	s_and_saveexec_b64 s[40:41], s[8:9]
	s_cbranch_execz .LBB177_20
; %bb.11:
	s_load_dwordx2 s[0:1], s[0:1], 0x20
	s_ashr_i32 s15, s14, 31
	s_sub_i32 s50, s49, s17
	s_lshl_b64 s[6:7], s[14:15], 1
	v_bfe_u32 v35, v0, 1, 5
	s_waitcnt lgkmcnt(0)
	s_add_u32 s0, s0, s6
	s_addc_u32 s1, s1, s7
	s_abs_i32 s15, s18
	v_cvt_f32_u32_e32 v3, s15
	v_lshlrev_b32_e32 v4, 4, v35
	v_mov_b32_e32 v5, 0
	v_lshl_add_u64 v[6:7], s[0:1], 0, v[4:5]
	v_rcp_iflag_f32_e32 v3, v3
	s_sub_i32 s0, 0, s15
	v_cmp_eq_u32_e32 vcc, 0, v2
	v_lshlrev_b32_e32 v36, 7, v2
	v_mul_f32_e32 v3, 0x4f7ffffe, v3
	v_cvt_u32_f32_e32 v3, v3
	v_mbcnt_hi_u32_b32 v45, -1, v34
	v_and_b32_e32 v4, 8, v37
	s_mov_b32 s51, s13
	v_mul_lo_u32 v2, s0, v3
	v_mul_hi_u32 v2, v3, v2
	v_add_u32_e32 v40, v3, v2
	v_lshlrev_b32_e32 v2, 2, v35
	s_lshl_b64 s[0:1], s[34:35], 2
	v_lshl_or_b32 v2, v38, 7, v2
	s_add_u32 s0, s30, s0
	v_add_u32_e32 v42, 0x110, v2
	v_subrev_u32_e32 v2, s33, v35
	s_addc_u32 s1, s31, s1
	v_add_u32_e32 v43, 1, v2
	v_and_b32_e32 v2, 64, v45
	v_lshl_add_u64 v[12:13], v[6:7], 0, v[4:5]
	v_cmp_neq_f32_e64 s[6:7], s3, 0
	v_lshl_add_u64 v[14:15], v[10:11], 2, s[0:1]
	v_lshl_add_u32 v41, v38, 5, s5
	s_mov_b64 s[42:43], 0
	v_mov_b32_e32 v44, 0xff7fffff
	s_movk_i32 s52, 0x1000
	v_xor_b32_e32 v46, 1, v45
	v_add_u32_e32 v47, 64, v2
	v_mov_b32_e32 v39, 0xff7fffff
	v_mov_b32_e32 v48, v10
	s_branch .LBB177_14
.LBB177_12:                             ;   in Loop: Header=BB177_14 Depth=1
	s_or_b64 exec, exec, s[44:45]
.LBB177_13:                             ;   in Loop: Header=BB177_14 Depth=1
	s_or_b64 exec, exec, s[10:11]
	v_add_u32_e32 v48, 2, v48
	v_cmp_le_i32_e64 s[0:1], s48, v48
	v_lshl_add_u64 v[14:15], v[14:15], 0, 8
	v_add_u32_e32 v41, 64, v41
	s_or_b64 s[42:43], s[0:1], s[42:43]
	v_add_u32_e32 v42, 0x100, v42
	s_andn2_b64 exec, exec, s[42:43]
	s_cbranch_execz .LBB177_19
.LBB177_14:                             ; =>This Inner Loop Header: Depth=1
	s_waitcnt lgkmcnt(0)
	v_sub_u32_e32 v3, 0, v41
	v_max_i32_e32 v3, v41, v3
	v_mul_hi_u32 v4, v3, s46
	v_mul_lo_u32 v5, v4, s27
	v_sub_u32_e32 v3, v3, v5
	v_add_u32_e32 v5, 1, v4
	v_cmp_le_u32_e64 s[0:1], s27, v3
	v_ashrrev_i32_e32 v2, 31, v41
	v_xor_b32_e32 v2, s19, v2
	v_cndmask_b32_e64 v4, v4, v5, s[0:1]
	v_subrev_u32_e32 v5, s27, v3
	v_cndmask_b32_e64 v3, v3, v5, s[0:1]
	v_add_u32_e32 v5, 1, v4
	v_cmp_le_u32_e64 s[0:1], s27, v3
	s_nop 1
	v_cndmask_b32_e64 v3, v4, v5, s[0:1]
	v_xor_b32_e32 v3, v3, v2
	v_sub_u32_e32 v2, v3, v2
	v_add_u32_e32 v3, s47, v2
	v_sub_u32_e32 v5, 0, v3
	v_ashrrev_i32_e32 v4, 31, v3
	v_max_i32_e32 v3, v3, v5
	v_mul_hi_u32 v5, v3, v40
	v_mul_lo_u32 v5, v5, s15
	v_sub_u32_e32 v3, v3, v5
	v_subrev_u32_e32 v5, s15, v3
	v_cmp_le_u32_e64 s[0:1], s15, v3
	v_cmp_ge_i32_e64 s[10:11], s50, v2
	s_nop 0
	v_cndmask_b32_e64 v3, v3, v5, s[0:1]
	v_subrev_u32_e32 v5, s15, v3
	v_cmp_le_u32_e64 s[0:1], s15, v3
	s_nop 1
	v_cndmask_b32_e64 v3, v3, v5, s[0:1]
	v_xor_b32_e32 v3, v3, v4
	v_sub_u32_e32 v3, v3, v4
	v_cmp_ne_u32_e64 s[0:1], 0, v3
	s_and_b64 s[0:1], s[0:1], s[10:11]
	s_and_b64 s[44:45], vcc, s[0:1]
	s_and_saveexec_b64 s[10:11], s[44:45]
	s_cbranch_execz .LBB177_16
; %bb.15:                               ;   in Loop: Header=BB177_14 Depth=1
	ds_write_b32 v42, v44
.LBB177_16:                             ;   in Loop: Header=BB177_14 Depth=1
	s_or_b64 exec, exec, s[10:11]
	s_xor_b64 s[0:1], s[0:1], -1
	s_and_saveexec_b64 s[10:11], s[0:1]
	s_cbranch_execz .LBB177_13
; %bb.17:                               ;   in Loop: Header=BB177_14 Depth=1
	global_load_dword v32, v[14:15], off
	ds_read_b128 v[6:9], v36
	ds_read_b128 v[16:19], v36 offset:16
	ds_read_b128 v[20:23], v36 offset:32
	;; [unrolled: 1-line block ×5, first 2 shown]
	s_waitcnt lgkmcnt(5)
	v_lshlrev_b32_e32 v66, 16, v8
	v_lshlrev_b32_e32 v68, 16, v9
	v_and_b32_e32 v67, 0xffff0000, v8
	v_and_b32_e32 v86, 0xffff0000, v9
	s_waitcnt lgkmcnt(4)
	v_lshlrev_b32_e32 v73, 16, v16
	v_lshlrev_b32_e32 v78, 16, v17
	;; [unrolled: 1-line block ×4, first 2 shown]
	s_waitcnt lgkmcnt(3)
	v_lshlrev_b32_e32 v81, 16, v20
	v_lshlrev_b32_e32 v82, 16, v21
	v_and_b32_e32 v87, 0xffff0000, v16
	v_and_b32_e32 v88, 0xffff0000, v17
	;; [unrolled: 1-line block ×6, first 2 shown]
	v_lshlrev_b32_e32 v83, 16, v22
	v_and_b32_e32 v93, 0xffff0000, v22
	v_lshlrev_b32_e32 v70, 16, v7
	v_lshlrev_b32_e32 v4, 16, v23
	v_and_b32_e32 v85, 0xffff0000, v7
	v_and_b32_e32 v7, 0xffff0000, v23
	s_waitcnt lgkmcnt(1)
	v_lshlrev_b32_e32 v63, 16, v28
	v_lshlrev_b32_e32 v55, 16, v29
	s_waitcnt lgkmcnt(0)
	v_lshlrev_b32_e32 v52, 16, v74
	v_lshlrev_b32_e32 v51, 16, v75
	v_and_b32_e32 v84, 0xffff0000, v6
	v_and_b32_e32 v64, 0xffff0000, v28
	;; [unrolled: 1-line block ×5, first 2 shown]
	v_lshlrev_b32_e32 v33, 16, v6
	v_lshlrev_b32_e32 v3, 16, v24
	v_and_b32_e32 v6, 0xffff0000, v24
	v_lshlrev_b32_e32 v50, 16, v76
	v_lshlrev_b32_e32 v49, 16, v77
	v_and_b32_e32 v57, 0xffff0000, v76
	v_and_b32_e32 v56, 0xffff0000, v77
	v_lshlrev_b32_e32 v72, 16, v26
	v_lshlrev_b32_e32 v69, 16, v27
	v_and_b32_e32 v71, 0xffff0000, v26
	v_and_b32_e32 v65, 0xffff0000, v27
	v_lshlrev_b32_e32 v2, 16, v25
	v_and_b32_e32 v5, 0xffff0000, v25
	v_lshlrev_b32_e32 v54, 16, v30
	v_lshlrev_b32_e32 v53, 16, v31
	v_and_b32_e32 v61, 0xffff0000, v30
	v_and_b32_e32 v60, 0xffff0000, v31
	s_waitcnt vmcnt(0)
	v_mad_i64_i32 v[8:9], s[0:1], v32, s51, 0
	v_lshl_add_u64 v[8:9], v[8:9], 1, v[12:13]
	global_load_dwordx2 v[16:17], v[8:9], off offset:512
	global_load_dwordx2 v[18:19], v[8:9], off offset:1024
	;; [unrolled: 1-line block ×3, first 2 shown]
	v_add_co_u32_e64 v32, s[0:1], s52, v8
	global_load_dwordx2 v[74:75], v[8:9], off offset:2560
	global_load_dwordx2 v[28:29], v[8:9], off offset:3584
	;; [unrolled: 1-line block ×3, first 2 shown]
	s_waitcnt vmcnt(5)
	v_lshlrev_b32_e32 v22, 16, v16
	v_mul_f32_e32 v66, v66, v22
	global_load_dwordx2 v[22:23], v[8:9], off
	v_and_b32_e32 v16, 0xffff0000, v16
	v_mul_f32_e32 v67, v67, v16
	s_waitcnt vmcnt(0)
	v_and_b32_e32 v16, 0xffff0000, v22
	v_fmac_f32_e32 v67, v84, v16
	v_lshlrev_b32_e32 v16, 16, v17
	v_mul_f32_e32 v68, v68, v16
	v_lshlrev_b32_e32 v16, 16, v23
	v_and_b32_e32 v17, 0xffff0000, v17
	v_lshlrev_b32_e32 v24, 16, v22
	v_fmac_f32_e32 v68, v70, v16
	v_and_b32_e32 v16, 0xffff0000, v23
	v_mul_f32_e32 v70, v86, v17
	v_fmac_f32_e32 v66, v33, v24
	v_fmac_f32_e32 v70, v85, v16
	v_lshlrev_b32_e32 v16, 16, v18
	v_and_b32_e32 v17, 0xffff0000, v18
	v_fmac_f32_e32 v66, v73, v16
	v_fmac_f32_e32 v67, v87, v17
	global_load_dwordx2 v[16:17], v[8:9], off offset:2048
	v_addc_co_u32_e64 v33, s[0:1], 0, v9, s[0:1]
	v_lshlrev_b32_e32 v18, 16, v19
	global_load_dwordx2 v[26:27], v[32:33], off
	global_load_dwordx2 v[24:25], v[32:33], off offset:512
	v_and_b32_e32 v19, 0xffff0000, v19
	v_lshlrev_b32_e32 v22, 16, v20
	v_lshlrev_b32_e32 v23, 16, v21
	v_fmac_f32_e32 v68, v78, v18
	v_and_b32_e32 v20, 0xffff0000, v20
	v_and_b32_e32 v21, 0xffff0000, v21
	v_fmac_f32_e32 v70, v88, v19
	v_fmac_f32_e32 v66, v79, v22
	;; [unrolled: 1-line block ×3, first 2 shown]
	global_load_dwordx2 v[22:23], v[32:33], off offset:1024
	v_fmac_f32_e32 v67, v89, v20
	v_fmac_f32_e32 v70, v90, v21
	global_load_dwordx2 v[20:21], v[32:33], off offset:1536
	global_load_dwordx2 v[18:19], v[32:33], off offset:2048
	;; [unrolled: 1-line block ×3, first 2 shown]
	v_cmp_lt_i32_e64 s[0:1], v46, v47
	s_waitcnt vmcnt(6)
	v_lshlrev_b32_e32 v8, 16, v16
	v_and_b32_e32 v9, 0xffff0000, v16
	v_lshlrev_b32_e32 v16, 16, v17
	v_and_b32_e32 v17, 0xffff0000, v17
	v_fmac_f32_e32 v66, v81, v8
	v_lshlrev_b32_e32 v8, 16, v74
	v_fmac_f32_e32 v67, v91, v9
	v_fmac_f32_e32 v68, v82, v16
	;; [unrolled: 1-line block ×3, first 2 shown]
	global_load_dwordx2 v[16:17], v[32:33], off offset:2560
	v_fmac_f32_e32 v66, v83, v8
	v_and_b32_e32 v8, 0xffff0000, v74
	v_fmac_f32_e32 v67, v93, v8
	v_lshlrev_b32_e32 v8, 16, v75
	v_fmac_f32_e32 v68, v4, v8
	v_and_b32_e32 v4, 0xffff0000, v75
	v_lshlrev_b32_e32 v8, 16, v76
	v_fmac_f32_e32 v70, v7, v4
	v_and_b32_e32 v4, 0xffff0000, v76
	v_lshlrev_b32_e32 v7, 16, v77
	v_and_b32_e32 v9, 0xffff0000, v77
	v_fmac_f32_e32 v66, v3, v8
	v_fmac_f32_e32 v67, v6, v4
	;; [unrolled: 1-line block ×4, first 2 shown]
	ds_read_b128 v[2:5], v36 offset:96
	ds_read_b128 v[6:9], v36 offset:112
	global_load_dwordx2 v[32:33], v[32:33], off offset:3584
	v_lshlrev_b32_e32 v74, 16, v28
	v_and_b32_e32 v28, 0xffff0000, v28
	v_fmac_f32_e32 v67, v71, v28
	v_lshlrev_b32_e32 v71, 16, v29
	v_fmac_f32_e32 v68, v69, v71
	v_and_b32_e32 v29, 0xffff0000, v29
	s_waitcnt vmcnt(7)
	v_lshlrev_b32_e32 v69, 16, v26
	v_and_b32_e32 v26, 0xffff0000, v26
	v_fmac_f32_e32 v66, v72, v74
	v_fmac_f32_e32 v70, v65, v29
	v_lshlrev_b32_e32 v29, 16, v27
	s_waitcnt vmcnt(6)
	v_lshlrev_b32_e32 v65, 16, v24
	v_and_b32_e32 v24, 0xffff0000, v24
	v_fmac_f32_e32 v67, v64, v26
	v_and_b32_e32 v27, 0xffff0000, v27
	v_fmac_f32_e32 v66, v63, v69
	v_lshlrev_b32_e32 v63, 16, v25
	s_waitcnt vmcnt(5)
	v_lshlrev_b32_e32 v69, 16, v22
	v_and_b32_e32 v22, 0xffff0000, v22
	v_fmac_f32_e32 v68, v55, v29
	v_fmac_f32_e32 v67, v61, v24
	v_and_b32_e32 v25, 0xffff0000, v25
	v_lshlrev_b32_e32 v26, 16, v23
	v_fmac_f32_e32 v70, v62, v27
	v_fmac_f32_e32 v68, v53, v63
	;; [unrolled: 1-line block ×3, first 2 shown]
	s_waitcnt vmcnt(4)
	v_lshlrev_b32_e32 v22, 16, v20
	v_and_b32_e32 v20, 0xffff0000, v20
	v_and_b32_e32 v23, 0xffff0000, v23
	v_fmac_f32_e32 v66, v54, v65
	v_fmac_f32_e32 v70, v60, v25
	v_fmac_f32_e32 v68, v51, v26
	v_fmac_f32_e32 v67, v57, v20
	v_lshlrev_b32_e32 v20, 16, v21
	s_waitcnt lgkmcnt(1)
	v_lshlrev_b32_e32 v72, 16, v2
	v_and_b32_e32 v2, 0xffff0000, v2
	v_fmac_f32_e32 v66, v52, v69
	v_fmac_f32_e32 v70, v58, v23
	v_and_b32_e32 v21, 0xffff0000, v21
	v_fmac_f32_e32 v68, v49, v20
	s_waitcnt vmcnt(3)
	v_lshlrev_b32_e32 v20, 16, v18
	v_and_b32_e32 v18, 0xffff0000, v18
	v_lshlrev_b32_e32 v28, 16, v3
	v_and_b32_e32 v3, 0xffff0000, v3
	v_fmac_f32_e32 v66, v50, v22
	v_fmac_f32_e32 v70, v56, v21
	;; [unrolled: 1-line block ×3, first 2 shown]
	v_lshlrev_b32_e32 v2, 16, v19
	v_and_b32_e32 v18, 0xffff0000, v19
	v_fmac_f32_e32 v66, v72, v20
	v_fmac_f32_e32 v68, v28, v2
	;; [unrolled: 1-line block ×3, first 2 shown]
	v_lshlrev_b32_e32 v2, 16, v4
	v_and_b32_e32 v3, 0xffff0000, v4
	v_cndmask_b32_e64 v73, v45, v46, s[0:1]
	v_lshlrev_b32_e32 v73, 2, v73
	s_waitcnt vmcnt(1)
	v_lshlrev_b32_e32 v4, 16, v16
	v_and_b32_e32 v16, 0xffff0000, v16
	v_fmac_f32_e32 v66, v4, v2
	v_fmac_f32_e32 v67, v16, v3
	v_lshlrev_b32_e32 v2, 16, v5
	v_and_b32_e32 v3, 0xffff0000, v5
	v_lshlrev_b32_e32 v4, 16, v17
	v_and_b32_e32 v5, 0xffff0000, v17
	v_fmac_f32_e32 v68, v4, v2
	v_fmac_f32_e32 v70, v5, v3
	s_waitcnt lgkmcnt(0)
	v_lshlrev_b32_e32 v2, 16, v6
	v_and_b32_e32 v3, 0xffff0000, v6
	v_lshlrev_b32_e32 v4, 16, v30
	v_and_b32_e32 v5, 0xffff0000, v30
	v_fmac_f32_e32 v66, v4, v2
	v_fmac_f32_e32 v67, v5, v3
	v_lshlrev_b32_e32 v2, 16, v7
	v_and_b32_e32 v3, 0xffff0000, v7
	v_lshlrev_b32_e32 v4, 16, v31
	v_and_b32_e32 v5, 0xffff0000, v31
	v_fmac_f32_e32 v68, v4, v2
	v_fmac_f32_e32 v70, v5, v3
	v_lshlrev_b32_e32 v2, 16, v8
	v_and_b32_e32 v3, 0xffff0000, v8
	s_waitcnt vmcnt(0)
	v_lshlrev_b32_e32 v4, 16, v32
	v_and_b32_e32 v5, 0xffff0000, v32
	v_fmac_f32_e32 v66, v4, v2
	v_fmac_f32_e32 v67, v5, v3
	v_lshlrev_b32_e32 v2, 16, v9
	v_lshlrev_b32_e32 v4, 16, v33
	v_and_b32_e32 v3, 0xffff0000, v9
	v_and_b32_e32 v5, 0xffff0000, v33
	v_fmac_f32_e32 v68, v4, v2
	v_add_f32_e32 v2, v66, v67
	v_fmac_f32_e32 v70, v5, v3
	v_add_f32_e32 v2, v2, v68
	v_add_f32_e32 v2, v70, v2
	ds_bpermute_b32 v3, v73, v2
	s_and_saveexec_b64 s[44:45], vcc
	s_cbranch_execz .LBB177_12
; %bb.18:                               ;   in Loop: Header=BB177_14 Depth=1
	v_add_u32_e32 v4, v43, v41
	v_cvt_f32_i32_e32 v4, v4
	s_waitcnt lgkmcnt(0)
	v_add_f32_e32 v2, v2, v3
	v_add_u32_e32 v5, v35, v41
	v_cmp_gt_i32_e64 s[0:1], s33, v5
	v_mul_f32_e32 v3, s3, v4
	v_cndmask_b32_e64 v3, 0, v3, s[6:7]
	v_fmac_f32_e32 v3, s39, v2
	v_cndmask_b32_e64 v2, 0, v3, s[0:1]
	ds_write_b32 v42, v2
	v_max_f32_e32 v2, v39, v39
	v_max_f32_e32 v2, v2, v3
	v_cndmask_b32_e64 v39, v39, v2, s[0:1]
	s_branch .LBB177_12
.LBB177_19:
	s_or_b64 exec, exec, s[42:43]
.LBB177_20:
	s_or_b64 exec, exec, s[40:41]
	v_mbcnt_hi_u32_b32 v4, -1, v34
	v_and_b32_e32 v2, 64, v4
	v_add_u32_e32 v9, 64, v2
	v_xor_b32_e32 v2, 32, v4
	v_cmp_lt_i32_e32 vcc, v2, v9
	v_xor_b32_e32 v6, 16, v4
	v_max_f32_e32 v5, v39, v39
	v_cndmask_b32_e32 v2, v4, v2, vcc
	v_lshlrev_b32_e32 v2, 2, v2
	s_waitcnt lgkmcnt(0)
	ds_bpermute_b32 v3, v2, v39
	v_cmp_lt_i32_e32 vcc, v6, v9
	v_xor_b32_e32 v7, 8, v4
	v_xor_b32_e32 v8, 4, v4
	;; [unrolled: 1-line block ×3, first 2 shown]
	s_waitcnt lgkmcnt(0)
	v_max_f32_e32 v3, v3, v3
	v_max_f32_e32 v5, v5, v3
	v_cndmask_b32_e32 v3, v4, v6, vcc
	v_lshlrev_b32_e32 v3, 2, v3
	ds_bpermute_b32 v6, v3, v5
	v_cmp_lt_i32_e32 vcc, v7, v9
	v_and_b32_e32 v32, 63, v0
	s_waitcnt lgkmcnt(0)
	v_max_f32_e32 v6, v6, v6
	v_max_f32_e32 v6, v5, v6
	v_cndmask_b32_e32 v5, v4, v7, vcc
	v_lshlrev_b32_e32 v5, 2, v5
	ds_bpermute_b32 v7, v5, v6
	v_cmp_lt_i32_e32 vcc, v8, v9
	s_waitcnt lgkmcnt(0)
	v_max_f32_e32 v7, v7, v7
	v_max_f32_e32 v7, v6, v7
	v_cndmask_b32_e32 v6, v4, v8, vcc
	v_lshlrev_b32_e32 v6, 2, v6
	ds_bpermute_b32 v8, v6, v7
	v_cmp_lt_i32_e32 vcc, v12, v9
	s_waitcnt lgkmcnt(0)
	v_max_f32_e32 v8, v8, v8
	v_max_f32_e32 v8, v7, v8
	v_cndmask_b32_e32 v7, v4, v12, vcc
	v_lshlrev_b32_e32 v33, 2, v7
	ds_bpermute_b32 v12, v33, v8
	v_cmp_eq_u32_e32 vcc, 0, v32
	v_lshlrev_b32_e32 v7, 2, v38
	s_and_saveexec_b64 s[0:1], vcc
	s_cbranch_execz .LBB177_22
; %bb.21:
	s_waitcnt lgkmcnt(0)
	v_max_f32_e32 v12, v12, v12
	v_max_f32_e32 v8, v8, v8
	;; [unrolled: 1-line block ×3, first 2 shown]
	ds_write_b32 v7, v8 offset:256
.LBB177_22:
	s_or_b64 exec, exec, s[0:1]
	v_cmp_gt_u32_e64 s[0:1], 2, v32
	s_waitcnt lgkmcnt(0)
	v_mov_b32_e32 v12, 0xff7fffff
	v_lshlrev_b32_e32 v8, 2, v32
	s_barrier
	s_and_saveexec_b64 s[6:7], s[0:1]
	s_cbranch_execz .LBB177_24
; %bb.23:
	ds_read_b32 v12, v8 offset:256
.LBB177_24:
	s_or_b64 exec, exec, s[6:7]
	v_xor_b32_e32 v13, 1, v4
	v_cmp_lt_i32_e64 s[6:7], v13, v9
	s_sub_i32 s3, s48, s38
	s_lshl_b32 s3, s3, 5
	v_cndmask_b32_e64 v9, v4, v13, s[6:7]
	v_lshlrev_b32_e32 v34, 2, v9
	s_waitcnt lgkmcnt(0)
	ds_bpermute_b32 v9, v34, v12
	v_max_f32_e32 v12, v12, v12
	v_lshlrev_b32_e32 v4, 2, v4
	s_add_i32 s3, s3, s5
	s_min_i32 s15, s3, s33
	s_waitcnt lgkmcnt(0)
	v_max_f32_e32 v9, v9, v9
	v_max_f32_e32 v12, v12, v9
	v_and_b32_e32 v9, 0x100, v4
	ds_bpermute_b32 v4, v9, v12
	s_sub_i32 s3, s15, s5
	v_cmp_gt_i32_e64 s[6:7], s3, v0
	v_mov_b32_e32 v12, 0
	s_and_saveexec_b64 s[38:39], s[6:7]
	s_cbranch_execz .LBB177_28
; %bb.25:
	v_mov_b32_e32 v12, 0x110
	v_lshl_add_u32 v13, v0, 2, v12
	s_mov_b64 s[40:41], 0
	v_mov_b32_e32 v12, 0
	v_mov_b32_e32 v14, v0
.LBB177_26:                             ; =>This Inner Loop Header: Depth=1
	ds_read_b32 v15, v13
	v_add_u32_e32 v14, 0x80, v14
	v_cmp_le_i32_e64 s[10:11], s3, v14
	s_or_b64 s[40:41], s[10:11], s[40:41]
	s_waitcnt lgkmcnt(0)
	v_sub_f32_e32 v15, v15, v4
	v_mul_f32_e32 v15, 0x3fb8aa3b, v15
	v_exp_f32_e32 v15, v15
	ds_write_b32 v13, v15
	v_add_f32_e32 v12, v12, v15
	v_add_u32_e32 v13, 0x200, v13
	s_andn2_b64 exec, exec, s[40:41]
	s_cbranch_execnz .LBB177_26
; %bb.27:
	s_or_b64 exec, exec, s[40:41]
.LBB177_28:
	s_or_b64 exec, exec, s[38:39]
	ds_bpermute_b32 v2, v2, v12
	s_waitcnt lgkmcnt(0)
	v_add_f32_e32 v2, v12, v2
	ds_bpermute_b32 v3, v3, v2
	s_waitcnt lgkmcnt(0)
	v_add_f32_e32 v2, v2, v3
	;; [unrolled: 3-line block ×6, first 2 shown]
	s_and_saveexec_b64 s[10:11], vcc
	s_cbranch_execz .LBB177_30
; %bb.29:
	ds_write_b32 v7, v2 offset:264
.LBB177_30:
	s_or_b64 exec, exec, s[10:11]
	s_waitcnt lgkmcnt(0)
	s_barrier
	s_and_saveexec_b64 s[10:11], s[0:1]
	s_cbranch_execz .LBB177_32
; %bb.31:
	ds_read_b32 v2, v8 offset:264
.LBB177_32:
	s_or_b64 exec, exec, s[10:11]
	s_waitcnt lgkmcnt(0)
	ds_bpermute_b32 v3, v34, v2
	s_waitcnt lgkmcnt(0)
	v_add_f32_e32 v2, v2, v3
	ds_bpermute_b32 v5, v9, v2
	s_and_saveexec_b64 s[0:1], s[6:7]
	s_cbranch_execz .LBB177_45
; %bb.33:
	s_waitcnt lgkmcnt(0)
	v_add_f32_e32 v2, 0x358637bd, v5
	v_div_scale_f32 v3, s[6:7], v2, v2, 1.0
	v_rcp_f32_e32 v6, v3
	v_div_scale_f32 v7, vcc, 1.0, v2, 1.0
	s_mov_b64 s[10:11], -1
	v_fma_f32 v8, -v3, v6, 1.0
	v_fmac_f32_e32 v6, v8, v6
	v_mul_f32_e32 v8, v7, v6
	v_fma_f32 v9, -v3, v8, v7
	v_fmac_f32_e32 v8, v9, v6
	v_fma_f32 v3, -v3, v8, v7
	v_div_fmas_f32 v3, v3, v6, v8
	v_div_fixup_f32 v2, v3, v2, 1.0
	v_xad_u32 v3, v0, -1, s15
	v_subrev_u32_e32 v6, s5, v3
	s_movk_i32 s5, 0x7f
	v_cmp_lt_u32_e32 vcc, s5, v6
	v_mov_b32_e32 v3, v0
	s_and_saveexec_b64 s[6:7], vcc
	s_cbranch_execz .LBB177_42
; %bb.34:
	v_lshrrev_b32_e32 v6, 7, v6
	v_add_u32_e32 v8, -1, v6
	v_lshrrev_b32_e32 v7, 1, v8
	v_mov_b32_e32 v3, v2
	v_add_u32_e32 v7, 1, v7
	v_cmp_lt_u32_e32 vcc, 13, v8
	v_mov_b32_e32 v12, 0
	s_and_saveexec_b64 s[10:11], vcc
	s_cbranch_execz .LBB177_38
; %bb.35:
	v_mov_b32_e32 v9, 0x110
	v_and_b32_e32 v8, -8, v7
	v_lshl_add_u32 v9, v0, 2, v9
	s_mov_b32 s5, 0
	s_mov_b64 s[38:39], 0
.LBB177_36:                             ; =>This Inner Loop Header: Depth=1
	ds_read2st64_b32 v[12:13], v9 offset1:2
	ds_read2st64_b32 v[14:15], v9 offset0:4 offset1:6
	ds_read2st64_b32 v[16:17], v9 offset0:8 offset1:10
	;; [unrolled: 1-line block ×3, first 2 shown]
	v_add_u32_e32 v8, -8, v8
	s_waitcnt lgkmcnt(3)
	v_pk_mul_f32 v[12:13], v[2:3], v[12:13]
	s_waitcnt lgkmcnt(2)
	v_pk_mul_f32 v[14:15], v[2:3], v[14:15]
	ds_write2st64_b32 v9, v12, v13 offset1:2
	ds_write2st64_b32 v9, v14, v15 offset0:4 offset1:6
	ds_read2st64_b32 v[14:15], v9 offset0:16 offset1:18
	s_waitcnt lgkmcnt(4)
	v_pk_mul_f32 v[12:13], v[2:3], v[16:17]
	ds_write2st64_b32 v9, v12, v13 offset0:8 offset1:10
	s_waitcnt lgkmcnt(4)
	v_pk_mul_f32 v[12:13], v[2:3], v[18:19]
	ds_write2st64_b32 v9, v12, v13 offset0:12 offset1:14
	ds_read2st64_b32 v[12:13], v9 offset0:20 offset1:22
	s_waitcnt lgkmcnt(3)
	v_pk_mul_f32 v[14:15], v[2:3], v[14:15]
	ds_read2st64_b32 v[16:17], v9 offset0:24 offset1:26
	ds_write2st64_b32 v9, v14, v15 offset0:16 offset1:18
	ds_read2st64_b32 v[14:15], v9 offset0:28 offset1:30
	s_waitcnt lgkmcnt(3)
	v_pk_mul_f32 v[12:13], v[2:3], v[12:13]
	ds_write2st64_b32 v9, v12, v13 offset0:20 offset1:22
	s_waitcnt lgkmcnt(3)
	v_pk_mul_f32 v[12:13], v[2:3], v[16:17]
	ds_write2st64_b32 v9, v12, v13 offset0:24 offset1:26
	s_waitcnt lgkmcnt(2)
	v_pk_mul_f32 v[12:13], v[2:3], v[14:15]
	s_add_i32 s5, s5, 16
	v_cmp_eq_u32_e32 vcc, 0, v8
	ds_write2st64_b32 v9, v12, v13 offset0:28 offset1:30
	v_add_u32_e32 v9, 0x2000, v9
	s_or_b64 s[38:39], vcc, s[38:39]
	v_mov_b32_e32 v12, s5
	s_andn2_b64 exec, exec, s[38:39]
	s_cbranch_execnz .LBB177_36
; %bb.37:
	s_or_b64 exec, exec, s[38:39]
.LBB177_38:
	s_or_b64 exec, exec, s[10:11]
	v_and_b32_e32 v7, 7, v7
	v_cmp_ne_u32_e32 vcc, 0, v7
	s_and_saveexec_b64 s[10:11], vcc
	s_cbranch_execz .LBB177_41
; %bb.39:
	v_lshlrev_b32_e32 v8, 9, v12
	v_lshlrev_b32_e32 v9, 2, v0
	s_movk_i32 s5, 0x110
	v_add3_u32 v8, v8, v9, s5
	s_mov_b64 s[38:39], 0
.LBB177_40:                             ; =>This Inner Loop Header: Depth=1
	ds_read2st64_b32 v[12:13], v8 offset1:2
	v_add_u32_e32 v7, -1, v7
	v_cmp_eq_u32_e32 vcc, 0, v7
	s_or_b64 s[38:39], vcc, s[38:39]
	s_waitcnt lgkmcnt(0)
	v_pk_mul_f32 v[12:13], v[2:3], v[12:13]
	ds_write2st64_b32 v8, v12, v13 offset1:2
	v_add_u32_e32 v8, 0x400, v8
	s_andn2_b64 exec, exec, s[38:39]
	s_cbranch_execnz .LBB177_40
.LBB177_41:
	s_or_b64 exec, exec, s[10:11]
	v_add_u32_e32 v6, 1, v6
	v_and_b32_e32 v7, 0x3fffffe, v6
	v_cmp_ne_u32_e32 vcc, v6, v7
	v_lshl_add_u32 v3, v7, 7, v0
	s_orn2_b64 s[10:11], vcc, exec
.LBB177_42:
	s_or_b64 exec, exec, s[6:7]
	s_and_b64 exec, exec, s[10:11]
	s_cbranch_execz .LBB177_45
; %bb.43:
	v_mov_b32_e32 v6, 0x110
	v_lshl_add_u32 v6, v3, 2, v6
	s_mov_b64 s[6:7], 0
.LBB177_44:                             ; =>This Inner Loop Header: Depth=1
	ds_read_b32 v7, v6
	v_add_u32_e32 v3, 0x80, v3
	v_cmp_le_i32_e32 vcc, s3, v3
	s_or_b64 s[6:7], vcc, s[6:7]
	s_waitcnt lgkmcnt(0)
	v_mul_f32_e32 v7, v2, v7
	ds_write_b32 v6, v7
	v_add_u32_e32 v6, 0x200, v6
	s_andn2_b64 exec, exec, s[6:7]
	s_cbranch_execnz .LBB177_44
.LBB177_45:
	s_or_b64 exec, exec, s[0:1]
	v_cmp_eq_u32_e32 vcc, 0, v0
	s_waitcnt lgkmcnt(0)
	s_barrier
	s_and_saveexec_b64 s[0:1], vcc
	s_cbranch_execz .LBB177_47
; %bb.46:
	s_mul_i32 s3, s16, s24
	s_mul_i32 s6, s3, s25
	s_ashr_i32 s7, s6, 31
	s_lshl_b64 s[6:7], s[6:7], 2
	s_add_u32 s5, s22, s6
	s_mul_i32 s2, s16, s2
	s_addc_u32 s10, s23, s7
	s_ashr_i32 s3, s2, 31
	s_lshl_b64 s[2:3], s[2:3], 2
	s_add_u32 s15, s5, s2
	s_addc_u32 s23, s10, s3
	s_ashr_i32 s5, s4, 31
	s_lshl_b64 s[10:11], s[4:5], 2
	s_add_u32 s22, s15, s10
	s_addc_u32 s23, s23, s11
	s_add_u32 s5, s20, s6
	s_addc_u32 s6, s21, s7
	;; [unrolled: 2-line block ×3, first 2 shown]
	s_add_u32 s2, s2, s10
	v_mov_b32_e32 v2, 0
	s_addc_u32 s3, s3, s11
	global_store_dword v2, v4, s[22:23]
	global_store_dword v2, v5, s[2:3]
.LBB177_47:
	s_or_b64 exec, exec, s[0:1]
	v_mov_b32_e32 v13, 0
	v_and_b32_e32 v35, 3, v0
	v_mov_b32_e32 v12, 0
	v_mov_b32_e32 v15, 0
	;; [unrolled: 1-line block ×7, first 2 shown]
	s_and_saveexec_b64 s[2:3], s[8:9]
	s_cbranch_execz .LBB177_357
; %bb.48:
	s_ashr_i32 s15, s14, 31
	s_sub_i32 s5, s49, s17
	s_lshl_b64 s[0:1], s[14:15], 1
	s_add_u32 s6, s36, s0
	s_addc_u32 s7, s37, s1
	s_abs_i32 s14, s18
	v_cvt_f32_u32_e32 v3, s14
	s_sub_i32 s0, 0, s14
	s_add_i32 s17, s12, -1
	v_and_b32_e32 v36, 24, v37
	v_rcp_iflag_f32_e32 v3, v3
	v_and_b32_e32 v2, 0x1f8, v37
	v_mov_b32_e32 v21, 0
	v_or_b32_e32 v4, 0x800, v2
	v_mul_f32_e32 v3, 0x4f7ffffe, v3
	v_cvt_u32_f32_e32 v3, v3
	v_or_b32_e32 v6, 0xa00, v2
	v_or_b32_e32 v8, 0xc00, v2
	;; [unrolled: 1-line block ×3, first 2 shown]
	v_mul_lo_u32 v5, s0, v3
	v_mul_hi_u32 v5, v3, v5
	s_lshl_b64 s[0:1], s[34:35], 2
	v_add_u32_e32 v37, v3, v5
	s_add_u32 s0, s30, s0
	v_lshlrev_b32_e32 v3, 5, v35
	s_addc_u32 s1, s31, s1
	v_lshl_or_b32 v3, v38, 7, v3
	s_mov_b32 s15, s13
	v_lshl_add_u64 v[22:23], v[10:11], 2, s[0:1]
	v_add_u32_e32 v11, 0x110, v3
	s_mov_b64 s[8:9], 0
	s_mov_b32 s18, 0x7f800000
	s_movk_i32 s20, 0x7fff
	v_lshlrev_b32_e32 v20, 1, v2
	v_lshlrev_b32_e32 v24, 1, v4
	v_lshlrev_b32_e32 v26, 1, v6
	v_lshlrev_b32_e32 v28, 1, v8
	v_lshlrev_b32_e32 v30, 1, v12
	v_mov_b32_e32 v18, v21
	v_mov_b32_e32 v19, v21
	;; [unrolled: 1-line block ×8, first 2 shown]
	s_branch .LBB177_51
.LBB177_49:                             ;   in Loop: Header=BB177_51 Depth=1
	s_or_b64 exec, exec, s[0:1]
	v_and_b32_e32 v53, 0xffff0000, v100
	v_and_b32_e32 v52, 0xffff0000, v98
	;; [unrolled: 1-line block ×8, first 2 shown]
	v_pk_add_f32 v[52:53], v[54:55], v[52:53]
	v_pk_add_f32 v[48:49], v[50:51], v[48:49]
	v_add_f32_e32 v29, v52, v53
	v_add_f32_e32 v29, v29, v48
	v_and_b32_e32 v53, 0xffff0000, v93
	v_and_b32_e32 v52, 0xffff0000, v91
	v_and_b32_e32 v55, 0xffff0000, v92
	v_and_b32_e32 v54, 0xffff0000, v27
	v_add_f32_e32 v29, v29, v49
	v_and_b32_e32 v49, 0xffff0000, v97
	v_and_b32_e32 v48, 0xffff0000, v95
	v_and_b32_e32 v51, 0xffff0000, v96
	v_and_b32_e32 v50, 0xffff0000, v94
	v_pk_add_f32 v[52:53], v[54:55], v[52:53]
	v_pk_add_f32 v[48:49], v[50:51], v[48:49]
	v_add_f32_e32 v27, v52, v53
	v_add_f32_e32 v27, v27, v48
	v_and_b32_e32 v53, 0xffff0000, v86
	v_and_b32_e32 v52, 0xffff0000, v84
	v_and_b32_e32 v55, 0xffff0000, v85
	v_and_b32_e32 v54, 0xffff0000, v25
	v_add_f32_e32 v27, v27, v49
	v_and_b32_e32 v49, 0xffff0000, v90
	v_and_b32_e32 v48, 0xffff0000, v88
	v_and_b32_e32 v51, 0xffff0000, v89
	v_and_b32_e32 v50, 0xffff0000, v87
	;; [unrolled: 13-line block ×3, first 2 shown]
	v_pk_add_f32 v[8:9], v[8:9], v[52:53]
	v_pk_add_f32 v[48:49], v[50:51], v[48:49]
	v_add_f32_e32 v8, v8, v9
	v_add_f32_e32 v8, v8, v48
	;; [unrolled: 1-line block ×3, first 2 shown]
	v_and_b32_e32 v51, 0xffff0000, v73
	v_and_b32_e32 v50, 0xffff0000, v71
	;; [unrolled: 1-line block ×4, first 2 shown]
	v_add_f32_e32 v17, v17, v8
	v_and_b32_e32 v9, 0xffff0000, v77
	v_and_b32_e32 v8, 0xffff0000, v75
	;; [unrolled: 1-line block ×4, first 2 shown]
	v_pk_add_f32 v[50:51], v[52:53], v[50:51]
	v_add_f32_e32 v14, v14, v25
	v_pk_add_f32 v[8:9], v[48:49], v[8:9]
	v_add_f32_e32 v25, v50, v51
	v_add_f32_e32 v8, v25, v8
	;; [unrolled: 1-line block ×3, first 2 shown]
	v_and_b32_e32 v51, 0xffff0000, v65
	v_and_b32_e32 v50, 0xffff0000, v56
	;; [unrolled: 1-line block ×4, first 2 shown]
	v_add_f32_e32 v16, v16, v8
	v_and_b32_e32 v9, 0xffff0000, v69
	v_and_b32_e32 v8, 0xffff0000, v67
	;; [unrolled: 1-line block ×4, first 2 shown]
	v_pk_add_f32 v[50:51], v[52:53], v[50:51]
	v_pk_add_f32 v[8:9], v[48:49], v[8:9]
	v_add_f32_e32 v25, v50, v51
	v_add_f32_e32 v8, v25, v8
	;; [unrolled: 1-line block ×4, first 2 shown]
	v_and_b32_e32 v9, 0xffff0000, v45
	v_and_b32_e32 v8, 0xffff0000, v43
	;; [unrolled: 1-line block ×8, first 2 shown]
	v_pk_add_f32 v[38:39], v[38:39], v[44:45]
	v_pk_add_f32 v[8:9], v[42:43], v[8:9]
	v_add_f32_e32 v25, v38, v39
	v_add_f32_e32 v8, v25, v8
	v_add_f32_e32 v8, v8, v9
	v_and_b32_e32 v7, 0xffff0000, v7
	v_and_b32_e32 v6, 0xffff0000, v6
	;; [unrolled: 1-line block ×4, first 2 shown]
	v_add_f32_e32 v18, v18, v8
	v_and_b32_e32 v9, 0xffff0000, v31
	v_and_b32_e32 v8, 0xffff0000, v46
	v_and_b32_e32 v5, 0xffff0000, v5
	v_and_b32_e32 v4, 0xffff0000, v4
	v_pk_add_f32 v[2:3], v[2:3], v[6:7]
	v_pk_add_f32 v[4:5], v[4:5], v[8:9]
	v_add_f32_e32 v2, v2, v3
	v_add_f32_e32 v2, v2, v4
	;; [unrolled: 1-line block ×6, first 2 shown]
.LBB177_50:                             ;   in Loop: Header=BB177_51 Depth=1
	s_or_b64 exec, exec, s[10:11]
	v_add_u32_e32 v10, 2, v10
	v_cmp_le_i32_e32 vcc, s48, v10
	v_lshl_add_u64 v[22:23], v[22:23], 0, 8
	v_add_u32_e32 v1, 64, v1
	s_or_b64 s[8:9], vcc, s[8:9]
	v_add_u32_e32 v11, 0x100, v11
	s_andn2_b64 exec, exec, s[8:9]
	s_cbranch_execz .LBB177_356
.LBB177_51:                             ; =>This Inner Loop Header: Depth=1
	v_sub_u32_e32 v3, 0, v1
	v_max_i32_e32 v3, v1, v3
	v_mul_hi_u32 v4, v3, s46
	v_mul_lo_u32 v5, v4, s27
	v_sub_u32_e32 v3, v3, v5
	v_add_u32_e32 v5, 1, v4
	v_cmp_le_u32_e32 vcc, s27, v3
	v_ashrrev_i32_e32 v2, 31, v1
	v_xor_b32_e32 v2, s19, v2
	v_cndmask_b32_e32 v4, v4, v5, vcc
	v_subrev_u32_e32 v5, s27, v3
	v_cndmask_b32_e32 v3, v3, v5, vcc
	v_add_u32_e32 v5, 1, v4
	v_cmp_le_u32_e32 vcc, s27, v3
	s_nop 1
	v_cndmask_b32_e32 v3, v4, v5, vcc
	v_xor_b32_e32 v3, v3, v2
	v_sub_u32_e32 v2, v3, v2
	v_add_u32_e32 v3, s47, v2
	v_sub_u32_e32 v5, 0, v3
	v_ashrrev_i32_e32 v4, 31, v3
	v_max_i32_e32 v3, v3, v5
	v_mul_hi_u32 v5, v3, v37
	v_mul_lo_u32 v5, v5, s14
	v_sub_u32_e32 v3, v3, v5
	v_subrev_u32_e32 v5, s14, v3
	v_cmp_le_u32_e32 vcc, s14, v3
	v_cmp_lt_i32_e64 s[0:1], s5, v2
	s_nop 0
	v_cndmask_b32_e32 v3, v3, v5, vcc
	v_subrev_u32_e32 v5, s14, v3
	v_cmp_le_u32_e32 vcc, s14, v3
	s_nop 1
	v_cndmask_b32_e32 v3, v3, v5, vcc
	v_xor_b32_e32 v3, v3, v4
	v_sub_u32_e32 v3, v3, v4
	v_cmp_eq_u32_e32 vcc, 0, v3
	s_or_b64 s[0:1], vcc, s[0:1]
	s_and_saveexec_b64 s[10:11], s[0:1]
	s_cbranch_execz .LBB177_50
; %bb.52:                               ;   in Loop: Header=BB177_51 Depth=1
	global_load_dword v42, v[22:23], off
	ds_read2_b64 v[6:9], v11 offset1:1
	ds_read2_b64 v[2:5], v11 offset0:2 offset1:3
                                        ; implicit-def: $vgpr38
	s_waitcnt lgkmcnt(1)
	v_and_b32_e32 v25, 0x7f800000, v6
	v_cmp_ne_u32_e32 vcc, s18, v25
	s_and_saveexec_b64 s[0:1], vcc
	s_xor_b64 s[0:1], exec, s[0:1]
; %bb.53:                               ;   in Loop: Header=BB177_51 Depth=1
	v_bfe_u32 v25, v6, 16, 1
	v_add3_u32 v38, v6, v25, s20
; %bb.54:                               ;   in Loop: Header=BB177_51 Depth=1
	s_andn2_saveexec_b64 s[0:1], s[0:1]
; %bb.55:                               ;   in Loop: Header=BB177_51 Depth=1
	v_or_b32_e32 v25, 0x10000, v6
	v_cmp_eq_u32_sdwa vcc, v6, v21 src0_sel:WORD_0 src1_sel:DWORD
	s_nop 1
	v_cndmask_b32_e32 v38, v25, v6, vcc
; %bb.56:                               ;   in Loop: Header=BB177_51 Depth=1
	s_or_b64 exec, exec, s[0:1]
	v_and_b32_e32 v6, 0x7f800000, v7
	v_cmp_ne_u32_e32 vcc, s18, v6
                                        ; implicit-def: $vgpr39
	s_and_saveexec_b64 s[0:1], vcc
	s_xor_b64 s[0:1], exec, s[0:1]
; %bb.57:                               ;   in Loop: Header=BB177_51 Depth=1
	v_bfe_u32 v6, v7, 16, 1
	v_add3_u32 v39, v7, v6, s20
; %bb.58:                               ;   in Loop: Header=BB177_51 Depth=1
	s_andn2_saveexec_b64 s[0:1], s[0:1]
; %bb.59:                               ;   in Loop: Header=BB177_51 Depth=1
	v_or_b32_e32 v6, 0x10000, v7
	v_cmp_eq_u32_sdwa vcc, v7, v21 src0_sel:WORD_0 src1_sel:DWORD
	s_nop 1
	v_cndmask_b32_e32 v39, v6, v7, vcc
; %bb.60:                               ;   in Loop: Header=BB177_51 Depth=1
	s_or_b64 exec, exec, s[0:1]
	v_and_b32_e32 v6, 0x7f800000, v8
	v_cmp_ne_u32_e32 vcc, s18, v6
                                        ; implicit-def: $vgpr40
	s_and_saveexec_b64 s[0:1], vcc
	s_xor_b64 s[0:1], exec, s[0:1]
; %bb.61:                               ;   in Loop: Header=BB177_51 Depth=1
	v_bfe_u32 v6, v8, 16, 1
	v_add3_u32 v40, v8, v6, s20
; %bb.62:                               ;   in Loop: Header=BB177_51 Depth=1
	s_andn2_saveexec_b64 s[0:1], s[0:1]
; %bb.63:                               ;   in Loop: Header=BB177_51 Depth=1
	v_or_b32_e32 v6, 0x10000, v8
	v_cmp_eq_u32_sdwa vcc, v8, v21 src0_sel:WORD_0 src1_sel:DWORD
	s_nop 1
	v_cndmask_b32_e32 v40, v6, v8, vcc
; %bb.64:                               ;   in Loop: Header=BB177_51 Depth=1
	s_or_b64 exec, exec, s[0:1]
	v_and_b32_e32 v6, 0x7f800000, v9
	v_cmp_ne_u32_e32 vcc, s18, v6
                                        ; implicit-def: $vgpr41
	s_and_saveexec_b64 s[0:1], vcc
	s_xor_b64 s[0:1], exec, s[0:1]
; %bb.65:                               ;   in Loop: Header=BB177_51 Depth=1
	v_bfe_u32 v6, v9, 16, 1
	v_add3_u32 v41, v9, v6, s20
                                        ; implicit-def: $vgpr6_vgpr7_vgpr8_vgpr9
; %bb.66:                               ;   in Loop: Header=BB177_51 Depth=1
	s_andn2_saveexec_b64 s[0:1], s[0:1]
; %bb.67:                               ;   in Loop: Header=BB177_51 Depth=1
	v_or_b32_e32 v6, 0x10000, v9
	v_cmp_eq_u32_sdwa vcc, v9, v21 src0_sel:WORD_0 src1_sel:DWORD
	s_nop 1
	v_cndmask_b32_e32 v41, v6, v9, vcc
; %bb.68:                               ;   in Loop: Header=BB177_51 Depth=1
	s_or_b64 exec, exec, s[0:1]
	s_waitcnt lgkmcnt(0)
	v_and_b32_e32 v6, 0x7f800000, v2
	v_cmp_ne_u32_e32 vcc, s18, v6
                                        ; implicit-def: $vgpr31
	s_and_saveexec_b64 s[0:1], vcc
	s_xor_b64 s[0:1], exec, s[0:1]
; %bb.69:                               ;   in Loop: Header=BB177_51 Depth=1
	v_bfe_u32 v6, v2, 16, 1
	v_add3_u32 v31, v2, v6, s20
; %bb.70:                               ;   in Loop: Header=BB177_51 Depth=1
	s_andn2_saveexec_b64 s[0:1], s[0:1]
; %bb.71:                               ;   in Loop: Header=BB177_51 Depth=1
	v_or_b32_e32 v6, 0x10000, v2
	v_cmp_eq_u32_sdwa vcc, v2, v21 src0_sel:WORD_0 src1_sel:DWORD
	s_nop 1
	v_cndmask_b32_e32 v31, v6, v2, vcc
; %bb.72:                               ;   in Loop: Header=BB177_51 Depth=1
	s_or_b64 exec, exec, s[0:1]
	v_and_b32_e32 v2, 0x7f800000, v3
	v_cmp_ne_u32_e32 vcc, s18, v2
                                        ; implicit-def: $vgpr29
	s_and_saveexec_b64 s[0:1], vcc
	s_xor_b64 s[0:1], exec, s[0:1]
; %bb.73:                               ;   in Loop: Header=BB177_51 Depth=1
	v_bfe_u32 v2, v3, 16, 1
	v_add3_u32 v29, v3, v2, s20
; %bb.74:                               ;   in Loop: Header=BB177_51 Depth=1
	s_andn2_saveexec_b64 s[0:1], s[0:1]
; %bb.75:                               ;   in Loop: Header=BB177_51 Depth=1
	v_or_b32_e32 v2, 0x10000, v3
	v_cmp_eq_u32_sdwa vcc, v3, v21 src0_sel:WORD_0 src1_sel:DWORD
	s_nop 1
	v_cndmask_b32_e32 v29, v2, v3, vcc
; %bb.76:                               ;   in Loop: Header=BB177_51 Depth=1
	s_or_b64 exec, exec, s[0:1]
	v_and_b32_e32 v2, 0x7f800000, v4
	v_cmp_ne_u32_e32 vcc, s18, v2
                                        ; implicit-def: $vgpr27
	s_and_saveexec_b64 s[0:1], vcc
	s_xor_b64 s[0:1], exec, s[0:1]
; %bb.77:                               ;   in Loop: Header=BB177_51 Depth=1
	v_bfe_u32 v2, v4, 16, 1
	v_add3_u32 v27, v4, v2, s20
; %bb.78:                               ;   in Loop: Header=BB177_51 Depth=1
	s_andn2_saveexec_b64 s[0:1], s[0:1]
; %bb.79:                               ;   in Loop: Header=BB177_51 Depth=1
	v_or_b32_e32 v2, 0x10000, v4
	v_cmp_eq_u32_sdwa vcc, v4, v21 src0_sel:WORD_0 src1_sel:DWORD
	s_nop 1
	v_cndmask_b32_e32 v27, v2, v4, vcc
; %bb.80:                               ;   in Loop: Header=BB177_51 Depth=1
	s_or_b64 exec, exec, s[0:1]
	v_and_b32_e32 v2, 0x7f800000, v5
	v_cmp_ne_u32_e32 vcc, s18, v2
                                        ; implicit-def: $vgpr25
	s_and_saveexec_b64 s[0:1], vcc
	s_xor_b64 s[0:1], exec, s[0:1]
; %bb.81:                               ;   in Loop: Header=BB177_51 Depth=1
	v_bfe_u32 v2, v5, 16, 1
	v_add3_u32 v25, v5, v2, s20
                                        ; implicit-def: $vgpr2_vgpr3_vgpr4_vgpr5
; %bb.82:                               ;   in Loop: Header=BB177_51 Depth=1
	s_andn2_saveexec_b64 s[0:1], s[0:1]
; %bb.83:                               ;   in Loop: Header=BB177_51 Depth=1
	v_or_b32_e32 v2, 0x10000, v5
	v_cmp_eq_u32_sdwa vcc, v5, v21 src0_sel:WORD_0 src1_sel:DWORD
	s_nop 1
	v_cndmask_b32_e32 v25, v2, v5, vcc
; %bb.84:                               ;   in Loop: Header=BB177_51 Depth=1
	s_or_b64 exec, exec, s[0:1]
	s_waitcnt vmcnt(0)
	v_mad_i64_i32 v[2:3], s[0:1], v42, s15, 0
	v_lshl_add_u64 v[6:7], v[2:3], 1, s[6:7]
	v_lshl_add_u64 v[8:9], v[6:7], 0, v[20:21]
	global_load_dwordx4 v[2:5], v[8:9], off
	v_add_u32_e32 v46, v36, v1
	v_cmp_eq_u32_e32 vcc, s17, v10
	v_add_u32_e32 v54, 1, v46
	v_add_u32_e32 v53, 2, v46
	v_add_u32_e32 v51, 3, v46
	v_add_u32_e32 v50, 4, v46
	v_add_u32_e32 v49, 5, v46
	v_add_u32_e32 v48, 6, v46
	v_add_u32_e32 v52, 7, v46
	s_waitcnt vmcnt(0)
	v_lshrrev_b32_e32 v44, 16, v2
	v_lshrrev_b32_e32 v42, 16, v3
	;; [unrolled: 1-line block ×4, first 2 shown]
	s_and_saveexec_b64 s[12:13], vcc
	s_cbranch_execz .LBB177_86
; %bb.85:                               ;   in Loop: Header=BB177_51 Depth=1
	v_cmp_gt_i32_e64 s[0:1], s33, v46
	s_nop 1
	v_cndmask_b32_e64 v2, 0, v2, s[0:1]
	v_cmp_gt_i32_e64 s[0:1], s33, v54
	s_nop 1
	v_cndmask_b32_e64 v44, 0, v44, s[0:1]
	;; [unrolled: 3-line block ×8, first 2 shown]
.LBB177_86:                             ;   in Loop: Header=BB177_51 Depth=1
	s_or_b64 exec, exec, s[12:13]
	v_and_b32_e32 v55, 0xffff0000, v38
	v_lshlrev_b32_e32 v2, 16, v2
	v_mul_f32_e32 v2, v55, v2
	v_and_b32_e32 v38, 0x7f800000, v2
	v_cmp_ne_u32_e64 s[0:1], s18, v38
                                        ; implicit-def: $vgpr38
	s_and_saveexec_b64 s[12:13], s[0:1]
	s_xor_b64 s[0:1], exec, s[12:13]
; %bb.87:                               ;   in Loop: Header=BB177_51 Depth=1
	v_bfe_u32 v38, v2, 16, 1
	v_add3_u32 v38, v2, v38, s20
                                        ; implicit-def: $vgpr2
; %bb.88:                               ;   in Loop: Header=BB177_51 Depth=1
	s_andn2_saveexec_b64 s[12:13], s[0:1]
; %bb.89:                               ;   in Loop: Header=BB177_51 Depth=1
	v_or_b32_e32 v38, 0x10000, v2
	v_cmp_eq_u32_sdwa s[0:1], v2, v21 src0_sel:WORD_0 src1_sel:DWORD
	s_nop 1
	v_cndmask_b32_e64 v38, v38, v2, s[0:1]
; %bb.90:                               ;   in Loop: Header=BB177_51 Depth=1
	s_or_b64 exec, exec, s[12:13]
	v_and_b32_e32 v57, 0xffff0000, v39
	v_lshlrev_b32_e32 v2, 16, v44
	v_mul_f32_e32 v2, v57, v2
	v_and_b32_e32 v39, 0x7f800000, v2
	v_cmp_ne_u32_e64 s[0:1], s18, v39
                                        ; implicit-def: $vgpr39
	s_and_saveexec_b64 s[12:13], s[0:1]
	s_xor_b64 s[0:1], exec, s[12:13]
; %bb.91:                               ;   in Loop: Header=BB177_51 Depth=1
	v_bfe_u32 v39, v2, 16, 1
	v_add3_u32 v39, v2, v39, s20
                                        ; implicit-def: $vgpr2
; %bb.92:                               ;   in Loop: Header=BB177_51 Depth=1
	s_andn2_saveexec_b64 s[12:13], s[0:1]
; %bb.93:                               ;   in Loop: Header=BB177_51 Depth=1
	v_or_b32_e32 v39, 0x10000, v2
	v_cmp_eq_u32_sdwa s[0:1], v2, v21 src0_sel:WORD_0 src1_sel:DWORD
	s_nop 1
	v_cndmask_b32_e64 v39, v39, v2, s[0:1]
; %bb.94:                               ;   in Loop: Header=BB177_51 Depth=1
	s_or_b64 exec, exec, s[12:13]
	v_and_b32_e32 v58, 0xffff0000, v40
	v_lshlrev_b32_e32 v2, 16, v3
	v_mul_f32_e32 v2, v58, v2
	v_and_b32_e32 v3, 0x7f800000, v2
	v_cmp_ne_u32_e64 s[0:1], s18, v3
                                        ; implicit-def: $vgpr40
	s_and_saveexec_b64 s[12:13], s[0:1]
	s_xor_b64 s[0:1], exec, s[12:13]
; %bb.95:                               ;   in Loop: Header=BB177_51 Depth=1
	v_bfe_u32 v3, v2, 16, 1
	v_add3_u32 v40, v2, v3, s20
                                        ; implicit-def: $vgpr2
; %bb.96:                               ;   in Loop: Header=BB177_51 Depth=1
	s_andn2_saveexec_b64 s[12:13], s[0:1]
; %bb.97:                               ;   in Loop: Header=BB177_51 Depth=1
	v_or_b32_e32 v3, 0x10000, v2
	v_cmp_eq_u32_sdwa s[0:1], v2, v21 src0_sel:WORD_0 src1_sel:DWORD
	s_nop 1
	v_cndmask_b32_e64 v40, v3, v2, s[0:1]
; %bb.98:                               ;   in Loop: Header=BB177_51 Depth=1
	s_or_b64 exec, exec, s[12:13]
	v_and_b32_e32 v59, 0xffff0000, v41
	v_lshlrev_b32_e32 v2, 16, v42
	v_mul_f32_e32 v2, v59, v2
	v_and_b32_e32 v3, 0x7f800000, v2
	v_cmp_ne_u32_e64 s[0:1], s18, v3
                                        ; implicit-def: $vgpr41
	s_and_saveexec_b64 s[12:13], s[0:1]
	s_xor_b64 s[0:1], exec, s[12:13]
; %bb.99:                               ;   in Loop: Header=BB177_51 Depth=1
	v_bfe_u32 v3, v2, 16, 1
	v_add3_u32 v41, v2, v3, s20
                                        ; implicit-def: $vgpr2
; %bb.100:                              ;   in Loop: Header=BB177_51 Depth=1
	s_andn2_saveexec_b64 s[12:13], s[0:1]
; %bb.101:                              ;   in Loop: Header=BB177_51 Depth=1
	v_or_b32_e32 v3, 0x10000, v2
	v_cmp_eq_u32_sdwa s[0:1], v2, v21 src0_sel:WORD_0 src1_sel:DWORD
	s_nop 1
	v_cndmask_b32_e64 v41, v3, v2, s[0:1]
; %bb.102:                              ;   in Loop: Header=BB177_51 Depth=1
	s_or_b64 exec, exec, s[12:13]
	v_and_b32_e32 v60, 0xffff0000, v31
	v_lshlrev_b32_e32 v2, 16, v4
	v_mul_f32_e32 v2, v60, v2
	v_and_b32_e32 v3, 0x7f800000, v2
	v_cmp_ne_u32_e64 s[0:1], s18, v3
                                        ; implicit-def: $vgpr42
	s_and_saveexec_b64 s[12:13], s[0:1]
	s_xor_b64 s[0:1], exec, s[12:13]
; %bb.103:                              ;   in Loop: Header=BB177_51 Depth=1
	v_bfe_u32 v3, v2, 16, 1
	v_add3_u32 v42, v2, v3, s20
                                        ; implicit-def: $vgpr2
; %bb.104:                              ;   in Loop: Header=BB177_51 Depth=1
	s_andn2_saveexec_b64 s[12:13], s[0:1]
; %bb.105:                              ;   in Loop: Header=BB177_51 Depth=1
	v_or_b32_e32 v3, 0x10000, v2
	v_cmp_eq_u32_sdwa s[0:1], v2, v21 src0_sel:WORD_0 src1_sel:DWORD
	s_nop 1
	v_cndmask_b32_e64 v42, v3, v2, s[0:1]
; %bb.106:                              ;   in Loop: Header=BB177_51 Depth=1
	s_or_b64 exec, exec, s[12:13]
	v_and_b32_e32 v61, 0xffff0000, v29
	v_lshlrev_b32_e32 v2, 16, v43
	v_mul_f32_e32 v2, v61, v2
	v_and_b32_e32 v3, 0x7f800000, v2
	v_cmp_ne_u32_e64 s[0:1], s18, v3
                                        ; implicit-def: $vgpr43
	s_and_saveexec_b64 s[12:13], s[0:1]
	s_xor_b64 s[0:1], exec, s[12:13]
; %bb.107:                              ;   in Loop: Header=BB177_51 Depth=1
	v_bfe_u32 v3, v2, 16, 1
	v_add3_u32 v43, v2, v3, s20
                                        ; implicit-def: $vgpr2
; %bb.108:                              ;   in Loop: Header=BB177_51 Depth=1
	s_andn2_saveexec_b64 s[12:13], s[0:1]
; %bb.109:                              ;   in Loop: Header=BB177_51 Depth=1
	v_or_b32_e32 v3, 0x10000, v2
	v_cmp_eq_u32_sdwa s[0:1], v2, v21 src0_sel:WORD_0 src1_sel:DWORD
	s_nop 1
	v_cndmask_b32_e64 v43, v3, v2, s[0:1]
; %bb.110:                              ;   in Loop: Header=BB177_51 Depth=1
	s_or_b64 exec, exec, s[12:13]
	v_and_b32_e32 v62, 0xffff0000, v27
	v_lshlrev_b32_e32 v2, 16, v5
	v_mul_f32_e32 v2, v62, v2
	v_and_b32_e32 v3, 0x7f800000, v2
	v_cmp_ne_u32_e64 s[0:1], s18, v3
                                        ; implicit-def: $vgpr44
	s_and_saveexec_b64 s[12:13], s[0:1]
	s_xor_b64 s[0:1], exec, s[12:13]
; %bb.111:                              ;   in Loop: Header=BB177_51 Depth=1
	v_bfe_u32 v3, v2, 16, 1
	v_add3_u32 v44, v2, v3, s20
                                        ; implicit-def: $vgpr2
; %bb.112:                              ;   in Loop: Header=BB177_51 Depth=1
	s_andn2_saveexec_b64 s[12:13], s[0:1]
; %bb.113:                              ;   in Loop: Header=BB177_51 Depth=1
	v_or_b32_e32 v3, 0x10000, v2
	v_cmp_eq_u32_sdwa s[0:1], v2, v21 src0_sel:WORD_0 src1_sel:DWORD
	s_nop 1
	v_cndmask_b32_e64 v44, v3, v2, s[0:1]
; %bb.114:                              ;   in Loop: Header=BB177_51 Depth=1
	s_or_b64 exec, exec, s[12:13]
	v_and_b32_e32 v63, 0xffff0000, v25
	v_lshlrev_b32_e32 v2, 16, v45
	v_mul_f32_e32 v2, v63, v2
	v_and_b32_e32 v3, 0x7f800000, v2
	v_cmp_ne_u32_e64 s[0:1], s18, v3
                                        ; implicit-def: $vgpr45
	s_and_saveexec_b64 s[12:13], s[0:1]
	s_xor_b64 s[0:1], exec, s[12:13]
; %bb.115:                              ;   in Loop: Header=BB177_51 Depth=1
	v_bfe_u32 v3, v2, 16, 1
	v_add3_u32 v45, v2, v3, s20
                                        ; implicit-def: $vgpr2
; %bb.116:                              ;   in Loop: Header=BB177_51 Depth=1
	s_andn2_saveexec_b64 s[12:13], s[0:1]
; %bb.117:                              ;   in Loop: Header=BB177_51 Depth=1
	v_or_b32_e32 v3, 0x10000, v2
	v_cmp_eq_u32_sdwa s[0:1], v2, v21 src0_sel:WORD_0 src1_sel:DWORD
	s_nop 1
	v_cndmask_b32_e64 v45, v3, v2, s[0:1]
; %bb.118:                              ;   in Loop: Header=BB177_51 Depth=1
	s_or_b64 exec, exec, s[12:13]
	global_load_dwordx4 v[2:5], v[8:9], off offset:1024
	s_waitcnt vmcnt(0)
	v_lshrrev_b32_e32 v31, 16, v2
	v_lshrrev_b32_e32 v29, 16, v3
	;; [unrolled: 1-line block ×4, first 2 shown]
	s_and_saveexec_b64 s[12:13], vcc
	s_cbranch_execz .LBB177_120
; %bb.119:                              ;   in Loop: Header=BB177_51 Depth=1
	v_cmp_gt_i32_e64 s[0:1], s33, v46
	s_nop 1
	v_cndmask_b32_e64 v2, 0, v2, s[0:1]
	v_cmp_gt_i32_e64 s[0:1], s33, v54
	s_nop 1
	v_cndmask_b32_e64 v31, 0, v31, s[0:1]
	;; [unrolled: 3-line block ×8, first 2 shown]
.LBB177_120:                            ;   in Loop: Header=BB177_51 Depth=1
	s_or_b64 exec, exec, s[12:13]
	v_lshlrev_b32_e32 v2, 16, v2
	v_mul_f32_e32 v2, v55, v2
	v_and_b32_e32 v47, 0x7f800000, v2
	v_cmp_ne_u32_e64 s[0:1], s18, v47
                                        ; implicit-def: $vgpr47
	s_and_saveexec_b64 s[12:13], s[0:1]
	s_xor_b64 s[0:1], exec, s[12:13]
; %bb.121:                              ;   in Loop: Header=BB177_51 Depth=1
	v_bfe_u32 v47, v2, 16, 1
	v_add3_u32 v47, v2, v47, s20
                                        ; implicit-def: $vgpr2
; %bb.122:                              ;   in Loop: Header=BB177_51 Depth=1
	s_andn2_saveexec_b64 s[12:13], s[0:1]
; %bb.123:                              ;   in Loop: Header=BB177_51 Depth=1
	v_or_b32_e32 v47, 0x10000, v2
	v_cmp_eq_u32_sdwa s[0:1], v2, v21 src0_sel:WORD_0 src1_sel:DWORD
	s_nop 1
	v_cndmask_b32_e64 v47, v47, v2, s[0:1]
; %bb.124:                              ;   in Loop: Header=BB177_51 Depth=1
	s_or_b64 exec, exec, s[12:13]
	v_lshlrev_b32_e32 v2, 16, v31
	v_mul_f32_e32 v2, v57, v2
	v_and_b32_e32 v31, 0x7f800000, v2
	v_cmp_ne_u32_e64 s[0:1], s18, v31
                                        ; implicit-def: $vgpr56
	s_and_saveexec_b64 s[12:13], s[0:1]
	s_xor_b64 s[0:1], exec, s[12:13]
; %bb.125:                              ;   in Loop: Header=BB177_51 Depth=1
	v_bfe_u32 v31, v2, 16, 1
	v_add3_u32 v56, v2, v31, s20
                                        ; implicit-def: $vgpr2
; %bb.126:                              ;   in Loop: Header=BB177_51 Depth=1
	s_andn2_saveexec_b64 s[12:13], s[0:1]
; %bb.127:                              ;   in Loop: Header=BB177_51 Depth=1
	v_or_b32_e32 v31, 0x10000, v2
	v_cmp_eq_u32_sdwa s[0:1], v2, v21 src0_sel:WORD_0 src1_sel:DWORD
	s_nop 1
	v_cndmask_b32_e64 v56, v31, v2, s[0:1]
; %bb.128:                              ;   in Loop: Header=BB177_51 Depth=1
	s_or_b64 exec, exec, s[12:13]
	v_lshlrev_b32_e32 v2, 16, v3
	v_mul_f32_e32 v2, v58, v2
	v_and_b32_e32 v3, 0x7f800000, v2
	v_cmp_ne_u32_e64 s[0:1], s18, v3
                                        ; implicit-def: $vgpr64
	s_and_saveexec_b64 s[12:13], s[0:1]
	s_xor_b64 s[0:1], exec, s[12:13]
; %bb.129:                              ;   in Loop: Header=BB177_51 Depth=1
	v_bfe_u32 v3, v2, 16, 1
	v_add3_u32 v64, v2, v3, s20
                                        ; implicit-def: $vgpr2
; %bb.130:                              ;   in Loop: Header=BB177_51 Depth=1
	s_andn2_saveexec_b64 s[12:13], s[0:1]
; %bb.131:                              ;   in Loop: Header=BB177_51 Depth=1
	v_or_b32_e32 v3, 0x10000, v2
	v_cmp_eq_u32_sdwa s[0:1], v2, v21 src0_sel:WORD_0 src1_sel:DWORD
	s_nop 1
	v_cndmask_b32_e64 v64, v3, v2, s[0:1]
; %bb.132:                              ;   in Loop: Header=BB177_51 Depth=1
	s_or_b64 exec, exec, s[12:13]
	v_lshlrev_b32_e32 v2, 16, v29
	v_mul_f32_e32 v2, v59, v2
	v_and_b32_e32 v3, 0x7f800000, v2
	v_cmp_ne_u32_e64 s[0:1], s18, v3
                                        ; implicit-def: $vgpr65
	s_and_saveexec_b64 s[12:13], s[0:1]
	s_xor_b64 s[0:1], exec, s[12:13]
; %bb.133:                              ;   in Loop: Header=BB177_51 Depth=1
	v_bfe_u32 v3, v2, 16, 1
	v_add3_u32 v65, v2, v3, s20
                                        ; implicit-def: $vgpr2
; %bb.134:                              ;   in Loop: Header=BB177_51 Depth=1
	s_andn2_saveexec_b64 s[12:13], s[0:1]
; %bb.135:                              ;   in Loop: Header=BB177_51 Depth=1
	v_or_b32_e32 v3, 0x10000, v2
	v_cmp_eq_u32_sdwa s[0:1], v2, v21 src0_sel:WORD_0 src1_sel:DWORD
	s_nop 1
	v_cndmask_b32_e64 v65, v3, v2, s[0:1]
; %bb.136:                              ;   in Loop: Header=BB177_51 Depth=1
	s_or_b64 exec, exec, s[12:13]
	v_lshlrev_b32_e32 v2, 16, v4
	v_mul_f32_e32 v2, v60, v2
	v_and_b32_e32 v3, 0x7f800000, v2
	v_cmp_ne_u32_e64 s[0:1], s18, v3
                                        ; implicit-def: $vgpr66
	s_and_saveexec_b64 s[12:13], s[0:1]
	s_xor_b64 s[0:1], exec, s[12:13]
; %bb.137:                              ;   in Loop: Header=BB177_51 Depth=1
	v_bfe_u32 v3, v2, 16, 1
	v_add3_u32 v66, v2, v3, s20
                                        ; implicit-def: $vgpr2
; %bb.138:                              ;   in Loop: Header=BB177_51 Depth=1
	s_andn2_saveexec_b64 s[12:13], s[0:1]
; %bb.139:                              ;   in Loop: Header=BB177_51 Depth=1
	v_or_b32_e32 v3, 0x10000, v2
	v_cmp_eq_u32_sdwa s[0:1], v2, v21 src0_sel:WORD_0 src1_sel:DWORD
	s_nop 1
	v_cndmask_b32_e64 v66, v3, v2, s[0:1]
; %bb.140:                              ;   in Loop: Header=BB177_51 Depth=1
	s_or_b64 exec, exec, s[12:13]
	v_lshlrev_b32_e32 v2, 16, v27
	v_mul_f32_e32 v2, v61, v2
	v_and_b32_e32 v3, 0x7f800000, v2
	v_cmp_ne_u32_e64 s[0:1], s18, v3
                                        ; implicit-def: $vgpr67
	s_and_saveexec_b64 s[12:13], s[0:1]
	s_xor_b64 s[0:1], exec, s[12:13]
; %bb.141:                              ;   in Loop: Header=BB177_51 Depth=1
	v_bfe_u32 v3, v2, 16, 1
	v_add3_u32 v67, v2, v3, s20
                                        ; implicit-def: $vgpr2
; %bb.142:                              ;   in Loop: Header=BB177_51 Depth=1
	s_andn2_saveexec_b64 s[12:13], s[0:1]
; %bb.143:                              ;   in Loop: Header=BB177_51 Depth=1
	v_or_b32_e32 v3, 0x10000, v2
	v_cmp_eq_u32_sdwa s[0:1], v2, v21 src0_sel:WORD_0 src1_sel:DWORD
	s_nop 1
	v_cndmask_b32_e64 v67, v3, v2, s[0:1]
; %bb.144:                              ;   in Loop: Header=BB177_51 Depth=1
	s_or_b64 exec, exec, s[12:13]
	v_lshlrev_b32_e32 v2, 16, v5
	v_mul_f32_e32 v2, v62, v2
	v_and_b32_e32 v3, 0x7f800000, v2
	v_cmp_ne_u32_e64 s[0:1], s18, v3
                                        ; implicit-def: $vgpr68
	s_and_saveexec_b64 s[12:13], s[0:1]
	s_xor_b64 s[0:1], exec, s[12:13]
; %bb.145:                              ;   in Loop: Header=BB177_51 Depth=1
	v_bfe_u32 v3, v2, 16, 1
	v_add3_u32 v68, v2, v3, s20
                                        ; implicit-def: $vgpr2
; %bb.146:                              ;   in Loop: Header=BB177_51 Depth=1
	s_andn2_saveexec_b64 s[12:13], s[0:1]
; %bb.147:                              ;   in Loop: Header=BB177_51 Depth=1
	v_or_b32_e32 v3, 0x10000, v2
	v_cmp_eq_u32_sdwa s[0:1], v2, v21 src0_sel:WORD_0 src1_sel:DWORD
	s_nop 1
	v_cndmask_b32_e64 v68, v3, v2, s[0:1]
; %bb.148:                              ;   in Loop: Header=BB177_51 Depth=1
	s_or_b64 exec, exec, s[12:13]
	v_lshlrev_b32_e32 v2, 16, v25
	v_mul_f32_e32 v2, v63, v2
	v_and_b32_e32 v3, 0x7f800000, v2
	v_cmp_ne_u32_e64 s[0:1], s18, v3
                                        ; implicit-def: $vgpr69
	s_and_saveexec_b64 s[12:13], s[0:1]
	s_xor_b64 s[0:1], exec, s[12:13]
; %bb.149:                              ;   in Loop: Header=BB177_51 Depth=1
	v_bfe_u32 v3, v2, 16, 1
	v_add3_u32 v69, v2, v3, s20
                                        ; implicit-def: $vgpr2
; %bb.150:                              ;   in Loop: Header=BB177_51 Depth=1
	s_andn2_saveexec_b64 s[12:13], s[0:1]
; %bb.151:                              ;   in Loop: Header=BB177_51 Depth=1
	v_or_b32_e32 v3, 0x10000, v2
	v_cmp_eq_u32_sdwa s[0:1], v2, v21 src0_sel:WORD_0 src1_sel:DWORD
	s_nop 1
	v_cndmask_b32_e64 v69, v3, v2, s[0:1]
; %bb.152:                              ;   in Loop: Header=BB177_51 Depth=1
	s_or_b64 exec, exec, s[12:13]
	global_load_dwordx4 v[2:5], v[8:9], off offset:2048
	s_waitcnt vmcnt(0)
	v_lshrrev_b32_e32 v31, 16, v2
	v_lshrrev_b32_e32 v29, 16, v3
	;; [unrolled: 1-line block ×4, first 2 shown]
	s_and_saveexec_b64 s[12:13], vcc
	s_cbranch_execz .LBB177_154
; %bb.153:                              ;   in Loop: Header=BB177_51 Depth=1
	v_cmp_gt_i32_e64 s[0:1], s33, v46
	s_nop 1
	v_cndmask_b32_e64 v2, 0, v2, s[0:1]
	v_cmp_gt_i32_e64 s[0:1], s33, v54
	s_nop 1
	v_cndmask_b32_e64 v31, 0, v31, s[0:1]
	;; [unrolled: 3-line block ×8, first 2 shown]
.LBB177_154:                            ;   in Loop: Header=BB177_51 Depth=1
	s_or_b64 exec, exec, s[12:13]
	v_lshlrev_b32_e32 v2, 16, v2
	v_mul_f32_e32 v2, v55, v2
	v_and_b32_e32 v70, 0x7f800000, v2
	v_cmp_ne_u32_e64 s[0:1], s18, v70
                                        ; implicit-def: $vgpr70
	s_and_saveexec_b64 s[12:13], s[0:1]
	s_xor_b64 s[0:1], exec, s[12:13]
; %bb.155:                              ;   in Loop: Header=BB177_51 Depth=1
	v_bfe_u32 v70, v2, 16, 1
	v_add3_u32 v70, v2, v70, s20
                                        ; implicit-def: $vgpr2
; %bb.156:                              ;   in Loop: Header=BB177_51 Depth=1
	s_andn2_saveexec_b64 s[12:13], s[0:1]
; %bb.157:                              ;   in Loop: Header=BB177_51 Depth=1
	v_or_b32_e32 v70, 0x10000, v2
	v_cmp_eq_u32_sdwa s[0:1], v2, v21 src0_sel:WORD_0 src1_sel:DWORD
	s_nop 1
	v_cndmask_b32_e64 v70, v70, v2, s[0:1]
; %bb.158:                              ;   in Loop: Header=BB177_51 Depth=1
	s_or_b64 exec, exec, s[12:13]
	v_lshlrev_b32_e32 v2, 16, v31
	v_mul_f32_e32 v2, v57, v2
	v_and_b32_e32 v31, 0x7f800000, v2
	v_cmp_ne_u32_e64 s[0:1], s18, v31
                                        ; implicit-def: $vgpr71
	s_and_saveexec_b64 s[12:13], s[0:1]
	s_xor_b64 s[0:1], exec, s[12:13]
; %bb.159:                              ;   in Loop: Header=BB177_51 Depth=1
	v_bfe_u32 v31, v2, 16, 1
	v_add3_u32 v71, v2, v31, s20
                                        ; implicit-def: $vgpr2
; %bb.160:                              ;   in Loop: Header=BB177_51 Depth=1
	s_andn2_saveexec_b64 s[12:13], s[0:1]
; %bb.161:                              ;   in Loop: Header=BB177_51 Depth=1
	v_or_b32_e32 v31, 0x10000, v2
	v_cmp_eq_u32_sdwa s[0:1], v2, v21 src0_sel:WORD_0 src1_sel:DWORD
	s_nop 1
	v_cndmask_b32_e64 v71, v31, v2, s[0:1]
; %bb.162:                              ;   in Loop: Header=BB177_51 Depth=1
	s_or_b64 exec, exec, s[12:13]
	v_lshlrev_b32_e32 v2, 16, v3
	v_mul_f32_e32 v2, v58, v2
	v_and_b32_e32 v3, 0x7f800000, v2
	v_cmp_ne_u32_e64 s[0:1], s18, v3
                                        ; implicit-def: $vgpr72
	s_and_saveexec_b64 s[12:13], s[0:1]
	s_xor_b64 s[0:1], exec, s[12:13]
; %bb.163:                              ;   in Loop: Header=BB177_51 Depth=1
	v_bfe_u32 v3, v2, 16, 1
	v_add3_u32 v72, v2, v3, s20
                                        ; implicit-def: $vgpr2
; %bb.164:                              ;   in Loop: Header=BB177_51 Depth=1
	s_andn2_saveexec_b64 s[12:13], s[0:1]
; %bb.165:                              ;   in Loop: Header=BB177_51 Depth=1
	v_or_b32_e32 v3, 0x10000, v2
	v_cmp_eq_u32_sdwa s[0:1], v2, v21 src0_sel:WORD_0 src1_sel:DWORD
	s_nop 1
	v_cndmask_b32_e64 v72, v3, v2, s[0:1]
; %bb.166:                              ;   in Loop: Header=BB177_51 Depth=1
	s_or_b64 exec, exec, s[12:13]
	v_lshlrev_b32_e32 v2, 16, v29
	v_mul_f32_e32 v2, v59, v2
	v_and_b32_e32 v3, 0x7f800000, v2
	v_cmp_ne_u32_e64 s[0:1], s18, v3
                                        ; implicit-def: $vgpr73
	s_and_saveexec_b64 s[12:13], s[0:1]
	s_xor_b64 s[0:1], exec, s[12:13]
; %bb.167:                              ;   in Loop: Header=BB177_51 Depth=1
	v_bfe_u32 v3, v2, 16, 1
	v_add3_u32 v73, v2, v3, s20
                                        ; implicit-def: $vgpr2
; %bb.168:                              ;   in Loop: Header=BB177_51 Depth=1
	s_andn2_saveexec_b64 s[12:13], s[0:1]
; %bb.169:                              ;   in Loop: Header=BB177_51 Depth=1
	v_or_b32_e32 v3, 0x10000, v2
	v_cmp_eq_u32_sdwa s[0:1], v2, v21 src0_sel:WORD_0 src1_sel:DWORD
	s_nop 1
	v_cndmask_b32_e64 v73, v3, v2, s[0:1]
; %bb.170:                              ;   in Loop: Header=BB177_51 Depth=1
	s_or_b64 exec, exec, s[12:13]
	v_lshlrev_b32_e32 v2, 16, v4
	v_mul_f32_e32 v2, v60, v2
	v_and_b32_e32 v3, 0x7f800000, v2
	v_cmp_ne_u32_e64 s[0:1], s18, v3
                                        ; implicit-def: $vgpr74
	s_and_saveexec_b64 s[12:13], s[0:1]
	s_xor_b64 s[0:1], exec, s[12:13]
; %bb.171:                              ;   in Loop: Header=BB177_51 Depth=1
	v_bfe_u32 v3, v2, 16, 1
	v_add3_u32 v74, v2, v3, s20
                                        ; implicit-def: $vgpr2
; %bb.172:                              ;   in Loop: Header=BB177_51 Depth=1
	s_andn2_saveexec_b64 s[12:13], s[0:1]
; %bb.173:                              ;   in Loop: Header=BB177_51 Depth=1
	v_or_b32_e32 v3, 0x10000, v2
	v_cmp_eq_u32_sdwa s[0:1], v2, v21 src0_sel:WORD_0 src1_sel:DWORD
	s_nop 1
	v_cndmask_b32_e64 v74, v3, v2, s[0:1]
; %bb.174:                              ;   in Loop: Header=BB177_51 Depth=1
	s_or_b64 exec, exec, s[12:13]
	v_lshlrev_b32_e32 v2, 16, v27
	v_mul_f32_e32 v2, v61, v2
	v_and_b32_e32 v3, 0x7f800000, v2
	v_cmp_ne_u32_e64 s[0:1], s18, v3
                                        ; implicit-def: $vgpr75
	s_and_saveexec_b64 s[12:13], s[0:1]
	s_xor_b64 s[0:1], exec, s[12:13]
; %bb.175:                              ;   in Loop: Header=BB177_51 Depth=1
	v_bfe_u32 v3, v2, 16, 1
	v_add3_u32 v75, v2, v3, s20
                                        ; implicit-def: $vgpr2
; %bb.176:                              ;   in Loop: Header=BB177_51 Depth=1
	s_andn2_saveexec_b64 s[12:13], s[0:1]
; %bb.177:                              ;   in Loop: Header=BB177_51 Depth=1
	v_or_b32_e32 v3, 0x10000, v2
	v_cmp_eq_u32_sdwa s[0:1], v2, v21 src0_sel:WORD_0 src1_sel:DWORD
	s_nop 1
	v_cndmask_b32_e64 v75, v3, v2, s[0:1]
; %bb.178:                              ;   in Loop: Header=BB177_51 Depth=1
	s_or_b64 exec, exec, s[12:13]
	v_lshlrev_b32_e32 v2, 16, v5
	v_mul_f32_e32 v2, v62, v2
	v_and_b32_e32 v3, 0x7f800000, v2
	v_cmp_ne_u32_e64 s[0:1], s18, v3
                                        ; implicit-def: $vgpr76
	s_and_saveexec_b64 s[12:13], s[0:1]
	s_xor_b64 s[0:1], exec, s[12:13]
; %bb.179:                              ;   in Loop: Header=BB177_51 Depth=1
	v_bfe_u32 v3, v2, 16, 1
	v_add3_u32 v76, v2, v3, s20
                                        ; implicit-def: $vgpr2
; %bb.180:                              ;   in Loop: Header=BB177_51 Depth=1
	s_andn2_saveexec_b64 s[12:13], s[0:1]
; %bb.181:                              ;   in Loop: Header=BB177_51 Depth=1
	v_or_b32_e32 v3, 0x10000, v2
	v_cmp_eq_u32_sdwa s[0:1], v2, v21 src0_sel:WORD_0 src1_sel:DWORD
	s_nop 1
	v_cndmask_b32_e64 v76, v3, v2, s[0:1]
; %bb.182:                              ;   in Loop: Header=BB177_51 Depth=1
	s_or_b64 exec, exec, s[12:13]
	v_lshlrev_b32_e32 v2, 16, v25
	v_mul_f32_e32 v2, v63, v2
	v_and_b32_e32 v3, 0x7f800000, v2
	v_cmp_ne_u32_e64 s[0:1], s18, v3
                                        ; implicit-def: $vgpr77
	s_and_saveexec_b64 s[12:13], s[0:1]
	s_xor_b64 s[0:1], exec, s[12:13]
; %bb.183:                              ;   in Loop: Header=BB177_51 Depth=1
	v_bfe_u32 v3, v2, 16, 1
	v_add3_u32 v77, v2, v3, s20
                                        ; implicit-def: $vgpr2
; %bb.184:                              ;   in Loop: Header=BB177_51 Depth=1
	s_andn2_saveexec_b64 s[12:13], s[0:1]
; %bb.185:                              ;   in Loop: Header=BB177_51 Depth=1
	v_or_b32_e32 v3, 0x10000, v2
	v_cmp_eq_u32_sdwa s[0:1], v2, v21 src0_sel:WORD_0 src1_sel:DWORD
	s_nop 1
	v_cndmask_b32_e64 v77, v3, v2, s[0:1]
; %bb.186:                              ;   in Loop: Header=BB177_51 Depth=1
	s_or_b64 exec, exec, s[12:13]
	global_load_dwordx4 v[2:5], v[8:9], off offset:3072
	s_waitcnt vmcnt(0)
	v_lshrrev_b32_e32 v9, 16, v2
	v_lshrrev_b32_e32 v29, 16, v3
	;; [unrolled: 1-line block ×4, first 2 shown]
	s_and_saveexec_b64 s[12:13], vcc
	s_cbranch_execz .LBB177_188
; %bb.187:                              ;   in Loop: Header=BB177_51 Depth=1
	v_cmp_gt_i32_e64 s[0:1], s33, v46
	s_nop 1
	v_cndmask_b32_e64 v2, 0, v2, s[0:1]
	v_cmp_gt_i32_e64 s[0:1], s33, v54
	s_nop 1
	v_cndmask_b32_e64 v9, 0, v9, s[0:1]
	v_cmp_gt_i32_e64 s[0:1], s33, v53
	s_nop 1
	v_cndmask_b32_e64 v3, 0, v3, s[0:1]
	v_cmp_gt_i32_e64 s[0:1], s33, v51
	s_nop 1
	v_cndmask_b32_e64 v29, 0, v29, s[0:1]
	v_cmp_gt_i32_e64 s[0:1], s33, v50
	s_nop 1
	v_cndmask_b32_e64 v4, 0, v4, s[0:1]
	v_cmp_gt_i32_e64 s[0:1], s33, v49
	s_nop 1
	v_cndmask_b32_e64 v27, 0, v27, s[0:1]
	v_cmp_gt_i32_e64 s[0:1], s33, v48
	s_nop 1
	v_cndmask_b32_e64 v5, 0, v5, s[0:1]
	v_cmp_gt_i32_e64 s[0:1], s33, v52
	s_nop 1
	v_cndmask_b32_e64 v25, 0, v25, s[0:1]
.LBB177_188:                            ;   in Loop: Header=BB177_51 Depth=1
	s_or_b64 exec, exec, s[12:13]
	v_lshlrev_b32_e32 v2, 16, v2
	v_mul_f32_e32 v2, v55, v2
	v_and_b32_e32 v8, 0x7f800000, v2
	v_cmp_ne_u32_e64 s[0:1], s18, v8
                                        ; implicit-def: $vgpr8
	s_and_saveexec_b64 s[12:13], s[0:1]
	s_xor_b64 s[0:1], exec, s[12:13]
; %bb.189:                              ;   in Loop: Header=BB177_51 Depth=1
	v_bfe_u32 v8, v2, 16, 1
	v_add3_u32 v8, v2, v8, s20
                                        ; implicit-def: $vgpr2
; %bb.190:                              ;   in Loop: Header=BB177_51 Depth=1
	s_andn2_saveexec_b64 s[12:13], s[0:1]
; %bb.191:                              ;   in Loop: Header=BB177_51 Depth=1
	v_or_b32_e32 v8, 0x10000, v2
	v_cmp_eq_u32_sdwa s[0:1], v2, v21 src0_sel:WORD_0 src1_sel:DWORD
	s_nop 1
	v_cndmask_b32_e64 v8, v8, v2, s[0:1]
; %bb.192:                              ;   in Loop: Header=BB177_51 Depth=1
	s_or_b64 exec, exec, s[12:13]
	v_lshlrev_b32_e32 v2, 16, v9
	v_mul_f32_e32 v2, v57, v2
	v_and_b32_e32 v9, 0x7f800000, v2
	v_cmp_ne_u32_e64 s[0:1], s18, v9
                                        ; implicit-def: $vgpr9
	s_and_saveexec_b64 s[12:13], s[0:1]
	s_xor_b64 s[0:1], exec, s[12:13]
; %bb.193:                              ;   in Loop: Header=BB177_51 Depth=1
	v_bfe_u32 v9, v2, 16, 1
	v_add3_u32 v9, v2, v9, s20
                                        ; implicit-def: $vgpr2
; %bb.194:                              ;   in Loop: Header=BB177_51 Depth=1
	s_andn2_saveexec_b64 s[12:13], s[0:1]
; %bb.195:                              ;   in Loop: Header=BB177_51 Depth=1
	v_or_b32_e32 v9, 0x10000, v2
	v_cmp_eq_u32_sdwa s[0:1], v2, v21 src0_sel:WORD_0 src1_sel:DWORD
	s_nop 1
	v_cndmask_b32_e64 v9, v9, v2, s[0:1]
; %bb.196:                              ;   in Loop: Header=BB177_51 Depth=1
	s_or_b64 exec, exec, s[12:13]
	v_lshlrev_b32_e32 v2, 16, v3
	v_mul_f32_e32 v2, v58, v2
	v_and_b32_e32 v3, 0x7f800000, v2
	v_cmp_ne_u32_e64 s[0:1], s18, v3
                                        ; implicit-def: $vgpr78
	s_and_saveexec_b64 s[12:13], s[0:1]
	s_xor_b64 s[0:1], exec, s[12:13]
; %bb.197:                              ;   in Loop: Header=BB177_51 Depth=1
	v_bfe_u32 v3, v2, 16, 1
	v_add3_u32 v78, v2, v3, s20
                                        ; implicit-def: $vgpr2
; %bb.198:                              ;   in Loop: Header=BB177_51 Depth=1
	s_andn2_saveexec_b64 s[12:13], s[0:1]
; %bb.199:                              ;   in Loop: Header=BB177_51 Depth=1
	v_or_b32_e32 v3, 0x10000, v2
	v_cmp_eq_u32_sdwa s[0:1], v2, v21 src0_sel:WORD_0 src1_sel:DWORD
	s_nop 1
	v_cndmask_b32_e64 v78, v3, v2, s[0:1]
; %bb.200:                              ;   in Loop: Header=BB177_51 Depth=1
	s_or_b64 exec, exec, s[12:13]
	v_lshlrev_b32_e32 v2, 16, v29
	v_mul_f32_e32 v2, v59, v2
	v_and_b32_e32 v3, 0x7f800000, v2
	v_cmp_ne_u32_e64 s[0:1], s18, v3
                                        ; implicit-def: $vgpr79
	s_and_saveexec_b64 s[12:13], s[0:1]
	s_xor_b64 s[0:1], exec, s[12:13]
; %bb.201:                              ;   in Loop: Header=BB177_51 Depth=1
	v_bfe_u32 v3, v2, 16, 1
	v_add3_u32 v79, v2, v3, s20
                                        ; implicit-def: $vgpr2
; %bb.202:                              ;   in Loop: Header=BB177_51 Depth=1
	s_andn2_saveexec_b64 s[12:13], s[0:1]
; %bb.203:                              ;   in Loop: Header=BB177_51 Depth=1
	v_or_b32_e32 v3, 0x10000, v2
	v_cmp_eq_u32_sdwa s[0:1], v2, v21 src0_sel:WORD_0 src1_sel:DWORD
	s_nop 1
	v_cndmask_b32_e64 v79, v3, v2, s[0:1]
; %bb.204:                              ;   in Loop: Header=BB177_51 Depth=1
	s_or_b64 exec, exec, s[12:13]
	v_lshlrev_b32_e32 v2, 16, v4
	v_mul_f32_e32 v2, v60, v2
	v_and_b32_e32 v3, 0x7f800000, v2
	v_cmp_ne_u32_e64 s[0:1], s18, v3
                                        ; implicit-def: $vgpr80
	s_and_saveexec_b64 s[12:13], s[0:1]
	s_xor_b64 s[0:1], exec, s[12:13]
; %bb.205:                              ;   in Loop: Header=BB177_51 Depth=1
	v_bfe_u32 v3, v2, 16, 1
	v_add3_u32 v80, v2, v3, s20
                                        ; implicit-def: $vgpr2
; %bb.206:                              ;   in Loop: Header=BB177_51 Depth=1
	s_andn2_saveexec_b64 s[12:13], s[0:1]
; %bb.207:                              ;   in Loop: Header=BB177_51 Depth=1
	v_or_b32_e32 v3, 0x10000, v2
	v_cmp_eq_u32_sdwa s[0:1], v2, v21 src0_sel:WORD_0 src1_sel:DWORD
	s_nop 1
	v_cndmask_b32_e64 v80, v3, v2, s[0:1]
; %bb.208:                              ;   in Loop: Header=BB177_51 Depth=1
	s_or_b64 exec, exec, s[12:13]
	v_lshlrev_b32_e32 v2, 16, v27
	v_mul_f32_e32 v2, v61, v2
	v_and_b32_e32 v3, 0x7f800000, v2
	v_cmp_ne_u32_e64 s[0:1], s18, v3
                                        ; implicit-def: $vgpr81
	s_and_saveexec_b64 s[12:13], s[0:1]
	s_xor_b64 s[0:1], exec, s[12:13]
; %bb.209:                              ;   in Loop: Header=BB177_51 Depth=1
	v_bfe_u32 v3, v2, 16, 1
	v_add3_u32 v81, v2, v3, s20
                                        ; implicit-def: $vgpr2
; %bb.210:                              ;   in Loop: Header=BB177_51 Depth=1
	s_andn2_saveexec_b64 s[12:13], s[0:1]
; %bb.211:                              ;   in Loop: Header=BB177_51 Depth=1
	v_or_b32_e32 v3, 0x10000, v2
	v_cmp_eq_u32_sdwa s[0:1], v2, v21 src0_sel:WORD_0 src1_sel:DWORD
	s_nop 1
	v_cndmask_b32_e64 v81, v3, v2, s[0:1]
; %bb.212:                              ;   in Loop: Header=BB177_51 Depth=1
	s_or_b64 exec, exec, s[12:13]
	v_lshlrev_b32_e32 v2, 16, v5
	v_mul_f32_e32 v2, v62, v2
	v_and_b32_e32 v3, 0x7f800000, v2
	v_cmp_ne_u32_e64 s[0:1], s18, v3
                                        ; implicit-def: $vgpr82
	s_and_saveexec_b64 s[12:13], s[0:1]
	s_xor_b64 s[0:1], exec, s[12:13]
; %bb.213:                              ;   in Loop: Header=BB177_51 Depth=1
	v_bfe_u32 v3, v2, 16, 1
	v_add3_u32 v82, v2, v3, s20
                                        ; implicit-def: $vgpr2
; %bb.214:                              ;   in Loop: Header=BB177_51 Depth=1
	s_andn2_saveexec_b64 s[12:13], s[0:1]
; %bb.215:                              ;   in Loop: Header=BB177_51 Depth=1
	v_or_b32_e32 v3, 0x10000, v2
	v_cmp_eq_u32_sdwa s[0:1], v2, v21 src0_sel:WORD_0 src1_sel:DWORD
	s_nop 1
	v_cndmask_b32_e64 v82, v3, v2, s[0:1]
; %bb.216:                              ;   in Loop: Header=BB177_51 Depth=1
	s_or_b64 exec, exec, s[12:13]
	v_lshlrev_b32_e32 v2, 16, v25
	v_mul_f32_e32 v2, v63, v2
	v_and_b32_e32 v3, 0x7f800000, v2
	v_cmp_ne_u32_e64 s[0:1], s18, v3
                                        ; implicit-def: $vgpr83
	s_and_saveexec_b64 s[12:13], s[0:1]
	s_xor_b64 s[0:1], exec, s[12:13]
; %bb.217:                              ;   in Loop: Header=BB177_51 Depth=1
	v_bfe_u32 v3, v2, 16, 1
	v_add3_u32 v83, v2, v3, s20
                                        ; implicit-def: $vgpr2
; %bb.218:                              ;   in Loop: Header=BB177_51 Depth=1
	s_andn2_saveexec_b64 s[12:13], s[0:1]
; %bb.219:                              ;   in Loop: Header=BB177_51 Depth=1
	v_or_b32_e32 v3, 0x10000, v2
	v_cmp_eq_u32_sdwa s[0:1], v2, v21 src0_sel:WORD_0 src1_sel:DWORD
	s_nop 1
	v_cndmask_b32_e64 v83, v3, v2, s[0:1]
; %bb.220:                              ;   in Loop: Header=BB177_51 Depth=1
	s_or_b64 exec, exec, s[12:13]
	v_mov_b32_e32 v25, v21
	v_lshl_add_u64 v[2:3], v[6:7], 0, v[24:25]
	global_load_dwordx4 v[2:5], v[2:3], off
	s_waitcnt vmcnt(0)
	v_lshrrev_b32_e32 v84, 16, v2
	v_lshrrev_b32_e32 v31, 16, v3
	;; [unrolled: 1-line block ×4, first 2 shown]
	s_and_saveexec_b64 s[12:13], vcc
	s_cbranch_execz .LBB177_222
; %bb.221:                              ;   in Loop: Header=BB177_51 Depth=1
	v_cmp_gt_i32_e64 s[0:1], s33, v46
	s_nop 1
	v_cndmask_b32_e64 v2, 0, v2, s[0:1]
	v_cmp_gt_i32_e64 s[0:1], s33, v54
	s_nop 1
	v_cndmask_b32_e64 v84, 0, v84, s[0:1]
	;; [unrolled: 3-line block ×8, first 2 shown]
.LBB177_222:                            ;   in Loop: Header=BB177_51 Depth=1
	s_or_b64 exec, exec, s[12:13]
	v_lshlrev_b32_e32 v2, 16, v2
	v_mul_f32_e32 v2, v55, v2
	v_and_b32_e32 v25, 0x7f800000, v2
	v_cmp_ne_u32_e64 s[0:1], s18, v25
                                        ; implicit-def: $vgpr25
	s_and_saveexec_b64 s[12:13], s[0:1]
	s_xor_b64 s[0:1], exec, s[12:13]
; %bb.223:                              ;   in Loop: Header=BB177_51 Depth=1
	v_bfe_u32 v25, v2, 16, 1
	v_add3_u32 v25, v2, v25, s20
                                        ; implicit-def: $vgpr2
; %bb.224:                              ;   in Loop: Header=BB177_51 Depth=1
	s_andn2_saveexec_b64 s[12:13], s[0:1]
; %bb.225:                              ;   in Loop: Header=BB177_51 Depth=1
	v_or_b32_e32 v25, 0x10000, v2
	v_cmp_eq_u32_sdwa s[0:1], v2, v21 src0_sel:WORD_0 src1_sel:DWORD
	s_nop 1
	v_cndmask_b32_e64 v25, v25, v2, s[0:1]
; %bb.226:                              ;   in Loop: Header=BB177_51 Depth=1
	s_or_b64 exec, exec, s[12:13]
	v_lshlrev_b32_e32 v2, 16, v84
	v_mul_f32_e32 v2, v57, v2
	v_and_b32_e32 v84, 0x7f800000, v2
	v_cmp_ne_u32_e64 s[0:1], s18, v84
                                        ; implicit-def: $vgpr84
	s_and_saveexec_b64 s[12:13], s[0:1]
	s_xor_b64 s[0:1], exec, s[12:13]
; %bb.227:                              ;   in Loop: Header=BB177_51 Depth=1
	v_bfe_u32 v84, v2, 16, 1
	v_add3_u32 v84, v2, v84, s20
                                        ; implicit-def: $vgpr2
; %bb.228:                              ;   in Loop: Header=BB177_51 Depth=1
	s_andn2_saveexec_b64 s[12:13], s[0:1]
; %bb.229:                              ;   in Loop: Header=BB177_51 Depth=1
	v_or_b32_e32 v84, 0x10000, v2
	v_cmp_eq_u32_sdwa s[0:1], v2, v21 src0_sel:WORD_0 src1_sel:DWORD
	s_nop 1
	v_cndmask_b32_e64 v84, v84, v2, s[0:1]
; %bb.230:                              ;   in Loop: Header=BB177_51 Depth=1
	s_or_b64 exec, exec, s[12:13]
	v_lshlrev_b32_e32 v2, 16, v3
	v_mul_f32_e32 v2, v58, v2
	v_and_b32_e32 v3, 0x7f800000, v2
	v_cmp_ne_u32_e64 s[0:1], s18, v3
                                        ; implicit-def: $vgpr85
	s_and_saveexec_b64 s[12:13], s[0:1]
	s_xor_b64 s[0:1], exec, s[12:13]
; %bb.231:                              ;   in Loop: Header=BB177_51 Depth=1
	v_bfe_u32 v3, v2, 16, 1
	v_add3_u32 v85, v2, v3, s20
                                        ; implicit-def: $vgpr2
; %bb.232:                              ;   in Loop: Header=BB177_51 Depth=1
	s_andn2_saveexec_b64 s[12:13], s[0:1]
; %bb.233:                              ;   in Loop: Header=BB177_51 Depth=1
	v_or_b32_e32 v3, 0x10000, v2
	v_cmp_eq_u32_sdwa s[0:1], v2, v21 src0_sel:WORD_0 src1_sel:DWORD
	s_nop 1
	v_cndmask_b32_e64 v85, v3, v2, s[0:1]
; %bb.234:                              ;   in Loop: Header=BB177_51 Depth=1
	s_or_b64 exec, exec, s[12:13]
	v_lshlrev_b32_e32 v2, 16, v31
	v_mul_f32_e32 v2, v59, v2
	v_and_b32_e32 v3, 0x7f800000, v2
	v_cmp_ne_u32_e64 s[0:1], s18, v3
                                        ; implicit-def: $vgpr86
	s_and_saveexec_b64 s[12:13], s[0:1]
	s_xor_b64 s[0:1], exec, s[12:13]
; %bb.235:                              ;   in Loop: Header=BB177_51 Depth=1
	v_bfe_u32 v3, v2, 16, 1
	v_add3_u32 v86, v2, v3, s20
                                        ; implicit-def: $vgpr2
; %bb.236:                              ;   in Loop: Header=BB177_51 Depth=1
	s_andn2_saveexec_b64 s[12:13], s[0:1]
; %bb.237:                              ;   in Loop: Header=BB177_51 Depth=1
	v_or_b32_e32 v3, 0x10000, v2
	v_cmp_eq_u32_sdwa s[0:1], v2, v21 src0_sel:WORD_0 src1_sel:DWORD
	s_nop 1
	v_cndmask_b32_e64 v86, v3, v2, s[0:1]
; %bb.238:                              ;   in Loop: Header=BB177_51 Depth=1
	s_or_b64 exec, exec, s[12:13]
	v_lshlrev_b32_e32 v2, 16, v4
	v_mul_f32_e32 v2, v60, v2
	v_and_b32_e32 v3, 0x7f800000, v2
	v_cmp_ne_u32_e64 s[0:1], s18, v3
                                        ; implicit-def: $vgpr87
	s_and_saveexec_b64 s[12:13], s[0:1]
	s_xor_b64 s[0:1], exec, s[12:13]
; %bb.239:                              ;   in Loop: Header=BB177_51 Depth=1
	v_bfe_u32 v3, v2, 16, 1
	v_add3_u32 v87, v2, v3, s20
                                        ; implicit-def: $vgpr2
; %bb.240:                              ;   in Loop: Header=BB177_51 Depth=1
	s_andn2_saveexec_b64 s[12:13], s[0:1]
; %bb.241:                              ;   in Loop: Header=BB177_51 Depth=1
	v_or_b32_e32 v3, 0x10000, v2
	v_cmp_eq_u32_sdwa s[0:1], v2, v21 src0_sel:WORD_0 src1_sel:DWORD
	s_nop 1
	v_cndmask_b32_e64 v87, v3, v2, s[0:1]
; %bb.242:                              ;   in Loop: Header=BB177_51 Depth=1
	s_or_b64 exec, exec, s[12:13]
	v_lshlrev_b32_e32 v2, 16, v29
	v_mul_f32_e32 v2, v61, v2
	v_and_b32_e32 v3, 0x7f800000, v2
	v_cmp_ne_u32_e64 s[0:1], s18, v3
                                        ; implicit-def: $vgpr88
	s_and_saveexec_b64 s[12:13], s[0:1]
	s_xor_b64 s[0:1], exec, s[12:13]
; %bb.243:                              ;   in Loop: Header=BB177_51 Depth=1
	v_bfe_u32 v3, v2, 16, 1
	v_add3_u32 v88, v2, v3, s20
                                        ; implicit-def: $vgpr2
; %bb.244:                              ;   in Loop: Header=BB177_51 Depth=1
	s_andn2_saveexec_b64 s[12:13], s[0:1]
; %bb.245:                              ;   in Loop: Header=BB177_51 Depth=1
	v_or_b32_e32 v3, 0x10000, v2
	v_cmp_eq_u32_sdwa s[0:1], v2, v21 src0_sel:WORD_0 src1_sel:DWORD
	s_nop 1
	v_cndmask_b32_e64 v88, v3, v2, s[0:1]
; %bb.246:                              ;   in Loop: Header=BB177_51 Depth=1
	s_or_b64 exec, exec, s[12:13]
	v_lshlrev_b32_e32 v2, 16, v5
	v_mul_f32_e32 v2, v62, v2
	v_and_b32_e32 v3, 0x7f800000, v2
	v_cmp_ne_u32_e64 s[0:1], s18, v3
                                        ; implicit-def: $vgpr89
	s_and_saveexec_b64 s[12:13], s[0:1]
	s_xor_b64 s[0:1], exec, s[12:13]
; %bb.247:                              ;   in Loop: Header=BB177_51 Depth=1
	v_bfe_u32 v3, v2, 16, 1
	v_add3_u32 v89, v2, v3, s20
                                        ; implicit-def: $vgpr2
; %bb.248:                              ;   in Loop: Header=BB177_51 Depth=1
	s_andn2_saveexec_b64 s[12:13], s[0:1]
; %bb.249:                              ;   in Loop: Header=BB177_51 Depth=1
	v_or_b32_e32 v3, 0x10000, v2
	v_cmp_eq_u32_sdwa s[0:1], v2, v21 src0_sel:WORD_0 src1_sel:DWORD
	s_nop 1
	v_cndmask_b32_e64 v89, v3, v2, s[0:1]
; %bb.250:                              ;   in Loop: Header=BB177_51 Depth=1
	s_or_b64 exec, exec, s[12:13]
	v_lshlrev_b32_e32 v2, 16, v27
	v_mul_f32_e32 v2, v63, v2
	v_and_b32_e32 v3, 0x7f800000, v2
	v_cmp_ne_u32_e64 s[0:1], s18, v3
                                        ; implicit-def: $vgpr90
	s_and_saveexec_b64 s[12:13], s[0:1]
	s_xor_b64 s[0:1], exec, s[12:13]
; %bb.251:                              ;   in Loop: Header=BB177_51 Depth=1
	v_bfe_u32 v3, v2, 16, 1
	v_add3_u32 v90, v2, v3, s20
                                        ; implicit-def: $vgpr2
; %bb.252:                              ;   in Loop: Header=BB177_51 Depth=1
	s_andn2_saveexec_b64 s[12:13], s[0:1]
; %bb.253:                              ;   in Loop: Header=BB177_51 Depth=1
	v_or_b32_e32 v3, 0x10000, v2
	v_cmp_eq_u32_sdwa s[0:1], v2, v21 src0_sel:WORD_0 src1_sel:DWORD
	s_nop 1
	v_cndmask_b32_e64 v90, v3, v2, s[0:1]
; %bb.254:                              ;   in Loop: Header=BB177_51 Depth=1
	s_or_b64 exec, exec, s[12:13]
	v_mov_b32_e32 v27, v21
	v_lshl_add_u64 v[2:3], v[6:7], 0, v[26:27]
	global_load_dwordx4 v[2:5], v[2:3], off
	s_waitcnt vmcnt(0)
	v_lshrrev_b32_e32 v91, 16, v2
	v_lshrrev_b32_e32 v93, 16, v3
	;; [unrolled: 1-line block ×4, first 2 shown]
	s_and_saveexec_b64 s[12:13], vcc
	s_cbranch_execz .LBB177_256
; %bb.255:                              ;   in Loop: Header=BB177_51 Depth=1
	v_cmp_gt_i32_e64 s[0:1], s33, v46
	s_nop 1
	v_cndmask_b32_e64 v2, 0, v2, s[0:1]
	v_cmp_gt_i32_e64 s[0:1], s33, v54
	s_nop 1
	v_cndmask_b32_e64 v91, 0, v91, s[0:1]
	;; [unrolled: 3-line block ×8, first 2 shown]
.LBB177_256:                            ;   in Loop: Header=BB177_51 Depth=1
	s_or_b64 exec, exec, s[12:13]
	v_lshlrev_b32_e32 v2, 16, v2
	v_mul_f32_e32 v2, v55, v2
	v_and_b32_e32 v27, 0x7f800000, v2
	v_cmp_ne_u32_e64 s[0:1], s18, v27
                                        ; implicit-def: $vgpr27
	s_and_saveexec_b64 s[12:13], s[0:1]
	s_xor_b64 s[0:1], exec, s[12:13]
; %bb.257:                              ;   in Loop: Header=BB177_51 Depth=1
	v_bfe_u32 v27, v2, 16, 1
	v_add3_u32 v27, v2, v27, s20
                                        ; implicit-def: $vgpr2
; %bb.258:                              ;   in Loop: Header=BB177_51 Depth=1
	s_andn2_saveexec_b64 s[12:13], s[0:1]
; %bb.259:                              ;   in Loop: Header=BB177_51 Depth=1
	v_or_b32_e32 v27, 0x10000, v2
	v_cmp_eq_u32_sdwa s[0:1], v2, v21 src0_sel:WORD_0 src1_sel:DWORD
	s_nop 1
	v_cndmask_b32_e64 v27, v27, v2, s[0:1]
; %bb.260:                              ;   in Loop: Header=BB177_51 Depth=1
	s_or_b64 exec, exec, s[12:13]
	v_lshlrev_b32_e32 v2, 16, v91
	v_mul_f32_e32 v2, v57, v2
	v_and_b32_e32 v91, 0x7f800000, v2
	v_cmp_ne_u32_e64 s[0:1], s18, v91
                                        ; implicit-def: $vgpr91
	s_and_saveexec_b64 s[12:13], s[0:1]
	s_xor_b64 s[0:1], exec, s[12:13]
; %bb.261:                              ;   in Loop: Header=BB177_51 Depth=1
	v_bfe_u32 v91, v2, 16, 1
	v_add3_u32 v91, v2, v91, s20
                                        ; implicit-def: $vgpr2
; %bb.262:                              ;   in Loop: Header=BB177_51 Depth=1
	s_andn2_saveexec_b64 s[12:13], s[0:1]
; %bb.263:                              ;   in Loop: Header=BB177_51 Depth=1
	v_or_b32_e32 v91, 0x10000, v2
	v_cmp_eq_u32_sdwa s[0:1], v2, v21 src0_sel:WORD_0 src1_sel:DWORD
	s_nop 1
	v_cndmask_b32_e64 v91, v91, v2, s[0:1]
; %bb.264:                              ;   in Loop: Header=BB177_51 Depth=1
	s_or_b64 exec, exec, s[12:13]
	v_lshlrev_b32_e32 v2, 16, v3
	v_mul_f32_e32 v2, v58, v2
	v_and_b32_e32 v3, 0x7f800000, v2
	v_cmp_ne_u32_e64 s[0:1], s18, v3
                                        ; implicit-def: $vgpr92
	s_and_saveexec_b64 s[12:13], s[0:1]
	s_xor_b64 s[0:1], exec, s[12:13]
; %bb.265:                              ;   in Loop: Header=BB177_51 Depth=1
	v_bfe_u32 v3, v2, 16, 1
	v_add3_u32 v92, v2, v3, s20
                                        ; implicit-def: $vgpr2
; %bb.266:                              ;   in Loop: Header=BB177_51 Depth=1
	s_andn2_saveexec_b64 s[12:13], s[0:1]
; %bb.267:                              ;   in Loop: Header=BB177_51 Depth=1
	v_or_b32_e32 v3, 0x10000, v2
	v_cmp_eq_u32_sdwa s[0:1], v2, v21 src0_sel:WORD_0 src1_sel:DWORD
	s_nop 1
	v_cndmask_b32_e64 v92, v3, v2, s[0:1]
; %bb.268:                              ;   in Loop: Header=BB177_51 Depth=1
	s_or_b64 exec, exec, s[12:13]
	v_lshlrev_b32_e32 v2, 16, v93
	v_mul_f32_e32 v2, v59, v2
	v_and_b32_e32 v3, 0x7f800000, v2
	v_cmp_ne_u32_e64 s[0:1], s18, v3
                                        ; implicit-def: $vgpr93
	s_and_saveexec_b64 s[12:13], s[0:1]
	s_xor_b64 s[0:1], exec, s[12:13]
; %bb.269:                              ;   in Loop: Header=BB177_51 Depth=1
	v_bfe_u32 v3, v2, 16, 1
	v_add3_u32 v93, v2, v3, s20
                                        ; implicit-def: $vgpr2
; %bb.270:                              ;   in Loop: Header=BB177_51 Depth=1
	s_andn2_saveexec_b64 s[12:13], s[0:1]
; %bb.271:                              ;   in Loop: Header=BB177_51 Depth=1
	v_or_b32_e32 v3, 0x10000, v2
	v_cmp_eq_u32_sdwa s[0:1], v2, v21 src0_sel:WORD_0 src1_sel:DWORD
	s_nop 1
	v_cndmask_b32_e64 v93, v3, v2, s[0:1]
; %bb.272:                              ;   in Loop: Header=BB177_51 Depth=1
	s_or_b64 exec, exec, s[12:13]
	v_lshlrev_b32_e32 v2, 16, v4
	v_mul_f32_e32 v2, v60, v2
	v_and_b32_e32 v3, 0x7f800000, v2
	v_cmp_ne_u32_e64 s[0:1], s18, v3
                                        ; implicit-def: $vgpr94
	s_and_saveexec_b64 s[12:13], s[0:1]
	s_xor_b64 s[0:1], exec, s[12:13]
; %bb.273:                              ;   in Loop: Header=BB177_51 Depth=1
	v_bfe_u32 v3, v2, 16, 1
	v_add3_u32 v94, v2, v3, s20
                                        ; implicit-def: $vgpr2
; %bb.274:                              ;   in Loop: Header=BB177_51 Depth=1
	s_andn2_saveexec_b64 s[12:13], s[0:1]
; %bb.275:                              ;   in Loop: Header=BB177_51 Depth=1
	v_or_b32_e32 v3, 0x10000, v2
	v_cmp_eq_u32_sdwa s[0:1], v2, v21 src0_sel:WORD_0 src1_sel:DWORD
	s_nop 1
	v_cndmask_b32_e64 v94, v3, v2, s[0:1]
; %bb.276:                              ;   in Loop: Header=BB177_51 Depth=1
	s_or_b64 exec, exec, s[12:13]
	v_lshlrev_b32_e32 v2, 16, v31
	v_mul_f32_e32 v2, v61, v2
	v_and_b32_e32 v3, 0x7f800000, v2
	v_cmp_ne_u32_e64 s[0:1], s18, v3
                                        ; implicit-def: $vgpr95
	s_and_saveexec_b64 s[12:13], s[0:1]
	s_xor_b64 s[0:1], exec, s[12:13]
; %bb.277:                              ;   in Loop: Header=BB177_51 Depth=1
	v_bfe_u32 v3, v2, 16, 1
	v_add3_u32 v95, v2, v3, s20
                                        ; implicit-def: $vgpr2
; %bb.278:                              ;   in Loop: Header=BB177_51 Depth=1
	s_andn2_saveexec_b64 s[12:13], s[0:1]
; %bb.279:                              ;   in Loop: Header=BB177_51 Depth=1
	v_or_b32_e32 v3, 0x10000, v2
	v_cmp_eq_u32_sdwa s[0:1], v2, v21 src0_sel:WORD_0 src1_sel:DWORD
	s_nop 1
	v_cndmask_b32_e64 v95, v3, v2, s[0:1]
; %bb.280:                              ;   in Loop: Header=BB177_51 Depth=1
	s_or_b64 exec, exec, s[12:13]
	v_lshlrev_b32_e32 v2, 16, v5
	v_mul_f32_e32 v2, v62, v2
	v_and_b32_e32 v3, 0x7f800000, v2
	v_cmp_ne_u32_e64 s[0:1], s18, v3
                                        ; implicit-def: $vgpr96
	s_and_saveexec_b64 s[12:13], s[0:1]
	s_xor_b64 s[0:1], exec, s[12:13]
; %bb.281:                              ;   in Loop: Header=BB177_51 Depth=1
	v_bfe_u32 v3, v2, 16, 1
	v_add3_u32 v96, v2, v3, s20
                                        ; implicit-def: $vgpr2
; %bb.282:                              ;   in Loop: Header=BB177_51 Depth=1
	s_andn2_saveexec_b64 s[12:13], s[0:1]
; %bb.283:                              ;   in Loop: Header=BB177_51 Depth=1
	v_or_b32_e32 v3, 0x10000, v2
	v_cmp_eq_u32_sdwa s[0:1], v2, v21 src0_sel:WORD_0 src1_sel:DWORD
	s_nop 1
	v_cndmask_b32_e64 v96, v3, v2, s[0:1]
; %bb.284:                              ;   in Loop: Header=BB177_51 Depth=1
	s_or_b64 exec, exec, s[12:13]
	v_lshlrev_b32_e32 v2, 16, v29
	v_mul_f32_e32 v2, v63, v2
	v_and_b32_e32 v3, 0x7f800000, v2
	v_cmp_ne_u32_e64 s[0:1], s18, v3
                                        ; implicit-def: $vgpr97
	s_and_saveexec_b64 s[12:13], s[0:1]
	s_xor_b64 s[0:1], exec, s[12:13]
; %bb.285:                              ;   in Loop: Header=BB177_51 Depth=1
	v_bfe_u32 v3, v2, 16, 1
	v_add3_u32 v97, v2, v3, s20
                                        ; implicit-def: $vgpr2
; %bb.286:                              ;   in Loop: Header=BB177_51 Depth=1
	s_andn2_saveexec_b64 s[12:13], s[0:1]
; %bb.287:                              ;   in Loop: Header=BB177_51 Depth=1
	v_or_b32_e32 v3, 0x10000, v2
	v_cmp_eq_u32_sdwa s[0:1], v2, v21 src0_sel:WORD_0 src1_sel:DWORD
	s_nop 1
	v_cndmask_b32_e64 v97, v3, v2, s[0:1]
; %bb.288:                              ;   in Loop: Header=BB177_51 Depth=1
	s_or_b64 exec, exec, s[12:13]
	v_mov_b32_e32 v29, v21
	v_lshl_add_u64 v[2:3], v[6:7], 0, v[28:29]
	global_load_dwordx4 v[2:5], v[2:3], off
	s_waitcnt vmcnt(0)
	v_lshrrev_b32_e32 v98, 16, v2
	v_lshrrev_b32_e32 v100, 16, v3
	;; [unrolled: 1-line block ×4, first 2 shown]
	s_and_saveexec_b64 s[12:13], vcc
	s_cbranch_execz .LBB177_290
; %bb.289:                              ;   in Loop: Header=BB177_51 Depth=1
	v_cmp_gt_i32_e64 s[0:1], s33, v46
	s_nop 1
	v_cndmask_b32_e64 v2, 0, v2, s[0:1]
	v_cmp_gt_i32_e64 s[0:1], s33, v54
	s_nop 1
	v_cndmask_b32_e64 v98, 0, v98, s[0:1]
	v_cmp_gt_i32_e64 s[0:1], s33, v53
	s_nop 1
	v_cndmask_b32_e64 v3, 0, v3, s[0:1]
	v_cmp_gt_i32_e64 s[0:1], s33, v51
	s_nop 1
	v_cndmask_b32_e64 v100, 0, v100, s[0:1]
	v_cmp_gt_i32_e64 s[0:1], s33, v50
	s_nop 1
	v_cndmask_b32_e64 v4, 0, v4, s[0:1]
	v_cmp_gt_i32_e64 s[0:1], s33, v49
	s_nop 1
	v_cndmask_b32_e64 v102, 0, v102, s[0:1]
	v_cmp_gt_i32_e64 s[0:1], s33, v48
	s_nop 1
	v_cndmask_b32_e64 v5, 0, v5, s[0:1]
	v_cmp_gt_i32_e64 s[0:1], s33, v52
	s_nop 1
	v_cndmask_b32_e64 v31, 0, v31, s[0:1]
.LBB177_290:                            ;   in Loop: Header=BB177_51 Depth=1
	s_or_b64 exec, exec, s[12:13]
	v_lshlrev_b32_e32 v2, 16, v2
	v_mul_f32_e32 v2, v55, v2
	v_and_b32_e32 v29, 0x7f800000, v2
	v_cmp_ne_u32_e64 s[0:1], s18, v29
                                        ; implicit-def: $vgpr29
	s_and_saveexec_b64 s[12:13], s[0:1]
	s_xor_b64 s[0:1], exec, s[12:13]
; %bb.291:                              ;   in Loop: Header=BB177_51 Depth=1
	v_bfe_u32 v29, v2, 16, 1
	v_add3_u32 v29, v2, v29, s20
                                        ; implicit-def: $vgpr2
; %bb.292:                              ;   in Loop: Header=BB177_51 Depth=1
	s_andn2_saveexec_b64 s[12:13], s[0:1]
; %bb.293:                              ;   in Loop: Header=BB177_51 Depth=1
	v_or_b32_e32 v29, 0x10000, v2
	v_cmp_eq_u32_sdwa s[0:1], v2, v21 src0_sel:WORD_0 src1_sel:DWORD
	s_nop 1
	v_cndmask_b32_e64 v29, v29, v2, s[0:1]
; %bb.294:                              ;   in Loop: Header=BB177_51 Depth=1
	s_or_b64 exec, exec, s[12:13]
	v_lshlrev_b32_e32 v2, 16, v98
	v_mul_f32_e32 v2, v57, v2
	v_and_b32_e32 v98, 0x7f800000, v2
	v_cmp_ne_u32_e64 s[0:1], s18, v98
                                        ; implicit-def: $vgpr98
	s_and_saveexec_b64 s[12:13], s[0:1]
	s_xor_b64 s[0:1], exec, s[12:13]
; %bb.295:                              ;   in Loop: Header=BB177_51 Depth=1
	v_bfe_u32 v98, v2, 16, 1
	v_add3_u32 v98, v2, v98, s20
                                        ; implicit-def: $vgpr2
; %bb.296:                              ;   in Loop: Header=BB177_51 Depth=1
	s_andn2_saveexec_b64 s[12:13], s[0:1]
; %bb.297:                              ;   in Loop: Header=BB177_51 Depth=1
	v_or_b32_e32 v98, 0x10000, v2
	v_cmp_eq_u32_sdwa s[0:1], v2, v21 src0_sel:WORD_0 src1_sel:DWORD
	s_nop 1
	v_cndmask_b32_e64 v98, v98, v2, s[0:1]
; %bb.298:                              ;   in Loop: Header=BB177_51 Depth=1
	s_or_b64 exec, exec, s[12:13]
	v_lshlrev_b32_e32 v2, 16, v3
	v_mul_f32_e32 v2, v58, v2
	v_and_b32_e32 v3, 0x7f800000, v2
	v_cmp_ne_u32_e64 s[0:1], s18, v3
                                        ; implicit-def: $vgpr99
	s_and_saveexec_b64 s[12:13], s[0:1]
	s_xor_b64 s[0:1], exec, s[12:13]
; %bb.299:                              ;   in Loop: Header=BB177_51 Depth=1
	v_bfe_u32 v3, v2, 16, 1
	v_add3_u32 v99, v2, v3, s20
                                        ; implicit-def: $vgpr2
; %bb.300:                              ;   in Loop: Header=BB177_51 Depth=1
	s_andn2_saveexec_b64 s[12:13], s[0:1]
; %bb.301:                              ;   in Loop: Header=BB177_51 Depth=1
	v_or_b32_e32 v3, 0x10000, v2
	v_cmp_eq_u32_sdwa s[0:1], v2, v21 src0_sel:WORD_0 src1_sel:DWORD
	s_nop 1
	v_cndmask_b32_e64 v99, v3, v2, s[0:1]
; %bb.302:                              ;   in Loop: Header=BB177_51 Depth=1
	s_or_b64 exec, exec, s[12:13]
	v_lshlrev_b32_e32 v2, 16, v100
	v_mul_f32_e32 v2, v59, v2
	v_and_b32_e32 v3, 0x7f800000, v2
	v_cmp_ne_u32_e64 s[0:1], s18, v3
                                        ; implicit-def: $vgpr100
	s_and_saveexec_b64 s[12:13], s[0:1]
	s_xor_b64 s[0:1], exec, s[12:13]
; %bb.303:                              ;   in Loop: Header=BB177_51 Depth=1
	v_bfe_u32 v3, v2, 16, 1
	v_add3_u32 v100, v2, v3, s20
                                        ; implicit-def: $vgpr2
; %bb.304:                              ;   in Loop: Header=BB177_51 Depth=1
	s_andn2_saveexec_b64 s[12:13], s[0:1]
; %bb.305:                              ;   in Loop: Header=BB177_51 Depth=1
	v_or_b32_e32 v3, 0x10000, v2
	v_cmp_eq_u32_sdwa s[0:1], v2, v21 src0_sel:WORD_0 src1_sel:DWORD
	s_nop 1
	v_cndmask_b32_e64 v100, v3, v2, s[0:1]
; %bb.306:                              ;   in Loop: Header=BB177_51 Depth=1
	s_or_b64 exec, exec, s[12:13]
	v_lshlrev_b32_e32 v2, 16, v4
	v_mul_f32_e32 v2, v60, v2
	v_and_b32_e32 v3, 0x7f800000, v2
	v_cmp_ne_u32_e64 s[0:1], s18, v3
                                        ; implicit-def: $vgpr101
	s_and_saveexec_b64 s[12:13], s[0:1]
	s_xor_b64 s[0:1], exec, s[12:13]
; %bb.307:                              ;   in Loop: Header=BB177_51 Depth=1
	v_bfe_u32 v3, v2, 16, 1
	v_add3_u32 v101, v2, v3, s20
                                        ; implicit-def: $vgpr2
; %bb.308:                              ;   in Loop: Header=BB177_51 Depth=1
	s_andn2_saveexec_b64 s[12:13], s[0:1]
; %bb.309:                              ;   in Loop: Header=BB177_51 Depth=1
	v_or_b32_e32 v3, 0x10000, v2
	v_cmp_eq_u32_sdwa s[0:1], v2, v21 src0_sel:WORD_0 src1_sel:DWORD
	s_nop 1
	v_cndmask_b32_e64 v101, v3, v2, s[0:1]
; %bb.310:                              ;   in Loop: Header=BB177_51 Depth=1
	s_or_b64 exec, exec, s[12:13]
	v_lshlrev_b32_e32 v2, 16, v102
	v_mul_f32_e32 v2, v61, v2
	v_and_b32_e32 v3, 0x7f800000, v2
	v_cmp_ne_u32_e64 s[0:1], s18, v3
                                        ; implicit-def: $vgpr102
	s_and_saveexec_b64 s[12:13], s[0:1]
	s_xor_b64 s[0:1], exec, s[12:13]
; %bb.311:                              ;   in Loop: Header=BB177_51 Depth=1
	v_bfe_u32 v3, v2, 16, 1
	v_add3_u32 v102, v2, v3, s20
                                        ; implicit-def: $vgpr2
; %bb.312:                              ;   in Loop: Header=BB177_51 Depth=1
	s_andn2_saveexec_b64 s[12:13], s[0:1]
; %bb.313:                              ;   in Loop: Header=BB177_51 Depth=1
	v_or_b32_e32 v3, 0x10000, v2
	v_cmp_eq_u32_sdwa s[0:1], v2, v21 src0_sel:WORD_0 src1_sel:DWORD
	s_nop 1
	v_cndmask_b32_e64 v102, v3, v2, s[0:1]
; %bb.314:                              ;   in Loop: Header=BB177_51 Depth=1
	s_or_b64 exec, exec, s[12:13]
	v_lshlrev_b32_e32 v2, 16, v5
	v_mul_f32_e32 v2, v62, v2
	v_and_b32_e32 v3, 0x7f800000, v2
	v_cmp_ne_u32_e64 s[0:1], s18, v3
                                        ; implicit-def: $vgpr103
	s_and_saveexec_b64 s[12:13], s[0:1]
	s_xor_b64 s[0:1], exec, s[12:13]
; %bb.315:                              ;   in Loop: Header=BB177_51 Depth=1
	v_bfe_u32 v3, v2, 16, 1
	v_add3_u32 v103, v2, v3, s20
                                        ; implicit-def: $vgpr2
; %bb.316:                              ;   in Loop: Header=BB177_51 Depth=1
	s_andn2_saveexec_b64 s[12:13], s[0:1]
; %bb.317:                              ;   in Loop: Header=BB177_51 Depth=1
	v_or_b32_e32 v3, 0x10000, v2
	v_cmp_eq_u32_sdwa s[0:1], v2, v21 src0_sel:WORD_0 src1_sel:DWORD
	s_nop 1
	v_cndmask_b32_e64 v103, v3, v2, s[0:1]
; %bb.318:                              ;   in Loop: Header=BB177_51 Depth=1
	s_or_b64 exec, exec, s[12:13]
	v_lshlrev_b32_e32 v2, 16, v31
	v_mul_f32_e32 v2, v63, v2
	v_and_b32_e32 v3, 0x7f800000, v2
	v_cmp_ne_u32_e64 s[0:1], s18, v3
                                        ; implicit-def: $vgpr104
	s_and_saveexec_b64 s[12:13], s[0:1]
	s_xor_b64 s[0:1], exec, s[12:13]
; %bb.319:                              ;   in Loop: Header=BB177_51 Depth=1
	v_bfe_u32 v3, v2, 16, 1
	v_add3_u32 v104, v2, v3, s20
                                        ; implicit-def: $vgpr2
; %bb.320:                              ;   in Loop: Header=BB177_51 Depth=1
	s_andn2_saveexec_b64 s[12:13], s[0:1]
; %bb.321:                              ;   in Loop: Header=BB177_51 Depth=1
	v_or_b32_e32 v3, 0x10000, v2
	v_cmp_eq_u32_sdwa s[0:1], v2, v21 src0_sel:WORD_0 src1_sel:DWORD
	s_nop 1
	v_cndmask_b32_e64 v104, v3, v2, s[0:1]
; %bb.322:                              ;   in Loop: Header=BB177_51 Depth=1
	s_or_b64 exec, exec, s[12:13]
	v_mov_b32_e32 v31, v21
	v_lshl_add_u64 v[2:3], v[6:7], 0, v[30:31]
	global_load_dwordx4 v[2:5], v[2:3], off
	s_waitcnt vmcnt(0)
	v_lshrrev_b32_e32 v6, 16, v2
	v_lshrrev_b32_e32 v7, 16, v3
	;; [unrolled: 1-line block ×4, first 2 shown]
	s_and_saveexec_b64 s[0:1], vcc
	s_cbranch_execz .LBB177_324
; %bb.323:                              ;   in Loop: Header=BB177_51 Depth=1
	v_cmp_gt_i32_e32 vcc, s33, v46
	s_nop 1
	v_cndmask_b32_e32 v2, 0, v2, vcc
	v_cmp_gt_i32_e32 vcc, s33, v54
	s_nop 1
	v_cndmask_b32_e32 v6, 0, v6, vcc
	;; [unrolled: 3-line block ×8, first 2 shown]
.LBB177_324:                            ;   in Loop: Header=BB177_51 Depth=1
	s_or_b64 exec, exec, s[0:1]
	v_lshlrev_b32_e32 v2, 16, v2
	v_mul_f32_e32 v46, v55, v2
	v_and_b32_e32 v2, 0x7f800000, v46
	v_cmp_ne_u32_e32 vcc, s18, v2
                                        ; implicit-def: $vgpr2
	s_and_saveexec_b64 s[0:1], vcc
	s_xor_b64 s[0:1], exec, s[0:1]
; %bb.325:                              ;   in Loop: Header=BB177_51 Depth=1
	v_bfe_u32 v2, v46, 16, 1
	v_add3_u32 v2, v46, v2, s20
                                        ; implicit-def: $vgpr46
; %bb.326:                              ;   in Loop: Header=BB177_51 Depth=1
	s_andn2_saveexec_b64 s[0:1], s[0:1]
; %bb.327:                              ;   in Loop: Header=BB177_51 Depth=1
	v_or_b32_e32 v2, 0x10000, v46
	v_cmp_eq_u32_sdwa vcc, v46, v21 src0_sel:WORD_0 src1_sel:DWORD
	s_nop 1
	v_cndmask_b32_e32 v2, v2, v46, vcc
; %bb.328:                              ;   in Loop: Header=BB177_51 Depth=1
	s_or_b64 exec, exec, s[0:1]
	v_lshlrev_b32_e32 v6, 16, v6
	v_mul_f32_e32 v46, v57, v6
	v_and_b32_e32 v6, 0x7f800000, v46
	v_cmp_ne_u32_e32 vcc, s18, v6
                                        ; implicit-def: $vgpr6
	s_and_saveexec_b64 s[0:1], vcc
	s_xor_b64 s[0:1], exec, s[0:1]
; %bb.329:                              ;   in Loop: Header=BB177_51 Depth=1
	v_bfe_u32 v6, v46, 16, 1
	v_add3_u32 v6, v46, v6, s20
                                        ; implicit-def: $vgpr46
; %bb.330:                              ;   in Loop: Header=BB177_51 Depth=1
	s_andn2_saveexec_b64 s[0:1], s[0:1]
; %bb.331:                              ;   in Loop: Header=BB177_51 Depth=1
	v_or_b32_e32 v6, 0x10000, v46
	v_cmp_eq_u32_sdwa vcc, v46, v21 src0_sel:WORD_0 src1_sel:DWORD
	s_nop 1
	v_cndmask_b32_e32 v6, v6, v46, vcc
; %bb.332:                              ;   in Loop: Header=BB177_51 Depth=1
	s_or_b64 exec, exec, s[0:1]
	v_lshlrev_b32_e32 v3, 16, v3
	v_mul_f32_e32 v46, v58, v3
	v_and_b32_e32 v3, 0x7f800000, v46
	v_cmp_ne_u32_e32 vcc, s18, v3
                                        ; implicit-def: $vgpr3
	s_and_saveexec_b64 s[0:1], vcc
	s_xor_b64 s[0:1], exec, s[0:1]
; %bb.333:                              ;   in Loop: Header=BB177_51 Depth=1
	v_bfe_u32 v3, v46, 16, 1
	v_add3_u32 v3, v46, v3, s20
                                        ; implicit-def: $vgpr46
; %bb.334:                              ;   in Loop: Header=BB177_51 Depth=1
	s_andn2_saveexec_b64 s[0:1], s[0:1]
; %bb.335:                              ;   in Loop: Header=BB177_51 Depth=1
	v_or_b32_e32 v3, 0x10000, v46
	v_cmp_eq_u32_sdwa vcc, v46, v21 src0_sel:WORD_0 src1_sel:DWORD
	s_nop 1
	v_cndmask_b32_e32 v3, v3, v46, vcc
; %bb.336:                              ;   in Loop: Header=BB177_51 Depth=1
	s_or_b64 exec, exec, s[0:1]
	v_lshlrev_b32_e32 v7, 16, v7
	v_mul_f32_e32 v46, v59, v7
	v_and_b32_e32 v7, 0x7f800000, v46
	v_cmp_ne_u32_e32 vcc, s18, v7
                                        ; implicit-def: $vgpr7
	s_and_saveexec_b64 s[0:1], vcc
	s_xor_b64 s[0:1], exec, s[0:1]
; %bb.337:                              ;   in Loop: Header=BB177_51 Depth=1
	v_bfe_u32 v7, v46, 16, 1
	v_add3_u32 v7, v46, v7, s20
                                        ; implicit-def: $vgpr46
; %bb.338:                              ;   in Loop: Header=BB177_51 Depth=1
	s_andn2_saveexec_b64 s[0:1], s[0:1]
; %bb.339:                              ;   in Loop: Header=BB177_51 Depth=1
	v_or_b32_e32 v7, 0x10000, v46
	v_cmp_eq_u32_sdwa vcc, v46, v21 src0_sel:WORD_0 src1_sel:DWORD
	s_nop 1
	v_cndmask_b32_e32 v7, v7, v46, vcc
; %bb.340:                              ;   in Loop: Header=BB177_51 Depth=1
	s_or_b64 exec, exec, s[0:1]
	v_lshlrev_b32_e32 v4, 16, v4
	v_mul_f32_e32 v46, v60, v4
	v_and_b32_e32 v4, 0x7f800000, v46
	v_cmp_ne_u32_e32 vcc, s18, v4
                                        ; implicit-def: $vgpr4
	s_and_saveexec_b64 s[0:1], vcc
	s_xor_b64 s[0:1], exec, s[0:1]
; %bb.341:                              ;   in Loop: Header=BB177_51 Depth=1
	v_bfe_u32 v4, v46, 16, 1
	v_add3_u32 v4, v46, v4, s20
                                        ; implicit-def: $vgpr46
; %bb.342:                              ;   in Loop: Header=BB177_51 Depth=1
	s_andn2_saveexec_b64 s[0:1], s[0:1]
; %bb.343:                              ;   in Loop: Header=BB177_51 Depth=1
	v_or_b32_e32 v4, 0x10000, v46
	v_cmp_eq_u32_sdwa vcc, v46, v21 src0_sel:WORD_0 src1_sel:DWORD
	s_nop 1
	v_cndmask_b32_e32 v4, v4, v46, vcc
; %bb.344:                              ;   in Loop: Header=BB177_51 Depth=1
	s_or_b64 exec, exec, s[0:1]
	v_lshlrev_b32_e32 v46, 16, v105
	v_mul_f32_e32 v48, v61, v46
	v_and_b32_e32 v46, 0x7f800000, v48
	v_cmp_ne_u32_e32 vcc, s18, v46
                                        ; implicit-def: $vgpr46
	s_and_saveexec_b64 s[0:1], vcc
	s_xor_b64 s[0:1], exec, s[0:1]
; %bb.345:                              ;   in Loop: Header=BB177_51 Depth=1
	v_bfe_u32 v46, v48, 16, 1
	v_add3_u32 v46, v48, v46, s20
                                        ; implicit-def: $vgpr48
; %bb.346:                              ;   in Loop: Header=BB177_51 Depth=1
	s_andn2_saveexec_b64 s[0:1], s[0:1]
; %bb.347:                              ;   in Loop: Header=BB177_51 Depth=1
	v_or_b32_e32 v46, 0x10000, v48
	v_cmp_eq_u32_sdwa vcc, v48, v21 src0_sel:WORD_0 src1_sel:DWORD
	s_nop 1
	v_cndmask_b32_e32 v46, v46, v48, vcc
; %bb.348:                              ;   in Loop: Header=BB177_51 Depth=1
	s_or_b64 exec, exec, s[0:1]
	v_lshlrev_b32_e32 v5, 16, v5
	v_mul_f32_e32 v48, v62, v5
	v_and_b32_e32 v5, 0x7f800000, v48
	v_cmp_ne_u32_e32 vcc, s18, v5
                                        ; implicit-def: $vgpr5
	s_and_saveexec_b64 s[0:1], vcc
	s_xor_b64 s[0:1], exec, s[0:1]
; %bb.349:                              ;   in Loop: Header=BB177_51 Depth=1
	v_bfe_u32 v5, v48, 16, 1
	v_add3_u32 v5, v48, v5, s20
                                        ; implicit-def: $vgpr48
; %bb.350:                              ;   in Loop: Header=BB177_51 Depth=1
	s_andn2_saveexec_b64 s[0:1], s[0:1]
; %bb.351:                              ;   in Loop: Header=BB177_51 Depth=1
	v_or_b32_e32 v5, 0x10000, v48
	v_cmp_eq_u32_sdwa vcc, v48, v21 src0_sel:WORD_0 src1_sel:DWORD
	s_nop 1
	v_cndmask_b32_e32 v5, v5, v48, vcc
; %bb.352:                              ;   in Loop: Header=BB177_51 Depth=1
	s_or_b64 exec, exec, s[0:1]
	v_lshlrev_b32_e32 v31, 16, v31
	v_mul_f32_e32 v48, v63, v31
	v_and_b32_e32 v31, 0x7f800000, v48
	v_cmp_ne_u32_e32 vcc, s18, v31
                                        ; implicit-def: $vgpr31
	s_and_saveexec_b64 s[0:1], vcc
	s_xor_b64 s[0:1], exec, s[0:1]
; %bb.353:                              ;   in Loop: Header=BB177_51 Depth=1
	v_bfe_u32 v31, v48, 16, 1
	v_add3_u32 v31, v48, v31, s20
                                        ; implicit-def: $vgpr48
; %bb.354:                              ;   in Loop: Header=BB177_51 Depth=1
	s_andn2_saveexec_b64 s[0:1], s[0:1]
	s_cbranch_execz .LBB177_49
; %bb.355:                              ;   in Loop: Header=BB177_51 Depth=1
	v_or_b32_e32 v31, 0x10000, v48
	v_cmp_eq_u32_sdwa vcc, v48, v21 src0_sel:WORD_0 src1_sel:DWORD
	s_nop 1
	v_cndmask_b32_e32 v31, v31, v48, vcc
	s_branch .LBB177_49
.LBB177_356:
	s_or_b64 exec, exec, s[8:9]
.LBB177_357:
	s_or_b64 exec, exec, s[2:3]
	ds_bpermute_b32 v4, v33, v16
	ds_bpermute_b32 v5, v33, v17
	ds_bpermute_b32 v2, v33, v18
	ds_bpermute_b32 v3, v33, v19
	ds_bpermute_b32 v8, v33, v14
	ds_bpermute_b32 v9, v33, v15
	s_waitcnt lgkmcnt(4)
	v_pk_add_f32 v[4:5], v[16:17], v[4:5]
	ds_bpermute_b32 v16, v33, v12
	ds_bpermute_b32 v17, v33, v13
	s_waitcnt lgkmcnt(4)
	v_pk_add_f32 v[2:3], v[18:19], v[2:3]
	s_waitcnt lgkmcnt(2)
	v_pk_add_f32 v[14:15], v[14:15], v[8:9]
	ds_bpermute_b32 v6, v34, v2
	ds_bpermute_b32 v7, v34, v3
	s_waitcnt lgkmcnt(2)
	v_pk_add_f32 v[12:13], v[12:13], v[16:17]
	ds_bpermute_b32 v10, v34, v4
	ds_bpermute_b32 v11, v34, v5
	;; [unrolled: 1-line block ×6, first 2 shown]
	v_and_b32_e32 v1, 0x3c3, v0
	s_waitcnt lgkmcnt(6)
	v_pk_add_f32 v[8:9], v[2:3], v[6:7]
	s_waitcnt lgkmcnt(4)
	v_pk_add_f32 v[4:5], v[4:5], v[10:11]
	;; [unrolled: 2-line block ×4, first 2 shown]
	v_cmp_eq_u32_e32 vcc, 64, v1
	s_barrier
	s_and_saveexec_b64 s[0:1], vcc
	s_cbranch_execz .LBB177_359
; %bb.358:
	v_add_u32_e32 v1, 0x110, v32
	ds_write2_b32 v1, v8, v9 offset1:16
	ds_write2_b32 v1, v4, v5 offset0:32 offset1:48
	ds_write2_b32 v1, v2, v3 offset0:64 offset1:80
	;; [unrolled: 1-line block ×3, first 2 shown]
.LBB177_359:
	s_or_b64 exec, exec, s[0:1]
	v_cmp_gt_u32_e32 vcc, 64, v0
	s_waitcnt lgkmcnt(0)
	s_barrier
	s_and_saveexec_b64 s[2:3], vcc
	s_cbranch_execz .LBB177_370
; %bb.360:
	v_cmp_eq_u32_e64 s[0:1], 0, v35
	v_lshrrev_b32_e32 v1, 2, v0
	s_and_saveexec_b64 s[6:7], s[0:1]
	s_cbranch_execnz .LBB177_406
; %bb.361:
	s_or_b64 exec, exec, s[6:7]
	s_and_saveexec_b64 s[6:7], s[0:1]
	s_cbranch_execnz .LBB177_407
.LBB177_362:
	s_or_b64 exec, exec, s[6:7]
	s_and_saveexec_b64 s[6:7], s[0:1]
	s_cbranch_execnz .LBB177_408
.LBB177_363:
	s_or_b64 exec, exec, s[6:7]
	s_and_saveexec_b64 s[6:7], s[0:1]
	s_cbranch_execnz .LBB177_409
.LBB177_364:
	s_or_b64 exec, exec, s[6:7]
	s_and_saveexec_b64 s[6:7], s[0:1]
	s_cbranch_execnz .LBB177_410
.LBB177_365:
	s_or_b64 exec, exec, s[6:7]
	s_and_saveexec_b64 s[6:7], s[0:1]
	s_cbranch_execnz .LBB177_411
.LBB177_366:
	s_or_b64 exec, exec, s[6:7]
	s_and_saveexec_b64 s[6:7], s[0:1]
	s_cbranch_execnz .LBB177_412
.LBB177_367:
	s_or_b64 exec, exec, s[6:7]
	s_and_saveexec_b64 s[6:7], s[0:1]
	s_cbranch_execz .LBB177_369
.LBB177_368:
	v_mov_b32_e32 v10, 0x110
	v_lshl_add_u32 v1, v1, 2, v10
	ds_read_b32 v1, v1 offset:448
	s_waitcnt lgkmcnt(0)
	v_add_f32_e32 v7, v7, v1
.LBB177_369:
	s_or_b64 exec, exec, s[6:7]
.LBB177_370:
	s_or_b64 exec, exec, s[2:3]
	s_barrier
	s_and_saveexec_b64 s[0:1], vcc
	s_cbranch_execz .LBB177_405
; %bb.371:
	v_cmp_eq_u32_e32 vcc, 0, v35
	s_and_b64 exec, exec, vcc
	s_cbranch_execz .LBB177_405
; %bb.372:
	s_mov_b32 s0, 0x7f800000
	v_and_b32_e32 v1, 0x7f800000, v8
	v_cmp_ne_u32_e32 vcc, s0, v1
                                        ; implicit-def: $vgpr10
	s_and_saveexec_b64 s[0:1], vcc
	s_xor_b64 s[0:1], exec, s[0:1]
; %bb.373:
	v_bfe_u32 v1, v8, 16, 1
	s_movk_i32 s2, 0x7fff
	v_add3_u32 v10, v8, v1, s2
; %bb.374:
	s_andn2_saveexec_b64 s[0:1], s[0:1]
; %bb.375:
	v_mov_b32_e32 v1, 0
	v_or_b32_e32 v10, 0x10000, v8
	v_cmp_eq_u32_sdwa vcc, v8, v1 src0_sel:WORD_0 src1_sel:DWORD
	s_nop 1
	v_cndmask_b32_e32 v10, v10, v8, vcc
; %bb.376:
	s_or_b64 exec, exec, s[0:1]
	s_mul_i32 s0, s16, s24
	s_mul_i32 s0, s0, s25
	s_lshl_b32 s0, s0, 7
	s_ashr_i32 s1, s0, 31
	s_lshl_b64 s[0:1], s[0:1], 1
	s_add_u32 s2, s28, s0
	s_mul_i32 s0, s16, s26
	s_addc_u32 s3, s29, s1
	s_ashr_i32 s1, s0, 31
	s_lshl_b64 s[0:1], s[0:1], 1
	s_add_u32 s2, s2, s0
	s_addc_u32 s3, s3, s1
	s_lshl_b32 s0, s4, 7
	s_ashr_i32 s1, s0, 31
	s_lshl_b64 s[0:1], s[0:1], 1
	s_add_u32 s0, s2, s0
	v_lshrrev_b32_e32 v0, 1, v0
	s_mov_b32 s2, 0x7f800000
	v_and_b32_e32 v8, 0x7f800000, v9
	s_addc_u32 s1, s3, s1
	v_and_b32_e32 v0, 0x1fe, v0
	v_mov_b32_e32 v1, 0
	v_cmp_ne_u32_e32 vcc, s2, v8
	global_store_short_d16_hi v0, v10, s[0:1]
                                        ; implicit-def: $vgpr8
	s_and_saveexec_b64 s[2:3], vcc
	s_xor_b64 s[2:3], exec, s[2:3]
; %bb.377:
	v_bfe_u32 v8, v9, 16, 1
	s_movk_i32 s4, 0x7fff
	v_add3_u32 v8, v9, v8, s4
; %bb.378:
	s_or_saveexec_b64 s[2:3], s[2:3]
	v_lshl_add_u64 v[10:11], s[0:1], 0, v[0:1]
	s_xor_b64 exec, exec, s[2:3]
; %bb.379:
	v_mov_b32_e32 v0, 0
	v_or_b32_e32 v1, 0x10000, v9
	v_cmp_eq_u32_sdwa vcc, v9, v0 src0_sel:WORD_0 src1_sel:DWORD
	s_nop 1
	v_cndmask_b32_e32 v8, v1, v9, vcc
; %bb.380:
	s_or_b64 exec, exec, s[2:3]
	s_mov_b32 s0, 0x7f800000
	v_and_b32_e32 v0, 0x7f800000, v4
	v_cmp_ne_u32_e32 vcc, s0, v0
	global_store_short_d16_hi v[10:11], v8, off offset:32
                                        ; implicit-def: $vgpr0
	s_and_saveexec_b64 s[0:1], vcc
	s_xor_b64 s[0:1], exec, s[0:1]
; %bb.381:
	v_bfe_u32 v0, v4, 16, 1
	s_movk_i32 s2, 0x7fff
	v_add3_u32 v0, v4, v0, s2
; %bb.382:
	s_andn2_saveexec_b64 s[0:1], s[0:1]
; %bb.383:
	v_mov_b32_e32 v0, 0
	v_or_b32_e32 v1, 0x10000, v4
	v_cmp_eq_u32_sdwa vcc, v4, v0 src0_sel:WORD_0 src1_sel:DWORD
	s_nop 1
	v_cndmask_b32_e32 v0, v1, v4, vcc
; %bb.384:
	s_or_b64 exec, exec, s[0:1]
	global_store_short_d16_hi v[10:11], v0, off offset:64
	s_mov_b32 s0, 0x7f800000
	v_and_b32_e32 v0, 0x7f800000, v5
	v_cmp_ne_u32_e32 vcc, s0, v0
                                        ; implicit-def: $vgpr0
	s_and_saveexec_b64 s[0:1], vcc
	s_xor_b64 s[0:1], exec, s[0:1]
; %bb.385:
	v_bfe_u32 v0, v5, 16, 1
	s_movk_i32 s2, 0x7fff
	v_add3_u32 v0, v5, v0, s2
; %bb.386:
	s_andn2_saveexec_b64 s[0:1], s[0:1]
; %bb.387:
	v_mov_b32_e32 v0, 0
	v_or_b32_e32 v1, 0x10000, v5
	v_cmp_eq_u32_sdwa vcc, v5, v0 src0_sel:WORD_0 src1_sel:DWORD
	s_nop 1
	v_cndmask_b32_e32 v0, v1, v5, vcc
; %bb.388:
	s_or_b64 exec, exec, s[0:1]
	global_store_short_d16_hi v[10:11], v0, off offset:96
	s_mov_b32 s0, 0x7f800000
	v_and_b32_e32 v0, 0x7f800000, v2
	v_cmp_ne_u32_e32 vcc, s0, v0
	;; [unrolled: 21-line block ×5, first 2 shown]
                                        ; implicit-def: $vgpr8
	s_and_saveexec_b64 s[0:1], vcc
	s_xor_b64 s[0:1], exec, s[0:1]
; %bb.401:
	v_bfe_u32 v0, v7, 16, 1
	s_movk_i32 s2, 0x7fff
	v_add3_u32 v8, v7, v0, s2
                                        ; implicit-def: $vgpr0_vgpr1_vgpr2_vgpr3_vgpr4_vgpr5_vgpr6_vgpr7
; %bb.402:
	s_andn2_saveexec_b64 s[0:1], s[0:1]
; %bb.403:
	v_mov_b32_e32 v0, 0
	v_or_b32_e32 v1, 0x10000, v7
	v_cmp_eq_u32_sdwa vcc, v7, v0 src0_sel:WORD_0 src1_sel:DWORD
	s_nop 1
	v_cndmask_b32_e32 v8, v1, v7, vcc
; %bb.404:
	s_or_b64 exec, exec, s[0:1]
	global_store_short_d16_hi v[10:11], v8, off offset:224
.LBB177_405:
	s_endpgm
.LBB177_406:
	v_mov_b32_e32 v10, 0x110
	v_lshl_add_u32 v10, v1, 2, v10
	ds_read_b32 v10, v10
	s_waitcnt lgkmcnt(0)
	v_add_f32_e32 v8, v8, v10
	s_or_b64 exec, exec, s[6:7]
	s_and_saveexec_b64 s[6:7], s[0:1]
	s_cbranch_execz .LBB177_362
.LBB177_407:
	v_mov_b32_e32 v10, 0x110
	v_lshl_add_u32 v10, v1, 2, v10
	ds_read_b32 v10, v10 offset:64
	s_waitcnt lgkmcnt(0)
	v_add_f32_e32 v9, v9, v10
	s_or_b64 exec, exec, s[6:7]
	s_and_saveexec_b64 s[6:7], s[0:1]
	s_cbranch_execz .LBB177_363
.LBB177_408:
	v_mov_b32_e32 v10, 0x110
	v_lshl_add_u32 v10, v1, 2, v10
	ds_read_b32 v10, v10 offset:128
	s_waitcnt lgkmcnt(0)
	v_add_f32_e32 v4, v4, v10
	s_or_b64 exec, exec, s[6:7]
	s_and_saveexec_b64 s[6:7], s[0:1]
	s_cbranch_execz .LBB177_364
.LBB177_409:
	v_mov_b32_e32 v10, 0x110
	v_lshl_add_u32 v10, v1, 2, v10
	ds_read_b32 v10, v10 offset:192
	s_waitcnt lgkmcnt(0)
	v_add_f32_e32 v5, v5, v10
	s_or_b64 exec, exec, s[6:7]
	s_and_saveexec_b64 s[6:7], s[0:1]
	s_cbranch_execz .LBB177_365
.LBB177_410:
	v_mov_b32_e32 v10, 0x110
	v_lshl_add_u32 v10, v1, 2, v10
	ds_read_b32 v10, v10 offset:256
	s_waitcnt lgkmcnt(0)
	v_add_f32_e32 v2, v2, v10
	s_or_b64 exec, exec, s[6:7]
	s_and_saveexec_b64 s[6:7], s[0:1]
	s_cbranch_execz .LBB177_366
.LBB177_411:
	v_mov_b32_e32 v10, 0x110
	v_lshl_add_u32 v10, v1, 2, v10
	ds_read_b32 v10, v10 offset:320
	s_waitcnt lgkmcnt(0)
	v_add_f32_e32 v3, v3, v10
	s_or_b64 exec, exec, s[6:7]
	s_and_saveexec_b64 s[6:7], s[0:1]
	s_cbranch_execz .LBB177_367
.LBB177_412:
	v_mov_b32_e32 v10, 0x110
	v_lshl_add_u32 v10, v1, 2, v10
	ds_read_b32 v10, v10 offset:384
	s_waitcnt lgkmcnt(0)
	v_add_f32_e32 v6, v6, v10
	s_or_b64 exec, exec, s[6:7]
	s_and_saveexec_b64 s[6:7], s[0:1]
	s_cbranch_execnz .LBB177_368
	s_branch .LBB177_369
	.section	.rodata,"a",@progbits
	.p2align	6, 0x0
	.amdhsa_kernel _ZN4vllm25paged_attention_v2_kernelI14__hip_bfloat16S1_Li128ELi32ELi128ELNS_18Fp8KVCacheDataTypeE0ELb1ELi512EEEvPfS3_PT_PKS4_PKT0_SA_ifPKiSC_iPKfiiiSE_SE_iiiii
		.amdhsa_group_segment_fixed_size 272
		.amdhsa_private_segment_fixed_size 0
		.amdhsa_kernarg_size 400
		.amdhsa_user_sgpr_count 2
		.amdhsa_user_sgpr_dispatch_ptr 0
		.amdhsa_user_sgpr_queue_ptr 0
		.amdhsa_user_sgpr_kernarg_segment_ptr 1
		.amdhsa_user_sgpr_dispatch_id 0
		.amdhsa_user_sgpr_kernarg_preload_length 0
		.amdhsa_user_sgpr_kernarg_preload_offset 0
		.amdhsa_user_sgpr_private_segment_size 0
		.amdhsa_uses_dynamic_stack 0
		.amdhsa_enable_private_segment 0
		.amdhsa_system_sgpr_workgroup_id_x 1
		.amdhsa_system_sgpr_workgroup_id_y 1
		.amdhsa_system_sgpr_workgroup_id_z 1
		.amdhsa_system_sgpr_workgroup_info 0
		.amdhsa_system_vgpr_workitem_id 0
		.amdhsa_next_free_vgpr 106
		.amdhsa_next_free_sgpr 53
		.amdhsa_accum_offset 108
		.amdhsa_reserve_vcc 1
		.amdhsa_float_round_mode_32 0
		.amdhsa_float_round_mode_16_64 0
		.amdhsa_float_denorm_mode_32 3
		.amdhsa_float_denorm_mode_16_64 3
		.amdhsa_dx10_clamp 1
		.amdhsa_ieee_mode 1
		.amdhsa_fp16_overflow 0
		.amdhsa_tg_split 0
		.amdhsa_exception_fp_ieee_invalid_op 0
		.amdhsa_exception_fp_denorm_src 0
		.amdhsa_exception_fp_ieee_div_zero 0
		.amdhsa_exception_fp_ieee_overflow 0
		.amdhsa_exception_fp_ieee_underflow 0
		.amdhsa_exception_fp_ieee_inexact 0
		.amdhsa_exception_int_div_zero 0
	.end_amdhsa_kernel
	.section	.text._ZN4vllm25paged_attention_v2_kernelI14__hip_bfloat16S1_Li128ELi32ELi128ELNS_18Fp8KVCacheDataTypeE0ELb1ELi512EEEvPfS3_PT_PKS4_PKT0_SA_ifPKiSC_iPKfiiiSE_SE_iiiii,"axG",@progbits,_ZN4vllm25paged_attention_v2_kernelI14__hip_bfloat16S1_Li128ELi32ELi128ELNS_18Fp8KVCacheDataTypeE0ELb1ELi512EEEvPfS3_PT_PKS4_PKT0_SA_ifPKiSC_iPKfiiiSE_SE_iiiii,comdat
.Lfunc_end177:
	.size	_ZN4vllm25paged_attention_v2_kernelI14__hip_bfloat16S1_Li128ELi32ELi128ELNS_18Fp8KVCacheDataTypeE0ELb1ELi512EEEvPfS3_PT_PKS4_PKT0_SA_ifPKiSC_iPKfiiiSE_SE_iiiii, .Lfunc_end177-_ZN4vllm25paged_attention_v2_kernelI14__hip_bfloat16S1_Li128ELi32ELi128ELNS_18Fp8KVCacheDataTypeE0ELb1ELi512EEEvPfS3_PT_PKS4_PKT0_SA_ifPKiSC_iPKfiiiSE_SE_iiiii
                                        ; -- End function
	.section	.AMDGPU.csdata,"",@progbits
; Kernel info:
; codeLenInByte = 14848
; NumSgprs: 59
; NumVgprs: 106
; NumAgprs: 0
; TotalNumVgprs: 106
; ScratchSize: 0
; MemoryBound: 0
; FloatMode: 240
; IeeeMode: 1
; LDSByteSize: 272 bytes/workgroup (compile time only)
; SGPRBlocks: 7
; VGPRBlocks: 13
; NumSGPRsForWavesPerEU: 59
; NumVGPRsForWavesPerEU: 106
; AccumOffset: 108
; Occupancy: 4
; WaveLimiterHint : 1
; COMPUTE_PGM_RSRC2:SCRATCH_EN: 0
; COMPUTE_PGM_RSRC2:USER_SGPR: 2
; COMPUTE_PGM_RSRC2:TRAP_HANDLER: 0
; COMPUTE_PGM_RSRC2:TGID_X_EN: 1
; COMPUTE_PGM_RSRC2:TGID_Y_EN: 1
; COMPUTE_PGM_RSRC2:TGID_Z_EN: 1
; COMPUTE_PGM_RSRC2:TIDIG_COMP_CNT: 0
; COMPUTE_PGM_RSRC3_GFX90A:ACCUM_OFFSET: 26
; COMPUTE_PGM_RSRC3_GFX90A:TG_SPLIT: 0
	.section	.text._ZN4vllm25paged_attention_v2_kernelI14__hip_bfloat16S1_Li192ELi32ELi128ELNS_18Fp8KVCacheDataTypeE0ELb1ELi512EEEvPfS3_PT_PKS4_PKT0_SA_ifPKiSC_iPKfiiiSE_SE_iiiii,"axG",@progbits,_ZN4vllm25paged_attention_v2_kernelI14__hip_bfloat16S1_Li192ELi32ELi128ELNS_18Fp8KVCacheDataTypeE0ELb1ELi512EEEvPfS3_PT_PKS4_PKT0_SA_ifPKiSC_iPKfiiiSE_SE_iiiii,comdat
	.protected	_ZN4vllm25paged_attention_v2_kernelI14__hip_bfloat16S1_Li192ELi32ELi128ELNS_18Fp8KVCacheDataTypeE0ELb1ELi512EEEvPfS3_PT_PKS4_PKT0_SA_ifPKiSC_iPKfiiiSE_SE_iiiii ; -- Begin function _ZN4vllm25paged_attention_v2_kernelI14__hip_bfloat16S1_Li192ELi32ELi128ELNS_18Fp8KVCacheDataTypeE0ELb1ELi512EEEvPfS3_PT_PKS4_PKT0_SA_ifPKiSC_iPKfiiiSE_SE_iiiii
	.globl	_ZN4vllm25paged_attention_v2_kernelI14__hip_bfloat16S1_Li192ELi32ELi128ELNS_18Fp8KVCacheDataTypeE0ELb1ELi512EEEvPfS3_PT_PKS4_PKT0_SA_ifPKiSC_iPKfiiiSE_SE_iiiii
	.p2align	8
	.type	_ZN4vllm25paged_attention_v2_kernelI14__hip_bfloat16S1_Li192ELi32ELi128ELNS_18Fp8KVCacheDataTypeE0ELb1ELi512EEEvPfS3_PT_PKS4_PKT0_SA_ifPKiSC_iPKfiiiSE_SE_iiiii,@function
_ZN4vllm25paged_attention_v2_kernelI14__hip_bfloat16S1_Li192ELi32ELi128ELNS_18Fp8KVCacheDataTypeE0ELb1ELi512EEEvPfS3_PT_PKS4_PKT0_SA_ifPKiSC_iPKfiiiSE_SE_iiiii: ; @_ZN4vllm25paged_attention_v2_kernelI14__hip_bfloat16S1_Li192ELi32ELi128ELNS_18Fp8KVCacheDataTypeE0ELb1ELi512EEEvPfS3_PT_PKS4_PKT0_SA_ifPKiSC_iPKfiiiSE_SE_iiiii
; %bb.0:
	s_load_dwordx2 s[6:7], s[0:1], 0x40
	s_mov_b32 s24, s3
	s_ashr_i32 s25, s3, 31
	s_lshl_b64 s[8:9], s[24:25], 2
	s_waitcnt lgkmcnt(0)
	s_add_u32 s6, s6, s8
	s_addc_u32 s7, s7, s9
	s_load_dword s33, s[6:7], 0x0
	s_lshl_b32 s5, s4, 9
	s_waitcnt lgkmcnt(0)
	s_cmp_ge_i32 s5, s33
	s_cbranch_scc1 .LBB178_563
; %bb.1:
	s_load_dword s25, s[0:1], 0x90
	s_load_dwordx2 s[38:39], s[0:1], 0x30
	v_mov_b32_e32 v15, v0
	s_waitcnt lgkmcnt(0)
	s_abs_i32 s7, s25
	s_abs_i32 s3, s38
	v_cvt_f32_u32_e32 v0, s3
	s_sub_i32 s8, 0, s3
	s_xor_b32 s6, s25, s38
	s_ashr_i32 s6, s6, 31
	v_rcp_iflag_f32_e32 v0, v0
	s_nop 0
	v_mul_f32_e32 v0, 0x4f7ffffe, v0
	v_cvt_u32_f32_e32 v0, v0
	s_nop 0
	v_readfirstlane_b32 s9, v0
	s_mul_i32 s8, s8, s9
	s_mul_hi_u32 s8, s9, s8
	s_add_i32 s9, s9, s8
	s_mul_hi_u32 s8, s7, s9
	s_mul_i32 s9, s8, s3
	s_sub_i32 s7, s7, s9
	s_add_i32 s10, s8, 1
	s_sub_i32 s9, s7, s3
	s_cmp_ge_u32 s7, s3
	s_cselect_b32 s8, s10, s8
	s_cselect_b32 s7, s9, s7
	s_add_i32 s9, s8, 1
	s_cmp_ge_u32 s7, s3
	s_cselect_b32 s3, s9, s8
	s_xor_b32 s3, s3, s6
	s_sub_i32 s12, s3, s6
	s_abs_i32 s8, s12
	v_cvt_f32_u32_e32 v0, s8
	s_load_dwordx2 s[6:7], s[0:1], 0x50
	s_sub_i32 s10, 0, s8
	s_abs_i32 s9, s2
	v_rcp_iflag_f32_e32 v0, v0
	s_mov_b32 s3, 0
	v_mul_f32_e32 v0, 0x4f7ffffe, v0
	v_cvt_u32_f32_e32 v0, v0
	s_nop 0
	v_readfirstlane_b32 s11, v0
	s_mul_i32 s10, s10, s11
	s_mul_hi_u32 s10, s11, s10
	s_add_i32 s11, s11, s10
	s_waitcnt lgkmcnt(0)
	s_cmp_eq_u64 s[6:7], 0
	s_mul_hi_u32 s10, s9, s11
	s_cbranch_scc1 .LBB178_3
; %bb.2:
	s_ashr_i32 s3, s2, 31
	s_lshl_b64 s[14:15], s[2:3], 2
	s_add_u32 s6, s6, s14
	s_addc_u32 s7, s7, s15
	s_load_dword s3, s[6:7], 0x0
.LBB178_3:
	s_ashr_i32 s16, s12, 31
	s_load_dwordx4 s[12:15], s[0:1], 0x58
	s_ashr_i32 s11, s2, 31
	v_and_b32_e32 v0, 1, v15
	s_waitcnt lgkmcnt(0)
	s_movk_i32 s15, 0xc0
	s_mul_i32 s26, s2, 0xc0
	v_cmp_gt_u32_e32 vcc, 48, v15
	v_lshlrev_b32_e32 v49, 3, v15
	s_and_saveexec_b64 s[6:7], vcc
	s_cbranch_execz .LBB178_5
; %bb.4:
	s_load_dwordx2 s[18:19], s[0:1], 0x18
	s_mul_i32 s20, s24, s12
	s_ashr_i32 s21, s20, 31
	s_lshl_b64 s[20:21], s[20:21], 1
	v_lshlrev_b32_e32 v1, 2, v15
	s_waitcnt lgkmcnt(0)
	s_add_u32 s12, s18, s20
	s_addc_u32 s17, s19, s21
	s_ashr_i32 s27, s26, 31
	s_lshl_b64 s[18:19], s[26:27], 1
	s_add_u32 s18, s12, s18
	s_addc_u32 s19, s17, s19
	global_load_dwordx2 v[2:3], v49, s[18:19]
	v_and_b32_e32 v1, 0xff8, v1
	v_mad_u32_u24 v1, v0, s15, v1
	s_waitcnt vmcnt(0)
	ds_write_b64 v1, v[2:3]
.LBB178_5:
	s_or_b64 exec, exec, s[6:7]
	s_mul_i32 s7, s10, s8
	s_sub_i32 s7, s9, s7
	s_xor_b32 s6, s11, s16
	s_add_i32 s9, s10, 1
	s_sub_i32 s11, s7, s8
	s_load_dwordx4 s[16:19], s[0:1], 0x78
	s_cmp_ge_u32 s7, s8
	s_cselect_b32 s9, s9, s10
	s_cselect_b32 s7, s11, s7
	s_load_dword s11, s[0:1], 0x88
	s_add_i32 s10, s9, 1
	s_cmp_ge_u32 s7, s8
	s_cselect_b32 s7, s10, s9
	s_waitcnt lgkmcnt(0)
	s_abs_i32 s27, s19
	v_cvt_f32_u32_e32 v1, s27
	s_xor_b32 s7, s7, s6
	s_sub_i32 s10, s7, s6
	s_sub_i32 s6, 0, s27
	v_rcp_iflag_f32_e32 v1, v1
	s_add_i32 s12, s33, -1
	s_abs_i32 s8, s12
	v_mul_f32_e32 v1, 0x4f7ffffe, v1
	v_cvt_u32_f32_e32 v1, v1
	s_barrier
	v_readfirstlane_b32 s46, v1
	s_mul_i32 s6, s6, s46
	s_mul_hi_u32 s6, s46, s6
	s_add_i32 s46, s46, s6
	s_cmp_lt_i32 s11, 0
	s_mul_hi_u32 s9, s8, s46
	s_cbranch_scc0 .LBB178_7
; %bb.6:
	s_mul_i32 s6, s16, s38
	s_add_i32 s6, s10, s6
	s_mul_i32 s6, s6, s11
	s_sub_i32 s47, 1, s6
	s_mov_b64 s[6:7], 0
	s_branch .LBB178_8
.LBB178_7:
	s_mov_b64 s[6:7], -1
                                        ; implicit-def: $sgpr47
.LBB178_8:
	s_load_dwordx2 s[30:31], s[0:1], 0x38
	s_ashr_i32 s12, s12, 31
	s_andn2_b64 vcc, exec, s[6:7]
	s_ashr_i32 s19, s19, 31
	s_cbranch_vccnz .LBB178_10
; %bb.9:
	s_mul_i32 s6, s25, s16
	s_add_i32 s6, s6, s2
	s_mul_i32 s6, s6, s11
	s_add_i32 s47, s6, 1
.LBB178_10:
	s_load_dword s6, s[0:1], 0x48
	s_load_dwordx2 s[36:37], s[0:1], 0x28
	s_load_dword s16, s[0:1], 0x98
	s_load_dwordx4 s[20:23], s[0:1], 0x0
	s_load_dwordx2 s[28:29], s[0:1], 0x10
	s_mul_i32 s7, s9, s27
	s_waitcnt lgkmcnt(0)
	s_mul_i32 s34, s24, s6
	s_sub_i32 s7, s8, s7
	s_ashr_i32 s35, s34, 31
	s_xor_b32 s6, s12, s19
	s_add_i32 s8, s9, 1
	s_sub_i32 s11, s7, s27
	s_cmp_ge_u32 s7, s27
	s_cselect_b32 s8, s8, s9
	s_cselect_b32 s7, s11, s7
	s_add_i32 s9, s8, 1
	s_cmp_ge_u32 s7, s27
	s_cselect_b32 s7, s9, s8
	s_xor_b32 s7, s7, s6
	s_sub_i32 s49, s7, s6
	s_add_i32 s6, s33, 31
	s_ashr_i32 s7, s6, 31
	s_lshr_b32 s7, s7, 27
	s_add_i32 s6, s6, s7
	s_lshl_b32 s38, s4, 4
	s_ashr_i32 s12, s6, 5
	s_add_i32 s6, s38, 16
	v_lshrrev_b32_e32 v50, 6, v15
	s_min_i32 s48, s6, s12
	v_or_b32_e32 v10, s38, v50
	v_cmp_gt_i32_e64 s[8:9], s48, v10
	v_mov_b32_e32 v47, 0xff7fffff
	s_mul_i32 s14, s10, s14
	v_ashrrev_i32_e32 v11, 31, v10
	v_lshl_add_u32 v1, v50, 5, s5
	v_mbcnt_lo_u32_b32 v44, -1, 0
	s_mov_b64 s[40:41], exec
	s_and_b64 s[6:7], s[40:41], s[8:9]
	scratch_store_dword off, v15, off offset:52 ; 4-byte Folded Spill
	s_mov_b64 exec, s[6:7]
	s_cbranch_execz .LBB178_20
; %bb.11:
	s_load_dwordx2 s[0:1], s[0:1], 0x20
	s_ashr_i32 s15, s14, 31
	s_sub_i32 s50, s49, s17
	s_lshl_b64 s[6:7], s[14:15], 1
	v_bfe_u32 v45, v15, 1, 5
	s_waitcnt lgkmcnt(0)
	s_add_u32 s0, s0, s6
	s_addc_u32 s1, s1, s7
	s_abs_i32 s15, s18
	v_cvt_f32_u32_e32 v4, s15
	v_lshlrev_b32_e32 v2, 4, v45
	v_mov_b32_e32 v3, 0
	v_cmp_eq_u32_e32 vcc, 0, v0
	v_rcp_iflag_f32_e32 v6, v4
	v_lshl_add_u64 v[4:5], s[0:1], 0, v[2:3]
	v_and_b32_e32 v2, 8, v49
	v_lshl_add_u64 v[12:13], v[4:5], 0, v[2:3]
	v_mul_f32_e32 v2, 0x4f7ffffe, v6
	v_cvt_u32_f32_e32 v2, v2
	s_sub_i32 s0, 0, s15
	v_mul_u32_u24_e32 v46, 0xc0, v0
	v_mbcnt_hi_u32_b32 v55, -1, v44
	v_mul_lo_u32 v0, s0, v2
	v_mul_hi_u32 v0, v2, v0
	v_add_u32_e32 v48, v2, v0
	v_lshlrev_b32_e32 v0, 2, v45
	s_lshl_b64 s[0:1], s[34:35], 2
	v_lshl_or_b32 v0, v50, 7, v0
	s_add_u32 s0, s30, s0
	v_add_u32_e32 v52, 0x190, v0
	v_subrev_u32_e32 v0, s33, v45
	s_addc_u32 s1, s31, s1
	v_add_u32_e32 v53, 1, v0
	v_and_b32_e32 v0, 64, v55
	s_mov_b32 s51, s13
	v_cmp_neq_f32_e64 s[6:7], s3, 0
	v_lshl_add_u64 v[14:15], v[10:11], 2, s[0:1]
	v_lshl_add_u32 v51, v50, 5, s5
	s_mov_b64 s[42:43], 0
	v_mov_b32_e32 v54, 0xff7fffff
	s_movk_i32 s52, 0x1000
	s_movk_i32 s53, 0x2000
	v_xor_b32_e32 v56, 1, v55
	v_add_u32_e32 v57, 64, v0
	v_mov_b32_e32 v47, 0xff7fffff
	v_mov_b32_e32 v58, v10
	s_branch .LBB178_14
.LBB178_12:                             ;   in Loop: Header=BB178_14 Depth=1
	s_or_b64 exec, exec, s[44:45]
.LBB178_13:                             ;   in Loop: Header=BB178_14 Depth=1
	s_or_b64 exec, exec, s[10:11]
	v_add_u32_e32 v58, 2, v58
	v_cmp_le_i32_e64 s[0:1], s48, v58
	v_lshl_add_u64 v[14:15], v[14:15], 0, 8
	v_add_u32_e32 v51, 64, v51
	s_or_b64 s[42:43], s[0:1], s[42:43]
	v_add_u32_e32 v52, 0x100, v52
	s_andn2_b64 exec, exec, s[42:43]
	s_cbranch_execz .LBB178_19
.LBB178_14:                             ; =>This Inner Loop Header: Depth=1
	s_waitcnt lgkmcnt(0)
	v_sub_u32_e32 v2, 0, v51
	v_max_i32_e32 v2, v51, v2
	v_mul_hi_u32 v3, v2, s46
	v_mul_lo_u32 v4, v3, s27
	v_sub_u32_e32 v2, v2, v4
	v_add_u32_e32 v4, 1, v3
	v_cmp_le_u32_e64 s[0:1], s27, v2
	v_ashrrev_i32_e32 v0, 31, v51
	v_xor_b32_e32 v0, s19, v0
	v_cndmask_b32_e64 v3, v3, v4, s[0:1]
	v_subrev_u32_e32 v4, s27, v2
	v_cndmask_b32_e64 v2, v2, v4, s[0:1]
	v_add_u32_e32 v4, 1, v3
	v_cmp_le_u32_e64 s[0:1], s27, v2
	s_nop 1
	v_cndmask_b32_e64 v2, v3, v4, s[0:1]
	v_xor_b32_e32 v2, v2, v0
	v_sub_u32_e32 v0, v2, v0
	v_add_u32_e32 v2, s47, v0
	v_sub_u32_e32 v4, 0, v2
	v_ashrrev_i32_e32 v3, 31, v2
	v_max_i32_e32 v2, v2, v4
	v_mul_hi_u32 v4, v2, v48
	v_mul_lo_u32 v4, v4, s15
	v_sub_u32_e32 v2, v2, v4
	v_subrev_u32_e32 v4, s15, v2
	v_cmp_le_u32_e64 s[0:1], s15, v2
	v_cmp_ge_i32_e64 s[10:11], s50, v0
	s_nop 0
	v_cndmask_b32_e64 v2, v2, v4, s[0:1]
	v_subrev_u32_e32 v4, s15, v2
	v_cmp_le_u32_e64 s[0:1], s15, v2
	s_nop 1
	v_cndmask_b32_e64 v2, v2, v4, s[0:1]
	v_xor_b32_e32 v2, v2, v3
	v_sub_u32_e32 v2, v2, v3
	v_cmp_ne_u32_e64 s[0:1], 0, v2
	s_and_b64 s[0:1], s[0:1], s[10:11]
	s_and_b64 s[44:45], vcc, s[0:1]
	s_and_saveexec_b64 s[10:11], s[44:45]
	s_cbranch_execz .LBB178_16
; %bb.15:                               ;   in Loop: Header=BB178_14 Depth=1
	ds_write_b32 v52, v54
.LBB178_16:                             ;   in Loop: Header=BB178_14 Depth=1
	s_or_b64 exec, exec, s[10:11]
	s_xor_b64 s[0:1], s[0:1], -1
	s_and_saveexec_b64 s[10:11], s[0:1]
	s_cbranch_execz .LBB178_13
; %bb.17:                               ;   in Loop: Header=BB178_14 Depth=1
	global_load_dword v0, v[14:15], off
	ds_read_b128 v[16:19], v46
	ds_read_b128 v[20:23], v46 offset:16
	ds_read_b128 v[24:27], v46 offset:32
	;; [unrolled: 1-line block ×5, first 2 shown]
	s_waitcnt lgkmcnt(5)
	v_lshlrev_b32_e32 v29, 16, v16
	v_lshlrev_b32_e32 v34, 16, v17
	v_and_b32_e32 v60, 0xffff0000, v16
	v_and_b32_e32 v85, 0xffff0000, v17
	v_lshlrev_b32_e32 v35, 16, v18
	v_lshlrev_b32_e32 v41, 16, v19
	s_waitcnt lgkmcnt(4)
	v_lshlrev_b32_e32 v43, 16, v20
	v_lshlrev_b32_e32 v78, 16, v21
	;; [unrolled: 1-line block ×4, first 2 shown]
	v_and_b32_e32 v59, 0xffff0000, v18
	v_and_b32_e32 v61, 0xffff0000, v19
	;; [unrolled: 1-line block ×6, first 2 shown]
	s_waitcnt lgkmcnt(2)
	v_lshlrev_b32_e32 v7, 16, v30
	v_lshlrev_b32_e32 v5, 16, v31
	s_waitcnt lgkmcnt(1)
	v_lshlrev_b32_e32 v36, 16, v69
	v_lshlrev_b32_e32 v73, 16, v70
	;; [unrolled: 3-line block ×3, first 2 shown]
	v_and_b32_e32 v9, 0xffff0000, v30
	v_and_b32_e32 v8, 0xffff0000, v31
	;; [unrolled: 1-line block ×6, first 2 shown]
	v_lshlrev_b32_e32 v82, 16, v25
	v_and_b32_e32 v90, 0xffff0000, v25
	v_lshlrev_b32_e32 v4, 16, v32
	v_lshlrev_b32_e32 v40, 16, v33
	v_and_b32_e32 v6, 0xffff0000, v32
	v_and_b32_e32 v42, 0xffff0000, v33
	v_lshlrev_b32_e32 v83, 16, v26
	v_and_b32_e32 v91, 0xffff0000, v26
	v_lshlrev_b32_e32 v84, 16, v27
	;; [unrolled: 2-line block ×5, first 2 shown]
	v_and_b32_e32 v71, 0xffff0000, v71
	v_and_b32_e32 v68, 0xffff0000, v76
	v_lshlrev_b32_e32 v62, 16, v77
	v_lshlrev_b32_e32 v63, 16, v76
	v_and_b32_e32 v67, 0xffff0000, v77
	s_waitcnt vmcnt(0)
	v_mad_i64_i32 v[2:3], s[0:1], v0, s51, 0
	v_lshl_add_u64 v[16:17], v[2:3], 1, v[12:13]
	global_load_dwordx2 v[2:3], v[16:17], off offset:512
	global_load_dwordx2 v[18:19], v[16:17], off offset:1024
	;; [unrolled: 1-line block ×3, first 2 shown]
	global_load_dwordx2 v[22:23], v[16:17], off
	global_load_dwordx2 v[74:75], v[16:17], off offset:2560
	global_load_dwordx2 v[30:31], v[16:17], off offset:3584
	s_waitcnt vmcnt(5)
	v_lshlrev_b32_e32 v0, 16, v2
	v_and_b32_e32 v2, 0xffff0000, v2
	v_mul_f32_e32 v59, v59, v2
	s_waitcnt vmcnt(2)
	v_and_b32_e32 v2, 0xffff0000, v22
	v_fmac_f32_e32 v59, v60, v2
	v_lshlrev_b32_e32 v2, 16, v3
	v_mul_f32_e32 v60, v41, v2
	v_lshlrev_b32_e32 v2, 16, v23
	v_and_b32_e32 v3, 0xffff0000, v3
	v_fmac_f32_e32 v60, v34, v2
	v_and_b32_e32 v2, 0xffff0000, v23
	v_mul_f32_e32 v61, v61, v3
	v_lshlrev_b32_e32 v25, 16, v22
	v_fmac_f32_e32 v61, v85, v2
	v_lshlrev_b32_e32 v2, 16, v18
	v_and_b32_e32 v3, 0xffff0000, v18
	v_lshlrev_b32_e32 v22, 16, v19
	v_and_b32_e32 v23, 0xffff0000, v19
	global_load_dwordx2 v[18:19], v[16:17], off offset:2048
	v_mul_f32_e32 v0, v35, v0
	v_fmac_f32_e32 v0, v29, v25
	v_fmac_f32_e32 v0, v43, v2
	;; [unrolled: 1-line block ×3, first 2 shown]
	global_load_dwordx2 v[2:3], v[16:17], off offset:3072
	v_add_co_u32_e64 v34, s[0:1], s52, v16
	v_fmac_f32_e32 v60, v78, v22
	s_nop 0
	v_addc_co_u32_e64 v35, s[0:1], 0, v17, s[0:1]
	v_add_co_u32_e64 v22, s[0:1], s53, v16
	v_fmac_f32_e32 v61, v87, v23
	s_nop 0
	v_addc_co_u32_e64 v23, s[0:1], 0, v17, s[0:1]
	global_load_dwordx2 v[32:33], v[22:23], off offset:-4096
	v_lshlrev_b32_e32 v26, 16, v21
	v_fmac_f32_e32 v60, v80, v26
	global_load_dwordx2 v[26:27], v[34:35], off offset:512
	v_lshlrev_b32_e32 v25, 16, v20
	v_and_b32_e32 v20, 0xffff0000, v20
	v_fmac_f32_e32 v59, v88, v20
	v_fmac_f32_e32 v0, v79, v25
	v_and_b32_e32 v21, 0xffff0000, v21
	v_fmac_f32_e32 v61, v89, v21
	s_waitcnt vmcnt(5)
	v_and_b32_e32 v29, 0xffff0000, v75
	v_cmp_lt_i32_e64 s[0:1], v56, v57
	global_load_dwordx2 v[20:21], v[34:35], off offset:1536
	s_waitcnt vmcnt(4)
	v_and_b32_e32 v17, 0xffff0000, v18
	v_fmac_f32_e32 v59, v24, v17
	global_load_dwordx2 v[24:25], v[34:35], off offset:1024
	v_lshlrev_b32_e32 v16, 16, v18
	v_lshlrev_b32_e32 v18, 16, v19
	v_and_b32_e32 v19, 0xffff0000, v19
	v_fmac_f32_e32 v0, v81, v16
	v_lshlrev_b32_e32 v16, 16, v74
	v_fmac_f32_e32 v60, v82, v18
	v_fmac_f32_e32 v61, v90, v19
	;; [unrolled: 1-line block ×3, first 2 shown]
	global_load_dwordx2 v[18:19], v[34:35], off offset:2048
	v_and_b32_e32 v16, 0xffff0000, v74
	v_fmac_f32_e32 v59, v91, v16
	v_lshlrev_b32_e32 v16, 16, v75
	v_fmac_f32_e32 v60, v84, v16
	global_load_dwordx2 v[16:17], v[34:35], off offset:2560
	s_waitcnt vmcnt(6)
	v_lshlrev_b32_e32 v41, 16, v2
	v_fmac_f32_e32 v61, v28, v29
	global_load_dwordx2 v[28:29], v[34:35], off offset:3072
	v_fmac_f32_e32 v0, v7, v41
	v_and_b32_e32 v2, 0xffff0000, v2
	v_lshlrev_b32_e32 v7, 16, v3
	v_lshlrev_b32_e32 v41, 16, v30
	v_fmac_f32_e32 v59, v9, v2
	v_and_b32_e32 v9, 0xffff0000, v30
	v_fmac_f32_e32 v60, v5, v7
	v_lshlrev_b32_e32 v30, 16, v31
	v_fmac_f32_e32 v0, v4, v41
	v_fmac_f32_e32 v60, v40, v30
	global_load_dwordx2 v[40:41], v[34:35], off offset:3584
	v_and_b32_e32 v3, 0xffff0000, v3
	v_fmac_f32_e32 v61, v8, v3
	v_and_b32_e32 v30, 0xffff0000, v31
	v_fmac_f32_e32 v59, v6, v9
	s_waitcnt vmcnt(7)
	v_lshlrev_b32_e32 v31, 16, v32
	v_fmac_f32_e32 v61, v42, v30
	v_and_b32_e32 v30, 0xffff0000, v32
	v_lshlrev_b32_e32 v32, 16, v33
	v_and_b32_e32 v33, 0xffff0000, v33
	ds_read_b128 v[2:5], v46 offset:96
	ds_read_b128 v[6:9], v46 offset:112
	v_fmac_f32_e32 v0, v37, v31
	v_fmac_f32_e32 v59, v39, v30
	;; [unrolled: 1-line block ×4, first 2 shown]
	global_load_dwordx2 v[42:43], v[22:23], off
	global_load_dwordx2 v[38:39], v[22:23], off offset:512
	global_load_dwordx2 v[36:37], v[22:23], off offset:1024
	;; [unrolled: 1-line block ×3, first 2 shown]
	s_waitcnt vmcnt(10)
	v_lshlrev_b32_e32 v30, 16, v26
	v_fmac_f32_e32 v0, v73, v30
	v_and_b32_e32 v26, 0xffff0000, v26
	v_lshlrev_b32_e32 v30, 16, v27
	v_and_b32_e32 v27, 0xffff0000, v27
	v_fmac_f32_e32 v59, v72, v26
	v_fmac_f32_e32 v60, v66, v30
	;; [unrolled: 1-line block ×3, first 2 shown]
	global_load_dwordx2 v[34:35], v[22:23], off offset:2048
	global_load_dwordx2 v[30:31], v[22:23], off offset:2560
	;; [unrolled: 1-line block ×3, first 2 shown]
	s_nop 0
	global_load_dwordx2 v[22:23], v[22:23], off offset:3584
	s_waitcnt lgkmcnt(1)
	v_lshlrev_b32_e32 v75, 16, v2
	v_and_b32_e32 v2, 0xffff0000, v2
	v_lshlrev_b32_e32 v76, 16, v3
	v_and_b32_e32 v3, 0xffff0000, v3
	v_cndmask_b32_e64 v74, v55, v56, s[0:1]
	s_waitcnt vmcnt(12)
	v_lshlrev_b32_e32 v66, 16, v24
	v_fmac_f32_e32 v0, v65, v66
	v_and_b32_e32 v24, 0xffff0000, v24
	v_lshlrev_b32_e32 v65, 16, v25
	v_and_b32_e32 v25, 0xffff0000, v25
	v_fmac_f32_e32 v59, v70, v24
	v_fmac_f32_e32 v61, v69, v25
	v_lshlrev_b32_e32 v25, 16, v20
	v_and_b32_e32 v20, 0xffff0000, v20
	v_fmac_f32_e32 v60, v64, v65
	v_fmac_f32_e32 v59, v68, v20
	v_lshlrev_b32_e32 v20, 16, v21
	v_and_b32_e32 v21, 0xffff0000, v21
	v_fmac_f32_e32 v60, v62, v20
	s_waitcnt vmcnt(11)
	v_lshlrev_b32_e32 v20, 16, v18
	v_and_b32_e32 v18, 0xffff0000, v18
	v_fmac_f32_e32 v0, v63, v25
	v_fmac_f32_e32 v61, v67, v21
	;; [unrolled: 1-line block ×3, first 2 shown]
	v_lshlrev_b32_e32 v2, 16, v19
	v_and_b32_e32 v18, 0xffff0000, v19
	v_fmac_f32_e32 v0, v75, v20
	v_fmac_f32_e32 v60, v76, v2
	;; [unrolled: 1-line block ×3, first 2 shown]
	v_lshlrev_b32_e32 v2, 16, v4
	v_and_b32_e32 v3, 0xffff0000, v4
	s_waitcnt vmcnt(10)
	v_lshlrev_b32_e32 v4, 16, v16
	v_and_b32_e32 v16, 0xffff0000, v16
	v_fmac_f32_e32 v0, v4, v2
	v_fmac_f32_e32 v59, v16, v3
	v_lshlrev_b32_e32 v2, 16, v5
	v_and_b32_e32 v3, 0xffff0000, v5
	v_lshlrev_b32_e32 v4, 16, v17
	v_and_b32_e32 v5, 0xffff0000, v17
	v_fmac_f32_e32 v60, v4, v2
	v_fmac_f32_e32 v61, v5, v3
	s_waitcnt lgkmcnt(0)
	v_lshlrev_b32_e32 v2, 16, v6
	v_and_b32_e32 v3, 0xffff0000, v6
	s_waitcnt vmcnt(9)
	v_lshlrev_b32_e32 v4, 16, v28
	v_and_b32_e32 v5, 0xffff0000, v28
	v_fmac_f32_e32 v0, v4, v2
	v_fmac_f32_e32 v59, v5, v3
	v_lshlrev_b32_e32 v2, 16, v7
	v_and_b32_e32 v3, 0xffff0000, v7
	v_lshlrev_b32_e32 v4, 16, v29
	v_and_b32_e32 v5, 0xffff0000, v29
	v_fmac_f32_e32 v60, v4, v2
	v_fmac_f32_e32 v61, v5, v3
	v_lshlrev_b32_e32 v2, 16, v8
	v_and_b32_e32 v3, 0xffff0000, v8
	s_waitcnt vmcnt(8)
	v_lshlrev_b32_e32 v4, 16, v40
	v_and_b32_e32 v5, 0xffff0000, v40
	v_fmac_f32_e32 v0, v4, v2
	v_fmac_f32_e32 v59, v5, v3
	ds_read_b128 v[2:5], v46 offset:128
	v_lshlrev_b32_e32 v6, 16, v9
	v_and_b32_e32 v7, 0xffff0000, v9
	v_lshlrev_b32_e32 v8, 16, v41
	v_and_b32_e32 v9, 0xffff0000, v41
	v_fmac_f32_e32 v60, v8, v6
	v_fmac_f32_e32 v61, v9, v7
	ds_read_b128 v[6:9], v46 offset:144
	s_waitcnt lgkmcnt(1)
	v_lshlrev_b32_e32 v16, 16, v2
	v_and_b32_e32 v2, 0xffff0000, v2
	s_waitcnt vmcnt(7)
	v_lshlrev_b32_e32 v17, 16, v42
	v_and_b32_e32 v18, 0xffff0000, v42
	v_fmac_f32_e32 v0, v17, v16
	v_fmac_f32_e32 v59, v18, v2
	v_lshlrev_b32_e32 v2, 16, v3
	v_and_b32_e32 v3, 0xffff0000, v3
	v_lshlrev_b32_e32 v16, 16, v43
	v_and_b32_e32 v17, 0xffff0000, v43
	v_fmac_f32_e32 v60, v16, v2
	v_fmac_f32_e32 v61, v17, v3
	v_lshlrev_b32_e32 v2, 16, v4
	v_and_b32_e32 v3, 0xffff0000, v4
	s_waitcnt vmcnt(6)
	v_lshlrev_b32_e32 v4, 16, v38
	v_and_b32_e32 v16, 0xffff0000, v38
	v_fmac_f32_e32 v0, v4, v2
	v_fmac_f32_e32 v59, v16, v3
	v_lshlrev_b32_e32 v2, 16, v5
	v_and_b32_e32 v3, 0xffff0000, v5
	v_lshlrev_b32_e32 v4, 16, v39
	v_and_b32_e32 v5, 0xffff0000, v39
	v_fmac_f32_e32 v60, v4, v2
	v_fmac_f32_e32 v61, v5, v3
	s_waitcnt lgkmcnt(0)
	v_lshlrev_b32_e32 v2, 16, v6
	v_and_b32_e32 v3, 0xffff0000, v6
	s_waitcnt vmcnt(5)
	v_lshlrev_b32_e32 v4, 16, v36
	v_and_b32_e32 v5, 0xffff0000, v36
	v_fmac_f32_e32 v0, v4, v2
	v_fmac_f32_e32 v59, v5, v3
	v_lshlrev_b32_e32 v2, 16, v7
	v_and_b32_e32 v3, 0xffff0000, v7
	v_lshlrev_b32_e32 v4, 16, v37
	v_and_b32_e32 v5, 0xffff0000, v37
	v_fmac_f32_e32 v60, v4, v2
	v_fmac_f32_e32 v61, v5, v3
	v_lshlrev_b32_e32 v2, 16, v8
	v_and_b32_e32 v3, 0xffff0000, v8
	s_waitcnt vmcnt(4)
	v_lshlrev_b32_e32 v4, 16, v32
	v_and_b32_e32 v5, 0xffff0000, v32
	v_fmac_f32_e32 v0, v4, v2
	v_fmac_f32_e32 v59, v5, v3
	ds_read_b128 v[2:5], v46 offset:160
	v_lshlrev_b32_e32 v6, 16, v9
	v_and_b32_e32 v7, 0xffff0000, v9
	v_lshlrev_b32_e32 v8, 16, v33
	v_and_b32_e32 v9, 0xffff0000, v33
	v_fmac_f32_e32 v60, v8, v6
	v_fmac_f32_e32 v61, v9, v7
	ds_read_b128 v[6:9], v46 offset:176
	s_waitcnt lgkmcnt(1)
	v_lshlrev_b32_e32 v16, 16, v2
	v_and_b32_e32 v2, 0xffff0000, v2
	s_waitcnt vmcnt(3)
	v_lshlrev_b32_e32 v17, 16, v34
	v_and_b32_e32 v18, 0xffff0000, v34
	v_fmac_f32_e32 v0, v17, v16
	v_fmac_f32_e32 v59, v18, v2
	v_lshlrev_b32_e32 v2, 16, v3
	v_and_b32_e32 v3, 0xffff0000, v3
	v_lshlrev_b32_e32 v16, 16, v35
	v_and_b32_e32 v17, 0xffff0000, v35
	v_fmac_f32_e32 v60, v16, v2
	v_fmac_f32_e32 v61, v17, v3
	v_lshlrev_b32_e32 v2, 16, v4
	v_and_b32_e32 v3, 0xffff0000, v4
	s_waitcnt vmcnt(2)
	v_lshlrev_b32_e32 v4, 16, v30
	v_and_b32_e32 v16, 0xffff0000, v30
	v_fmac_f32_e32 v0, v4, v2
	v_fmac_f32_e32 v59, v16, v3
	v_lshlrev_b32_e32 v2, 16, v5
	v_and_b32_e32 v3, 0xffff0000, v5
	v_lshlrev_b32_e32 v4, 16, v31
	v_and_b32_e32 v5, 0xffff0000, v31
	v_fmac_f32_e32 v60, v4, v2
	v_fmac_f32_e32 v61, v5, v3
	s_waitcnt lgkmcnt(0)
	v_lshlrev_b32_e32 v2, 16, v6
	v_and_b32_e32 v3, 0xffff0000, v6
	s_waitcnt vmcnt(1)
	v_lshlrev_b32_e32 v4, 16, v26
	v_and_b32_e32 v5, 0xffff0000, v26
	v_fmac_f32_e32 v0, v4, v2
	v_fmac_f32_e32 v59, v5, v3
	v_lshlrev_b32_e32 v2, 16, v7
	v_and_b32_e32 v3, 0xffff0000, v7
	v_lshlrev_b32_e32 v4, 16, v27
	v_and_b32_e32 v5, 0xffff0000, v27
	v_fmac_f32_e32 v60, v4, v2
	v_fmac_f32_e32 v61, v5, v3
	v_lshlrev_b32_e32 v2, 16, v8
	v_and_b32_e32 v3, 0xffff0000, v8
	s_waitcnt vmcnt(0)
	v_lshlrev_b32_e32 v4, 16, v22
	v_and_b32_e32 v5, 0xffff0000, v22
	v_fmac_f32_e32 v0, v4, v2
	v_fmac_f32_e32 v59, v5, v3
	v_lshlrev_b32_e32 v2, 16, v9
	v_lshlrev_b32_e32 v4, 16, v23
	v_and_b32_e32 v3, 0xffff0000, v9
	v_and_b32_e32 v5, 0xffff0000, v23
	v_fmac_f32_e32 v60, v4, v2
	v_add_f32_e32 v0, v0, v59
	v_fmac_f32_e32 v61, v5, v3
	v_add_f32_e32 v0, v0, v60
	v_lshlrev_b32_e32 v24, 2, v74
	v_add_f32_e32 v0, v61, v0
	ds_bpermute_b32 v2, v24, v0
	s_and_saveexec_b64 s[44:45], vcc
	s_cbranch_execz .LBB178_12
; %bb.18:                               ;   in Loop: Header=BB178_14 Depth=1
	v_add_u32_e32 v3, v53, v51
	v_cvt_f32_i32_e32 v3, v3
	s_waitcnt lgkmcnt(0)
	v_add_f32_e32 v0, v0, v2
	v_add_u32_e32 v4, v45, v51
	v_cmp_gt_i32_e64 s[0:1], s33, v4
	v_mul_f32_e32 v2, s3, v3
	v_cndmask_b32_e64 v2, 0, v2, s[6:7]
	v_fmac_f32_e32 v2, s39, v0
	v_cndmask_b32_e64 v0, 0, v2, s[0:1]
	ds_write_b32 v52, v0
	v_max_f32_e32 v0, v47, v47
	v_max_f32_e32 v0, v0, v2
	v_cndmask_b32_e64 v47, v47, v0, s[0:1]
	s_branch .LBB178_12
.LBB178_19:
	s_or_b64 exec, exec, s[42:43]
	scratch_load_dword v15, off, off offset:52 ; 4-byte Folded Reload
.LBB178_20:
	s_or_b64 exec, exec, s[40:41]
	v_mbcnt_hi_u32_b32 v0, -1, v44
	s_waitcnt lgkmcnt(0)
	v_and_b32_e32 v2, 64, v0
	v_add_u32_e32 v8, 64, v2
	v_xor_b32_e32 v2, 32, v0
	v_cmp_lt_i32_e32 vcc, v2, v8
	v_xor_b32_e32 v5, 16, v0
	v_max_f32_e32 v4, v47, v47
	v_cndmask_b32_e32 v2, v0, v2, vcc
	v_lshlrev_b32_e32 v2, 2, v2
	ds_bpermute_b32 v3, v2, v47
	v_cmp_lt_i32_e32 vcc, v5, v8
	v_xor_b32_e32 v6, 8, v0
	v_xor_b32_e32 v7, 4, v0
	;; [unrolled: 1-line block ×3, first 2 shown]
	s_waitcnt lgkmcnt(0)
	v_max_f32_e32 v3, v3, v3
	v_max_f32_e32 v4, v4, v3
	v_cndmask_b32_e32 v3, v0, v5, vcc
	v_lshlrev_b32_e32 v3, 2, v3
	ds_bpermute_b32 v5, v3, v4
	v_cmp_lt_i32_e32 vcc, v6, v8
	s_waitcnt vmcnt(0)
	v_and_b32_e32 v26, 63, v15
	s_waitcnt lgkmcnt(0)
	v_max_f32_e32 v5, v5, v5
	v_max_f32_e32 v5, v4, v5
	v_cndmask_b32_e32 v4, v0, v6, vcc
	v_lshlrev_b32_e32 v4, 2, v4
	ds_bpermute_b32 v6, v4, v5
	v_cmp_lt_i32_e32 vcc, v7, v8
	s_waitcnt lgkmcnt(0)
	v_max_f32_e32 v6, v6, v6
	v_max_f32_e32 v6, v5, v6
	v_cndmask_b32_e32 v5, v0, v7, vcc
	v_lshlrev_b32_e32 v5, 2, v5
	ds_bpermute_b32 v7, v5, v6
	v_cmp_lt_i32_e32 vcc, v9, v8
	s_waitcnt lgkmcnt(0)
	v_max_f32_e32 v7, v7, v7
	v_max_f32_e32 v7, v6, v7
	v_cndmask_b32_e32 v6, v0, v9, vcc
	v_lshlrev_b32_e32 v23, 2, v6
	ds_bpermute_b32 v9, v23, v7
	v_cmp_eq_u32_e32 vcc, 0, v26
	v_lshlrev_b32_e32 v6, 2, v50
	s_and_saveexec_b64 s[0:1], vcc
	s_cbranch_execz .LBB178_22
; %bb.21:
	s_waitcnt lgkmcnt(0)
	v_max_f32_e32 v9, v9, v9
	v_max_f32_e32 v7, v7, v7
	;; [unrolled: 1-line block ×3, first 2 shown]
	ds_write_b32 v6, v7 offset:384
.LBB178_22:
	s_or_b64 exec, exec, s[0:1]
	v_cmp_gt_u32_e64 s[0:1], 2, v26
	s_waitcnt lgkmcnt(0)
	v_mov_b32_e32 v9, 0xff7fffff
	v_lshlrev_b32_e32 v7, 2, v26
	s_barrier
	s_and_saveexec_b64 s[6:7], s[0:1]
	s_cbranch_execz .LBB178_24
; %bb.23:
	ds_read_b32 v9, v7 offset:384
.LBB178_24:
	s_or_b64 exec, exec, s[6:7]
	v_xor_b32_e32 v12, 1, v0
	v_cmp_lt_i32_e64 s[6:7], v12, v8
	s_sub_i32 s3, s48, s38
	s_lshl_b32 s3, s3, 5
	v_cndmask_b32_e64 v8, v0, v12, s[6:7]
	v_lshlrev_b32_e32 v27, 2, v8
	s_waitcnt lgkmcnt(0)
	ds_bpermute_b32 v8, v27, v9
	v_max_f32_e32 v9, v9, v9
	v_lshlrev_b32_e32 v0, 2, v0
	s_add_i32 s3, s3, s5
	s_min_i32 s15, s3, s33
	s_waitcnt lgkmcnt(0)
	v_max_f32_e32 v8, v8, v8
	v_max_f32_e32 v9, v9, v8
	v_and_b32_e32 v8, 0x100, v0
	ds_bpermute_b32 v0, v8, v9
	s_sub_i32 s3, s15, s5
	v_cmp_gt_i32_e64 s[6:7], s3, v15
	v_mov_b32_e32 v9, 0
	s_and_saveexec_b64 s[38:39], s[6:7]
	s_cbranch_execz .LBB178_28
; %bb.25:
	v_mov_b32_e32 v9, 0x190
	v_lshl_add_u32 v12, v15, 2, v9
	s_mov_b64 s[40:41], 0
	v_mov_b32_e32 v9, 0
	v_mov_b32_e32 v13, v15
.LBB178_26:                             ; =>This Inner Loop Header: Depth=1
	ds_read_b32 v14, v12
	v_add_u32_e32 v13, 0x80, v13
	v_cmp_le_i32_e64 s[10:11], s3, v13
	s_or_b64 s[40:41], s[10:11], s[40:41]
	s_waitcnt lgkmcnt(0)
	v_sub_f32_e32 v14, v14, v0
	v_mul_f32_e32 v14, 0x3fb8aa3b, v14
	v_exp_f32_e32 v14, v14
	ds_write_b32 v12, v14
	v_add_f32_e32 v9, v9, v14
	v_add_u32_e32 v12, 0x200, v12
	s_andn2_b64 exec, exec, s[40:41]
	s_cbranch_execnz .LBB178_26
; %bb.27:
	s_or_b64 exec, exec, s[40:41]
.LBB178_28:
	s_or_b64 exec, exec, s[38:39]
	ds_bpermute_b32 v2, v2, v9
	s_waitcnt lgkmcnt(0)
	v_add_f32_e32 v2, v9, v2
	ds_bpermute_b32 v3, v3, v2
	s_waitcnt lgkmcnt(0)
	v_add_f32_e32 v2, v2, v3
	;; [unrolled: 3-line block ×6, first 2 shown]
	s_and_saveexec_b64 s[10:11], vcc
	s_cbranch_execz .LBB178_30
; %bb.29:
	ds_write_b32 v6, v2 offset:392
.LBB178_30:
	s_or_b64 exec, exec, s[10:11]
	s_waitcnt lgkmcnt(0)
	s_barrier
	s_and_saveexec_b64 s[10:11], s[0:1]
	s_cbranch_execz .LBB178_32
; %bb.31:
	ds_read_b32 v2, v7 offset:392
.LBB178_32:
	s_or_b64 exec, exec, s[10:11]
	s_waitcnt lgkmcnt(0)
	ds_bpermute_b32 v3, v27, v2
	s_waitcnt lgkmcnt(0)
	v_add_f32_e32 v2, v2, v3
	ds_bpermute_b32 v4, v8, v2
	s_and_saveexec_b64 s[0:1], s[6:7]
	s_cbranch_execz .LBB178_45
; %bb.33:
	s_waitcnt lgkmcnt(0)
	v_add_f32_e32 v2, 0x358637bd, v4
	v_div_scale_f32 v3, s[6:7], v2, v2, 1.0
	v_rcp_f32_e32 v5, v3
	v_div_scale_f32 v6, vcc, 1.0, v2, 1.0
	s_mov_b64 s[10:11], -1
	v_fma_f32 v7, -v3, v5, 1.0
	v_fmac_f32_e32 v5, v7, v5
	v_mul_f32_e32 v7, v6, v5
	v_fma_f32 v8, -v3, v7, v6
	v_fmac_f32_e32 v7, v8, v5
	v_fma_f32 v3, -v3, v7, v6
	v_div_fmas_f32 v3, v3, v5, v7
	v_div_fixup_f32 v2, v3, v2, 1.0
	v_xad_u32 v3, v15, -1, s15
	v_subrev_u32_e32 v5, s5, v3
	s_movk_i32 s5, 0x7f
	v_cmp_lt_u32_e32 vcc, s5, v5
	v_mov_b32_e32 v3, v15
	s_and_saveexec_b64 s[6:7], vcc
	s_cbranch_execz .LBB178_42
; %bb.34:
	v_lshrrev_b32_e32 v5, 7, v5
	v_add_u32_e32 v7, -1, v5
	v_lshrrev_b32_e32 v6, 1, v7
	v_mov_b32_e32 v3, v2
	v_add_u32_e32 v6, 1, v6
	v_cmp_lt_u32_e32 vcc, 13, v7
	v_mov_b32_e32 v9, 0
	s_and_saveexec_b64 s[10:11], vcc
	s_cbranch_execz .LBB178_38
; %bb.35:
	v_mov_b32_e32 v8, 0x190
	v_and_b32_e32 v7, -8, v6
	v_lshl_add_u32 v8, v15, 2, v8
	s_mov_b32 s5, 0
	s_mov_b64 s[38:39], 0
.LBB178_36:                             ; =>This Inner Loop Header: Depth=1
	ds_read2st64_b32 v[12:13], v8 offset1:2
	ds_read2st64_b32 v[14:15], v8 offset0:4 offset1:6
	ds_read2st64_b32 v[16:17], v8 offset0:8 offset1:10
	;; [unrolled: 1-line block ×3, first 2 shown]
	v_add_u32_e32 v7, -8, v7
	s_waitcnt lgkmcnt(3)
	v_pk_mul_f32 v[12:13], v[2:3], v[12:13]
	s_waitcnt lgkmcnt(2)
	v_pk_mul_f32 v[14:15], v[2:3], v[14:15]
	ds_write2st64_b32 v8, v12, v13 offset1:2
	ds_write2st64_b32 v8, v14, v15 offset0:4 offset1:6
	ds_read2st64_b32 v[14:15], v8 offset0:16 offset1:18
	s_waitcnt lgkmcnt(4)
	v_pk_mul_f32 v[12:13], v[2:3], v[16:17]
	ds_write2st64_b32 v8, v12, v13 offset0:8 offset1:10
	s_waitcnt lgkmcnt(4)
	v_pk_mul_f32 v[12:13], v[2:3], v[18:19]
	ds_write2st64_b32 v8, v12, v13 offset0:12 offset1:14
	ds_read2st64_b32 v[12:13], v8 offset0:20 offset1:22
	s_waitcnt lgkmcnt(3)
	v_pk_mul_f32 v[14:15], v[2:3], v[14:15]
	ds_read2st64_b32 v[16:17], v8 offset0:24 offset1:26
	ds_write2st64_b32 v8, v14, v15 offset0:16 offset1:18
	ds_read2st64_b32 v[14:15], v8 offset0:28 offset1:30
	s_waitcnt lgkmcnt(3)
	v_pk_mul_f32 v[12:13], v[2:3], v[12:13]
	ds_write2st64_b32 v8, v12, v13 offset0:20 offset1:22
	s_waitcnt lgkmcnt(3)
	v_pk_mul_f32 v[12:13], v[2:3], v[16:17]
	ds_write2st64_b32 v8, v12, v13 offset0:24 offset1:26
	s_waitcnt lgkmcnt(2)
	v_pk_mul_f32 v[12:13], v[2:3], v[14:15]
	s_add_i32 s5, s5, 16
	v_cmp_eq_u32_e32 vcc, 0, v7
	ds_write2st64_b32 v8, v12, v13 offset0:28 offset1:30
	v_add_u32_e32 v8, 0x2000, v8
	s_or_b64 s[38:39], vcc, s[38:39]
	v_mov_b32_e32 v9, s5
	s_andn2_b64 exec, exec, s[38:39]
	s_cbranch_execnz .LBB178_36
; %bb.37:
	s_or_b64 exec, exec, s[38:39]
	scratch_load_dword v15, off, off offset:52 ; 4-byte Folded Reload
.LBB178_38:
	s_or_b64 exec, exec, s[10:11]
	v_and_b32_e32 v6, 7, v6
	v_cmp_ne_u32_e32 vcc, 0, v6
	s_and_saveexec_b64 s[10:11], vcc
	s_cbranch_execz .LBB178_41
; %bb.39:
	v_lshlrev_b32_e32 v7, 9, v9
	s_waitcnt vmcnt(0)
	v_lshlrev_b32_e32 v8, 2, v15
	s_movk_i32 s5, 0x190
	v_add3_u32 v7, v7, v8, s5
	s_mov_b64 s[38:39], 0
.LBB178_40:                             ; =>This Inner Loop Header: Depth=1
	ds_read2st64_b32 v[8:9], v7 offset1:2
	v_add_u32_e32 v6, -1, v6
	v_cmp_eq_u32_e32 vcc, 0, v6
	s_or_b64 s[38:39], vcc, s[38:39]
	s_waitcnt lgkmcnt(0)
	v_pk_mul_f32 v[8:9], v[2:3], v[8:9]
	ds_write2st64_b32 v7, v8, v9 offset1:2
	v_add_u32_e32 v7, 0x400, v7
	s_andn2_b64 exec, exec, s[38:39]
	s_cbranch_execnz .LBB178_40
.LBB178_41:
	s_or_b64 exec, exec, s[10:11]
	v_add_u32_e32 v5, 1, v5
	v_and_b32_e32 v6, 0x3fffffe, v5
	v_cmp_ne_u32_e32 vcc, v5, v6
	s_waitcnt vmcnt(0)
	v_lshl_add_u32 v3, v6, 7, v15
	s_orn2_b64 s[10:11], vcc, exec
.LBB178_42:
	s_or_b64 exec, exec, s[6:7]
	s_and_b64 exec, exec, s[10:11]
	s_cbranch_execz .LBB178_45
; %bb.43:
	v_mov_b32_e32 v5, 0x190
	v_lshl_add_u32 v5, v3, 2, v5
	s_mov_b64 s[6:7], 0
.LBB178_44:                             ; =>This Inner Loop Header: Depth=1
	ds_read_b32 v6, v5
	v_add_u32_e32 v3, 0x80, v3
	v_cmp_le_i32_e32 vcc, s3, v3
	s_or_b64 s[6:7], vcc, s[6:7]
	s_waitcnt lgkmcnt(0)
	v_mul_f32_e32 v6, v2, v6
	ds_write_b32 v5, v6
	v_add_u32_e32 v5, 0x200, v5
	s_andn2_b64 exec, exec, s[6:7]
	s_cbranch_execnz .LBB178_44
.LBB178_45:
	s_or_b64 exec, exec, s[0:1]
	v_cmp_eq_u32_e32 vcc, 0, v15
	s_waitcnt lgkmcnt(0)
	s_barrier
	s_and_saveexec_b64 s[0:1], vcc
	s_cbranch_execz .LBB178_47
; %bb.46:
	s_mul_i32 s3, s16, s24
	s_mul_i32 s6, s3, s25
	s_ashr_i32 s7, s6, 31
	s_lshl_b64 s[6:7], s[6:7], 2
	s_add_u32 s5, s22, s6
	s_mul_i32 s2, s16, s2
	s_addc_u32 s10, s23, s7
	s_ashr_i32 s3, s2, 31
	s_lshl_b64 s[2:3], s[2:3], 2
	s_add_u32 s15, s5, s2
	s_addc_u32 s23, s10, s3
	s_ashr_i32 s5, s4, 31
	s_lshl_b64 s[10:11], s[4:5], 2
	s_add_u32 s22, s15, s10
	s_addc_u32 s23, s23, s11
	s_add_u32 s5, s20, s6
	s_addc_u32 s6, s21, s7
	;; [unrolled: 2-line block ×3, first 2 shown]
	s_add_u32 s2, s2, s10
	v_mov_b32_e32 v2, 0
	s_addc_u32 s3, s3, s11
	global_store_dword v2, v0, s[22:23]
	global_store_dword v2, v4, s[2:3]
.LBB178_47:
	s_or_b64 exec, exec, s[0:1]
	v_mov_b32_e32 v24, 0
	v_and_b32_e32 v28, 3, v15
	v_mov_b32_e32 v25, 0
	v_mov_b32_e32 v20, 0
	;; [unrolled: 1-line block ×11, first 2 shown]
	s_and_saveexec_b64 s[2:3], s[8:9]
	s_cbranch_execz .LBB178_493
; %bb.48:
	s_ashr_i32 s15, s14, 31
	s_sub_i32 s5, s49, s17
	s_lshl_b64 s[0:1], s[14:15], 1
	s_add_u32 s6, s36, s0
	s_addc_u32 s7, s37, s1
	s_abs_i32 s15, s18
	v_cvt_f32_u32_e32 v3, s15
	s_sub_i32 s0, 0, s15
	v_and_b32_e32 v0, 24, v49
	s_add_i32 s14, s12, -1
	v_rcp_iflag_f32_e32 v3, v3
	scratch_store_dword off, v27, off offset:68 ; 4-byte Folded Spill
	scratch_store_dword off, v23, off offset:64 ; 4-byte Folded Spill
	;; [unrolled: 1-line block ×4, first 2 shown]
	v_and_b32_e32 v0, 0x1f8, v49
	v_mul_f32_e32 v3, 0x4f7ffffe, v3
	v_cvt_u32_f32_e32 v3, v3
	v_mov_b32_e32 v23, 0
	v_or_b32_e32 v2, 0x800, v0
	v_or_b32_e32 v4, 0xa00, v0
	v_mul_lo_u32 v5, s0, v3
	v_mul_hi_u32 v5, v3, v5
	v_add_u32_e32 v3, v3, v5
	s_lshl_b64 s[0:1], s[34:35], 2
	scratch_store_dword off, v3, off        ; 4-byte Folded Spill
	s_add_u32 s0, s30, s0
	v_lshlrev_b32_e32 v3, 5, v28
	v_or_b32_e32 v6, 0xc00, v0
	v_or_b32_e32 v8, 0xe00, v0
	;; [unrolled: 1-line block ×6, first 2 shown]
	s_addc_u32 s1, s31, s1
	v_lshl_or_b32 v3, v50, 7, v3
	s_mov_b32 s17, s13
	v_lshl_add_u64 v[26:27], v[10:11], 2, s[0:1]
	scratch_store_dword off, v28, off offset:60 ; 4-byte Folded Spill
	v_add_u32_e32 v11, 0x190, v3
	s_mov_b64 s[8:9], 0
	s_mov_b32 s18, 0x7f800000
	s_movk_i32 s20, 0x7fff
	v_lshlrev_b32_e32 v22, 1, v0
	v_lshlrev_b32_e32 v28, 1, v2
	;; [unrolled: 1-line block ×9, first 2 shown]
	v_mov_b32_e32 v13, v23
	v_mov_b32_e32 v12, v23
	;; [unrolled: 1-line block ×12, first 2 shown]
	s_branch .LBB178_51
.LBB178_49:                             ;   in Loop: Header=BB178_51 Depth=1
	s_or_b64 exec, exec, s[0:1]
	v_and_b32_e32 v55, 0xffff0000, v55
	v_and_b32_e32 v54, 0xffff0000, v54
	;; [unrolled: 1-line block ×6, first 2 shown]
	v_add_f32_e32 v41, v41, v53
	v_add_f32_e32 v53, v54, v55
	v_and_b32_e32 v58, 0xffff0000, v58
	v_and_b32_e32 v60, 0xffff0000, v60
	v_add_f32_e32 v41, v41, v53
	v_add_f32_e32 v53, v56, v57
	v_add_f32_e32 v41, v41, v53
	v_add_f32_e32 v53, v58, v60
	v_add_f32_e32 v41, v41, v53
	v_and_b32_e32 v49, 0xffff0000, v49
	v_and_b32_e32 v47, 0xffff0000, v47
	v_and_b32_e32 v46, 0xffff0000, v46
	v_and_b32_e32 v39, 0xffff0000, v39
	v_add_f32_e32 v12, v12, v41
	v_and_b32_e32 v0, 0xffff0000, v0
	v_and_b32_e32 v41, 0xffff0000, v50
	v_add_f32_e32 v39, v39, v46
	v_add_f32_e32 v46, v47, v49
	v_and_b32_e32 v50, 0xffff0000, v51
	v_and_b32_e32 v51, 0xffff0000, v52
	v_add_f32_e32 v39, v39, v46
	v_add_f32_e32 v0, v41, v0
	;; [unrolled: 1-line block ×6, first 2 shown]
	v_and_b32_e32 v0, 0xffff0000, v45
	v_and_b32_e32 v41, 0xffff0000, v126
	;; [unrolled: 1-line block ×6, first 2 shown]
	v_add_f32_e32 v37, v37, v46
	v_add_f32_e32 v41, v45, v41
	v_and_b32_e32 v44, 0xffff0000, v44
	v_and_b32_e32 v47, 0xffff0000, v48
	v_add_f32_e32 v37, v37, v41
	v_add_f32_e32 v0, v39, v0
	v_add_f32_e32 v0, v37, v0
	v_add_f32_e32 v37, v44, v47
	v_add_f32_e32 v0, v0, v37
	v_and_b32_e32 v39, 0xffff0000, v119
	v_and_b32_e32 v41, 0xffff0000, v118
	v_and_b32_e32 v44, 0xffff0000, v117
	v_and_b32_e32 v35, 0xffff0000, v35
	v_add_f32_e32 v14, v14, v0
	v_and_b32_e32 v0, 0xffff0000, v121
	v_and_b32_e32 v37, 0xffff0000, v120
	v_add_f32_e32 v35, v35, v44
	v_add_f32_e32 v39, v41, v39
	v_and_b32_e32 v45, 0xffff0000, v122
	v_and_b32_e32 v46, 0xffff0000, v123
	v_add_f32_e32 v35, v35, v39
	v_add_f32_e32 v0, v37, v0
	v_add_f32_e32 v0, v35, v0
	v_add_f32_e32 v35, v45, v46
	v_add_f32_e32 v0, v0, v35
	v_and_b32_e32 v37, 0xffff0000, v112
	v_and_b32_e32 v39, 0xffff0000, v111
	v_and_b32_e32 v41, 0xffff0000, v110
	v_and_b32_e32 v33, 0xffff0000, v33
	v_add_f32_e32 v17, v17, v0
	v_and_b32_e32 v0, 0xffff0000, v114
	v_and_b32_e32 v35, 0xffff0000, v113
	;; [unrolled: 16-line block ×5, first 2 shown]
	v_add_f32_e32 v8, v8, v9
	v_add_f32_e32 v9, v33, v31
	;; [unrolled: 1-line block ×4, first 2 shown]
	v_and_b32_e32 v9, 0xffff0000, v85
	v_and_b32_e32 v29, 0xffff0000, v84
	;; [unrolled: 1-line block ×4, first 2 shown]
	v_add_f32_e32 v31, v33, v31
	v_add_f32_e32 v9, v29, v9
	;; [unrolled: 1-line block ×3, first 2 shown]
	scratch_load_dword v29, off, off offset:44 ; 4-byte Folded Reload
	scratch_load_dword v31, off, off offset:40 ; 4-byte Folded Reload
	;; [unrolled: 1-line block ×3, first 2 shown]
	v_and_b32_e32 v35, 0xffff0000, v94
	v_and_b32_e32 v37, 0xffff0000, v95
	v_add_f32_e32 v0, v8, v0
	v_add_f32_e32 v8, v35, v37
	;; [unrolled: 1-line block ×4, first 2 shown]
	v_and_b32_e32 v0, 0xffff0000, v87
	v_and_b32_e32 v8, 0xffff0000, v86
	;; [unrolled: 1-line block ×4, first 2 shown]
	v_add_f32_e32 v0, v8, v0
	v_add_f32_e32 v0, v9, v0
	;; [unrolled: 1-line block ×4, first 2 shown]
	v_and_b32_e32 v9, 0xffff0000, v77
	v_add_f32_e32 v20, v20, v0
	v_and_b32_e32 v0, 0xffff0000, v79
	v_and_b32_e32 v8, 0xffff0000, v78
	;; [unrolled: 1-line block ×4, first 2 shown]
	v_add_f32_e32 v0, v8, v0
	v_add_f32_e32 v8, v35, v37
	scratch_load_dword v35, off, off offset:28 ; 4-byte Folded Reload
	scratch_load_dword v37, off, off offset:32 ; 4-byte Folded Reload
	v_and_b32_e32 v7, 0xffff0000, v7
	v_and_b32_e32 v6, 0xffff0000, v6
	;; [unrolled: 1-line block ×6, first 2 shown]
	v_pk_add_f32 v[2:3], v[2:3], v[6:7]
	s_waitcnt vmcnt(4)
	v_and_b32_e32 v29, 0xffff0000, v29
	s_waitcnt vmcnt(3)
	v_and_b32_e32 v31, 0xffff0000, v31
	;; [unrolled: 2-line block ×3, first 2 shown]
	v_add_f32_e32 v31, v33, v31
	v_add_f32_e32 v9, v29, v9
	;; [unrolled: 1-line block ×6, first 2 shown]
	scratch_load_dword v0, off, off offset:24 ; 4-byte Folded Reload
	scratch_load_dword v8, off, off offset:20 ; 4-byte Folded Reload
	;; [unrolled: 1-line block ×6, first 2 shown]
	s_waitcnt vmcnt(7)
	v_and_b32_e32 v35, 0xffff0000, v35
	s_waitcnt vmcnt(6)
	v_and_b32_e32 v37, 0xffff0000, v37
	;; [unrolled: 2-line block ×8, first 2 shown]
	v_add_f32_e32 v31, v33, v31
	v_add_f32_e32 v9, v29, v9
	;; [unrolled: 1-line block ×7, first 2 shown]
	v_and_b32_e32 v9, 0xffff0000, v43
	v_and_b32_e32 v8, 0xffff0000, v59
	v_add_f32_e32 v24, v24, v0
	v_pk_add_f32 v[4:5], v[4:5], v[8:9]
	v_add_f32_e32 v0, v2, v3
	v_add_f32_e32 v0, v0, v4
	;; [unrolled: 1-line block ×4, first 2 shown]
.LBB178_50:                             ;   in Loop: Header=BB178_51 Depth=1
	s_or_b64 exec, exec, s[10:11]
	v_add_u32_e32 v10, 2, v10
	v_cmp_le_i32_e32 vcc, s48, v10
	v_lshl_add_u64 v[26:27], v[26:27], 0, 8
	v_add_u32_e32 v1, 64, v1
	s_or_b64 s[8:9], vcc, s[8:9]
	v_add_u32_e32 v11, 0x100, v11
	s_andn2_b64 exec, exec, s[8:9]
	s_cbranch_execz .LBB178_492
.LBB178_51:                             ; =>This Inner Loop Header: Depth=1
	v_sub_u32_e32 v2, 0, v1
	v_max_i32_e32 v2, v1, v2
	v_mul_hi_u32 v3, v2, s46
	v_mul_lo_u32 v4, v3, s27
	v_sub_u32_e32 v2, v2, v4
	v_add_u32_e32 v4, 1, v3
	v_cmp_le_u32_e32 vcc, s27, v2
	v_ashrrev_i32_e32 v0, 31, v1
	v_xor_b32_e32 v0, s19, v0
	v_cndmask_b32_e32 v3, v3, v4, vcc
	v_subrev_u32_e32 v4, s27, v2
	v_cndmask_b32_e32 v2, v2, v4, vcc
	v_add_u32_e32 v4, 1, v3
	v_cmp_le_u32_e32 vcc, s27, v2
	s_nop 1
	v_cndmask_b32_e32 v2, v3, v4, vcc
	v_xor_b32_e32 v2, v2, v0
	v_sub_u32_e32 v0, v2, v0
	v_add_u32_e32 v2, s47, v0
	v_sub_u32_e32 v4, 0, v2
	v_ashrrev_i32_e32 v3, 31, v2
	v_max_i32_e32 v2, v2, v4
	scratch_load_dword v4, off, off         ; 4-byte Folded Reload
	v_cmp_lt_i32_e64 s[0:1], s5, v0
	s_waitcnt vmcnt(0)
	v_mul_hi_u32 v4, v2, v4
	v_mul_lo_u32 v4, v4, s15
	v_sub_u32_e32 v2, v2, v4
	v_subrev_u32_e32 v4, s15, v2
	v_cmp_le_u32_e32 vcc, s15, v2
	s_nop 1
	v_cndmask_b32_e32 v2, v2, v4, vcc
	v_subrev_u32_e32 v4, s15, v2
	v_cmp_le_u32_e32 vcc, s15, v2
	s_nop 1
	v_cndmask_b32_e32 v2, v2, v4, vcc
	v_xor_b32_e32 v2, v2, v3
	v_sub_u32_e32 v2, v2, v3
	v_cmp_eq_u32_e32 vcc, 0, v2
	s_or_b64 s[0:1], vcc, s[0:1]
	s_and_saveexec_b64 s[10:11], s[0:1]
	s_cbranch_execz .LBB178_50
; %bb.52:                               ;   in Loop: Header=BB178_51 Depth=1
	global_load_dword v43, v[26:27], off
	ds_read2_b64 v[6:9], v11 offset1:1
	ds_read2_b64 v[2:5], v11 offset0:2 offset1:3
                                        ; implicit-def: $vgpr41
	s_waitcnt lgkmcnt(1)
	v_and_b32_e32 v0, 0x7f800000, v6
	v_cmp_ne_u32_e32 vcc, s18, v0
	s_and_saveexec_b64 s[0:1], vcc
	s_xor_b64 s[0:1], exec, s[0:1]
; %bb.53:                               ;   in Loop: Header=BB178_51 Depth=1
	v_bfe_u32 v0, v6, 16, 1
	v_add3_u32 v41, v6, v0, s20
; %bb.54:                               ;   in Loop: Header=BB178_51 Depth=1
	s_andn2_saveexec_b64 s[0:1], s[0:1]
; %bb.55:                               ;   in Loop: Header=BB178_51 Depth=1
	v_or_b32_e32 v0, 0x10000, v6
	v_cmp_eq_u32_sdwa vcc, v6, v23 src0_sel:WORD_0 src1_sel:DWORD
	s_nop 1
	v_cndmask_b32_e32 v41, v0, v6, vcc
; %bb.56:                               ;   in Loop: Header=BB178_51 Depth=1
	s_or_b64 exec, exec, s[0:1]
	v_and_b32_e32 v0, 0x7f800000, v7
	v_cmp_ne_u32_e32 vcc, s18, v0
                                        ; implicit-def: $vgpr39
	s_and_saveexec_b64 s[0:1], vcc
	s_xor_b64 s[0:1], exec, s[0:1]
; %bb.57:                               ;   in Loop: Header=BB178_51 Depth=1
	v_bfe_u32 v0, v7, 16, 1
	v_add3_u32 v39, v7, v0, s20
; %bb.58:                               ;   in Loop: Header=BB178_51 Depth=1
	s_andn2_saveexec_b64 s[0:1], s[0:1]
; %bb.59:                               ;   in Loop: Header=BB178_51 Depth=1
	v_or_b32_e32 v0, 0x10000, v7
	v_cmp_eq_u32_sdwa vcc, v7, v23 src0_sel:WORD_0 src1_sel:DWORD
	s_nop 1
	v_cndmask_b32_e32 v39, v0, v7, vcc
; %bb.60:                               ;   in Loop: Header=BB178_51 Depth=1
	s_or_b64 exec, exec, s[0:1]
	v_and_b32_e32 v0, 0x7f800000, v8
	v_cmp_ne_u32_e32 vcc, s18, v0
                                        ; implicit-def: $vgpr37
	s_and_saveexec_b64 s[0:1], vcc
	s_xor_b64 s[0:1], exec, s[0:1]
; %bb.61:                               ;   in Loop: Header=BB178_51 Depth=1
	v_bfe_u32 v0, v8, 16, 1
	v_add3_u32 v37, v8, v0, s20
; %bb.62:                               ;   in Loop: Header=BB178_51 Depth=1
	s_andn2_saveexec_b64 s[0:1], s[0:1]
; %bb.63:                               ;   in Loop: Header=BB178_51 Depth=1
	v_or_b32_e32 v0, 0x10000, v8
	v_cmp_eq_u32_sdwa vcc, v8, v23 src0_sel:WORD_0 src1_sel:DWORD
	s_nop 1
	v_cndmask_b32_e32 v37, v0, v8, vcc
; %bb.64:                               ;   in Loop: Header=BB178_51 Depth=1
	s_or_b64 exec, exec, s[0:1]
	v_and_b32_e32 v0, 0x7f800000, v9
	v_cmp_ne_u32_e32 vcc, s18, v0
                                        ; implicit-def: $vgpr35
	s_and_saveexec_b64 s[0:1], vcc
	s_xor_b64 s[0:1], exec, s[0:1]
; %bb.65:                               ;   in Loop: Header=BB178_51 Depth=1
	v_bfe_u32 v0, v9, 16, 1
	v_add3_u32 v35, v9, v0, s20
                                        ; implicit-def: $vgpr6_vgpr7_vgpr8_vgpr9
; %bb.66:                               ;   in Loop: Header=BB178_51 Depth=1
	s_andn2_saveexec_b64 s[0:1], s[0:1]
; %bb.67:                               ;   in Loop: Header=BB178_51 Depth=1
	v_or_b32_e32 v0, 0x10000, v9
	v_cmp_eq_u32_sdwa vcc, v9, v23 src0_sel:WORD_0 src1_sel:DWORD
	s_nop 1
	v_cndmask_b32_e32 v35, v0, v9, vcc
; %bb.68:                               ;   in Loop: Header=BB178_51 Depth=1
	s_or_b64 exec, exec, s[0:1]
	s_waitcnt lgkmcnt(0)
	v_and_b32_e32 v0, 0x7f800000, v2
	v_cmp_ne_u32_e32 vcc, s18, v0
                                        ; implicit-def: $vgpr33
	s_and_saveexec_b64 s[0:1], vcc
	s_xor_b64 s[0:1], exec, s[0:1]
; %bb.69:                               ;   in Loop: Header=BB178_51 Depth=1
	v_bfe_u32 v0, v2, 16, 1
	v_add3_u32 v33, v2, v0, s20
; %bb.70:                               ;   in Loop: Header=BB178_51 Depth=1
	s_andn2_saveexec_b64 s[0:1], s[0:1]
; %bb.71:                               ;   in Loop: Header=BB178_51 Depth=1
	v_or_b32_e32 v0, 0x10000, v2
	v_cmp_eq_u32_sdwa vcc, v2, v23 src0_sel:WORD_0 src1_sel:DWORD
	s_nop 1
	v_cndmask_b32_e32 v33, v0, v2, vcc
; %bb.72:                               ;   in Loop: Header=BB178_51 Depth=1
	s_or_b64 exec, exec, s[0:1]
	v_and_b32_e32 v0, 0x7f800000, v3
	v_cmp_ne_u32_e32 vcc, s18, v0
                                        ; implicit-def: $vgpr31
	s_and_saveexec_b64 s[0:1], vcc
	s_xor_b64 s[0:1], exec, s[0:1]
; %bb.73:                               ;   in Loop: Header=BB178_51 Depth=1
	v_bfe_u32 v0, v3, 16, 1
	v_add3_u32 v31, v3, v0, s20
; %bb.74:                               ;   in Loop: Header=BB178_51 Depth=1
	s_andn2_saveexec_b64 s[0:1], s[0:1]
; %bb.75:                               ;   in Loop: Header=BB178_51 Depth=1
	v_or_b32_e32 v0, 0x10000, v3
	v_cmp_eq_u32_sdwa vcc, v3, v23 src0_sel:WORD_0 src1_sel:DWORD
	s_nop 1
	v_cndmask_b32_e32 v31, v0, v3, vcc
; %bb.76:                               ;   in Loop: Header=BB178_51 Depth=1
	s_or_b64 exec, exec, s[0:1]
	v_and_b32_e32 v0, 0x7f800000, v4
	v_cmp_ne_u32_e32 vcc, s18, v0
                                        ; implicit-def: $vgpr29
	s_and_saveexec_b64 s[0:1], vcc
	s_xor_b64 s[0:1], exec, s[0:1]
; %bb.77:                               ;   in Loop: Header=BB178_51 Depth=1
	v_bfe_u32 v0, v4, 16, 1
	v_add3_u32 v29, v4, v0, s20
; %bb.78:                               ;   in Loop: Header=BB178_51 Depth=1
	s_andn2_saveexec_b64 s[0:1], s[0:1]
; %bb.79:                               ;   in Loop: Header=BB178_51 Depth=1
	v_or_b32_e32 v0, 0x10000, v4
	v_cmp_eq_u32_sdwa vcc, v4, v23 src0_sel:WORD_0 src1_sel:DWORD
	s_nop 1
	v_cndmask_b32_e32 v29, v0, v4, vcc
; %bb.80:                               ;   in Loop: Header=BB178_51 Depth=1
	s_or_b64 exec, exec, s[0:1]
	v_and_b32_e32 v0, 0x7f800000, v5
	v_cmp_ne_u32_e32 vcc, s18, v0
                                        ; implicit-def: $vgpr0
	s_and_saveexec_b64 s[0:1], vcc
	s_xor_b64 s[0:1], exec, s[0:1]
; %bb.81:                               ;   in Loop: Header=BB178_51 Depth=1
	v_bfe_u32 v0, v5, 16, 1
	v_add3_u32 v0, v5, v0, s20
                                        ; implicit-def: $vgpr2_vgpr3_vgpr4_vgpr5
; %bb.82:                               ;   in Loop: Header=BB178_51 Depth=1
	s_andn2_saveexec_b64 s[0:1], s[0:1]
; %bb.83:                               ;   in Loop: Header=BB178_51 Depth=1
	v_or_b32_e32 v0, 0x10000, v5
	v_cmp_eq_u32_sdwa vcc, v5, v23 src0_sel:WORD_0 src1_sel:DWORD
	s_nop 1
	v_cndmask_b32_e32 v0, v0, v5, vcc
; %bb.84:                               ;   in Loop: Header=BB178_51 Depth=1
	s_or_b64 exec, exec, s[0:1]
	s_waitcnt vmcnt(0)
	v_mad_i64_i32 v[2:3], s[0:1], v43, s17, 0
	v_lshl_add_u64 v[6:7], v[2:3], 1, s[6:7]
	v_lshl_add_u64 v[8:9], v[6:7], 0, v[22:23]
	global_load_dwordx4 v[2:5], v[8:9], off
	scratch_load_dword v43, off, off offset:48 ; 4-byte Folded Reload
	v_cmp_eq_u32_e32 vcc, s14, v10
	s_waitcnt vmcnt(1)
	v_lshrrev_b32_e32 v46, 16, v2
	s_waitcnt vmcnt(0)
	v_add_u32_e32 v59, v43, v1
	v_add_u32_e32 v67, 1, v59
	;; [unrolled: 1-line block ×7, first 2 shown]
	v_lshrrev_b32_e32 v45, 16, v3
	v_lshrrev_b32_e32 v44, 16, v4
	;; [unrolled: 1-line block ×3, first 2 shown]
	v_add_u32_e32 v65, 7, v59
	s_and_saveexec_b64 s[12:13], vcc
	s_cbranch_execz .LBB178_86
; %bb.85:                               ;   in Loop: Header=BB178_51 Depth=1
	v_cmp_gt_i32_e64 s[0:1], s33, v59
	s_nop 1
	v_cndmask_b32_e64 v2, 0, v2, s[0:1]
	v_cmp_gt_i32_e64 s[0:1], s33, v67
	s_nop 1
	v_cndmask_b32_e64 v46, 0, v46, s[0:1]
	;; [unrolled: 3-line block ×8, first 2 shown]
.LBB178_86:                             ;   in Loop: Header=BB178_51 Depth=1
	s_or_b64 exec, exec, s[12:13]
	v_and_b32_e32 v68, 0xffff0000, v41
	v_lshlrev_b32_e32 v2, 16, v2
	v_mul_f32_e32 v2, v68, v2
	v_and_b32_e32 v41, 0x7f800000, v2
	v_cmp_ne_u32_e64 s[0:1], s18, v41
                                        ; implicit-def: $vgpr41
                                        ; kill: killed $vgpr41
	s_and_saveexec_b64 s[12:13], s[0:1]
	s_xor_b64 s[0:1], exec, s[12:13]
	s_cbranch_execz .LBB178_88
; %bb.87:                               ;   in Loop: Header=BB178_51 Depth=1
	v_bfe_u32 v41, v2, 16, 1
	v_add3_u32 v2, v2, v41, s20
	scratch_store_dword off, v2, off offset:4 ; 4-byte Folded Spill
                                        ; implicit-def: $vgpr2
.LBB178_88:                             ;   in Loop: Header=BB178_51 Depth=1
	s_andn2_saveexec_b64 s[12:13], s[0:1]
	s_cbranch_execz .LBB178_90
; %bb.89:                               ;   in Loop: Header=BB178_51 Depth=1
	v_or_b32_e32 v41, 0x10000, v2
	v_cmp_eq_u32_sdwa s[0:1], v2, v23 src0_sel:WORD_0 src1_sel:DWORD
	s_nop 1
	v_cndmask_b32_e64 v2, v41, v2, s[0:1]
	scratch_store_dword off, v2, off offset:4 ; 4-byte Folded Spill
.LBB178_90:                             ;   in Loop: Header=BB178_51 Depth=1
	s_or_b64 exec, exec, s[12:13]
	v_and_b32_e32 v69, 0xffff0000, v39
	v_lshlrev_b32_e32 v2, 16, v46
	v_mul_f32_e32 v2, v69, v2
	v_and_b32_e32 v39, 0x7f800000, v2
	v_cmp_ne_u32_e64 s[0:1], s18, v39
                                        ; implicit-def: $vgpr39
                                        ; kill: killed $vgpr39
	s_and_saveexec_b64 s[12:13], s[0:1]
	s_xor_b64 s[0:1], exec, s[12:13]
	s_cbranch_execz .LBB178_92
; %bb.91:                               ;   in Loop: Header=BB178_51 Depth=1
	v_bfe_u32 v39, v2, 16, 1
	v_add3_u32 v2, v2, v39, s20
	scratch_store_dword off, v2, off offset:8 ; 4-byte Folded Spill
                                        ; implicit-def: $vgpr2
.LBB178_92:                             ;   in Loop: Header=BB178_51 Depth=1
	s_andn2_saveexec_b64 s[12:13], s[0:1]
	s_cbranch_execz .LBB178_94
; %bb.93:                               ;   in Loop: Header=BB178_51 Depth=1
	v_or_b32_e32 v39, 0x10000, v2
	v_cmp_eq_u32_sdwa s[0:1], v2, v23 src0_sel:WORD_0 src1_sel:DWORD
	s_nop 1
	v_cndmask_b32_e64 v2, v39, v2, s[0:1]
	scratch_store_dword off, v2, off offset:8 ; 4-byte Folded Spill
.LBB178_94:                             ;   in Loop: Header=BB178_51 Depth=1
	s_or_b64 exec, exec, s[12:13]
	v_and_b32_e32 v70, 0xffff0000, v37
	v_lshlrev_b32_e32 v2, 16, v3
	v_mul_f32_e32 v2, v70, v2
	v_and_b32_e32 v3, 0x7f800000, v2
	v_cmp_ne_u32_e64 s[0:1], s18, v3
                                        ; implicit-def: $vgpr3
                                        ; kill: killed $vgpr3
	s_and_saveexec_b64 s[12:13], s[0:1]
	s_xor_b64 s[0:1], exec, s[12:13]
	s_cbranch_execz .LBB178_96
; %bb.95:                               ;   in Loop: Header=BB178_51 Depth=1
	v_bfe_u32 v3, v2, 16, 1
	v_add3_u32 v2, v2, v3, s20
	scratch_store_dword off, v2, off offset:12 ; 4-byte Folded Spill
                                        ; implicit-def: $vgpr2
.LBB178_96:                             ;   in Loop: Header=BB178_51 Depth=1
	s_andn2_saveexec_b64 s[12:13], s[0:1]
	s_cbranch_execz .LBB178_98
; %bb.97:                               ;   in Loop: Header=BB178_51 Depth=1
	v_or_b32_e32 v3, 0x10000, v2
	v_cmp_eq_u32_sdwa s[0:1], v2, v23 src0_sel:WORD_0 src1_sel:DWORD
	s_nop 1
	v_cndmask_b32_e64 v2, v3, v2, s[0:1]
	scratch_store_dword off, v2, off offset:12 ; 4-byte Folded Spill
.LBB178_98:                             ;   in Loop: Header=BB178_51 Depth=1
	s_or_b64 exec, exec, s[12:13]
	v_and_b32_e32 v71, 0xffff0000, v35
	v_lshlrev_b32_e32 v2, 16, v45
	v_mul_f32_e32 v2, v71, v2
	v_and_b32_e32 v3, 0x7f800000, v2
	v_cmp_ne_u32_e64 s[0:1], s18, v3
                                        ; implicit-def: $vgpr3
                                        ; kill: killed $vgpr3
	s_and_saveexec_b64 s[12:13], s[0:1]
	s_xor_b64 s[0:1], exec, s[12:13]
	s_cbranch_execz .LBB178_100
; %bb.99:                               ;   in Loop: Header=BB178_51 Depth=1
	v_bfe_u32 v3, v2, 16, 1
	v_add3_u32 v2, v2, v3, s20
	scratch_store_dword off, v2, off offset:16 ; 4-byte Folded Spill
                                        ; implicit-def: $vgpr2
.LBB178_100:                            ;   in Loop: Header=BB178_51 Depth=1
	s_andn2_saveexec_b64 s[12:13], s[0:1]
	s_cbranch_execz .LBB178_102
; %bb.101:                              ;   in Loop: Header=BB178_51 Depth=1
	v_or_b32_e32 v3, 0x10000, v2
	v_cmp_eq_u32_sdwa s[0:1], v2, v23 src0_sel:WORD_0 src1_sel:DWORD
	s_nop 1
	v_cndmask_b32_e64 v2, v3, v2, s[0:1]
	scratch_store_dword off, v2, off offset:16 ; 4-byte Folded Spill
.LBB178_102:                            ;   in Loop: Header=BB178_51 Depth=1
	s_or_b64 exec, exec, s[12:13]
	v_and_b32_e32 v73, 0xffff0000, v33
	v_lshlrev_b32_e32 v2, 16, v4
	v_mul_f32_e32 v2, v73, v2
	v_and_b32_e32 v3, 0x7f800000, v2
	v_cmp_ne_u32_e64 s[0:1], s18, v3
                                        ; implicit-def: $vgpr3
                                        ; kill: killed $vgpr3
	s_and_saveexec_b64 s[12:13], s[0:1]
	s_xor_b64 s[0:1], exec, s[12:13]
	s_cbranch_execz .LBB178_104
; %bb.103:                              ;   in Loop: Header=BB178_51 Depth=1
	v_bfe_u32 v3, v2, 16, 1
	v_add3_u32 v2, v2, v3, s20
	scratch_store_dword off, v2, off offset:20 ; 4-byte Folded Spill
                                        ; implicit-def: $vgpr2
.LBB178_104:                            ;   in Loop: Header=BB178_51 Depth=1
	s_andn2_saveexec_b64 s[12:13], s[0:1]
	s_cbranch_execz .LBB178_106
; %bb.105:                              ;   in Loop: Header=BB178_51 Depth=1
	v_or_b32_e32 v3, 0x10000, v2
	v_cmp_eq_u32_sdwa s[0:1], v2, v23 src0_sel:WORD_0 src1_sel:DWORD
	s_nop 1
	v_cndmask_b32_e64 v2, v3, v2, s[0:1]
	scratch_store_dword off, v2, off offset:20 ; 4-byte Folded Spill
.LBB178_106:                            ;   in Loop: Header=BB178_51 Depth=1
	s_or_b64 exec, exec, s[12:13]
	v_and_b32_e32 v74, 0xffff0000, v31
	v_lshlrev_b32_e32 v2, 16, v44
	v_mul_f32_e32 v2, v74, v2
	v_and_b32_e32 v3, 0x7f800000, v2
	v_cmp_ne_u32_e64 s[0:1], s18, v3
                                        ; implicit-def: $vgpr3
                                        ; kill: killed $vgpr3
	s_and_saveexec_b64 s[12:13], s[0:1]
	s_xor_b64 s[0:1], exec, s[12:13]
	s_cbranch_execz .LBB178_108
; %bb.107:                              ;   in Loop: Header=BB178_51 Depth=1
	v_bfe_u32 v3, v2, 16, 1
	v_add3_u32 v2, v2, v3, s20
	scratch_store_dword off, v2, off offset:24 ; 4-byte Folded Spill
                                        ; implicit-def: $vgpr2
.LBB178_108:                            ;   in Loop: Header=BB178_51 Depth=1
	;; [unrolled: 26-line block ×3, first 2 shown]
	s_andn2_saveexec_b64 s[12:13], s[0:1]
	s_cbranch_execz .LBB178_114
; %bb.113:                              ;   in Loop: Header=BB178_51 Depth=1
	v_or_b32_e32 v3, 0x10000, v2
	v_cmp_eq_u32_sdwa s[0:1], v2, v23 src0_sel:WORD_0 src1_sel:DWORD
	s_nop 1
	v_cndmask_b32_e64 v2, v3, v2, s[0:1]
	scratch_store_dword off, v2, off offset:28 ; 4-byte Folded Spill
.LBB178_114:                            ;   in Loop: Header=BB178_51 Depth=1
	s_or_b64 exec, exec, s[12:13]
	v_and_b32_e32 v76, 0xffff0000, v0
	v_lshlrev_b32_e32 v0, 16, v43
	v_mul_f32_e32 v0, v76, v0
	v_and_b32_e32 v2, 0x7f800000, v0
	v_cmp_ne_u32_e64 s[0:1], s18, v2
                                        ; implicit-def: $vgpr2
                                        ; kill: killed $vgpr2
	s_and_saveexec_b64 s[12:13], s[0:1]
	s_xor_b64 s[0:1], exec, s[12:13]
	s_cbranch_execz .LBB178_116
; %bb.115:                              ;   in Loop: Header=BB178_51 Depth=1
	v_bfe_u32 v2, v0, 16, 1
	v_add3_u32 v0, v0, v2, s20
	scratch_store_dword off, v0, off offset:32 ; 4-byte Folded Spill
                                        ; implicit-def: $vgpr0
.LBB178_116:                            ;   in Loop: Header=BB178_51 Depth=1
	s_andn2_saveexec_b64 s[12:13], s[0:1]
	s_cbranch_execz .LBB178_118
; %bb.117:                              ;   in Loop: Header=BB178_51 Depth=1
	v_or_b32_e32 v2, 0x10000, v0
	v_cmp_eq_u32_sdwa s[0:1], v0, v23 src0_sel:WORD_0 src1_sel:DWORD
	s_nop 1
	v_cndmask_b32_e64 v0, v2, v0, s[0:1]
	scratch_store_dword off, v0, off offset:32 ; 4-byte Folded Spill
.LBB178_118:                            ;   in Loop: Header=BB178_51 Depth=1
	s_or_b64 exec, exec, s[12:13]
	global_load_dwordx4 v[2:5], v[8:9], off offset:1024
	s_waitcnt vmcnt(0)
	v_lshrrev_b32_e32 v33, 16, v2
	v_lshrrev_b32_e32 v31, 16, v3
	;; [unrolled: 1-line block ×4, first 2 shown]
	s_and_saveexec_b64 s[12:13], vcc
	s_cbranch_execz .LBB178_120
; %bb.119:                              ;   in Loop: Header=BB178_51 Depth=1
	v_cmp_gt_i32_e64 s[0:1], s33, v59
	s_nop 1
	v_cndmask_b32_e64 v2, 0, v2, s[0:1]
	v_cmp_gt_i32_e64 s[0:1], s33, v67
	s_nop 1
	v_cndmask_b32_e64 v33, 0, v33, s[0:1]
	;; [unrolled: 3-line block ×8, first 2 shown]
.LBB178_120:                            ;   in Loop: Header=BB178_51 Depth=1
	s_or_b64 exec, exec, s[12:13]
	v_lshlrev_b32_e32 v2, 16, v2
	v_mul_f32_e32 v2, v68, v2
	v_and_b32_e32 v35, 0x7f800000, v2
	v_cmp_ne_u32_e64 s[0:1], s18, v35
                                        ; implicit-def: $vgpr35
                                        ; kill: killed $vgpr35
	s_and_saveexec_b64 s[12:13], s[0:1]
	s_xor_b64 s[0:1], exec, s[12:13]
	s_cbranch_execz .LBB178_122
; %bb.121:                              ;   in Loop: Header=BB178_51 Depth=1
	v_bfe_u32 v35, v2, 16, 1
	v_add3_u32 v2, v2, v35, s20
	scratch_store_dword off, v2, off offset:36 ; 4-byte Folded Spill
                                        ; implicit-def: $vgpr2
.LBB178_122:                            ;   in Loop: Header=BB178_51 Depth=1
	s_andn2_saveexec_b64 s[12:13], s[0:1]
	s_cbranch_execz .LBB178_124
; %bb.123:                              ;   in Loop: Header=BB178_51 Depth=1
	v_or_b32_e32 v35, 0x10000, v2
	v_cmp_eq_u32_sdwa s[0:1], v2, v23 src0_sel:WORD_0 src1_sel:DWORD
	s_nop 1
	v_cndmask_b32_e64 v2, v35, v2, s[0:1]
	scratch_store_dword off, v2, off offset:36 ; 4-byte Folded Spill
.LBB178_124:                            ;   in Loop: Header=BB178_51 Depth=1
	s_or_b64 exec, exec, s[12:13]
	v_lshlrev_b32_e32 v2, 16, v33
	v_mul_f32_e32 v2, v69, v2
	v_and_b32_e32 v33, 0x7f800000, v2
	v_cmp_ne_u32_e64 s[0:1], s18, v33
                                        ; implicit-def: $vgpr33
                                        ; kill: killed $vgpr33
	s_and_saveexec_b64 s[12:13], s[0:1]
	s_xor_b64 s[0:1], exec, s[12:13]
	s_cbranch_execz .LBB178_126
; %bb.125:                              ;   in Loop: Header=BB178_51 Depth=1
	v_bfe_u32 v33, v2, 16, 1
	v_add3_u32 v2, v2, v33, s20
	scratch_store_dword off, v2, off offset:40 ; 4-byte Folded Spill
                                        ; implicit-def: $vgpr2
.LBB178_126:                            ;   in Loop: Header=BB178_51 Depth=1
	s_andn2_saveexec_b64 s[12:13], s[0:1]
	s_cbranch_execz .LBB178_128
; %bb.127:                              ;   in Loop: Header=BB178_51 Depth=1
	v_or_b32_e32 v33, 0x10000, v2
	v_cmp_eq_u32_sdwa s[0:1], v2, v23 src0_sel:WORD_0 src1_sel:DWORD
	s_nop 1
	v_cndmask_b32_e64 v2, v33, v2, s[0:1]
	scratch_store_dword off, v2, off offset:40 ; 4-byte Folded Spill
.LBB178_128:                            ;   in Loop: Header=BB178_51 Depth=1
	s_or_b64 exec, exec, s[12:13]
	v_lshlrev_b32_e32 v2, 16, v3
	v_mul_f32_e32 v2, v70, v2
	v_and_b32_e32 v3, 0x7f800000, v2
	v_cmp_ne_u32_e64 s[0:1], s18, v3
                                        ; implicit-def: $vgpr3
                                        ; kill: killed $vgpr3
	s_and_saveexec_b64 s[12:13], s[0:1]
	s_xor_b64 s[0:1], exec, s[12:13]
	s_cbranch_execz .LBB178_130
; %bb.129:                              ;   in Loop: Header=BB178_51 Depth=1
	v_bfe_u32 v3, v2, 16, 1
	v_add3_u32 v2, v2, v3, s20
	scratch_store_dword off, v2, off offset:44 ; 4-byte Folded Spill
                                        ; implicit-def: $vgpr2
.LBB178_130:                            ;   in Loop: Header=BB178_51 Depth=1
	s_andn2_saveexec_b64 s[12:13], s[0:1]
	s_cbranch_execz .LBB178_132
; %bb.131:                              ;   in Loop: Header=BB178_51 Depth=1
	v_or_b32_e32 v3, 0x10000, v2
	v_cmp_eq_u32_sdwa s[0:1], v2, v23 src0_sel:WORD_0 src1_sel:DWORD
	s_nop 1
	v_cndmask_b32_e64 v2, v3, v2, s[0:1]
	scratch_store_dword off, v2, off offset:44 ; 4-byte Folded Spill
.LBB178_132:                            ;   in Loop: Header=BB178_51 Depth=1
	s_or_b64 exec, exec, s[12:13]
	v_lshlrev_b32_e32 v2, 16, v31
	v_mul_f32_e32 v2, v71, v2
	v_and_b32_e32 v3, 0x7f800000, v2
	v_cmp_ne_u32_e64 s[0:1], s18, v3
                                        ; implicit-def: $vgpr77
	s_and_saveexec_b64 s[12:13], s[0:1]
	s_xor_b64 s[0:1], exec, s[12:13]
; %bb.133:                              ;   in Loop: Header=BB178_51 Depth=1
	v_bfe_u32 v3, v2, 16, 1
	v_add3_u32 v77, v2, v3, s20
                                        ; implicit-def: $vgpr2
; %bb.134:                              ;   in Loop: Header=BB178_51 Depth=1
	s_andn2_saveexec_b64 s[12:13], s[0:1]
; %bb.135:                              ;   in Loop: Header=BB178_51 Depth=1
	v_or_b32_e32 v3, 0x10000, v2
	v_cmp_eq_u32_sdwa s[0:1], v2, v23 src0_sel:WORD_0 src1_sel:DWORD
	s_nop 1
	v_cndmask_b32_e64 v77, v3, v2, s[0:1]
; %bb.136:                              ;   in Loop: Header=BB178_51 Depth=1
	s_or_b64 exec, exec, s[12:13]
	v_lshlrev_b32_e32 v2, 16, v4
	v_mul_f32_e32 v2, v73, v2
	v_and_b32_e32 v3, 0x7f800000, v2
	v_cmp_ne_u32_e64 s[0:1], s18, v3
                                        ; implicit-def: $vgpr78
	s_and_saveexec_b64 s[12:13], s[0:1]
	s_xor_b64 s[0:1], exec, s[12:13]
; %bb.137:                              ;   in Loop: Header=BB178_51 Depth=1
	v_bfe_u32 v3, v2, 16, 1
	v_add3_u32 v78, v2, v3, s20
                                        ; implicit-def: $vgpr2
; %bb.138:                              ;   in Loop: Header=BB178_51 Depth=1
	s_andn2_saveexec_b64 s[12:13], s[0:1]
; %bb.139:                              ;   in Loop: Header=BB178_51 Depth=1
	v_or_b32_e32 v3, 0x10000, v2
	v_cmp_eq_u32_sdwa s[0:1], v2, v23 src0_sel:WORD_0 src1_sel:DWORD
	s_nop 1
	v_cndmask_b32_e64 v78, v3, v2, s[0:1]
; %bb.140:                              ;   in Loop: Header=BB178_51 Depth=1
	s_or_b64 exec, exec, s[12:13]
	v_lshlrev_b32_e32 v2, 16, v29
	v_mul_f32_e32 v2, v74, v2
	v_and_b32_e32 v3, 0x7f800000, v2
	v_cmp_ne_u32_e64 s[0:1], s18, v3
                                        ; implicit-def: $vgpr79
	s_and_saveexec_b64 s[12:13], s[0:1]
	s_xor_b64 s[0:1], exec, s[12:13]
; %bb.141:                              ;   in Loop: Header=BB178_51 Depth=1
	v_bfe_u32 v3, v2, 16, 1
	v_add3_u32 v79, v2, v3, s20
                                        ; implicit-def: $vgpr2
; %bb.142:                              ;   in Loop: Header=BB178_51 Depth=1
	s_andn2_saveexec_b64 s[12:13], s[0:1]
; %bb.143:                              ;   in Loop: Header=BB178_51 Depth=1
	v_or_b32_e32 v3, 0x10000, v2
	v_cmp_eq_u32_sdwa s[0:1], v2, v23 src0_sel:WORD_0 src1_sel:DWORD
	s_nop 1
	v_cndmask_b32_e64 v79, v3, v2, s[0:1]
; %bb.144:                              ;   in Loop: Header=BB178_51 Depth=1
	s_or_b64 exec, exec, s[12:13]
	v_lshlrev_b32_e32 v2, 16, v5
	v_mul_f32_e32 v2, v75, v2
	v_and_b32_e32 v3, 0x7f800000, v2
	v_cmp_ne_u32_e64 s[0:1], s18, v3
                                        ; implicit-def: $vgpr80
	s_and_saveexec_b64 s[12:13], s[0:1]
	s_xor_b64 s[0:1], exec, s[12:13]
; %bb.145:                              ;   in Loop: Header=BB178_51 Depth=1
	v_bfe_u32 v3, v2, 16, 1
	v_add3_u32 v80, v2, v3, s20
                                        ; implicit-def: $vgpr2
; %bb.146:                              ;   in Loop: Header=BB178_51 Depth=1
	s_andn2_saveexec_b64 s[12:13], s[0:1]
; %bb.147:                              ;   in Loop: Header=BB178_51 Depth=1
	v_or_b32_e32 v3, 0x10000, v2
	v_cmp_eq_u32_sdwa s[0:1], v2, v23 src0_sel:WORD_0 src1_sel:DWORD
	s_nop 1
	v_cndmask_b32_e64 v80, v3, v2, s[0:1]
; %bb.148:                              ;   in Loop: Header=BB178_51 Depth=1
	s_or_b64 exec, exec, s[12:13]
	v_lshlrev_b32_e32 v0, 16, v0
	v_mul_f32_e32 v0, v76, v0
	v_and_b32_e32 v2, 0x7f800000, v0
	v_cmp_ne_u32_e64 s[0:1], s18, v2
                                        ; implicit-def: $vgpr81
	s_and_saveexec_b64 s[12:13], s[0:1]
	s_xor_b64 s[0:1], exec, s[12:13]
; %bb.149:                              ;   in Loop: Header=BB178_51 Depth=1
	v_bfe_u32 v2, v0, 16, 1
	v_add3_u32 v81, v0, v2, s20
                                        ; implicit-def: $vgpr0
; %bb.150:                              ;   in Loop: Header=BB178_51 Depth=1
	s_andn2_saveexec_b64 s[12:13], s[0:1]
; %bb.151:                              ;   in Loop: Header=BB178_51 Depth=1
	v_or_b32_e32 v2, 0x10000, v0
	v_cmp_eq_u32_sdwa s[0:1], v0, v23 src0_sel:WORD_0 src1_sel:DWORD
	s_nop 1
	v_cndmask_b32_e64 v81, v2, v0, s[0:1]
; %bb.152:                              ;   in Loop: Header=BB178_51 Depth=1
	s_or_b64 exec, exec, s[12:13]
	global_load_dwordx4 v[2:5], v[8:9], off offset:2048
	s_waitcnt vmcnt(0)
	v_lshrrev_b32_e32 v33, 16, v2
	v_lshrrev_b32_e32 v31, 16, v3
	;; [unrolled: 1-line block ×4, first 2 shown]
	s_and_saveexec_b64 s[12:13], vcc
	s_cbranch_execz .LBB178_154
; %bb.153:                              ;   in Loop: Header=BB178_51 Depth=1
	v_cmp_gt_i32_e64 s[0:1], s33, v59
	s_nop 1
	v_cndmask_b32_e64 v2, 0, v2, s[0:1]
	v_cmp_gt_i32_e64 s[0:1], s33, v67
	s_nop 1
	v_cndmask_b32_e64 v33, 0, v33, s[0:1]
	;; [unrolled: 3-line block ×8, first 2 shown]
.LBB178_154:                            ;   in Loop: Header=BB178_51 Depth=1
	s_or_b64 exec, exec, s[12:13]
	v_lshlrev_b32_e32 v2, 16, v2
	v_mul_f32_e32 v2, v68, v2
	v_and_b32_e32 v35, 0x7f800000, v2
	v_cmp_ne_u32_e64 s[0:1], s18, v35
                                        ; implicit-def: $vgpr82
	s_and_saveexec_b64 s[12:13], s[0:1]
	s_xor_b64 s[0:1], exec, s[12:13]
; %bb.155:                              ;   in Loop: Header=BB178_51 Depth=1
	v_bfe_u32 v35, v2, 16, 1
	v_add3_u32 v82, v2, v35, s20
                                        ; implicit-def: $vgpr2
; %bb.156:                              ;   in Loop: Header=BB178_51 Depth=1
	s_andn2_saveexec_b64 s[12:13], s[0:1]
; %bb.157:                              ;   in Loop: Header=BB178_51 Depth=1
	v_or_b32_e32 v35, 0x10000, v2
	v_cmp_eq_u32_sdwa s[0:1], v2, v23 src0_sel:WORD_0 src1_sel:DWORD
	s_nop 1
	v_cndmask_b32_e64 v82, v35, v2, s[0:1]
; %bb.158:                              ;   in Loop: Header=BB178_51 Depth=1
	s_or_b64 exec, exec, s[12:13]
	v_lshlrev_b32_e32 v2, 16, v33
	v_mul_f32_e32 v2, v69, v2
	v_and_b32_e32 v33, 0x7f800000, v2
	v_cmp_ne_u32_e64 s[0:1], s18, v33
                                        ; implicit-def: $vgpr83
	s_and_saveexec_b64 s[12:13], s[0:1]
	s_xor_b64 s[0:1], exec, s[12:13]
; %bb.159:                              ;   in Loop: Header=BB178_51 Depth=1
	v_bfe_u32 v33, v2, 16, 1
	v_add3_u32 v83, v2, v33, s20
                                        ; implicit-def: $vgpr2
; %bb.160:                              ;   in Loop: Header=BB178_51 Depth=1
	s_andn2_saveexec_b64 s[12:13], s[0:1]
; %bb.161:                              ;   in Loop: Header=BB178_51 Depth=1
	v_or_b32_e32 v33, 0x10000, v2
	v_cmp_eq_u32_sdwa s[0:1], v2, v23 src0_sel:WORD_0 src1_sel:DWORD
	s_nop 1
	v_cndmask_b32_e64 v83, v33, v2, s[0:1]
; %bb.162:                              ;   in Loop: Header=BB178_51 Depth=1
	s_or_b64 exec, exec, s[12:13]
	v_lshlrev_b32_e32 v2, 16, v3
	v_mul_f32_e32 v2, v70, v2
	v_and_b32_e32 v3, 0x7f800000, v2
	v_cmp_ne_u32_e64 s[0:1], s18, v3
                                        ; implicit-def: $vgpr84
	s_and_saveexec_b64 s[12:13], s[0:1]
	s_xor_b64 s[0:1], exec, s[12:13]
; %bb.163:                              ;   in Loop: Header=BB178_51 Depth=1
	v_bfe_u32 v3, v2, 16, 1
	v_add3_u32 v84, v2, v3, s20
                                        ; implicit-def: $vgpr2
; %bb.164:                              ;   in Loop: Header=BB178_51 Depth=1
	s_andn2_saveexec_b64 s[12:13], s[0:1]
; %bb.165:                              ;   in Loop: Header=BB178_51 Depth=1
	v_or_b32_e32 v3, 0x10000, v2
	v_cmp_eq_u32_sdwa s[0:1], v2, v23 src0_sel:WORD_0 src1_sel:DWORD
	s_nop 1
	v_cndmask_b32_e64 v84, v3, v2, s[0:1]
; %bb.166:                              ;   in Loop: Header=BB178_51 Depth=1
	s_or_b64 exec, exec, s[12:13]
	v_lshlrev_b32_e32 v2, 16, v31
	v_mul_f32_e32 v2, v71, v2
	v_and_b32_e32 v3, 0x7f800000, v2
	v_cmp_ne_u32_e64 s[0:1], s18, v3
                                        ; implicit-def: $vgpr85
	s_and_saveexec_b64 s[12:13], s[0:1]
	s_xor_b64 s[0:1], exec, s[12:13]
; %bb.167:                              ;   in Loop: Header=BB178_51 Depth=1
	v_bfe_u32 v3, v2, 16, 1
	v_add3_u32 v85, v2, v3, s20
                                        ; implicit-def: $vgpr2
; %bb.168:                              ;   in Loop: Header=BB178_51 Depth=1
	s_andn2_saveexec_b64 s[12:13], s[0:1]
; %bb.169:                              ;   in Loop: Header=BB178_51 Depth=1
	v_or_b32_e32 v3, 0x10000, v2
	v_cmp_eq_u32_sdwa s[0:1], v2, v23 src0_sel:WORD_0 src1_sel:DWORD
	s_nop 1
	v_cndmask_b32_e64 v85, v3, v2, s[0:1]
; %bb.170:                              ;   in Loop: Header=BB178_51 Depth=1
	s_or_b64 exec, exec, s[12:13]
	v_lshlrev_b32_e32 v2, 16, v4
	v_mul_f32_e32 v2, v73, v2
	v_and_b32_e32 v3, 0x7f800000, v2
	v_cmp_ne_u32_e64 s[0:1], s18, v3
                                        ; implicit-def: $vgpr86
	s_and_saveexec_b64 s[12:13], s[0:1]
	s_xor_b64 s[0:1], exec, s[12:13]
; %bb.171:                              ;   in Loop: Header=BB178_51 Depth=1
	v_bfe_u32 v3, v2, 16, 1
	v_add3_u32 v86, v2, v3, s20
                                        ; implicit-def: $vgpr2
; %bb.172:                              ;   in Loop: Header=BB178_51 Depth=1
	s_andn2_saveexec_b64 s[12:13], s[0:1]
; %bb.173:                              ;   in Loop: Header=BB178_51 Depth=1
	v_or_b32_e32 v3, 0x10000, v2
	v_cmp_eq_u32_sdwa s[0:1], v2, v23 src0_sel:WORD_0 src1_sel:DWORD
	s_nop 1
	v_cndmask_b32_e64 v86, v3, v2, s[0:1]
; %bb.174:                              ;   in Loop: Header=BB178_51 Depth=1
	s_or_b64 exec, exec, s[12:13]
	v_lshlrev_b32_e32 v2, 16, v29
	v_mul_f32_e32 v2, v74, v2
	v_and_b32_e32 v3, 0x7f800000, v2
	v_cmp_ne_u32_e64 s[0:1], s18, v3
                                        ; implicit-def: $vgpr87
	s_and_saveexec_b64 s[12:13], s[0:1]
	s_xor_b64 s[0:1], exec, s[12:13]
; %bb.175:                              ;   in Loop: Header=BB178_51 Depth=1
	v_bfe_u32 v3, v2, 16, 1
	v_add3_u32 v87, v2, v3, s20
                                        ; implicit-def: $vgpr2
; %bb.176:                              ;   in Loop: Header=BB178_51 Depth=1
	s_andn2_saveexec_b64 s[12:13], s[0:1]
; %bb.177:                              ;   in Loop: Header=BB178_51 Depth=1
	v_or_b32_e32 v3, 0x10000, v2
	v_cmp_eq_u32_sdwa s[0:1], v2, v23 src0_sel:WORD_0 src1_sel:DWORD
	s_nop 1
	v_cndmask_b32_e64 v87, v3, v2, s[0:1]
; %bb.178:                              ;   in Loop: Header=BB178_51 Depth=1
	s_or_b64 exec, exec, s[12:13]
	v_lshlrev_b32_e32 v2, 16, v5
	v_mul_f32_e32 v2, v75, v2
	v_and_b32_e32 v3, 0x7f800000, v2
	v_cmp_ne_u32_e64 s[0:1], s18, v3
                                        ; implicit-def: $vgpr88
	s_and_saveexec_b64 s[12:13], s[0:1]
	s_xor_b64 s[0:1], exec, s[12:13]
; %bb.179:                              ;   in Loop: Header=BB178_51 Depth=1
	v_bfe_u32 v3, v2, 16, 1
	v_add3_u32 v88, v2, v3, s20
                                        ; implicit-def: $vgpr2
; %bb.180:                              ;   in Loop: Header=BB178_51 Depth=1
	s_andn2_saveexec_b64 s[12:13], s[0:1]
; %bb.181:                              ;   in Loop: Header=BB178_51 Depth=1
	v_or_b32_e32 v3, 0x10000, v2
	v_cmp_eq_u32_sdwa s[0:1], v2, v23 src0_sel:WORD_0 src1_sel:DWORD
	s_nop 1
	v_cndmask_b32_e64 v88, v3, v2, s[0:1]
; %bb.182:                              ;   in Loop: Header=BB178_51 Depth=1
	s_or_b64 exec, exec, s[12:13]
	v_lshlrev_b32_e32 v0, 16, v0
	v_mul_f32_e32 v0, v76, v0
	v_and_b32_e32 v2, 0x7f800000, v0
	v_cmp_ne_u32_e64 s[0:1], s18, v2
                                        ; implicit-def: $vgpr89
	s_and_saveexec_b64 s[12:13], s[0:1]
	s_xor_b64 s[0:1], exec, s[12:13]
; %bb.183:                              ;   in Loop: Header=BB178_51 Depth=1
	v_bfe_u32 v2, v0, 16, 1
	v_add3_u32 v89, v0, v2, s20
                                        ; implicit-def: $vgpr0
; %bb.184:                              ;   in Loop: Header=BB178_51 Depth=1
	s_andn2_saveexec_b64 s[12:13], s[0:1]
; %bb.185:                              ;   in Loop: Header=BB178_51 Depth=1
	v_or_b32_e32 v2, 0x10000, v0
	v_cmp_eq_u32_sdwa s[0:1], v0, v23 src0_sel:WORD_0 src1_sel:DWORD
	s_nop 1
	v_cndmask_b32_e64 v89, v2, v0, s[0:1]
; %bb.186:                              ;   in Loop: Header=BB178_51 Depth=1
	s_or_b64 exec, exec, s[12:13]
	global_load_dwordx4 v[2:5], v[8:9], off offset:3072
	s_waitcnt vmcnt(0)
	v_lshrrev_b32_e32 v9, 16, v2
	v_lshrrev_b32_e32 v31, 16, v3
	v_lshrrev_b32_e32 v29, 16, v4
	v_lshrrev_b32_e32 v0, 16, v5
	s_and_saveexec_b64 s[12:13], vcc
	s_cbranch_execz .LBB178_188
; %bb.187:                              ;   in Loop: Header=BB178_51 Depth=1
	v_cmp_gt_i32_e64 s[0:1], s33, v59
	s_nop 1
	v_cndmask_b32_e64 v2, 0, v2, s[0:1]
	v_cmp_gt_i32_e64 s[0:1], s33, v67
	s_nop 1
	v_cndmask_b32_e64 v9, 0, v9, s[0:1]
	v_cmp_gt_i32_e64 s[0:1], s33, v66
	s_nop 1
	v_cndmask_b32_e64 v3, 0, v3, s[0:1]
	v_cmp_gt_i32_e64 s[0:1], s33, v64
	s_nop 1
	v_cndmask_b32_e64 v31, 0, v31, s[0:1]
	v_cmp_gt_i32_e64 s[0:1], s33, v63
	s_nop 1
	v_cndmask_b32_e64 v4, 0, v4, s[0:1]
	v_cmp_gt_i32_e64 s[0:1], s33, v62
	s_nop 1
	v_cndmask_b32_e64 v29, 0, v29, s[0:1]
	v_cmp_gt_i32_e64 s[0:1], s33, v61
	s_nop 1
	v_cndmask_b32_e64 v5, 0, v5, s[0:1]
	v_cmp_gt_i32_e64 s[0:1], s33, v65
	s_nop 1
	v_cndmask_b32_e64 v0, 0, v0, s[0:1]
.LBB178_188:                            ;   in Loop: Header=BB178_51 Depth=1
	s_or_b64 exec, exec, s[12:13]
	v_lshlrev_b32_e32 v2, 16, v2
	v_mul_f32_e32 v2, v68, v2
	v_and_b32_e32 v8, 0x7f800000, v2
	v_cmp_ne_u32_e64 s[0:1], s18, v8
                                        ; implicit-def: $vgpr8
	s_and_saveexec_b64 s[12:13], s[0:1]
	s_xor_b64 s[0:1], exec, s[12:13]
; %bb.189:                              ;   in Loop: Header=BB178_51 Depth=1
	v_bfe_u32 v8, v2, 16, 1
	v_add3_u32 v8, v2, v8, s20
                                        ; implicit-def: $vgpr2
; %bb.190:                              ;   in Loop: Header=BB178_51 Depth=1
	s_andn2_saveexec_b64 s[12:13], s[0:1]
; %bb.191:                              ;   in Loop: Header=BB178_51 Depth=1
	v_or_b32_e32 v8, 0x10000, v2
	v_cmp_eq_u32_sdwa s[0:1], v2, v23 src0_sel:WORD_0 src1_sel:DWORD
	s_nop 1
	v_cndmask_b32_e64 v8, v8, v2, s[0:1]
; %bb.192:                              ;   in Loop: Header=BB178_51 Depth=1
	s_or_b64 exec, exec, s[12:13]
	v_lshlrev_b32_e32 v2, 16, v9
	v_mul_f32_e32 v2, v69, v2
	v_and_b32_e32 v9, 0x7f800000, v2
	v_cmp_ne_u32_e64 s[0:1], s18, v9
                                        ; implicit-def: $vgpr9
	s_and_saveexec_b64 s[12:13], s[0:1]
	s_xor_b64 s[0:1], exec, s[12:13]
; %bb.193:                              ;   in Loop: Header=BB178_51 Depth=1
	v_bfe_u32 v9, v2, 16, 1
	v_add3_u32 v9, v2, v9, s20
                                        ; implicit-def: $vgpr2
; %bb.194:                              ;   in Loop: Header=BB178_51 Depth=1
	s_andn2_saveexec_b64 s[12:13], s[0:1]
; %bb.195:                              ;   in Loop: Header=BB178_51 Depth=1
	v_or_b32_e32 v9, 0x10000, v2
	v_cmp_eq_u32_sdwa s[0:1], v2, v23 src0_sel:WORD_0 src1_sel:DWORD
	s_nop 1
	v_cndmask_b32_e64 v9, v9, v2, s[0:1]
; %bb.196:                              ;   in Loop: Header=BB178_51 Depth=1
	s_or_b64 exec, exec, s[12:13]
	v_lshlrev_b32_e32 v2, 16, v3
	v_mul_f32_e32 v2, v70, v2
	v_and_b32_e32 v3, 0x7f800000, v2
	v_cmp_ne_u32_e64 s[0:1], s18, v3
                                        ; implicit-def: $vgpr90
	s_and_saveexec_b64 s[12:13], s[0:1]
	s_xor_b64 s[0:1], exec, s[12:13]
; %bb.197:                              ;   in Loop: Header=BB178_51 Depth=1
	v_bfe_u32 v3, v2, 16, 1
	v_add3_u32 v90, v2, v3, s20
                                        ; implicit-def: $vgpr2
; %bb.198:                              ;   in Loop: Header=BB178_51 Depth=1
	s_andn2_saveexec_b64 s[12:13], s[0:1]
; %bb.199:                              ;   in Loop: Header=BB178_51 Depth=1
	v_or_b32_e32 v3, 0x10000, v2
	v_cmp_eq_u32_sdwa s[0:1], v2, v23 src0_sel:WORD_0 src1_sel:DWORD
	s_nop 1
	v_cndmask_b32_e64 v90, v3, v2, s[0:1]
; %bb.200:                              ;   in Loop: Header=BB178_51 Depth=1
	s_or_b64 exec, exec, s[12:13]
	v_lshlrev_b32_e32 v2, 16, v31
	v_mul_f32_e32 v2, v71, v2
	v_and_b32_e32 v3, 0x7f800000, v2
	v_cmp_ne_u32_e64 s[0:1], s18, v3
                                        ; implicit-def: $vgpr91
	s_and_saveexec_b64 s[12:13], s[0:1]
	s_xor_b64 s[0:1], exec, s[12:13]
; %bb.201:                              ;   in Loop: Header=BB178_51 Depth=1
	v_bfe_u32 v3, v2, 16, 1
	v_add3_u32 v91, v2, v3, s20
                                        ; implicit-def: $vgpr2
; %bb.202:                              ;   in Loop: Header=BB178_51 Depth=1
	s_andn2_saveexec_b64 s[12:13], s[0:1]
; %bb.203:                              ;   in Loop: Header=BB178_51 Depth=1
	v_or_b32_e32 v3, 0x10000, v2
	v_cmp_eq_u32_sdwa s[0:1], v2, v23 src0_sel:WORD_0 src1_sel:DWORD
	s_nop 1
	v_cndmask_b32_e64 v91, v3, v2, s[0:1]
; %bb.204:                              ;   in Loop: Header=BB178_51 Depth=1
	s_or_b64 exec, exec, s[12:13]
	v_lshlrev_b32_e32 v2, 16, v4
	v_mul_f32_e32 v2, v73, v2
	v_and_b32_e32 v3, 0x7f800000, v2
	v_cmp_ne_u32_e64 s[0:1], s18, v3
                                        ; implicit-def: $vgpr92
	s_and_saveexec_b64 s[12:13], s[0:1]
	s_xor_b64 s[0:1], exec, s[12:13]
; %bb.205:                              ;   in Loop: Header=BB178_51 Depth=1
	v_bfe_u32 v3, v2, 16, 1
	v_add3_u32 v92, v2, v3, s20
                                        ; implicit-def: $vgpr2
; %bb.206:                              ;   in Loop: Header=BB178_51 Depth=1
	s_andn2_saveexec_b64 s[12:13], s[0:1]
; %bb.207:                              ;   in Loop: Header=BB178_51 Depth=1
	v_or_b32_e32 v3, 0x10000, v2
	v_cmp_eq_u32_sdwa s[0:1], v2, v23 src0_sel:WORD_0 src1_sel:DWORD
	s_nop 1
	v_cndmask_b32_e64 v92, v3, v2, s[0:1]
; %bb.208:                              ;   in Loop: Header=BB178_51 Depth=1
	s_or_b64 exec, exec, s[12:13]
	v_lshlrev_b32_e32 v2, 16, v29
	v_mul_f32_e32 v2, v74, v2
	v_and_b32_e32 v3, 0x7f800000, v2
	v_cmp_ne_u32_e64 s[0:1], s18, v3
                                        ; implicit-def: $vgpr93
	s_and_saveexec_b64 s[12:13], s[0:1]
	s_xor_b64 s[0:1], exec, s[12:13]
; %bb.209:                              ;   in Loop: Header=BB178_51 Depth=1
	v_bfe_u32 v3, v2, 16, 1
	v_add3_u32 v93, v2, v3, s20
                                        ; implicit-def: $vgpr2
; %bb.210:                              ;   in Loop: Header=BB178_51 Depth=1
	s_andn2_saveexec_b64 s[12:13], s[0:1]
; %bb.211:                              ;   in Loop: Header=BB178_51 Depth=1
	v_or_b32_e32 v3, 0x10000, v2
	v_cmp_eq_u32_sdwa s[0:1], v2, v23 src0_sel:WORD_0 src1_sel:DWORD
	s_nop 1
	v_cndmask_b32_e64 v93, v3, v2, s[0:1]
; %bb.212:                              ;   in Loop: Header=BB178_51 Depth=1
	s_or_b64 exec, exec, s[12:13]
	v_lshlrev_b32_e32 v2, 16, v5
	v_mul_f32_e32 v2, v75, v2
	v_and_b32_e32 v3, 0x7f800000, v2
	v_cmp_ne_u32_e64 s[0:1], s18, v3
                                        ; implicit-def: $vgpr94
	s_and_saveexec_b64 s[12:13], s[0:1]
	s_xor_b64 s[0:1], exec, s[12:13]
; %bb.213:                              ;   in Loop: Header=BB178_51 Depth=1
	v_bfe_u32 v3, v2, 16, 1
	v_add3_u32 v94, v2, v3, s20
                                        ; implicit-def: $vgpr2
; %bb.214:                              ;   in Loop: Header=BB178_51 Depth=1
	s_andn2_saveexec_b64 s[12:13], s[0:1]
; %bb.215:                              ;   in Loop: Header=BB178_51 Depth=1
	v_or_b32_e32 v3, 0x10000, v2
	v_cmp_eq_u32_sdwa s[0:1], v2, v23 src0_sel:WORD_0 src1_sel:DWORD
	s_nop 1
	v_cndmask_b32_e64 v94, v3, v2, s[0:1]
; %bb.216:                              ;   in Loop: Header=BB178_51 Depth=1
	s_or_b64 exec, exec, s[12:13]
	v_lshlrev_b32_e32 v0, 16, v0
	v_mul_f32_e32 v0, v76, v0
	v_and_b32_e32 v2, 0x7f800000, v0
	v_cmp_ne_u32_e64 s[0:1], s18, v2
                                        ; implicit-def: $vgpr95
	s_and_saveexec_b64 s[12:13], s[0:1]
	s_xor_b64 s[0:1], exec, s[12:13]
; %bb.217:                              ;   in Loop: Header=BB178_51 Depth=1
	v_bfe_u32 v2, v0, 16, 1
	v_add3_u32 v95, v0, v2, s20
                                        ; implicit-def: $vgpr0
; %bb.218:                              ;   in Loop: Header=BB178_51 Depth=1
	s_andn2_saveexec_b64 s[12:13], s[0:1]
; %bb.219:                              ;   in Loop: Header=BB178_51 Depth=1
	v_or_b32_e32 v2, 0x10000, v0
	v_cmp_eq_u32_sdwa s[0:1], v0, v23 src0_sel:WORD_0 src1_sel:DWORD
	s_nop 1
	v_cndmask_b32_e64 v95, v2, v0, s[0:1]
; %bb.220:                              ;   in Loop: Header=BB178_51 Depth=1
	s_or_b64 exec, exec, s[12:13]
	v_mov_b32_e32 v29, v23
	v_lshl_add_u64 v[2:3], v[6:7], 0, v[28:29]
	global_load_dwordx4 v[2:5], v[2:3], off
	s_waitcnt vmcnt(0)
	v_lshrrev_b32_e32 v35, 16, v2
	v_lshrrev_b32_e32 v33, 16, v3
	;; [unrolled: 1-line block ×4, first 2 shown]
	s_and_saveexec_b64 s[12:13], vcc
	s_cbranch_execz .LBB178_222
; %bb.221:                              ;   in Loop: Header=BB178_51 Depth=1
	v_cmp_gt_i32_e64 s[0:1], s33, v59
	s_nop 1
	v_cndmask_b32_e64 v2, 0, v2, s[0:1]
	v_cmp_gt_i32_e64 s[0:1], s33, v67
	s_nop 1
	v_cndmask_b32_e64 v35, 0, v35, s[0:1]
	;; [unrolled: 3-line block ×8, first 2 shown]
.LBB178_222:                            ;   in Loop: Header=BB178_51 Depth=1
	s_or_b64 exec, exec, s[12:13]
	v_lshlrev_b32_e32 v2, 16, v2
	v_mul_f32_e32 v2, v68, v2
	v_and_b32_e32 v29, 0x7f800000, v2
	v_cmp_ne_u32_e64 s[0:1], s18, v29
                                        ; implicit-def: $vgpr29
	s_and_saveexec_b64 s[12:13], s[0:1]
	s_xor_b64 s[0:1], exec, s[12:13]
; %bb.223:                              ;   in Loop: Header=BB178_51 Depth=1
	v_bfe_u32 v29, v2, 16, 1
	v_add3_u32 v29, v2, v29, s20
                                        ; implicit-def: $vgpr2
; %bb.224:                              ;   in Loop: Header=BB178_51 Depth=1
	s_andn2_saveexec_b64 s[12:13], s[0:1]
; %bb.225:                              ;   in Loop: Header=BB178_51 Depth=1
	v_or_b32_e32 v29, 0x10000, v2
	v_cmp_eq_u32_sdwa s[0:1], v2, v23 src0_sel:WORD_0 src1_sel:DWORD
	s_nop 1
	v_cndmask_b32_e64 v29, v29, v2, s[0:1]
; %bb.226:                              ;   in Loop: Header=BB178_51 Depth=1
	s_or_b64 exec, exec, s[12:13]
	v_lshlrev_b32_e32 v2, 16, v35
	v_mul_f32_e32 v2, v69, v2
	v_and_b32_e32 v35, 0x7f800000, v2
	v_cmp_ne_u32_e64 s[0:1], s18, v35
                                        ; implicit-def: $vgpr96
	s_and_saveexec_b64 s[12:13], s[0:1]
	s_xor_b64 s[0:1], exec, s[12:13]
; %bb.227:                              ;   in Loop: Header=BB178_51 Depth=1
	v_bfe_u32 v35, v2, 16, 1
	v_add3_u32 v96, v2, v35, s20
                                        ; implicit-def: $vgpr2
; %bb.228:                              ;   in Loop: Header=BB178_51 Depth=1
	s_andn2_saveexec_b64 s[12:13], s[0:1]
; %bb.229:                              ;   in Loop: Header=BB178_51 Depth=1
	v_or_b32_e32 v35, 0x10000, v2
	v_cmp_eq_u32_sdwa s[0:1], v2, v23 src0_sel:WORD_0 src1_sel:DWORD
	s_nop 1
	v_cndmask_b32_e64 v96, v35, v2, s[0:1]
; %bb.230:                              ;   in Loop: Header=BB178_51 Depth=1
	s_or_b64 exec, exec, s[12:13]
	v_lshlrev_b32_e32 v2, 16, v3
	v_mul_f32_e32 v2, v70, v2
	v_and_b32_e32 v3, 0x7f800000, v2
	v_cmp_ne_u32_e64 s[0:1], s18, v3
                                        ; implicit-def: $vgpr97
	s_and_saveexec_b64 s[12:13], s[0:1]
	s_xor_b64 s[0:1], exec, s[12:13]
; %bb.231:                              ;   in Loop: Header=BB178_51 Depth=1
	v_bfe_u32 v3, v2, 16, 1
	v_add3_u32 v97, v2, v3, s20
                                        ; implicit-def: $vgpr2
; %bb.232:                              ;   in Loop: Header=BB178_51 Depth=1
	s_andn2_saveexec_b64 s[12:13], s[0:1]
; %bb.233:                              ;   in Loop: Header=BB178_51 Depth=1
	v_or_b32_e32 v3, 0x10000, v2
	v_cmp_eq_u32_sdwa s[0:1], v2, v23 src0_sel:WORD_0 src1_sel:DWORD
	s_nop 1
	v_cndmask_b32_e64 v97, v3, v2, s[0:1]
; %bb.234:                              ;   in Loop: Header=BB178_51 Depth=1
	s_or_b64 exec, exec, s[12:13]
	v_lshlrev_b32_e32 v2, 16, v33
	v_mul_f32_e32 v2, v71, v2
	v_and_b32_e32 v3, 0x7f800000, v2
	v_cmp_ne_u32_e64 s[0:1], s18, v3
                                        ; implicit-def: $vgpr98
	s_and_saveexec_b64 s[12:13], s[0:1]
	s_xor_b64 s[0:1], exec, s[12:13]
; %bb.235:                              ;   in Loop: Header=BB178_51 Depth=1
	v_bfe_u32 v3, v2, 16, 1
	v_add3_u32 v98, v2, v3, s20
                                        ; implicit-def: $vgpr2
; %bb.236:                              ;   in Loop: Header=BB178_51 Depth=1
	s_andn2_saveexec_b64 s[12:13], s[0:1]
; %bb.237:                              ;   in Loop: Header=BB178_51 Depth=1
	v_or_b32_e32 v3, 0x10000, v2
	v_cmp_eq_u32_sdwa s[0:1], v2, v23 src0_sel:WORD_0 src1_sel:DWORD
	s_nop 1
	v_cndmask_b32_e64 v98, v3, v2, s[0:1]
; %bb.238:                              ;   in Loop: Header=BB178_51 Depth=1
	s_or_b64 exec, exec, s[12:13]
	v_lshlrev_b32_e32 v2, 16, v4
	v_mul_f32_e32 v2, v73, v2
	v_and_b32_e32 v3, 0x7f800000, v2
	v_cmp_ne_u32_e64 s[0:1], s18, v3
                                        ; implicit-def: $vgpr99
	s_and_saveexec_b64 s[12:13], s[0:1]
	s_xor_b64 s[0:1], exec, s[12:13]
; %bb.239:                              ;   in Loop: Header=BB178_51 Depth=1
	v_bfe_u32 v3, v2, 16, 1
	v_add3_u32 v99, v2, v3, s20
                                        ; implicit-def: $vgpr2
; %bb.240:                              ;   in Loop: Header=BB178_51 Depth=1
	s_andn2_saveexec_b64 s[12:13], s[0:1]
; %bb.241:                              ;   in Loop: Header=BB178_51 Depth=1
	v_or_b32_e32 v3, 0x10000, v2
	v_cmp_eq_u32_sdwa s[0:1], v2, v23 src0_sel:WORD_0 src1_sel:DWORD
	s_nop 1
	v_cndmask_b32_e64 v99, v3, v2, s[0:1]
; %bb.242:                              ;   in Loop: Header=BB178_51 Depth=1
	s_or_b64 exec, exec, s[12:13]
	v_lshlrev_b32_e32 v2, 16, v31
	v_mul_f32_e32 v2, v74, v2
	v_and_b32_e32 v3, 0x7f800000, v2
	v_cmp_ne_u32_e64 s[0:1], s18, v3
                                        ; implicit-def: $vgpr100
	s_and_saveexec_b64 s[12:13], s[0:1]
	s_xor_b64 s[0:1], exec, s[12:13]
; %bb.243:                              ;   in Loop: Header=BB178_51 Depth=1
	v_bfe_u32 v3, v2, 16, 1
	v_add3_u32 v100, v2, v3, s20
                                        ; implicit-def: $vgpr2
; %bb.244:                              ;   in Loop: Header=BB178_51 Depth=1
	s_andn2_saveexec_b64 s[12:13], s[0:1]
; %bb.245:                              ;   in Loop: Header=BB178_51 Depth=1
	v_or_b32_e32 v3, 0x10000, v2
	v_cmp_eq_u32_sdwa s[0:1], v2, v23 src0_sel:WORD_0 src1_sel:DWORD
	s_nop 1
	v_cndmask_b32_e64 v100, v3, v2, s[0:1]
; %bb.246:                              ;   in Loop: Header=BB178_51 Depth=1
	s_or_b64 exec, exec, s[12:13]
	v_lshlrev_b32_e32 v2, 16, v5
	v_mul_f32_e32 v2, v75, v2
	v_and_b32_e32 v3, 0x7f800000, v2
	v_cmp_ne_u32_e64 s[0:1], s18, v3
                                        ; implicit-def: $vgpr101
	s_and_saveexec_b64 s[12:13], s[0:1]
	s_xor_b64 s[0:1], exec, s[12:13]
; %bb.247:                              ;   in Loop: Header=BB178_51 Depth=1
	v_bfe_u32 v3, v2, 16, 1
	v_add3_u32 v101, v2, v3, s20
                                        ; implicit-def: $vgpr2
; %bb.248:                              ;   in Loop: Header=BB178_51 Depth=1
	s_andn2_saveexec_b64 s[12:13], s[0:1]
; %bb.249:                              ;   in Loop: Header=BB178_51 Depth=1
	v_or_b32_e32 v3, 0x10000, v2
	v_cmp_eq_u32_sdwa s[0:1], v2, v23 src0_sel:WORD_0 src1_sel:DWORD
	s_nop 1
	v_cndmask_b32_e64 v101, v3, v2, s[0:1]
; %bb.250:                              ;   in Loop: Header=BB178_51 Depth=1
	s_or_b64 exec, exec, s[12:13]
	v_lshlrev_b32_e32 v0, 16, v0
	v_mul_f32_e32 v0, v76, v0
	v_and_b32_e32 v2, 0x7f800000, v0
	v_cmp_ne_u32_e64 s[0:1], s18, v2
                                        ; implicit-def: $vgpr102
	s_and_saveexec_b64 s[12:13], s[0:1]
	s_xor_b64 s[0:1], exec, s[12:13]
; %bb.251:                              ;   in Loop: Header=BB178_51 Depth=1
	v_bfe_u32 v2, v0, 16, 1
	v_add3_u32 v102, v0, v2, s20
                                        ; implicit-def: $vgpr0
; %bb.252:                              ;   in Loop: Header=BB178_51 Depth=1
	s_andn2_saveexec_b64 s[12:13], s[0:1]
; %bb.253:                              ;   in Loop: Header=BB178_51 Depth=1
	v_or_b32_e32 v2, 0x10000, v0
	v_cmp_eq_u32_sdwa s[0:1], v0, v23 src0_sel:WORD_0 src1_sel:DWORD
	s_nop 1
	v_cndmask_b32_e64 v102, v2, v0, s[0:1]
; %bb.254:                              ;   in Loop: Header=BB178_51 Depth=1
	s_or_b64 exec, exec, s[12:13]
	v_mov_b32_e32 v31, v23
	v_lshl_add_u64 v[2:3], v[6:7], 0, v[30:31]
	global_load_dwordx4 v[2:5], v[2:3], off
	s_waitcnt vmcnt(0)
	v_lshrrev_b32_e32 v37, 16, v2
	v_lshrrev_b32_e32 v35, 16, v3
	v_lshrrev_b32_e32 v33, 16, v4
	v_lshrrev_b32_e32 v0, 16, v5
	s_and_saveexec_b64 s[12:13], vcc
	s_cbranch_execz .LBB178_256
; %bb.255:                              ;   in Loop: Header=BB178_51 Depth=1
	v_cmp_gt_i32_e64 s[0:1], s33, v59
	s_nop 1
	v_cndmask_b32_e64 v2, 0, v2, s[0:1]
	v_cmp_gt_i32_e64 s[0:1], s33, v67
	s_nop 1
	v_cndmask_b32_e64 v37, 0, v37, s[0:1]
	;; [unrolled: 3-line block ×8, first 2 shown]
.LBB178_256:                            ;   in Loop: Header=BB178_51 Depth=1
	s_or_b64 exec, exec, s[12:13]
	v_lshlrev_b32_e32 v2, 16, v2
	v_mul_f32_e32 v2, v68, v2
	v_and_b32_e32 v31, 0x7f800000, v2
	v_cmp_ne_u32_e64 s[0:1], s18, v31
                                        ; implicit-def: $vgpr31
	s_and_saveexec_b64 s[12:13], s[0:1]
	s_xor_b64 s[0:1], exec, s[12:13]
; %bb.257:                              ;   in Loop: Header=BB178_51 Depth=1
	v_bfe_u32 v31, v2, 16, 1
	v_add3_u32 v31, v2, v31, s20
                                        ; implicit-def: $vgpr2
; %bb.258:                              ;   in Loop: Header=BB178_51 Depth=1
	s_andn2_saveexec_b64 s[12:13], s[0:1]
; %bb.259:                              ;   in Loop: Header=BB178_51 Depth=1
	v_or_b32_e32 v31, 0x10000, v2
	v_cmp_eq_u32_sdwa s[0:1], v2, v23 src0_sel:WORD_0 src1_sel:DWORD
	s_nop 1
	v_cndmask_b32_e64 v31, v31, v2, s[0:1]
; %bb.260:                              ;   in Loop: Header=BB178_51 Depth=1
	s_or_b64 exec, exec, s[12:13]
	v_lshlrev_b32_e32 v2, 16, v37
	v_mul_f32_e32 v2, v69, v2
	v_and_b32_e32 v37, 0x7f800000, v2
	v_cmp_ne_u32_e64 s[0:1], s18, v37
                                        ; implicit-def: $vgpr103
	s_and_saveexec_b64 s[12:13], s[0:1]
	s_xor_b64 s[0:1], exec, s[12:13]
; %bb.261:                              ;   in Loop: Header=BB178_51 Depth=1
	v_bfe_u32 v37, v2, 16, 1
	v_add3_u32 v103, v2, v37, s20
                                        ; implicit-def: $vgpr2
; %bb.262:                              ;   in Loop: Header=BB178_51 Depth=1
	s_andn2_saveexec_b64 s[12:13], s[0:1]
; %bb.263:                              ;   in Loop: Header=BB178_51 Depth=1
	v_or_b32_e32 v37, 0x10000, v2
	v_cmp_eq_u32_sdwa s[0:1], v2, v23 src0_sel:WORD_0 src1_sel:DWORD
	s_nop 1
	v_cndmask_b32_e64 v103, v37, v2, s[0:1]
; %bb.264:                              ;   in Loop: Header=BB178_51 Depth=1
	s_or_b64 exec, exec, s[12:13]
	v_lshlrev_b32_e32 v2, 16, v3
	v_mul_f32_e32 v2, v70, v2
	v_and_b32_e32 v3, 0x7f800000, v2
	v_cmp_ne_u32_e64 s[0:1], s18, v3
                                        ; implicit-def: $vgpr104
	s_and_saveexec_b64 s[12:13], s[0:1]
	s_xor_b64 s[0:1], exec, s[12:13]
; %bb.265:                              ;   in Loop: Header=BB178_51 Depth=1
	v_bfe_u32 v3, v2, 16, 1
	v_add3_u32 v104, v2, v3, s20
                                        ; implicit-def: $vgpr2
; %bb.266:                              ;   in Loop: Header=BB178_51 Depth=1
	s_andn2_saveexec_b64 s[12:13], s[0:1]
; %bb.267:                              ;   in Loop: Header=BB178_51 Depth=1
	v_or_b32_e32 v3, 0x10000, v2
	v_cmp_eq_u32_sdwa s[0:1], v2, v23 src0_sel:WORD_0 src1_sel:DWORD
	s_nop 1
	v_cndmask_b32_e64 v104, v3, v2, s[0:1]
; %bb.268:                              ;   in Loop: Header=BB178_51 Depth=1
	s_or_b64 exec, exec, s[12:13]
	v_lshlrev_b32_e32 v2, 16, v35
	v_mul_f32_e32 v2, v71, v2
	v_and_b32_e32 v3, 0x7f800000, v2
	v_cmp_ne_u32_e64 s[0:1], s18, v3
                                        ; implicit-def: $vgpr105
	s_and_saveexec_b64 s[12:13], s[0:1]
	s_xor_b64 s[0:1], exec, s[12:13]
; %bb.269:                              ;   in Loop: Header=BB178_51 Depth=1
	v_bfe_u32 v3, v2, 16, 1
	v_add3_u32 v105, v2, v3, s20
                                        ; implicit-def: $vgpr2
; %bb.270:                              ;   in Loop: Header=BB178_51 Depth=1
	s_andn2_saveexec_b64 s[12:13], s[0:1]
; %bb.271:                              ;   in Loop: Header=BB178_51 Depth=1
	v_or_b32_e32 v3, 0x10000, v2
	v_cmp_eq_u32_sdwa s[0:1], v2, v23 src0_sel:WORD_0 src1_sel:DWORD
	s_nop 1
	v_cndmask_b32_e64 v105, v3, v2, s[0:1]
; %bb.272:                              ;   in Loop: Header=BB178_51 Depth=1
	s_or_b64 exec, exec, s[12:13]
	v_lshlrev_b32_e32 v2, 16, v4
	v_mul_f32_e32 v2, v73, v2
	v_and_b32_e32 v3, 0x7f800000, v2
	v_cmp_ne_u32_e64 s[0:1], s18, v3
                                        ; implicit-def: $vgpr106
	s_and_saveexec_b64 s[12:13], s[0:1]
	s_xor_b64 s[0:1], exec, s[12:13]
; %bb.273:                              ;   in Loop: Header=BB178_51 Depth=1
	v_bfe_u32 v3, v2, 16, 1
	v_add3_u32 v106, v2, v3, s20
                                        ; implicit-def: $vgpr2
; %bb.274:                              ;   in Loop: Header=BB178_51 Depth=1
	s_andn2_saveexec_b64 s[12:13], s[0:1]
; %bb.275:                              ;   in Loop: Header=BB178_51 Depth=1
	v_or_b32_e32 v3, 0x10000, v2
	v_cmp_eq_u32_sdwa s[0:1], v2, v23 src0_sel:WORD_0 src1_sel:DWORD
	s_nop 1
	v_cndmask_b32_e64 v106, v3, v2, s[0:1]
; %bb.276:                              ;   in Loop: Header=BB178_51 Depth=1
	s_or_b64 exec, exec, s[12:13]
	v_lshlrev_b32_e32 v2, 16, v33
	v_mul_f32_e32 v2, v74, v2
	v_and_b32_e32 v3, 0x7f800000, v2
	v_cmp_ne_u32_e64 s[0:1], s18, v3
                                        ; implicit-def: $vgpr107
	s_and_saveexec_b64 s[12:13], s[0:1]
	s_xor_b64 s[0:1], exec, s[12:13]
; %bb.277:                              ;   in Loop: Header=BB178_51 Depth=1
	v_bfe_u32 v3, v2, 16, 1
	v_add3_u32 v107, v2, v3, s20
                                        ; implicit-def: $vgpr2
; %bb.278:                              ;   in Loop: Header=BB178_51 Depth=1
	s_andn2_saveexec_b64 s[12:13], s[0:1]
; %bb.279:                              ;   in Loop: Header=BB178_51 Depth=1
	v_or_b32_e32 v3, 0x10000, v2
	v_cmp_eq_u32_sdwa s[0:1], v2, v23 src0_sel:WORD_0 src1_sel:DWORD
	s_nop 1
	v_cndmask_b32_e64 v107, v3, v2, s[0:1]
; %bb.280:                              ;   in Loop: Header=BB178_51 Depth=1
	s_or_b64 exec, exec, s[12:13]
	v_lshlrev_b32_e32 v2, 16, v5
	v_mul_f32_e32 v2, v75, v2
	v_and_b32_e32 v3, 0x7f800000, v2
	v_cmp_ne_u32_e64 s[0:1], s18, v3
                                        ; implicit-def: $vgpr108
	s_and_saveexec_b64 s[12:13], s[0:1]
	s_xor_b64 s[0:1], exec, s[12:13]
; %bb.281:                              ;   in Loop: Header=BB178_51 Depth=1
	v_bfe_u32 v3, v2, 16, 1
	v_add3_u32 v108, v2, v3, s20
                                        ; implicit-def: $vgpr2
; %bb.282:                              ;   in Loop: Header=BB178_51 Depth=1
	s_andn2_saveexec_b64 s[12:13], s[0:1]
; %bb.283:                              ;   in Loop: Header=BB178_51 Depth=1
	v_or_b32_e32 v3, 0x10000, v2
	v_cmp_eq_u32_sdwa s[0:1], v2, v23 src0_sel:WORD_0 src1_sel:DWORD
	s_nop 1
	v_cndmask_b32_e64 v108, v3, v2, s[0:1]
; %bb.284:                              ;   in Loop: Header=BB178_51 Depth=1
	s_or_b64 exec, exec, s[12:13]
	v_lshlrev_b32_e32 v0, 16, v0
	v_mul_f32_e32 v0, v76, v0
	v_and_b32_e32 v2, 0x7f800000, v0
	v_cmp_ne_u32_e64 s[0:1], s18, v2
                                        ; implicit-def: $vgpr109
	s_and_saveexec_b64 s[12:13], s[0:1]
	s_xor_b64 s[0:1], exec, s[12:13]
; %bb.285:                              ;   in Loop: Header=BB178_51 Depth=1
	v_bfe_u32 v2, v0, 16, 1
	v_add3_u32 v109, v0, v2, s20
                                        ; implicit-def: $vgpr0
; %bb.286:                              ;   in Loop: Header=BB178_51 Depth=1
	s_andn2_saveexec_b64 s[12:13], s[0:1]
; %bb.287:                              ;   in Loop: Header=BB178_51 Depth=1
	v_or_b32_e32 v2, 0x10000, v0
	v_cmp_eq_u32_sdwa s[0:1], v0, v23 src0_sel:WORD_0 src1_sel:DWORD
	s_nop 1
	v_cndmask_b32_e64 v109, v2, v0, s[0:1]
; %bb.288:                              ;   in Loop: Header=BB178_51 Depth=1
	s_or_b64 exec, exec, s[12:13]
	v_mov_b32_e32 v33, v23
	v_lshl_add_u64 v[2:3], v[6:7], 0, v[32:33]
	global_load_dwordx4 v[2:5], v[2:3], off
	s_waitcnt vmcnt(0)
	v_lshrrev_b32_e32 v39, 16, v2
	v_lshrrev_b32_e32 v37, 16, v3
	v_lshrrev_b32_e32 v35, 16, v4
	v_lshrrev_b32_e32 v0, 16, v5
	s_and_saveexec_b64 s[12:13], vcc
	s_cbranch_execz .LBB178_290
; %bb.289:                              ;   in Loop: Header=BB178_51 Depth=1
	v_cmp_gt_i32_e64 s[0:1], s33, v59
	s_nop 1
	v_cndmask_b32_e64 v2, 0, v2, s[0:1]
	v_cmp_gt_i32_e64 s[0:1], s33, v67
	s_nop 1
	v_cndmask_b32_e64 v39, 0, v39, s[0:1]
	;; [unrolled: 3-line block ×8, first 2 shown]
.LBB178_290:                            ;   in Loop: Header=BB178_51 Depth=1
	s_or_b64 exec, exec, s[12:13]
	v_lshlrev_b32_e32 v2, 16, v2
	v_mul_f32_e32 v2, v68, v2
	v_and_b32_e32 v33, 0x7f800000, v2
	v_cmp_ne_u32_e64 s[0:1], s18, v33
                                        ; implicit-def: $vgpr33
	s_and_saveexec_b64 s[12:13], s[0:1]
	s_xor_b64 s[0:1], exec, s[12:13]
; %bb.291:                              ;   in Loop: Header=BB178_51 Depth=1
	v_bfe_u32 v33, v2, 16, 1
	v_add3_u32 v33, v2, v33, s20
                                        ; implicit-def: $vgpr2
; %bb.292:                              ;   in Loop: Header=BB178_51 Depth=1
	s_andn2_saveexec_b64 s[12:13], s[0:1]
; %bb.293:                              ;   in Loop: Header=BB178_51 Depth=1
	v_or_b32_e32 v33, 0x10000, v2
	v_cmp_eq_u32_sdwa s[0:1], v2, v23 src0_sel:WORD_0 src1_sel:DWORD
	s_nop 1
	v_cndmask_b32_e64 v33, v33, v2, s[0:1]
; %bb.294:                              ;   in Loop: Header=BB178_51 Depth=1
	s_or_b64 exec, exec, s[12:13]
	v_lshlrev_b32_e32 v2, 16, v39
	v_mul_f32_e32 v2, v69, v2
	v_and_b32_e32 v39, 0x7f800000, v2
	v_cmp_ne_u32_e64 s[0:1], s18, v39
                                        ; implicit-def: $vgpr110
	s_and_saveexec_b64 s[12:13], s[0:1]
	s_xor_b64 s[0:1], exec, s[12:13]
; %bb.295:                              ;   in Loop: Header=BB178_51 Depth=1
	v_bfe_u32 v39, v2, 16, 1
	v_add3_u32 v110, v2, v39, s20
                                        ; implicit-def: $vgpr2
; %bb.296:                              ;   in Loop: Header=BB178_51 Depth=1
	s_andn2_saveexec_b64 s[12:13], s[0:1]
; %bb.297:                              ;   in Loop: Header=BB178_51 Depth=1
	v_or_b32_e32 v39, 0x10000, v2
	v_cmp_eq_u32_sdwa s[0:1], v2, v23 src0_sel:WORD_0 src1_sel:DWORD
	s_nop 1
	v_cndmask_b32_e64 v110, v39, v2, s[0:1]
; %bb.298:                              ;   in Loop: Header=BB178_51 Depth=1
	s_or_b64 exec, exec, s[12:13]
	v_lshlrev_b32_e32 v2, 16, v3
	v_mul_f32_e32 v2, v70, v2
	v_and_b32_e32 v3, 0x7f800000, v2
	v_cmp_ne_u32_e64 s[0:1], s18, v3
                                        ; implicit-def: $vgpr111
	s_and_saveexec_b64 s[12:13], s[0:1]
	s_xor_b64 s[0:1], exec, s[12:13]
; %bb.299:                              ;   in Loop: Header=BB178_51 Depth=1
	v_bfe_u32 v3, v2, 16, 1
	v_add3_u32 v111, v2, v3, s20
                                        ; implicit-def: $vgpr2
; %bb.300:                              ;   in Loop: Header=BB178_51 Depth=1
	s_andn2_saveexec_b64 s[12:13], s[0:1]
; %bb.301:                              ;   in Loop: Header=BB178_51 Depth=1
	v_or_b32_e32 v3, 0x10000, v2
	v_cmp_eq_u32_sdwa s[0:1], v2, v23 src0_sel:WORD_0 src1_sel:DWORD
	s_nop 1
	v_cndmask_b32_e64 v111, v3, v2, s[0:1]
; %bb.302:                              ;   in Loop: Header=BB178_51 Depth=1
	s_or_b64 exec, exec, s[12:13]
	v_lshlrev_b32_e32 v2, 16, v37
	v_mul_f32_e32 v2, v71, v2
	v_and_b32_e32 v3, 0x7f800000, v2
	v_cmp_ne_u32_e64 s[0:1], s18, v3
                                        ; implicit-def: $vgpr112
	s_and_saveexec_b64 s[12:13], s[0:1]
	s_xor_b64 s[0:1], exec, s[12:13]
; %bb.303:                              ;   in Loop: Header=BB178_51 Depth=1
	v_bfe_u32 v3, v2, 16, 1
	v_add3_u32 v112, v2, v3, s20
                                        ; implicit-def: $vgpr2
; %bb.304:                              ;   in Loop: Header=BB178_51 Depth=1
	s_andn2_saveexec_b64 s[12:13], s[0:1]
; %bb.305:                              ;   in Loop: Header=BB178_51 Depth=1
	v_or_b32_e32 v3, 0x10000, v2
	v_cmp_eq_u32_sdwa s[0:1], v2, v23 src0_sel:WORD_0 src1_sel:DWORD
	s_nop 1
	v_cndmask_b32_e64 v112, v3, v2, s[0:1]
; %bb.306:                              ;   in Loop: Header=BB178_51 Depth=1
	s_or_b64 exec, exec, s[12:13]
	v_lshlrev_b32_e32 v2, 16, v4
	v_mul_f32_e32 v2, v73, v2
	v_and_b32_e32 v3, 0x7f800000, v2
	v_cmp_ne_u32_e64 s[0:1], s18, v3
                                        ; implicit-def: $vgpr113
	s_and_saveexec_b64 s[12:13], s[0:1]
	s_xor_b64 s[0:1], exec, s[12:13]
; %bb.307:                              ;   in Loop: Header=BB178_51 Depth=1
	v_bfe_u32 v3, v2, 16, 1
	v_add3_u32 v113, v2, v3, s20
                                        ; implicit-def: $vgpr2
; %bb.308:                              ;   in Loop: Header=BB178_51 Depth=1
	s_andn2_saveexec_b64 s[12:13], s[0:1]
; %bb.309:                              ;   in Loop: Header=BB178_51 Depth=1
	v_or_b32_e32 v3, 0x10000, v2
	v_cmp_eq_u32_sdwa s[0:1], v2, v23 src0_sel:WORD_0 src1_sel:DWORD
	s_nop 1
	v_cndmask_b32_e64 v113, v3, v2, s[0:1]
; %bb.310:                              ;   in Loop: Header=BB178_51 Depth=1
	s_or_b64 exec, exec, s[12:13]
	v_lshlrev_b32_e32 v2, 16, v35
	v_mul_f32_e32 v2, v74, v2
	v_and_b32_e32 v3, 0x7f800000, v2
	v_cmp_ne_u32_e64 s[0:1], s18, v3
                                        ; implicit-def: $vgpr114
	s_and_saveexec_b64 s[12:13], s[0:1]
	s_xor_b64 s[0:1], exec, s[12:13]
; %bb.311:                              ;   in Loop: Header=BB178_51 Depth=1
	v_bfe_u32 v3, v2, 16, 1
	v_add3_u32 v114, v2, v3, s20
                                        ; implicit-def: $vgpr2
; %bb.312:                              ;   in Loop: Header=BB178_51 Depth=1
	s_andn2_saveexec_b64 s[12:13], s[0:1]
; %bb.313:                              ;   in Loop: Header=BB178_51 Depth=1
	v_or_b32_e32 v3, 0x10000, v2
	v_cmp_eq_u32_sdwa s[0:1], v2, v23 src0_sel:WORD_0 src1_sel:DWORD
	s_nop 1
	v_cndmask_b32_e64 v114, v3, v2, s[0:1]
; %bb.314:                              ;   in Loop: Header=BB178_51 Depth=1
	s_or_b64 exec, exec, s[12:13]
	v_lshlrev_b32_e32 v2, 16, v5
	v_mul_f32_e32 v2, v75, v2
	v_and_b32_e32 v3, 0x7f800000, v2
	v_cmp_ne_u32_e64 s[0:1], s18, v3
                                        ; implicit-def: $vgpr115
	s_and_saveexec_b64 s[12:13], s[0:1]
	s_xor_b64 s[0:1], exec, s[12:13]
; %bb.315:                              ;   in Loop: Header=BB178_51 Depth=1
	v_bfe_u32 v3, v2, 16, 1
	v_add3_u32 v115, v2, v3, s20
                                        ; implicit-def: $vgpr2
; %bb.316:                              ;   in Loop: Header=BB178_51 Depth=1
	s_andn2_saveexec_b64 s[12:13], s[0:1]
; %bb.317:                              ;   in Loop: Header=BB178_51 Depth=1
	v_or_b32_e32 v3, 0x10000, v2
	v_cmp_eq_u32_sdwa s[0:1], v2, v23 src0_sel:WORD_0 src1_sel:DWORD
	s_nop 1
	v_cndmask_b32_e64 v115, v3, v2, s[0:1]
; %bb.318:                              ;   in Loop: Header=BB178_51 Depth=1
	s_or_b64 exec, exec, s[12:13]
	v_lshlrev_b32_e32 v0, 16, v0
	v_mul_f32_e32 v0, v76, v0
	v_and_b32_e32 v2, 0x7f800000, v0
	v_cmp_ne_u32_e64 s[0:1], s18, v2
                                        ; implicit-def: $vgpr116
	s_and_saveexec_b64 s[12:13], s[0:1]
	s_xor_b64 s[0:1], exec, s[12:13]
; %bb.319:                              ;   in Loop: Header=BB178_51 Depth=1
	v_bfe_u32 v2, v0, 16, 1
	v_add3_u32 v116, v0, v2, s20
                                        ; implicit-def: $vgpr0
; %bb.320:                              ;   in Loop: Header=BB178_51 Depth=1
	s_andn2_saveexec_b64 s[12:13], s[0:1]
; %bb.321:                              ;   in Loop: Header=BB178_51 Depth=1
	v_or_b32_e32 v2, 0x10000, v0
	v_cmp_eq_u32_sdwa s[0:1], v0, v23 src0_sel:WORD_0 src1_sel:DWORD
	s_nop 1
	v_cndmask_b32_e64 v116, v2, v0, s[0:1]
; %bb.322:                              ;   in Loop: Header=BB178_51 Depth=1
	s_or_b64 exec, exec, s[12:13]
	v_mov_b32_e32 v35, v23
	v_lshl_add_u64 v[2:3], v[6:7], 0, v[34:35]
	global_load_dwordx4 v[2:5], v[2:3], off
	s_waitcnt vmcnt(0)
	v_lshrrev_b32_e32 v41, 16, v2
	v_lshrrev_b32_e32 v39, 16, v3
	;; [unrolled: 1-line block ×4, first 2 shown]
	s_and_saveexec_b64 s[12:13], vcc
	s_cbranch_execz .LBB178_324
; %bb.323:                              ;   in Loop: Header=BB178_51 Depth=1
	v_cmp_gt_i32_e64 s[0:1], s33, v59
	s_nop 1
	v_cndmask_b32_e64 v2, 0, v2, s[0:1]
	v_cmp_gt_i32_e64 s[0:1], s33, v67
	s_nop 1
	v_cndmask_b32_e64 v41, 0, v41, s[0:1]
	v_cmp_gt_i32_e64 s[0:1], s33, v66
	s_nop 1
	v_cndmask_b32_e64 v3, 0, v3, s[0:1]
	v_cmp_gt_i32_e64 s[0:1], s33, v64
	s_nop 1
	v_cndmask_b32_e64 v39, 0, v39, s[0:1]
	v_cmp_gt_i32_e64 s[0:1], s33, v63
	s_nop 1
	v_cndmask_b32_e64 v4, 0, v4, s[0:1]
	v_cmp_gt_i32_e64 s[0:1], s33, v62
	s_nop 1
	v_cndmask_b32_e64 v37, 0, v37, s[0:1]
	v_cmp_gt_i32_e64 s[0:1], s33, v61
	s_nop 1
	v_cndmask_b32_e64 v5, 0, v5, s[0:1]
	v_cmp_gt_i32_e64 s[0:1], s33, v65
	s_nop 1
	v_cndmask_b32_e64 v0, 0, v0, s[0:1]
.LBB178_324:                            ;   in Loop: Header=BB178_51 Depth=1
	s_or_b64 exec, exec, s[12:13]
	v_lshlrev_b32_e32 v2, 16, v2
	v_mul_f32_e32 v2, v68, v2
	v_and_b32_e32 v35, 0x7f800000, v2
	v_cmp_ne_u32_e64 s[0:1], s18, v35
                                        ; implicit-def: $vgpr35
	s_and_saveexec_b64 s[12:13], s[0:1]
	s_xor_b64 s[0:1], exec, s[12:13]
; %bb.325:                              ;   in Loop: Header=BB178_51 Depth=1
	v_bfe_u32 v35, v2, 16, 1
	v_add3_u32 v35, v2, v35, s20
                                        ; implicit-def: $vgpr2
; %bb.326:                              ;   in Loop: Header=BB178_51 Depth=1
	s_andn2_saveexec_b64 s[12:13], s[0:1]
; %bb.327:                              ;   in Loop: Header=BB178_51 Depth=1
	v_or_b32_e32 v35, 0x10000, v2
	v_cmp_eq_u32_sdwa s[0:1], v2, v23 src0_sel:WORD_0 src1_sel:DWORD
	s_nop 1
	v_cndmask_b32_e64 v35, v35, v2, s[0:1]
; %bb.328:                              ;   in Loop: Header=BB178_51 Depth=1
	s_or_b64 exec, exec, s[12:13]
	v_lshlrev_b32_e32 v2, 16, v41
	v_mul_f32_e32 v2, v69, v2
	v_and_b32_e32 v41, 0x7f800000, v2
	v_cmp_ne_u32_e64 s[0:1], s18, v41
                                        ; implicit-def: $vgpr117
	s_and_saveexec_b64 s[12:13], s[0:1]
	s_xor_b64 s[0:1], exec, s[12:13]
; %bb.329:                              ;   in Loop: Header=BB178_51 Depth=1
	v_bfe_u32 v41, v2, 16, 1
	v_add3_u32 v117, v2, v41, s20
                                        ; implicit-def: $vgpr2
; %bb.330:                              ;   in Loop: Header=BB178_51 Depth=1
	s_andn2_saveexec_b64 s[12:13], s[0:1]
; %bb.331:                              ;   in Loop: Header=BB178_51 Depth=1
	v_or_b32_e32 v41, 0x10000, v2
	v_cmp_eq_u32_sdwa s[0:1], v2, v23 src0_sel:WORD_0 src1_sel:DWORD
	s_nop 1
	v_cndmask_b32_e64 v117, v41, v2, s[0:1]
; %bb.332:                              ;   in Loop: Header=BB178_51 Depth=1
	s_or_b64 exec, exec, s[12:13]
	v_lshlrev_b32_e32 v2, 16, v3
	v_mul_f32_e32 v2, v70, v2
	v_and_b32_e32 v3, 0x7f800000, v2
	v_cmp_ne_u32_e64 s[0:1], s18, v3
                                        ; implicit-def: $vgpr118
	s_and_saveexec_b64 s[12:13], s[0:1]
	s_xor_b64 s[0:1], exec, s[12:13]
; %bb.333:                              ;   in Loop: Header=BB178_51 Depth=1
	v_bfe_u32 v3, v2, 16, 1
	v_add3_u32 v118, v2, v3, s20
                                        ; implicit-def: $vgpr2
; %bb.334:                              ;   in Loop: Header=BB178_51 Depth=1
	s_andn2_saveexec_b64 s[12:13], s[0:1]
; %bb.335:                              ;   in Loop: Header=BB178_51 Depth=1
	v_or_b32_e32 v3, 0x10000, v2
	v_cmp_eq_u32_sdwa s[0:1], v2, v23 src0_sel:WORD_0 src1_sel:DWORD
	s_nop 1
	v_cndmask_b32_e64 v118, v3, v2, s[0:1]
; %bb.336:                              ;   in Loop: Header=BB178_51 Depth=1
	s_or_b64 exec, exec, s[12:13]
	v_lshlrev_b32_e32 v2, 16, v39
	v_mul_f32_e32 v2, v71, v2
	v_and_b32_e32 v3, 0x7f800000, v2
	v_cmp_ne_u32_e64 s[0:1], s18, v3
                                        ; implicit-def: $vgpr119
	s_and_saveexec_b64 s[12:13], s[0:1]
	s_xor_b64 s[0:1], exec, s[12:13]
; %bb.337:                              ;   in Loop: Header=BB178_51 Depth=1
	v_bfe_u32 v3, v2, 16, 1
	v_add3_u32 v119, v2, v3, s20
                                        ; implicit-def: $vgpr2
; %bb.338:                              ;   in Loop: Header=BB178_51 Depth=1
	s_andn2_saveexec_b64 s[12:13], s[0:1]
; %bb.339:                              ;   in Loop: Header=BB178_51 Depth=1
	v_or_b32_e32 v3, 0x10000, v2
	v_cmp_eq_u32_sdwa s[0:1], v2, v23 src0_sel:WORD_0 src1_sel:DWORD
	s_nop 1
	v_cndmask_b32_e64 v119, v3, v2, s[0:1]
; %bb.340:                              ;   in Loop: Header=BB178_51 Depth=1
	s_or_b64 exec, exec, s[12:13]
	v_lshlrev_b32_e32 v2, 16, v4
	v_mul_f32_e32 v2, v73, v2
	v_and_b32_e32 v3, 0x7f800000, v2
	v_cmp_ne_u32_e64 s[0:1], s18, v3
                                        ; implicit-def: $vgpr120
	s_and_saveexec_b64 s[12:13], s[0:1]
	s_xor_b64 s[0:1], exec, s[12:13]
; %bb.341:                              ;   in Loop: Header=BB178_51 Depth=1
	v_bfe_u32 v3, v2, 16, 1
	v_add3_u32 v120, v2, v3, s20
                                        ; implicit-def: $vgpr2
; %bb.342:                              ;   in Loop: Header=BB178_51 Depth=1
	s_andn2_saveexec_b64 s[12:13], s[0:1]
; %bb.343:                              ;   in Loop: Header=BB178_51 Depth=1
	v_or_b32_e32 v3, 0x10000, v2
	v_cmp_eq_u32_sdwa s[0:1], v2, v23 src0_sel:WORD_0 src1_sel:DWORD
	s_nop 1
	v_cndmask_b32_e64 v120, v3, v2, s[0:1]
; %bb.344:                              ;   in Loop: Header=BB178_51 Depth=1
	s_or_b64 exec, exec, s[12:13]
	v_lshlrev_b32_e32 v2, 16, v37
	v_mul_f32_e32 v2, v74, v2
	v_and_b32_e32 v3, 0x7f800000, v2
	v_cmp_ne_u32_e64 s[0:1], s18, v3
                                        ; implicit-def: $vgpr121
	s_and_saveexec_b64 s[12:13], s[0:1]
	s_xor_b64 s[0:1], exec, s[12:13]
; %bb.345:                              ;   in Loop: Header=BB178_51 Depth=1
	v_bfe_u32 v3, v2, 16, 1
	v_add3_u32 v121, v2, v3, s20
                                        ; implicit-def: $vgpr2
; %bb.346:                              ;   in Loop: Header=BB178_51 Depth=1
	s_andn2_saveexec_b64 s[12:13], s[0:1]
; %bb.347:                              ;   in Loop: Header=BB178_51 Depth=1
	v_or_b32_e32 v3, 0x10000, v2
	v_cmp_eq_u32_sdwa s[0:1], v2, v23 src0_sel:WORD_0 src1_sel:DWORD
	s_nop 1
	v_cndmask_b32_e64 v121, v3, v2, s[0:1]
; %bb.348:                              ;   in Loop: Header=BB178_51 Depth=1
	s_or_b64 exec, exec, s[12:13]
	v_lshlrev_b32_e32 v2, 16, v5
	v_mul_f32_e32 v2, v75, v2
	v_and_b32_e32 v3, 0x7f800000, v2
	v_cmp_ne_u32_e64 s[0:1], s18, v3
                                        ; implicit-def: $vgpr122
	s_and_saveexec_b64 s[12:13], s[0:1]
	s_xor_b64 s[0:1], exec, s[12:13]
; %bb.349:                              ;   in Loop: Header=BB178_51 Depth=1
	v_bfe_u32 v3, v2, 16, 1
	v_add3_u32 v122, v2, v3, s20
                                        ; implicit-def: $vgpr2
; %bb.350:                              ;   in Loop: Header=BB178_51 Depth=1
	s_andn2_saveexec_b64 s[12:13], s[0:1]
; %bb.351:                              ;   in Loop: Header=BB178_51 Depth=1
	v_or_b32_e32 v3, 0x10000, v2
	v_cmp_eq_u32_sdwa s[0:1], v2, v23 src0_sel:WORD_0 src1_sel:DWORD
	s_nop 1
	v_cndmask_b32_e64 v122, v3, v2, s[0:1]
; %bb.352:                              ;   in Loop: Header=BB178_51 Depth=1
	s_or_b64 exec, exec, s[12:13]
	v_lshlrev_b32_e32 v0, 16, v0
	v_mul_f32_e32 v0, v76, v0
	v_and_b32_e32 v2, 0x7f800000, v0
	v_cmp_ne_u32_e64 s[0:1], s18, v2
                                        ; implicit-def: $vgpr123
	s_and_saveexec_b64 s[12:13], s[0:1]
	s_xor_b64 s[0:1], exec, s[12:13]
; %bb.353:                              ;   in Loop: Header=BB178_51 Depth=1
	v_bfe_u32 v2, v0, 16, 1
	v_add3_u32 v123, v0, v2, s20
                                        ; implicit-def: $vgpr0
; %bb.354:                              ;   in Loop: Header=BB178_51 Depth=1
	s_andn2_saveexec_b64 s[12:13], s[0:1]
; %bb.355:                              ;   in Loop: Header=BB178_51 Depth=1
	v_or_b32_e32 v2, 0x10000, v0
	v_cmp_eq_u32_sdwa s[0:1], v0, v23 src0_sel:WORD_0 src1_sel:DWORD
	s_nop 1
	v_cndmask_b32_e64 v123, v2, v0, s[0:1]
; %bb.356:                              ;   in Loop: Header=BB178_51 Depth=1
	s_or_b64 exec, exec, s[12:13]
	v_mov_b32_e32 v37, v23
	v_lshl_add_u64 v[2:3], v[6:7], 0, v[36:37]
	global_load_dwordx4 v[2:5], v[2:3], off
	s_waitcnt vmcnt(0)
	v_lshrrev_b32_e32 v43, 16, v2
	v_lshrrev_b32_e32 v41, 16, v3
	;; [unrolled: 1-line block ×4, first 2 shown]
	s_and_saveexec_b64 s[12:13], vcc
	s_cbranch_execz .LBB178_358
; %bb.357:                              ;   in Loop: Header=BB178_51 Depth=1
	v_cmp_gt_i32_e64 s[0:1], s33, v59
	s_nop 1
	v_cndmask_b32_e64 v2, 0, v2, s[0:1]
	v_cmp_gt_i32_e64 s[0:1], s33, v67
	s_nop 1
	v_cndmask_b32_e64 v43, 0, v43, s[0:1]
	;; [unrolled: 3-line block ×8, first 2 shown]
.LBB178_358:                            ;   in Loop: Header=BB178_51 Depth=1
	s_or_b64 exec, exec, s[12:13]
	v_lshlrev_b32_e32 v2, 16, v2
	v_mul_f32_e32 v2, v68, v2
	v_and_b32_e32 v37, 0x7f800000, v2
	v_cmp_ne_u32_e64 s[0:1], s18, v37
                                        ; implicit-def: $vgpr37
	s_and_saveexec_b64 s[12:13], s[0:1]
	s_xor_b64 s[0:1], exec, s[12:13]
; %bb.359:                              ;   in Loop: Header=BB178_51 Depth=1
	v_bfe_u32 v37, v2, 16, 1
	v_add3_u32 v37, v2, v37, s20
                                        ; implicit-def: $vgpr2
; %bb.360:                              ;   in Loop: Header=BB178_51 Depth=1
	s_andn2_saveexec_b64 s[12:13], s[0:1]
; %bb.361:                              ;   in Loop: Header=BB178_51 Depth=1
	v_or_b32_e32 v37, 0x10000, v2
	v_cmp_eq_u32_sdwa s[0:1], v2, v23 src0_sel:WORD_0 src1_sel:DWORD
	s_nop 1
	v_cndmask_b32_e64 v37, v37, v2, s[0:1]
; %bb.362:                              ;   in Loop: Header=BB178_51 Depth=1
	s_or_b64 exec, exec, s[12:13]
	v_lshlrev_b32_e32 v2, 16, v43
	v_mul_f32_e32 v2, v69, v2
	v_and_b32_e32 v43, 0x7f800000, v2
	v_cmp_ne_u32_e64 s[0:1], s18, v43
                                        ; implicit-def: $vgpr124
	s_and_saveexec_b64 s[12:13], s[0:1]
	s_xor_b64 s[0:1], exec, s[12:13]
; %bb.363:                              ;   in Loop: Header=BB178_51 Depth=1
	v_bfe_u32 v43, v2, 16, 1
	v_add3_u32 v124, v2, v43, s20
                                        ; implicit-def: $vgpr2
; %bb.364:                              ;   in Loop: Header=BB178_51 Depth=1
	s_andn2_saveexec_b64 s[12:13], s[0:1]
; %bb.365:                              ;   in Loop: Header=BB178_51 Depth=1
	v_or_b32_e32 v43, 0x10000, v2
	v_cmp_eq_u32_sdwa s[0:1], v2, v23 src0_sel:WORD_0 src1_sel:DWORD
	s_nop 1
	v_cndmask_b32_e64 v124, v43, v2, s[0:1]
; %bb.366:                              ;   in Loop: Header=BB178_51 Depth=1
	s_or_b64 exec, exec, s[12:13]
	v_lshlrev_b32_e32 v2, 16, v3
	v_mul_f32_e32 v2, v70, v2
	v_and_b32_e32 v3, 0x7f800000, v2
	v_cmp_ne_u32_e64 s[0:1], s18, v3
                                        ; implicit-def: $vgpr125
	s_and_saveexec_b64 s[12:13], s[0:1]
	s_xor_b64 s[0:1], exec, s[12:13]
; %bb.367:                              ;   in Loop: Header=BB178_51 Depth=1
	v_bfe_u32 v3, v2, 16, 1
	v_add3_u32 v125, v2, v3, s20
                                        ; implicit-def: $vgpr2
; %bb.368:                              ;   in Loop: Header=BB178_51 Depth=1
	s_andn2_saveexec_b64 s[12:13], s[0:1]
; %bb.369:                              ;   in Loop: Header=BB178_51 Depth=1
	v_or_b32_e32 v3, 0x10000, v2
	v_cmp_eq_u32_sdwa s[0:1], v2, v23 src0_sel:WORD_0 src1_sel:DWORD
	s_nop 1
	v_cndmask_b32_e64 v125, v3, v2, s[0:1]
; %bb.370:                              ;   in Loop: Header=BB178_51 Depth=1
	s_or_b64 exec, exec, s[12:13]
	v_lshlrev_b32_e32 v2, 16, v41
	v_mul_f32_e32 v2, v71, v2
	v_and_b32_e32 v3, 0x7f800000, v2
	v_cmp_ne_u32_e64 s[0:1], s18, v3
                                        ; implicit-def: $vgpr126
	s_and_saveexec_b64 s[12:13], s[0:1]
	s_xor_b64 s[0:1], exec, s[12:13]
; %bb.371:                              ;   in Loop: Header=BB178_51 Depth=1
	v_bfe_u32 v3, v2, 16, 1
	v_add3_u32 v126, v2, v3, s20
                                        ; implicit-def: $vgpr2
; %bb.372:                              ;   in Loop: Header=BB178_51 Depth=1
	s_andn2_saveexec_b64 s[12:13], s[0:1]
; %bb.373:                              ;   in Loop: Header=BB178_51 Depth=1
	v_or_b32_e32 v3, 0x10000, v2
	v_cmp_eq_u32_sdwa s[0:1], v2, v23 src0_sel:WORD_0 src1_sel:DWORD
	s_nop 1
	v_cndmask_b32_e64 v126, v3, v2, s[0:1]
; %bb.374:                              ;   in Loop: Header=BB178_51 Depth=1
	s_or_b64 exec, exec, s[12:13]
	v_lshlrev_b32_e32 v2, 16, v4
	v_mul_f32_e32 v2, v73, v2
	v_and_b32_e32 v3, 0x7f800000, v2
	v_cmp_ne_u32_e64 s[0:1], s18, v3
                                        ; implicit-def: $vgpr127
	s_and_saveexec_b64 s[12:13], s[0:1]
	s_xor_b64 s[0:1], exec, s[12:13]
; %bb.375:                              ;   in Loop: Header=BB178_51 Depth=1
	v_bfe_u32 v3, v2, 16, 1
	v_add3_u32 v127, v2, v3, s20
                                        ; implicit-def: $vgpr2
; %bb.376:                              ;   in Loop: Header=BB178_51 Depth=1
	s_andn2_saveexec_b64 s[12:13], s[0:1]
; %bb.377:                              ;   in Loop: Header=BB178_51 Depth=1
	v_or_b32_e32 v3, 0x10000, v2
	v_cmp_eq_u32_sdwa s[0:1], v2, v23 src0_sel:WORD_0 src1_sel:DWORD
	s_nop 1
	v_cndmask_b32_e64 v127, v3, v2, s[0:1]
; %bb.378:                              ;   in Loop: Header=BB178_51 Depth=1
	s_or_b64 exec, exec, s[12:13]
	v_lshlrev_b32_e32 v2, 16, v39
	v_mul_f32_e32 v2, v74, v2
	v_and_b32_e32 v3, 0x7f800000, v2
	v_cmp_ne_u32_e64 s[0:1], s18, v3
                                        ; implicit-def: $vgpr45
	s_and_saveexec_b64 s[12:13], s[0:1]
	s_xor_b64 s[0:1], exec, s[12:13]
; %bb.379:                              ;   in Loop: Header=BB178_51 Depth=1
	v_bfe_u32 v3, v2, 16, 1
	v_add3_u32 v45, v2, v3, s20
                                        ; implicit-def: $vgpr2
; %bb.380:                              ;   in Loop: Header=BB178_51 Depth=1
	s_andn2_saveexec_b64 s[12:13], s[0:1]
; %bb.381:                              ;   in Loop: Header=BB178_51 Depth=1
	v_or_b32_e32 v3, 0x10000, v2
	v_cmp_eq_u32_sdwa s[0:1], v2, v23 src0_sel:WORD_0 src1_sel:DWORD
	s_nop 1
	v_cndmask_b32_e64 v45, v3, v2, s[0:1]
; %bb.382:                              ;   in Loop: Header=BB178_51 Depth=1
	s_or_b64 exec, exec, s[12:13]
	v_lshlrev_b32_e32 v2, 16, v5
	v_mul_f32_e32 v2, v75, v2
	v_and_b32_e32 v3, 0x7f800000, v2
	v_cmp_ne_u32_e64 s[0:1], s18, v3
                                        ; implicit-def: $vgpr44
	s_and_saveexec_b64 s[12:13], s[0:1]
	s_xor_b64 s[0:1], exec, s[12:13]
; %bb.383:                              ;   in Loop: Header=BB178_51 Depth=1
	v_bfe_u32 v3, v2, 16, 1
	v_add3_u32 v44, v2, v3, s20
                                        ; implicit-def: $vgpr2
; %bb.384:                              ;   in Loop: Header=BB178_51 Depth=1
	s_andn2_saveexec_b64 s[12:13], s[0:1]
; %bb.385:                              ;   in Loop: Header=BB178_51 Depth=1
	v_or_b32_e32 v3, 0x10000, v2
	v_cmp_eq_u32_sdwa s[0:1], v2, v23 src0_sel:WORD_0 src1_sel:DWORD
	s_nop 1
	v_cndmask_b32_e64 v44, v3, v2, s[0:1]
; %bb.386:                              ;   in Loop: Header=BB178_51 Depth=1
	s_or_b64 exec, exec, s[12:13]
	v_lshlrev_b32_e32 v0, 16, v0
	v_mul_f32_e32 v0, v76, v0
	v_and_b32_e32 v2, 0x7f800000, v0
	v_cmp_ne_u32_e64 s[0:1], s18, v2
                                        ; implicit-def: $vgpr48
	s_and_saveexec_b64 s[12:13], s[0:1]
	s_xor_b64 s[0:1], exec, s[12:13]
; %bb.387:                              ;   in Loop: Header=BB178_51 Depth=1
	v_bfe_u32 v2, v0, 16, 1
	v_add3_u32 v48, v0, v2, s20
                                        ; implicit-def: $vgpr0
; %bb.388:                              ;   in Loop: Header=BB178_51 Depth=1
	s_andn2_saveexec_b64 s[12:13], s[0:1]
; %bb.389:                              ;   in Loop: Header=BB178_51 Depth=1
	v_or_b32_e32 v2, 0x10000, v0
	v_cmp_eq_u32_sdwa s[0:1], v0, v23 src0_sel:WORD_0 src1_sel:DWORD
	s_nop 1
	v_cndmask_b32_e64 v48, v2, v0, s[0:1]
; %bb.390:                              ;   in Loop: Header=BB178_51 Depth=1
	s_or_b64 exec, exec, s[12:13]
	v_mov_b32_e32 v39, v23
	v_lshl_add_u64 v[2:3], v[6:7], 0, v[38:39]
	global_load_dwordx4 v[2:5], v[2:3], off
	s_waitcnt vmcnt(0)
	v_lshrrev_b32_e32 v46, 16, v2
	v_lshrrev_b32_e32 v43, 16, v3
	;; [unrolled: 1-line block ×4, first 2 shown]
	s_and_saveexec_b64 s[12:13], vcc
	s_cbranch_execz .LBB178_392
; %bb.391:                              ;   in Loop: Header=BB178_51 Depth=1
	v_cmp_gt_i32_e64 s[0:1], s33, v59
	s_nop 1
	v_cndmask_b32_e64 v2, 0, v2, s[0:1]
	v_cmp_gt_i32_e64 s[0:1], s33, v67
	s_nop 1
	v_cndmask_b32_e64 v46, 0, v46, s[0:1]
	;; [unrolled: 3-line block ×8, first 2 shown]
.LBB178_392:                            ;   in Loop: Header=BB178_51 Depth=1
	s_or_b64 exec, exec, s[12:13]
	v_lshlrev_b32_e32 v2, 16, v2
	v_mul_f32_e32 v2, v68, v2
	v_and_b32_e32 v39, 0x7f800000, v2
	v_cmp_ne_u32_e64 s[0:1], s18, v39
                                        ; implicit-def: $vgpr39
	s_and_saveexec_b64 s[12:13], s[0:1]
	s_xor_b64 s[0:1], exec, s[12:13]
; %bb.393:                              ;   in Loop: Header=BB178_51 Depth=1
	v_bfe_u32 v39, v2, 16, 1
	v_add3_u32 v39, v2, v39, s20
                                        ; implicit-def: $vgpr2
; %bb.394:                              ;   in Loop: Header=BB178_51 Depth=1
	s_andn2_saveexec_b64 s[12:13], s[0:1]
; %bb.395:                              ;   in Loop: Header=BB178_51 Depth=1
	v_or_b32_e32 v39, 0x10000, v2
	v_cmp_eq_u32_sdwa s[0:1], v2, v23 src0_sel:WORD_0 src1_sel:DWORD
	s_nop 1
	v_cndmask_b32_e64 v39, v39, v2, s[0:1]
; %bb.396:                              ;   in Loop: Header=BB178_51 Depth=1
	s_or_b64 exec, exec, s[12:13]
	v_lshlrev_b32_e32 v2, 16, v46
	v_mul_f32_e32 v2, v69, v2
	v_and_b32_e32 v46, 0x7f800000, v2
	v_cmp_ne_u32_e64 s[0:1], s18, v46
                                        ; implicit-def: $vgpr46
	s_and_saveexec_b64 s[12:13], s[0:1]
	s_xor_b64 s[0:1], exec, s[12:13]
; %bb.397:                              ;   in Loop: Header=BB178_51 Depth=1
	v_bfe_u32 v46, v2, 16, 1
	v_add3_u32 v46, v2, v46, s20
                                        ; implicit-def: $vgpr2
; %bb.398:                              ;   in Loop: Header=BB178_51 Depth=1
	s_andn2_saveexec_b64 s[12:13], s[0:1]
; %bb.399:                              ;   in Loop: Header=BB178_51 Depth=1
	v_or_b32_e32 v46, 0x10000, v2
	v_cmp_eq_u32_sdwa s[0:1], v2, v23 src0_sel:WORD_0 src1_sel:DWORD
	s_nop 1
	v_cndmask_b32_e64 v46, v46, v2, s[0:1]
; %bb.400:                              ;   in Loop: Header=BB178_51 Depth=1
	s_or_b64 exec, exec, s[12:13]
	v_lshlrev_b32_e32 v2, 16, v3
	v_mul_f32_e32 v2, v70, v2
	v_and_b32_e32 v3, 0x7f800000, v2
	v_cmp_ne_u32_e64 s[0:1], s18, v3
                                        ; implicit-def: $vgpr47
	s_and_saveexec_b64 s[12:13], s[0:1]
	s_xor_b64 s[0:1], exec, s[12:13]
; %bb.401:                              ;   in Loop: Header=BB178_51 Depth=1
	v_bfe_u32 v3, v2, 16, 1
	v_add3_u32 v47, v2, v3, s20
                                        ; implicit-def: $vgpr2
; %bb.402:                              ;   in Loop: Header=BB178_51 Depth=1
	s_andn2_saveexec_b64 s[12:13], s[0:1]
; %bb.403:                              ;   in Loop: Header=BB178_51 Depth=1
	v_or_b32_e32 v3, 0x10000, v2
	v_cmp_eq_u32_sdwa s[0:1], v2, v23 src0_sel:WORD_0 src1_sel:DWORD
	s_nop 1
	v_cndmask_b32_e64 v47, v3, v2, s[0:1]
; %bb.404:                              ;   in Loop: Header=BB178_51 Depth=1
	s_or_b64 exec, exec, s[12:13]
	v_lshlrev_b32_e32 v2, 16, v43
	v_mul_f32_e32 v2, v71, v2
	v_and_b32_e32 v3, 0x7f800000, v2
	v_cmp_ne_u32_e64 s[0:1], s18, v3
                                        ; implicit-def: $vgpr49
	s_and_saveexec_b64 s[12:13], s[0:1]
	s_xor_b64 s[0:1], exec, s[12:13]
; %bb.405:                              ;   in Loop: Header=BB178_51 Depth=1
	v_bfe_u32 v3, v2, 16, 1
	v_add3_u32 v49, v2, v3, s20
                                        ; implicit-def: $vgpr2
; %bb.406:                              ;   in Loop: Header=BB178_51 Depth=1
	s_andn2_saveexec_b64 s[12:13], s[0:1]
; %bb.407:                              ;   in Loop: Header=BB178_51 Depth=1
	v_or_b32_e32 v3, 0x10000, v2
	v_cmp_eq_u32_sdwa s[0:1], v2, v23 src0_sel:WORD_0 src1_sel:DWORD
	s_nop 1
	v_cndmask_b32_e64 v49, v3, v2, s[0:1]
; %bb.408:                              ;   in Loop: Header=BB178_51 Depth=1
	s_or_b64 exec, exec, s[12:13]
	v_lshlrev_b32_e32 v2, 16, v4
	v_mul_f32_e32 v2, v73, v2
	v_and_b32_e32 v3, 0x7f800000, v2
	v_cmp_ne_u32_e64 s[0:1], s18, v3
                                        ; implicit-def: $vgpr50
	s_and_saveexec_b64 s[12:13], s[0:1]
	s_xor_b64 s[0:1], exec, s[12:13]
; %bb.409:                              ;   in Loop: Header=BB178_51 Depth=1
	v_bfe_u32 v3, v2, 16, 1
	v_add3_u32 v50, v2, v3, s20
                                        ; implicit-def: $vgpr2
; %bb.410:                              ;   in Loop: Header=BB178_51 Depth=1
	s_andn2_saveexec_b64 s[12:13], s[0:1]
; %bb.411:                              ;   in Loop: Header=BB178_51 Depth=1
	v_or_b32_e32 v3, 0x10000, v2
	v_cmp_eq_u32_sdwa s[0:1], v2, v23 src0_sel:WORD_0 src1_sel:DWORD
	s_nop 1
	v_cndmask_b32_e64 v50, v3, v2, s[0:1]
; %bb.412:                              ;   in Loop: Header=BB178_51 Depth=1
	s_or_b64 exec, exec, s[12:13]
	v_lshlrev_b32_e32 v0, 16, v0
	v_mul_f32_e32 v2, v74, v0
	v_and_b32_e32 v0, 0x7f800000, v2
	v_cmp_ne_u32_e64 s[0:1], s18, v0
                                        ; implicit-def: $vgpr0
	s_and_saveexec_b64 s[12:13], s[0:1]
	s_xor_b64 s[0:1], exec, s[12:13]
; %bb.413:                              ;   in Loop: Header=BB178_51 Depth=1
	v_bfe_u32 v0, v2, 16, 1
	v_add3_u32 v0, v2, v0, s20
                                        ; implicit-def: $vgpr2
; %bb.414:                              ;   in Loop: Header=BB178_51 Depth=1
	s_andn2_saveexec_b64 s[12:13], s[0:1]
; %bb.415:                              ;   in Loop: Header=BB178_51 Depth=1
	v_or_b32_e32 v0, 0x10000, v2
	v_cmp_eq_u32_sdwa s[0:1], v2, v23 src0_sel:WORD_0 src1_sel:DWORD
	s_nop 1
	v_cndmask_b32_e64 v0, v0, v2, s[0:1]
; %bb.416:                              ;   in Loop: Header=BB178_51 Depth=1
	s_or_b64 exec, exec, s[12:13]
	v_lshlrev_b32_e32 v2, 16, v5
	v_mul_f32_e32 v2, v75, v2
	v_and_b32_e32 v3, 0x7f800000, v2
	v_cmp_ne_u32_e64 s[0:1], s18, v3
                                        ; implicit-def: $vgpr51
	s_and_saveexec_b64 s[12:13], s[0:1]
	s_xor_b64 s[0:1], exec, s[12:13]
; %bb.417:                              ;   in Loop: Header=BB178_51 Depth=1
	v_bfe_u32 v3, v2, 16, 1
	v_add3_u32 v51, v2, v3, s20
                                        ; implicit-def: $vgpr2
; %bb.418:                              ;   in Loop: Header=BB178_51 Depth=1
	s_andn2_saveexec_b64 s[12:13], s[0:1]
; %bb.419:                              ;   in Loop: Header=BB178_51 Depth=1
	v_or_b32_e32 v3, 0x10000, v2
	v_cmp_eq_u32_sdwa s[0:1], v2, v23 src0_sel:WORD_0 src1_sel:DWORD
	s_nop 1
	v_cndmask_b32_e64 v51, v3, v2, s[0:1]
; %bb.420:                              ;   in Loop: Header=BB178_51 Depth=1
	s_or_b64 exec, exec, s[12:13]
	v_lshlrev_b32_e32 v2, 16, v41
	v_mul_f32_e32 v2, v76, v2
	v_and_b32_e32 v3, 0x7f800000, v2
	v_cmp_ne_u32_e64 s[0:1], s18, v3
                                        ; implicit-def: $vgpr52
	s_and_saveexec_b64 s[12:13], s[0:1]
	s_xor_b64 s[0:1], exec, s[12:13]
; %bb.421:                              ;   in Loop: Header=BB178_51 Depth=1
	v_bfe_u32 v3, v2, 16, 1
	v_add3_u32 v52, v2, v3, s20
                                        ; implicit-def: $vgpr2
; %bb.422:                              ;   in Loop: Header=BB178_51 Depth=1
	s_andn2_saveexec_b64 s[12:13], s[0:1]
; %bb.423:                              ;   in Loop: Header=BB178_51 Depth=1
	v_or_b32_e32 v3, 0x10000, v2
	v_cmp_eq_u32_sdwa s[0:1], v2, v23 src0_sel:WORD_0 src1_sel:DWORD
	s_nop 1
	v_cndmask_b32_e64 v52, v3, v2, s[0:1]
; %bb.424:                              ;   in Loop: Header=BB178_51 Depth=1
	s_or_b64 exec, exec, s[12:13]
	v_mov_b32_e32 v41, v23
	v_lshl_add_u64 v[2:3], v[6:7], 0, v[40:41]
	global_load_dwordx4 v[2:5], v[2:3], off
	s_waitcnt vmcnt(0)
	v_lshrrev_b32_e32 v53, 16, v2
	v_lshrrev_b32_e32 v55, 16, v3
	;; [unrolled: 1-line block ×4, first 2 shown]
	s_and_saveexec_b64 s[12:13], vcc
	s_cbranch_execz .LBB178_426
; %bb.425:                              ;   in Loop: Header=BB178_51 Depth=1
	v_cmp_gt_i32_e64 s[0:1], s33, v59
	s_nop 1
	v_cndmask_b32_e64 v2, 0, v2, s[0:1]
	v_cmp_gt_i32_e64 s[0:1], s33, v67
	s_nop 1
	v_cndmask_b32_e64 v53, 0, v53, s[0:1]
	;; [unrolled: 3-line block ×8, first 2 shown]
.LBB178_426:                            ;   in Loop: Header=BB178_51 Depth=1
	s_or_b64 exec, exec, s[12:13]
	v_lshlrev_b32_e32 v2, 16, v2
	v_mul_f32_e32 v2, v68, v2
	v_and_b32_e32 v41, 0x7f800000, v2
	v_cmp_ne_u32_e64 s[0:1], s18, v41
                                        ; implicit-def: $vgpr41
	s_and_saveexec_b64 s[12:13], s[0:1]
	s_xor_b64 s[0:1], exec, s[12:13]
; %bb.427:                              ;   in Loop: Header=BB178_51 Depth=1
	v_bfe_u32 v41, v2, 16, 1
	v_add3_u32 v41, v2, v41, s20
                                        ; implicit-def: $vgpr2
; %bb.428:                              ;   in Loop: Header=BB178_51 Depth=1
	s_andn2_saveexec_b64 s[12:13], s[0:1]
; %bb.429:                              ;   in Loop: Header=BB178_51 Depth=1
	v_or_b32_e32 v41, 0x10000, v2
	v_cmp_eq_u32_sdwa s[0:1], v2, v23 src0_sel:WORD_0 src1_sel:DWORD
	s_nop 1
	v_cndmask_b32_e64 v41, v41, v2, s[0:1]
; %bb.430:                              ;   in Loop: Header=BB178_51 Depth=1
	s_or_b64 exec, exec, s[12:13]
	v_lshlrev_b32_e32 v2, 16, v53
	v_mul_f32_e32 v2, v69, v2
	v_and_b32_e32 v53, 0x7f800000, v2
	v_cmp_ne_u32_e64 s[0:1], s18, v53
                                        ; implicit-def: $vgpr53
	s_and_saveexec_b64 s[12:13], s[0:1]
	s_xor_b64 s[0:1], exec, s[12:13]
; %bb.431:                              ;   in Loop: Header=BB178_51 Depth=1
	v_bfe_u32 v53, v2, 16, 1
	v_add3_u32 v53, v2, v53, s20
                                        ; implicit-def: $vgpr2
; %bb.432:                              ;   in Loop: Header=BB178_51 Depth=1
	s_andn2_saveexec_b64 s[12:13], s[0:1]
; %bb.433:                              ;   in Loop: Header=BB178_51 Depth=1
	v_or_b32_e32 v53, 0x10000, v2
	v_cmp_eq_u32_sdwa s[0:1], v2, v23 src0_sel:WORD_0 src1_sel:DWORD
	s_nop 1
	v_cndmask_b32_e64 v53, v53, v2, s[0:1]
; %bb.434:                              ;   in Loop: Header=BB178_51 Depth=1
	s_or_b64 exec, exec, s[12:13]
	v_lshlrev_b32_e32 v2, 16, v3
	v_mul_f32_e32 v2, v70, v2
	v_and_b32_e32 v3, 0x7f800000, v2
	v_cmp_ne_u32_e64 s[0:1], s18, v3
                                        ; implicit-def: $vgpr54
	s_and_saveexec_b64 s[12:13], s[0:1]
	s_xor_b64 s[0:1], exec, s[12:13]
; %bb.435:                              ;   in Loop: Header=BB178_51 Depth=1
	v_bfe_u32 v3, v2, 16, 1
	v_add3_u32 v54, v2, v3, s20
                                        ; implicit-def: $vgpr2
; %bb.436:                              ;   in Loop: Header=BB178_51 Depth=1
	s_andn2_saveexec_b64 s[12:13], s[0:1]
; %bb.437:                              ;   in Loop: Header=BB178_51 Depth=1
	v_or_b32_e32 v3, 0x10000, v2
	v_cmp_eq_u32_sdwa s[0:1], v2, v23 src0_sel:WORD_0 src1_sel:DWORD
	s_nop 1
	v_cndmask_b32_e64 v54, v3, v2, s[0:1]
; %bb.438:                              ;   in Loop: Header=BB178_51 Depth=1
	s_or_b64 exec, exec, s[12:13]
	v_lshlrev_b32_e32 v2, 16, v55
	v_mul_f32_e32 v2, v71, v2
	v_and_b32_e32 v3, 0x7f800000, v2
	v_cmp_ne_u32_e64 s[0:1], s18, v3
                                        ; implicit-def: $vgpr55
	s_and_saveexec_b64 s[12:13], s[0:1]
	s_xor_b64 s[0:1], exec, s[12:13]
; %bb.439:                              ;   in Loop: Header=BB178_51 Depth=1
	v_bfe_u32 v3, v2, 16, 1
	v_add3_u32 v55, v2, v3, s20
                                        ; implicit-def: $vgpr2
; %bb.440:                              ;   in Loop: Header=BB178_51 Depth=1
	s_andn2_saveexec_b64 s[12:13], s[0:1]
; %bb.441:                              ;   in Loop: Header=BB178_51 Depth=1
	v_or_b32_e32 v3, 0x10000, v2
	v_cmp_eq_u32_sdwa s[0:1], v2, v23 src0_sel:WORD_0 src1_sel:DWORD
	s_nop 1
	v_cndmask_b32_e64 v55, v3, v2, s[0:1]
; %bb.442:                              ;   in Loop: Header=BB178_51 Depth=1
	s_or_b64 exec, exec, s[12:13]
	v_lshlrev_b32_e32 v2, 16, v4
	v_mul_f32_e32 v2, v73, v2
	v_and_b32_e32 v3, 0x7f800000, v2
	v_cmp_ne_u32_e64 s[0:1], s18, v3
                                        ; implicit-def: $vgpr56
	s_and_saveexec_b64 s[12:13], s[0:1]
	s_xor_b64 s[0:1], exec, s[12:13]
; %bb.443:                              ;   in Loop: Header=BB178_51 Depth=1
	v_bfe_u32 v3, v2, 16, 1
	v_add3_u32 v56, v2, v3, s20
                                        ; implicit-def: $vgpr2
; %bb.444:                              ;   in Loop: Header=BB178_51 Depth=1
	s_andn2_saveexec_b64 s[12:13], s[0:1]
; %bb.445:                              ;   in Loop: Header=BB178_51 Depth=1
	v_or_b32_e32 v3, 0x10000, v2
	v_cmp_eq_u32_sdwa s[0:1], v2, v23 src0_sel:WORD_0 src1_sel:DWORD
	s_nop 1
	v_cndmask_b32_e64 v56, v3, v2, s[0:1]
; %bb.446:                              ;   in Loop: Header=BB178_51 Depth=1
	s_or_b64 exec, exec, s[12:13]
	v_lshlrev_b32_e32 v2, 16, v57
	v_mul_f32_e32 v2, v74, v2
	v_and_b32_e32 v3, 0x7f800000, v2
	v_cmp_ne_u32_e64 s[0:1], s18, v3
                                        ; implicit-def: $vgpr57
	s_and_saveexec_b64 s[12:13], s[0:1]
	s_xor_b64 s[0:1], exec, s[12:13]
; %bb.447:                              ;   in Loop: Header=BB178_51 Depth=1
	v_bfe_u32 v3, v2, 16, 1
	v_add3_u32 v57, v2, v3, s20
                                        ; implicit-def: $vgpr2
; %bb.448:                              ;   in Loop: Header=BB178_51 Depth=1
	s_andn2_saveexec_b64 s[12:13], s[0:1]
; %bb.449:                              ;   in Loop: Header=BB178_51 Depth=1
	v_or_b32_e32 v3, 0x10000, v2
	v_cmp_eq_u32_sdwa s[0:1], v2, v23 src0_sel:WORD_0 src1_sel:DWORD
	s_nop 1
	v_cndmask_b32_e64 v57, v3, v2, s[0:1]
; %bb.450:                              ;   in Loop: Header=BB178_51 Depth=1
	s_or_b64 exec, exec, s[12:13]
	v_lshlrev_b32_e32 v2, 16, v5
	v_mul_f32_e32 v2, v75, v2
	v_and_b32_e32 v3, 0x7f800000, v2
	v_cmp_ne_u32_e64 s[0:1], s18, v3
                                        ; implicit-def: $vgpr58
	s_and_saveexec_b64 s[12:13], s[0:1]
	s_xor_b64 s[0:1], exec, s[12:13]
; %bb.451:                              ;   in Loop: Header=BB178_51 Depth=1
	v_bfe_u32 v3, v2, 16, 1
	v_add3_u32 v58, v2, v3, s20
                                        ; implicit-def: $vgpr2
; %bb.452:                              ;   in Loop: Header=BB178_51 Depth=1
	s_andn2_saveexec_b64 s[12:13], s[0:1]
; %bb.453:                              ;   in Loop: Header=BB178_51 Depth=1
	v_or_b32_e32 v3, 0x10000, v2
	v_cmp_eq_u32_sdwa s[0:1], v2, v23 src0_sel:WORD_0 src1_sel:DWORD
	s_nop 1
	v_cndmask_b32_e64 v58, v3, v2, s[0:1]
; %bb.454:                              ;   in Loop: Header=BB178_51 Depth=1
	s_or_b64 exec, exec, s[12:13]
	v_lshlrev_b32_e32 v2, 16, v43
	v_mul_f32_e32 v2, v76, v2
	v_and_b32_e32 v3, 0x7f800000, v2
	v_cmp_ne_u32_e64 s[0:1], s18, v3
                                        ; implicit-def: $vgpr60
	s_and_saveexec_b64 s[12:13], s[0:1]
	s_xor_b64 s[0:1], exec, s[12:13]
; %bb.455:                              ;   in Loop: Header=BB178_51 Depth=1
	v_bfe_u32 v3, v2, 16, 1
	v_add3_u32 v60, v2, v3, s20
                                        ; implicit-def: $vgpr2
; %bb.456:                              ;   in Loop: Header=BB178_51 Depth=1
	s_andn2_saveexec_b64 s[12:13], s[0:1]
; %bb.457:                              ;   in Loop: Header=BB178_51 Depth=1
	v_or_b32_e32 v3, 0x10000, v2
	v_cmp_eq_u32_sdwa s[0:1], v2, v23 src0_sel:WORD_0 src1_sel:DWORD
	s_nop 1
	v_cndmask_b32_e64 v60, v3, v2, s[0:1]
; %bb.458:                              ;   in Loop: Header=BB178_51 Depth=1
	s_or_b64 exec, exec, s[12:13]
	v_mov_b32_e32 v43, v23
	v_lshl_add_u64 v[2:3], v[6:7], 0, v[42:43]
	global_load_dwordx4 v[2:5], v[2:3], off
	s_waitcnt vmcnt(0)
	v_lshrrev_b32_e32 v6, 16, v2
	v_lshrrev_b32_e32 v7, 16, v3
	;; [unrolled: 1-line block ×4, first 2 shown]
	s_and_saveexec_b64 s[0:1], vcc
	s_cbranch_execz .LBB178_460
; %bb.459:                              ;   in Loop: Header=BB178_51 Depth=1
	v_cmp_gt_i32_e32 vcc, s33, v59
	s_nop 1
	v_cndmask_b32_e32 v2, 0, v2, vcc
	v_cmp_gt_i32_e32 vcc, s33, v67
	s_nop 1
	v_cndmask_b32_e32 v6, 0, v6, vcc
	;; [unrolled: 3-line block ×8, first 2 shown]
.LBB178_460:                            ;   in Loop: Header=BB178_51 Depth=1
	s_or_b64 exec, exec, s[0:1]
	v_lshlrev_b32_e32 v2, 16, v2
	v_mul_f32_e32 v59, v68, v2
	v_and_b32_e32 v2, 0x7f800000, v59
	v_cmp_ne_u32_e32 vcc, s18, v2
                                        ; implicit-def: $vgpr2
	s_and_saveexec_b64 s[0:1], vcc
	s_xor_b64 s[0:1], exec, s[0:1]
; %bb.461:                              ;   in Loop: Header=BB178_51 Depth=1
	v_bfe_u32 v2, v59, 16, 1
	v_add3_u32 v2, v59, v2, s20
                                        ; implicit-def: $vgpr59
; %bb.462:                              ;   in Loop: Header=BB178_51 Depth=1
	s_andn2_saveexec_b64 s[0:1], s[0:1]
; %bb.463:                              ;   in Loop: Header=BB178_51 Depth=1
	v_or_b32_e32 v2, 0x10000, v59
	v_cmp_eq_u32_sdwa vcc, v59, v23 src0_sel:WORD_0 src1_sel:DWORD
	s_nop 1
	v_cndmask_b32_e32 v2, v2, v59, vcc
; %bb.464:                              ;   in Loop: Header=BB178_51 Depth=1
	s_or_b64 exec, exec, s[0:1]
	v_lshlrev_b32_e32 v6, 16, v6
	v_mul_f32_e32 v59, v69, v6
	v_and_b32_e32 v6, 0x7f800000, v59
	v_cmp_ne_u32_e32 vcc, s18, v6
                                        ; implicit-def: $vgpr6
	s_and_saveexec_b64 s[0:1], vcc
	s_xor_b64 s[0:1], exec, s[0:1]
; %bb.465:                              ;   in Loop: Header=BB178_51 Depth=1
	v_bfe_u32 v6, v59, 16, 1
	v_add3_u32 v6, v59, v6, s20
                                        ; implicit-def: $vgpr59
; %bb.466:                              ;   in Loop: Header=BB178_51 Depth=1
	s_andn2_saveexec_b64 s[0:1], s[0:1]
; %bb.467:                              ;   in Loop: Header=BB178_51 Depth=1
	v_or_b32_e32 v6, 0x10000, v59
	v_cmp_eq_u32_sdwa vcc, v59, v23 src0_sel:WORD_0 src1_sel:DWORD
	s_nop 1
	v_cndmask_b32_e32 v6, v6, v59, vcc
; %bb.468:                              ;   in Loop: Header=BB178_51 Depth=1
	s_or_b64 exec, exec, s[0:1]
	v_lshlrev_b32_e32 v3, 16, v3
	v_mul_f32_e32 v59, v70, v3
	v_and_b32_e32 v3, 0x7f800000, v59
	v_cmp_ne_u32_e32 vcc, s18, v3
                                        ; implicit-def: $vgpr3
	s_and_saveexec_b64 s[0:1], vcc
	s_xor_b64 s[0:1], exec, s[0:1]
; %bb.469:                              ;   in Loop: Header=BB178_51 Depth=1
	v_bfe_u32 v3, v59, 16, 1
	v_add3_u32 v3, v59, v3, s20
                                        ; implicit-def: $vgpr59
; %bb.470:                              ;   in Loop: Header=BB178_51 Depth=1
	s_andn2_saveexec_b64 s[0:1], s[0:1]
; %bb.471:                              ;   in Loop: Header=BB178_51 Depth=1
	v_or_b32_e32 v3, 0x10000, v59
	v_cmp_eq_u32_sdwa vcc, v59, v23 src0_sel:WORD_0 src1_sel:DWORD
	s_nop 1
	v_cndmask_b32_e32 v3, v3, v59, vcc
; %bb.472:                              ;   in Loop: Header=BB178_51 Depth=1
	s_or_b64 exec, exec, s[0:1]
	v_lshlrev_b32_e32 v7, 16, v7
	v_mul_f32_e32 v59, v71, v7
	v_and_b32_e32 v7, 0x7f800000, v59
	v_cmp_ne_u32_e32 vcc, s18, v7
                                        ; implicit-def: $vgpr7
	s_and_saveexec_b64 s[0:1], vcc
	s_xor_b64 s[0:1], exec, s[0:1]
; %bb.473:                              ;   in Loop: Header=BB178_51 Depth=1
	v_bfe_u32 v7, v59, 16, 1
	v_add3_u32 v7, v59, v7, s20
                                        ; implicit-def: $vgpr59
; %bb.474:                              ;   in Loop: Header=BB178_51 Depth=1
	s_andn2_saveexec_b64 s[0:1], s[0:1]
; %bb.475:                              ;   in Loop: Header=BB178_51 Depth=1
	v_or_b32_e32 v7, 0x10000, v59
	v_cmp_eq_u32_sdwa vcc, v59, v23 src0_sel:WORD_0 src1_sel:DWORD
	s_nop 1
	v_cndmask_b32_e32 v7, v7, v59, vcc
; %bb.476:                              ;   in Loop: Header=BB178_51 Depth=1
	s_or_b64 exec, exec, s[0:1]
	v_lshlrev_b32_e32 v4, 16, v4
	v_mul_f32_e32 v59, v73, v4
	v_and_b32_e32 v4, 0x7f800000, v59
	v_cmp_ne_u32_e32 vcc, s18, v4
                                        ; implicit-def: $vgpr4
	s_and_saveexec_b64 s[0:1], vcc
	s_xor_b64 s[0:1], exec, s[0:1]
; %bb.477:                              ;   in Loop: Header=BB178_51 Depth=1
	v_bfe_u32 v4, v59, 16, 1
	v_add3_u32 v4, v59, v4, s20
                                        ; implicit-def: $vgpr59
; %bb.478:                              ;   in Loop: Header=BB178_51 Depth=1
	s_andn2_saveexec_b64 s[0:1], s[0:1]
; %bb.479:                              ;   in Loop: Header=BB178_51 Depth=1
	v_or_b32_e32 v4, 0x10000, v59
	v_cmp_eq_u32_sdwa vcc, v59, v23 src0_sel:WORD_0 src1_sel:DWORD
	s_nop 1
	v_cndmask_b32_e32 v4, v4, v59, vcc
; %bb.480:                              ;   in Loop: Header=BB178_51 Depth=1
	s_or_b64 exec, exec, s[0:1]
	v_lshlrev_b32_e32 v59, 16, v72
	v_mul_f32_e32 v61, v74, v59
	v_and_b32_e32 v59, 0x7f800000, v61
	v_cmp_ne_u32_e32 vcc, s18, v59
                                        ; implicit-def: $vgpr59
	s_and_saveexec_b64 s[0:1], vcc
	s_xor_b64 s[0:1], exec, s[0:1]
; %bb.481:                              ;   in Loop: Header=BB178_51 Depth=1
	v_bfe_u32 v59, v61, 16, 1
	v_add3_u32 v59, v61, v59, s20
                                        ; implicit-def: $vgpr61
; %bb.482:                              ;   in Loop: Header=BB178_51 Depth=1
	s_andn2_saveexec_b64 s[0:1], s[0:1]
; %bb.483:                              ;   in Loop: Header=BB178_51 Depth=1
	v_or_b32_e32 v59, 0x10000, v61
	v_cmp_eq_u32_sdwa vcc, v61, v23 src0_sel:WORD_0 src1_sel:DWORD
	s_nop 1
	v_cndmask_b32_e32 v59, v59, v61, vcc
; %bb.484:                              ;   in Loop: Header=BB178_51 Depth=1
	s_or_b64 exec, exec, s[0:1]
	v_lshlrev_b32_e32 v5, 16, v5
	v_mul_f32_e32 v61, v75, v5
	v_and_b32_e32 v5, 0x7f800000, v61
	v_cmp_ne_u32_e32 vcc, s18, v5
                                        ; implicit-def: $vgpr5
	s_and_saveexec_b64 s[0:1], vcc
	s_xor_b64 s[0:1], exec, s[0:1]
; %bb.485:                              ;   in Loop: Header=BB178_51 Depth=1
	v_bfe_u32 v5, v61, 16, 1
	v_add3_u32 v5, v61, v5, s20
                                        ; implicit-def: $vgpr61
; %bb.486:                              ;   in Loop: Header=BB178_51 Depth=1
	s_andn2_saveexec_b64 s[0:1], s[0:1]
; %bb.487:                              ;   in Loop: Header=BB178_51 Depth=1
	v_or_b32_e32 v5, 0x10000, v61
	v_cmp_eq_u32_sdwa vcc, v61, v23 src0_sel:WORD_0 src1_sel:DWORD
	s_nop 1
	v_cndmask_b32_e32 v5, v5, v61, vcc
; %bb.488:                              ;   in Loop: Header=BB178_51 Depth=1
	s_or_b64 exec, exec, s[0:1]
	v_lshlrev_b32_e32 v43, 16, v43
	v_mul_f32_e32 v61, v76, v43
	v_and_b32_e32 v43, 0x7f800000, v61
	v_cmp_ne_u32_e32 vcc, s18, v43
                                        ; implicit-def: $vgpr43
	s_and_saveexec_b64 s[0:1], vcc
	s_xor_b64 s[0:1], exec, s[0:1]
; %bb.489:                              ;   in Loop: Header=BB178_51 Depth=1
	v_bfe_u32 v43, v61, 16, 1
	v_add3_u32 v43, v61, v43, s20
                                        ; implicit-def: $vgpr61
; %bb.490:                              ;   in Loop: Header=BB178_51 Depth=1
	s_andn2_saveexec_b64 s[0:1], s[0:1]
	s_cbranch_execz .LBB178_49
; %bb.491:                              ;   in Loop: Header=BB178_51 Depth=1
	v_or_b32_e32 v43, 0x10000, v61
	v_cmp_eq_u32_sdwa vcc, v61, v23 src0_sel:WORD_0 src1_sel:DWORD
	s_nop 1
	v_cndmask_b32_e32 v43, v43, v61, vcc
	s_branch .LBB178_49
.LBB178_492:
	s_or_b64 exec, exec, s[8:9]
	scratch_load_dword v26, off, off offset:56 ; 4-byte Folded Reload
	scratch_load_dword v28, off, off offset:60 ; 4-byte Folded Reload
	;; [unrolled: 1-line block ×4, first 2 shown]
.LBB178_493:
	s_or_b64 exec, exec, s[2:3]
	s_waitcnt vmcnt(1)
	ds_bpermute_b32 v0, v23, v24
	ds_bpermute_b32 v1, v23, v25
	;; [unrolled: 1-line block ×6, first 2 shown]
	s_waitcnt lgkmcnt(4)
	v_pk_add_f32 v[0:1], v[24:25], v[0:1]
	s_waitcnt vmcnt(0)
	ds_bpermute_b32 v4, v27, v0
	ds_bpermute_b32 v5, v27, v1
	;; [unrolled: 1-line block ×4, first 2 shown]
	s_waitcnt lgkmcnt(6)
	v_pk_add_f32 v[2:3], v[20:21], v[2:3]
	s_waitcnt lgkmcnt(4)
	v_pk_add_f32 v[14:15], v[14:15], v[10:11]
	ds_bpermute_b32 v8, v27, v2
	s_waitcnt lgkmcnt(3)
	v_pk_add_f32 v[20:21], v[0:1], v[4:5]
	ds_bpermute_b32 v9, v27, v3
	;; [unrolled: 3-line block ×3, first 2 shown]
	ds_bpermute_b32 v19, v27, v15
	s_waitcnt lgkmcnt(0)
	v_pk_add_f32 v[10:11], v[2:3], v[8:9]
	s_barrier
	v_pk_add_f32 v[2:3], v[14:15], v[18:19]
	scratch_load_dword v14, off, off offset:52 ; 4-byte Folded Reload
	ds_bpermute_b32 v4, v23, v16
	ds_bpermute_b32 v5, v23, v17
	;; [unrolled: 1-line block ×6, first 2 shown]
	s_waitcnt lgkmcnt(4)
	v_pk_add_f32 v[4:5], v[16:17], v[4:5]
	ds_bpermute_b32 v16, v27, v4
	ds_bpermute_b32 v17, v27, v5
	s_waitcnt lgkmcnt(4)
	v_pk_add_f32 v[8:9], v[0:1], v[6:7]
	s_waitcnt lgkmcnt(0)
	v_pk_add_f32 v[6:7], v[4:5], v[16:17]
	v_pk_add_f32 v[4:5], v[12:13], v[22:23]
	ds_bpermute_b32 v12, v27, v4
	ds_bpermute_b32 v13, v27, v5
	s_waitcnt vmcnt(0)
	v_and_b32_e32 v0, 0x3c3, v14
	v_cmp_ne_u32_e32 vcc, 64, v0
	s_and_saveexec_b64 s[0:1], vcc
	s_xor_b64 s[0:1], exec, s[0:1]
; %bb.494:
                                        ; implicit-def: $vgpr26
; %bb.495:
	s_or_saveexec_b64 s[0:1], s[0:1]
	s_waitcnt lgkmcnt(0)
	v_pk_add_f32 v[4:5], v[4:5], v[12:13]
	s_xor_b64 exec, exec, s[0:1]
	s_cbranch_execz .LBB178_497
; %bb.496:
	v_add_u32_e32 v0, 0x190, v26
	ds_write2_b32 v0, v20, v21 offset1:16
	ds_write2_b32 v0, v10, v11 offset0:32 offset1:48
	ds_write2_b32 v0, v8, v9 offset0:64 offset1:80
	;; [unrolled: 1-line block ×5, first 2 shown]
.LBB178_497:
	s_or_b64 exec, exec, s[0:1]
	v_cmp_gt_u32_e32 vcc, 64, v14
	v_cmp_lt_u32_e64 s[0:1], 63, v14
	s_waitcnt lgkmcnt(0)
	s_barrier
	s_and_saveexec_b64 s[2:3], s[0:1]
	s_xor_b64 s[0:1], exec, s[2:3]
	s_andn2_saveexec_b64 s[2:3], s[0:1]
	s_cbranch_execz .LBB178_512
; %bb.498:
	v_cmp_eq_u32_e64 s[0:1], 0, v28
	v_lshrrev_b32_e32 v0, 2, v14
	s_and_saveexec_b64 s[6:7], s[0:1]
	s_cbranch_execnz .LBB178_564
; %bb.499:
	s_or_b64 exec, exec, s[6:7]
	s_and_saveexec_b64 s[6:7], s[0:1]
	s_cbranch_execnz .LBB178_565
.LBB178_500:
	s_or_b64 exec, exec, s[6:7]
	s_and_saveexec_b64 s[6:7], s[0:1]
	s_cbranch_execnz .LBB178_566
.LBB178_501:
	s_or_b64 exec, exec, s[6:7]
	s_and_saveexec_b64 s[6:7], s[0:1]
	s_cbranch_execnz .LBB178_567
.LBB178_502:
	s_or_b64 exec, exec, s[6:7]
	s_and_saveexec_b64 s[6:7], s[0:1]
	s_cbranch_execnz .LBB178_568
.LBB178_503:
	s_or_b64 exec, exec, s[6:7]
	s_and_saveexec_b64 s[6:7], s[0:1]
	s_cbranch_execnz .LBB178_569
.LBB178_504:
	s_or_b64 exec, exec, s[6:7]
	s_and_saveexec_b64 s[6:7], s[0:1]
	s_cbranch_execnz .LBB178_570
.LBB178_505:
	s_or_b64 exec, exec, s[6:7]
	s_and_saveexec_b64 s[6:7], s[0:1]
	s_cbranch_execnz .LBB178_571
.LBB178_506:
	s_or_b64 exec, exec, s[6:7]
	s_and_saveexec_b64 s[6:7], s[0:1]
	s_cbranch_execnz .LBB178_572
.LBB178_507:
	s_or_b64 exec, exec, s[6:7]
	s_and_saveexec_b64 s[6:7], s[0:1]
	s_cbranch_execnz .LBB178_573
.LBB178_508:
	s_or_b64 exec, exec, s[6:7]
	s_and_saveexec_b64 s[6:7], s[0:1]
	s_cbranch_execnz .LBB178_574
.LBB178_509:
	s_or_b64 exec, exec, s[6:7]
	s_and_saveexec_b64 s[6:7], s[0:1]
	s_cbranch_execz .LBB178_511
.LBB178_510:
	v_mov_b32_e32 v1, 0x190
	v_lshl_add_u32 v0, v0, 2, v1
	ds_read_b32 v0, v0 offset:704
	s_waitcnt lgkmcnt(0)
	v_add_f32_e32 v5, v5, v0
.LBB178_511:
	s_or_b64 exec, exec, s[6:7]
.LBB178_512:
	s_or_b64 exec, exec, s[2:3]
	s_barrier
	s_and_saveexec_b64 s[0:1], vcc
	s_cbranch_execz .LBB178_563
; %bb.513:
	v_cmp_eq_u32_e32 vcc, 0, v28
	s_and_b64 exec, exec, vcc
	s_cbranch_execz .LBB178_563
; %bb.514:
	s_mov_b32 s0, 0x7f800000
	v_and_b32_e32 v0, 0x7f800000, v20
	v_cmp_ne_u32_e32 vcc, s0, v0
                                        ; implicit-def: $vgpr12
	s_and_saveexec_b64 s[0:1], vcc
	s_xor_b64 s[0:1], exec, s[0:1]
; %bb.515:
	v_bfe_u32 v0, v20, 16, 1
	s_movk_i32 s2, 0x7fff
	v_add3_u32 v12, v20, v0, s2
; %bb.516:
	s_andn2_saveexec_b64 s[0:1], s[0:1]
; %bb.517:
	v_mov_b32_e32 v0, 0
	v_or_b32_e32 v1, 0x10000, v20
	v_cmp_eq_u32_sdwa vcc, v20, v0 src0_sel:WORD_0 src1_sel:DWORD
	s_nop 1
	v_cndmask_b32_e32 v12, v1, v20, vcc
; %bb.518:
	s_or_b64 exec, exec, s[0:1]
	s_mul_i32 s0, s16, s24
	s_mul_i32 s0, s0, s25
	s_mulk_i32 s0, 0xc0
	s_ashr_i32 s1, s0, 31
	s_lshl_b64 s[0:1], s[0:1], 1
	s_add_u32 s2, s28, s0
	s_mul_i32 s0, s16, s26
	s_addc_u32 s3, s29, s1
	s_ashr_i32 s1, s0, 31
	s_lshl_b64 s[0:1], s[0:1], 1
	s_add_u32 s2, s2, s0
	s_mul_i32 s0, s4, 0xc0
	s_addc_u32 s3, s3, s1
	s_ashr_i32 s1, s0, 31
	s_lshl_b64 s[0:1], s[0:1], 1
	s_add_u32 s0, s2, s0
	v_lshrrev_b32_e32 v0, 1, v14
	s_addc_u32 s1, s3, s1
	v_and_b32_e32 v0, 0x1fe, v0
	global_store_short_d16_hi v0, v12, s[0:1]
	s_mov_b32 s2, 0x7f800000
	v_and_b32_e32 v12, 0x7f800000, v21
	v_mov_b32_e32 v1, 0
	v_cmp_ne_u32_e32 vcc, s2, v12
                                        ; implicit-def: $vgpr12
	s_and_saveexec_b64 s[2:3], vcc
	s_xor_b64 s[2:3], exec, s[2:3]
; %bb.519:
	v_bfe_u32 v12, v21, 16, 1
	s_movk_i32 s4, 0x7fff
	v_add3_u32 v12, v21, v12, s4
                                        ; implicit-def: $vgpr20_vgpr21
; %bb.520:
	s_or_saveexec_b64 s[2:3], s[2:3]
	v_lshl_add_u64 v[0:1], s[0:1], 0, v[0:1]
	s_xor_b64 exec, exec, s[2:3]
; %bb.521:
	v_mov_b32_e32 v12, 0
	v_or_b32_e32 v13, 0x10000, v21
	v_cmp_eq_u32_sdwa vcc, v21, v12 src0_sel:WORD_0 src1_sel:DWORD
	s_nop 1
	v_cndmask_b32_e32 v12, v13, v21, vcc
; %bb.522:
	s_or_b64 exec, exec, s[2:3]
	global_store_short_d16_hi v[0:1], v12, off offset:32
	s_mov_b32 s0, 0x7f800000
	v_and_b32_e32 v12, 0x7f800000, v10
	v_cmp_ne_u32_e32 vcc, s0, v12
                                        ; implicit-def: $vgpr12
	s_and_saveexec_b64 s[0:1], vcc
	s_xor_b64 s[0:1], exec, s[0:1]
; %bb.523:
	v_bfe_u32 v12, v10, 16, 1
	s_movk_i32 s2, 0x7fff
	v_add3_u32 v12, v10, v12, s2
; %bb.524:
	s_andn2_saveexec_b64 s[0:1], s[0:1]
; %bb.525:
	v_mov_b32_e32 v12, 0
	v_or_b32_e32 v13, 0x10000, v10
	v_cmp_eq_u32_sdwa vcc, v10, v12 src0_sel:WORD_0 src1_sel:DWORD
	s_nop 1
	v_cndmask_b32_e32 v12, v13, v10, vcc
; %bb.526:
	s_or_b64 exec, exec, s[0:1]
	s_mov_b32 s0, 0x7f800000
	v_and_b32_e32 v10, 0x7f800000, v11
	v_cmp_ne_u32_e32 vcc, s0, v10
	global_store_short_d16_hi v[0:1], v12, off offset:64
                                        ; implicit-def: $vgpr12
	s_and_saveexec_b64 s[0:1], vcc
	s_xor_b64 s[0:1], exec, s[0:1]
; %bb.527:
	v_bfe_u32 v10, v11, 16, 1
	s_movk_i32 s2, 0x7fff
	v_add3_u32 v12, v11, v10, s2
                                        ; implicit-def: $vgpr10_vgpr11
; %bb.528:
	s_andn2_saveexec_b64 s[0:1], s[0:1]
; %bb.529:
	v_mov_b32_e32 v10, 0
	v_or_b32_e32 v12, 0x10000, v11
	v_cmp_eq_u32_sdwa vcc, v11, v10 src0_sel:WORD_0 src1_sel:DWORD
	s_nop 1
	v_cndmask_b32_e32 v12, v12, v11, vcc
; %bb.530:
	s_or_b64 exec, exec, s[0:1]
	s_mov_b32 s0, 0x7f800000
	v_and_b32_e32 v10, 0x7f800000, v8
	v_cmp_ne_u32_e32 vcc, s0, v10
	global_store_short_d16_hi v[0:1], v12, off offset:96
                                        ; implicit-def: $vgpr10
	s_and_saveexec_b64 s[0:1], vcc
	s_xor_b64 s[0:1], exec, s[0:1]
; %bb.531:
	v_bfe_u32 v10, v8, 16, 1
	s_movk_i32 s2, 0x7fff
	v_add3_u32 v10, v8, v10, s2
; %bb.532:
	s_andn2_saveexec_b64 s[0:1], s[0:1]
; %bb.533:
	v_mov_b32_e32 v10, 0
	v_or_b32_e32 v11, 0x10000, v8
	v_cmp_eq_u32_sdwa vcc, v8, v10 src0_sel:WORD_0 src1_sel:DWORD
	s_nop 1
	v_cndmask_b32_e32 v10, v11, v8, vcc
; %bb.534:
	s_or_b64 exec, exec, s[0:1]
	s_mov_b32 s0, 0x7f800000
	v_and_b32_e32 v8, 0x7f800000, v9
	v_cmp_ne_u32_e32 vcc, s0, v8
	global_store_short_d16_hi v[0:1], v10, off offset:128
                                        ; implicit-def: $vgpr10
	s_and_saveexec_b64 s[0:1], vcc
	s_xor_b64 s[0:1], exec, s[0:1]
; %bb.535:
	v_bfe_u32 v8, v9, 16, 1
	s_movk_i32 s2, 0x7fff
	v_add3_u32 v10, v9, v8, s2
                                        ; implicit-def: $vgpr8_vgpr9
; %bb.536:
	s_andn2_saveexec_b64 s[0:1], s[0:1]
; %bb.537:
	v_mov_b32_e32 v8, 0
	v_or_b32_e32 v10, 0x10000, v9
	v_cmp_eq_u32_sdwa vcc, v9, v8 src0_sel:WORD_0 src1_sel:DWORD
	s_nop 1
	v_cndmask_b32_e32 v10, v10, v9, vcc
; %bb.538:
	s_or_b64 exec, exec, s[0:1]
	s_mov_b32 s0, 0x7f800000
	v_and_b32_e32 v8, 0x7f800000, v6
	v_cmp_ne_u32_e32 vcc, s0, v8
	global_store_short_d16_hi v[0:1], v10, off offset:160
                                        ; implicit-def: $vgpr8
	s_and_saveexec_b64 s[0:1], vcc
	s_xor_b64 s[0:1], exec, s[0:1]
; %bb.539:
	v_bfe_u32 v8, v6, 16, 1
	s_movk_i32 s2, 0x7fff
	v_add3_u32 v8, v6, v8, s2
; %bb.540:
	s_andn2_saveexec_b64 s[0:1], s[0:1]
; %bb.541:
	v_mov_b32_e32 v8, 0
	v_or_b32_e32 v9, 0x10000, v6
	v_cmp_eq_u32_sdwa vcc, v6, v8 src0_sel:WORD_0 src1_sel:DWORD
	s_nop 1
	v_cndmask_b32_e32 v8, v9, v6, vcc
; %bb.542:
	s_or_b64 exec, exec, s[0:1]
	s_mov_b32 s0, 0x7f800000
	v_and_b32_e32 v6, 0x7f800000, v7
	v_cmp_ne_u32_e32 vcc, s0, v6
	global_store_short_d16_hi v[0:1], v8, off offset:192
                                        ; implicit-def: $vgpr8
	s_and_saveexec_b64 s[0:1], vcc
	s_xor_b64 s[0:1], exec, s[0:1]
; %bb.543:
	v_bfe_u32 v6, v7, 16, 1
	s_movk_i32 s2, 0x7fff
	v_add3_u32 v8, v7, v6, s2
                                        ; implicit-def: $vgpr6_vgpr7
; %bb.544:
	s_andn2_saveexec_b64 s[0:1], s[0:1]
; %bb.545:
	v_mov_b32_e32 v6, 0
	v_or_b32_e32 v8, 0x10000, v7
	v_cmp_eq_u32_sdwa vcc, v7, v6 src0_sel:WORD_0 src1_sel:DWORD
	s_nop 1
	v_cndmask_b32_e32 v8, v8, v7, vcc
; %bb.546:
	s_or_b64 exec, exec, s[0:1]
	s_mov_b32 s0, 0x7f800000
	v_and_b32_e32 v6, 0x7f800000, v2
	v_cmp_ne_u32_e32 vcc, s0, v6
	global_store_short_d16_hi v[0:1], v8, off offset:224
                                        ; implicit-def: $vgpr6
	s_and_saveexec_b64 s[0:1], vcc
	s_xor_b64 s[0:1], exec, s[0:1]
; %bb.547:
	v_bfe_u32 v6, v2, 16, 1
	s_movk_i32 s2, 0x7fff
	v_add3_u32 v6, v2, v6, s2
; %bb.548:
	s_andn2_saveexec_b64 s[0:1], s[0:1]
; %bb.549:
	v_mov_b32_e32 v6, 0
	v_or_b32_e32 v7, 0x10000, v2
	v_cmp_eq_u32_sdwa vcc, v2, v6 src0_sel:WORD_0 src1_sel:DWORD
	s_nop 1
	v_cndmask_b32_e32 v6, v7, v2, vcc
; %bb.550:
	s_or_b64 exec, exec, s[0:1]
	s_mov_b32 s0, 0x7f800000
	v_and_b32_e32 v2, 0x7f800000, v3
	v_cmp_ne_u32_e32 vcc, s0, v2
	global_store_short_d16_hi v[0:1], v6, off offset:256
                                        ; implicit-def: $vgpr6
	s_and_saveexec_b64 s[0:1], vcc
	s_xor_b64 s[0:1], exec, s[0:1]
; %bb.551:
	v_bfe_u32 v2, v3, 16, 1
	s_movk_i32 s2, 0x7fff
	v_add3_u32 v6, v3, v2, s2
                                        ; implicit-def: $vgpr2_vgpr3
; %bb.552:
	s_andn2_saveexec_b64 s[0:1], s[0:1]
; %bb.553:
	v_mov_b32_e32 v2, 0
	v_or_b32_e32 v6, 0x10000, v3
	v_cmp_eq_u32_sdwa vcc, v3, v2 src0_sel:WORD_0 src1_sel:DWORD
	s_nop 1
	v_cndmask_b32_e32 v6, v6, v3, vcc
; %bb.554:
	s_or_b64 exec, exec, s[0:1]
	s_mov_b32 s0, 0x7f800000
	v_and_b32_e32 v2, 0x7f800000, v4
	v_cmp_ne_u32_e32 vcc, s0, v2
	global_store_short_d16_hi v[0:1], v6, off offset:288
                                        ; implicit-def: $vgpr2
	s_and_saveexec_b64 s[0:1], vcc
	s_xor_b64 s[0:1], exec, s[0:1]
; %bb.555:
	v_bfe_u32 v2, v4, 16, 1
	s_movk_i32 s2, 0x7fff
	v_add3_u32 v2, v4, v2, s2
; %bb.556:
	s_andn2_saveexec_b64 s[0:1], s[0:1]
; %bb.557:
	v_mov_b32_e32 v2, 0
	v_or_b32_e32 v3, 0x10000, v4
	v_cmp_eq_u32_sdwa vcc, v4, v2 src0_sel:WORD_0 src1_sel:DWORD
	s_nop 1
	v_cndmask_b32_e32 v2, v3, v4, vcc
; %bb.558:
	s_or_b64 exec, exec, s[0:1]
	global_store_short_d16_hi v[0:1], v2, off offset:320
	s_mov_b32 s0, 0x7f800000
	v_and_b32_e32 v2, 0x7f800000, v5
	v_cmp_ne_u32_e32 vcc, s0, v2
                                        ; implicit-def: $vgpr2
	s_and_saveexec_b64 s[0:1], vcc
	s_xor_b64 s[0:1], exec, s[0:1]
; %bb.559:
	v_bfe_u32 v2, v5, 16, 1
	s_movk_i32 s2, 0x7fff
	v_add3_u32 v2, v5, v2, s2
                                        ; implicit-def: $vgpr4_vgpr5
; %bb.560:
	s_andn2_saveexec_b64 s[0:1], s[0:1]
; %bb.561:
	v_mov_b32_e32 v2, 0
	v_or_b32_e32 v3, 0x10000, v5
	v_cmp_eq_u32_sdwa vcc, v5, v2 src0_sel:WORD_0 src1_sel:DWORD
	s_nop 1
	v_cndmask_b32_e32 v2, v3, v5, vcc
; %bb.562:
	s_or_b64 exec, exec, s[0:1]
	global_store_short_d16_hi v[0:1], v2, off offset:352
.LBB178_563:
	s_endpgm
.LBB178_564:
	v_mov_b32_e32 v1, 0x190
	v_lshl_add_u32 v1, v0, 2, v1
	ds_read_b32 v1, v1
	s_waitcnt lgkmcnt(0)
	v_add_f32_e32 v20, v20, v1
	s_or_b64 exec, exec, s[6:7]
	s_and_saveexec_b64 s[6:7], s[0:1]
	s_cbranch_execz .LBB178_500
.LBB178_565:
	v_mov_b32_e32 v1, 0x190
	v_lshl_add_u32 v1, v0, 2, v1
	ds_read_b32 v1, v1 offset:64
	s_waitcnt lgkmcnt(0)
	v_add_f32_e32 v21, v21, v1
	s_or_b64 exec, exec, s[6:7]
	s_and_saveexec_b64 s[6:7], s[0:1]
	s_cbranch_execz .LBB178_501
.LBB178_566:
	v_mov_b32_e32 v1, 0x190
	v_lshl_add_u32 v1, v0, 2, v1
	ds_read_b32 v1, v1 offset:128
	s_waitcnt lgkmcnt(0)
	v_add_f32_e32 v10, v10, v1
	s_or_b64 exec, exec, s[6:7]
	s_and_saveexec_b64 s[6:7], s[0:1]
	s_cbranch_execz .LBB178_502
.LBB178_567:
	v_mov_b32_e32 v1, 0x190
	v_lshl_add_u32 v1, v0, 2, v1
	ds_read_b32 v1, v1 offset:192
	s_waitcnt lgkmcnt(0)
	v_add_f32_e32 v11, v11, v1
	s_or_b64 exec, exec, s[6:7]
	s_and_saveexec_b64 s[6:7], s[0:1]
	s_cbranch_execz .LBB178_503
.LBB178_568:
	v_mov_b32_e32 v1, 0x190
	v_lshl_add_u32 v1, v0, 2, v1
	ds_read_b32 v1, v1 offset:256
	s_waitcnt lgkmcnt(0)
	v_add_f32_e32 v8, v8, v1
	s_or_b64 exec, exec, s[6:7]
	s_and_saveexec_b64 s[6:7], s[0:1]
	s_cbranch_execz .LBB178_504
.LBB178_569:
	v_mov_b32_e32 v1, 0x190
	v_lshl_add_u32 v1, v0, 2, v1
	ds_read_b32 v1, v1 offset:320
	s_waitcnt lgkmcnt(0)
	v_add_f32_e32 v9, v9, v1
	s_or_b64 exec, exec, s[6:7]
	s_and_saveexec_b64 s[6:7], s[0:1]
	s_cbranch_execz .LBB178_505
.LBB178_570:
	v_mov_b32_e32 v1, 0x190
	v_lshl_add_u32 v1, v0, 2, v1
	ds_read_b32 v1, v1 offset:384
	s_waitcnt lgkmcnt(0)
	v_add_f32_e32 v6, v6, v1
	s_or_b64 exec, exec, s[6:7]
	s_and_saveexec_b64 s[6:7], s[0:1]
	s_cbranch_execz .LBB178_506
.LBB178_571:
	v_mov_b32_e32 v1, 0x190
	v_lshl_add_u32 v1, v0, 2, v1
	ds_read_b32 v1, v1 offset:448
	s_waitcnt lgkmcnt(0)
	v_add_f32_e32 v7, v7, v1
	s_or_b64 exec, exec, s[6:7]
	s_and_saveexec_b64 s[6:7], s[0:1]
	s_cbranch_execz .LBB178_507
.LBB178_572:
	v_mov_b32_e32 v1, 0x190
	v_lshl_add_u32 v1, v0, 2, v1
	ds_read_b32 v1, v1 offset:512
	s_waitcnt lgkmcnt(0)
	v_add_f32_e32 v2, v2, v1
	s_or_b64 exec, exec, s[6:7]
	s_and_saveexec_b64 s[6:7], s[0:1]
	s_cbranch_execz .LBB178_508
.LBB178_573:
	v_mov_b32_e32 v1, 0x190
	v_lshl_add_u32 v1, v0, 2, v1
	ds_read_b32 v1, v1 offset:576
	s_waitcnt lgkmcnt(0)
	v_add_f32_e32 v3, v3, v1
	s_or_b64 exec, exec, s[6:7]
	s_and_saveexec_b64 s[6:7], s[0:1]
	s_cbranch_execz .LBB178_509
.LBB178_574:
	v_mov_b32_e32 v1, 0x190
	v_lshl_add_u32 v1, v0, 2, v1
	ds_read_b32 v1, v1 offset:640
	s_waitcnt lgkmcnt(0)
	v_add_f32_e32 v4, v4, v1
	s_or_b64 exec, exec, s[6:7]
	s_and_saveexec_b64 s[6:7], s[0:1]
	s_cbranch_execnz .LBB178_510
	s_branch .LBB178_511
	.section	.rodata,"a",@progbits
	.p2align	6, 0x0
	.amdhsa_kernel _ZN4vllm25paged_attention_v2_kernelI14__hip_bfloat16S1_Li192ELi32ELi128ELNS_18Fp8KVCacheDataTypeE0ELb1ELi512EEEvPfS3_PT_PKS4_PKT0_SA_ifPKiSC_iPKfiiiSE_SE_iiiii
		.amdhsa_group_segment_fixed_size 400
		.amdhsa_private_segment_fixed_size 76
		.amdhsa_kernarg_size 400
		.amdhsa_user_sgpr_count 2
		.amdhsa_user_sgpr_dispatch_ptr 0
		.amdhsa_user_sgpr_queue_ptr 0
		.amdhsa_user_sgpr_kernarg_segment_ptr 1
		.amdhsa_user_sgpr_dispatch_id 0
		.amdhsa_user_sgpr_kernarg_preload_length 0
		.amdhsa_user_sgpr_kernarg_preload_offset 0
		.amdhsa_user_sgpr_private_segment_size 0
		.amdhsa_uses_dynamic_stack 0
		.amdhsa_enable_private_segment 1
		.amdhsa_system_sgpr_workgroup_id_x 1
		.amdhsa_system_sgpr_workgroup_id_y 1
		.amdhsa_system_sgpr_workgroup_id_z 1
		.amdhsa_system_sgpr_workgroup_info 0
		.amdhsa_system_vgpr_workitem_id 0
		.amdhsa_next_free_vgpr 128
		.amdhsa_next_free_sgpr 54
		.amdhsa_accum_offset 128
		.amdhsa_reserve_vcc 1
		.amdhsa_float_round_mode_32 0
		.amdhsa_float_round_mode_16_64 0
		.amdhsa_float_denorm_mode_32 3
		.amdhsa_float_denorm_mode_16_64 3
		.amdhsa_dx10_clamp 1
		.amdhsa_ieee_mode 1
		.amdhsa_fp16_overflow 0
		.amdhsa_tg_split 0
		.amdhsa_exception_fp_ieee_invalid_op 0
		.amdhsa_exception_fp_denorm_src 0
		.amdhsa_exception_fp_ieee_div_zero 0
		.amdhsa_exception_fp_ieee_overflow 0
		.amdhsa_exception_fp_ieee_underflow 0
		.amdhsa_exception_fp_ieee_inexact 0
		.amdhsa_exception_int_div_zero 0
	.end_amdhsa_kernel
	.section	.text._ZN4vllm25paged_attention_v2_kernelI14__hip_bfloat16S1_Li192ELi32ELi128ELNS_18Fp8KVCacheDataTypeE0ELb1ELi512EEEvPfS3_PT_PKS4_PKT0_SA_ifPKiSC_iPKfiiiSE_SE_iiiii,"axG",@progbits,_ZN4vllm25paged_attention_v2_kernelI14__hip_bfloat16S1_Li192ELi32ELi128ELNS_18Fp8KVCacheDataTypeE0ELb1ELi512EEEvPfS3_PT_PKS4_PKT0_SA_ifPKiSC_iPKfiiiSE_SE_iiiii,comdat
.Lfunc_end178:
	.size	_ZN4vllm25paged_attention_v2_kernelI14__hip_bfloat16S1_Li192ELi32ELi128ELNS_18Fp8KVCacheDataTypeE0ELb1ELi512EEEvPfS3_PT_PKS4_PKT0_SA_ifPKiSC_iPKfiiiSE_SE_iiiii, .Lfunc_end178-_ZN4vllm25paged_attention_v2_kernelI14__hip_bfloat16S1_Li192ELi32ELi128ELNS_18Fp8KVCacheDataTypeE0ELb1ELi512EEEvPfS3_PT_PKS4_PKT0_SA_ifPKiSC_iPKfiiiSE_SE_iiiii
                                        ; -- End function
	.section	.AMDGPU.csdata,"",@progbits
; Kernel info:
; codeLenInByte = 20872
; NumSgprs: 60
; NumVgprs: 128
; NumAgprs: 0
; TotalNumVgprs: 128
; ScratchSize: 76
; MemoryBound: 0
; FloatMode: 240
; IeeeMode: 1
; LDSByteSize: 400 bytes/workgroup (compile time only)
; SGPRBlocks: 7
; VGPRBlocks: 15
; NumSGPRsForWavesPerEU: 60
; NumVGPRsForWavesPerEU: 128
; AccumOffset: 128
; Occupancy: 4
; WaveLimiterHint : 1
; COMPUTE_PGM_RSRC2:SCRATCH_EN: 1
; COMPUTE_PGM_RSRC2:USER_SGPR: 2
; COMPUTE_PGM_RSRC2:TRAP_HANDLER: 0
; COMPUTE_PGM_RSRC2:TGID_X_EN: 1
; COMPUTE_PGM_RSRC2:TGID_Y_EN: 1
; COMPUTE_PGM_RSRC2:TGID_Z_EN: 1
; COMPUTE_PGM_RSRC2:TIDIG_COMP_CNT: 0
; COMPUTE_PGM_RSRC3_GFX90A:ACCUM_OFFSET: 31
; COMPUTE_PGM_RSRC3_GFX90A:TG_SPLIT: 0
	.text
	.p2align	2                               ; -- Begin function _ZN4vllm22paged_attention_kernelI14__hip_bfloat16S1_Li256ELi32ELi128ELNS_18Fp8KVCacheDataTypeE0ELb1ELi512EEEvPfS3_PT_PKS4_PKT0_SA_ifPKiSC_iPKfiiiSE_SE_iiiii
	.type	_ZN4vllm22paged_attention_kernelI14__hip_bfloat16S1_Li256ELi32ELi128ELNS_18Fp8KVCacheDataTypeE0ELb1ELi512EEEvPfS3_PT_PKS4_PKT0_SA_ifPKiSC_iPKfiiiSE_SE_iiiii,@function
_ZN4vllm22paged_attention_kernelI14__hip_bfloat16S1_Li256ELi32ELi128ELNS_18Fp8KVCacheDataTypeE0ELb1ELi512EEEvPfS3_PT_PKS4_PKT0_SA_ifPKiSC_iPKfiiiSE_SE_iiiii: ; @_ZN4vllm22paged_attention_kernelI14__hip_bfloat16S1_Li256ELi32ELi128ELNS_18Fp8KVCacheDataTypeE0ELb1ELi512EEEvPfS3_PT_PKS4_PKT0_SA_ifPKiSC_iPKfiiiSE_SE_iiiii
; %bb.0:
	s_waitcnt vmcnt(0) expcnt(0) lgkmcnt(0)
	s_or_saveexec_b64 s[0:1], -1
	scratch_store_dword off, v63, s32 offset:536 ; 4-byte Folded Spill
	s_mov_b64 exec, s[0:1]
	scratch_store_dword off, v40, s32 offset:184 ; 4-byte Folded Spill
	scratch_store_dword off, v41, s32 offset:180 ; 4-byte Folded Spill
	;; [unrolled: 1-line block ×46, first 2 shown]
	scratch_store_dword off, a63, s32       ; 4-byte Folded Spill
	v_writelane_b32 v63, s34, 0
	v_writelane_b32 v63, s35, 1
	;; [unrolled: 1-line block ×5, first 2 shown]
	s_nop 1
	v_writelane_b32 v63, s31, 5
	s_mov_b32 s18, s13
	s_ashr_i32 s19, s13, 31
	v_mov_b32_e32 v39, v1
	v_mov_b32_e32 v38, v0
	v_lshl_add_u64 v[0:1], s[18:19], 2, v[16:17]
	flat_load_dword v62, v[0:1]
	s_mov_b32 s22, s15
	s_lshl_b32 s15, s14, 9
	v_mov_b32_e32 v33, v20
	v_mov_b32_e32 v32, v19
	;; [unrolled: 1-line block ×4, first 2 shown]
	v_accvgpr_write_b32 a17, v13
	v_mov_b32_e32 v37, v11
	v_mov_b32_e32 v36, v10
	;; [unrolled: 1-line block ×4, first 2 shown]
	scratch_store_dwordx2 off, v[22:23], s32 offset:216 ; 8-byte Folded Spill
	scratch_store_dwordx2 off, v[4:5], s32 offset:512 ; 8-byte Folded Spill
	s_waitcnt vmcnt(0) lgkmcnt(0)
	v_cmp_lt_i32_e32 vcc, s15, v62
	s_and_saveexec_b64 s[16:17], vcc
	s_cbranch_execz .LBB179_718
; %bb.1:
	v_sub_u32_e32 v0, 0, v12
	v_max_i32_e32 v0, v12, v0
	v_cvt_f32_u32_e32 v1, v0
	s_load_dword s0, s[8:9], 0x10
	s_load_dword s2, s[8:9], 0x0
	v_sub_u32_e32 v3, 0, v0
	v_rcp_iflag_f32_e32 v1, v1
	s_waitcnt lgkmcnt(0)
	s_lshr_b32 s0, s0, 16
	s_cmp_lg_u32 s0, 0
	s_cselect_b64 s[0:1], -1, 0
	v_mul_f32_e32 v1, 0x4f7ffffe, v1
	v_cvt_u32_f32_e32 v1, v1
	s_cmp_lg_u64 s[0:1], 0
	s_addc_u32 s19, s2, 0
	s_abs_i32 s0, s19
	v_mul_lo_u32 v3, v3, v1
	v_mul_hi_u32 v3, v1, v3
	v_add_u32_e32 v1, v1, v3
	v_mul_hi_u32 v1, s0, v1
	v_mul_lo_u32 v3, v1, v0
	v_sub_u32_e32 v3, s0, v3
	v_add_u32_e32 v4, 1, v1
	v_cmp_ge_u32_e32 vcc, v3, v0
	v_xor_b32_e32 v2, s19, v12
	v_ashrrev_i32_e32 v2, 31, v2
	v_cndmask_b32_e32 v1, v1, v4, vcc
	v_sub_u32_e32 v4, v3, v0
	v_cndmask_b32_e32 v3, v3, v4, vcc
	v_add_u32_e32 v4, 1, v1
	v_cmp_ge_u32_e32 vcc, v3, v0
	s_abs_i32 s6, s12
	s_nop 0
	v_cndmask_b32_e32 v0, v1, v4, vcc
	v_xor_b32_e32 v0, v0, v2
	v_sub_u32_e32 v1, v0, v2
	v_sub_u32_e32 v0, 0, v1
	v_max_i32_e32 v0, v1, v0
	v_cvt_f32_u32_e32 v2, v0
	v_sub_u32_e32 v3, 0, v0
	v_cmp_ne_u64_e32 vcc, 0, v[32:33]
	v_rcp_iflag_f32_e32 v2, v2
	s_nop 0
	v_mul_f32_e32 v2, 0x4f7ffffe, v2
	v_cvt_u32_f32_e32 v2, v2
	v_mul_lo_u32 v3, v3, v2
	v_mul_hi_u32 v3, v2, v3
	v_add_u32_e32 v2, v2, v3
	v_mad_u64_u32 v[4:5], s[0:1], s6, v2, 0
	v_mov_b32_e32 v2, 0
	scratch_store_dword off, v2, s32 offset:208 ; 4-byte Folded Spill
	s_and_saveexec_b64 s[0:1], vcc
	s_cbranch_execz .LBB179_3
; %bb.2:
	s_ashr_i32 s13, s12, 31
	v_lshl_add_u64 v[2:3], s[12:13], 2, v[32:33]
	flat_load_dword v2, v[2:3]
	s_waitcnt vmcnt(0) lgkmcnt(0)
	scratch_store_dword off, v2, s32 offset:208 ; 4-byte Folded Spill
.LBB179_3:
	s_or_b64 exec, exec, s[0:1]
	v_and_b32_e32 v14, 0x3ff, v31
	s_ashr_i32 s7, s12, 31
	v_ashrrev_i32_e32 v2, 31, v1
	v_and_b32_e32 v1, 1, v14
	s_lshl_b32 s20, s12, 8
	v_cmp_lt_u32_e64 s[2:3], 63, v14
	v_cmp_gt_u32_e64 s[0:1], 64, v14
	v_lshlrev_b32_e32 v30, 3, v14
	s_and_saveexec_b64 s[4:5], s[0:1]
	s_cbranch_execz .LBB179_5
; %bb.4:
	v_mul_lo_u32 v10, s18, v21
	v_ashrrev_i32_e32 v11, 31, v10
	v_lshl_add_u64 v[6:7], v[10:11], 1, v[6:7]
	s_ashr_i32 s21, s20, 31
	v_lshl_add_u64 v[6:7], s[20:21], 1, v[6:7]
	v_mov_b32_e32 v31, 0
	v_lshl_add_u64 v[6:7], v[6:7], 0, v[30:31]
	flat_load_dwordx2 v[6:7], v[6:7]
	v_lshlrev_b32_e32 v3, 2, v14
	v_and_b32_e32 v3, 0xff8, v3
	v_lshl_add_u32 v3, v1, 8, v3
	s_waitcnt vmcnt(0) lgkmcnt(0)
	ds_write_b64 v3, v[6:7]
.LBB179_5:
	s_or_b64 exec, exec, s[4:5]
	v_mul_lo_u32 v3, v5, v0
	v_sub_u32_e32 v3, s6, v3
	v_add_u32_e32 v4, 1, v5
	v_cmp_ge_u32_e32 vcc, v3, v0
	v_xor_b32_e32 v2, s7, v2
	s_waitcnt lgkmcnt(0)
	v_cndmask_b32_e32 v4, v5, v4, vcc
	v_sub_u32_e32 v5, v3, v0
	v_cndmask_b32_e32 v3, v3, v5, vcc
	v_add_u32_e32 v5, 1, v4
	v_cmp_ge_u32_e32 vcc, v3, v0
	v_sub_u32_e32 v3, 0, v27
	s_barrier
	v_cndmask_b32_e32 v0, v4, v5, vcc
	v_max_i32_e32 v5, v27, v3
	v_cvt_f32_u32_e32 v3, v5
	v_xor_b32_e32 v0, v0, v2
	v_sub_u32_e32 v4, v0, v2
	v_rcp_iflag_f32_e32 v0, v3
	scratch_store_dword off, v5, s32 offset:188 ; 4-byte Folded Spill
	v_sub_u32_e32 v5, 0, v5
	v_add_u32_e32 v2, -1, v62
	v_mul_f32_e32 v0, 0x4f7ffffe, v0
	v_cvt_u32_f32_e32 v3, v0
	v_sub_u32_e32 v0, 0, v2
	v_max_i32_e32 v0, v2, v0
	v_cmp_gt_i32_e32 vcc, 0, v28
	v_mul_lo_u32 v5, v5, v3
	v_mul_hi_u32 v5, v3, v5
	v_add_u32_e32 v3, v3, v5
	v_mad_u64_u32 v[6:7], s[4:5], v0, v3, 0
	scratch_store_dword off, v3, s32 offset:200 ; 4-byte Folded Spill
                                        ; implicit-def: $agpr6
	s_and_saveexec_b64 s[4:5], vcc
	s_xor_b64 s[4:5], exec, s[4:5]
; %bb.6:
	v_mad_u64_u32 v[10:11], s[6:7], v24, v12, v[4:5]
	v_mul_lo_u32 v3, v10, v28
	v_sub_u32_e32 v6, 1, v3
	v_accvgpr_write_b32 a6, v6
                                        ; implicit-def: $vgpr24
                                        ; implicit-def: $vgpr28
; %bb.7:
	s_or_saveexec_b64 s[4:5], s[4:5]
	v_ashrrev_i32_e32 v2, 31, v2
	v_ashrrev_i32_e32 v3, 31, v27
	scratch_store_dword off, v3, s32 offset:192 ; 4-byte Folded Spill
	s_xor_b64 exec, exec, s[4:5]
; %bb.8:
	v_mul_lo_u32 v3, s19, v24
	v_add_u32_e32 v3, s12, v3
	v_mad_u64_u32 v[10:11], s[6:7], v3, v28, 1
	v_accvgpr_write_b32 a6, v10
; %bb.9:
	s_or_b64 exec, exec, s[4:5]
	s_load_dword s34, s[8:9], 0x14
	s_load_dword s13, s[8:9], 0x8
	scratch_load_dword v3, off, s32 offset:192 ; 4-byte Folded Reload
	scratch_load_dword v6, off, s32 offset:188 ; 4-byte Folded Reload
	s_lshl_b32 s21, s14, 4
	v_lshrrev_b32_e32 v21, 6, v14
	s_add_i32 s4, s21, 16
	v_mul_lo_u32 v32, s18, v18
	v_mul_lo_u32 v50, v4, v23
	v_ashrrev_i32_e32 v33, 31, v32
	v_mov_b32_e32 v13, 0xff7fffff
	v_ashrrev_i32_e32 v51, 31, v50
	v_sub_u32_e32 v20, 0, v26
	s_waitcnt vmcnt(1)
	v_xor_b32_e32 v2, v2, v3
	s_waitcnt vmcnt(0)
	v_mul_lo_u32 v3, v7, v6
	v_sub_u32_e32 v0, v0, v3
	v_add_u32_e32 v3, 1, v7
	v_cmp_ge_u32_e32 vcc, v0, v6
	v_sub_u32_e32 v5, v0, v6
	s_nop 0
	v_cndmask_b32_e32 v3, v7, v3, vcc
	v_cndmask_b32_e32 v0, v0, v5, vcc
	v_add_u32_e32 v5, 1, v3
	v_cmp_ge_u32_e32 vcc, v0, v6
	v_or_b32_e32 v6, s21, v21
	v_ashrrev_i32_e32 v7, 31, v6
	v_cndmask_b32_e32 v0, v3, v5, vcc
	v_xor_b32_e32 v0, v0, v2
	v_sub_u32_e32 v0, v0, v2
	v_add_u32_e32 v2, 31, v62
	v_ashrrev_i32_e32 v3, 31, v2
	v_lshrrev_b32_e32 v3, 27, v3
	v_add_u32_e32 v2, v2, v3
	v_ashrrev_i32_e32 v29, 5, v2
	v_min_i32_e32 v2, s4, v29
	v_accvgpr_write_b32 a11, v7
	v_cmp_lt_i32_e64 s[4:5], v6, v2
	v_sub_u32_e32 v0, v0, v25
	v_accvgpr_write_b32 a10, v6
	v_mbcnt_lo_u32_b32 v6, -1, 0
	scratch_store_dword off, v2, s32 offset:196 ; 4-byte Folded Spill
	scratch_store_dword off, v0, s32 offset:204 ; 4-byte Folded Spill
	v_lshl_add_u32 v0, v21, 5, s15
	s_mov_b64 s[24:25], exec
	s_and_b64 s[6:7], s[24:25], s[4:5]
	v_accvgpr_write_b32 a12, v0
	scratch_store_dword off, v14, s32 offset:508 ; 4-byte Folded Spill
	s_mov_b64 exec, s[6:7]
	s_cbranch_execz .LBB179_19
; %bb.10:
	v_cmp_eq_u32_e32 vcc, 0, v1
	v_lshlrev_b32_e32 v1, 8, v1
	v_accvgpr_write_b32 a27, v1
	scratch_load_dword v1, off, s32 offset:208 ; 4-byte Folded Reload
	v_lshl_add_u64 v[2:3], v[50:51], 1, v[8:9]
	v_max_i32_e32 v8, v26, v20
	v_cvt_f32_u32_e32 v0, v8
	v_bfe_u32 v7, v14, 1, 5
	v_lshlrev_b32_e32 v4, 4, v7
	v_mov_b32_e32 v5, 0
	v_rcp_iflag_f32_e32 v0, v0
	v_lshl_add_u64 v[2:3], v[2:3], 0, v[4:5]
	v_and_b32_e32 v4, 8, v30
	s_ashr_i32 s23, s22, 31
	v_mul_f32_e32 v0, 0x4f7ffffe, v0
	v_cvt_u32_f32_e32 v0, v0
	v_lshl_add_u64 v[2:3], v[2:3], 0, v[4:5]
	s_lshl_b64 s[8:9], s[22:23], 2
	v_accvgpr_read_b32 v4, a10
	s_getpc_b64 s[10:11]
	s_add_u32 s10, s10, llvm.amdgcn.dynlds.offset.table@rel32@lo+4
	s_addc_u32 s11, s11, llvm.amdgcn.dynlds.offset.table@rel32@hi+12
	v_accvgpr_read_b32 v5, a11
	s_add_u32 s26, s8, s10
	s_addc_u32 s27, s9, s11
	s_load_dword s23, s[26:27], 0x0
	v_accvgpr_write_b32 a14, v48
	v_accvgpr_write_b32 a8, v38
	;; [unrolled: 1-line block ×18, first 2 shown]
	v_lshl_add_u32 v2, v21, 5, s15
	v_accvgpr_write_b32 a3, v21
	v_accvgpr_write_b32 a23, v7
	s_mov_b64 s[28:29], 0
	s_movk_i32 s35, 0x1000
	s_movk_i32 s36, 0x2000
	;; [unrolled: 1-line block ×3, first 2 shown]
	v_accvgpr_write_b32 a22, v6
	v_mov_b32_e32 v13, 0xff7fffff
	v_mov_b32_e32 v24, v4
	s_waitcnt vmcnt(0)
	v_cmp_neq_f32_e64 s[6:7], 0, v1
	v_sub_u32_e32 v1, 0, v8
	v_mul_lo_u32 v1, v1, v0
	v_mul_hi_u32 v1, v0, v1
	v_add_u32_e32 v10, v0, v1
	v_lshlrev_b64 v[0:1], 2, v[4:5]
	v_lshl_add_u64 v[0:1], v[32:33], 2, v[0:1]
	v_lshl_add_u64 v[42:43], v[34:35], 0, v[0:1]
	v_lshlrev_b32_e32 v0, 2, v7
	v_lshl_or_b32 v15, v21, 7, v0
	v_sub_u32_e32 v0, v7, v62
	v_add_u32_e32 v0, 1, v0
	v_accvgpr_write_b32 a29, v0
	v_mbcnt_hi_u32_b32 v0, -1, v6
	v_accvgpr_write_b32 a31, v0
	s_branch .LBB179_13
.LBB179_11:                             ;   in Loop: Header=BB179_13 Depth=1
	s_or_b64 exec, exec, s[30:31]
	v_accvgpr_read_b32 v8, a26
	v_accvgpr_read_b32 v10, a30
.LBB179_12:                             ;   in Loop: Header=BB179_13 Depth=1
	s_or_b64 exec, exec, s[10:11]
	scratch_load_dword v0, off, s32 offset:196 ; 4-byte Folded Reload
	v_add_u32_e32 v24, 2, v24
	v_lshl_add_u64 v[42:43], v[42:43], 0, 8
	v_add_u32_e32 v2, 64, v2
	v_add_u32_e32 v15, 0x100, v15
	s_waitcnt vmcnt(0)
	v_cmp_ge_i32_e64 s[8:9], v24, v0
	s_or_b64 s[28:29], s[8:9], s[28:29]
	s_andn2_b64 exec, exec, s[28:29]
	s_cbranch_execz .LBB179_18
.LBB179_13:                             ; =>This Inner Loop Header: Depth=1
	s_waitcnt lgkmcnt(0)
	scratch_load_dword v1, off, s32 offset:192 ; 4-byte Folded Reload
	scratch_load_dword v3, off, s32 offset:200 ; 4-byte Folded Reload
	v_ashrrev_i32_e32 v0, 31, v2
	s_waitcnt vmcnt(1)
	v_xor_b32_e32 v0, v0, v1
	v_sub_u32_e32 v1, 0, v2
	v_max_i32_e32 v1, v2, v1
	s_waitcnt vmcnt(0)
	v_mul_hi_u32 v4, v1, v3
	scratch_load_dword v3, off, s32 offset:188 ; 4-byte Folded Reload
	s_waitcnt vmcnt(0)
	v_mul_lo_u32 v5, v4, v3
	v_sub_u32_e32 v1, v1, v5
	v_add_u32_e32 v5, 1, v4
	v_cmp_ge_u32_e64 s[8:9], v1, v3
	s_nop 1
	v_cndmask_b32_e64 v4, v4, v5, s[8:9]
	v_sub_u32_e32 v5, v1, v3
	v_cndmask_b32_e64 v1, v1, v5, s[8:9]
	v_add_u32_e32 v5, 1, v4
	v_cmp_ge_u32_e64 s[8:9], v1, v3
	s_nop 1
	v_cndmask_b32_e64 v1, v4, v5, s[8:9]
	v_xor_b32_e32 v1, v1, v0
	v_sub_u32_e32 v0, v1, v0
	v_accvgpr_read_b32 v4, a6
	v_add_u32_e32 v1, v0, v4
	v_sub_u32_e32 v5, 0, v1
	v_ashrrev_i32_e32 v4, 31, v1
	v_max_i32_e32 v1, v1, v5
	v_mul_hi_u32 v5, v1, v10
	v_mul_lo_u32 v5, v5, v8
	v_sub_u32_e32 v1, v1, v5
	v_sub_u32_e32 v5, v1, v8
	v_cmp_ge_u32_e64 s[8:9], v1, v8
	s_nop 1
	v_cndmask_b32_e64 v1, v1, v5, s[8:9]
	v_sub_u32_e32 v5, v1, v8
	v_cmp_ge_u32_e64 s[8:9], v1, v8
	s_nop 1
	v_cndmask_b32_e64 v1, v1, v5, s[8:9]
	v_xor_b32_e32 v1, v1, v4
	v_sub_u32_e32 v1, v1, v4
	v_cmp_ne_u32_e64 s[8:9], 0, v1
	scratch_load_dword v1, off, s32 offset:204 ; 4-byte Folded Reload
	s_waitcnt vmcnt(0)
	v_cmp_le_i32_e64 s[10:11], v0, v1
	s_and_b64 s[8:9], s[8:9], s[10:11]
	s_and_b64 s[30:31], vcc, s[8:9]
	s_and_saveexec_b64 s[10:11], s[30:31]
	s_cbranch_execz .LBB179_15
; %bb.14:                               ;   in Loop: Header=BB179_13 Depth=1
	s_waitcnt lgkmcnt(0)
	v_add_u32_e32 v0, s23, v15
	v_mov_b32_e32 v1, 0xff7fffff
	ds_write_b32 v0, v1
.LBB179_15:                             ;   in Loop: Header=BB179_13 Depth=1
	s_or_b64 exec, exec, s[10:11]
	s_xor_b64 s[8:9], s[8:9], -1
	s_and_saveexec_b64 s[10:11], s[8:9]
	s_cbranch_execz .LBB179_12
; %bb.16:                               ;   in Loop: Header=BB179_13 Depth=1
	v_accvgpr_write_b32 a28, v62
	v_accvgpr_read_b32 v62, a27
	v_accvgpr_write_b32 a26, v8
	flat_load_dword v4, v[42:43]
	ds_read_b128 v[32:35], v62
	ds_read_b128 v[28:31], v62 offset:16
	ds_read_b128 v[16:19], v62 offset:32
	;; [unrolled: 1-line block ×5, first 2 shown]
	s_waitcnt lgkmcnt(0)
	v_lshlrev_b32_e32 v0, 16, v28
	v_lshlrev_b32_e32 v23, 16, v29
	v_lshlrev_b32_e32 v27, 16, v8
	v_lshlrev_b32_e32 v45, 16, v9
	v_and_b32_e32 v22, 0xffff0000, v8
	v_and_b32_e32 v54, 0xffff0000, v9
	scratch_load_dwordx2 v[8:9], off, s32 offset:216 ; 8-byte Folded Reload
	v_lshlrev_b32_e32 v3, 16, v36
	v_accvgpr_write_b32 a39, v3
	v_lshlrev_b32_e32 v3, 16, v37
	v_accvgpr_write_b32 a38, v3
	v_lshlrev_b32_e32 v3, 16, v38
	v_and_b32_e32 v5, 0xffff0000, v49
	v_accvgpr_write_b32 a37, v3
	v_lshlrev_b32_e32 v3, 16, v39
	v_accvgpr_write_b32 a42, v5
	v_and_b32_e32 v5, 0xffff0000, v50
	v_accvgpr_write_b32 a36, v3
	v_lshlrev_b32_e32 v3, 16, v48
	v_accvgpr_write_b32 a41, v5
	;; [unrolled: 4-line block ×3, first 2 shown]
	v_accvgpr_write_b32 a34, v3
	v_lshlrev_b32_e32 v3, 16, v50
	v_accvgpr_write_b32 a33, v3
	v_lshlrev_b32_e32 v3, 16, v51
	v_lshlrev_b32_e32 v57, 16, v30
	v_lshlrev_b32_e32 v56, 16, v31
	v_lshlrev_b32_e32 v60, 16, v18
	v_lshlrev_b32_e32 v59, 16, v19
	v_accvgpr_write_b32 a32, v3
	v_and_b32_e32 v14, 0xffff0000, v28
	v_and_b32_e32 v25, 0xffff0000, v29
	v_and_b32_e32 v11, 0xffff0000, v30
	v_and_b32_e32 v3, 0xffff0000, v31
	v_and_b32_e32 v20, 0xffff0000, v18
	v_and_b32_e32 v21, 0xffff0000, v19
	v_lshlrev_b32_e32 v12, 16, v34
	v_and_b32_e32 v53, 0xffff0000, v36
	v_lshlrev_b32_e32 v1, 16, v32
	v_and_b32_e32 v34, 0xffff0000, v34
	v_and_b32_e32 v32, 0xffff0000, v32
	v_lshlrev_b32_e32 v41, 16, v35
	v_accvgpr_write_b32 a30, v10
	v_lshlrev_b32_e32 v10, 16, v33
	v_and_b32_e32 v35, 0xffff0000, v35
	v_and_b32_e32 v33, 0xffff0000, v33
	;; [unrolled: 1-line block ×6, first 2 shown]
	v_lshlrev_b32_e32 v26, 16, v16
	v_lshlrev_b32_e32 v61, 16, v17
	v_and_b32_e32 v16, 0xffff0000, v16
	v_and_b32_e32 v17, 0xffff0000, v17
	v_lshlrev_b32_e32 v58, 16, v6
	v_and_b32_e32 v6, 0xffff0000, v6
	v_lshlrev_b32_e32 v55, 16, v7
	v_and_b32_e32 v7, 0xffff0000, v7
	s_waitcnt vmcnt(0)
	v_mad_i64_i32 v[4:5], s[8:9], v4, v8, 0
	v_accvgpr_read_b32 v8, a24
	v_accvgpr_read_b32 v9, a25
	v_lshl_add_u64 v[4:5], v[4:5], 1, v[8:9]
	flat_load_dwordx2 v[8:9], v[4:5] offset:512
	flat_load_dwordx2 v[18:19], v[4:5] offset:1024
	;; [unrolled: 1-line block ×3, first 2 shown]
	flat_load_dwordx2 v[30:31], v[4:5]
	flat_load_dwordx2 v[48:49], v[4:5] offset:3584
	s_waitcnt vmcnt(0) lgkmcnt(0)
	v_lshlrev_b32_e32 v36, 16, v8
	v_mul_f32_e32 v12, v12, v36
	v_lshlrev_b32_e32 v36, 16, v30
	v_fmac_f32_e32 v12, v1, v36
	v_and_b32_e32 v1, 0xffff0000, v8
	v_mul_f32_e32 v40, v34, v1
	v_and_b32_e32 v1, 0xffff0000, v30
	v_fmac_f32_e32 v40, v32, v1
	v_lshlrev_b32_e32 v1, 16, v9
	v_mul_f32_e32 v41, v41, v1
	v_lshlrev_b32_e32 v1, 16, v31
	v_and_b32_e32 v8, 0xffff0000, v9
	v_fmac_f32_e32 v41, v10, v1
	v_and_b32_e32 v1, 0xffff0000, v31
	v_mul_f32_e32 v10, v35, v8
	v_and_b32_e32 v8, 0xffff0000, v18
	v_fmac_f32_e32 v10, v33, v1
	v_lshlrev_b32_e32 v1, 16, v18
	v_lshlrev_b32_e32 v18, 16, v19
	v_fmac_f32_e32 v40, v14, v8
	flat_load_dwordx2 v[8:9], v[4:5] offset:2048
	v_and_b32_e32 v30, 0xffff0000, v19
	v_fmac_f32_e32 v41, v23, v18
	flat_load_dwordx2 v[18:19], v[4:5] offset:2560
	v_fmac_f32_e32 v12, v0, v1
	flat_load_dwordx2 v[0:1], v[4:5] offset:3072
	v_add_co_u32_e64 v36, s[8:9], s35, v4
	v_lshlrev_b32_e32 v32, 16, v29
	s_nop 0
	v_addc_co_u32_e64 v37, s[8:9], 0, v5, s[8:9]
	flat_load_dwordx2 v[50:51], v[36:37]
	flat_load_dwordx2 v[38:39], v[36:37] offset:512
	flat_load_dwordx2 v[34:35], v[36:37] offset:1024
	v_and_b32_e32 v33, 0xffff0000, v29
	v_fmac_f32_e32 v10, v25, v30
	v_fmac_f32_e32 v41, v56, v32
	;; [unrolled: 1-line block ×3, first 2 shown]
	flat_load_dwordx2 v[32:33], v[36:37] offset:1536
	v_lshlrev_b32_e32 v31, 16, v28
	v_and_b32_e32 v28, 0xffff0000, v28
	v_fmac_f32_e32 v40, v11, v28
	v_add_co_u32_e64 v28, s[8:9], s36, v4
	v_fmac_f32_e32 v12, v57, v31
	s_nop 0
	v_addc_co_u32_e64 v29, s[8:9], 0, v5, s[8:9]
	flat_load_dwordx2 v[30:31], v[36:37] offset:2048
	v_add_co_u32_e64 v56, s[8:9], s37, v4
	v_accvgpr_read_b32 v11, a31
	s_nop 0
	v_addc_co_u32_e64 v57, s[8:9], 0, v5, s[8:9]
	v_accvgpr_read_b32 v14, a39
	v_accvgpr_read_b32 v25, a38
	s_waitcnt vmcnt(0) lgkmcnt(0)
	v_lshlrev_b32_e32 v3, 16, v8
	v_lshlrev_b32_e32 v5, 16, v9
	v_fmac_f32_e32 v12, v26, v3
	v_lshlrev_b32_e32 v3, 16, v18
	v_fmac_f32_e32 v41, v61, v5
	v_fmac_f32_e32 v12, v60, v3
	flat_load_dwordx2 v[60:61], v[36:37] offset:2560
	v_and_b32_e32 v4, 0xffff0000, v8
	v_and_b32_e32 v8, 0xffff0000, v9
	v_fmac_f32_e32 v40, v16, v4
	v_fmac_f32_e32 v10, v17, v8
	v_and_b32_e32 v3, 0xffff0000, v18
	v_and_b32_e32 v4, 0xffff0000, v19
	v_fmac_f32_e32 v40, v20, v3
	v_fmac_f32_e32 v10, v21, v4
	v_lshlrev_b32_e32 v4, 16, v0
	v_and_b32_e32 v0, 0xffff0000, v0
	v_fmac_f32_e32 v12, v58, v4
	v_lshlrev_b32_e32 v4, 16, v1
	v_and_b32_e32 v1, 0xffff0000, v1
	v_fmac_f32_e32 v40, v6, v0
	v_and_b32_e32 v6, 0xffff0000, v48
	v_lshlrev_b32_e32 v3, 16, v19
	v_fmac_f32_e32 v10, v7, v1
	v_fmac_f32_e32 v40, v22, v6
	ds_read_b128 v[6:9], v62 offset:96
	ds_read_b128 v[16:19], v62 offset:112
	flat_load_dwordx2 v[20:21], v[36:37] offset:3072
	v_fmac_f32_e32 v41, v59, v3
	v_and_b32_e32 v5, 64, v11
	v_lshlrev_b32_e32 v0, 16, v48
	v_fmac_f32_e32 v41, v55, v4
	v_fmac_f32_e32 v12, v27, v0
	v_add_u32_e32 v0, 64, v5
	flat_load_dwordx2 v[4:5], v[36:37] offset:3584
	v_xor_b32_e32 v3, 1, v11
	v_cmp_lt_i32_e64 s[8:9], v3, v0
	v_lshlrev_b32_e32 v0, 16, v49
	v_fmac_f32_e32 v41, v45, v0
	v_cndmask_b32_e64 v3, v11, v3, s[8:9]
	v_lshlrev_b32_e32 v11, 16, v50
	v_and_b32_e32 v0, 0xffff0000, v49
	v_fmac_f32_e32 v12, v14, v11
	v_lshlrev_b32_e32 v14, 16, v51
	v_fmac_f32_e32 v10, v54, v0
	v_and_b32_e32 v11, 0xffff0000, v50
	v_and_b32_e32 v22, 0xffff0000, v51
	v_lshlrev_b32_e32 v23, 16, v38
	v_fmac_f32_e32 v41, v25, v14
	v_accvgpr_read_b32 v14, a37
	v_fmac_f32_e32 v40, v53, v11
	v_fmac_f32_e32 v10, v52, v22
	;; [unrolled: 1-line block ×3, first 2 shown]
	flat_load_dwordx2 v[22:23], v[28:29]
	flat_load_dwordx2 v[26:27], v[28:29] offset:512
	flat_load_dwordx2 v[54:55], v[28:29] offset:1024
	;; [unrolled: 1-line block ×3, first 2 shown]
	v_and_b32_e32 v11, 0xffff0000, v38
	v_and_b32_e32 v14, 0xffff0000, v39
	v_fmac_f32_e32 v40, v44, v11
	v_fmac_f32_e32 v10, v47, v14
	v_and_b32_e32 v14, 0xffff0000, v34
	v_fmac_f32_e32 v40, v46, v14
	flat_load_dwordx2 v[58:59], v[28:29] offset:2048
	flat_load_dwordx2 v[46:47], v[28:29] offset:2560
	;; [unrolled: 1-line block ×4, first 2 shown]
	v_lshlrev_b32_e32 v11, 16, v39
	v_accvgpr_read_b32 v25, a36
	v_fmac_f32_e32 v41, v25, v11
	v_lshlrev_b32_e32 v11, 16, v34
	v_accvgpr_read_b32 v25, a35
	v_fmac_f32_e32 v12, v25, v11
	v_lshlrev_b32_e32 v11, 16, v35
	v_and_b32_e32 v14, 0xffff0000, v35
	flat_load_dwordx2 v[48:49], v[56:57]
	flat_load_dwordx2 v[38:39], v[56:57] offset:512
	flat_load_dwordx2 v[36:37], v[56:57] offset:1024
	;; [unrolled: 1-line block ×3, first 2 shown]
	v_accvgpr_read_b32 v25, a34
	v_fmac_f32_e32 v41, v25, v11
	v_accvgpr_read_b32 v11, a42
	v_fmac_f32_e32 v10, v11, v14
	v_lshlrev_b32_e32 v11, 16, v32
	v_accvgpr_read_b32 v25, a33
	v_and_b32_e32 v14, 0xffff0000, v32
	v_fmac_f32_e32 v12, v25, v11
	v_accvgpr_read_b32 v11, a41
	v_fmac_f32_e32 v40, v11, v14
	v_lshlrev_b32_e32 v11, 16, v33
	v_accvgpr_read_b32 v14, a32
	v_fmac_f32_e32 v41, v14, v11
	v_and_b32_e32 v11, 0xffff0000, v33
	v_accvgpr_read_b32 v14, a40
	s_waitcnt lgkmcnt(0)
	v_lshlrev_b32_e32 v1, 16, v6
	v_fmac_f32_e32 v10, v14, v11
	v_lshlrev_b32_e32 v11, 16, v30
	v_and_b32_e32 v6, 0xffff0000, v6
	v_fmac_f32_e32 v12, v1, v11
	v_and_b32_e32 v1, 0xffff0000, v30
	v_lshlrev_b32_e32 v0, 16, v7
	v_and_b32_e32 v7, 0xffff0000, v7
	v_fmac_f32_e32 v40, v6, v1
	v_lshlrev_b32_e32 v1, 16, v31
	v_and_b32_e32 v6, 0xffff0000, v31
	v_fmac_f32_e32 v41, v0, v1
	v_fmac_f32_e32 v10, v7, v6
	v_lshlrev_b32_e32 v0, 16, v8
	v_and_b32_e32 v1, 0xffff0000, v8
	s_waitcnt vmcnt(0)
	v_lshlrev_b32_e32 v6, 16, v60
	v_and_b32_e32 v7, 0xffff0000, v60
	v_fmac_f32_e32 v12, v0, v6
	v_fmac_f32_e32 v40, v1, v7
	flat_load_dwordx2 v[32:33], v[56:57] offset:2048
	flat_load_dwordx2 v[30:31], v[56:57] offset:2560
	;; [unrolled: 1-line block ×4, first 2 shown]
	v_lshlrev_b32_e32 v8, 2, v3
	v_lshlrev_b32_e32 v3, 16, v9
	v_and_b32_e32 v6, 0xffff0000, v9
	v_lshlrev_b32_e32 v7, 16, v61
	v_and_b32_e32 v9, 0xffff0000, v61
	v_fmac_f32_e32 v41, v3, v7
	v_fmac_f32_e32 v10, v6, v9
	v_lshlrev_b32_e32 v3, 16, v16
	v_and_b32_e32 v6, 0xffff0000, v16
	v_lshlrev_b32_e32 v7, 16, v20
	v_and_b32_e32 v9, 0xffff0000, v20
	v_fmac_f32_e32 v12, v3, v7
	v_fmac_f32_e32 v40, v6, v9
	;; [unrolled: 6-line block ×4, first 2 shown]
	v_lshlrev_b32_e32 v3, 16, v19
	v_and_b32_e32 v4, 0xffff0000, v19
	ds_read_b128 v[16:19], v62 offset:128
	v_lshlrev_b32_e32 v6, 16, v5
	v_and_b32_e32 v5, 0xffff0000, v5
	v_fmac_f32_e32 v41, v3, v6
	v_fmac_f32_e32 v10, v4, v5
	ds_read_b128 v[4:7], v62 offset:144
	s_waitcnt lgkmcnt(0)
	v_lshlrev_b32_e32 v3, 16, v16
	v_and_b32_e32 v9, 0xffff0000, v16
	v_lshlrev_b32_e32 v11, 16, v22
	v_and_b32_e32 v14, 0xffff0000, v22
	v_fmac_f32_e32 v12, v3, v11
	v_fmac_f32_e32 v40, v9, v14
	v_lshlrev_b32_e32 v3, 16, v17
	v_and_b32_e32 v9, 0xffff0000, v17
	v_lshlrev_b32_e32 v11, 16, v23
	v_and_b32_e32 v14, 0xffff0000, v23
	v_fmac_f32_e32 v41, v3, v11
	v_fmac_f32_e32 v10, v9, v14
	;; [unrolled: 6-line block ×7, first 2 shown]
	v_lshlrev_b32_e32 v3, 16, v7
	v_and_b32_e32 v9, 0xffff0000, v7
	ds_read_b128 v[4:7], v62 offset:160
	ds_read_b128 v[16:19], v62 offset:176
	v_lshlrev_b32_e32 v11, 16, v53
	v_and_b32_e32 v14, 0xffff0000, v53
	v_fmac_f32_e32 v41, v3, v11
	v_fmac_f32_e32 v10, v9, v14
	s_waitcnt lgkmcnt(0)
	v_lshlrev_b32_e32 v3, 16, v4
	v_and_b32_e32 v4, 0xffff0000, v4
	v_lshlrev_b32_e32 v9, 16, v58
	v_and_b32_e32 v11, 0xffff0000, v58
	v_fmac_f32_e32 v12, v3, v9
	v_fmac_f32_e32 v40, v4, v11
	v_lshlrev_b32_e32 v3, 16, v5
	v_and_b32_e32 v4, 0xffff0000, v5
	v_lshlrev_b32_e32 v5, 16, v59
	v_and_b32_e32 v9, 0xffff0000, v59
	v_fmac_f32_e32 v41, v3, v5
	v_fmac_f32_e32 v10, v4, v9
	;; [unrolled: 6-line block ×7, first 2 shown]
	ds_read_b128 v[4:7], v62 offset:192
	v_lshlrev_b32_e32 v3, 16, v19
	v_and_b32_e32 v9, 0xffff0000, v19
	ds_read_b128 v[16:19], v62 offset:208
	v_lshlrev_b32_e32 v11, 16, v51
	v_and_b32_e32 v14, 0xffff0000, v51
	v_fmac_f32_e32 v41, v3, v11
	v_fmac_f32_e32 v10, v9, v14
	s_waitcnt lgkmcnt(0)
	v_lshlrev_b32_e32 v3, 16, v4
	v_and_b32_e32 v4, 0xffff0000, v4
	v_lshlrev_b32_e32 v9, 16, v48
	v_and_b32_e32 v11, 0xffff0000, v48
	v_fmac_f32_e32 v12, v3, v9
	v_fmac_f32_e32 v40, v4, v11
	v_lshlrev_b32_e32 v3, 16, v5
	v_and_b32_e32 v4, 0xffff0000, v5
	v_lshlrev_b32_e32 v5, 16, v49
	v_and_b32_e32 v9, 0xffff0000, v49
	v_fmac_f32_e32 v41, v3, v5
	v_fmac_f32_e32 v10, v4, v9
	;; [unrolled: 6-line block ×7, first 2 shown]
	ds_read_b128 v[4:7], v62 offset:224
	v_lshlrev_b32_e32 v3, 16, v19
	v_and_b32_e32 v9, 0xffff0000, v19
	ds_read_b128 v[16:19], v62 offset:240
	v_lshlrev_b32_e32 v11, 16, v35
	v_and_b32_e32 v14, 0xffff0000, v35
	v_fmac_f32_e32 v41, v3, v11
	v_fmac_f32_e32 v10, v9, v14
	s_waitcnt lgkmcnt(0)
	v_lshlrev_b32_e32 v3, 16, v4
	v_and_b32_e32 v4, 0xffff0000, v4
	s_waitcnt vmcnt(0)
	v_lshlrev_b32_e32 v9, 16, v32
	v_and_b32_e32 v11, 0xffff0000, v32
	v_fmac_f32_e32 v12, v3, v9
	v_fmac_f32_e32 v40, v4, v11
	v_lshlrev_b32_e32 v3, 16, v5
	v_and_b32_e32 v4, 0xffff0000, v5
	v_lshlrev_b32_e32 v5, 16, v33
	v_and_b32_e32 v9, 0xffff0000, v33
	v_fmac_f32_e32 v41, v3, v5
	v_fmac_f32_e32 v10, v4, v9
	v_lshlrev_b32_e32 v3, 16, v6
	v_and_b32_e32 v4, 0xffff0000, v6
	;; [unrolled: 6-line block ×6, first 2 shown]
	v_lshlrev_b32_e32 v5, 16, v0
	v_and_b32_e32 v0, 0xffff0000, v0
	v_fmac_f32_e32 v12, v3, v5
	v_fmac_f32_e32 v40, v4, v0
	v_lshlrev_b32_e32 v0, 16, v19
	v_lshlrev_b32_e32 v4, 16, v1
	v_and_b32_e32 v3, 0xffff0000, v19
	v_and_b32_e32 v1, 0xffff0000, v1
	v_fmac_f32_e32 v41, v0, v4
	v_add_f32_e32 v0, v12, v40
	v_fmac_f32_e32 v10, v3, v1
	v_add_f32_e32 v0, v0, v41
	v_add_f32_e32 v0, v10, v0
	ds_bpermute_b32 v1, v8, v0
	v_accvgpr_read_b32 v62, a28
	s_and_saveexec_b64 s[30:31], vcc
	s_cbranch_execz .LBB179_11
; %bb.17:                               ;   in Loop: Header=BB179_13 Depth=1
	scratch_load_dword v6, off, s32 offset:208 ; 4-byte Folded Reload
	v_accvgpr_read_b32 v3, a29
	v_add_u32_e32 v3, v3, v2
	v_cvt_f32_i32_e32 v3, v3
	s_load_dword s8, s[26:27], 0x0
	v_accvgpr_read_b32 v4, a23
	v_add_u32_e32 v4, v4, v2
	s_waitcnt lgkmcnt(0)
	v_add_f32_e32 v0, v0, v1
	v_accvgpr_read_b32 v1, a17
	v_add_u32_e32 v5, s8, v15
	v_cmp_lt_i32_e64 s[8:9], v4, v62
	s_waitcnt vmcnt(0)
	v_mul_f32_e32 v3, v6, v3
	v_cndmask_b32_e64 v3, 0, v3, s[6:7]
	v_fmac_f32_e32 v3, v0, v1
	v_cndmask_b32_e64 v0, 0, v3, s[8:9]
	ds_write_b32 v5, v0
	v_max_f32_e32 v0, v13, v13
	v_max_f32_e32 v0, v0, v3
	v_cndmask_b32_e64 v13, v13, v0, s[8:9]
	s_branch .LBB179_11
.LBB179_18:
	s_or_b64 exec, exec, s[28:29]
	scratch_load_dword v14, off, s32 offset:508 ; 4-byte Folded Reload
	v_accvgpr_read_b32 v35, a1
	v_accvgpr_read_b32 v37, a5
	;; [unrolled: 1-line block ×18, first 2 shown]
.LBB179_19:
	s_or_b64 exec, exec, s[24:25]
	v_mbcnt_hi_u32_b32 v0, -1, v6
	s_waitcnt lgkmcnt(0)
	v_and_b32_e32 v1, 64, v0
	v_add_u32_e32 v1, 64, v1
	v_xor_b32_e32 v2, 32, v0
	v_cmp_lt_i32_e32 vcc, v2, v1
	v_xor_b32_e32 v5, 16, v0
	v_max_f32_e32 v4, v13, v13
	v_cndmask_b32_e32 v2, v0, v2, vcc
	v_lshlrev_b32_e32 v2, 2, v2
	ds_bpermute_b32 v3, v2, v13
	v_cmp_lt_i32_e32 vcc, v5, v1
	v_xor_b32_e32 v6, 8, v0
	v_xor_b32_e32 v7, 4, v0
	;; [unrolled: 1-line block ×3, first 2 shown]
	s_waitcnt lgkmcnt(0)
	v_max_f32_e32 v3, v3, v3
	v_max_f32_e32 v4, v4, v3
	v_cndmask_b32_e32 v3, v0, v5, vcc
	v_lshlrev_b32_e32 v3, 2, v3
	ds_bpermute_b32 v5, v3, v4
	v_cmp_lt_i32_e32 vcc, v6, v1
	s_waitcnt vmcnt(0)
	v_and_b32_e32 v18, 63, v14
	s_lshr_b32 s28, s34, 16
	s_waitcnt lgkmcnt(0)
	v_max_f32_e32 v5, v5, v5
	v_max_f32_e32 v5, v4, v5
	v_cndmask_b32_e32 v4, v0, v6, vcc
	v_lshlrev_b32_e32 v4, 2, v4
	ds_bpermute_b32 v6, v4, v5
	v_cmp_lt_i32_e32 vcc, v7, v1
	s_waitcnt lgkmcnt(0)
	v_max_f32_e32 v6, v6, v6
	v_max_f32_e32 v6, v5, v6
	v_cndmask_b32_e32 v5, v0, v7, vcc
	v_lshlrev_b32_e32 v5, 2, v5
	ds_bpermute_b32 v7, v5, v6
	v_cmp_lt_i32_e32 vcc, v8, v1
	s_waitcnt lgkmcnt(0)
	v_max_f32_e32 v7, v7, v7
	v_max_f32_e32 v7, v6, v7
	v_cndmask_b32_e32 v6, v0, v8, vcc
	v_lshlrev_b32_e32 v27, 2, v6
	ds_bpermute_b32 v8, v27, v7
	v_cmp_eq_u32_e32 vcc, 0, v18
	v_lshlrev_b32_e32 v6, 2, v21
	s_and_saveexec_b64 s[6:7], vcc
	s_cbranch_execz .LBB179_21
; %bb.20:
	s_waitcnt lgkmcnt(0)
	v_max_f32_e32 v8, v8, v8
	v_max_f32_e32 v7, v7, v7
	;; [unrolled: 1-line block ×3, first 2 shown]
	ds_write_b32 v6, v7 offset:512
.LBB179_21:
	s_or_b64 exec, exec, s[6:7]
	v_cmp_gt_u32_e64 s[6:7], 2, v18
	s_waitcnt lgkmcnt(0)
	v_mov_b32_e32 v8, 0xff7fffff
	v_lshlrev_b32_e32 v7, 2, v18
	s_barrier
	s_and_saveexec_b64 s[8:9], s[6:7]
	s_cbranch_execz .LBB179_23
; %bb.22:
	ds_read_b32 v8, v7 offset:512
.LBB179_23:
	s_or_b64 exec, exec, s[8:9]
	v_xor_b32_e32 v9, 1, v0
	v_cmp_lt_i32_e64 s[8:9], v9, v1
	s_nop 1
	v_cndmask_b32_e64 v1, v0, v9, s[8:9]
	scratch_load_dword v9, off, s32 offset:196 ; 4-byte Folded Reload
	v_lshlrev_b32_e32 v19, 2, v1
	s_waitcnt lgkmcnt(0)
	ds_bpermute_b32 v1, v19, v8
	v_max_f32_e32 v8, v8, v8
	v_lshlrev_b32_e32 v0, 2, v0
	s_waitcnt lgkmcnt(0)
	v_max_f32_e32 v1, v1, v1
	v_max_f32_e32 v1, v8, v1
	s_waitcnt vmcnt(0)
	v_subrev_u32_e32 v9, s21, v9
	v_lshl_add_u32 v10, v9, 5, s15
	v_and_b32_e32 v9, 0x100, v0
	ds_bpermute_b32 v0, v9, v1
	v_min_i32_e32 v8, v10, v62
	v_subrev_u32_e32 v1, s15, v8
	v_cmp_lt_i32_e64 s[8:9], v14, v1
	v_mov_b32_e32 v10, 0
	s_and_saveexec_b64 s[24:25], s[8:9]
	s_cbranch_execz .LBB179_27
; %bb.24:
	s_ashr_i32 s23, s22, 31
	s_lshl_b64 s[10:11], s[22:23], 2
	s_getpc_b64 s[26:27]
	s_add_u32 s26, s26, llvm.amdgcn.dynlds.offset.table@rel32@lo+4
	s_addc_u32 s27, s27, llvm.amdgcn.dynlds.offset.table@rel32@hi+12
	s_add_u32 s10, s10, s26
	s_addc_u32 s11, s11, s27
	s_load_dword s10, s[10:11], 0x0
	s_mov_b64 s[26:27], 0
	v_mov_b32_e32 v10, 0
	v_mov_b32_e32 v12, v14
	s_waitcnt lgkmcnt(0)
	v_lshl_add_u32 v11, v14, 2, s10
.LBB179_25:                             ; =>This Inner Loop Header: Depth=1
	ds_read_b32 v13, v11
	v_add_u32_e32 v12, 0x80, v12
	v_cmp_ge_i32_e64 s[10:11], v12, v1
	s_or_b64 s[26:27], s[10:11], s[26:27]
	s_waitcnt lgkmcnt(0)
	v_sub_f32_e32 v13, v13, v0
	v_mul_f32_e32 v13, 0x3fb8aa3b, v13
	v_exp_f32_e32 v13, v13
	ds_write_b32 v11, v13
	v_add_f32_e32 v10, v10, v13
	v_add_u32_e32 v11, 0x200, v11
	s_andn2_b64 exec, exec, s[26:27]
	s_cbranch_execnz .LBB179_25
; %bb.26:
	s_or_b64 exec, exec, s[26:27]
.LBB179_27:
	s_or_b64 exec, exec, s[24:25]
	ds_bpermute_b32 v2, v2, v10
	s_waitcnt lgkmcnt(0)
	v_add_f32_e32 v2, v10, v2
	ds_bpermute_b32 v3, v3, v2
	s_waitcnt lgkmcnt(0)
	v_add_f32_e32 v2, v2, v3
	;; [unrolled: 3-line block ×6, first 2 shown]
	s_and_saveexec_b64 s[10:11], vcc
	s_cbranch_execz .LBB179_29
; %bb.28:
	ds_write_b32 v6, v2 offset:520
.LBB179_29:
	s_or_b64 exec, exec, s[10:11]
	s_waitcnt lgkmcnt(0)
	s_barrier
	s_and_saveexec_b64 s[10:11], s[6:7]
	s_cbranch_execz .LBB179_31
; %bb.30:
	ds_read_b32 v2, v7 offset:520
.LBB179_31:
	s_or_b64 exec, exec, s[10:11]
	s_waitcnt lgkmcnt(0)
	ds_bpermute_b32 v3, v19, v2
	s_waitcnt lgkmcnt(0)
	v_add_f32_e32 v2, v2, v3
	ds_bpermute_b32 v2, v9, v2
	s_and_saveexec_b64 s[6:7], s[8:9]
	s_cbranch_execz .LBB179_44
; %bb.32:
	s_waitcnt lgkmcnt(0)
	v_add_f32_e32 v3, 0x358637bd, v2
	v_div_scale_f32 v4, s[8:9], v3, v3, 1.0
	v_rcp_f32_e32 v5, v4
	v_div_scale_f32 v6, vcc, 1.0, v3, 1.0
	s_movk_i32 s8, 0x7f
	v_fma_f32 v7, -v4, v5, 1.0
	v_fmac_f32_e32 v5, v7, v5
	v_mul_f32_e32 v7, v6, v5
	v_fma_f32 v9, -v4, v7, v6
	v_fmac_f32_e32 v7, v9, v5
	v_fma_f32 v4, -v4, v7, v6
	v_div_fmas_f32 v4, v4, v5, v7
	v_div_fixup_f32 v6, v4, v3, 1.0
	v_xad_u32 v3, v14, -1, v8
	v_subrev_u32_e32 v4, s15, v3
	v_cmp_lt_u32_e32 vcc, s8, v4
	s_mov_b64 s[10:11], -1
	v_mov_b32_e32 v3, v14
	s_and_saveexec_b64 s[8:9], vcc
	s_cbranch_execz .LBB179_41
; %bb.33:
	v_lshrrev_b32_e32 v3, 7, v4
	v_add_u32_e32 v5, -1, v3
	v_lshrrev_b32_e32 v4, 1, v5
	v_mov_b32_e32 v7, v6
	v_add_u32_e32 v4, 1, v4
	v_cmp_lt_u32_e32 vcc, 13, v5
	v_mov_b32_e32 v9, 0
	s_and_saveexec_b64 s[10:11], vcc
	s_cbranch_execz .LBB179_37
; %bb.34:
	s_ashr_i32 s23, s22, 31
	s_lshl_b64 s[24:25], s[22:23], 2
	s_getpc_b64 s[26:27]
	s_add_u32 s26, s26, llvm.amdgcn.dynlds.offset.table@rel32@lo+4
	s_addc_u32 s27, s27, llvm.amdgcn.dynlds.offset.table@rel32@hi+12
	s_add_u32 s24, s24, s26
	s_addc_u32 s25, s25, s27
	s_load_dword s21, s[24:25], 0x0
	v_and_b32_e32 v5, -8, v4
	s_mov_b32 s15, 0
	s_mov_b64 s[24:25], 0
	s_waitcnt lgkmcnt(0)
	v_lshl_add_u32 v8, v14, 2, s21
.LBB179_35:                             ; =>This Inner Loop Header: Depth=1
	ds_read2st64_b32 v[10:11], v8 offset1:2
	ds_read2st64_b32 v[12:13], v8 offset0:4 offset1:6
	ds_read2st64_b32 v[14:15], v8 offset0:8 offset1:10
	;; [unrolled: 1-line block ×3, first 2 shown]
	v_add_u32_e32 v5, -8, v5
	s_waitcnt lgkmcnt(3)
	v_pk_mul_f32 v[10:11], v[6:7], v[10:11]
	s_waitcnt lgkmcnt(2)
	v_pk_mul_f32 v[12:13], v[6:7], v[12:13]
	ds_write2st64_b32 v8, v10, v11 offset1:2
	ds_write2st64_b32 v8, v12, v13 offset0:4 offset1:6
	ds_read2st64_b32 v[12:13], v8 offset0:16 offset1:18
	s_waitcnt lgkmcnt(4)
	v_pk_mul_f32 v[10:11], v[6:7], v[14:15]
	ds_write2st64_b32 v8, v10, v11 offset0:8 offset1:10
	s_waitcnt lgkmcnt(4)
	v_pk_mul_f32 v[10:11], v[6:7], v[16:17]
	ds_write2st64_b32 v8, v10, v11 offset0:12 offset1:14
	ds_read2st64_b32 v[10:11], v8 offset0:20 offset1:22
	s_waitcnt lgkmcnt(3)
	v_pk_mul_f32 v[12:13], v[6:7], v[12:13]
	ds_read2st64_b32 v[14:15], v8 offset0:24 offset1:26
	ds_write2st64_b32 v8, v12, v13 offset0:16 offset1:18
	ds_read2st64_b32 v[12:13], v8 offset0:28 offset1:30
	s_waitcnt lgkmcnt(3)
	v_pk_mul_f32 v[10:11], v[6:7], v[10:11]
	ds_write2st64_b32 v8, v10, v11 offset0:20 offset1:22
	s_waitcnt lgkmcnt(3)
	v_pk_mul_f32 v[10:11], v[6:7], v[14:15]
	ds_write2st64_b32 v8, v10, v11 offset0:24 offset1:26
	s_waitcnt lgkmcnt(2)
	v_pk_mul_f32 v[10:11], v[6:7], v[12:13]
	s_add_i32 s15, s15, 16
	v_cmp_eq_u32_e32 vcc, 0, v5
	ds_write2st64_b32 v8, v10, v11 offset0:28 offset1:30
	v_add_u32_e32 v8, 0x2000, v8
	s_or_b64 s[24:25], vcc, s[24:25]
	v_mov_b32_e32 v9, s15
	s_andn2_b64 exec, exec, s[24:25]
	s_cbranch_execnz .LBB179_35
; %bb.36:
	s_or_b64 exec, exec, s[24:25]
	scratch_load_dword v14, off, s32 offset:508 ; 4-byte Folded Reload
.LBB179_37:
	s_or_b64 exec, exec, s[10:11]
	v_and_b32_e32 v4, 7, v4
	v_cmp_ne_u32_e32 vcc, 0, v4
	s_and_saveexec_b64 s[10:11], vcc
	s_cbranch_execz .LBB179_40
; %bb.38:
	s_ashr_i32 s23, s22, 31
	s_lshl_b64 s[24:25], s[22:23], 2
	s_getpc_b64 s[26:27]
	s_add_u32 s26, s26, llvm.amdgcn.dynlds.offset.table@rel32@lo+4
	s_addc_u32 s27, s27, llvm.amdgcn.dynlds.offset.table@rel32@hi+12
	s_add_u32 s24, s24, s26
	s_addc_u32 s25, s25, s27
	s_load_dword s15, s[24:25], 0x0
	v_lshlrev_b32_e32 v5, 9, v9
	s_waitcnt vmcnt(0)
	v_lshlrev_b32_e32 v8, 2, v14
	s_mov_b64 s[24:25], 0
	s_waitcnt lgkmcnt(0)
	v_add3_u32 v5, v5, v8, s15
.LBB179_39:                             ; =>This Inner Loop Header: Depth=1
	ds_read2st64_b32 v[8:9], v5 offset1:2
	v_add_u32_e32 v4, -1, v4
	v_cmp_eq_u32_e32 vcc, 0, v4
	s_or_b64 s[24:25], vcc, s[24:25]
	s_waitcnt lgkmcnt(0)
	v_pk_mul_f32 v[8:9], v[6:7], v[8:9]
	ds_write2st64_b32 v5, v8, v9 offset1:2
	v_add_u32_e32 v5, 0x400, v5
	s_andn2_b64 exec, exec, s[24:25]
	s_cbranch_execnz .LBB179_39
.LBB179_40:
	s_or_b64 exec, exec, s[10:11]
	v_add_u32_e32 v4, 1, v3
	v_and_b32_e32 v5, 0x3fffffe, v4
	v_cmp_ne_u32_e32 vcc, v4, v5
	s_waitcnt vmcnt(0)
	v_lshl_add_u32 v3, v5, 7, v14
	s_orn2_b64 s[10:11], vcc, exec
.LBB179_41:
	s_or_b64 exec, exec, s[8:9]
	s_and_b64 exec, exec, s[10:11]
	s_cbranch_execz .LBB179_44
; %bb.42:
	s_ashr_i32 s23, s22, 31
	s_lshl_b64 s[8:9], s[22:23], 2
	s_getpc_b64 s[10:11]
	s_add_u32 s10, s10, llvm.amdgcn.dynlds.offset.table@rel32@lo+4
	s_addc_u32 s11, s11, llvm.amdgcn.dynlds.offset.table@rel32@hi+12
	s_add_u32 s8, s8, s10
	s_addc_u32 s9, s9, s11
	s_load_dword s8, s[8:9], 0x0
	s_waitcnt lgkmcnt(0)
	v_lshl_add_u32 v4, v3, 2, s8
	s_mov_b64 s[8:9], 0
.LBB179_43:                             ; =>This Inner Loop Header: Depth=1
	ds_read_b32 v5, v4
	v_add_u32_e32 v3, 0x80, v3
	v_cmp_ge_i32_e32 vcc, v3, v1
	s_or_b64 s[8:9], vcc, s[8:9]
	s_waitcnt lgkmcnt(0)
	v_mul_f32_e32 v5, v6, v5
	ds_write_b32 v4, v5
	v_add_u32_e32 v4, 0x200, v4
	s_andn2_b64 exec, exec, s[8:9]
	s_cbranch_execnz .LBB179_43
.LBB179_44:
	s_or_b64 exec, exec, s[6:7]
	v_cmp_ne_u16_e64 s[6:7], s28, 0
	s_cmp_lg_u64 s[6:7], 0
	s_addc_u32 s21, s13, 0
	v_cmp_eq_u32_e32 vcc, 0, v14
	s_waitcnt lgkmcnt(0)
	s_barrier
	s_and_saveexec_b64 s[6:7], vcc
	s_cbranch_execz .LBB179_46
; %bb.45:
	s_mul_i32 s8, s21, s18
	s_mul_i32 s8, s8, s19
	;; [unrolled: 1-line block ×3, first 2 shown]
	s_ashr_i32 s9, s8, 31
	s_ashr_i32 s11, s10, 31
	s_ashr_i32 s15, s14, 31
	s_lshl_b64 s[8:9], s[8:9], 2
	s_lshl_b64 s[10:11], s[10:11], 2
	;; [unrolled: 1-line block ×3, first 2 shown]
	s_add_u32 s10, s12, s10
	s_addc_u32 s11, s13, s11
	s_add_u32 s8, s10, s8
	s_addc_u32 s9, s11, s9
	v_lshl_add_u64 v[4:5], s[8:9], 0, v[48:49]
	flat_store_dword v[4:5], v0
	v_lshl_add_u64 v[0:1], s[8:9], 0, v[38:39]
	flat_store_dword v[0:1], v2
.LBB179_46:
	s_or_b64 exec, exec, s[6:7]
	s_ashr_i32 s23, s22, 31
	s_lshl_b64 s[6:7], s[22:23], 2
	s_getpc_b64 s[8:9]
	s_add_u32 s8, s8, llvm.amdgcn.dynlds.offset.table@rel32@lo+4
	s_addc_u32 s9, s9, llvm.amdgcn.dynlds.offset.table@rel32@hi+12
	s_add_u32 s6, s6, s8
	s_addc_u32 s7, s7, s9
	v_mov_b32_e32 v4, 0
	v_and_b32_e32 v28, 3, v14
	v_mov_b32_e32 v5, 0
	v_mov_b32_e32 v8, 0
	v_mov_b32_e32 v9, 0
	v_mov_b32_e32 v10, 0
	v_mov_b32_e32 v11, 0
	v_mov_b32_e32 v24, 0
	v_mov_b32_e32 v25, 0
	v_mov_b32_e32 v12, 0
	v_mov_b32_e32 v13, 0
	v_mov_b32_e32 v16, 0
	v_mov_b32_e32 v17, 0
	v_mov_b32_e32 v22, 0
	v_mov_b32_e32 v23, 0
	v_mov_b32_e32 v0, 0
	v_mov_b32_e32 v1, 0
	scratch_store_dword off, v18, s32 offset:520 ; 4-byte Folded Spill
	scratch_store_dwordx2 off, v[0:1], s32 offset:208 ; 8-byte Folded Spill
	s_and_saveexec_b64 s[8:9], s[4:5]
	s_cbranch_execz .LBB179_628
; %bb.47:
	v_and_b32_e32 v0, 24, v30
	scratch_store_dword off, v19, s32 offset:524 ; 4-byte Folded Spill
	scratch_store_dword off, v27, s32 offset:528 ; 4-byte Folded Spill
	;; [unrolled: 1-line block ×3, first 2 shown]
	v_lshl_add_u64 v[0:1], v[50:51], 1, v[36:37]
	v_max_i32_e32 v3, v26, v20
	scratch_store_dwordx2 off, v[0:1], s32 offset:500 ; 8-byte Folded Spill
	v_cvt_f32_u32_e32 v1, v3
	scratch_store_dword off, v3, s32 offset:280 ; 4-byte Folded Spill
	v_sub_u32_e32 v3, 0, v3
	v_add_u32_e32 v0, -1, v29
	v_rcp_iflag_f32_e32 v1, v1
	scratch_store_dword off, v0, s32 offset:496 ; 4-byte Folded Spill
	v_and_b32_e32 v0, 0x1f8, v30
	v_mov_b32_e32 v5, v28
	v_mul_f32_e32 v1, 0x4f7ffffe, v1
	v_cvt_u32_f32_e32 v1, v1
	v_or_b32_e32 v2, 0x800, v0
	v_or_b32_e32 v4, 0xa00, v0
	;; [unrolled: 1-line block ×3, first 2 shown]
	v_mul_lo_u32 v3, v3, v1
	v_mul_hi_u32 v3, v1, v3
	v_add_u32_e32 v14, v1, v3
	v_lshlrev_b32_e32 v1, 5, v5
	v_or_b32_e32 v8, 0xe00, v0
	v_or_b32_e32 v10, 0x1000, v0
	;; [unrolled: 1-line block ×8, first 2 shown]
	v_lshl_or_b32 v1, v21, 7, v1
	v_lshlrev_b32_e32 v26, 1, v0
	v_lshlrev_b32_e32 v0, 1, v2
	scratch_store_dwordx2 off, v[0:1], s32 offset:292 ; 8-byte Folded Spill
	v_lshlrev_b32_e32 v0, 1, v4
	scratch_store_dwordx2 off, v[0:1], s32 offset:300 ; 8-byte Folded Spill
	;; [unrolled: 2-line block ×6, first 2 shown]
	v_lshlrev_b32_e32 v0, 1, v16
	s_load_dword s4, s[6:7], 0x0
	scratch_store_dwordx2 off, v[0:1], s32 offset:340 ; 8-byte Folded Spill
	v_lshlrev_b32_e32 v0, 1, v18
	scratch_store_dwordx2 off, v[14:15], s32 offset:284 ; 8-byte Folded Spill
	v_accvgpr_read_b32 v15, a11
	scratch_store_dwordx2 off, v[0:1], s32 offset:348 ; 8-byte Folded Spill
	v_lshlrev_b32_e32 v0, 1, v20
	v_accvgpr_read_b32 v14, a10
	scratch_store_dwordx2 off, v[0:1], s32 offset:356 ; 8-byte Folded Spill
	v_lshlrev_b32_e32 v0, 1, v22
	v_or_b32_e32 v28, 0x1e00, v30
	v_lshlrev_b64 v[14:15], 2, v[14:15]
	scratch_store_dwordx2 off, v[0:1], s32 offset:364 ; 8-byte Folded Spill
	v_lshlrev_b32_e32 v0, 1, v24
	v_mov_b32_e32 v27, 0
	v_lshl_add_u64 v[14:15], v[32:33], 2, v[14:15]
	scratch_store_dwordx2 off, v[0:1], s32 offset:372 ; 8-byte Folded Spill
	v_lshlrev_b32_e32 v0, 1, v28
	v_lshl_add_u64 v[14:15], v[34:35], 0, v[14:15]
	s_waitcnt lgkmcnt(0)
	v_add_u32_e32 v25, s4, v1
	s_mov_b64 s[10:11], 0
	s_mov_b32 s15, 0x7f800000
	s_movk_i32 s24, 0x7fff
	scratch_store_dwordx2 off, v[0:1], s32 offset:380 ; 8-byte Folded Spill
	v_mov_b32_e32 v1, v27
	v_mov_b32_e32 v0, v27
	v_accvgpr_read_b32 v3, a12
	scratch_store_dword off, v5, s32 offset:532 ; 4-byte Folded Spill
	scratch_store_dwordx2 off, v[0:1], s32 offset:208 ; 8-byte Folded Spill
	scratch_store_dwordx2 off, v[0:1], s32 offset:224 ; 8-byte Folded Spill
	;; [unrolled: 1-line block ×8, first 2 shown]
	s_branch .LBB179_50
.LBB179_48:                             ;   in Loop: Header=BB179_50 Depth=1
	s_or_b64 exec, exec, s[4:5]
	v_and_b32_e32 v11, 0xffff0000, v22
	v_and_b32_e32 v10, 0xffff0000, v10
	v_add_f32_e32 v10, v10, v11
	v_and_b32_e32 v11, 0xffff0000, v49
	v_and_b32_e32 v22, 0xffff0000, v48
	scratch_load_dwordx2 v[48:49], off, s32 offset:208 ; 8-byte Folded Reload
	v_add_f32_e32 v11, v22, v11
	v_add_f32_e32 v10, v10, v11
	v_and_b32_e32 v11, 0xffff0000, v57
	v_and_b32_e32 v22, 0xffff0000, v50
	v_add_f32_e32 v11, v22, v11
	v_add_f32_e32 v10, v10, v11
	v_and_b32_e32 v11, 0xffff0000, v58
	v_and_b32_e32 v22, 0xffff0000, v59
	;; [unrolled: 4-line block ×3, first 2 shown]
	v_and_b32_e32 v4, 0xffff0000, v4
	v_and_b32_e32 v9, 0xffff0000, v9
	;; [unrolled: 1-line block ×3, first 2 shown]
	v_add_f32_e32 v8, v8, v9
	v_and_b32_e32 v9, 0xffff0000, v12
	v_and_b32_e32 v1, 0xffff0000, v1
	;; [unrolled: 1-line block ×5, first 2 shown]
	s_waitcnt vmcnt(0)
	v_add_f32_e32 v48, v48, v10
	v_and_b32_e32 v10, 0xffff0000, v45
	v_add_f32_e32 v10, v11, v10
	v_and_b32_e32 v11, 0xffff0000, v47
	v_add_f32_e32 v11, v22, v11
	v_add_f32_e32 v10, v10, v11
	v_and_b32_e32 v11, 0xffff0000, v56
	v_add_f32_e32 v4, v11, v4
	v_add_f32_e32 v4, v10, v4
	v_and_b32_e32 v10, 0xffff0000, v20
	v_and_b32_e32 v11, 0xffff0000, v21
	scratch_load_dwordx2 v[20:21], off, s32 offset:224 ; 8-byte Folded Reload
	v_add_f32_e32 v10, v10, v11
	v_add_f32_e32 v4, v4, v10
	v_and_b32_e32 v10, 0xffff0000, v31
	v_and_b32_e32 v11, 0xffff0000, v33
	s_waitcnt vmcnt(0)
	v_add_f32_e32 v21, v21, v4
	v_and_b32_e32 v4, 0xffff0000, v32
	v_add_f32_e32 v4, v10, v4
	v_and_b32_e32 v10, 0xffff0000, v34
	v_add_f32_e32 v10, v11, v10
	v_add_f32_e32 v4, v4, v10
	v_and_b32_e32 v10, 0xffff0000, v36
	v_and_b32_e32 v11, 0xffff0000, v35
	v_add_f32_e32 v10, v11, v10
	v_add_f32_e32 v4, v4, v10
	v_and_b32_e32 v10, 0xffff0000, v37
	v_and_b32_e32 v11, 0xffff0000, v23
	v_add_f32_e32 v10, v10, v11
	v_add_f32_e32 v4, v4, v10
	;; [unrolled: 1-line block ×3, first 2 shown]
	v_and_b32_e32 v4, 0xffff0000, v16
	v_and_b32_e32 v11, 0xffff0000, v17
	scratch_load_dwordx2 v[16:17], off, s32 offset:232 ; 8-byte Folded Reload
	v_and_b32_e32 v10, 0xffff0000, v13
	v_add_f32_e32 v4, v10, v4
	v_and_b32_e32 v10, 0xffff0000, v18
	v_add_f32_e32 v10, v11, v10
	v_add_f32_e32 v4, v4, v10
	v_and_b32_e32 v10, 0xffff0000, v28
	v_and_b32_e32 v11, 0xffff0000, v19
	scratch_load_dwordx2 v[18:19], off, s32 offset:240 ; 8-byte Folded Reload
	v_add_f32_e32 v10, v11, v10
	v_add_f32_e32 v4, v4, v10
	v_and_b32_e32 v10, 0xffff0000, v29
	v_and_b32_e32 v11, 0xffff0000, v30
	v_add_f32_e32 v10, v10, v11
	v_add_f32_e32 v4, v4, v10
	v_and_b32_e32 v10, 0xffff0000, v60
	scratch_load_dwordx2 v[12:13], off, s32 offset:272 ; 8-byte Folded Reload
	v_and_b32_e32 v11, 0xffff0000, v38
	scratch_store_dwordx2 off, v[20:21], s32 offset:224 ; 8-byte Folded Spill
	s_waitcnt vmcnt(3)
	v_add_f32_e32 v17, v17, v4
	v_and_b32_e32 v4, 0xffff0000, v61
	v_add_f32_e32 v4, v10, v4
	v_and_b32_e32 v10, 0xffff0000, v39
	v_add_f32_e32 v10, v11, v10
	v_add_f32_e32 v4, v4, v10
	scratch_load_dwordx2 v[10:11], off, s32 offset:248 ; 8-byte Folded Reload
	v_add_f32_e32 v4, v4, v8
	v_and_b32_e32 v8, 0xffff0000, v43
	v_add_f32_e32 v8, v8, v9
	v_add_f32_e32 v4, v4, v8
	;; [unrolled: 1-line block ×3, first 2 shown]
	v_accvgpr_read_b32 v4, a5
	v_accvgpr_read_b32 v8, a31
	v_and_b32_e32 v4, 0xffff0000, v4
	v_and_b32_e32 v8, 0xffff0000, v8
	v_add_f32_e32 v4, v8, v4
	v_accvgpr_read_b32 v8, a3
	v_accvgpr_read_b32 v9, a9
	v_and_b32_e32 v8, 0xffff0000, v8
	v_and_b32_e32 v9, 0xffff0000, v9
	v_add_f32_e32 v8, v9, v8
	v_add_f32_e32 v4, v4, v8
	v_accvgpr_read_b32 v8, a8
	v_accvgpr_read_b32 v9, a7
	v_and_b32_e32 v8, 0xffff0000, v8
	v_and_b32_e32 v9, 0xffff0000, v9
	v_add_f32_e32 v8, v9, v8
	;; [unrolled: 6-line block ×3, first 2 shown]
	v_add_f32_e32 v4, v4, v8
	v_accvgpr_read_b32 v8, a19
	v_and_b32_e32 v8, 0xffff0000, v8
	v_accvgpr_read_b32 v9, a61
	v_and_b32_e32 v9, 0xffff0000, v9
	scratch_store_dwordx2 off, v[16:17], s32 offset:232 ; 8-byte Folded Spill
	v_accvgpr_read_b32 v16, a50
	v_and_b32_e32 v16, 0xffff0000, v16
	s_waitcnt vmcnt(1)
	v_add_f32_e32 v11, v11, v4
	v_accvgpr_read_b32 v4, a59
	v_and_b32_e32 v4, 0xffff0000, v4
	v_add_f32_e32 v4, v8, v4
	v_accvgpr_read_b32 v8, a63
	v_and_b32_e32 v8, 0xffff0000, v8
	v_add_f32_e32 v8, v9, v8
	v_add_f32_e32 v4, v4, v8
	v_accvgpr_read_b32 v8, a34
	v_accvgpr_read_b32 v9, a17
	v_and_b32_e32 v8, 0xffff0000, v8
	v_and_b32_e32 v9, 0xffff0000, v9
	v_add_f32_e32 v8, v9, v8
	v_add_f32_e32 v4, v4, v8
	v_accvgpr_read_b32 v8, a35
	v_accvgpr_read_b32 v9, a30
	v_and_b32_e32 v8, 0xffff0000, v8
	v_and_b32_e32 v9, 0xffff0000, v9
	v_add_f32_e32 v8, v8, v9
	v_add_f32_e32 v4, v4, v8
	;; [unrolled: 1-line block ×3, first 2 shown]
	scratch_store_dwordx2 off, v[10:11], s32 offset:248 ; 8-byte Folded Spill
	scratch_load_dwordx2 v[10:11], off, s32 offset:264 ; 8-byte Folded Reload
	v_accvgpr_read_b32 v4, a47
	v_accvgpr_read_b32 v8, a45
	v_and_b32_e32 v4, 0xffff0000, v4
	v_and_b32_e32 v8, 0xffff0000, v8
	v_add_f32_e32 v4, v8, v4
	v_accvgpr_read_b32 v8, a51
	v_accvgpr_read_b32 v9, a49
	v_and_b32_e32 v8, 0xffff0000, v8
	v_and_b32_e32 v9, 0xffff0000, v9
	v_add_f32_e32 v8, v9, v8
	v_add_f32_e32 v4, v4, v8
	v_accvgpr_read_b32 v8, a55
	v_accvgpr_read_b32 v9, a53
	v_and_b32_e32 v8, 0xffff0000, v8
	v_and_b32_e32 v9, 0xffff0000, v9
	v_add_f32_e32 v8, v9, v8
	v_add_f32_e32 v4, v4, v8
	v_accvgpr_read_b32 v8, a57
	v_accvgpr_read_b32 v9, a18
	v_and_b32_e32 v8, 0xffff0000, v8
	v_and_b32_e32 v9, 0xffff0000, v9
	v_add_f32_e32 v8, v8, v9
	v_add_f32_e32 v4, v4, v8
	v_accvgpr_read_b32 v8, a26
	v_and_b32_e32 v8, 0xffff0000, v8
	v_accvgpr_read_b32 v9, a28
	v_and_b32_e32 v9, 0xffff0000, v9
	s_waitcnt vmcnt(0)
	v_add_f32_e32 v11, v11, v4
	v_accvgpr_read_b32 v4, a27
	v_and_b32_e32 v4, 0xffff0000, v4
	v_add_f32_e32 v4, v8, v4
	v_accvgpr_read_b32 v8, a29
	v_and_b32_e32 v8, 0xffff0000, v8
	v_add_f32_e32 v8, v9, v8
	v_add_f32_e32 v4, v4, v8
	v_accvgpr_read_b32 v8, a39
	v_accvgpr_read_b32 v9, a12
	v_and_b32_e32 v8, 0xffff0000, v8
	v_and_b32_e32 v9, 0xffff0000, v9
	v_add_f32_e32 v8, v9, v8
	v_add_f32_e32 v4, v4, v8
	v_accvgpr_read_b32 v8, a41
	v_accvgpr_read_b32 v9, a43
	v_and_b32_e32 v8, 0xffff0000, v8
	v_and_b32_e32 v9, 0xffff0000, v9
	v_add_f32_e32 v8, v8, v9
	v_add_f32_e32 v4, v4, v8
	;; [unrolled: 1-line block ×3, first 2 shown]
	v_accvgpr_read_b32 v4, a23
	v_accvgpr_read_b32 v8, a22
	v_and_b32_e32 v4, 0xffff0000, v4
	v_and_b32_e32 v8, 0xffff0000, v8
	v_add_f32_e32 v4, v8, v4
	v_accvgpr_read_b32 v8, a33
	v_accvgpr_read_b32 v9, a32
	v_and_b32_e32 v8, 0xffff0000, v8
	v_and_b32_e32 v9, 0xffff0000, v9
	v_add_f32_e32 v8, v9, v8
	v_add_f32_e32 v4, v4, v8
	v_accvgpr_read_b32 v8, a25
	v_accvgpr_read_b32 v9, a24
	v_and_b32_e32 v8, 0xffff0000, v8
	v_and_b32_e32 v9, 0xffff0000, v9
	v_add_f32_e32 v8, v9, v8
	;; [unrolled: 6-line block ×3, first 2 shown]
	v_add_f32_e32 v4, v4, v8
	v_add_f32_e32 v13, v13, v4
	v_accvgpr_read_b32 v4, a54
	v_accvgpr_read_b32 v8, a52
	v_and_b32_e32 v4, 0xffff0000, v4
	v_and_b32_e32 v8, 0xffff0000, v8
	v_add_f32_e32 v4, v8, v4
	v_accvgpr_read_b32 v8, a58
	v_accvgpr_read_b32 v9, a56
	v_and_b32_e32 v8, 0xffff0000, v8
	v_and_b32_e32 v9, 0xffff0000, v9
	v_add_f32_e32 v8, v9, v8
	v_add_f32_e32 v4, v4, v8
	v_accvgpr_read_b32 v8, a62
	v_accvgpr_read_b32 v9, a60
	v_and_b32_e32 v8, 0xffff0000, v8
	v_and_b32_e32 v9, 0xffff0000, v9
	scratch_store_dwordx2 off, v[10:11], s32 offset:264 ; 8-byte Folded Spill
	v_add_f32_e32 v8, v9, v8
	v_accvgpr_read_b32 v9, a20
	v_accvgpr_read_b32 v10, a21
	v_and_b32_e32 v9, 0xffff0000, v9
	v_and_b32_e32 v10, 0xffff0000, v10
	v_add_f32_e32 v4, v4, v8
	v_add_f32_e32 v8, v9, v10
	;; [unrolled: 1-line block ×4, first 2 shown]
	scratch_store_dwordx2 off, v[12:13], s32 offset:272 ; 8-byte Folded Spill
	scratch_load_dword v11, off, s32 offset:488 ; 4-byte Folded Reload
	v_accvgpr_read_b32 v9, a42
	scratch_load_dword v12, off, s32 offset:484 ; 4-byte Folded Reload
	v_accvgpr_read_b32 v10, a40
	v_accvgpr_read_b32 v4, a46
	;; [unrolled: 1-line block ×3, first 2 shown]
	v_and_b32_e32 v9, 0xffff0000, v9
	v_and_b32_e32 v10, 0xffff0000, v10
	;; [unrolled: 1-line block ×4, first 2 shown]
	v_accvgpr_read_b32 v13, a48
	v_add_f32_e32 v9, v10, v9
	v_and_b32_e32 v13, 0xffff0000, v13
	v_add_f32_e32 v4, v8, v4
	v_add_f32_e32 v8, v13, v16
	scratch_load_dword v10, off, s32 offset:460 ; 4-byte Folded Reload
	scratch_load_dword v13, off, s32 offset:476 ; 4-byte Folded Reload
	;; [unrolled: 1-line block ×3, first 2 shown]
	s_waitcnt vmcnt(4)
	v_and_b32_e32 v11, 0xffff0000, v11
	s_waitcnt vmcnt(3)
	v_and_b32_e32 v12, 0xffff0000, v12
	v_add_f32_e32 v11, v12, v11
	v_add_f32_e32 v9, v11, v9
	v_add_f32_e32 v4, v9, v4
	v_add_f32_e32 v4, v4, v8
	v_add_f32_e32 v19, v19, v4
	scratch_load_dword v4, off, s32 offset:472 ; 4-byte Folded Reload
	scratch_load_dword v8, off, s32 offset:468 ; 4-byte Folded Reload
	;; [unrolled: 1-line block ×5, first 2 shown]
	s_waitcnt vmcnt(7)
	v_and_b32_e32 v10, 0xffff0000, v10
	s_waitcnt vmcnt(6)
	v_and_b32_e32 v13, 0xffff0000, v13
	;; [unrolled: 2-line block ×8, first 2 shown]
	v_add_f32_e32 v11, v12, v11
	v_add_f32_e32 v9, v10, v9
	;; [unrolled: 1-line block ×8, first 2 shown]
	scratch_load_dword v4, off, s32 offset:440 ; 4-byte Folded Reload
	scratch_load_dword v13, off, s32 offset:444 ; 4-byte Folded Reload
	;; [unrolled: 1-line block ×8, first 2 shown]
	s_waitcnt vmcnt(7)
	v_and_b32_e32 v4, 0xffff0000, v4
	scratch_store_dwordx2 off, v[18:19], s32 offset:240 ; 8-byte Folded Spill
	scratch_load_dwordx2 v[18:19], off, s32 offset:256 ; 8-byte Folded Reload
	s_waitcnt vmcnt(6)
	v_and_b32_e32 v8, 0xffff0000, v8
	s_waitcnt vmcnt(5)
	v_and_b32_e32 v9, 0xffff0000, v9
	;; [unrolled: 2-line block ×5, first 2 shown]
	v_add_f32_e32 v11, v12, v11
	scratch_load_dword v12, off, s32 offset:388 ; 4-byte Folded Reload
	v_add_f32_e32 v9, v10, v9
	v_and_b32_e32 v13, 0xffff0000, v13
	v_and_b32_e32 v16, 0xffff0000, v16
	v_add_f32_e32 v9, v11, v9
	v_add_f32_e32 v4, v8, v4
	;; [unrolled: 1-line block ×5, first 2 shown]
	scratch_load_dword v8, off, s32 offset:404 ; 4-byte Folded Reload
	scratch_load_dword v13, off, s32 offset:412 ; 4-byte Folded Reload
	;; [unrolled: 1-line block ×6, first 2 shown]
	s_waitcnt vmcnt(7)
	v_add_f32_e32 v19, v19, v4
	scratch_load_dword v4, off, s32 offset:408 ; 4-byte Folded Reload
	s_waitcnt vmcnt(7)
	v_and_b32_e32 v12, 0xffff0000, v12
	s_waitcnt vmcnt(6)
	v_and_b32_e32 v8, 0xffff0000, v8
	s_waitcnt vmcnt(5)
	v_and_b32_e32 v13, 0xffff0000, v13
	s_waitcnt vmcnt(4)
	v_and_b32_e32 v9, 0xffff0000, v9
	s_waitcnt vmcnt(3)
	v_and_b32_e32 v10, 0xffff0000, v10
	s_waitcnt vmcnt(2)
	v_and_b32_e32 v11, 0xffff0000, v11
	v_add_f32_e32 v11, v12, v11
	v_add_f32_e32 v9, v10, v9
	s_waitcnt vmcnt(1)
	v_and_b32_e32 v16, 0xffff0000, v16
	v_add_f32_e32 v9, v11, v9
	s_waitcnt vmcnt(0)
	v_and_b32_e32 v4, 0xffff0000, v4
	v_add_f32_e32 v4, v8, v4
	v_add_f32_e32 v4, v9, v4
	;; [unrolled: 1-line block ×4, first 2 shown]
	v_and_b32_e32 v8, 0xffff0000, v7
	v_and_b32_e32 v7, 0xffff0000, v6
	;; [unrolled: 1-line block ×4, first 2 shown]
	v_pk_add_f32 v[0:1], v[0:1], v[6:7]
	v_pk_add_f32 v[2:3], v[2:3], v[8:9]
	v_add_f32_e32 v0, v0, v1
	v_add_f32_e32 v0, v0, v2
	;; [unrolled: 1-line block ×5, first 2 shown]
	scratch_store_dwordx2 off, v[18:19], s32 offset:256 ; 8-byte Folded Spill
	scratch_store_dwordx2 off, v[48:49], s32 offset:208 ; 8-byte Folded Spill
.LBB179_49:                             ;   in Loop: Header=BB179_50 Depth=1
	s_or_b64 exec, exec, s[12:13]
	scratch_load_dword v0, off, s32 offset:196 ; 4-byte Folded Reload
	v_accvgpr_read_b32 v2, a10
	v_add_u32_e32 v2, 2, v2
	v_accvgpr_read_b32 v3, a11
	v_lshl_add_u64 v[14:15], v[14:15], 0, 8
	v_add_u32_e32 v3, 64, v3
	v_accvgpr_write_b32 a10, v2
	v_add_u32_e32 v25, 0x100, v25
	s_waitcnt vmcnt(0)
	v_cmp_ge_i32_e32 vcc, v2, v0
	s_or_b64 s[10:11], vcc, s[10:11]
	s_andn2_b64 exec, exec, s[10:11]
	s_cbranch_execz .LBB179_627
.LBB179_50:                             ; =>This Inner Loop Header: Depth=1
	scratch_load_dword v1, off, s32 offset:192 ; 4-byte Folded Reload
	scratch_load_dword v2, off, s32 offset:200 ; 4-byte Folded Reload
	;; [unrolled: 1-line block ×3, first 2 shown]
	v_ashrrev_i32_e32 v0, 31, v3
	v_accvgpr_write_b32 a11, v3
	s_waitcnt vmcnt(0)
	v_xor_b32_e32 v0, v0, v1
	v_sub_u32_e32 v1, 0, v3
	v_max_i32_e32 v1, v3, v1
	v_mul_hi_u32 v2, v1, v2
	v_mul_lo_u32 v3, v2, v4
	v_sub_u32_e32 v1, v1, v3
	v_add_u32_e32 v3, 1, v2
	v_cmp_ge_u32_e32 vcc, v1, v4
	s_nop 1
	v_cndmask_b32_e32 v2, v2, v3, vcc
	v_sub_u32_e32 v3, v1, v4
	v_cndmask_b32_e32 v1, v1, v3, vcc
	v_cmp_ge_u32_e32 vcc, v1, v4
	scratch_load_dwordx2 v[4:5], off, s32 offset:284 ; 8-byte Folded Reload
	v_add_u32_e32 v3, 1, v2
	v_cndmask_b32_e32 v1, v2, v3, vcc
	v_xor_b32_e32 v1, v1, v0
	v_sub_u32_e32 v0, v1, v0
	v_accvgpr_read_b32 v2, a6
	v_add_u32_e32 v1, v0, v2
	v_sub_u32_e32 v3, 0, v1
	v_ashrrev_i32_e32 v2, 31, v1
	v_max_i32_e32 v1, v1, v3
	s_waitcnt vmcnt(0)
	v_mul_hi_u32 v3, v1, v4
	scratch_load_dword v4, off, s32 offset:280 ; 4-byte Folded Reload
	s_waitcnt vmcnt(0)
	v_mul_lo_u32 v3, v3, v4
	v_sub_u32_e32 v1, v1, v3
	v_sub_u32_e32 v3, v1, v4
	v_cmp_ge_u32_e32 vcc, v1, v4
	s_nop 1
	v_cndmask_b32_e32 v1, v1, v3, vcc
	v_sub_u32_e32 v3, v1, v4
	v_cmp_ge_u32_e32 vcc, v1, v4
	s_nop 1
	v_cndmask_b32_e32 v1, v1, v3, vcc
	v_xor_b32_e32 v1, v1, v2
	v_sub_u32_e32 v1, v1, v2
	v_cmp_eq_u32_e32 vcc, 0, v1
	scratch_load_dword v1, off, s32 offset:204 ; 4-byte Folded Reload
	s_waitcnt vmcnt(0)
	v_cmp_gt_i32_e64 s[4:5], v0, v1
	s_or_b64 s[4:5], vcc, s[4:5]
	s_and_saveexec_b64 s[12:13], s[4:5]
	s_cbranch_execz .LBB179_49
; %bb.51:                               ;   in Loop: Header=BB179_50 Depth=1
	flat_load_dword v5, v[14:15]
	ds_read2_b64 v[6:9], v25 offset1:1
	ds_read2_b64 v[0:3], v25 offset0:2 offset1:3
                                        ; implicit-def: $vgpr19
	s_waitcnt lgkmcnt(0)
	v_and_b32_e32 v4, 0x7f800000, v6
	v_cmp_ne_u32_e32 vcc, s15, v4
	s_and_saveexec_b64 s[4:5], vcc
	s_xor_b64 s[4:5], exec, s[4:5]
; %bb.52:                               ;   in Loop: Header=BB179_50 Depth=1
	v_bfe_u32 v4, v6, 16, 1
	v_add3_u32 v19, v6, v4, s24
; %bb.53:                               ;   in Loop: Header=BB179_50 Depth=1
	s_andn2_saveexec_b64 s[4:5], s[4:5]
; %bb.54:                               ;   in Loop: Header=BB179_50 Depth=1
	v_or_b32_e32 v4, 0x10000, v6
	v_cmp_eq_u32_sdwa vcc, v6, v27 src0_sel:WORD_0 src1_sel:DWORD
	s_nop 1
	v_cndmask_b32_e32 v19, v4, v6, vcc
; %bb.55:                               ;   in Loop: Header=BB179_50 Depth=1
	s_or_b64 exec, exec, s[4:5]
	v_and_b32_e32 v4, 0x7f800000, v7
	v_cmp_ne_u32_e32 vcc, s15, v4
                                        ; implicit-def: $vgpr18
	s_and_saveexec_b64 s[4:5], vcc
	s_xor_b64 s[4:5], exec, s[4:5]
; %bb.56:                               ;   in Loop: Header=BB179_50 Depth=1
	v_bfe_u32 v4, v7, 16, 1
	v_add3_u32 v18, v7, v4, s24
; %bb.57:                               ;   in Loop: Header=BB179_50 Depth=1
	s_andn2_saveexec_b64 s[4:5], s[4:5]
; %bb.58:                               ;   in Loop: Header=BB179_50 Depth=1
	v_or_b32_e32 v4, 0x10000, v7
	v_cmp_eq_u32_sdwa vcc, v7, v27 src0_sel:WORD_0 src1_sel:DWORD
	s_nop 1
	v_cndmask_b32_e32 v18, v4, v7, vcc
; %bb.59:                               ;   in Loop: Header=BB179_50 Depth=1
	s_or_b64 exec, exec, s[4:5]
	v_and_b32_e32 v4, 0x7f800000, v8
	v_cmp_ne_u32_e32 vcc, s15, v4
                                        ; implicit-def: $vgpr17
	s_and_saveexec_b64 s[4:5], vcc
	s_xor_b64 s[4:5], exec, s[4:5]
; %bb.60:                               ;   in Loop: Header=BB179_50 Depth=1
	v_bfe_u32 v4, v8, 16, 1
	v_add3_u32 v17, v8, v4, s24
; %bb.61:                               ;   in Loop: Header=BB179_50 Depth=1
	s_andn2_saveexec_b64 s[4:5], s[4:5]
; %bb.62:                               ;   in Loop: Header=BB179_50 Depth=1
	v_or_b32_e32 v4, 0x10000, v8
	v_cmp_eq_u32_sdwa vcc, v8, v27 src0_sel:WORD_0 src1_sel:DWORD
	s_nop 1
	v_cndmask_b32_e32 v17, v4, v8, vcc
; %bb.63:                               ;   in Loop: Header=BB179_50 Depth=1
	s_or_b64 exec, exec, s[4:5]
	v_and_b32_e32 v4, 0x7f800000, v9
	v_cmp_ne_u32_e32 vcc, s15, v4
                                        ; implicit-def: $vgpr16
	s_and_saveexec_b64 s[4:5], vcc
	s_xor_b64 s[4:5], exec, s[4:5]
; %bb.64:                               ;   in Loop: Header=BB179_50 Depth=1
	v_bfe_u32 v4, v9, 16, 1
	v_add3_u32 v16, v9, v4, s24
                                        ; implicit-def: $vgpr6_vgpr7_vgpr8_vgpr9
; %bb.65:                               ;   in Loop: Header=BB179_50 Depth=1
	s_andn2_saveexec_b64 s[4:5], s[4:5]
; %bb.66:                               ;   in Loop: Header=BB179_50 Depth=1
	v_or_b32_e32 v4, 0x10000, v9
	v_cmp_eq_u32_sdwa vcc, v9, v27 src0_sel:WORD_0 src1_sel:DWORD
	s_nop 1
	v_cndmask_b32_e32 v16, v4, v9, vcc
; %bb.67:                               ;   in Loop: Header=BB179_50 Depth=1
	s_or_b64 exec, exec, s[4:5]
	v_and_b32_e32 v4, 0x7f800000, v0
	v_cmp_ne_u32_e32 vcc, s15, v4
                                        ; implicit-def: $vgpr13
	s_and_saveexec_b64 s[4:5], vcc
	s_xor_b64 s[4:5], exec, s[4:5]
; %bb.68:                               ;   in Loop: Header=BB179_50 Depth=1
	v_bfe_u32 v4, v0, 16, 1
	v_add3_u32 v13, v0, v4, s24
; %bb.69:                               ;   in Loop: Header=BB179_50 Depth=1
	s_andn2_saveexec_b64 s[4:5], s[4:5]
; %bb.70:                               ;   in Loop: Header=BB179_50 Depth=1
	v_or_b32_e32 v4, 0x10000, v0
	v_cmp_eq_u32_sdwa vcc, v0, v27 src0_sel:WORD_0 src1_sel:DWORD
	s_nop 1
	v_cndmask_b32_e32 v13, v4, v0, vcc
; %bb.71:                               ;   in Loop: Header=BB179_50 Depth=1
	s_or_b64 exec, exec, s[4:5]
	v_and_b32_e32 v0, 0x7f800000, v1
	v_cmp_ne_u32_e32 vcc, s15, v0
                                        ; implicit-def: $vgpr12
	s_and_saveexec_b64 s[4:5], vcc
	s_xor_b64 s[4:5], exec, s[4:5]
; %bb.72:                               ;   in Loop: Header=BB179_50 Depth=1
	v_bfe_u32 v0, v1, 16, 1
	v_add3_u32 v12, v1, v0, s24
; %bb.73:                               ;   in Loop: Header=BB179_50 Depth=1
	s_andn2_saveexec_b64 s[4:5], s[4:5]
; %bb.74:                               ;   in Loop: Header=BB179_50 Depth=1
	v_or_b32_e32 v0, 0x10000, v1
	v_cmp_eq_u32_sdwa vcc, v1, v27 src0_sel:WORD_0 src1_sel:DWORD
	s_nop 1
	v_cndmask_b32_e32 v12, v0, v1, vcc
; %bb.75:                               ;   in Loop: Header=BB179_50 Depth=1
	s_or_b64 exec, exec, s[4:5]
	v_and_b32_e32 v0, 0x7f800000, v2
	v_cmp_ne_u32_e32 vcc, s15, v0
                                        ; implicit-def: $vgpr10
	s_and_saveexec_b64 s[4:5], vcc
	s_xor_b64 s[4:5], exec, s[4:5]
; %bb.76:                               ;   in Loop: Header=BB179_50 Depth=1
	v_bfe_u32 v0, v2, 16, 1
	v_add3_u32 v10, v2, v0, s24
; %bb.77:                               ;   in Loop: Header=BB179_50 Depth=1
	s_andn2_saveexec_b64 s[4:5], s[4:5]
; %bb.78:                               ;   in Loop: Header=BB179_50 Depth=1
	v_or_b32_e32 v0, 0x10000, v2
	v_cmp_eq_u32_sdwa vcc, v2, v27 src0_sel:WORD_0 src1_sel:DWORD
	s_nop 1
	v_cndmask_b32_e32 v10, v0, v2, vcc
; %bb.79:                               ;   in Loop: Header=BB179_50 Depth=1
	s_or_b64 exec, exec, s[4:5]
	v_and_b32_e32 v0, 0x7f800000, v3
	v_cmp_ne_u32_e32 vcc, s15, v0
                                        ; implicit-def: $vgpr4
	s_and_saveexec_b64 s[4:5], vcc
	s_xor_b64 s[4:5], exec, s[4:5]
; %bb.80:                               ;   in Loop: Header=BB179_50 Depth=1
	v_bfe_u32 v0, v3, 16, 1
	v_add3_u32 v4, v3, v0, s24
                                        ; implicit-def: $vgpr0_vgpr1_vgpr2_vgpr3
; %bb.81:                               ;   in Loop: Header=BB179_50 Depth=1
	s_andn2_saveexec_b64 s[4:5], s[4:5]
; %bb.82:                               ;   in Loop: Header=BB179_50 Depth=1
	v_or_b32_e32 v0, 0x10000, v3
	v_cmp_eq_u32_sdwa vcc, v3, v27 src0_sel:WORD_0 src1_sel:DWORD
	s_nop 1
	v_cndmask_b32_e32 v4, v0, v3, vcc
; %bb.83:                               ;   in Loop: Header=BB179_50 Depth=1
	s_or_b64 exec, exec, s[4:5]
	scratch_load_dwordx2 v[0:1], off, s32 offset:216 ; 8-byte Folded Reload
	scratch_load_dword v11, off, s32 offset:492 ; 4-byte Folded Reload
	scratch_load_dwordx2 v[2:3], off, s32 offset:500 ; 8-byte Folded Reload
	v_accvgpr_read_b32 v20, a10
	s_waitcnt vmcnt(0)
	v_mad_i64_i32 v[0:1], s[4:5], v5, v0, 0
	v_accvgpr_read_b32 v5, a11
	v_add_u32_e32 v5, v11, v5
	scratch_load_dword v11, off, s32 offset:496 ; 4-byte Folded Reload
	v_lshl_add_u64 v[6:7], v[0:1], 1, v[2:3]
	v_lshl_add_u64 v[8:9], v[6:7], 0, v[26:27]
	flat_load_dwordx4 v[0:3], v[8:9]
	v_add_u32_e32 v23, 7, v5
	v_accvgpr_write_b32 a0, v23
	s_waitcnt vmcnt(0)
	v_cmp_eq_u32_e32 vcc, v11, v20
	v_add_u32_e32 v11, 1, v5
	v_accvgpr_write_b32 a14, v11
	v_add_u32_e32 v11, 2, v5
	v_accvgpr_write_b32 a1, v11
	;; [unrolled: 2-line block ×6, first 2 shown]
	s_waitcnt lgkmcnt(0)
	v_lshrrev_b32_e32 v22, 16, v0
	v_lshrrev_b32_e32 v21, 16, v1
	;; [unrolled: 1-line block ×4, first 2 shown]
	s_and_saveexec_b64 s[22:23], vcc
	s_cbranch_execz .LBB179_85
; %bb.84:                               ;   in Loop: Header=BB179_50 Depth=1
	v_cmp_lt_i32_e64 s[4:5], v5, v62
	v_accvgpr_read_b32 v23, a14
	s_nop 0
	v_cndmask_b32_e64 v0, 0, v0, s[4:5]
	v_cmp_lt_i32_e64 s[4:5], v23, v62
	v_accvgpr_read_b32 v23, a1
	s_nop 0
	v_cndmask_b32_e64 v22, 0, v22, s[4:5]
	;; [unrolled: 4-line block ×7, first 2 shown]
	v_cmp_lt_i32_e64 s[4:5], v23, v62
	s_nop 1
	v_cndmask_b32_e64 v20, 0, v20, s[4:5]
.LBB179_85:                             ;   in Loop: Header=BB179_50 Depth=1
	s_or_b64 exec, exec, s[22:23]
	v_and_b32_e32 v51, 0xffff0000, v19
	v_lshlrev_b32_e32 v0, 16, v0
	v_mul_f32_e32 v0, v51, v0
	v_and_b32_e32 v19, 0x7f800000, v0
	v_cmp_ne_u32_e64 s[4:5], s15, v19
                                        ; implicit-def: $vgpr19
                                        ; kill: killed $vgpr19
	s_and_saveexec_b64 s[22:23], s[4:5]
	s_xor_b64 s[4:5], exec, s[22:23]
	s_cbranch_execz .LBB179_87
; %bb.86:                               ;   in Loop: Header=BB179_50 Depth=1
	v_bfe_u32 v19, v0, 16, 1
	v_add3_u32 v0, v0, v19, s24
	scratch_store_dword off, v0, s32 offset:388 ; 4-byte Folded Spill
                                        ; implicit-def: $vgpr0
.LBB179_87:                             ;   in Loop: Header=BB179_50 Depth=1
	s_andn2_saveexec_b64 s[22:23], s[4:5]
	s_cbranch_execz .LBB179_89
; %bb.88:                               ;   in Loop: Header=BB179_50 Depth=1
	v_or_b32_e32 v19, 0x10000, v0
	v_cmp_eq_u32_sdwa s[4:5], v0, v27 src0_sel:WORD_0 src1_sel:DWORD
	s_nop 1
	v_cndmask_b32_e64 v0, v19, v0, s[4:5]
	scratch_store_dword off, v0, s32 offset:388 ; 4-byte Folded Spill
.LBB179_89:                             ;   in Loop: Header=BB179_50 Depth=1
	s_or_b64 exec, exec, s[22:23]
	v_and_b32_e32 v52, 0xffff0000, v18
	v_lshlrev_b32_e32 v0, 16, v22
	v_mul_f32_e32 v0, v52, v0
	v_and_b32_e32 v18, 0x7f800000, v0
	v_cmp_ne_u32_e64 s[4:5], s15, v18
                                        ; implicit-def: $vgpr18
                                        ; kill: killed $vgpr18
	s_and_saveexec_b64 s[22:23], s[4:5]
	s_xor_b64 s[4:5], exec, s[22:23]
	s_cbranch_execz .LBB179_91
; %bb.90:                               ;   in Loop: Header=BB179_50 Depth=1
	v_bfe_u32 v18, v0, 16, 1
	v_add3_u32 v0, v0, v18, s24
	scratch_store_dword off, v0, s32 offset:392 ; 4-byte Folded Spill
                                        ; implicit-def: $vgpr0
.LBB179_91:                             ;   in Loop: Header=BB179_50 Depth=1
	s_andn2_saveexec_b64 s[22:23], s[4:5]
	s_cbranch_execz .LBB179_93
; %bb.92:                               ;   in Loop: Header=BB179_50 Depth=1
	v_or_b32_e32 v18, 0x10000, v0
	v_cmp_eq_u32_sdwa s[4:5], v0, v27 src0_sel:WORD_0 src1_sel:DWORD
	s_nop 1
	v_cndmask_b32_e64 v0, v18, v0, s[4:5]
	scratch_store_dword off, v0, s32 offset:392 ; 4-byte Folded Spill
.LBB179_93:                             ;   in Loop: Header=BB179_50 Depth=1
	s_or_b64 exec, exec, s[22:23]
	v_and_b32_e32 v53, 0xffff0000, v17
	v_lshlrev_b32_e32 v0, 16, v1
	v_mul_f32_e32 v0, v53, v0
	v_and_b32_e32 v1, 0x7f800000, v0
	v_cmp_ne_u32_e64 s[4:5], s15, v1
                                        ; implicit-def: $vgpr1
                                        ; kill: killed $vgpr1
	s_and_saveexec_b64 s[22:23], s[4:5]
	s_xor_b64 s[4:5], exec, s[22:23]
	s_cbranch_execz .LBB179_95
; %bb.94:                               ;   in Loop: Header=BB179_50 Depth=1
	v_bfe_u32 v1, v0, 16, 1
	v_add3_u32 v0, v0, v1, s24
	scratch_store_dword off, v0, s32 offset:396 ; 4-byte Folded Spill
                                        ; implicit-def: $vgpr0
.LBB179_95:                             ;   in Loop: Header=BB179_50 Depth=1
	s_andn2_saveexec_b64 s[22:23], s[4:5]
	s_cbranch_execz .LBB179_97
; %bb.96:                               ;   in Loop: Header=BB179_50 Depth=1
	v_or_b32_e32 v1, 0x10000, v0
	v_cmp_eq_u32_sdwa s[4:5], v0, v27 src0_sel:WORD_0 src1_sel:DWORD
	s_nop 1
	v_cndmask_b32_e64 v0, v1, v0, s[4:5]
	scratch_store_dword off, v0, s32 offset:396 ; 4-byte Folded Spill
.LBB179_97:                             ;   in Loop: Header=BB179_50 Depth=1
	s_or_b64 exec, exec, s[22:23]
	v_and_b32_e32 v54, 0xffff0000, v16
	v_lshlrev_b32_e32 v0, 16, v21
	v_mul_f32_e32 v0, v54, v0
	v_and_b32_e32 v1, 0x7f800000, v0
	v_cmp_ne_u32_e64 s[4:5], s15, v1
                                        ; implicit-def: $vgpr1
                                        ; kill: killed $vgpr1
	s_and_saveexec_b64 s[22:23], s[4:5]
	s_xor_b64 s[4:5], exec, s[22:23]
	s_cbranch_execz .LBB179_99
; %bb.98:                               ;   in Loop: Header=BB179_50 Depth=1
	v_bfe_u32 v1, v0, 16, 1
	v_add3_u32 v0, v0, v1, s24
	scratch_store_dword off, v0, s32 offset:400 ; 4-byte Folded Spill
                                        ; implicit-def: $vgpr0
.LBB179_99:                             ;   in Loop: Header=BB179_50 Depth=1
	s_andn2_saveexec_b64 s[22:23], s[4:5]
	s_cbranch_execz .LBB179_101
; %bb.100:                              ;   in Loop: Header=BB179_50 Depth=1
	v_or_b32_e32 v1, 0x10000, v0
	v_cmp_eq_u32_sdwa s[4:5], v0, v27 src0_sel:WORD_0 src1_sel:DWORD
	s_nop 1
	v_cndmask_b32_e64 v0, v1, v0, s[4:5]
	scratch_store_dword off, v0, s32 offset:400 ; 4-byte Folded Spill
.LBB179_101:                            ;   in Loop: Header=BB179_50 Depth=1
	s_or_b64 exec, exec, s[22:23]
	v_and_b32_e32 v55, 0xffff0000, v13
	v_lshlrev_b32_e32 v0, 16, v2
	v_mul_f32_e32 v0, v55, v0
	v_and_b32_e32 v1, 0x7f800000, v0
	v_cmp_ne_u32_e64 s[4:5], s15, v1
                                        ; implicit-def: $vgpr1
                                        ; kill: killed $vgpr1
	s_and_saveexec_b64 s[22:23], s[4:5]
	s_xor_b64 s[4:5], exec, s[22:23]
	s_cbranch_execz .LBB179_103
; %bb.102:                              ;   in Loop: Header=BB179_50 Depth=1
	v_bfe_u32 v1, v0, 16, 1
	v_add3_u32 v0, v0, v1, s24
	scratch_store_dword off, v0, s32 offset:404 ; 4-byte Folded Spill
                                        ; implicit-def: $vgpr0
.LBB179_103:                            ;   in Loop: Header=BB179_50 Depth=1
	s_andn2_saveexec_b64 s[22:23], s[4:5]
	s_cbranch_execz .LBB179_105
; %bb.104:                              ;   in Loop: Header=BB179_50 Depth=1
	v_or_b32_e32 v1, 0x10000, v0
	v_cmp_eq_u32_sdwa s[4:5], v0, v27 src0_sel:WORD_0 src1_sel:DWORD
	s_nop 1
	v_cndmask_b32_e64 v0, v1, v0, s[4:5]
	scratch_store_dword off, v0, s32 offset:404 ; 4-byte Folded Spill
.LBB179_105:                            ;   in Loop: Header=BB179_50 Depth=1
	s_or_b64 exec, exec, s[22:23]
	v_and_b32_e32 v40, 0xffff0000, v12
	v_lshlrev_b32_e32 v0, 16, v11
	v_mul_f32_e32 v0, v40, v0
	v_and_b32_e32 v1, 0x7f800000, v0
	v_cmp_ne_u32_e64 s[4:5], s15, v1
                                        ; implicit-def: $vgpr1
                                        ; kill: killed $vgpr1
	s_and_saveexec_b64 s[22:23], s[4:5]
	s_xor_b64 s[4:5], exec, s[22:23]
	s_cbranch_execz .LBB179_107
; %bb.106:                              ;   in Loop: Header=BB179_50 Depth=1
	v_bfe_u32 v1, v0, 16, 1
	v_add3_u32 v0, v0, v1, s24
	scratch_store_dword off, v0, s32 offset:408 ; 4-byte Folded Spill
                                        ; implicit-def: $vgpr0
.LBB179_107:                            ;   in Loop: Header=BB179_50 Depth=1
	;; [unrolled: 26-line block ×4, first 2 shown]
	s_andn2_saveexec_b64 s[22:23], s[4:5]
	s_cbranch_execz .LBB179_117
; %bb.116:                              ;   in Loop: Header=BB179_50 Depth=1
	v_or_b32_e32 v1, 0x10000, v0
	v_cmp_eq_u32_sdwa s[4:5], v0, v27 src0_sel:WORD_0 src1_sel:DWORD
	s_nop 1
	v_cndmask_b32_e64 v0, v1, v0, s[4:5]
	scratch_store_dword off, v0, s32 offset:416 ; 4-byte Folded Spill
.LBB179_117:                            ;   in Loop: Header=BB179_50 Depth=1
	s_or_b64 exec, exec, s[22:23]
	flat_load_dwordx4 v[0:3], v[8:9] offset:1024
	s_waitcnt vmcnt(0) lgkmcnt(0)
	v_lshrrev_b32_e32 v12, 16, v0
	v_lshrrev_b32_e32 v11, 16, v1
	;; [unrolled: 1-line block ×4, first 2 shown]
	s_and_saveexec_b64 s[22:23], vcc
	s_cbranch_execz .LBB179_119
; %bb.118:                              ;   in Loop: Header=BB179_50 Depth=1
	v_cmp_lt_i32_e64 s[4:5], v5, v62
	v_accvgpr_read_b32 v13, a14
	s_nop 0
	v_cndmask_b32_e64 v0, 0, v0, s[4:5]
	v_cmp_lt_i32_e64 s[4:5], v13, v62
	v_accvgpr_read_b32 v13, a1
	s_nop 0
	v_cndmask_b32_e64 v12, 0, v12, s[4:5]
	;; [unrolled: 4-line block ×7, first 2 shown]
	v_cmp_lt_i32_e64 s[4:5], v13, v62
	s_nop 1
	v_cndmask_b32_e64 v4, 0, v4, s[4:5]
.LBB179_119:                            ;   in Loop: Header=BB179_50 Depth=1
	s_or_b64 exec, exec, s[22:23]
	v_lshlrev_b32_e32 v0, 16, v0
	v_mul_f32_e32 v0, v51, v0
	v_and_b32_e32 v13, 0x7f800000, v0
	v_cmp_ne_u32_e64 s[4:5], s15, v13
                                        ; implicit-def: $vgpr13
                                        ; kill: killed $vgpr13
	s_and_saveexec_b64 s[22:23], s[4:5]
	s_xor_b64 s[4:5], exec, s[22:23]
	s_cbranch_execz .LBB179_121
; %bb.120:                              ;   in Loop: Header=BB179_50 Depth=1
	v_bfe_u32 v13, v0, 16, 1
	v_add3_u32 v0, v0, v13, s24
	scratch_store_dword off, v0, s32 offset:420 ; 4-byte Folded Spill
                                        ; implicit-def: $vgpr0
.LBB179_121:                            ;   in Loop: Header=BB179_50 Depth=1
	s_andn2_saveexec_b64 s[22:23], s[4:5]
	s_cbranch_execz .LBB179_123
; %bb.122:                              ;   in Loop: Header=BB179_50 Depth=1
	v_or_b32_e32 v13, 0x10000, v0
	v_cmp_eq_u32_sdwa s[4:5], v0, v27 src0_sel:WORD_0 src1_sel:DWORD
	s_nop 1
	v_cndmask_b32_e64 v0, v13, v0, s[4:5]
	scratch_store_dword off, v0, s32 offset:420 ; 4-byte Folded Spill
.LBB179_123:                            ;   in Loop: Header=BB179_50 Depth=1
	s_or_b64 exec, exec, s[22:23]
	v_lshlrev_b32_e32 v0, 16, v12
	v_mul_f32_e32 v0, v52, v0
	v_and_b32_e32 v12, 0x7f800000, v0
	v_cmp_ne_u32_e64 s[4:5], s15, v12
                                        ; implicit-def: $vgpr12
                                        ; kill: killed $vgpr12
	s_and_saveexec_b64 s[22:23], s[4:5]
	s_xor_b64 s[4:5], exec, s[22:23]
	s_cbranch_execz .LBB179_125
; %bb.124:                              ;   in Loop: Header=BB179_50 Depth=1
	v_bfe_u32 v12, v0, 16, 1
	v_add3_u32 v0, v0, v12, s24
	scratch_store_dword off, v0, s32 offset:424 ; 4-byte Folded Spill
                                        ; implicit-def: $vgpr0
.LBB179_125:                            ;   in Loop: Header=BB179_50 Depth=1
	s_andn2_saveexec_b64 s[22:23], s[4:5]
	s_cbranch_execz .LBB179_127
; %bb.126:                              ;   in Loop: Header=BB179_50 Depth=1
	v_or_b32_e32 v12, 0x10000, v0
	v_cmp_eq_u32_sdwa s[4:5], v0, v27 src0_sel:WORD_0 src1_sel:DWORD
	s_nop 1
	v_cndmask_b32_e64 v0, v12, v0, s[4:5]
	scratch_store_dword off, v0, s32 offset:424 ; 4-byte Folded Spill
.LBB179_127:                            ;   in Loop: Header=BB179_50 Depth=1
	s_or_b64 exec, exec, s[22:23]
	v_lshlrev_b32_e32 v0, 16, v1
	v_mul_f32_e32 v0, v53, v0
	v_and_b32_e32 v1, 0x7f800000, v0
	v_cmp_ne_u32_e64 s[4:5], s15, v1
                                        ; implicit-def: $vgpr1
                                        ; kill: killed $vgpr1
	s_and_saveexec_b64 s[22:23], s[4:5]
	s_xor_b64 s[4:5], exec, s[22:23]
	s_cbranch_execz .LBB179_129
; %bb.128:                              ;   in Loop: Header=BB179_50 Depth=1
	v_bfe_u32 v1, v0, 16, 1
	v_add3_u32 v0, v0, v1, s24
	scratch_store_dword off, v0, s32 offset:428 ; 4-byte Folded Spill
                                        ; implicit-def: $vgpr0
.LBB179_129:                            ;   in Loop: Header=BB179_50 Depth=1
	s_andn2_saveexec_b64 s[22:23], s[4:5]
	s_cbranch_execz .LBB179_131
; %bb.130:                              ;   in Loop: Header=BB179_50 Depth=1
	v_or_b32_e32 v1, 0x10000, v0
	v_cmp_eq_u32_sdwa s[4:5], v0, v27 src0_sel:WORD_0 src1_sel:DWORD
	s_nop 1
	v_cndmask_b32_e64 v0, v1, v0, s[4:5]
	scratch_store_dword off, v0, s32 offset:428 ; 4-byte Folded Spill
.LBB179_131:                            ;   in Loop: Header=BB179_50 Depth=1
	s_or_b64 exec, exec, s[22:23]
	v_lshlrev_b32_e32 v0, 16, v11
	v_mul_f32_e32 v0, v54, v0
	v_and_b32_e32 v1, 0x7f800000, v0
	v_cmp_ne_u32_e64 s[4:5], s15, v1
                                        ; implicit-def: $vgpr1
                                        ; kill: killed $vgpr1
	;; [unrolled: 25-line block ×6, first 2 shown]
	s_and_saveexec_b64 s[22:23], s[4:5]
	s_xor_b64 s[4:5], exec, s[22:23]
	s_cbranch_execz .LBB179_149
; %bb.148:                              ;   in Loop: Header=BB179_50 Depth=1
	v_bfe_u32 v1, v0, 16, 1
	v_add3_u32 v0, v0, v1, s24
	scratch_store_dword off, v0, s32 offset:448 ; 4-byte Folded Spill
                                        ; implicit-def: $vgpr0
.LBB179_149:                            ;   in Loop: Header=BB179_50 Depth=1
	s_andn2_saveexec_b64 s[22:23], s[4:5]
	s_cbranch_execz .LBB179_151
; %bb.150:                              ;   in Loop: Header=BB179_50 Depth=1
	v_or_b32_e32 v1, 0x10000, v0
	v_cmp_eq_u32_sdwa s[4:5], v0, v27 src0_sel:WORD_0 src1_sel:DWORD
	s_nop 1
	v_cndmask_b32_e64 v0, v1, v0, s[4:5]
	scratch_store_dword off, v0, s32 offset:448 ; 4-byte Folded Spill
.LBB179_151:                            ;   in Loop: Header=BB179_50 Depth=1
	s_or_b64 exec, exec, s[22:23]
	flat_load_dwordx4 v[0:3], v[8:9] offset:2048
	s_waitcnt vmcnt(0) lgkmcnt(0)
	v_lshrrev_b32_e32 v12, 16, v0
	v_lshrrev_b32_e32 v11, 16, v1
	v_lshrrev_b32_e32 v10, 16, v2
	v_lshrrev_b32_e32 v4, 16, v3
	s_and_saveexec_b64 s[22:23], vcc
	s_cbranch_execz .LBB179_153
; %bb.152:                              ;   in Loop: Header=BB179_50 Depth=1
	v_cmp_lt_i32_e64 s[4:5], v5, v62
	v_accvgpr_read_b32 v13, a14
	s_nop 0
	v_cndmask_b32_e64 v0, 0, v0, s[4:5]
	v_cmp_lt_i32_e64 s[4:5], v13, v62
	v_accvgpr_read_b32 v13, a1
	s_nop 0
	v_cndmask_b32_e64 v12, 0, v12, s[4:5]
	;; [unrolled: 4-line block ×7, first 2 shown]
	v_cmp_lt_i32_e64 s[4:5], v13, v62
	s_nop 1
	v_cndmask_b32_e64 v4, 0, v4, s[4:5]
.LBB179_153:                            ;   in Loop: Header=BB179_50 Depth=1
	s_or_b64 exec, exec, s[22:23]
	v_lshlrev_b32_e32 v0, 16, v0
	v_mul_f32_e32 v0, v51, v0
	v_and_b32_e32 v13, 0x7f800000, v0
	v_cmp_ne_u32_e64 s[4:5], s15, v13
                                        ; implicit-def: $vgpr13
                                        ; kill: killed $vgpr13
	s_and_saveexec_b64 s[22:23], s[4:5]
	s_xor_b64 s[4:5], exec, s[22:23]
	s_cbranch_execz .LBB179_155
; %bb.154:                              ;   in Loop: Header=BB179_50 Depth=1
	v_bfe_u32 v13, v0, 16, 1
	v_add3_u32 v0, v0, v13, s24
	scratch_store_dword off, v0, s32 offset:452 ; 4-byte Folded Spill
                                        ; implicit-def: $vgpr0
.LBB179_155:                            ;   in Loop: Header=BB179_50 Depth=1
	s_andn2_saveexec_b64 s[22:23], s[4:5]
	s_cbranch_execz .LBB179_157
; %bb.156:                              ;   in Loop: Header=BB179_50 Depth=1
	v_or_b32_e32 v13, 0x10000, v0
	v_cmp_eq_u32_sdwa s[4:5], v0, v27 src0_sel:WORD_0 src1_sel:DWORD
	s_nop 1
	v_cndmask_b32_e64 v0, v13, v0, s[4:5]
	scratch_store_dword off, v0, s32 offset:452 ; 4-byte Folded Spill
.LBB179_157:                            ;   in Loop: Header=BB179_50 Depth=1
	s_or_b64 exec, exec, s[22:23]
	v_lshlrev_b32_e32 v0, 16, v12
	v_mul_f32_e32 v0, v52, v0
	v_and_b32_e32 v12, 0x7f800000, v0
	v_cmp_ne_u32_e64 s[4:5], s15, v12
                                        ; implicit-def: $vgpr12
                                        ; kill: killed $vgpr12
	s_and_saveexec_b64 s[22:23], s[4:5]
	s_xor_b64 s[4:5], exec, s[22:23]
	s_cbranch_execz .LBB179_159
; %bb.158:                              ;   in Loop: Header=BB179_50 Depth=1
	v_bfe_u32 v12, v0, 16, 1
	v_add3_u32 v0, v0, v12, s24
	scratch_store_dword off, v0, s32 offset:456 ; 4-byte Folded Spill
                                        ; implicit-def: $vgpr0
.LBB179_159:                            ;   in Loop: Header=BB179_50 Depth=1
	s_andn2_saveexec_b64 s[22:23], s[4:5]
	s_cbranch_execz .LBB179_161
; %bb.160:                              ;   in Loop: Header=BB179_50 Depth=1
	v_or_b32_e32 v12, 0x10000, v0
	v_cmp_eq_u32_sdwa s[4:5], v0, v27 src0_sel:WORD_0 src1_sel:DWORD
	s_nop 1
	v_cndmask_b32_e64 v0, v12, v0, s[4:5]
	scratch_store_dword off, v0, s32 offset:456 ; 4-byte Folded Spill
.LBB179_161:                            ;   in Loop: Header=BB179_50 Depth=1
	s_or_b64 exec, exec, s[22:23]
	v_lshlrev_b32_e32 v0, 16, v1
	v_mul_f32_e32 v0, v53, v0
	v_and_b32_e32 v1, 0x7f800000, v0
	v_cmp_ne_u32_e64 s[4:5], s15, v1
                                        ; implicit-def: $vgpr1
                                        ; kill: killed $vgpr1
	s_and_saveexec_b64 s[22:23], s[4:5]
	s_xor_b64 s[4:5], exec, s[22:23]
	s_cbranch_execz .LBB179_163
; %bb.162:                              ;   in Loop: Header=BB179_50 Depth=1
	v_bfe_u32 v1, v0, 16, 1
	v_add3_u32 v0, v0, v1, s24
	scratch_store_dword off, v0, s32 offset:460 ; 4-byte Folded Spill
                                        ; implicit-def: $vgpr0
.LBB179_163:                            ;   in Loop: Header=BB179_50 Depth=1
	s_andn2_saveexec_b64 s[22:23], s[4:5]
	s_cbranch_execz .LBB179_165
; %bb.164:                              ;   in Loop: Header=BB179_50 Depth=1
	v_or_b32_e32 v1, 0x10000, v0
	v_cmp_eq_u32_sdwa s[4:5], v0, v27 src0_sel:WORD_0 src1_sel:DWORD
	s_nop 1
	v_cndmask_b32_e64 v0, v1, v0, s[4:5]
	scratch_store_dword off, v0, s32 offset:460 ; 4-byte Folded Spill
.LBB179_165:                            ;   in Loop: Header=BB179_50 Depth=1
	s_or_b64 exec, exec, s[22:23]
	v_lshlrev_b32_e32 v0, 16, v11
	v_mul_f32_e32 v0, v54, v0
	v_and_b32_e32 v1, 0x7f800000, v0
	v_cmp_ne_u32_e64 s[4:5], s15, v1
                                        ; implicit-def: $vgpr1
                                        ; kill: killed $vgpr1
	;; [unrolled: 25-line block ×6, first 2 shown]
	s_and_saveexec_b64 s[22:23], s[4:5]
	s_xor_b64 s[4:5], exec, s[22:23]
	s_cbranch_execz .LBB179_183
; %bb.182:                              ;   in Loop: Header=BB179_50 Depth=1
	v_bfe_u32 v1, v0, 16, 1
	v_add3_u32 v0, v0, v1, s24
	scratch_store_dword off, v0, s32 offset:480 ; 4-byte Folded Spill
                                        ; implicit-def: $vgpr0
.LBB179_183:                            ;   in Loop: Header=BB179_50 Depth=1
	s_andn2_saveexec_b64 s[22:23], s[4:5]
	s_cbranch_execz .LBB179_185
; %bb.184:                              ;   in Loop: Header=BB179_50 Depth=1
	v_or_b32_e32 v1, 0x10000, v0
	v_cmp_eq_u32_sdwa s[4:5], v0, v27 src0_sel:WORD_0 src1_sel:DWORD
	s_nop 1
	v_cndmask_b32_e64 v0, v1, v0, s[4:5]
	scratch_store_dword off, v0, s32 offset:480 ; 4-byte Folded Spill
.LBB179_185:                            ;   in Loop: Header=BB179_50 Depth=1
	s_or_b64 exec, exec, s[22:23]
	flat_load_dwordx4 v[0:3], v[8:9] offset:3072
	s_waitcnt vmcnt(0) lgkmcnt(0)
	v_lshrrev_b32_e32 v10, 16, v0
	v_lshrrev_b32_e32 v9, 16, v1
	;; [unrolled: 1-line block ×4, first 2 shown]
	s_and_saveexec_b64 s[22:23], vcc
	s_cbranch_execz .LBB179_187
; %bb.186:                              ;   in Loop: Header=BB179_50 Depth=1
	v_cmp_lt_i32_e64 s[4:5], v5, v62
	v_accvgpr_read_b32 v11, a14
	s_nop 0
	v_cndmask_b32_e64 v0, 0, v0, s[4:5]
	v_cmp_lt_i32_e64 s[4:5], v11, v62
	v_accvgpr_read_b32 v11, a1
	s_nop 0
	v_cndmask_b32_e64 v10, 0, v10, s[4:5]
	;; [unrolled: 4-line block ×7, first 2 shown]
	v_cmp_lt_i32_e64 s[4:5], v11, v62
	s_nop 1
	v_cndmask_b32_e64 v4, 0, v4, s[4:5]
.LBB179_187:                            ;   in Loop: Header=BB179_50 Depth=1
	s_or_b64 exec, exec, s[22:23]
	v_lshlrev_b32_e32 v0, 16, v0
	v_mul_f32_e32 v0, v51, v0
	v_and_b32_e32 v11, 0x7f800000, v0
	v_cmp_ne_u32_e64 s[4:5], s15, v11
                                        ; implicit-def: $vgpr11
                                        ; kill: killed $vgpr11
	s_and_saveexec_b64 s[22:23], s[4:5]
	s_xor_b64 s[4:5], exec, s[22:23]
	s_cbranch_execz .LBB179_189
; %bb.188:                              ;   in Loop: Header=BB179_50 Depth=1
	v_bfe_u32 v11, v0, 16, 1
	v_add3_u32 v0, v0, v11, s24
	scratch_store_dword off, v0, s32 offset:484 ; 4-byte Folded Spill
                                        ; implicit-def: $vgpr0
.LBB179_189:                            ;   in Loop: Header=BB179_50 Depth=1
	s_andn2_saveexec_b64 s[22:23], s[4:5]
	s_cbranch_execz .LBB179_191
; %bb.190:                              ;   in Loop: Header=BB179_50 Depth=1
	v_or_b32_e32 v11, 0x10000, v0
	v_cmp_eq_u32_sdwa s[4:5], v0, v27 src0_sel:WORD_0 src1_sel:DWORD
	s_nop 1
	v_cndmask_b32_e64 v0, v11, v0, s[4:5]
	scratch_store_dword off, v0, s32 offset:484 ; 4-byte Folded Spill
.LBB179_191:                            ;   in Loop: Header=BB179_50 Depth=1
	s_or_b64 exec, exec, s[22:23]
	v_lshlrev_b32_e32 v0, 16, v10
	v_mul_f32_e32 v0, v52, v0
	v_and_b32_e32 v10, 0x7f800000, v0
	v_cmp_ne_u32_e64 s[4:5], s15, v10
                                        ; implicit-def: $vgpr10
                                        ; kill: killed $vgpr10
	s_and_saveexec_b64 s[22:23], s[4:5]
	s_xor_b64 s[4:5], exec, s[22:23]
	s_cbranch_execz .LBB179_193
; %bb.192:                              ;   in Loop: Header=BB179_50 Depth=1
	v_bfe_u32 v10, v0, 16, 1
	v_add3_u32 v0, v0, v10, s24
	scratch_store_dword off, v0, s32 offset:488 ; 4-byte Folded Spill
                                        ; implicit-def: $vgpr0
.LBB179_193:                            ;   in Loop: Header=BB179_50 Depth=1
	s_andn2_saveexec_b64 s[22:23], s[4:5]
	s_cbranch_execz .LBB179_195
; %bb.194:                              ;   in Loop: Header=BB179_50 Depth=1
	v_or_b32_e32 v10, 0x10000, v0
	v_cmp_eq_u32_sdwa s[4:5], v0, v27 src0_sel:WORD_0 src1_sel:DWORD
	s_nop 1
	v_cndmask_b32_e64 v0, v10, v0, s[4:5]
	scratch_store_dword off, v0, s32 offset:488 ; 4-byte Folded Spill
.LBB179_195:                            ;   in Loop: Header=BB179_50 Depth=1
	s_or_b64 exec, exec, s[22:23]
	v_lshlrev_b32_e32 v0, 16, v1
	v_mul_f32_e32 v0, v53, v0
	v_and_b32_e32 v1, 0x7f800000, v0
	v_cmp_ne_u32_e64 s[4:5], s15, v1
                                        ; implicit-def: $agpr40
	s_and_saveexec_b64 s[22:23], s[4:5]
	s_xor_b64 s[4:5], exec, s[22:23]
; %bb.196:                              ;   in Loop: Header=BB179_50 Depth=1
	v_bfe_u32 v1, v0, 16, 1
	v_add3_u32 v0, v0, v1, s24
	v_accvgpr_write_b32 a40, v0
                                        ; implicit-def: $vgpr0
; %bb.197:                              ;   in Loop: Header=BB179_50 Depth=1
	s_andn2_saveexec_b64 s[22:23], s[4:5]
; %bb.198:                              ;   in Loop: Header=BB179_50 Depth=1
	v_or_b32_e32 v1, 0x10000, v0
	v_cmp_eq_u32_sdwa s[4:5], v0, v27 src0_sel:WORD_0 src1_sel:DWORD
	s_nop 1
	v_cndmask_b32_e64 v0, v1, v0, s[4:5]
	v_accvgpr_write_b32 a40, v0
; %bb.199:                              ;   in Loop: Header=BB179_50 Depth=1
	s_or_b64 exec, exec, s[22:23]
	v_lshlrev_b32_e32 v0, 16, v9
	v_mul_f32_e32 v0, v54, v0
	v_and_b32_e32 v1, 0x7f800000, v0
	v_cmp_ne_u32_e64 s[4:5], s15, v1
                                        ; implicit-def: $agpr42
	s_and_saveexec_b64 s[22:23], s[4:5]
	s_xor_b64 s[4:5], exec, s[22:23]
; %bb.200:                              ;   in Loop: Header=BB179_50 Depth=1
	v_bfe_u32 v1, v0, 16, 1
	v_add3_u32 v0, v0, v1, s24
	v_accvgpr_write_b32 a42, v0
                                        ; implicit-def: $vgpr0
; %bb.201:                              ;   in Loop: Header=BB179_50 Depth=1
	s_andn2_saveexec_b64 s[22:23], s[4:5]
; %bb.202:                              ;   in Loop: Header=BB179_50 Depth=1
	v_or_b32_e32 v1, 0x10000, v0
	v_cmp_eq_u32_sdwa s[4:5], v0, v27 src0_sel:WORD_0 src1_sel:DWORD
	s_nop 1
	v_cndmask_b32_e64 v0, v1, v0, s[4:5]
	v_accvgpr_write_b32 a42, v0
; %bb.203:                              ;   in Loop: Header=BB179_50 Depth=1
	s_or_b64 exec, exec, s[22:23]
	v_lshlrev_b32_e32 v0, 16, v2
	v_mul_f32_e32 v0, v55, v0
	v_and_b32_e32 v1, 0x7f800000, v0
	v_cmp_ne_u32_e64 s[4:5], s15, v1
                                        ; implicit-def: $agpr44
	s_and_saveexec_b64 s[22:23], s[4:5]
	s_xor_b64 s[4:5], exec, s[22:23]
; %bb.204:                              ;   in Loop: Header=BB179_50 Depth=1
	v_bfe_u32 v1, v0, 16, 1
	v_add3_u32 v0, v0, v1, s24
	v_accvgpr_write_b32 a44, v0
                                        ; implicit-def: $vgpr0
; %bb.205:                              ;   in Loop: Header=BB179_50 Depth=1
	s_andn2_saveexec_b64 s[22:23], s[4:5]
; %bb.206:                              ;   in Loop: Header=BB179_50 Depth=1
	v_or_b32_e32 v1, 0x10000, v0
	v_cmp_eq_u32_sdwa s[4:5], v0, v27 src0_sel:WORD_0 src1_sel:DWORD
	s_nop 1
	v_cndmask_b32_e64 v0, v1, v0, s[4:5]
	v_accvgpr_write_b32 a44, v0
; %bb.207:                              ;   in Loop: Header=BB179_50 Depth=1
	s_or_b64 exec, exec, s[22:23]
	v_lshlrev_b32_e32 v0, 16, v8
	v_mul_f32_e32 v0, v40, v0
	v_and_b32_e32 v1, 0x7f800000, v0
	v_cmp_ne_u32_e64 s[4:5], s15, v1
                                        ; implicit-def: $agpr46
	s_and_saveexec_b64 s[22:23], s[4:5]
	s_xor_b64 s[4:5], exec, s[22:23]
; %bb.208:                              ;   in Loop: Header=BB179_50 Depth=1
	v_bfe_u32 v1, v0, 16, 1
	v_add3_u32 v0, v0, v1, s24
	v_accvgpr_write_b32 a46, v0
                                        ; implicit-def: $vgpr0
; %bb.209:                              ;   in Loop: Header=BB179_50 Depth=1
	s_andn2_saveexec_b64 s[22:23], s[4:5]
; %bb.210:                              ;   in Loop: Header=BB179_50 Depth=1
	v_or_b32_e32 v1, 0x10000, v0
	v_cmp_eq_u32_sdwa s[4:5], v0, v27 src0_sel:WORD_0 src1_sel:DWORD
	s_nop 1
	v_cndmask_b32_e64 v0, v1, v0, s[4:5]
	v_accvgpr_write_b32 a46, v0
; %bb.211:                              ;   in Loop: Header=BB179_50 Depth=1
	s_or_b64 exec, exec, s[22:23]
	v_lshlrev_b32_e32 v0, 16, v3
	v_mul_f32_e32 v0, v41, v0
	v_and_b32_e32 v1, 0x7f800000, v0
	v_cmp_ne_u32_e64 s[4:5], s15, v1
                                        ; implicit-def: $agpr48
	s_and_saveexec_b64 s[22:23], s[4:5]
	s_xor_b64 s[4:5], exec, s[22:23]
; %bb.212:                              ;   in Loop: Header=BB179_50 Depth=1
	v_bfe_u32 v1, v0, 16, 1
	v_add3_u32 v0, v0, v1, s24
	v_accvgpr_write_b32 a48, v0
                                        ; implicit-def: $vgpr0
; %bb.213:                              ;   in Loop: Header=BB179_50 Depth=1
	s_andn2_saveexec_b64 s[22:23], s[4:5]
; %bb.214:                              ;   in Loop: Header=BB179_50 Depth=1
	v_or_b32_e32 v1, 0x10000, v0
	v_cmp_eq_u32_sdwa s[4:5], v0, v27 src0_sel:WORD_0 src1_sel:DWORD
	s_nop 1
	v_cndmask_b32_e64 v0, v1, v0, s[4:5]
	v_accvgpr_write_b32 a48, v0
; %bb.215:                              ;   in Loop: Header=BB179_50 Depth=1
	s_or_b64 exec, exec, s[22:23]
	v_lshlrev_b32_e32 v0, 16, v4
	v_mul_f32_e32 v0, v42, v0
	v_and_b32_e32 v1, 0x7f800000, v0
	v_cmp_ne_u32_e64 s[4:5], s15, v1
                                        ; implicit-def: $agpr50
	s_and_saveexec_b64 s[22:23], s[4:5]
	s_xor_b64 s[4:5], exec, s[22:23]
; %bb.216:                              ;   in Loop: Header=BB179_50 Depth=1
	v_bfe_u32 v1, v0, 16, 1
	v_add3_u32 v0, v0, v1, s24
	v_accvgpr_write_b32 a50, v0
                                        ; implicit-def: $vgpr0
; %bb.217:                              ;   in Loop: Header=BB179_50 Depth=1
	s_andn2_saveexec_b64 s[22:23], s[4:5]
; %bb.218:                              ;   in Loop: Header=BB179_50 Depth=1
	v_or_b32_e32 v1, 0x10000, v0
	v_cmp_eq_u32_sdwa s[4:5], v0, v27 src0_sel:WORD_0 src1_sel:DWORD
	s_nop 1
	v_cndmask_b32_e64 v0, v1, v0, s[4:5]
	v_accvgpr_write_b32 a50, v0
; %bb.219:                              ;   in Loop: Header=BB179_50 Depth=1
	s_or_b64 exec, exec, s[22:23]
	scratch_load_dwordx2 v[0:1], off, s32 offset:292 ; 8-byte Folded Reload
	s_waitcnt vmcnt(0)
	v_mov_b32_e32 v1, v27
	v_mov_b32_e32 v2, v0
	v_lshl_add_u64 v[0:1], v[6:7], 0, v[0:1]
	scratch_store_dwordx2 off, v[2:3], s32 offset:292 ; 8-byte Folded Spill
	flat_load_dwordx4 v[0:3], v[0:1]
	s_waitcnt vmcnt(0) lgkmcnt(0)
	v_lshrrev_b32_e32 v10, 16, v0
	v_lshrrev_b32_e32 v9, 16, v1
	v_lshrrev_b32_e32 v8, 16, v2
	v_lshrrev_b32_e32 v4, 16, v3
	s_and_saveexec_b64 s[22:23], vcc
	s_cbranch_execz .LBB179_221
; %bb.220:                              ;   in Loop: Header=BB179_50 Depth=1
	v_cmp_lt_i32_e64 s[4:5], v5, v62
	v_accvgpr_read_b32 v11, a14
	s_nop 0
	v_cndmask_b32_e64 v0, 0, v0, s[4:5]
	v_cmp_lt_i32_e64 s[4:5], v11, v62
	v_accvgpr_read_b32 v11, a1
	s_nop 0
	v_cndmask_b32_e64 v10, 0, v10, s[4:5]
	;; [unrolled: 4-line block ×7, first 2 shown]
	v_cmp_lt_i32_e64 s[4:5], v11, v62
	s_nop 1
	v_cndmask_b32_e64 v4, 0, v4, s[4:5]
.LBB179_221:                            ;   in Loop: Header=BB179_50 Depth=1
	s_or_b64 exec, exec, s[22:23]
	v_lshlrev_b32_e32 v0, 16, v0
	v_mul_f32_e32 v0, v51, v0
	v_and_b32_e32 v11, 0x7f800000, v0
	v_cmp_ne_u32_e64 s[4:5], s15, v11
                                        ; implicit-def: $agpr52
	s_and_saveexec_b64 s[22:23], s[4:5]
	s_xor_b64 s[4:5], exec, s[22:23]
; %bb.222:                              ;   in Loop: Header=BB179_50 Depth=1
	v_bfe_u32 v11, v0, 16, 1
	v_add3_u32 v0, v0, v11, s24
	v_accvgpr_write_b32 a52, v0
                                        ; implicit-def: $vgpr0
; %bb.223:                              ;   in Loop: Header=BB179_50 Depth=1
	s_andn2_saveexec_b64 s[22:23], s[4:5]
; %bb.224:                              ;   in Loop: Header=BB179_50 Depth=1
	v_or_b32_e32 v11, 0x10000, v0
	v_cmp_eq_u32_sdwa s[4:5], v0, v27 src0_sel:WORD_0 src1_sel:DWORD
	s_nop 1
	v_cndmask_b32_e64 v0, v11, v0, s[4:5]
	v_accvgpr_write_b32 a52, v0
; %bb.225:                              ;   in Loop: Header=BB179_50 Depth=1
	s_or_b64 exec, exec, s[22:23]
	v_lshlrev_b32_e32 v0, 16, v10
	v_mul_f32_e32 v0, v52, v0
	v_and_b32_e32 v10, 0x7f800000, v0
	v_cmp_ne_u32_e64 s[4:5], s15, v10
                                        ; implicit-def: $agpr54
	s_and_saveexec_b64 s[22:23], s[4:5]
	s_xor_b64 s[4:5], exec, s[22:23]
; %bb.226:                              ;   in Loop: Header=BB179_50 Depth=1
	v_bfe_u32 v10, v0, 16, 1
	v_add3_u32 v0, v0, v10, s24
	v_accvgpr_write_b32 a54, v0
                                        ; implicit-def: $vgpr0
; %bb.227:                              ;   in Loop: Header=BB179_50 Depth=1
	s_andn2_saveexec_b64 s[22:23], s[4:5]
; %bb.228:                              ;   in Loop: Header=BB179_50 Depth=1
	v_or_b32_e32 v10, 0x10000, v0
	v_cmp_eq_u32_sdwa s[4:5], v0, v27 src0_sel:WORD_0 src1_sel:DWORD
	s_nop 1
	v_cndmask_b32_e64 v0, v10, v0, s[4:5]
	v_accvgpr_write_b32 a54, v0
; %bb.229:                              ;   in Loop: Header=BB179_50 Depth=1
	s_or_b64 exec, exec, s[22:23]
	v_lshlrev_b32_e32 v0, 16, v1
	v_mul_f32_e32 v0, v53, v0
	v_and_b32_e32 v1, 0x7f800000, v0
	v_cmp_ne_u32_e64 s[4:5], s15, v1
                                        ; implicit-def: $agpr56
	s_and_saveexec_b64 s[22:23], s[4:5]
	s_xor_b64 s[4:5], exec, s[22:23]
; %bb.230:                              ;   in Loop: Header=BB179_50 Depth=1
	v_bfe_u32 v1, v0, 16, 1
	v_add3_u32 v0, v0, v1, s24
	v_accvgpr_write_b32 a56, v0
                                        ; implicit-def: $vgpr0
; %bb.231:                              ;   in Loop: Header=BB179_50 Depth=1
	s_andn2_saveexec_b64 s[22:23], s[4:5]
; %bb.232:                              ;   in Loop: Header=BB179_50 Depth=1
	v_or_b32_e32 v1, 0x10000, v0
	v_cmp_eq_u32_sdwa s[4:5], v0, v27 src0_sel:WORD_0 src1_sel:DWORD
	s_nop 1
	v_cndmask_b32_e64 v0, v1, v0, s[4:5]
	v_accvgpr_write_b32 a56, v0
; %bb.233:                              ;   in Loop: Header=BB179_50 Depth=1
	s_or_b64 exec, exec, s[22:23]
	v_lshlrev_b32_e32 v0, 16, v9
	v_mul_f32_e32 v0, v54, v0
	v_and_b32_e32 v1, 0x7f800000, v0
	v_cmp_ne_u32_e64 s[4:5], s15, v1
                                        ; implicit-def: $agpr58
	s_and_saveexec_b64 s[22:23], s[4:5]
	s_xor_b64 s[4:5], exec, s[22:23]
; %bb.234:                              ;   in Loop: Header=BB179_50 Depth=1
	v_bfe_u32 v1, v0, 16, 1
	v_add3_u32 v0, v0, v1, s24
	v_accvgpr_write_b32 a58, v0
                                        ; implicit-def: $vgpr0
; %bb.235:                              ;   in Loop: Header=BB179_50 Depth=1
	s_andn2_saveexec_b64 s[22:23], s[4:5]
; %bb.236:                              ;   in Loop: Header=BB179_50 Depth=1
	v_or_b32_e32 v1, 0x10000, v0
	v_cmp_eq_u32_sdwa s[4:5], v0, v27 src0_sel:WORD_0 src1_sel:DWORD
	s_nop 1
	v_cndmask_b32_e64 v0, v1, v0, s[4:5]
	v_accvgpr_write_b32 a58, v0
; %bb.237:                              ;   in Loop: Header=BB179_50 Depth=1
	s_or_b64 exec, exec, s[22:23]
	v_lshlrev_b32_e32 v0, 16, v2
	v_mul_f32_e32 v0, v55, v0
	v_and_b32_e32 v1, 0x7f800000, v0
	v_cmp_ne_u32_e64 s[4:5], s15, v1
                                        ; implicit-def: $agpr60
	s_and_saveexec_b64 s[22:23], s[4:5]
	s_xor_b64 s[4:5], exec, s[22:23]
; %bb.238:                              ;   in Loop: Header=BB179_50 Depth=1
	v_bfe_u32 v1, v0, 16, 1
	v_add3_u32 v0, v0, v1, s24
	v_accvgpr_write_b32 a60, v0
                                        ; implicit-def: $vgpr0
; %bb.239:                              ;   in Loop: Header=BB179_50 Depth=1
	s_andn2_saveexec_b64 s[22:23], s[4:5]
; %bb.240:                              ;   in Loop: Header=BB179_50 Depth=1
	v_or_b32_e32 v1, 0x10000, v0
	v_cmp_eq_u32_sdwa s[4:5], v0, v27 src0_sel:WORD_0 src1_sel:DWORD
	s_nop 1
	v_cndmask_b32_e64 v0, v1, v0, s[4:5]
	v_accvgpr_write_b32 a60, v0
; %bb.241:                              ;   in Loop: Header=BB179_50 Depth=1
	s_or_b64 exec, exec, s[22:23]
	v_lshlrev_b32_e32 v0, 16, v8
	v_mul_f32_e32 v0, v40, v0
	v_and_b32_e32 v1, 0x7f800000, v0
	v_cmp_ne_u32_e64 s[4:5], s15, v1
                                        ; implicit-def: $agpr62
	s_and_saveexec_b64 s[22:23], s[4:5]
	s_xor_b64 s[4:5], exec, s[22:23]
; %bb.242:                              ;   in Loop: Header=BB179_50 Depth=1
	v_bfe_u32 v1, v0, 16, 1
	v_add3_u32 v0, v0, v1, s24
	v_accvgpr_write_b32 a62, v0
                                        ; implicit-def: $vgpr0
; %bb.243:                              ;   in Loop: Header=BB179_50 Depth=1
	s_andn2_saveexec_b64 s[22:23], s[4:5]
; %bb.244:                              ;   in Loop: Header=BB179_50 Depth=1
	v_or_b32_e32 v1, 0x10000, v0
	v_cmp_eq_u32_sdwa s[4:5], v0, v27 src0_sel:WORD_0 src1_sel:DWORD
	s_nop 1
	v_cndmask_b32_e64 v0, v1, v0, s[4:5]
	v_accvgpr_write_b32 a62, v0
; %bb.245:                              ;   in Loop: Header=BB179_50 Depth=1
	s_or_b64 exec, exec, s[22:23]
	v_lshlrev_b32_e32 v0, 16, v3
	v_mul_f32_e32 v0, v41, v0
	v_and_b32_e32 v1, 0x7f800000, v0
	v_cmp_ne_u32_e64 s[4:5], s15, v1
                                        ; implicit-def: $agpr20
	s_and_saveexec_b64 s[22:23], s[4:5]
	s_xor_b64 s[4:5], exec, s[22:23]
; %bb.246:                              ;   in Loop: Header=BB179_50 Depth=1
	v_bfe_u32 v1, v0, 16, 1
	v_add3_u32 v0, v0, v1, s24
	v_accvgpr_write_b32 a20, v0
                                        ; implicit-def: $vgpr0
; %bb.247:                              ;   in Loop: Header=BB179_50 Depth=1
	s_andn2_saveexec_b64 s[22:23], s[4:5]
; %bb.248:                              ;   in Loop: Header=BB179_50 Depth=1
	v_or_b32_e32 v1, 0x10000, v0
	v_cmp_eq_u32_sdwa s[4:5], v0, v27 src0_sel:WORD_0 src1_sel:DWORD
	s_nop 1
	v_cndmask_b32_e64 v0, v1, v0, s[4:5]
	v_accvgpr_write_b32 a20, v0
; %bb.249:                              ;   in Loop: Header=BB179_50 Depth=1
	s_or_b64 exec, exec, s[22:23]
	v_lshlrev_b32_e32 v0, 16, v4
	v_mul_f32_e32 v0, v42, v0
	v_and_b32_e32 v1, 0x7f800000, v0
	v_cmp_ne_u32_e64 s[4:5], s15, v1
                                        ; implicit-def: $agpr21
	s_and_saveexec_b64 s[22:23], s[4:5]
	s_xor_b64 s[4:5], exec, s[22:23]
; %bb.250:                              ;   in Loop: Header=BB179_50 Depth=1
	v_bfe_u32 v1, v0, 16, 1
	v_add3_u32 v0, v0, v1, s24
	v_accvgpr_write_b32 a21, v0
                                        ; implicit-def: $vgpr0
; %bb.251:                              ;   in Loop: Header=BB179_50 Depth=1
	s_andn2_saveexec_b64 s[22:23], s[4:5]
; %bb.252:                              ;   in Loop: Header=BB179_50 Depth=1
	v_or_b32_e32 v1, 0x10000, v0
	v_cmp_eq_u32_sdwa s[4:5], v0, v27 src0_sel:WORD_0 src1_sel:DWORD
	s_nop 1
	v_cndmask_b32_e64 v0, v1, v0, s[4:5]
	v_accvgpr_write_b32 a21, v0
; %bb.253:                              ;   in Loop: Header=BB179_50 Depth=1
	s_or_b64 exec, exec, s[22:23]
	scratch_load_dwordx2 v[0:1], off, s32 offset:300 ; 8-byte Folded Reload
	s_waitcnt vmcnt(0)
	v_mov_b32_e32 v1, v27
	v_mov_b32_e32 v2, v0
	v_lshl_add_u64 v[0:1], v[6:7], 0, v[0:1]
	scratch_store_dwordx2 off, v[2:3], s32 offset:300 ; 8-byte Folded Spill
	flat_load_dwordx4 v[0:3], v[0:1]
	s_waitcnt vmcnt(0) lgkmcnt(0)
	v_lshrrev_b32_e32 v10, 16, v0
	v_lshrrev_b32_e32 v9, 16, v1
	;; [unrolled: 1-line block ×4, first 2 shown]
	s_and_saveexec_b64 s[22:23], vcc
	s_cbranch_execz .LBB179_255
; %bb.254:                              ;   in Loop: Header=BB179_50 Depth=1
	v_cmp_lt_i32_e64 s[4:5], v5, v62
	v_accvgpr_read_b32 v11, a14
	s_nop 0
	v_cndmask_b32_e64 v0, 0, v0, s[4:5]
	v_cmp_lt_i32_e64 s[4:5], v11, v62
	v_accvgpr_read_b32 v11, a1
	s_nop 0
	v_cndmask_b32_e64 v10, 0, v10, s[4:5]
	;; [unrolled: 4-line block ×7, first 2 shown]
	v_cmp_lt_i32_e64 s[4:5], v11, v62
	s_nop 1
	v_cndmask_b32_e64 v4, 0, v4, s[4:5]
.LBB179_255:                            ;   in Loop: Header=BB179_50 Depth=1
	s_or_b64 exec, exec, s[22:23]
	v_lshlrev_b32_e32 v0, 16, v0
	v_mul_f32_e32 v0, v51, v0
	v_and_b32_e32 v11, 0x7f800000, v0
	v_cmp_ne_u32_e64 s[4:5], s15, v11
                                        ; implicit-def: $agpr22
	s_and_saveexec_b64 s[22:23], s[4:5]
	s_xor_b64 s[4:5], exec, s[22:23]
; %bb.256:                              ;   in Loop: Header=BB179_50 Depth=1
	v_bfe_u32 v11, v0, 16, 1
	v_add3_u32 v0, v0, v11, s24
	v_accvgpr_write_b32 a22, v0
                                        ; implicit-def: $vgpr0
; %bb.257:                              ;   in Loop: Header=BB179_50 Depth=1
	s_andn2_saveexec_b64 s[22:23], s[4:5]
; %bb.258:                              ;   in Loop: Header=BB179_50 Depth=1
	v_or_b32_e32 v11, 0x10000, v0
	v_cmp_eq_u32_sdwa s[4:5], v0, v27 src0_sel:WORD_0 src1_sel:DWORD
	s_nop 1
	v_cndmask_b32_e64 v0, v11, v0, s[4:5]
	v_accvgpr_write_b32 a22, v0
; %bb.259:                              ;   in Loop: Header=BB179_50 Depth=1
	s_or_b64 exec, exec, s[22:23]
	v_lshlrev_b32_e32 v0, 16, v10
	v_mul_f32_e32 v0, v52, v0
	v_and_b32_e32 v10, 0x7f800000, v0
	v_cmp_ne_u32_e64 s[4:5], s15, v10
                                        ; implicit-def: $agpr23
	s_and_saveexec_b64 s[22:23], s[4:5]
	s_xor_b64 s[4:5], exec, s[22:23]
; %bb.260:                              ;   in Loop: Header=BB179_50 Depth=1
	v_bfe_u32 v10, v0, 16, 1
	v_add3_u32 v0, v0, v10, s24
	v_accvgpr_write_b32 a23, v0
                                        ; implicit-def: $vgpr0
; %bb.261:                              ;   in Loop: Header=BB179_50 Depth=1
	s_andn2_saveexec_b64 s[22:23], s[4:5]
; %bb.262:                              ;   in Loop: Header=BB179_50 Depth=1
	v_or_b32_e32 v10, 0x10000, v0
	v_cmp_eq_u32_sdwa s[4:5], v0, v27 src0_sel:WORD_0 src1_sel:DWORD
	s_nop 1
	v_cndmask_b32_e64 v0, v10, v0, s[4:5]
	v_accvgpr_write_b32 a23, v0
; %bb.263:                              ;   in Loop: Header=BB179_50 Depth=1
	s_or_b64 exec, exec, s[22:23]
	v_lshlrev_b32_e32 v0, 16, v1
	v_mul_f32_e32 v0, v53, v0
	v_and_b32_e32 v1, 0x7f800000, v0
	v_cmp_ne_u32_e64 s[4:5], s15, v1
                                        ; implicit-def: $agpr32
	s_and_saveexec_b64 s[22:23], s[4:5]
	s_xor_b64 s[4:5], exec, s[22:23]
; %bb.264:                              ;   in Loop: Header=BB179_50 Depth=1
	v_bfe_u32 v1, v0, 16, 1
	v_add3_u32 v0, v0, v1, s24
	v_accvgpr_write_b32 a32, v0
                                        ; implicit-def: $vgpr0
; %bb.265:                              ;   in Loop: Header=BB179_50 Depth=1
	s_andn2_saveexec_b64 s[22:23], s[4:5]
; %bb.266:                              ;   in Loop: Header=BB179_50 Depth=1
	v_or_b32_e32 v1, 0x10000, v0
	v_cmp_eq_u32_sdwa s[4:5], v0, v27 src0_sel:WORD_0 src1_sel:DWORD
	s_nop 1
	v_cndmask_b32_e64 v0, v1, v0, s[4:5]
	v_accvgpr_write_b32 a32, v0
; %bb.267:                              ;   in Loop: Header=BB179_50 Depth=1
	s_or_b64 exec, exec, s[22:23]
	v_lshlrev_b32_e32 v0, 16, v9
	v_mul_f32_e32 v0, v54, v0
	v_and_b32_e32 v1, 0x7f800000, v0
	v_cmp_ne_u32_e64 s[4:5], s15, v1
                                        ; implicit-def: $agpr33
	s_and_saveexec_b64 s[22:23], s[4:5]
	s_xor_b64 s[4:5], exec, s[22:23]
; %bb.268:                              ;   in Loop: Header=BB179_50 Depth=1
	v_bfe_u32 v1, v0, 16, 1
	v_add3_u32 v0, v0, v1, s24
	v_accvgpr_write_b32 a33, v0
                                        ; implicit-def: $vgpr0
; %bb.269:                              ;   in Loop: Header=BB179_50 Depth=1
	s_andn2_saveexec_b64 s[22:23], s[4:5]
; %bb.270:                              ;   in Loop: Header=BB179_50 Depth=1
	v_or_b32_e32 v1, 0x10000, v0
	v_cmp_eq_u32_sdwa s[4:5], v0, v27 src0_sel:WORD_0 src1_sel:DWORD
	s_nop 1
	v_cndmask_b32_e64 v0, v1, v0, s[4:5]
	v_accvgpr_write_b32 a33, v0
; %bb.271:                              ;   in Loop: Header=BB179_50 Depth=1
	s_or_b64 exec, exec, s[22:23]
	v_lshlrev_b32_e32 v0, 16, v2
	v_mul_f32_e32 v0, v55, v0
	v_and_b32_e32 v1, 0x7f800000, v0
	v_cmp_ne_u32_e64 s[4:5], s15, v1
                                        ; implicit-def: $agpr24
	s_and_saveexec_b64 s[22:23], s[4:5]
	s_xor_b64 s[4:5], exec, s[22:23]
; %bb.272:                              ;   in Loop: Header=BB179_50 Depth=1
	v_bfe_u32 v1, v0, 16, 1
	v_add3_u32 v0, v0, v1, s24
	v_accvgpr_write_b32 a24, v0
                                        ; implicit-def: $vgpr0
; %bb.273:                              ;   in Loop: Header=BB179_50 Depth=1
	s_andn2_saveexec_b64 s[22:23], s[4:5]
; %bb.274:                              ;   in Loop: Header=BB179_50 Depth=1
	v_or_b32_e32 v1, 0x10000, v0
	v_cmp_eq_u32_sdwa s[4:5], v0, v27 src0_sel:WORD_0 src1_sel:DWORD
	s_nop 1
	v_cndmask_b32_e64 v0, v1, v0, s[4:5]
	v_accvgpr_write_b32 a24, v0
; %bb.275:                              ;   in Loop: Header=BB179_50 Depth=1
	s_or_b64 exec, exec, s[22:23]
	v_lshlrev_b32_e32 v0, 16, v8
	v_mul_f32_e32 v0, v40, v0
	v_and_b32_e32 v1, 0x7f800000, v0
	v_cmp_ne_u32_e64 s[4:5], s15, v1
                                        ; implicit-def: $agpr25
	s_and_saveexec_b64 s[22:23], s[4:5]
	s_xor_b64 s[4:5], exec, s[22:23]
; %bb.276:                              ;   in Loop: Header=BB179_50 Depth=1
	v_bfe_u32 v1, v0, 16, 1
	v_add3_u32 v0, v0, v1, s24
	v_accvgpr_write_b32 a25, v0
                                        ; implicit-def: $vgpr0
; %bb.277:                              ;   in Loop: Header=BB179_50 Depth=1
	s_andn2_saveexec_b64 s[22:23], s[4:5]
; %bb.278:                              ;   in Loop: Header=BB179_50 Depth=1
	v_or_b32_e32 v1, 0x10000, v0
	v_cmp_eq_u32_sdwa s[4:5], v0, v27 src0_sel:WORD_0 src1_sel:DWORD
	s_nop 1
	v_cndmask_b32_e64 v0, v1, v0, s[4:5]
	v_accvgpr_write_b32 a25, v0
; %bb.279:                              ;   in Loop: Header=BB179_50 Depth=1
	s_or_b64 exec, exec, s[22:23]
	v_lshlrev_b32_e32 v0, 16, v3
	v_mul_f32_e32 v0, v41, v0
	v_and_b32_e32 v1, 0x7f800000, v0
	v_cmp_ne_u32_e64 s[4:5], s15, v1
                                        ; implicit-def: $agpr36
	s_and_saveexec_b64 s[22:23], s[4:5]
	s_xor_b64 s[4:5], exec, s[22:23]
; %bb.280:                              ;   in Loop: Header=BB179_50 Depth=1
	v_bfe_u32 v1, v0, 16, 1
	v_add3_u32 v0, v0, v1, s24
	v_accvgpr_write_b32 a36, v0
                                        ; implicit-def: $vgpr0
; %bb.281:                              ;   in Loop: Header=BB179_50 Depth=1
	s_andn2_saveexec_b64 s[22:23], s[4:5]
; %bb.282:                              ;   in Loop: Header=BB179_50 Depth=1
	v_or_b32_e32 v1, 0x10000, v0
	v_cmp_eq_u32_sdwa s[4:5], v0, v27 src0_sel:WORD_0 src1_sel:DWORD
	s_nop 1
	v_cndmask_b32_e64 v0, v1, v0, s[4:5]
	v_accvgpr_write_b32 a36, v0
; %bb.283:                              ;   in Loop: Header=BB179_50 Depth=1
	s_or_b64 exec, exec, s[22:23]
	v_lshlrev_b32_e32 v0, 16, v4
	v_mul_f32_e32 v0, v42, v0
	v_and_b32_e32 v1, 0x7f800000, v0
	v_cmp_ne_u32_e64 s[4:5], s15, v1
                                        ; implicit-def: $agpr37
	s_and_saveexec_b64 s[22:23], s[4:5]
	s_xor_b64 s[4:5], exec, s[22:23]
; %bb.284:                              ;   in Loop: Header=BB179_50 Depth=1
	v_bfe_u32 v1, v0, 16, 1
	v_add3_u32 v0, v0, v1, s24
	v_accvgpr_write_b32 a37, v0
                                        ; implicit-def: $vgpr0
; %bb.285:                              ;   in Loop: Header=BB179_50 Depth=1
	s_andn2_saveexec_b64 s[22:23], s[4:5]
; %bb.286:                              ;   in Loop: Header=BB179_50 Depth=1
	v_or_b32_e32 v1, 0x10000, v0
	v_cmp_eq_u32_sdwa s[4:5], v0, v27 src0_sel:WORD_0 src1_sel:DWORD
	s_nop 1
	v_cndmask_b32_e64 v0, v1, v0, s[4:5]
	v_accvgpr_write_b32 a37, v0
; %bb.287:                              ;   in Loop: Header=BB179_50 Depth=1
	s_or_b64 exec, exec, s[22:23]
	scratch_load_dwordx2 v[0:1], off, s32 offset:308 ; 8-byte Folded Reload
	s_waitcnt vmcnt(0)
	v_mov_b32_e32 v1, v27
	v_mov_b32_e32 v2, v0
	v_lshl_add_u64 v[0:1], v[6:7], 0, v[0:1]
	scratch_store_dwordx2 off, v[2:3], s32 offset:308 ; 8-byte Folded Spill
	flat_load_dwordx4 v[0:3], v[0:1]
	s_waitcnt vmcnt(0) lgkmcnt(0)
	v_lshrrev_b32_e32 v10, 16, v0
	v_lshrrev_b32_e32 v9, 16, v1
	;; [unrolled: 1-line block ×4, first 2 shown]
	s_and_saveexec_b64 s[22:23], vcc
	s_cbranch_execz .LBB179_289
; %bb.288:                              ;   in Loop: Header=BB179_50 Depth=1
	v_cmp_lt_i32_e64 s[4:5], v5, v62
	v_accvgpr_read_b32 v11, a14
	s_nop 0
	v_cndmask_b32_e64 v0, 0, v0, s[4:5]
	v_cmp_lt_i32_e64 s[4:5], v11, v62
	v_accvgpr_read_b32 v11, a1
	s_nop 0
	v_cndmask_b32_e64 v10, 0, v10, s[4:5]
	;; [unrolled: 4-line block ×7, first 2 shown]
	v_cmp_lt_i32_e64 s[4:5], v11, v62
	s_nop 1
	v_cndmask_b32_e64 v4, 0, v4, s[4:5]
.LBB179_289:                            ;   in Loop: Header=BB179_50 Depth=1
	s_or_b64 exec, exec, s[22:23]
	v_lshlrev_b32_e32 v0, 16, v0
	v_mul_f32_e32 v0, v51, v0
	v_and_b32_e32 v11, 0x7f800000, v0
	v_cmp_ne_u32_e64 s[4:5], s15, v11
                                        ; implicit-def: $agpr26
	s_and_saveexec_b64 s[22:23], s[4:5]
	s_xor_b64 s[4:5], exec, s[22:23]
; %bb.290:                              ;   in Loop: Header=BB179_50 Depth=1
	v_bfe_u32 v11, v0, 16, 1
	v_add3_u32 v0, v0, v11, s24
	v_accvgpr_write_b32 a26, v0
                                        ; implicit-def: $vgpr0
; %bb.291:                              ;   in Loop: Header=BB179_50 Depth=1
	s_andn2_saveexec_b64 s[22:23], s[4:5]
; %bb.292:                              ;   in Loop: Header=BB179_50 Depth=1
	v_or_b32_e32 v11, 0x10000, v0
	v_cmp_eq_u32_sdwa s[4:5], v0, v27 src0_sel:WORD_0 src1_sel:DWORD
	s_nop 1
	v_cndmask_b32_e64 v0, v11, v0, s[4:5]
	v_accvgpr_write_b32 a26, v0
; %bb.293:                              ;   in Loop: Header=BB179_50 Depth=1
	s_or_b64 exec, exec, s[22:23]
	v_lshlrev_b32_e32 v0, 16, v10
	v_mul_f32_e32 v0, v52, v0
	v_and_b32_e32 v10, 0x7f800000, v0
	v_cmp_ne_u32_e64 s[4:5], s15, v10
                                        ; implicit-def: $agpr27
	s_and_saveexec_b64 s[22:23], s[4:5]
	s_xor_b64 s[4:5], exec, s[22:23]
; %bb.294:                              ;   in Loop: Header=BB179_50 Depth=1
	v_bfe_u32 v10, v0, 16, 1
	v_add3_u32 v0, v0, v10, s24
	v_accvgpr_write_b32 a27, v0
                                        ; implicit-def: $vgpr0
; %bb.295:                              ;   in Loop: Header=BB179_50 Depth=1
	s_andn2_saveexec_b64 s[22:23], s[4:5]
; %bb.296:                              ;   in Loop: Header=BB179_50 Depth=1
	v_or_b32_e32 v10, 0x10000, v0
	v_cmp_eq_u32_sdwa s[4:5], v0, v27 src0_sel:WORD_0 src1_sel:DWORD
	s_nop 1
	v_cndmask_b32_e64 v0, v10, v0, s[4:5]
	v_accvgpr_write_b32 a27, v0
; %bb.297:                              ;   in Loop: Header=BB179_50 Depth=1
	s_or_b64 exec, exec, s[22:23]
	v_lshlrev_b32_e32 v0, 16, v1
	v_mul_f32_e32 v0, v53, v0
	v_and_b32_e32 v1, 0x7f800000, v0
	v_cmp_ne_u32_e64 s[4:5], s15, v1
                                        ; implicit-def: $agpr28
	s_and_saveexec_b64 s[22:23], s[4:5]
	s_xor_b64 s[4:5], exec, s[22:23]
; %bb.298:                              ;   in Loop: Header=BB179_50 Depth=1
	v_bfe_u32 v1, v0, 16, 1
	v_add3_u32 v0, v0, v1, s24
	v_accvgpr_write_b32 a28, v0
                                        ; implicit-def: $vgpr0
; %bb.299:                              ;   in Loop: Header=BB179_50 Depth=1
	s_andn2_saveexec_b64 s[22:23], s[4:5]
; %bb.300:                              ;   in Loop: Header=BB179_50 Depth=1
	v_or_b32_e32 v1, 0x10000, v0
	v_cmp_eq_u32_sdwa s[4:5], v0, v27 src0_sel:WORD_0 src1_sel:DWORD
	s_nop 1
	v_cndmask_b32_e64 v0, v1, v0, s[4:5]
	v_accvgpr_write_b32 a28, v0
; %bb.301:                              ;   in Loop: Header=BB179_50 Depth=1
	s_or_b64 exec, exec, s[22:23]
	v_lshlrev_b32_e32 v0, 16, v9
	v_mul_f32_e32 v0, v54, v0
	v_and_b32_e32 v1, 0x7f800000, v0
	v_cmp_ne_u32_e64 s[4:5], s15, v1
                                        ; implicit-def: $agpr29
	s_and_saveexec_b64 s[22:23], s[4:5]
	s_xor_b64 s[4:5], exec, s[22:23]
; %bb.302:                              ;   in Loop: Header=BB179_50 Depth=1
	v_bfe_u32 v1, v0, 16, 1
	v_add3_u32 v0, v0, v1, s24
	v_accvgpr_write_b32 a29, v0
                                        ; implicit-def: $vgpr0
; %bb.303:                              ;   in Loop: Header=BB179_50 Depth=1
	s_andn2_saveexec_b64 s[22:23], s[4:5]
; %bb.304:                              ;   in Loop: Header=BB179_50 Depth=1
	v_or_b32_e32 v1, 0x10000, v0
	v_cmp_eq_u32_sdwa s[4:5], v0, v27 src0_sel:WORD_0 src1_sel:DWORD
	s_nop 1
	v_cndmask_b32_e64 v0, v1, v0, s[4:5]
	v_accvgpr_write_b32 a29, v0
; %bb.305:                              ;   in Loop: Header=BB179_50 Depth=1
	s_or_b64 exec, exec, s[22:23]
	v_lshlrev_b32_e32 v0, 16, v2
	v_mul_f32_e32 v0, v55, v0
	v_and_b32_e32 v1, 0x7f800000, v0
	v_cmp_ne_u32_e64 s[4:5], s15, v1
                                        ; implicit-def: $agpr12
	s_and_saveexec_b64 s[22:23], s[4:5]
	s_xor_b64 s[4:5], exec, s[22:23]
; %bb.306:                              ;   in Loop: Header=BB179_50 Depth=1
	v_bfe_u32 v1, v0, 16, 1
	v_add3_u32 v0, v0, v1, s24
	v_accvgpr_write_b32 a12, v0
                                        ; implicit-def: $vgpr0
; %bb.307:                              ;   in Loop: Header=BB179_50 Depth=1
	s_andn2_saveexec_b64 s[22:23], s[4:5]
; %bb.308:                              ;   in Loop: Header=BB179_50 Depth=1
	v_or_b32_e32 v1, 0x10000, v0
	v_cmp_eq_u32_sdwa s[4:5], v0, v27 src0_sel:WORD_0 src1_sel:DWORD
	s_nop 1
	v_cndmask_b32_e64 v0, v1, v0, s[4:5]
	v_accvgpr_write_b32 a12, v0
; %bb.309:                              ;   in Loop: Header=BB179_50 Depth=1
	s_or_b64 exec, exec, s[22:23]
	v_lshlrev_b32_e32 v0, 16, v8
	v_mul_f32_e32 v0, v40, v0
	v_and_b32_e32 v1, 0x7f800000, v0
	v_cmp_ne_u32_e64 s[4:5], s15, v1
                                        ; implicit-def: $agpr39
	s_and_saveexec_b64 s[22:23], s[4:5]
	s_xor_b64 s[4:5], exec, s[22:23]
; %bb.310:                              ;   in Loop: Header=BB179_50 Depth=1
	v_bfe_u32 v1, v0, 16, 1
	v_add3_u32 v0, v0, v1, s24
	v_accvgpr_write_b32 a39, v0
                                        ; implicit-def: $vgpr0
; %bb.311:                              ;   in Loop: Header=BB179_50 Depth=1
	s_andn2_saveexec_b64 s[22:23], s[4:5]
; %bb.312:                              ;   in Loop: Header=BB179_50 Depth=1
	v_or_b32_e32 v1, 0x10000, v0
	v_cmp_eq_u32_sdwa s[4:5], v0, v27 src0_sel:WORD_0 src1_sel:DWORD
	s_nop 1
	v_cndmask_b32_e64 v0, v1, v0, s[4:5]
	v_accvgpr_write_b32 a39, v0
; %bb.313:                              ;   in Loop: Header=BB179_50 Depth=1
	s_or_b64 exec, exec, s[22:23]
	v_lshlrev_b32_e32 v0, 16, v3
	v_mul_f32_e32 v0, v41, v0
	v_and_b32_e32 v1, 0x7f800000, v0
	v_cmp_ne_u32_e64 s[4:5], s15, v1
                                        ; implicit-def: $agpr41
	s_and_saveexec_b64 s[22:23], s[4:5]
	s_xor_b64 s[4:5], exec, s[22:23]
; %bb.314:                              ;   in Loop: Header=BB179_50 Depth=1
	v_bfe_u32 v1, v0, 16, 1
	v_add3_u32 v0, v0, v1, s24
	v_accvgpr_write_b32 a41, v0
                                        ; implicit-def: $vgpr0
; %bb.315:                              ;   in Loop: Header=BB179_50 Depth=1
	s_andn2_saveexec_b64 s[22:23], s[4:5]
; %bb.316:                              ;   in Loop: Header=BB179_50 Depth=1
	v_or_b32_e32 v1, 0x10000, v0
	v_cmp_eq_u32_sdwa s[4:5], v0, v27 src0_sel:WORD_0 src1_sel:DWORD
	s_nop 1
	v_cndmask_b32_e64 v0, v1, v0, s[4:5]
	v_accvgpr_write_b32 a41, v0
; %bb.317:                              ;   in Loop: Header=BB179_50 Depth=1
	s_or_b64 exec, exec, s[22:23]
	v_lshlrev_b32_e32 v0, 16, v4
	v_mul_f32_e32 v0, v42, v0
	v_and_b32_e32 v1, 0x7f800000, v0
	v_cmp_ne_u32_e64 s[4:5], s15, v1
                                        ; implicit-def: $agpr43
	s_and_saveexec_b64 s[22:23], s[4:5]
	s_xor_b64 s[4:5], exec, s[22:23]
; %bb.318:                              ;   in Loop: Header=BB179_50 Depth=1
	v_bfe_u32 v1, v0, 16, 1
	v_add3_u32 v0, v0, v1, s24
	v_accvgpr_write_b32 a43, v0
                                        ; implicit-def: $vgpr0
; %bb.319:                              ;   in Loop: Header=BB179_50 Depth=1
	s_andn2_saveexec_b64 s[22:23], s[4:5]
; %bb.320:                              ;   in Loop: Header=BB179_50 Depth=1
	v_or_b32_e32 v1, 0x10000, v0
	v_cmp_eq_u32_sdwa s[4:5], v0, v27 src0_sel:WORD_0 src1_sel:DWORD
	s_nop 1
	v_cndmask_b32_e64 v0, v1, v0, s[4:5]
	v_accvgpr_write_b32 a43, v0
; %bb.321:                              ;   in Loop: Header=BB179_50 Depth=1
	s_or_b64 exec, exec, s[22:23]
	scratch_load_dwordx2 v[0:1], off, s32 offset:316 ; 8-byte Folded Reload
	s_waitcnt vmcnt(0)
	v_mov_b32_e32 v1, v27
	v_mov_b32_e32 v2, v0
	v_lshl_add_u64 v[0:1], v[6:7], 0, v[0:1]
	scratch_store_dwordx2 off, v[2:3], s32 offset:316 ; 8-byte Folded Spill
	flat_load_dwordx4 v[0:3], v[0:1]
	s_waitcnt vmcnt(0) lgkmcnt(0)
	v_lshrrev_b32_e32 v10, 16, v0
	v_lshrrev_b32_e32 v9, 16, v1
	;; [unrolled: 1-line block ×4, first 2 shown]
	s_and_saveexec_b64 s[22:23], vcc
	s_cbranch_execz .LBB179_323
; %bb.322:                              ;   in Loop: Header=BB179_50 Depth=1
	v_cmp_lt_i32_e64 s[4:5], v5, v62
	v_accvgpr_read_b32 v11, a14
	s_nop 0
	v_cndmask_b32_e64 v0, 0, v0, s[4:5]
	v_cmp_lt_i32_e64 s[4:5], v11, v62
	v_accvgpr_read_b32 v11, a1
	s_nop 0
	v_cndmask_b32_e64 v10, 0, v10, s[4:5]
	;; [unrolled: 4-line block ×7, first 2 shown]
	v_cmp_lt_i32_e64 s[4:5], v11, v62
	s_nop 1
	v_cndmask_b32_e64 v4, 0, v4, s[4:5]
.LBB179_323:                            ;   in Loop: Header=BB179_50 Depth=1
	s_or_b64 exec, exec, s[22:23]
	v_lshlrev_b32_e32 v0, 16, v0
	v_mul_f32_e32 v0, v51, v0
	v_and_b32_e32 v11, 0x7f800000, v0
	v_cmp_ne_u32_e64 s[4:5], s15, v11
                                        ; implicit-def: $agpr45
	s_and_saveexec_b64 s[22:23], s[4:5]
	s_xor_b64 s[4:5], exec, s[22:23]
; %bb.324:                              ;   in Loop: Header=BB179_50 Depth=1
	v_bfe_u32 v11, v0, 16, 1
	v_add3_u32 v0, v0, v11, s24
	v_accvgpr_write_b32 a45, v0
                                        ; implicit-def: $vgpr0
; %bb.325:                              ;   in Loop: Header=BB179_50 Depth=1
	s_andn2_saveexec_b64 s[22:23], s[4:5]
; %bb.326:                              ;   in Loop: Header=BB179_50 Depth=1
	v_or_b32_e32 v11, 0x10000, v0
	v_cmp_eq_u32_sdwa s[4:5], v0, v27 src0_sel:WORD_0 src1_sel:DWORD
	s_nop 1
	v_cndmask_b32_e64 v0, v11, v0, s[4:5]
	v_accvgpr_write_b32 a45, v0
; %bb.327:                              ;   in Loop: Header=BB179_50 Depth=1
	s_or_b64 exec, exec, s[22:23]
	v_lshlrev_b32_e32 v0, 16, v10
	v_mul_f32_e32 v0, v52, v0
	v_and_b32_e32 v10, 0x7f800000, v0
	v_cmp_ne_u32_e64 s[4:5], s15, v10
                                        ; implicit-def: $agpr47
	s_and_saveexec_b64 s[22:23], s[4:5]
	s_xor_b64 s[4:5], exec, s[22:23]
; %bb.328:                              ;   in Loop: Header=BB179_50 Depth=1
	v_bfe_u32 v10, v0, 16, 1
	v_add3_u32 v0, v0, v10, s24
	v_accvgpr_write_b32 a47, v0
                                        ; implicit-def: $vgpr0
; %bb.329:                              ;   in Loop: Header=BB179_50 Depth=1
	s_andn2_saveexec_b64 s[22:23], s[4:5]
; %bb.330:                              ;   in Loop: Header=BB179_50 Depth=1
	v_or_b32_e32 v10, 0x10000, v0
	v_cmp_eq_u32_sdwa s[4:5], v0, v27 src0_sel:WORD_0 src1_sel:DWORD
	s_nop 1
	v_cndmask_b32_e64 v0, v10, v0, s[4:5]
	v_accvgpr_write_b32 a47, v0
; %bb.331:                              ;   in Loop: Header=BB179_50 Depth=1
	s_or_b64 exec, exec, s[22:23]
	v_lshlrev_b32_e32 v0, 16, v1
	v_mul_f32_e32 v0, v53, v0
	v_and_b32_e32 v1, 0x7f800000, v0
	v_cmp_ne_u32_e64 s[4:5], s15, v1
                                        ; implicit-def: $agpr49
	s_and_saveexec_b64 s[22:23], s[4:5]
	s_xor_b64 s[4:5], exec, s[22:23]
; %bb.332:                              ;   in Loop: Header=BB179_50 Depth=1
	v_bfe_u32 v1, v0, 16, 1
	v_add3_u32 v0, v0, v1, s24
	v_accvgpr_write_b32 a49, v0
                                        ; implicit-def: $vgpr0
; %bb.333:                              ;   in Loop: Header=BB179_50 Depth=1
	s_andn2_saveexec_b64 s[22:23], s[4:5]
; %bb.334:                              ;   in Loop: Header=BB179_50 Depth=1
	v_or_b32_e32 v1, 0x10000, v0
	v_cmp_eq_u32_sdwa s[4:5], v0, v27 src0_sel:WORD_0 src1_sel:DWORD
	s_nop 1
	v_cndmask_b32_e64 v0, v1, v0, s[4:5]
	v_accvgpr_write_b32 a49, v0
; %bb.335:                              ;   in Loop: Header=BB179_50 Depth=1
	s_or_b64 exec, exec, s[22:23]
	v_lshlrev_b32_e32 v0, 16, v9
	v_mul_f32_e32 v0, v54, v0
	v_and_b32_e32 v1, 0x7f800000, v0
	v_cmp_ne_u32_e64 s[4:5], s15, v1
                                        ; implicit-def: $agpr51
	s_and_saveexec_b64 s[22:23], s[4:5]
	s_xor_b64 s[4:5], exec, s[22:23]
; %bb.336:                              ;   in Loop: Header=BB179_50 Depth=1
	v_bfe_u32 v1, v0, 16, 1
	v_add3_u32 v0, v0, v1, s24
	v_accvgpr_write_b32 a51, v0
                                        ; implicit-def: $vgpr0
; %bb.337:                              ;   in Loop: Header=BB179_50 Depth=1
	s_andn2_saveexec_b64 s[22:23], s[4:5]
; %bb.338:                              ;   in Loop: Header=BB179_50 Depth=1
	v_or_b32_e32 v1, 0x10000, v0
	v_cmp_eq_u32_sdwa s[4:5], v0, v27 src0_sel:WORD_0 src1_sel:DWORD
	s_nop 1
	v_cndmask_b32_e64 v0, v1, v0, s[4:5]
	v_accvgpr_write_b32 a51, v0
; %bb.339:                              ;   in Loop: Header=BB179_50 Depth=1
	s_or_b64 exec, exec, s[22:23]
	v_lshlrev_b32_e32 v0, 16, v2
	v_mul_f32_e32 v0, v55, v0
	v_and_b32_e32 v1, 0x7f800000, v0
	v_cmp_ne_u32_e64 s[4:5], s15, v1
                                        ; implicit-def: $agpr53
	s_and_saveexec_b64 s[22:23], s[4:5]
	s_xor_b64 s[4:5], exec, s[22:23]
; %bb.340:                              ;   in Loop: Header=BB179_50 Depth=1
	v_bfe_u32 v1, v0, 16, 1
	v_add3_u32 v0, v0, v1, s24
	v_accvgpr_write_b32 a53, v0
                                        ; implicit-def: $vgpr0
; %bb.341:                              ;   in Loop: Header=BB179_50 Depth=1
	s_andn2_saveexec_b64 s[22:23], s[4:5]
; %bb.342:                              ;   in Loop: Header=BB179_50 Depth=1
	v_or_b32_e32 v1, 0x10000, v0
	v_cmp_eq_u32_sdwa s[4:5], v0, v27 src0_sel:WORD_0 src1_sel:DWORD
	s_nop 1
	v_cndmask_b32_e64 v0, v1, v0, s[4:5]
	v_accvgpr_write_b32 a53, v0
; %bb.343:                              ;   in Loop: Header=BB179_50 Depth=1
	s_or_b64 exec, exec, s[22:23]
	v_lshlrev_b32_e32 v0, 16, v8
	v_mul_f32_e32 v0, v40, v0
	v_and_b32_e32 v1, 0x7f800000, v0
	v_cmp_ne_u32_e64 s[4:5], s15, v1
                                        ; implicit-def: $agpr55
	s_and_saveexec_b64 s[22:23], s[4:5]
	s_xor_b64 s[4:5], exec, s[22:23]
; %bb.344:                              ;   in Loop: Header=BB179_50 Depth=1
	v_bfe_u32 v1, v0, 16, 1
	v_add3_u32 v0, v0, v1, s24
	v_accvgpr_write_b32 a55, v0
                                        ; implicit-def: $vgpr0
; %bb.345:                              ;   in Loop: Header=BB179_50 Depth=1
	s_andn2_saveexec_b64 s[22:23], s[4:5]
; %bb.346:                              ;   in Loop: Header=BB179_50 Depth=1
	v_or_b32_e32 v1, 0x10000, v0
	v_cmp_eq_u32_sdwa s[4:5], v0, v27 src0_sel:WORD_0 src1_sel:DWORD
	s_nop 1
	v_cndmask_b32_e64 v0, v1, v0, s[4:5]
	v_accvgpr_write_b32 a55, v0
; %bb.347:                              ;   in Loop: Header=BB179_50 Depth=1
	s_or_b64 exec, exec, s[22:23]
	v_lshlrev_b32_e32 v0, 16, v3
	v_mul_f32_e32 v0, v41, v0
	v_and_b32_e32 v1, 0x7f800000, v0
	v_cmp_ne_u32_e64 s[4:5], s15, v1
                                        ; implicit-def: $agpr57
	s_and_saveexec_b64 s[22:23], s[4:5]
	s_xor_b64 s[4:5], exec, s[22:23]
; %bb.348:                              ;   in Loop: Header=BB179_50 Depth=1
	v_bfe_u32 v1, v0, 16, 1
	v_add3_u32 v0, v0, v1, s24
	v_accvgpr_write_b32 a57, v0
                                        ; implicit-def: $vgpr0
; %bb.349:                              ;   in Loop: Header=BB179_50 Depth=1
	s_andn2_saveexec_b64 s[22:23], s[4:5]
; %bb.350:                              ;   in Loop: Header=BB179_50 Depth=1
	v_or_b32_e32 v1, 0x10000, v0
	v_cmp_eq_u32_sdwa s[4:5], v0, v27 src0_sel:WORD_0 src1_sel:DWORD
	s_nop 1
	v_cndmask_b32_e64 v0, v1, v0, s[4:5]
	v_accvgpr_write_b32 a57, v0
; %bb.351:                              ;   in Loop: Header=BB179_50 Depth=1
	s_or_b64 exec, exec, s[22:23]
	v_lshlrev_b32_e32 v0, 16, v4
	v_mul_f32_e32 v0, v42, v0
	v_and_b32_e32 v1, 0x7f800000, v0
	v_cmp_ne_u32_e64 s[4:5], s15, v1
                                        ; implicit-def: $agpr18
	s_and_saveexec_b64 s[22:23], s[4:5]
	s_xor_b64 s[4:5], exec, s[22:23]
; %bb.352:                              ;   in Loop: Header=BB179_50 Depth=1
	v_bfe_u32 v1, v0, 16, 1
	v_add3_u32 v0, v0, v1, s24
	v_accvgpr_write_b32 a18, v0
                                        ; implicit-def: $vgpr0
; %bb.353:                              ;   in Loop: Header=BB179_50 Depth=1
	s_andn2_saveexec_b64 s[22:23], s[4:5]
; %bb.354:                              ;   in Loop: Header=BB179_50 Depth=1
	v_or_b32_e32 v1, 0x10000, v0
	v_cmp_eq_u32_sdwa s[4:5], v0, v27 src0_sel:WORD_0 src1_sel:DWORD
	s_nop 1
	v_cndmask_b32_e64 v0, v1, v0, s[4:5]
	v_accvgpr_write_b32 a18, v0
; %bb.355:                              ;   in Loop: Header=BB179_50 Depth=1
	s_or_b64 exec, exec, s[22:23]
	scratch_load_dwordx2 v[0:1], off, s32 offset:324 ; 8-byte Folded Reload
	s_waitcnt vmcnt(0)
	v_mov_b32_e32 v1, v27
	v_mov_b32_e32 v2, v0
	v_lshl_add_u64 v[0:1], v[6:7], 0, v[0:1]
	scratch_store_dwordx2 off, v[2:3], s32 offset:324 ; 8-byte Folded Spill
	flat_load_dwordx4 v[0:3], v[0:1]
	s_waitcnt vmcnt(0) lgkmcnt(0)
	v_lshrrev_b32_e32 v10, 16, v0
	v_lshrrev_b32_e32 v9, 16, v1
	;; [unrolled: 1-line block ×4, first 2 shown]
	s_and_saveexec_b64 s[22:23], vcc
	s_cbranch_execz .LBB179_357
; %bb.356:                              ;   in Loop: Header=BB179_50 Depth=1
	v_cmp_lt_i32_e64 s[4:5], v5, v62
	v_accvgpr_read_b32 v11, a14
	s_nop 0
	v_cndmask_b32_e64 v0, 0, v0, s[4:5]
	v_cmp_lt_i32_e64 s[4:5], v11, v62
	v_accvgpr_read_b32 v11, a1
	s_nop 0
	v_cndmask_b32_e64 v10, 0, v10, s[4:5]
	;; [unrolled: 4-line block ×7, first 2 shown]
	v_cmp_lt_i32_e64 s[4:5], v11, v62
	s_nop 1
	v_cndmask_b32_e64 v4, 0, v4, s[4:5]
.LBB179_357:                            ;   in Loop: Header=BB179_50 Depth=1
	s_or_b64 exec, exec, s[22:23]
	v_lshlrev_b32_e32 v0, 16, v0
	v_mul_f32_e32 v0, v51, v0
	v_and_b32_e32 v11, 0x7f800000, v0
	v_cmp_ne_u32_e64 s[4:5], s15, v11
                                        ; implicit-def: $agpr19
	s_and_saveexec_b64 s[22:23], s[4:5]
	s_xor_b64 s[4:5], exec, s[22:23]
; %bb.358:                              ;   in Loop: Header=BB179_50 Depth=1
	v_bfe_u32 v11, v0, 16, 1
	v_add3_u32 v0, v0, v11, s24
	v_accvgpr_write_b32 a19, v0
                                        ; implicit-def: $vgpr0
; %bb.359:                              ;   in Loop: Header=BB179_50 Depth=1
	s_andn2_saveexec_b64 s[22:23], s[4:5]
; %bb.360:                              ;   in Loop: Header=BB179_50 Depth=1
	v_or_b32_e32 v11, 0x10000, v0
	v_cmp_eq_u32_sdwa s[4:5], v0, v27 src0_sel:WORD_0 src1_sel:DWORD
	s_nop 1
	v_cndmask_b32_e64 v0, v11, v0, s[4:5]
	v_accvgpr_write_b32 a19, v0
; %bb.361:                              ;   in Loop: Header=BB179_50 Depth=1
	s_or_b64 exec, exec, s[22:23]
	v_lshlrev_b32_e32 v0, 16, v10
	v_mul_f32_e32 v0, v52, v0
	v_and_b32_e32 v10, 0x7f800000, v0
	v_cmp_ne_u32_e64 s[4:5], s15, v10
                                        ; implicit-def: $agpr59
	s_and_saveexec_b64 s[22:23], s[4:5]
	s_xor_b64 s[4:5], exec, s[22:23]
; %bb.362:                              ;   in Loop: Header=BB179_50 Depth=1
	v_bfe_u32 v10, v0, 16, 1
	v_add3_u32 v0, v0, v10, s24
	v_accvgpr_write_b32 a59, v0
                                        ; implicit-def: $vgpr0
; %bb.363:                              ;   in Loop: Header=BB179_50 Depth=1
	s_andn2_saveexec_b64 s[22:23], s[4:5]
; %bb.364:                              ;   in Loop: Header=BB179_50 Depth=1
	v_or_b32_e32 v10, 0x10000, v0
	v_cmp_eq_u32_sdwa s[4:5], v0, v27 src0_sel:WORD_0 src1_sel:DWORD
	s_nop 1
	v_cndmask_b32_e64 v0, v10, v0, s[4:5]
	v_accvgpr_write_b32 a59, v0
; %bb.365:                              ;   in Loop: Header=BB179_50 Depth=1
	s_or_b64 exec, exec, s[22:23]
	v_lshlrev_b32_e32 v0, 16, v1
	v_mul_f32_e32 v0, v53, v0
	v_and_b32_e32 v1, 0x7f800000, v0
	v_cmp_ne_u32_e64 s[4:5], s15, v1
                                        ; implicit-def: $agpr61
	s_and_saveexec_b64 s[22:23], s[4:5]
	s_xor_b64 s[4:5], exec, s[22:23]
; %bb.366:                              ;   in Loop: Header=BB179_50 Depth=1
	v_bfe_u32 v1, v0, 16, 1
	v_add3_u32 v0, v0, v1, s24
	v_accvgpr_write_b32 a61, v0
                                        ; implicit-def: $vgpr0
; %bb.367:                              ;   in Loop: Header=BB179_50 Depth=1
	s_andn2_saveexec_b64 s[22:23], s[4:5]
; %bb.368:                              ;   in Loop: Header=BB179_50 Depth=1
	v_or_b32_e32 v1, 0x10000, v0
	v_cmp_eq_u32_sdwa s[4:5], v0, v27 src0_sel:WORD_0 src1_sel:DWORD
	s_nop 1
	v_cndmask_b32_e64 v0, v1, v0, s[4:5]
	v_accvgpr_write_b32 a61, v0
; %bb.369:                              ;   in Loop: Header=BB179_50 Depth=1
	s_or_b64 exec, exec, s[22:23]
	v_lshlrev_b32_e32 v0, 16, v9
	v_mul_f32_e32 v0, v54, v0
	v_and_b32_e32 v1, 0x7f800000, v0
	v_cmp_ne_u32_e64 s[4:5], s15, v1
                                        ; implicit-def: $agpr63
	s_and_saveexec_b64 s[22:23], s[4:5]
	s_xor_b64 s[4:5], exec, s[22:23]
; %bb.370:                              ;   in Loop: Header=BB179_50 Depth=1
	v_bfe_u32 v1, v0, 16, 1
	v_add3_u32 v0, v0, v1, s24
	v_accvgpr_write_b32 a63, v0
                                        ; implicit-def: $vgpr0
; %bb.371:                              ;   in Loop: Header=BB179_50 Depth=1
	s_andn2_saveexec_b64 s[22:23], s[4:5]
; %bb.372:                              ;   in Loop: Header=BB179_50 Depth=1
	v_or_b32_e32 v1, 0x10000, v0
	v_cmp_eq_u32_sdwa s[4:5], v0, v27 src0_sel:WORD_0 src1_sel:DWORD
	s_nop 1
	v_cndmask_b32_e64 v0, v1, v0, s[4:5]
	v_accvgpr_write_b32 a63, v0
; %bb.373:                              ;   in Loop: Header=BB179_50 Depth=1
	s_or_b64 exec, exec, s[22:23]
	v_lshlrev_b32_e32 v0, 16, v2
	v_mul_f32_e32 v0, v55, v0
	v_and_b32_e32 v1, 0x7f800000, v0
	v_cmp_ne_u32_e64 s[4:5], s15, v1
                                        ; implicit-def: $agpr17
	s_and_saveexec_b64 s[22:23], s[4:5]
	s_xor_b64 s[4:5], exec, s[22:23]
; %bb.374:                              ;   in Loop: Header=BB179_50 Depth=1
	v_bfe_u32 v1, v0, 16, 1
	v_add3_u32 v0, v0, v1, s24
	v_accvgpr_write_b32 a17, v0
                                        ; implicit-def: $vgpr0
; %bb.375:                              ;   in Loop: Header=BB179_50 Depth=1
	s_andn2_saveexec_b64 s[22:23], s[4:5]
; %bb.376:                              ;   in Loop: Header=BB179_50 Depth=1
	v_or_b32_e32 v1, 0x10000, v0
	v_cmp_eq_u32_sdwa s[4:5], v0, v27 src0_sel:WORD_0 src1_sel:DWORD
	s_nop 1
	v_cndmask_b32_e64 v0, v1, v0, s[4:5]
	v_accvgpr_write_b32 a17, v0
; %bb.377:                              ;   in Loop: Header=BB179_50 Depth=1
	s_or_b64 exec, exec, s[22:23]
	v_lshlrev_b32_e32 v0, 16, v8
	v_mul_f32_e32 v0, v40, v0
	v_and_b32_e32 v1, 0x7f800000, v0
	v_cmp_ne_u32_e64 s[4:5], s15, v1
                                        ; implicit-def: $agpr34
	s_and_saveexec_b64 s[22:23], s[4:5]
	s_xor_b64 s[4:5], exec, s[22:23]
; %bb.378:                              ;   in Loop: Header=BB179_50 Depth=1
	v_bfe_u32 v1, v0, 16, 1
	v_add3_u32 v0, v0, v1, s24
	v_accvgpr_write_b32 a34, v0
                                        ; implicit-def: $vgpr0
; %bb.379:                              ;   in Loop: Header=BB179_50 Depth=1
	s_andn2_saveexec_b64 s[22:23], s[4:5]
; %bb.380:                              ;   in Loop: Header=BB179_50 Depth=1
	v_or_b32_e32 v1, 0x10000, v0
	v_cmp_eq_u32_sdwa s[4:5], v0, v27 src0_sel:WORD_0 src1_sel:DWORD
	s_nop 1
	v_cndmask_b32_e64 v0, v1, v0, s[4:5]
	v_accvgpr_write_b32 a34, v0
; %bb.381:                              ;   in Loop: Header=BB179_50 Depth=1
	s_or_b64 exec, exec, s[22:23]
	v_lshlrev_b32_e32 v0, 16, v3
	v_mul_f32_e32 v0, v41, v0
	v_and_b32_e32 v1, 0x7f800000, v0
	v_cmp_ne_u32_e64 s[4:5], s15, v1
                                        ; implicit-def: $agpr35
	s_and_saveexec_b64 s[22:23], s[4:5]
	s_xor_b64 s[4:5], exec, s[22:23]
; %bb.382:                              ;   in Loop: Header=BB179_50 Depth=1
	v_bfe_u32 v1, v0, 16, 1
	v_add3_u32 v0, v0, v1, s24
	v_accvgpr_write_b32 a35, v0
                                        ; implicit-def: $vgpr0
; %bb.383:                              ;   in Loop: Header=BB179_50 Depth=1
	s_andn2_saveexec_b64 s[22:23], s[4:5]
; %bb.384:                              ;   in Loop: Header=BB179_50 Depth=1
	v_or_b32_e32 v1, 0x10000, v0
	v_cmp_eq_u32_sdwa s[4:5], v0, v27 src0_sel:WORD_0 src1_sel:DWORD
	s_nop 1
	v_cndmask_b32_e64 v0, v1, v0, s[4:5]
	v_accvgpr_write_b32 a35, v0
; %bb.385:                              ;   in Loop: Header=BB179_50 Depth=1
	s_or_b64 exec, exec, s[22:23]
	v_lshlrev_b32_e32 v0, 16, v4
	v_mul_f32_e32 v0, v42, v0
	v_and_b32_e32 v1, 0x7f800000, v0
	v_cmp_ne_u32_e64 s[4:5], s15, v1
                                        ; implicit-def: $agpr30
	s_and_saveexec_b64 s[22:23], s[4:5]
	s_xor_b64 s[4:5], exec, s[22:23]
; %bb.386:                              ;   in Loop: Header=BB179_50 Depth=1
	v_bfe_u32 v1, v0, 16, 1
	v_add3_u32 v0, v0, v1, s24
	v_accvgpr_write_b32 a30, v0
                                        ; implicit-def: $vgpr0
; %bb.387:                              ;   in Loop: Header=BB179_50 Depth=1
	s_andn2_saveexec_b64 s[22:23], s[4:5]
; %bb.388:                              ;   in Loop: Header=BB179_50 Depth=1
	v_or_b32_e32 v1, 0x10000, v0
	v_cmp_eq_u32_sdwa s[4:5], v0, v27 src0_sel:WORD_0 src1_sel:DWORD
	s_nop 1
	v_cndmask_b32_e64 v0, v1, v0, s[4:5]
	v_accvgpr_write_b32 a30, v0
; %bb.389:                              ;   in Loop: Header=BB179_50 Depth=1
	s_or_b64 exec, exec, s[22:23]
	scratch_load_dwordx2 v[0:1], off, s32 offset:332 ; 8-byte Folded Reload
	s_waitcnt vmcnt(0)
	v_mov_b32_e32 v1, v27
	v_mov_b32_e32 v2, v0
	v_lshl_add_u64 v[0:1], v[6:7], 0, v[0:1]
	scratch_store_dwordx2 off, v[2:3], s32 offset:332 ; 8-byte Folded Spill
	flat_load_dwordx4 v[0:3], v[0:1]
	s_waitcnt vmcnt(0) lgkmcnt(0)
	v_lshrrev_b32_e32 v10, 16, v0
	v_lshrrev_b32_e32 v9, 16, v1
	;; [unrolled: 1-line block ×4, first 2 shown]
	s_and_saveexec_b64 s[22:23], vcc
	s_cbranch_execz .LBB179_391
; %bb.390:                              ;   in Loop: Header=BB179_50 Depth=1
	v_cmp_lt_i32_e64 s[4:5], v5, v62
	v_accvgpr_read_b32 v11, a14
	s_nop 0
	v_cndmask_b32_e64 v0, 0, v0, s[4:5]
	v_cmp_lt_i32_e64 s[4:5], v11, v62
	v_accvgpr_read_b32 v11, a1
	s_nop 0
	v_cndmask_b32_e64 v10, 0, v10, s[4:5]
	;; [unrolled: 4-line block ×7, first 2 shown]
	v_cmp_lt_i32_e64 s[4:5], v11, v62
	s_nop 1
	v_cndmask_b32_e64 v4, 0, v4, s[4:5]
.LBB179_391:                            ;   in Loop: Header=BB179_50 Depth=1
	s_or_b64 exec, exec, s[22:23]
	v_lshlrev_b32_e32 v0, 16, v0
	v_mul_f32_e32 v0, v51, v0
	v_and_b32_e32 v11, 0x7f800000, v0
	v_cmp_ne_u32_e64 s[4:5], s15, v11
                                        ; implicit-def: $agpr31
	s_and_saveexec_b64 s[22:23], s[4:5]
	s_xor_b64 s[4:5], exec, s[22:23]
; %bb.392:                              ;   in Loop: Header=BB179_50 Depth=1
	v_bfe_u32 v11, v0, 16, 1
	v_add3_u32 v0, v0, v11, s24
	v_accvgpr_write_b32 a31, v0
                                        ; implicit-def: $vgpr0
; %bb.393:                              ;   in Loop: Header=BB179_50 Depth=1
	s_andn2_saveexec_b64 s[22:23], s[4:5]
; %bb.394:                              ;   in Loop: Header=BB179_50 Depth=1
	v_or_b32_e32 v11, 0x10000, v0
	v_cmp_eq_u32_sdwa s[4:5], v0, v27 src0_sel:WORD_0 src1_sel:DWORD
	s_nop 1
	v_cndmask_b32_e64 v0, v11, v0, s[4:5]
	v_accvgpr_write_b32 a31, v0
; %bb.395:                              ;   in Loop: Header=BB179_50 Depth=1
	s_or_b64 exec, exec, s[22:23]
	v_lshlrev_b32_e32 v0, 16, v10
	v_mul_f32_e32 v0, v52, v0
	v_and_b32_e32 v10, 0x7f800000, v0
	v_cmp_ne_u32_e64 s[4:5], s15, v10
                                        ; implicit-def: $agpr5
	s_and_saveexec_b64 s[22:23], s[4:5]
	s_xor_b64 s[4:5], exec, s[22:23]
; %bb.396:                              ;   in Loop: Header=BB179_50 Depth=1
	v_bfe_u32 v10, v0, 16, 1
	v_add3_u32 v0, v0, v10, s24
	v_accvgpr_write_b32 a5, v0
                                        ; implicit-def: $vgpr0
; %bb.397:                              ;   in Loop: Header=BB179_50 Depth=1
	s_andn2_saveexec_b64 s[22:23], s[4:5]
; %bb.398:                              ;   in Loop: Header=BB179_50 Depth=1
	v_or_b32_e32 v10, 0x10000, v0
	v_cmp_eq_u32_sdwa s[4:5], v0, v27 src0_sel:WORD_0 src1_sel:DWORD
	s_nop 1
	v_cndmask_b32_e64 v0, v10, v0, s[4:5]
	v_accvgpr_write_b32 a5, v0
; %bb.399:                              ;   in Loop: Header=BB179_50 Depth=1
	s_or_b64 exec, exec, s[22:23]
	v_lshlrev_b32_e32 v0, 16, v1
	v_mul_f32_e32 v0, v53, v0
	v_and_b32_e32 v1, 0x7f800000, v0
	v_cmp_ne_u32_e64 s[4:5], s15, v1
                                        ; implicit-def: $agpr9
	s_and_saveexec_b64 s[22:23], s[4:5]
	s_xor_b64 s[4:5], exec, s[22:23]
; %bb.400:                              ;   in Loop: Header=BB179_50 Depth=1
	v_bfe_u32 v1, v0, 16, 1
	v_add3_u32 v0, v0, v1, s24
	v_accvgpr_write_b32 a9, v0
                                        ; implicit-def: $vgpr0
; %bb.401:                              ;   in Loop: Header=BB179_50 Depth=1
	s_andn2_saveexec_b64 s[22:23], s[4:5]
; %bb.402:                              ;   in Loop: Header=BB179_50 Depth=1
	v_or_b32_e32 v1, 0x10000, v0
	v_cmp_eq_u32_sdwa s[4:5], v0, v27 src0_sel:WORD_0 src1_sel:DWORD
	s_nop 1
	v_cndmask_b32_e64 v0, v1, v0, s[4:5]
	v_accvgpr_write_b32 a9, v0
; %bb.403:                              ;   in Loop: Header=BB179_50 Depth=1
	s_or_b64 exec, exec, s[22:23]
	v_lshlrev_b32_e32 v0, 16, v9
	v_mul_f32_e32 v0, v54, v0
	v_and_b32_e32 v1, 0x7f800000, v0
	v_cmp_ne_u32_e64 s[4:5], s15, v1
                                        ; implicit-def: $agpr3
	s_and_saveexec_b64 s[22:23], s[4:5]
	s_xor_b64 s[4:5], exec, s[22:23]
; %bb.404:                              ;   in Loop: Header=BB179_50 Depth=1
	v_bfe_u32 v1, v0, 16, 1
	v_add3_u32 v0, v0, v1, s24
	v_accvgpr_write_b32 a3, v0
                                        ; implicit-def: $vgpr0
; %bb.405:                              ;   in Loop: Header=BB179_50 Depth=1
	s_andn2_saveexec_b64 s[22:23], s[4:5]
; %bb.406:                              ;   in Loop: Header=BB179_50 Depth=1
	v_or_b32_e32 v1, 0x10000, v0
	v_cmp_eq_u32_sdwa s[4:5], v0, v27 src0_sel:WORD_0 src1_sel:DWORD
	s_nop 1
	v_cndmask_b32_e64 v0, v1, v0, s[4:5]
	v_accvgpr_write_b32 a3, v0
; %bb.407:                              ;   in Loop: Header=BB179_50 Depth=1
	s_or_b64 exec, exec, s[22:23]
	v_lshlrev_b32_e32 v0, 16, v2
	v_mul_f32_e32 v0, v55, v0
	v_and_b32_e32 v1, 0x7f800000, v0
	v_cmp_ne_u32_e64 s[4:5], s15, v1
                                        ; implicit-def: $agpr7
	s_and_saveexec_b64 s[22:23], s[4:5]
	s_xor_b64 s[4:5], exec, s[22:23]
; %bb.408:                              ;   in Loop: Header=BB179_50 Depth=1
	v_bfe_u32 v1, v0, 16, 1
	v_add3_u32 v0, v0, v1, s24
	v_accvgpr_write_b32 a7, v0
                                        ; implicit-def: $vgpr0
; %bb.409:                              ;   in Loop: Header=BB179_50 Depth=1
	s_andn2_saveexec_b64 s[22:23], s[4:5]
; %bb.410:                              ;   in Loop: Header=BB179_50 Depth=1
	v_or_b32_e32 v1, 0x10000, v0
	v_cmp_eq_u32_sdwa s[4:5], v0, v27 src0_sel:WORD_0 src1_sel:DWORD
	s_nop 1
	v_cndmask_b32_e64 v0, v1, v0, s[4:5]
	v_accvgpr_write_b32 a7, v0
; %bb.411:                              ;   in Loop: Header=BB179_50 Depth=1
	s_or_b64 exec, exec, s[22:23]
	v_lshlrev_b32_e32 v0, 16, v8
	v_mul_f32_e32 v0, v40, v0
	v_and_b32_e32 v1, 0x7f800000, v0
	v_cmp_ne_u32_e64 s[4:5], s15, v1
                                        ; implicit-def: $agpr8
	s_and_saveexec_b64 s[22:23], s[4:5]
	s_xor_b64 s[4:5], exec, s[22:23]
; %bb.412:                              ;   in Loop: Header=BB179_50 Depth=1
	v_bfe_u32 v1, v0, 16, 1
	v_add3_u32 v0, v0, v1, s24
	v_accvgpr_write_b32 a8, v0
                                        ; implicit-def: $vgpr0
; %bb.413:                              ;   in Loop: Header=BB179_50 Depth=1
	s_andn2_saveexec_b64 s[22:23], s[4:5]
; %bb.414:                              ;   in Loop: Header=BB179_50 Depth=1
	v_or_b32_e32 v1, 0x10000, v0
	v_cmp_eq_u32_sdwa s[4:5], v0, v27 src0_sel:WORD_0 src1_sel:DWORD
	s_nop 1
	v_cndmask_b32_e64 v0, v1, v0, s[4:5]
	v_accvgpr_write_b32 a8, v0
; %bb.415:                              ;   in Loop: Header=BB179_50 Depth=1
	s_or_b64 exec, exec, s[22:23]
	v_lshlrev_b32_e32 v0, 16, v3
	v_mul_f32_e32 v0, v41, v0
	v_and_b32_e32 v1, 0x7f800000, v0
	v_cmp_ne_u32_e64 s[4:5], s15, v1
                                        ; implicit-def: $agpr4
	s_and_saveexec_b64 s[22:23], s[4:5]
	s_xor_b64 s[4:5], exec, s[22:23]
; %bb.416:                              ;   in Loop: Header=BB179_50 Depth=1
	v_bfe_u32 v1, v0, 16, 1
	v_add3_u32 v0, v0, v1, s24
	v_accvgpr_write_b32 a4, v0
                                        ; implicit-def: $vgpr0
; %bb.417:                              ;   in Loop: Header=BB179_50 Depth=1
	s_andn2_saveexec_b64 s[22:23], s[4:5]
; %bb.418:                              ;   in Loop: Header=BB179_50 Depth=1
	v_or_b32_e32 v1, 0x10000, v0
	v_cmp_eq_u32_sdwa s[4:5], v0, v27 src0_sel:WORD_0 src1_sel:DWORD
	s_nop 1
	v_cndmask_b32_e64 v0, v1, v0, s[4:5]
	v_accvgpr_write_b32 a4, v0
; %bb.419:                              ;   in Loop: Header=BB179_50 Depth=1
	s_or_b64 exec, exec, s[22:23]
	v_lshlrev_b32_e32 v0, 16, v4
	v_mul_f32_e32 v0, v42, v0
	v_and_b32_e32 v1, 0x7f800000, v0
	v_cmp_ne_u32_e64 s[4:5], s15, v1
                                        ; implicit-def: $agpr38
	s_and_saveexec_b64 s[22:23], s[4:5]
	s_xor_b64 s[4:5], exec, s[22:23]
; %bb.420:                              ;   in Loop: Header=BB179_50 Depth=1
	v_bfe_u32 v1, v0, 16, 1
	v_add3_u32 v0, v0, v1, s24
	v_accvgpr_write_b32 a38, v0
                                        ; implicit-def: $vgpr0
; %bb.421:                              ;   in Loop: Header=BB179_50 Depth=1
	s_andn2_saveexec_b64 s[22:23], s[4:5]
; %bb.422:                              ;   in Loop: Header=BB179_50 Depth=1
	v_or_b32_e32 v1, 0x10000, v0
	v_cmp_eq_u32_sdwa s[4:5], v0, v27 src0_sel:WORD_0 src1_sel:DWORD
	s_nop 1
	v_cndmask_b32_e64 v0, v1, v0, s[4:5]
	v_accvgpr_write_b32 a38, v0
; %bb.423:                              ;   in Loop: Header=BB179_50 Depth=1
	s_or_b64 exec, exec, s[22:23]
	scratch_load_dwordx2 v[0:1], off, s32 offset:340 ; 8-byte Folded Reload
	s_waitcnt vmcnt(0)
	v_mov_b32_e32 v1, v27
	v_mov_b32_e32 v2, v0
	v_lshl_add_u64 v[0:1], v[6:7], 0, v[0:1]
	scratch_store_dwordx2 off, v[2:3], s32 offset:340 ; 8-byte Folded Spill
	flat_load_dwordx4 v[0:3], v[0:1]
	s_waitcnt vmcnt(0) lgkmcnt(0)
	v_lshrrev_b32_e32 v10, 16, v0
	v_lshrrev_b32_e32 v8, 16, v1
	;; [unrolled: 1-line block ×4, first 2 shown]
	s_and_saveexec_b64 s[22:23], vcc
	s_cbranch_execz .LBB179_425
; %bb.424:                              ;   in Loop: Header=BB179_50 Depth=1
	v_cmp_lt_i32_e64 s[4:5], v5, v62
	v_accvgpr_read_b32 v11, a14
	s_nop 0
	v_cndmask_b32_e64 v0, 0, v0, s[4:5]
	v_cmp_lt_i32_e64 s[4:5], v11, v62
	v_accvgpr_read_b32 v11, a1
	s_nop 0
	v_cndmask_b32_e64 v10, 0, v10, s[4:5]
	;; [unrolled: 4-line block ×7, first 2 shown]
	v_cmp_lt_i32_e64 s[4:5], v11, v62
	s_nop 1
	v_cndmask_b32_e64 v4, 0, v4, s[4:5]
.LBB179_425:                            ;   in Loop: Header=BB179_50 Depth=1
	s_or_b64 exec, exec, s[22:23]
	v_lshlrev_b32_e32 v0, 16, v0
	v_mul_f32_e32 v0, v51, v0
	v_and_b32_e32 v11, 0x7f800000, v0
	v_cmp_ne_u32_e64 s[4:5], s15, v11
                                        ; implicit-def: $vgpr60
	s_and_saveexec_b64 s[22:23], s[4:5]
	s_xor_b64 s[4:5], exec, s[22:23]
; %bb.426:                              ;   in Loop: Header=BB179_50 Depth=1
	v_bfe_u32 v11, v0, 16, 1
	v_add3_u32 v60, v0, v11, s24
                                        ; implicit-def: $vgpr0
; %bb.427:                              ;   in Loop: Header=BB179_50 Depth=1
	s_andn2_saveexec_b64 s[22:23], s[4:5]
; %bb.428:                              ;   in Loop: Header=BB179_50 Depth=1
	v_or_b32_e32 v11, 0x10000, v0
	v_cmp_eq_u32_sdwa s[4:5], v0, v27 src0_sel:WORD_0 src1_sel:DWORD
	s_nop 1
	v_cndmask_b32_e64 v60, v11, v0, s[4:5]
; %bb.429:                              ;   in Loop: Header=BB179_50 Depth=1
	s_or_b64 exec, exec, s[22:23]
	v_lshlrev_b32_e32 v0, 16, v10
	v_mul_f32_e32 v0, v52, v0
	v_and_b32_e32 v10, 0x7f800000, v0
	v_cmp_ne_u32_e64 s[4:5], s15, v10
                                        ; implicit-def: $vgpr61
	s_and_saveexec_b64 s[22:23], s[4:5]
	s_xor_b64 s[4:5], exec, s[22:23]
; %bb.430:                              ;   in Loop: Header=BB179_50 Depth=1
	v_bfe_u32 v10, v0, 16, 1
	v_add3_u32 v61, v0, v10, s24
                                        ; implicit-def: $vgpr0
; %bb.431:                              ;   in Loop: Header=BB179_50 Depth=1
	s_andn2_saveexec_b64 s[22:23], s[4:5]
; %bb.432:                              ;   in Loop: Header=BB179_50 Depth=1
	v_or_b32_e32 v10, 0x10000, v0
	v_cmp_eq_u32_sdwa s[4:5], v0, v27 src0_sel:WORD_0 src1_sel:DWORD
	s_nop 1
	v_cndmask_b32_e64 v61, v10, v0, s[4:5]
; %bb.433:                              ;   in Loop: Header=BB179_50 Depth=1
	s_or_b64 exec, exec, s[22:23]
	v_lshlrev_b32_e32 v0, 16, v1
	v_mul_f32_e32 v0, v53, v0
	v_and_b32_e32 v1, 0x7f800000, v0
	v_cmp_ne_u32_e64 s[4:5], s15, v1
                                        ; implicit-def: $vgpr38
	s_and_saveexec_b64 s[22:23], s[4:5]
	s_xor_b64 s[4:5], exec, s[22:23]
; %bb.434:                              ;   in Loop: Header=BB179_50 Depth=1
	v_bfe_u32 v1, v0, 16, 1
	v_add3_u32 v38, v0, v1, s24
                                        ; implicit-def: $vgpr0
; %bb.435:                              ;   in Loop: Header=BB179_50 Depth=1
	s_andn2_saveexec_b64 s[22:23], s[4:5]
; %bb.436:                              ;   in Loop: Header=BB179_50 Depth=1
	v_or_b32_e32 v1, 0x10000, v0
	v_cmp_eq_u32_sdwa s[4:5], v0, v27 src0_sel:WORD_0 src1_sel:DWORD
	s_nop 1
	v_cndmask_b32_e64 v38, v1, v0, s[4:5]
; %bb.437:                              ;   in Loop: Header=BB179_50 Depth=1
	s_or_b64 exec, exec, s[22:23]
	v_lshlrev_b32_e32 v0, 16, v8
	v_mul_f32_e32 v0, v54, v0
	v_and_b32_e32 v1, 0x7f800000, v0
	v_cmp_ne_u32_e64 s[4:5], s15, v1
                                        ; implicit-def: $vgpr39
	s_and_saveexec_b64 s[22:23], s[4:5]
	s_xor_b64 s[4:5], exec, s[22:23]
; %bb.438:                              ;   in Loop: Header=BB179_50 Depth=1
	v_bfe_u32 v1, v0, 16, 1
	v_add3_u32 v39, v0, v1, s24
                                        ; implicit-def: $vgpr0
; %bb.439:                              ;   in Loop: Header=BB179_50 Depth=1
	s_andn2_saveexec_b64 s[22:23], s[4:5]
; %bb.440:                              ;   in Loop: Header=BB179_50 Depth=1
	v_or_b32_e32 v1, 0x10000, v0
	v_cmp_eq_u32_sdwa s[4:5], v0, v27 src0_sel:WORD_0 src1_sel:DWORD
	s_nop 1
	v_cndmask_b32_e64 v39, v1, v0, s[4:5]
; %bb.441:                              ;   in Loop: Header=BB179_50 Depth=1
	s_or_b64 exec, exec, s[22:23]
	v_lshlrev_b32_e32 v0, 16, v2
	v_mul_f32_e32 v0, v55, v0
	v_and_b32_e32 v1, 0x7f800000, v0
	v_cmp_ne_u32_e64 s[4:5], s15, v1
                                        ; implicit-def: $vgpr8
	s_and_saveexec_b64 s[22:23], s[4:5]
	s_xor_b64 s[4:5], exec, s[22:23]
; %bb.442:                              ;   in Loop: Header=BB179_50 Depth=1
	v_bfe_u32 v1, v0, 16, 1
	v_add3_u32 v8, v0, v1, s24
                                        ; implicit-def: $vgpr0
; %bb.443:                              ;   in Loop: Header=BB179_50 Depth=1
	s_andn2_saveexec_b64 s[22:23], s[4:5]
; %bb.444:                              ;   in Loop: Header=BB179_50 Depth=1
	v_or_b32_e32 v1, 0x10000, v0
	v_cmp_eq_u32_sdwa s[4:5], v0, v27 src0_sel:WORD_0 src1_sel:DWORD
	s_nop 1
	v_cndmask_b32_e64 v8, v1, v0, s[4:5]
; %bb.445:                              ;   in Loop: Header=BB179_50 Depth=1
	s_or_b64 exec, exec, s[22:23]
	v_lshlrev_b32_e32 v0, 16, v9
	v_mul_f32_e32 v0, v40, v0
	v_and_b32_e32 v1, 0x7f800000, v0
	v_cmp_ne_u32_e64 s[4:5], s15, v1
                                        ; implicit-def: $vgpr9
	s_and_saveexec_b64 s[22:23], s[4:5]
	s_xor_b64 s[4:5], exec, s[22:23]
; %bb.446:                              ;   in Loop: Header=BB179_50 Depth=1
	v_bfe_u32 v1, v0, 16, 1
	v_add3_u32 v9, v0, v1, s24
                                        ; implicit-def: $vgpr0
; %bb.447:                              ;   in Loop: Header=BB179_50 Depth=1
	s_andn2_saveexec_b64 s[22:23], s[4:5]
; %bb.448:                              ;   in Loop: Header=BB179_50 Depth=1
	v_or_b32_e32 v1, 0x10000, v0
	v_cmp_eq_u32_sdwa s[4:5], v0, v27 src0_sel:WORD_0 src1_sel:DWORD
	s_nop 1
	v_cndmask_b32_e64 v9, v1, v0, s[4:5]
; %bb.449:                              ;   in Loop: Header=BB179_50 Depth=1
	s_or_b64 exec, exec, s[22:23]
	v_lshlrev_b32_e32 v0, 16, v3
	v_mul_f32_e32 v0, v41, v0
	v_and_b32_e32 v1, 0x7f800000, v0
	v_cmp_ne_u32_e64 s[4:5], s15, v1
                                        ; implicit-def: $vgpr43
	s_and_saveexec_b64 s[22:23], s[4:5]
	s_xor_b64 s[4:5], exec, s[22:23]
; %bb.450:                              ;   in Loop: Header=BB179_50 Depth=1
	v_bfe_u32 v1, v0, 16, 1
	v_add3_u32 v43, v0, v1, s24
                                        ; implicit-def: $vgpr0
; %bb.451:                              ;   in Loop: Header=BB179_50 Depth=1
	s_andn2_saveexec_b64 s[22:23], s[4:5]
; %bb.452:                              ;   in Loop: Header=BB179_50 Depth=1
	v_or_b32_e32 v1, 0x10000, v0
	v_cmp_eq_u32_sdwa s[4:5], v0, v27 src0_sel:WORD_0 src1_sel:DWORD
	s_nop 1
	v_cndmask_b32_e64 v43, v1, v0, s[4:5]
; %bb.453:                              ;   in Loop: Header=BB179_50 Depth=1
	s_or_b64 exec, exec, s[22:23]
	v_lshlrev_b32_e32 v0, 16, v4
	v_mul_f32_e32 v0, v42, v0
	v_and_b32_e32 v1, 0x7f800000, v0
	v_cmp_ne_u32_e64 s[4:5], s15, v1
                                        ; implicit-def: $vgpr12
	s_and_saveexec_b64 s[22:23], s[4:5]
	s_xor_b64 s[4:5], exec, s[22:23]
; %bb.454:                              ;   in Loop: Header=BB179_50 Depth=1
	v_bfe_u32 v1, v0, 16, 1
	v_add3_u32 v12, v0, v1, s24
                                        ; implicit-def: $vgpr0
; %bb.455:                              ;   in Loop: Header=BB179_50 Depth=1
	s_andn2_saveexec_b64 s[22:23], s[4:5]
; %bb.456:                              ;   in Loop: Header=BB179_50 Depth=1
	v_or_b32_e32 v1, 0x10000, v0
	v_cmp_eq_u32_sdwa s[4:5], v0, v27 src0_sel:WORD_0 src1_sel:DWORD
	s_nop 1
	v_cndmask_b32_e64 v12, v1, v0, s[4:5]
; %bb.457:                              ;   in Loop: Header=BB179_50 Depth=1
	s_or_b64 exec, exec, s[22:23]
	scratch_load_dwordx2 v[0:1], off, s32 offset:348 ; 8-byte Folded Reload
	s_waitcnt vmcnt(0)
	v_mov_b32_e32 v1, v27
	v_mov_b32_e32 v2, v0
	v_lshl_add_u64 v[0:1], v[6:7], 0, v[0:1]
	scratch_store_dwordx2 off, v[2:3], s32 offset:348 ; 8-byte Folded Spill
	flat_load_dwordx4 v[0:3], v[0:1]
	s_waitcnt vmcnt(0) lgkmcnt(0)
	v_lshrrev_b32_e32 v16, 16, v0
	v_lshrrev_b32_e32 v11, 16, v1
	;; [unrolled: 1-line block ×4, first 2 shown]
	s_and_saveexec_b64 s[22:23], vcc
	s_cbranch_execz .LBB179_459
; %bb.458:                              ;   in Loop: Header=BB179_50 Depth=1
	v_cmp_lt_i32_e64 s[4:5], v5, v62
	v_accvgpr_read_b32 v13, a14
	s_nop 0
	v_cndmask_b32_e64 v0, 0, v0, s[4:5]
	v_cmp_lt_i32_e64 s[4:5], v13, v62
	v_accvgpr_read_b32 v13, a1
	s_nop 0
	v_cndmask_b32_e64 v16, 0, v16, s[4:5]
	;; [unrolled: 4-line block ×7, first 2 shown]
	v_cmp_lt_i32_e64 s[4:5], v13, v62
	s_nop 1
	v_cndmask_b32_e64 v4, 0, v4, s[4:5]
.LBB179_459:                            ;   in Loop: Header=BB179_50 Depth=1
	s_or_b64 exec, exec, s[22:23]
	v_lshlrev_b32_e32 v0, 16, v0
	v_mul_f32_e32 v0, v51, v0
	v_and_b32_e32 v13, 0x7f800000, v0
	v_cmp_ne_u32_e64 s[4:5], s15, v13
                                        ; implicit-def: $vgpr13
	s_and_saveexec_b64 s[22:23], s[4:5]
	s_xor_b64 s[4:5], exec, s[22:23]
; %bb.460:                              ;   in Loop: Header=BB179_50 Depth=1
	v_bfe_u32 v13, v0, 16, 1
	v_add3_u32 v13, v0, v13, s24
                                        ; implicit-def: $vgpr0
; %bb.461:                              ;   in Loop: Header=BB179_50 Depth=1
	s_andn2_saveexec_b64 s[22:23], s[4:5]
; %bb.462:                              ;   in Loop: Header=BB179_50 Depth=1
	v_or_b32_e32 v13, 0x10000, v0
	v_cmp_eq_u32_sdwa s[4:5], v0, v27 src0_sel:WORD_0 src1_sel:DWORD
	s_nop 1
	v_cndmask_b32_e64 v13, v13, v0, s[4:5]
; %bb.463:                              ;   in Loop: Header=BB179_50 Depth=1
	s_or_b64 exec, exec, s[22:23]
	v_lshlrev_b32_e32 v0, 16, v16
	v_mul_f32_e32 v0, v52, v0
	v_and_b32_e32 v16, 0x7f800000, v0
	v_cmp_ne_u32_e64 s[4:5], s15, v16
                                        ; implicit-def: $vgpr16
	s_and_saveexec_b64 s[22:23], s[4:5]
	s_xor_b64 s[4:5], exec, s[22:23]
; %bb.464:                              ;   in Loop: Header=BB179_50 Depth=1
	v_bfe_u32 v16, v0, 16, 1
	v_add3_u32 v16, v0, v16, s24
                                        ; implicit-def: $vgpr0
; %bb.465:                              ;   in Loop: Header=BB179_50 Depth=1
	s_andn2_saveexec_b64 s[22:23], s[4:5]
; %bb.466:                              ;   in Loop: Header=BB179_50 Depth=1
	v_or_b32_e32 v16, 0x10000, v0
	v_cmp_eq_u32_sdwa s[4:5], v0, v27 src0_sel:WORD_0 src1_sel:DWORD
	s_nop 1
	v_cndmask_b32_e64 v16, v16, v0, s[4:5]
; %bb.467:                              ;   in Loop: Header=BB179_50 Depth=1
	s_or_b64 exec, exec, s[22:23]
	v_lshlrev_b32_e32 v0, 16, v1
	v_mul_f32_e32 v0, v53, v0
	v_and_b32_e32 v1, 0x7f800000, v0
	v_cmp_ne_u32_e64 s[4:5], s15, v1
                                        ; implicit-def: $vgpr17
	s_and_saveexec_b64 s[22:23], s[4:5]
	s_xor_b64 s[4:5], exec, s[22:23]
; %bb.468:                              ;   in Loop: Header=BB179_50 Depth=1
	v_bfe_u32 v1, v0, 16, 1
	v_add3_u32 v17, v0, v1, s24
                                        ; implicit-def: $vgpr0
; %bb.469:                              ;   in Loop: Header=BB179_50 Depth=1
	s_andn2_saveexec_b64 s[22:23], s[4:5]
; %bb.470:                              ;   in Loop: Header=BB179_50 Depth=1
	v_or_b32_e32 v1, 0x10000, v0
	v_cmp_eq_u32_sdwa s[4:5], v0, v27 src0_sel:WORD_0 src1_sel:DWORD
	s_nop 1
	v_cndmask_b32_e64 v17, v1, v0, s[4:5]
; %bb.471:                              ;   in Loop: Header=BB179_50 Depth=1
	s_or_b64 exec, exec, s[22:23]
	v_lshlrev_b32_e32 v0, 16, v11
	v_mul_f32_e32 v0, v54, v0
	v_and_b32_e32 v1, 0x7f800000, v0
	v_cmp_ne_u32_e64 s[4:5], s15, v1
                                        ; implicit-def: $vgpr18
	s_and_saveexec_b64 s[22:23], s[4:5]
	s_xor_b64 s[4:5], exec, s[22:23]
; %bb.472:                              ;   in Loop: Header=BB179_50 Depth=1
	v_bfe_u32 v1, v0, 16, 1
	v_add3_u32 v18, v0, v1, s24
                                        ; implicit-def: $vgpr0
; %bb.473:                              ;   in Loop: Header=BB179_50 Depth=1
	s_andn2_saveexec_b64 s[22:23], s[4:5]
; %bb.474:                              ;   in Loop: Header=BB179_50 Depth=1
	v_or_b32_e32 v1, 0x10000, v0
	v_cmp_eq_u32_sdwa s[4:5], v0, v27 src0_sel:WORD_0 src1_sel:DWORD
	s_nop 1
	v_cndmask_b32_e64 v18, v1, v0, s[4:5]
; %bb.475:                              ;   in Loop: Header=BB179_50 Depth=1
	s_or_b64 exec, exec, s[22:23]
	v_lshlrev_b32_e32 v0, 16, v2
	v_mul_f32_e32 v0, v55, v0
	v_and_b32_e32 v1, 0x7f800000, v0
	v_cmp_ne_u32_e64 s[4:5], s15, v1
                                        ; implicit-def: $vgpr19
	s_and_saveexec_b64 s[22:23], s[4:5]
	s_xor_b64 s[4:5], exec, s[22:23]
; %bb.476:                              ;   in Loop: Header=BB179_50 Depth=1
	v_bfe_u32 v1, v0, 16, 1
	v_add3_u32 v19, v0, v1, s24
                                        ; implicit-def: $vgpr0
; %bb.477:                              ;   in Loop: Header=BB179_50 Depth=1
	s_andn2_saveexec_b64 s[22:23], s[4:5]
; %bb.478:                              ;   in Loop: Header=BB179_50 Depth=1
	v_or_b32_e32 v1, 0x10000, v0
	v_cmp_eq_u32_sdwa s[4:5], v0, v27 src0_sel:WORD_0 src1_sel:DWORD
	s_nop 1
	v_cndmask_b32_e64 v19, v1, v0, s[4:5]
; %bb.479:                              ;   in Loop: Header=BB179_50 Depth=1
	s_or_b64 exec, exec, s[22:23]
	v_lshlrev_b32_e32 v0, 16, v10
	v_mul_f32_e32 v0, v40, v0
	v_and_b32_e32 v1, 0x7f800000, v0
	v_cmp_ne_u32_e64 s[4:5], s15, v1
                                        ; implicit-def: $vgpr28
	s_and_saveexec_b64 s[22:23], s[4:5]
	s_xor_b64 s[4:5], exec, s[22:23]
; %bb.480:                              ;   in Loop: Header=BB179_50 Depth=1
	v_bfe_u32 v1, v0, 16, 1
	v_add3_u32 v28, v0, v1, s24
                                        ; implicit-def: $vgpr0
; %bb.481:                              ;   in Loop: Header=BB179_50 Depth=1
	s_andn2_saveexec_b64 s[22:23], s[4:5]
; %bb.482:                              ;   in Loop: Header=BB179_50 Depth=1
	v_or_b32_e32 v1, 0x10000, v0
	v_cmp_eq_u32_sdwa s[4:5], v0, v27 src0_sel:WORD_0 src1_sel:DWORD
	s_nop 1
	v_cndmask_b32_e64 v28, v1, v0, s[4:5]
; %bb.483:                              ;   in Loop: Header=BB179_50 Depth=1
	s_or_b64 exec, exec, s[22:23]
	v_lshlrev_b32_e32 v0, 16, v3
	v_mul_f32_e32 v0, v41, v0
	v_and_b32_e32 v1, 0x7f800000, v0
	v_cmp_ne_u32_e64 s[4:5], s15, v1
                                        ; implicit-def: $vgpr29
	s_and_saveexec_b64 s[22:23], s[4:5]
	s_xor_b64 s[4:5], exec, s[22:23]
; %bb.484:                              ;   in Loop: Header=BB179_50 Depth=1
	v_bfe_u32 v1, v0, 16, 1
	v_add3_u32 v29, v0, v1, s24
                                        ; implicit-def: $vgpr0
; %bb.485:                              ;   in Loop: Header=BB179_50 Depth=1
	s_andn2_saveexec_b64 s[22:23], s[4:5]
; %bb.486:                              ;   in Loop: Header=BB179_50 Depth=1
	v_or_b32_e32 v1, 0x10000, v0
	v_cmp_eq_u32_sdwa s[4:5], v0, v27 src0_sel:WORD_0 src1_sel:DWORD
	s_nop 1
	v_cndmask_b32_e64 v29, v1, v0, s[4:5]
; %bb.487:                              ;   in Loop: Header=BB179_50 Depth=1
	s_or_b64 exec, exec, s[22:23]
	v_lshlrev_b32_e32 v0, 16, v4
	v_mul_f32_e32 v0, v42, v0
	v_and_b32_e32 v1, 0x7f800000, v0
	v_cmp_ne_u32_e64 s[4:5], s15, v1
                                        ; implicit-def: $vgpr30
	s_and_saveexec_b64 s[22:23], s[4:5]
	s_xor_b64 s[4:5], exec, s[22:23]
; %bb.488:                              ;   in Loop: Header=BB179_50 Depth=1
	v_bfe_u32 v1, v0, 16, 1
	v_add3_u32 v30, v0, v1, s24
                                        ; implicit-def: $vgpr0
; %bb.489:                              ;   in Loop: Header=BB179_50 Depth=1
	s_andn2_saveexec_b64 s[22:23], s[4:5]
; %bb.490:                              ;   in Loop: Header=BB179_50 Depth=1
	v_or_b32_e32 v1, 0x10000, v0
	v_cmp_eq_u32_sdwa s[4:5], v0, v27 src0_sel:WORD_0 src1_sel:DWORD
	s_nop 1
	v_cndmask_b32_e64 v30, v1, v0, s[4:5]
; %bb.491:                              ;   in Loop: Header=BB179_50 Depth=1
	s_or_b64 exec, exec, s[22:23]
	scratch_load_dwordx2 v[0:1], off, s32 offset:356 ; 8-byte Folded Reload
	s_waitcnt vmcnt(0)
	v_mov_b32_e32 v1, v27
	v_mov_b32_e32 v2, v0
	v_lshl_add_u64 v[0:1], v[6:7], 0, v[0:1]
	scratch_store_dwordx2 off, v[2:3], s32 offset:356 ; 8-byte Folded Spill
	flat_load_dwordx4 v[0:3], v[0:1]
	s_waitcnt vmcnt(0) lgkmcnt(0)
	v_lshrrev_b32_e32 v20, 16, v0
	v_lshrrev_b32_e32 v11, 16, v1
	v_lshrrev_b32_e32 v10, 16, v2
	v_lshrrev_b32_e32 v4, 16, v3
	s_and_saveexec_b64 s[22:23], vcc
	s_cbranch_execz .LBB179_493
; %bb.492:                              ;   in Loop: Header=BB179_50 Depth=1
	v_cmp_lt_i32_e64 s[4:5], v5, v62
	v_accvgpr_read_b32 v21, a14
	s_nop 0
	v_cndmask_b32_e64 v0, 0, v0, s[4:5]
	v_cmp_lt_i32_e64 s[4:5], v21, v62
	v_accvgpr_read_b32 v21, a1
	s_nop 0
	v_cndmask_b32_e64 v20, 0, v20, s[4:5]
	;; [unrolled: 4-line block ×7, first 2 shown]
	v_cmp_lt_i32_e64 s[4:5], v21, v62
	s_nop 1
	v_cndmask_b32_e64 v4, 0, v4, s[4:5]
.LBB179_493:                            ;   in Loop: Header=BB179_50 Depth=1
	s_or_b64 exec, exec, s[22:23]
	v_lshlrev_b32_e32 v0, 16, v0
	v_mul_f32_e32 v0, v51, v0
	v_and_b32_e32 v21, 0x7f800000, v0
	v_cmp_ne_u32_e64 s[4:5], s15, v21
                                        ; implicit-def: $vgpr31
	s_and_saveexec_b64 s[22:23], s[4:5]
	s_xor_b64 s[4:5], exec, s[22:23]
; %bb.494:                              ;   in Loop: Header=BB179_50 Depth=1
	v_bfe_u32 v21, v0, 16, 1
	v_add3_u32 v31, v0, v21, s24
                                        ; implicit-def: $vgpr0
; %bb.495:                              ;   in Loop: Header=BB179_50 Depth=1
	s_andn2_saveexec_b64 s[22:23], s[4:5]
; %bb.496:                              ;   in Loop: Header=BB179_50 Depth=1
	v_or_b32_e32 v21, 0x10000, v0
	v_cmp_eq_u32_sdwa s[4:5], v0, v27 src0_sel:WORD_0 src1_sel:DWORD
	s_nop 1
	v_cndmask_b32_e64 v31, v21, v0, s[4:5]
; %bb.497:                              ;   in Loop: Header=BB179_50 Depth=1
	s_or_b64 exec, exec, s[22:23]
	v_lshlrev_b32_e32 v0, 16, v20
	v_mul_f32_e32 v0, v52, v0
	v_and_b32_e32 v20, 0x7f800000, v0
	v_cmp_ne_u32_e64 s[4:5], s15, v20
                                        ; implicit-def: $vgpr32
	s_and_saveexec_b64 s[22:23], s[4:5]
	s_xor_b64 s[4:5], exec, s[22:23]
; %bb.498:                              ;   in Loop: Header=BB179_50 Depth=1
	v_bfe_u32 v20, v0, 16, 1
	v_add3_u32 v32, v0, v20, s24
                                        ; implicit-def: $vgpr0
; %bb.499:                              ;   in Loop: Header=BB179_50 Depth=1
	s_andn2_saveexec_b64 s[22:23], s[4:5]
; %bb.500:                              ;   in Loop: Header=BB179_50 Depth=1
	v_or_b32_e32 v20, 0x10000, v0
	v_cmp_eq_u32_sdwa s[4:5], v0, v27 src0_sel:WORD_0 src1_sel:DWORD
	s_nop 1
	v_cndmask_b32_e64 v32, v20, v0, s[4:5]
; %bb.501:                              ;   in Loop: Header=BB179_50 Depth=1
	s_or_b64 exec, exec, s[22:23]
	v_lshlrev_b32_e32 v0, 16, v1
	v_mul_f32_e32 v0, v53, v0
	v_and_b32_e32 v1, 0x7f800000, v0
	v_cmp_ne_u32_e64 s[4:5], s15, v1
                                        ; implicit-def: $vgpr33
	s_and_saveexec_b64 s[22:23], s[4:5]
	s_xor_b64 s[4:5], exec, s[22:23]
; %bb.502:                              ;   in Loop: Header=BB179_50 Depth=1
	v_bfe_u32 v1, v0, 16, 1
	v_add3_u32 v33, v0, v1, s24
                                        ; implicit-def: $vgpr0
; %bb.503:                              ;   in Loop: Header=BB179_50 Depth=1
	s_andn2_saveexec_b64 s[22:23], s[4:5]
; %bb.504:                              ;   in Loop: Header=BB179_50 Depth=1
	v_or_b32_e32 v1, 0x10000, v0
	v_cmp_eq_u32_sdwa s[4:5], v0, v27 src0_sel:WORD_0 src1_sel:DWORD
	s_nop 1
	v_cndmask_b32_e64 v33, v1, v0, s[4:5]
; %bb.505:                              ;   in Loop: Header=BB179_50 Depth=1
	s_or_b64 exec, exec, s[22:23]
	v_lshlrev_b32_e32 v0, 16, v11
	v_mul_f32_e32 v0, v54, v0
	v_and_b32_e32 v1, 0x7f800000, v0
	v_cmp_ne_u32_e64 s[4:5], s15, v1
                                        ; implicit-def: $vgpr34
	s_and_saveexec_b64 s[22:23], s[4:5]
	s_xor_b64 s[4:5], exec, s[22:23]
; %bb.506:                              ;   in Loop: Header=BB179_50 Depth=1
	v_bfe_u32 v1, v0, 16, 1
	v_add3_u32 v34, v0, v1, s24
                                        ; implicit-def: $vgpr0
; %bb.507:                              ;   in Loop: Header=BB179_50 Depth=1
	s_andn2_saveexec_b64 s[22:23], s[4:5]
; %bb.508:                              ;   in Loop: Header=BB179_50 Depth=1
	v_or_b32_e32 v1, 0x10000, v0
	v_cmp_eq_u32_sdwa s[4:5], v0, v27 src0_sel:WORD_0 src1_sel:DWORD
	s_nop 1
	v_cndmask_b32_e64 v34, v1, v0, s[4:5]
; %bb.509:                              ;   in Loop: Header=BB179_50 Depth=1
	s_or_b64 exec, exec, s[22:23]
	v_lshlrev_b32_e32 v0, 16, v2
	v_mul_f32_e32 v0, v55, v0
	v_and_b32_e32 v1, 0x7f800000, v0
	v_cmp_ne_u32_e64 s[4:5], s15, v1
                                        ; implicit-def: $vgpr35
	s_and_saveexec_b64 s[22:23], s[4:5]
	s_xor_b64 s[4:5], exec, s[22:23]
; %bb.510:                              ;   in Loop: Header=BB179_50 Depth=1
	v_bfe_u32 v1, v0, 16, 1
	v_add3_u32 v35, v0, v1, s24
                                        ; implicit-def: $vgpr0
; %bb.511:                              ;   in Loop: Header=BB179_50 Depth=1
	s_andn2_saveexec_b64 s[22:23], s[4:5]
; %bb.512:                              ;   in Loop: Header=BB179_50 Depth=1
	v_or_b32_e32 v1, 0x10000, v0
	v_cmp_eq_u32_sdwa s[4:5], v0, v27 src0_sel:WORD_0 src1_sel:DWORD
	s_nop 1
	v_cndmask_b32_e64 v35, v1, v0, s[4:5]
; %bb.513:                              ;   in Loop: Header=BB179_50 Depth=1
	s_or_b64 exec, exec, s[22:23]
	v_lshlrev_b32_e32 v0, 16, v10
	v_mul_f32_e32 v0, v40, v0
	v_and_b32_e32 v1, 0x7f800000, v0
	v_cmp_ne_u32_e64 s[4:5], s15, v1
                                        ; implicit-def: $vgpr36
	s_and_saveexec_b64 s[22:23], s[4:5]
	s_xor_b64 s[4:5], exec, s[22:23]
; %bb.514:                              ;   in Loop: Header=BB179_50 Depth=1
	v_bfe_u32 v1, v0, 16, 1
	v_add3_u32 v36, v0, v1, s24
                                        ; implicit-def: $vgpr0
; %bb.515:                              ;   in Loop: Header=BB179_50 Depth=1
	s_andn2_saveexec_b64 s[22:23], s[4:5]
; %bb.516:                              ;   in Loop: Header=BB179_50 Depth=1
	v_or_b32_e32 v1, 0x10000, v0
	v_cmp_eq_u32_sdwa s[4:5], v0, v27 src0_sel:WORD_0 src1_sel:DWORD
	s_nop 1
	v_cndmask_b32_e64 v36, v1, v0, s[4:5]
; %bb.517:                              ;   in Loop: Header=BB179_50 Depth=1
	s_or_b64 exec, exec, s[22:23]
	v_lshlrev_b32_e32 v0, 16, v3
	v_mul_f32_e32 v0, v41, v0
	v_and_b32_e32 v1, 0x7f800000, v0
	v_cmp_ne_u32_e64 s[4:5], s15, v1
                                        ; implicit-def: $vgpr37
	s_and_saveexec_b64 s[22:23], s[4:5]
	s_xor_b64 s[4:5], exec, s[22:23]
; %bb.518:                              ;   in Loop: Header=BB179_50 Depth=1
	v_bfe_u32 v1, v0, 16, 1
	v_add3_u32 v37, v0, v1, s24
                                        ; implicit-def: $vgpr0
; %bb.519:                              ;   in Loop: Header=BB179_50 Depth=1
	s_andn2_saveexec_b64 s[22:23], s[4:5]
; %bb.520:                              ;   in Loop: Header=BB179_50 Depth=1
	v_or_b32_e32 v1, 0x10000, v0
	v_cmp_eq_u32_sdwa s[4:5], v0, v27 src0_sel:WORD_0 src1_sel:DWORD
	s_nop 1
	v_cndmask_b32_e64 v37, v1, v0, s[4:5]
; %bb.521:                              ;   in Loop: Header=BB179_50 Depth=1
	s_or_b64 exec, exec, s[22:23]
	v_lshlrev_b32_e32 v0, 16, v4
	v_mul_f32_e32 v0, v42, v0
	v_and_b32_e32 v1, 0x7f800000, v0
	v_cmp_ne_u32_e64 s[4:5], s15, v1
                                        ; implicit-def: $vgpr23
	s_and_saveexec_b64 s[22:23], s[4:5]
	s_xor_b64 s[4:5], exec, s[22:23]
; %bb.522:                              ;   in Loop: Header=BB179_50 Depth=1
	v_bfe_u32 v1, v0, 16, 1
	v_add3_u32 v23, v0, v1, s24
                                        ; implicit-def: $vgpr0
; %bb.523:                              ;   in Loop: Header=BB179_50 Depth=1
	s_andn2_saveexec_b64 s[22:23], s[4:5]
; %bb.524:                              ;   in Loop: Header=BB179_50 Depth=1
	v_or_b32_e32 v1, 0x10000, v0
	v_cmp_eq_u32_sdwa s[4:5], v0, v27 src0_sel:WORD_0 src1_sel:DWORD
	s_nop 1
	v_cndmask_b32_e64 v23, v1, v0, s[4:5]
; %bb.525:                              ;   in Loop: Header=BB179_50 Depth=1
	s_or_b64 exec, exec, s[22:23]
	scratch_load_dwordx2 v[0:1], off, s32 offset:364 ; 8-byte Folded Reload
	s_waitcnt vmcnt(0)
	v_mov_b32_e32 v1, v27
	v_mov_b32_e32 v2, v0
	v_lshl_add_u64 v[0:1], v[6:7], 0, v[0:1]
	scratch_store_dwordx2 off, v[2:3], s32 offset:364 ; 8-byte Folded Spill
	flat_load_dwordx4 v[0:3], v[0:1]
	s_waitcnt vmcnt(0) lgkmcnt(0)
	v_lshrrev_b32_e32 v20, 16, v0
	v_lshrrev_b32_e32 v11, 16, v1
	;; [unrolled: 1-line block ×4, first 2 shown]
	s_and_saveexec_b64 s[22:23], vcc
	s_cbranch_execz .LBB179_527
; %bb.526:                              ;   in Loop: Header=BB179_50 Depth=1
	v_cmp_lt_i32_e64 s[4:5], v5, v62
	v_accvgpr_read_b32 v21, a14
	s_nop 0
	v_cndmask_b32_e64 v0, 0, v0, s[4:5]
	v_cmp_lt_i32_e64 s[4:5], v21, v62
	v_accvgpr_read_b32 v21, a1
	s_nop 0
	v_cndmask_b32_e64 v20, 0, v20, s[4:5]
	;; [unrolled: 4-line block ×7, first 2 shown]
	v_cmp_lt_i32_e64 s[4:5], v21, v62
	s_nop 1
	v_cndmask_b32_e64 v10, 0, v10, s[4:5]
.LBB179_527:                            ;   in Loop: Header=BB179_50 Depth=1
	s_or_b64 exec, exec, s[22:23]
	v_lshlrev_b32_e32 v0, 16, v0
	v_mul_f32_e32 v0, v51, v0
	v_and_b32_e32 v21, 0x7f800000, v0
	v_cmp_ne_u32_e64 s[4:5], s15, v21
                                        ; implicit-def: $vgpr44
	s_and_saveexec_b64 s[22:23], s[4:5]
	s_xor_b64 s[4:5], exec, s[22:23]
; %bb.528:                              ;   in Loop: Header=BB179_50 Depth=1
	v_bfe_u32 v21, v0, 16, 1
	v_add3_u32 v44, v0, v21, s24
                                        ; implicit-def: $vgpr0
; %bb.529:                              ;   in Loop: Header=BB179_50 Depth=1
	s_andn2_saveexec_b64 s[22:23], s[4:5]
; %bb.530:                              ;   in Loop: Header=BB179_50 Depth=1
	v_or_b32_e32 v21, 0x10000, v0
	v_cmp_eq_u32_sdwa s[4:5], v0, v27 src0_sel:WORD_0 src1_sel:DWORD
	s_nop 1
	v_cndmask_b32_e64 v44, v21, v0, s[4:5]
; %bb.531:                              ;   in Loop: Header=BB179_50 Depth=1
	s_or_b64 exec, exec, s[22:23]
	v_lshlrev_b32_e32 v0, 16, v20
	v_mul_f32_e32 v0, v52, v0
	v_and_b32_e32 v20, 0x7f800000, v0
	v_cmp_ne_u32_e64 s[4:5], s15, v20
                                        ; implicit-def: $vgpr45
	s_and_saveexec_b64 s[22:23], s[4:5]
	s_xor_b64 s[4:5], exec, s[22:23]
; %bb.532:                              ;   in Loop: Header=BB179_50 Depth=1
	v_bfe_u32 v20, v0, 16, 1
	v_add3_u32 v45, v0, v20, s24
                                        ; implicit-def: $vgpr0
; %bb.533:                              ;   in Loop: Header=BB179_50 Depth=1
	s_andn2_saveexec_b64 s[22:23], s[4:5]
; %bb.534:                              ;   in Loop: Header=BB179_50 Depth=1
	v_or_b32_e32 v20, 0x10000, v0
	v_cmp_eq_u32_sdwa s[4:5], v0, v27 src0_sel:WORD_0 src1_sel:DWORD
	s_nop 1
	v_cndmask_b32_e64 v45, v20, v0, s[4:5]
; %bb.535:                              ;   in Loop: Header=BB179_50 Depth=1
	s_or_b64 exec, exec, s[22:23]
	v_lshlrev_b32_e32 v0, 16, v1
	v_mul_f32_e32 v0, v53, v0
	v_and_b32_e32 v1, 0x7f800000, v0
	v_cmp_ne_u32_e64 s[4:5], s15, v1
                                        ; implicit-def: $vgpr46
	s_and_saveexec_b64 s[22:23], s[4:5]
	s_xor_b64 s[4:5], exec, s[22:23]
; %bb.536:                              ;   in Loop: Header=BB179_50 Depth=1
	v_bfe_u32 v1, v0, 16, 1
	v_add3_u32 v46, v0, v1, s24
                                        ; implicit-def: $vgpr0
; %bb.537:                              ;   in Loop: Header=BB179_50 Depth=1
	s_andn2_saveexec_b64 s[22:23], s[4:5]
; %bb.538:                              ;   in Loop: Header=BB179_50 Depth=1
	v_or_b32_e32 v1, 0x10000, v0
	v_cmp_eq_u32_sdwa s[4:5], v0, v27 src0_sel:WORD_0 src1_sel:DWORD
	s_nop 1
	v_cndmask_b32_e64 v46, v1, v0, s[4:5]
; %bb.539:                              ;   in Loop: Header=BB179_50 Depth=1
	s_or_b64 exec, exec, s[22:23]
	v_lshlrev_b32_e32 v0, 16, v11
	v_mul_f32_e32 v0, v54, v0
	v_and_b32_e32 v1, 0x7f800000, v0
	v_cmp_ne_u32_e64 s[4:5], s15, v1
                                        ; implicit-def: $vgpr47
	s_and_saveexec_b64 s[22:23], s[4:5]
	s_xor_b64 s[4:5], exec, s[22:23]
; %bb.540:                              ;   in Loop: Header=BB179_50 Depth=1
	v_bfe_u32 v1, v0, 16, 1
	v_add3_u32 v47, v0, v1, s24
                                        ; implicit-def: $vgpr0
; %bb.541:                              ;   in Loop: Header=BB179_50 Depth=1
	s_andn2_saveexec_b64 s[22:23], s[4:5]
; %bb.542:                              ;   in Loop: Header=BB179_50 Depth=1
	v_or_b32_e32 v1, 0x10000, v0
	v_cmp_eq_u32_sdwa s[4:5], v0, v27 src0_sel:WORD_0 src1_sel:DWORD
	s_nop 1
	v_cndmask_b32_e64 v47, v1, v0, s[4:5]
; %bb.543:                              ;   in Loop: Header=BB179_50 Depth=1
	s_or_b64 exec, exec, s[22:23]
	v_lshlrev_b32_e32 v0, 16, v2
	v_mul_f32_e32 v0, v55, v0
	v_and_b32_e32 v1, 0x7f800000, v0
	v_cmp_ne_u32_e64 s[4:5], s15, v1
                                        ; implicit-def: $vgpr56
	s_and_saveexec_b64 s[22:23], s[4:5]
	s_xor_b64 s[4:5], exec, s[22:23]
; %bb.544:                              ;   in Loop: Header=BB179_50 Depth=1
	v_bfe_u32 v1, v0, 16, 1
	v_add3_u32 v56, v0, v1, s24
                                        ; implicit-def: $vgpr0
; %bb.545:                              ;   in Loop: Header=BB179_50 Depth=1
	s_andn2_saveexec_b64 s[22:23], s[4:5]
; %bb.546:                              ;   in Loop: Header=BB179_50 Depth=1
	v_or_b32_e32 v1, 0x10000, v0
	v_cmp_eq_u32_sdwa s[4:5], v0, v27 src0_sel:WORD_0 src1_sel:DWORD
	s_nop 1
	v_cndmask_b32_e64 v56, v1, v0, s[4:5]
; %bb.547:                              ;   in Loop: Header=BB179_50 Depth=1
	s_or_b64 exec, exec, s[22:23]
	v_lshlrev_b32_e32 v0, 16, v4
	v_mul_f32_e32 v0, v40, v0
	v_and_b32_e32 v1, 0x7f800000, v0
	v_cmp_ne_u32_e64 s[4:5], s15, v1
                                        ; implicit-def: $vgpr4
	s_and_saveexec_b64 s[22:23], s[4:5]
	s_xor_b64 s[4:5], exec, s[22:23]
; %bb.548:                              ;   in Loop: Header=BB179_50 Depth=1
	v_bfe_u32 v1, v0, 16, 1
	v_add3_u32 v4, v0, v1, s24
                                        ; implicit-def: $vgpr0
; %bb.549:                              ;   in Loop: Header=BB179_50 Depth=1
	s_andn2_saveexec_b64 s[22:23], s[4:5]
; %bb.550:                              ;   in Loop: Header=BB179_50 Depth=1
	v_or_b32_e32 v1, 0x10000, v0
	v_cmp_eq_u32_sdwa s[4:5], v0, v27 src0_sel:WORD_0 src1_sel:DWORD
	s_nop 1
	v_cndmask_b32_e64 v4, v1, v0, s[4:5]
; %bb.551:                              ;   in Loop: Header=BB179_50 Depth=1
	s_or_b64 exec, exec, s[22:23]
	v_lshlrev_b32_e32 v0, 16, v3
	v_mul_f32_e32 v0, v41, v0
	v_and_b32_e32 v1, 0x7f800000, v0
	v_cmp_ne_u32_e64 s[4:5], s15, v1
                                        ; implicit-def: $vgpr20
	s_and_saveexec_b64 s[22:23], s[4:5]
	s_xor_b64 s[4:5], exec, s[22:23]
; %bb.552:                              ;   in Loop: Header=BB179_50 Depth=1
	v_bfe_u32 v1, v0, 16, 1
	v_add3_u32 v20, v0, v1, s24
                                        ; implicit-def: $vgpr0
; %bb.553:                              ;   in Loop: Header=BB179_50 Depth=1
	s_andn2_saveexec_b64 s[22:23], s[4:5]
; %bb.554:                              ;   in Loop: Header=BB179_50 Depth=1
	v_or_b32_e32 v1, 0x10000, v0
	v_cmp_eq_u32_sdwa s[4:5], v0, v27 src0_sel:WORD_0 src1_sel:DWORD
	s_nop 1
	v_cndmask_b32_e64 v20, v1, v0, s[4:5]
; %bb.555:                              ;   in Loop: Header=BB179_50 Depth=1
	s_or_b64 exec, exec, s[22:23]
	v_lshlrev_b32_e32 v0, 16, v10
	v_mul_f32_e32 v0, v42, v0
	v_and_b32_e32 v1, 0x7f800000, v0
	v_cmp_ne_u32_e64 s[4:5], s15, v1
                                        ; implicit-def: $vgpr21
	s_and_saveexec_b64 s[22:23], s[4:5]
	s_xor_b64 s[4:5], exec, s[22:23]
; %bb.556:                              ;   in Loop: Header=BB179_50 Depth=1
	v_bfe_u32 v1, v0, 16, 1
	v_add3_u32 v21, v0, v1, s24
                                        ; implicit-def: $vgpr0
; %bb.557:                              ;   in Loop: Header=BB179_50 Depth=1
	s_andn2_saveexec_b64 s[22:23], s[4:5]
; %bb.558:                              ;   in Loop: Header=BB179_50 Depth=1
	v_or_b32_e32 v1, 0x10000, v0
	v_cmp_eq_u32_sdwa s[4:5], v0, v27 src0_sel:WORD_0 src1_sel:DWORD
	s_nop 1
	v_cndmask_b32_e64 v21, v1, v0, s[4:5]
; %bb.559:                              ;   in Loop: Header=BB179_50 Depth=1
	s_or_b64 exec, exec, s[22:23]
	scratch_load_dwordx2 v[0:1], off, s32 offset:372 ; 8-byte Folded Reload
	s_waitcnt vmcnt(0)
	v_mov_b32_e32 v1, v27
	v_mov_b32_e32 v2, v0
	v_lshl_add_u64 v[0:1], v[6:7], 0, v[0:1]
	scratch_store_dwordx2 off, v[2:3], s32 offset:372 ; 8-byte Folded Spill
	flat_load_dwordx4 v[0:3], v[0:1]
	s_waitcnt vmcnt(0) lgkmcnt(0)
	v_lshrrev_b32_e32 v22, 16, v0
	v_lshrrev_b32_e32 v49, 16, v1
	;; [unrolled: 1-line block ×4, first 2 shown]
	s_and_saveexec_b64 s[22:23], vcc
	s_cbranch_execz .LBB179_561
; %bb.560:                              ;   in Loop: Header=BB179_50 Depth=1
	v_cmp_lt_i32_e64 s[4:5], v5, v62
	v_accvgpr_read_b32 v10, a14
	s_nop 0
	v_cndmask_b32_e64 v0, 0, v0, s[4:5]
	v_cmp_lt_i32_e64 s[4:5], v10, v62
	v_accvgpr_read_b32 v10, a1
	s_nop 0
	v_cndmask_b32_e64 v22, 0, v22, s[4:5]
	;; [unrolled: 4-line block ×7, first 2 shown]
	v_cmp_lt_i32_e64 s[4:5], v10, v62
	s_nop 1
	v_cndmask_b32_e64 v24, 0, v24, s[4:5]
.LBB179_561:                            ;   in Loop: Header=BB179_50 Depth=1
	s_or_b64 exec, exec, s[22:23]
	v_lshlrev_b32_e32 v0, 16, v0
	v_mul_f32_e32 v0, v51, v0
	v_and_b32_e32 v10, 0x7f800000, v0
	v_cmp_ne_u32_e64 s[4:5], s15, v10
                                        ; implicit-def: $vgpr10
	s_and_saveexec_b64 s[22:23], s[4:5]
	s_xor_b64 s[4:5], exec, s[22:23]
; %bb.562:                              ;   in Loop: Header=BB179_50 Depth=1
	v_bfe_u32 v10, v0, 16, 1
	v_add3_u32 v10, v0, v10, s24
                                        ; implicit-def: $vgpr0
; %bb.563:                              ;   in Loop: Header=BB179_50 Depth=1
	s_andn2_saveexec_b64 s[22:23], s[4:5]
; %bb.564:                              ;   in Loop: Header=BB179_50 Depth=1
	v_or_b32_e32 v10, 0x10000, v0
	v_cmp_eq_u32_sdwa s[4:5], v0, v27 src0_sel:WORD_0 src1_sel:DWORD
	s_nop 1
	v_cndmask_b32_e64 v10, v10, v0, s[4:5]
; %bb.565:                              ;   in Loop: Header=BB179_50 Depth=1
	s_or_b64 exec, exec, s[22:23]
	v_lshlrev_b32_e32 v0, 16, v22
	v_mul_f32_e32 v0, v52, v0
	v_and_b32_e32 v22, 0x7f800000, v0
	v_cmp_ne_u32_e64 s[4:5], s15, v22
                                        ; implicit-def: $vgpr22
	s_and_saveexec_b64 s[22:23], s[4:5]
	s_xor_b64 s[4:5], exec, s[22:23]
; %bb.566:                              ;   in Loop: Header=BB179_50 Depth=1
	v_bfe_u32 v22, v0, 16, 1
	v_add3_u32 v22, v0, v22, s24
                                        ; implicit-def: $vgpr0
; %bb.567:                              ;   in Loop: Header=BB179_50 Depth=1
	s_andn2_saveexec_b64 s[22:23], s[4:5]
; %bb.568:                              ;   in Loop: Header=BB179_50 Depth=1
	v_or_b32_e32 v22, 0x10000, v0
	v_cmp_eq_u32_sdwa s[4:5], v0, v27 src0_sel:WORD_0 src1_sel:DWORD
	s_nop 1
	v_cndmask_b32_e64 v22, v22, v0, s[4:5]
; %bb.569:                              ;   in Loop: Header=BB179_50 Depth=1
	s_or_b64 exec, exec, s[22:23]
	v_lshlrev_b32_e32 v0, 16, v1
	v_mul_f32_e32 v0, v53, v0
	v_and_b32_e32 v1, 0x7f800000, v0
	v_cmp_ne_u32_e64 s[4:5], s15, v1
                                        ; implicit-def: $vgpr48
	s_and_saveexec_b64 s[22:23], s[4:5]
	s_xor_b64 s[4:5], exec, s[22:23]
; %bb.570:                              ;   in Loop: Header=BB179_50 Depth=1
	v_bfe_u32 v1, v0, 16, 1
	v_add3_u32 v48, v0, v1, s24
                                        ; implicit-def: $vgpr0
; %bb.571:                              ;   in Loop: Header=BB179_50 Depth=1
	s_andn2_saveexec_b64 s[22:23], s[4:5]
; %bb.572:                              ;   in Loop: Header=BB179_50 Depth=1
	v_or_b32_e32 v1, 0x10000, v0
	v_cmp_eq_u32_sdwa s[4:5], v0, v27 src0_sel:WORD_0 src1_sel:DWORD
	s_nop 1
	v_cndmask_b32_e64 v48, v1, v0, s[4:5]
; %bb.573:                              ;   in Loop: Header=BB179_50 Depth=1
	s_or_b64 exec, exec, s[22:23]
	v_lshlrev_b32_e32 v0, 16, v49
	v_mul_f32_e32 v0, v54, v0
	v_and_b32_e32 v1, 0x7f800000, v0
	v_cmp_ne_u32_e64 s[4:5], s15, v1
                                        ; implicit-def: $vgpr49
	s_and_saveexec_b64 s[22:23], s[4:5]
	s_xor_b64 s[4:5], exec, s[22:23]
; %bb.574:                              ;   in Loop: Header=BB179_50 Depth=1
	v_bfe_u32 v1, v0, 16, 1
	v_add3_u32 v49, v0, v1, s24
                                        ; implicit-def: $vgpr0
; %bb.575:                              ;   in Loop: Header=BB179_50 Depth=1
	s_andn2_saveexec_b64 s[22:23], s[4:5]
; %bb.576:                              ;   in Loop: Header=BB179_50 Depth=1
	v_or_b32_e32 v1, 0x10000, v0
	v_cmp_eq_u32_sdwa s[4:5], v0, v27 src0_sel:WORD_0 src1_sel:DWORD
	s_nop 1
	v_cndmask_b32_e64 v49, v1, v0, s[4:5]
; %bb.577:                              ;   in Loop: Header=BB179_50 Depth=1
	s_or_b64 exec, exec, s[22:23]
	v_lshlrev_b32_e32 v0, 16, v2
	v_mul_f32_e32 v0, v55, v0
	v_and_b32_e32 v1, 0x7f800000, v0
	v_cmp_ne_u32_e64 s[4:5], s15, v1
                                        ; implicit-def: $vgpr50
	s_and_saveexec_b64 s[22:23], s[4:5]
	s_xor_b64 s[4:5], exec, s[22:23]
; %bb.578:                              ;   in Loop: Header=BB179_50 Depth=1
	v_bfe_u32 v1, v0, 16, 1
	v_add3_u32 v50, v0, v1, s24
                                        ; implicit-def: $vgpr0
; %bb.579:                              ;   in Loop: Header=BB179_50 Depth=1
	s_andn2_saveexec_b64 s[22:23], s[4:5]
; %bb.580:                              ;   in Loop: Header=BB179_50 Depth=1
	v_or_b32_e32 v1, 0x10000, v0
	v_cmp_eq_u32_sdwa s[4:5], v0, v27 src0_sel:WORD_0 src1_sel:DWORD
	s_nop 1
	v_cndmask_b32_e64 v50, v1, v0, s[4:5]
; %bb.581:                              ;   in Loop: Header=BB179_50 Depth=1
	s_or_b64 exec, exec, s[22:23]
	v_lshlrev_b32_e32 v0, 16, v11
	v_mul_f32_e32 v0, v40, v0
	v_and_b32_e32 v1, 0x7f800000, v0
	v_cmp_ne_u32_e64 s[4:5], s15, v1
                                        ; implicit-def: $vgpr57
	s_and_saveexec_b64 s[22:23], s[4:5]
	s_xor_b64 s[4:5], exec, s[22:23]
; %bb.582:                              ;   in Loop: Header=BB179_50 Depth=1
	v_bfe_u32 v1, v0, 16, 1
	v_add3_u32 v57, v0, v1, s24
                                        ; implicit-def: $vgpr0
; %bb.583:                              ;   in Loop: Header=BB179_50 Depth=1
	s_andn2_saveexec_b64 s[22:23], s[4:5]
; %bb.584:                              ;   in Loop: Header=BB179_50 Depth=1
	v_or_b32_e32 v1, 0x10000, v0
	v_cmp_eq_u32_sdwa s[4:5], v0, v27 src0_sel:WORD_0 src1_sel:DWORD
	s_nop 1
	v_cndmask_b32_e64 v57, v1, v0, s[4:5]
; %bb.585:                              ;   in Loop: Header=BB179_50 Depth=1
	s_or_b64 exec, exec, s[22:23]
	v_lshlrev_b32_e32 v0, 16, v3
	v_mul_f32_e32 v0, v41, v0
	v_and_b32_e32 v1, 0x7f800000, v0
	v_cmp_ne_u32_e64 s[4:5], s15, v1
                                        ; implicit-def: $vgpr58
	s_and_saveexec_b64 s[22:23], s[4:5]
	s_xor_b64 s[4:5], exec, s[22:23]
; %bb.586:                              ;   in Loop: Header=BB179_50 Depth=1
	v_bfe_u32 v1, v0, 16, 1
	v_add3_u32 v58, v0, v1, s24
                                        ; implicit-def: $vgpr0
; %bb.587:                              ;   in Loop: Header=BB179_50 Depth=1
	s_andn2_saveexec_b64 s[22:23], s[4:5]
; %bb.588:                              ;   in Loop: Header=BB179_50 Depth=1
	v_or_b32_e32 v1, 0x10000, v0
	v_cmp_eq_u32_sdwa s[4:5], v0, v27 src0_sel:WORD_0 src1_sel:DWORD
	s_nop 1
	v_cndmask_b32_e64 v58, v1, v0, s[4:5]
; %bb.589:                              ;   in Loop: Header=BB179_50 Depth=1
	s_or_b64 exec, exec, s[22:23]
	v_lshlrev_b32_e32 v0, 16, v24
	v_mul_f32_e32 v0, v42, v0
	v_and_b32_e32 v1, 0x7f800000, v0
	v_cmp_ne_u32_e64 s[4:5], s15, v1
                                        ; implicit-def: $vgpr59
	s_and_saveexec_b64 s[22:23], s[4:5]
	s_xor_b64 s[4:5], exec, s[22:23]
; %bb.590:                              ;   in Loop: Header=BB179_50 Depth=1
	v_bfe_u32 v1, v0, 16, 1
	v_add3_u32 v59, v0, v1, s24
                                        ; implicit-def: $vgpr0
; %bb.591:                              ;   in Loop: Header=BB179_50 Depth=1
	s_andn2_saveexec_b64 s[22:23], s[4:5]
; %bb.592:                              ;   in Loop: Header=BB179_50 Depth=1
	v_or_b32_e32 v1, 0x10000, v0
	v_cmp_eq_u32_sdwa s[4:5], v0, v27 src0_sel:WORD_0 src1_sel:DWORD
	s_nop 1
	v_cndmask_b32_e64 v59, v1, v0, s[4:5]
; %bb.593:                              ;   in Loop: Header=BB179_50 Depth=1
	s_or_b64 exec, exec, s[22:23]
	scratch_load_dwordx2 v[0:1], off, s32 offset:380 ; 8-byte Folded Reload
	s_waitcnt vmcnt(0)
	v_mov_b32_e32 v1, v27
	v_mov_b32_e32 v2, v0
	v_lshl_add_u64 v[0:1], v[6:7], 0, v[0:1]
	scratch_store_dwordx2 off, v[2:3], s32 offset:380 ; 8-byte Folded Spill
	flat_load_dwordx4 v[0:3], v[0:1]
	s_waitcnt vmcnt(0) lgkmcnt(0)
	v_lshrrev_b32_e32 v11, 16, v0
	v_lshrrev_b32_e32 v6, 16, v1
	;; [unrolled: 1-line block ×4, first 2 shown]
	s_and_saveexec_b64 s[4:5], vcc
	s_cbranch_execz .LBB179_595
; %bb.594:                              ;   in Loop: Header=BB179_50 Depth=1
	v_cmp_lt_i32_e32 vcc, v5, v62
	v_accvgpr_read_b32 v5, a14
	s_nop 0
	v_cndmask_b32_e32 v0, 0, v0, vcc
	v_cmp_lt_i32_e32 vcc, v5, v62
	v_accvgpr_read_b32 v5, a1
	s_nop 0
	v_cndmask_b32_e32 v11, 0, v11, vcc
	;; [unrolled: 4-line block ×7, first 2 shown]
	v_cmp_lt_i32_e32 vcc, v5, v62
	s_nop 1
	v_cndmask_b32_e32 v24, 0, v24, vcc
.LBB179_595:                            ;   in Loop: Header=BB179_50 Depth=1
	s_or_b64 exec, exec, s[4:5]
	v_lshlrev_b32_e32 v0, 16, v0
	v_mul_f32_e32 v5, v51, v0
	v_and_b32_e32 v0, 0x7f800000, v5
	v_cmp_ne_u32_e32 vcc, s15, v0
                                        ; implicit-def: $vgpr0
	s_and_saveexec_b64 s[4:5], vcc
	s_xor_b64 s[4:5], exec, s[4:5]
; %bb.596:                              ;   in Loop: Header=BB179_50 Depth=1
	v_bfe_u32 v0, v5, 16, 1
	v_add3_u32 v0, v5, v0, s24
                                        ; implicit-def: $vgpr5
; %bb.597:                              ;   in Loop: Header=BB179_50 Depth=1
	s_andn2_saveexec_b64 s[4:5], s[4:5]
; %bb.598:                              ;   in Loop: Header=BB179_50 Depth=1
	v_or_b32_e32 v0, 0x10000, v5
	v_cmp_eq_u32_sdwa vcc, v5, v27 src0_sel:WORD_0 src1_sel:DWORD
	s_nop 1
	v_cndmask_b32_e32 v0, v0, v5, vcc
; %bb.599:                              ;   in Loop: Header=BB179_50 Depth=1
	s_or_b64 exec, exec, s[4:5]
	v_lshlrev_b32_e32 v5, 16, v11
	v_mul_f32_e32 v11, v52, v5
	v_and_b32_e32 v5, 0x7f800000, v11
	v_cmp_ne_u32_e32 vcc, s15, v5
                                        ; implicit-def: $vgpr5
	s_and_saveexec_b64 s[4:5], vcc
	s_xor_b64 s[4:5], exec, s[4:5]
; %bb.600:                              ;   in Loop: Header=BB179_50 Depth=1
	v_bfe_u32 v5, v11, 16, 1
	v_add3_u32 v5, v11, v5, s24
                                        ; implicit-def: $vgpr11
; %bb.601:                              ;   in Loop: Header=BB179_50 Depth=1
	s_andn2_saveexec_b64 s[4:5], s[4:5]
; %bb.602:                              ;   in Loop: Header=BB179_50 Depth=1
	v_or_b32_e32 v5, 0x10000, v11
	v_cmp_eq_u32_sdwa vcc, v11, v27 src0_sel:WORD_0 src1_sel:DWORD
	s_nop 1
	v_cndmask_b32_e32 v5, v5, v11, vcc
; %bb.603:                              ;   in Loop: Header=BB179_50 Depth=1
	s_or_b64 exec, exec, s[4:5]
	v_lshlrev_b32_e32 v1, 16, v1
	v_mul_f32_e32 v11, v53, v1
	v_and_b32_e32 v1, 0x7f800000, v11
	v_cmp_ne_u32_e32 vcc, s15, v1
                                        ; implicit-def: $vgpr1
	s_and_saveexec_b64 s[4:5], vcc
	s_xor_b64 s[4:5], exec, s[4:5]
; %bb.604:                              ;   in Loop: Header=BB179_50 Depth=1
	v_bfe_u32 v1, v11, 16, 1
	v_add3_u32 v1, v11, v1, s24
                                        ; implicit-def: $vgpr11
; %bb.605:                              ;   in Loop: Header=BB179_50 Depth=1
	s_andn2_saveexec_b64 s[4:5], s[4:5]
; %bb.606:                              ;   in Loop: Header=BB179_50 Depth=1
	v_or_b32_e32 v1, 0x10000, v11
	v_cmp_eq_u32_sdwa vcc, v11, v27 src0_sel:WORD_0 src1_sel:DWORD
	s_nop 1
	v_cndmask_b32_e32 v1, v1, v11, vcc
; %bb.607:                              ;   in Loop: Header=BB179_50 Depth=1
	s_or_b64 exec, exec, s[4:5]
	v_lshlrev_b32_e32 v6, 16, v6
	v_mul_f32_e32 v11, v54, v6
	v_and_b32_e32 v6, 0x7f800000, v11
	v_cmp_ne_u32_e32 vcc, s15, v6
                                        ; implicit-def: $vgpr6
	s_and_saveexec_b64 s[4:5], vcc
	s_xor_b64 s[4:5], exec, s[4:5]
; %bb.608:                              ;   in Loop: Header=BB179_50 Depth=1
	v_bfe_u32 v6, v11, 16, 1
	v_add3_u32 v6, v11, v6, s24
                                        ; implicit-def: $vgpr11
; %bb.609:                              ;   in Loop: Header=BB179_50 Depth=1
	s_andn2_saveexec_b64 s[4:5], s[4:5]
; %bb.610:                              ;   in Loop: Header=BB179_50 Depth=1
	v_or_b32_e32 v6, 0x10000, v11
	v_cmp_eq_u32_sdwa vcc, v11, v27 src0_sel:WORD_0 src1_sel:DWORD
	s_nop 1
	v_cndmask_b32_e32 v6, v6, v11, vcc
; %bb.611:                              ;   in Loop: Header=BB179_50 Depth=1
	s_or_b64 exec, exec, s[4:5]
	v_lshlrev_b32_e32 v2, 16, v2
	v_mul_f32_e32 v11, v55, v2
	v_and_b32_e32 v2, 0x7f800000, v11
	v_cmp_ne_u32_e32 vcc, s15, v2
                                        ; implicit-def: $vgpr2
	s_and_saveexec_b64 s[4:5], vcc
	s_xor_b64 s[4:5], exec, s[4:5]
; %bb.612:                              ;   in Loop: Header=BB179_50 Depth=1
	v_bfe_u32 v2, v11, 16, 1
	v_add3_u32 v2, v11, v2, s24
                                        ; implicit-def: $vgpr11
; %bb.613:                              ;   in Loop: Header=BB179_50 Depth=1
	s_andn2_saveexec_b64 s[4:5], s[4:5]
; %bb.614:                              ;   in Loop: Header=BB179_50 Depth=1
	v_or_b32_e32 v2, 0x10000, v11
	v_cmp_eq_u32_sdwa vcc, v11, v27 src0_sel:WORD_0 src1_sel:DWORD
	s_nop 1
	v_cndmask_b32_e32 v2, v2, v11, vcc
; %bb.615:                              ;   in Loop: Header=BB179_50 Depth=1
	s_or_b64 exec, exec, s[4:5]
	v_lshlrev_b32_e32 v7, 16, v7
	v_mul_f32_e32 v11, v40, v7
	v_and_b32_e32 v7, 0x7f800000, v11
	v_cmp_ne_u32_e32 vcc, s15, v7
                                        ; implicit-def: $vgpr7
	s_and_saveexec_b64 s[4:5], vcc
	s_xor_b64 s[4:5], exec, s[4:5]
; %bb.616:                              ;   in Loop: Header=BB179_50 Depth=1
	v_bfe_u32 v7, v11, 16, 1
	v_add3_u32 v7, v11, v7, s24
                                        ; implicit-def: $vgpr11
; %bb.617:                              ;   in Loop: Header=BB179_50 Depth=1
	s_andn2_saveexec_b64 s[4:5], s[4:5]
; %bb.618:                              ;   in Loop: Header=BB179_50 Depth=1
	v_or_b32_e32 v7, 0x10000, v11
	v_cmp_eq_u32_sdwa vcc, v11, v27 src0_sel:WORD_0 src1_sel:DWORD
	s_nop 1
	v_cndmask_b32_e32 v7, v7, v11, vcc
; %bb.619:                              ;   in Loop: Header=BB179_50 Depth=1
	s_or_b64 exec, exec, s[4:5]
	v_lshlrev_b32_e32 v3, 16, v3
	v_mul_f32_e32 v11, v41, v3
	v_and_b32_e32 v3, 0x7f800000, v11
	v_cmp_ne_u32_e32 vcc, s15, v3
                                        ; implicit-def: $vgpr3
	s_and_saveexec_b64 s[4:5], vcc
	s_xor_b64 s[4:5], exec, s[4:5]
; %bb.620:                              ;   in Loop: Header=BB179_50 Depth=1
	v_bfe_u32 v3, v11, 16, 1
	v_add3_u32 v3, v11, v3, s24
                                        ; implicit-def: $vgpr11
; %bb.621:                              ;   in Loop: Header=BB179_50 Depth=1
	s_andn2_saveexec_b64 s[4:5], s[4:5]
; %bb.622:                              ;   in Loop: Header=BB179_50 Depth=1
	v_or_b32_e32 v3, 0x10000, v11
	v_cmp_eq_u32_sdwa vcc, v11, v27 src0_sel:WORD_0 src1_sel:DWORD
	s_nop 1
	v_cndmask_b32_e32 v3, v3, v11, vcc
; %bb.623:                              ;   in Loop: Header=BB179_50 Depth=1
	s_or_b64 exec, exec, s[4:5]
	v_lshlrev_b32_e32 v11, 16, v24
	v_mul_f32_e32 v11, v42, v11
	v_and_b32_e32 v24, 0x7f800000, v11
	v_cmp_ne_u32_e32 vcc, s15, v24
                                        ; implicit-def: $vgpr51
	s_and_saveexec_b64 s[4:5], vcc
	s_xor_b64 s[4:5], exec, s[4:5]
; %bb.624:                              ;   in Loop: Header=BB179_50 Depth=1
	v_bfe_u32 v24, v11, 16, 1
	v_add3_u32 v51, v11, v24, s24
                                        ; implicit-def: $vgpr11
; %bb.625:                              ;   in Loop: Header=BB179_50 Depth=1
	s_andn2_saveexec_b64 s[4:5], s[4:5]
	s_cbranch_execz .LBB179_48
; %bb.626:                              ;   in Loop: Header=BB179_50 Depth=1
	v_or_b32_e32 v24, 0x10000, v11
	v_cmp_eq_u32_sdwa vcc, v11, v27 src0_sel:WORD_0 src1_sel:DWORD
	s_nop 1
	v_cndmask_b32_e32 v51, v24, v11, vcc
	s_branch .LBB179_48
.LBB179_627:
	s_or_b64 exec, exec, s[10:11]
	scratch_load_dword v28, off, s32 offset:532 ; 4-byte Folded Reload
	scratch_load_dword v27, off, s32 offset:528 ; 4-byte Folded Reload
	;; [unrolled: 1-line block ×3, first 2 shown]
	scratch_load_dwordx2 v[22:23], off, s32 offset:224 ; 8-byte Folded Reload
	scratch_load_dwordx2 v[16:17], off, s32 offset:232 ; 8-byte Folded Reload
	;; [unrolled: 1-line block ×7, first 2 shown]
.LBB179_628:
	s_or_b64 exec, exec, s[8:9]
	s_waitcnt vmcnt(0)
	ds_bpermute_b32 v0, v27, v4
	ds_bpermute_b32 v1, v27, v5
	;; [unrolled: 1-line block ×6, first 2 shown]
	s_waitcnt lgkmcnt(0)
	v_pk_add_f32 v[0:1], v[4:5], v[0:1]
	ds_bpermute_b32 v4, v19, v0
	ds_bpermute_b32 v5, v19, v1
	v_pk_add_f32 v[2:3], v[8:9], v[2:3]
	ds_bpermute_b32 v8, v19, v2
	ds_bpermute_b32 v9, v19, v3
	scratch_load_dwordx2 v[30:31], off, s32 offset:208 ; 8-byte Folded Reload
	s_waitcnt lgkmcnt(2)
	v_pk_add_f32 v[20:21], v[0:1], v[4:5]
	v_pk_add_f32 v[0:1], v[10:11], v[6:7]
	ds_bpermute_b32 v4, v19, v0
	ds_bpermute_b32 v5, v19, v1
	;; [unrolled: 1-line block ×4, first 2 shown]
	s_waitcnt lgkmcnt(4)
	v_pk_add_f32 v[14:15], v[2:3], v[8:9]
	ds_bpermute_b32 v2, v27, v12
	ds_bpermute_b32 v3, v27, v13
	s_waitcnt lgkmcnt(4)
	v_pk_add_f32 v[10:11], v[0:1], v[4:5]
	s_waitcnt lgkmcnt(2)
	v_pk_add_f32 v[0:1], v[24:25], v[6:7]
	ds_bpermute_b32 v6, v27, v16
	ds_bpermute_b32 v7, v27, v17
	s_waitcnt lgkmcnt(2)
	v_pk_add_f32 v[2:3], v[12:13], v[2:3]
	v_mov_b32_e32 v29, v19
	ds_bpermute_b32 v4, v19, v0
	ds_bpermute_b32 v5, v19, v1
	s_waitcnt lgkmcnt(2)
	v_pk_add_f32 v[16:17], v[16:17], v[6:7]
	ds_bpermute_b32 v12, v19, v2
	ds_bpermute_b32 v8, v27, v22
	;; [unrolled: 1-line block ×6, first 2 shown]
	s_waitcnt lgkmcnt(0)
	v_pk_add_f32 v[22:23], v[22:23], v[8:9]
	v_pk_add_f32 v[8:9], v[0:1], v[4:5]
	s_barrier
	v_pk_add_f32 v[4:5], v[16:17], v[18:19]
	scratch_load_dword v16, off, s32 offset:508 ; 4-byte Folded Reload
	ds_bpermute_b32 v24, v29, v22
	ds_bpermute_b32 v25, v29, v23
	v_pk_add_f32 v[6:7], v[2:3], v[12:13]
	s_waitcnt lgkmcnt(0)
	v_pk_add_f32 v[0:1], v[22:23], v[24:25]
	s_waitcnt vmcnt(1)
	ds_bpermute_b32 v26, v27, v30
	ds_bpermute_b32 v27, v27, v31
	s_waitcnt lgkmcnt(0)
	v_pk_add_f32 v[2:3], v[30:31], v[26:27]
	ds_bpermute_b32 v12, v29, v2
	ds_bpermute_b32 v13, v29, v3
	s_waitcnt vmcnt(0)
	v_and_b32_e32 v16, 0x3c3, v16
	v_cmp_ne_u32_e32 vcc, 64, v16
	s_and_saveexec_b64 s[4:5], vcc
	s_xor_b64 s[4:5], exec, s[4:5]
; %bb.629:
                                        ; implicit-def: $vgpr16
                                        ; kill: killed $vgpr16
; %bb.630:
	s_or_saveexec_b64 s[4:5], s[4:5]
	s_waitcnt lgkmcnt(0)
	v_pk_add_f32 v[2:3], v[2:3], v[12:13]
	scratch_load_dword v12, off, s32 offset:520 ; 4-byte Folded Reload
	s_xor_b64 exec, exec, s[4:5]
	s_cbranch_execz .LBB179_632
; %bb.631:
	s_load_dword s8, s[6:7], 0x0
	s_waitcnt vmcnt(0) lgkmcnt(0)
	v_add_u32_e32 v12, s8, v12
	ds_write2_b32 v12, v20, v21 offset1:16
	ds_write2_b32 v12, v14, v15 offset0:32 offset1:48
	ds_write2_b32 v12, v10, v11 offset0:64 offset1:80
	;; [unrolled: 1-line block ×7, first 2 shown]
.LBB179_632:
	s_or_b64 exec, exec, s[4:5]
	s_waitcnt lgkmcnt(0)
	s_barrier
	s_and_saveexec_b64 s[4:5], s[2:3]
	s_xor_b64 s[2:3], exec, s[4:5]
	s_andn2_saveexec_b64 s[2:3], s[2:3]
	s_cbranch_execz .LBB179_651
; %bb.633:
	scratch_load_dword v12, off, s32 offset:508 ; 4-byte Folded Reload
	v_cmp_eq_u32_e32 vcc, 0, v28
	s_waitcnt vmcnt(0)
	v_lshrrev_b32_e32 v12, 2, v12
	s_and_saveexec_b64 s[4:5], vcc
	s_cbranch_execnz .LBB179_719
; %bb.634:
	s_or_b64 exec, exec, s[4:5]
	s_and_saveexec_b64 s[4:5], vcc
	s_cbranch_execnz .LBB179_720
.LBB179_635:
	s_or_b64 exec, exec, s[4:5]
	s_and_saveexec_b64 s[4:5], vcc
	s_cbranch_execnz .LBB179_721
.LBB179_636:
	s_or_b64 exec, exec, s[4:5]
	s_and_saveexec_b64 s[4:5], vcc
	s_cbranch_execnz .LBB179_722
.LBB179_637:
	s_or_b64 exec, exec, s[4:5]
	s_and_saveexec_b64 s[4:5], vcc
	s_cbranch_execnz .LBB179_723
.LBB179_638:
	s_or_b64 exec, exec, s[4:5]
	s_and_saveexec_b64 s[4:5], vcc
	s_cbranch_execnz .LBB179_724
.LBB179_639:
	s_or_b64 exec, exec, s[4:5]
	s_and_saveexec_b64 s[4:5], vcc
	s_cbranch_execnz .LBB179_725
.LBB179_640:
	s_or_b64 exec, exec, s[4:5]
	s_and_saveexec_b64 s[4:5], vcc
	s_cbranch_execnz .LBB179_726
.LBB179_641:
	s_or_b64 exec, exec, s[4:5]
	s_and_saveexec_b64 s[4:5], vcc
	s_cbranch_execnz .LBB179_727
.LBB179_642:
	s_or_b64 exec, exec, s[4:5]
	s_and_saveexec_b64 s[4:5], vcc
	s_cbranch_execnz .LBB179_728
.LBB179_643:
	s_or_b64 exec, exec, s[4:5]
	s_and_saveexec_b64 s[4:5], vcc
	s_cbranch_execnz .LBB179_729
.LBB179_644:
	s_or_b64 exec, exec, s[4:5]
	s_and_saveexec_b64 s[4:5], vcc
	s_cbranch_execnz .LBB179_730
.LBB179_645:
	s_or_b64 exec, exec, s[4:5]
	s_and_saveexec_b64 s[4:5], vcc
	s_cbranch_execnz .LBB179_731
.LBB179_646:
	s_or_b64 exec, exec, s[4:5]
	s_and_saveexec_b64 s[4:5], vcc
	s_cbranch_execnz .LBB179_732
.LBB179_647:
	s_or_b64 exec, exec, s[4:5]
	s_and_saveexec_b64 s[4:5], vcc
	s_cbranch_execnz .LBB179_733
.LBB179_648:
	s_or_b64 exec, exec, s[4:5]
	s_and_saveexec_b64 s[4:5], vcc
	s_cbranch_execz .LBB179_650
.LBB179_649:
	s_load_dword s6, s[6:7], 0x0
	s_waitcnt lgkmcnt(0)
	v_lshl_add_u32 v12, v12, 2, s6
	ds_read_b32 v12, v12 offset:960
	s_waitcnt lgkmcnt(0)
	v_add_f32_e32 v3, v12, v3
.LBB179_650:
	s_or_b64 exec, exec, s[4:5]
.LBB179_651:
	s_or_b64 exec, exec, s[2:3]
	s_barrier
	s_and_b64 exec, exec, s[0:1]
	s_cbranch_execz .LBB179_718
; %bb.652:
	v_cmp_eq_u32_e32 vcc, 0, v28
	s_and_b64 exec, exec, vcc
	s_cbranch_execz .LBB179_718
; %bb.653:
	s_mov_b32 s0, 0x7f800000
	s_waitcnt vmcnt(0)
	v_and_b32_e32 v12, 0x7f800000, v20
	v_cmp_ne_u32_e32 vcc, s0, v12
                                        ; implicit-def: $vgpr16
	s_and_saveexec_b64 s[0:1], vcc
	s_xor_b64 s[0:1], exec, s[0:1]
; %bb.654:
	v_bfe_u32 v12, v20, 16, 1
	s_movk_i32 s2, 0x7fff
	v_add3_u32 v16, v20, v12, s2
; %bb.655:
	s_andn2_saveexec_b64 s[0:1], s[0:1]
; %bb.656:
	v_mov_b32_e32 v12, 0
	v_or_b32_e32 v13, 0x10000, v20
	v_cmp_eq_u32_sdwa vcc, v20, v12 src0_sel:WORD_0 src1_sel:DWORD
	s_nop 1
	v_cndmask_b32_e32 v16, v13, v20, vcc
; %bb.657:
	s_or_b64 exec, exec, s[0:1]
	scratch_load_dwordx2 v[12:13], off, s32 offset:512 ; 8-byte Folded Reload
	scratch_load_dword v17, off, s32 offset:508 ; 4-byte Folded Reload
	s_mul_i32 s0, s21, s18
	s_mul_i32 s0, s0, s19
	s_lshl_b32 s0, s0, 8
	s_mul_i32 s2, s20, s21
	s_lshl_b32 s4, s14, 8
	s_ashr_i32 s1, s0, 31
	s_ashr_i32 s3, s2, 31
	;; [unrolled: 1-line block ×3, first 2 shown]
	s_lshl_b64 s[0:1], s[0:1], 1
	s_lshl_b64 s[2:3], s[2:3], 1
	;; [unrolled: 1-line block ×3, first 2 shown]
	s_add_u32 s2, s4, s2
	s_addc_u32 s3, s5, s3
	s_add_u32 s0, s2, s0
	s_addc_u32 s1, s3, s1
	v_mov_b32_e32 v19, 0
	s_waitcnt vmcnt(1)
	v_lshl_add_u64 v[12:13], s[0:1], 0, v[12:13]
	s_waitcnt vmcnt(0)
	v_lshrrev_b32_e32 v17, 1, v17
	v_and_b32_e32 v18, 0x1fe, v17
	v_lshl_add_u64 v[12:13], v[12:13], 0, v[18:19]
	flat_store_short_d16_hi v[12:13], v16
	s_mov_b32 s0, 0x7f800000
	v_and_b32_e32 v16, 0x7f800000, v21
	v_cmp_ne_u32_e32 vcc, s0, v16
                                        ; implicit-def: $vgpr16
	s_and_saveexec_b64 s[0:1], vcc
	s_xor_b64 s[0:1], exec, s[0:1]
; %bb.658:
	v_bfe_u32 v16, v21, 16, 1
	s_movk_i32 s2, 0x7fff
	v_add3_u32 v16, v21, v16, s2
                                        ; implicit-def: $vgpr20_vgpr21
; %bb.659:
	s_andn2_saveexec_b64 s[0:1], s[0:1]
; %bb.660:
	v_mov_b32_e32 v16, 0
	v_or_b32_e32 v17, 0x10000, v21
	v_cmp_eq_u32_sdwa vcc, v21, v16 src0_sel:WORD_0 src1_sel:DWORD
	s_nop 1
	v_cndmask_b32_e32 v16, v17, v21, vcc
; %bb.661:
	s_or_b64 exec, exec, s[0:1]
	flat_store_short_d16_hi v[12:13], v16 offset:32
	s_mov_b32 s0, 0x7f800000
	v_and_b32_e32 v16, 0x7f800000, v14
	v_cmp_ne_u32_e32 vcc, s0, v16
                                        ; implicit-def: $vgpr16
	s_and_saveexec_b64 s[0:1], vcc
	s_xor_b64 s[0:1], exec, s[0:1]
; %bb.662:
	v_bfe_u32 v16, v14, 16, 1
	s_movk_i32 s2, 0x7fff
	v_add3_u32 v16, v14, v16, s2
; %bb.663:
	s_andn2_saveexec_b64 s[0:1], s[0:1]
; %bb.664:
	v_mov_b32_e32 v16, 0
	v_or_b32_e32 v17, 0x10000, v14
	v_cmp_eq_u32_sdwa vcc, v14, v16 src0_sel:WORD_0 src1_sel:DWORD
	s_nop 1
	v_cndmask_b32_e32 v16, v17, v14, vcc
; %bb.665:
	s_or_b64 exec, exec, s[0:1]
	s_mov_b32 s0, 0x7f800000
	v_and_b32_e32 v14, 0x7f800000, v15
	v_cmp_ne_u32_e32 vcc, s0, v14
	flat_store_short_d16_hi v[12:13], v16 offset:64
                                        ; implicit-def: $vgpr16
	s_and_saveexec_b64 s[0:1], vcc
	s_xor_b64 s[0:1], exec, s[0:1]
; %bb.666:
	v_bfe_u32 v14, v15, 16, 1
	s_movk_i32 s2, 0x7fff
	v_add3_u32 v16, v15, v14, s2
                                        ; implicit-def: $vgpr14_vgpr15
; %bb.667:
	s_andn2_saveexec_b64 s[0:1], s[0:1]
; %bb.668:
	v_mov_b32_e32 v14, 0
	v_or_b32_e32 v16, 0x10000, v15
	v_cmp_eq_u32_sdwa vcc, v15, v14 src0_sel:WORD_0 src1_sel:DWORD
	s_nop 1
	v_cndmask_b32_e32 v16, v16, v15, vcc
; %bb.669:
	s_or_b64 exec, exec, s[0:1]
	s_mov_b32 s0, 0x7f800000
	v_and_b32_e32 v14, 0x7f800000, v10
	v_cmp_ne_u32_e32 vcc, s0, v14
	flat_store_short_d16_hi v[12:13], v16 offset:96
                                        ; implicit-def: $vgpr14
	s_and_saveexec_b64 s[0:1], vcc
	s_xor_b64 s[0:1], exec, s[0:1]
; %bb.670:
	v_bfe_u32 v14, v10, 16, 1
	s_movk_i32 s2, 0x7fff
	v_add3_u32 v14, v10, v14, s2
; %bb.671:
	s_andn2_saveexec_b64 s[0:1], s[0:1]
; %bb.672:
	v_mov_b32_e32 v14, 0
	v_or_b32_e32 v15, 0x10000, v10
	v_cmp_eq_u32_sdwa vcc, v10, v14 src0_sel:WORD_0 src1_sel:DWORD
	s_nop 1
	v_cndmask_b32_e32 v14, v15, v10, vcc
; %bb.673:
	s_or_b64 exec, exec, s[0:1]
	s_mov_b32 s0, 0x7f800000
	v_and_b32_e32 v10, 0x7f800000, v11
	v_cmp_ne_u32_e32 vcc, s0, v10
	flat_store_short_d16_hi v[12:13], v14 offset:128
                                        ; implicit-def: $vgpr14
	s_and_saveexec_b64 s[0:1], vcc
	s_xor_b64 s[0:1], exec, s[0:1]
; %bb.674:
	v_bfe_u32 v10, v11, 16, 1
	s_movk_i32 s2, 0x7fff
	v_add3_u32 v14, v11, v10, s2
                                        ; implicit-def: $vgpr10_vgpr11
; %bb.675:
	s_andn2_saveexec_b64 s[0:1], s[0:1]
; %bb.676:
	v_mov_b32_e32 v10, 0
	v_or_b32_e32 v14, 0x10000, v11
	v_cmp_eq_u32_sdwa vcc, v11, v10 src0_sel:WORD_0 src1_sel:DWORD
	s_nop 1
	v_cndmask_b32_e32 v14, v14, v11, vcc
; %bb.677:
	s_or_b64 exec, exec, s[0:1]
	s_mov_b32 s0, 0x7f800000
	v_and_b32_e32 v10, 0x7f800000, v8
	v_cmp_ne_u32_e32 vcc, s0, v10
	flat_store_short_d16_hi v[12:13], v14 offset:160
                                        ; implicit-def: $vgpr10
	s_and_saveexec_b64 s[0:1], vcc
	s_xor_b64 s[0:1], exec, s[0:1]
; %bb.678:
	v_bfe_u32 v10, v8, 16, 1
	s_movk_i32 s2, 0x7fff
	v_add3_u32 v10, v8, v10, s2
; %bb.679:
	s_andn2_saveexec_b64 s[0:1], s[0:1]
; %bb.680:
	v_mov_b32_e32 v10, 0
	v_or_b32_e32 v11, 0x10000, v8
	v_cmp_eq_u32_sdwa vcc, v8, v10 src0_sel:WORD_0 src1_sel:DWORD
	s_nop 1
	v_cndmask_b32_e32 v10, v11, v8, vcc
; %bb.681:
	s_or_b64 exec, exec, s[0:1]
	s_mov_b32 s0, 0x7f800000
	v_and_b32_e32 v8, 0x7f800000, v9
	v_cmp_ne_u32_e32 vcc, s0, v8
	flat_store_short_d16_hi v[12:13], v10 offset:192
                                        ; implicit-def: $vgpr10
	s_and_saveexec_b64 s[0:1], vcc
	s_xor_b64 s[0:1], exec, s[0:1]
; %bb.682:
	v_bfe_u32 v8, v9, 16, 1
	s_movk_i32 s2, 0x7fff
	v_add3_u32 v10, v9, v8, s2
                                        ; implicit-def: $vgpr8_vgpr9
; %bb.683:
	s_andn2_saveexec_b64 s[0:1], s[0:1]
; %bb.684:
	v_mov_b32_e32 v8, 0
	v_or_b32_e32 v10, 0x10000, v9
	v_cmp_eq_u32_sdwa vcc, v9, v8 src0_sel:WORD_0 src1_sel:DWORD
	s_nop 1
	v_cndmask_b32_e32 v10, v10, v9, vcc
; %bb.685:
	s_or_b64 exec, exec, s[0:1]
	s_mov_b32 s0, 0x7f800000
	v_and_b32_e32 v8, 0x7f800000, v6
	v_cmp_ne_u32_e32 vcc, s0, v8
	flat_store_short_d16_hi v[12:13], v10 offset:224
                                        ; implicit-def: $vgpr8
	s_and_saveexec_b64 s[0:1], vcc
	s_xor_b64 s[0:1], exec, s[0:1]
; %bb.686:
	v_bfe_u32 v8, v6, 16, 1
	s_movk_i32 s2, 0x7fff
	v_add3_u32 v8, v6, v8, s2
; %bb.687:
	s_andn2_saveexec_b64 s[0:1], s[0:1]
; %bb.688:
	v_mov_b32_e32 v8, 0
	v_or_b32_e32 v9, 0x10000, v6
	v_cmp_eq_u32_sdwa vcc, v6, v8 src0_sel:WORD_0 src1_sel:DWORD
	s_nop 1
	v_cndmask_b32_e32 v8, v9, v6, vcc
; %bb.689:
	s_or_b64 exec, exec, s[0:1]
	s_mov_b32 s0, 0x7f800000
	v_and_b32_e32 v6, 0x7f800000, v7
	v_cmp_ne_u32_e32 vcc, s0, v6
	flat_store_short_d16_hi v[12:13], v8 offset:256
                                        ; implicit-def: $vgpr8
	s_and_saveexec_b64 s[0:1], vcc
	s_xor_b64 s[0:1], exec, s[0:1]
; %bb.690:
	v_bfe_u32 v6, v7, 16, 1
	s_movk_i32 s2, 0x7fff
	v_add3_u32 v8, v7, v6, s2
                                        ; implicit-def: $vgpr6_vgpr7
; %bb.691:
	s_andn2_saveexec_b64 s[0:1], s[0:1]
; %bb.692:
	v_mov_b32_e32 v6, 0
	v_or_b32_e32 v8, 0x10000, v7
	v_cmp_eq_u32_sdwa vcc, v7, v6 src0_sel:WORD_0 src1_sel:DWORD
	s_nop 1
	v_cndmask_b32_e32 v8, v8, v7, vcc
; %bb.693:
	s_or_b64 exec, exec, s[0:1]
	s_mov_b32 s0, 0x7f800000
	v_and_b32_e32 v6, 0x7f800000, v4
	v_cmp_ne_u32_e32 vcc, s0, v6
	flat_store_short_d16_hi v[12:13], v8 offset:288
                                        ; implicit-def: $vgpr6
	s_and_saveexec_b64 s[0:1], vcc
	s_xor_b64 s[0:1], exec, s[0:1]
; %bb.694:
	v_bfe_u32 v6, v4, 16, 1
	s_movk_i32 s2, 0x7fff
	v_add3_u32 v6, v4, v6, s2
; %bb.695:
	s_andn2_saveexec_b64 s[0:1], s[0:1]
; %bb.696:
	v_mov_b32_e32 v6, 0
	v_or_b32_e32 v7, 0x10000, v4
	v_cmp_eq_u32_sdwa vcc, v4, v6 src0_sel:WORD_0 src1_sel:DWORD
	s_nop 1
	v_cndmask_b32_e32 v6, v7, v4, vcc
; %bb.697:
	s_or_b64 exec, exec, s[0:1]
	s_mov_b32 s0, 0x7f800000
	v_and_b32_e32 v4, 0x7f800000, v5
	v_cmp_ne_u32_e32 vcc, s0, v4
	flat_store_short_d16_hi v[12:13], v6 offset:320
                                        ; implicit-def: $vgpr6
	s_and_saveexec_b64 s[0:1], vcc
	s_xor_b64 s[0:1], exec, s[0:1]
; %bb.698:
	v_bfe_u32 v4, v5, 16, 1
	s_movk_i32 s2, 0x7fff
	v_add3_u32 v6, v5, v4, s2
                                        ; implicit-def: $vgpr4_vgpr5
; %bb.699:
	s_andn2_saveexec_b64 s[0:1], s[0:1]
; %bb.700:
	v_mov_b32_e32 v4, 0
	v_or_b32_e32 v6, 0x10000, v5
	v_cmp_eq_u32_sdwa vcc, v5, v4 src0_sel:WORD_0 src1_sel:DWORD
	s_nop 1
	v_cndmask_b32_e32 v6, v6, v5, vcc
; %bb.701:
	s_or_b64 exec, exec, s[0:1]
	s_mov_b32 s0, 0x7f800000
	v_and_b32_e32 v4, 0x7f800000, v0
	v_cmp_ne_u32_e32 vcc, s0, v4
	flat_store_short_d16_hi v[12:13], v6 offset:352
                                        ; implicit-def: $vgpr4
	s_and_saveexec_b64 s[0:1], vcc
	s_xor_b64 s[0:1], exec, s[0:1]
; %bb.702:
	v_bfe_u32 v4, v0, 16, 1
	s_movk_i32 s2, 0x7fff
	v_add3_u32 v4, v0, v4, s2
; %bb.703:
	s_andn2_saveexec_b64 s[0:1], s[0:1]
; %bb.704:
	v_mov_b32_e32 v4, 0
	v_or_b32_e32 v5, 0x10000, v0
	v_cmp_eq_u32_sdwa vcc, v0, v4 src0_sel:WORD_0 src1_sel:DWORD
	s_nop 1
	v_cndmask_b32_e32 v4, v5, v0, vcc
; %bb.705:
	s_or_b64 exec, exec, s[0:1]
	s_mov_b32 s0, 0x7f800000
	v_and_b32_e32 v0, 0x7f800000, v1
	v_cmp_ne_u32_e32 vcc, s0, v0
	flat_store_short_d16_hi v[12:13], v4 offset:384
                                        ; implicit-def: $vgpr4
	s_and_saveexec_b64 s[0:1], vcc
	s_xor_b64 s[0:1], exec, s[0:1]
; %bb.706:
	v_bfe_u32 v0, v1, 16, 1
	s_movk_i32 s2, 0x7fff
	v_add3_u32 v4, v1, v0, s2
                                        ; implicit-def: $vgpr0_vgpr1
; %bb.707:
	s_andn2_saveexec_b64 s[0:1], s[0:1]
; %bb.708:
	v_mov_b32_e32 v0, 0
	v_or_b32_e32 v4, 0x10000, v1
	v_cmp_eq_u32_sdwa vcc, v1, v0 src0_sel:WORD_0 src1_sel:DWORD
	s_nop 1
	v_cndmask_b32_e32 v4, v4, v1, vcc
; %bb.709:
	s_or_b64 exec, exec, s[0:1]
	s_mov_b32 s0, 0x7f800000
	v_and_b32_e32 v0, 0x7f800000, v2
	v_cmp_ne_u32_e32 vcc, s0, v0
	flat_store_short_d16_hi v[12:13], v4 offset:416
                                        ; implicit-def: $vgpr0
	s_and_saveexec_b64 s[0:1], vcc
	s_xor_b64 s[0:1], exec, s[0:1]
; %bb.710:
	v_bfe_u32 v0, v2, 16, 1
	s_movk_i32 s2, 0x7fff
	v_add3_u32 v0, v2, v0, s2
; %bb.711:
	s_andn2_saveexec_b64 s[0:1], s[0:1]
; %bb.712:
	v_mov_b32_e32 v0, 0
	v_or_b32_e32 v1, 0x10000, v2
	v_cmp_eq_u32_sdwa vcc, v2, v0 src0_sel:WORD_0 src1_sel:DWORD
	s_nop 1
	v_cndmask_b32_e32 v0, v1, v2, vcc
; %bb.713:
	s_or_b64 exec, exec, s[0:1]
	flat_store_short_d16_hi v[12:13], v0 offset:448
	s_mov_b32 s0, 0x7f800000
	v_and_b32_e32 v0, 0x7f800000, v3
	v_cmp_ne_u32_e32 vcc, s0, v0
                                        ; implicit-def: $vgpr0
	s_and_saveexec_b64 s[0:1], vcc
	s_xor_b64 s[0:1], exec, s[0:1]
; %bb.714:
	v_bfe_u32 v0, v3, 16, 1
	s_movk_i32 s2, 0x7fff
	v_add3_u32 v0, v3, v0, s2
                                        ; implicit-def: $vgpr2_vgpr3
; %bb.715:
	s_andn2_saveexec_b64 s[0:1], s[0:1]
; %bb.716:
	v_mov_b32_e32 v0, 0
	v_or_b32_e32 v1, 0x10000, v3
	v_cmp_eq_u32_sdwa vcc, v3, v0 src0_sel:WORD_0 src1_sel:DWORD
	s_nop 1
	v_cndmask_b32_e32 v0, v1, v3, vcc
; %bb.717:
	s_or_b64 exec, exec, s[0:1]
	flat_store_short_d16_hi v[12:13], v0 offset:480
.LBB179_718:
	s_or_b64 exec, exec, s[16:17]
	scratch_load_dword a63, off, s32        ; 4-byte Folded Reload
	scratch_load_dword a62, off, s32 offset:4 ; 4-byte Folded Reload
	scratch_load_dword a61, off, s32 offset:8 ; 4-byte Folded Reload
	;; [unrolled: 1-line block ×46, first 2 shown]
	v_readlane_b32 s30, v63, 4
	v_readlane_b32 s31, v63, 5
	;; [unrolled: 1-line block ×6, first 2 shown]
	s_or_saveexec_b64 s[0:1], -1
	scratch_load_dword v63, off, s32 offset:536 ; 4-byte Folded Reload
	s_mov_b64 exec, s[0:1]
	s_waitcnt vmcnt(0) lgkmcnt(0)
	s_setpc_b64 s[30:31]
.LBB179_719:
	s_load_dword s8, s[6:7], 0x0
	s_waitcnt lgkmcnt(0)
	v_lshl_add_u32 v13, v12, 2, s8
	ds_read_b32 v13, v13
	s_waitcnt lgkmcnt(0)
	v_add_f32_e32 v20, v13, v20
	s_or_b64 exec, exec, s[4:5]
	s_and_saveexec_b64 s[4:5], vcc
	s_cbranch_execz .LBB179_635
.LBB179_720:
	s_load_dword s8, s[6:7], 0x0
	s_waitcnt lgkmcnt(0)
	v_lshl_add_u32 v13, v12, 2, s8
	ds_read_b32 v13, v13 offset:64
	s_waitcnt lgkmcnt(0)
	v_add_f32_e32 v21, v13, v21
	s_or_b64 exec, exec, s[4:5]
	s_and_saveexec_b64 s[4:5], vcc
	s_cbranch_execz .LBB179_636
.LBB179_721:
	s_load_dword s8, s[6:7], 0x0
	s_waitcnt lgkmcnt(0)
	v_lshl_add_u32 v13, v12, 2, s8
	ds_read_b32 v13, v13 offset:128
	s_waitcnt lgkmcnt(0)
	v_add_f32_e32 v14, v13, v14
	s_or_b64 exec, exec, s[4:5]
	s_and_saveexec_b64 s[4:5], vcc
	s_cbranch_execz .LBB179_637
.LBB179_722:
	s_load_dword s8, s[6:7], 0x0
	s_waitcnt lgkmcnt(0)
	v_lshl_add_u32 v13, v12, 2, s8
	ds_read_b32 v13, v13 offset:192
	s_waitcnt lgkmcnt(0)
	v_add_f32_e32 v15, v13, v15
	s_or_b64 exec, exec, s[4:5]
	s_and_saveexec_b64 s[4:5], vcc
	s_cbranch_execz .LBB179_638
.LBB179_723:
	s_load_dword s8, s[6:7], 0x0
	s_waitcnt lgkmcnt(0)
	v_lshl_add_u32 v13, v12, 2, s8
	ds_read_b32 v13, v13 offset:256
	s_waitcnt lgkmcnt(0)
	v_add_f32_e32 v10, v13, v10
	s_or_b64 exec, exec, s[4:5]
	s_and_saveexec_b64 s[4:5], vcc
	s_cbranch_execz .LBB179_639
.LBB179_724:
	s_load_dword s8, s[6:7], 0x0
	s_waitcnt lgkmcnt(0)
	v_lshl_add_u32 v13, v12, 2, s8
	ds_read_b32 v13, v13 offset:320
	s_waitcnt lgkmcnt(0)
	v_add_f32_e32 v11, v13, v11
	s_or_b64 exec, exec, s[4:5]
	s_and_saveexec_b64 s[4:5], vcc
	s_cbranch_execz .LBB179_640
.LBB179_725:
	s_load_dword s8, s[6:7], 0x0
	s_waitcnt lgkmcnt(0)
	v_lshl_add_u32 v13, v12, 2, s8
	ds_read_b32 v13, v13 offset:384
	s_waitcnt lgkmcnt(0)
	v_add_f32_e32 v8, v13, v8
	s_or_b64 exec, exec, s[4:5]
	s_and_saveexec_b64 s[4:5], vcc
	s_cbranch_execz .LBB179_641
.LBB179_726:
	s_load_dword s8, s[6:7], 0x0
	s_waitcnt lgkmcnt(0)
	v_lshl_add_u32 v13, v12, 2, s8
	ds_read_b32 v13, v13 offset:448
	s_waitcnt lgkmcnt(0)
	v_add_f32_e32 v9, v13, v9
	s_or_b64 exec, exec, s[4:5]
	s_and_saveexec_b64 s[4:5], vcc
	s_cbranch_execz .LBB179_642
.LBB179_727:
	s_load_dword s8, s[6:7], 0x0
	s_waitcnt lgkmcnt(0)
	v_lshl_add_u32 v13, v12, 2, s8
	ds_read_b32 v13, v13 offset:512
	s_waitcnt lgkmcnt(0)
	v_add_f32_e32 v6, v13, v6
	s_or_b64 exec, exec, s[4:5]
	s_and_saveexec_b64 s[4:5], vcc
	s_cbranch_execz .LBB179_643
.LBB179_728:
	s_load_dword s8, s[6:7], 0x0
	s_waitcnt lgkmcnt(0)
	v_lshl_add_u32 v13, v12, 2, s8
	ds_read_b32 v13, v13 offset:576
	s_waitcnt lgkmcnt(0)
	v_add_f32_e32 v7, v13, v7
	s_or_b64 exec, exec, s[4:5]
	s_and_saveexec_b64 s[4:5], vcc
	s_cbranch_execz .LBB179_644
.LBB179_729:
	s_load_dword s8, s[6:7], 0x0
	s_waitcnt lgkmcnt(0)
	v_lshl_add_u32 v13, v12, 2, s8
	ds_read_b32 v13, v13 offset:640
	s_waitcnt lgkmcnt(0)
	v_add_f32_e32 v4, v13, v4
	s_or_b64 exec, exec, s[4:5]
	s_and_saveexec_b64 s[4:5], vcc
	s_cbranch_execz .LBB179_645
.LBB179_730:
	s_load_dword s8, s[6:7], 0x0
	s_waitcnt lgkmcnt(0)
	v_lshl_add_u32 v13, v12, 2, s8
	ds_read_b32 v13, v13 offset:704
	s_waitcnt lgkmcnt(0)
	v_add_f32_e32 v5, v13, v5
	s_or_b64 exec, exec, s[4:5]
	s_and_saveexec_b64 s[4:5], vcc
	s_cbranch_execz .LBB179_646
.LBB179_731:
	s_load_dword s8, s[6:7], 0x0
	s_waitcnt lgkmcnt(0)
	v_lshl_add_u32 v13, v12, 2, s8
	ds_read_b32 v13, v13 offset:768
	s_waitcnt lgkmcnt(0)
	v_add_f32_e32 v0, v13, v0
	s_or_b64 exec, exec, s[4:5]
	s_and_saveexec_b64 s[4:5], vcc
	s_cbranch_execz .LBB179_647
.LBB179_732:
	s_load_dword s8, s[6:7], 0x0
	s_waitcnt lgkmcnt(0)
	v_lshl_add_u32 v13, v12, 2, s8
	ds_read_b32 v13, v13 offset:832
	s_waitcnt lgkmcnt(0)
	v_add_f32_e32 v1, v13, v1
	s_or_b64 exec, exec, s[4:5]
	s_and_saveexec_b64 s[4:5], vcc
	s_cbranch_execz .LBB179_648
.LBB179_733:
	s_load_dword s8, s[6:7], 0x0
	s_waitcnt lgkmcnt(0)
	v_lshl_add_u32 v13, v12, 2, s8
	ds_read_b32 v13, v13 offset:896
	s_waitcnt lgkmcnt(0)
	v_add_f32_e32 v2, v13, v2
	s_or_b64 exec, exec, s[4:5]
	s_and_saveexec_b64 s[4:5], vcc
	s_cbranch_execnz .LBB179_649
	s_branch .LBB179_650
.Lfunc_end179:
	.size	_ZN4vllm22paged_attention_kernelI14__hip_bfloat16S1_Li256ELi32ELi128ELNS_18Fp8KVCacheDataTypeE0ELb1ELi512EEEvPfS3_PT_PKS4_PKT0_SA_ifPKiSC_iPKfiiiSE_SE_iiiii, .Lfunc_end179-_ZN4vllm22paged_attention_kernelI14__hip_bfloat16S1_Li256ELi32ELi128ELNS_18Fp8KVCacheDataTypeE0ELb1ELi512EEEvPfS3_PT_PKS4_PKT0_SA_ifPKiSC_iPKfiiiSE_SE_iiiii
                                        ; -- End function
	.section	.AMDGPU.csdata,"",@progbits
; Function info:
; codeLenInByte = 31884
; NumSgprs: 44
; NumVgprs: 64
; NumAgprs: 64
; TotalNumVgprs: 128
; ScratchSize: 544
; MemoryBound: 0
	.section	.text._ZN4vllm25paged_attention_v2_kernelI14__hip_bfloat16S1_Li256ELi32ELi128ELNS_18Fp8KVCacheDataTypeE0ELb1ELi512EEEvPfS3_PT_PKS4_PKT0_SA_ifPKiSC_iPKfiiiSE_SE_iiiii,"axG",@progbits,_ZN4vllm25paged_attention_v2_kernelI14__hip_bfloat16S1_Li256ELi32ELi128ELNS_18Fp8KVCacheDataTypeE0ELb1ELi512EEEvPfS3_PT_PKS4_PKT0_SA_ifPKiSC_iPKfiiiSE_SE_iiiii,comdat
	.protected	_ZN4vllm25paged_attention_v2_kernelI14__hip_bfloat16S1_Li256ELi32ELi128ELNS_18Fp8KVCacheDataTypeE0ELb1ELi512EEEvPfS3_PT_PKS4_PKT0_SA_ifPKiSC_iPKfiiiSE_SE_iiiii ; -- Begin function _ZN4vllm25paged_attention_v2_kernelI14__hip_bfloat16S1_Li256ELi32ELi128ELNS_18Fp8KVCacheDataTypeE0ELb1ELi512EEEvPfS3_PT_PKS4_PKT0_SA_ifPKiSC_iPKfiiiSE_SE_iiiii
	.globl	_ZN4vllm25paged_attention_v2_kernelI14__hip_bfloat16S1_Li256ELi32ELi128ELNS_18Fp8KVCacheDataTypeE0ELb1ELi512EEEvPfS3_PT_PKS4_PKT0_SA_ifPKiSC_iPKfiiiSE_SE_iiiii
	.p2align	8
	.type	_ZN4vllm25paged_attention_v2_kernelI14__hip_bfloat16S1_Li256ELi32ELi128ELNS_18Fp8KVCacheDataTypeE0ELb1ELi512EEEvPfS3_PT_PKS4_PKT0_SA_ifPKiSC_iPKfiiiSE_SE_iiiii,@function
_ZN4vllm25paged_attention_v2_kernelI14__hip_bfloat16S1_Li256ELi32ELi128ELNS_18Fp8KVCacheDataTypeE0ELb1ELi512EEEvPfS3_PT_PKS4_PKT0_SA_ifPKiSC_iPKfiiiSE_SE_iiiii: ; @_ZN4vllm25paged_attention_v2_kernelI14__hip_bfloat16S1_Li256ELi32ELi128ELNS_18Fp8KVCacheDataTypeE0ELb1ELi512EEEvPfS3_PT_PKS4_PKT0_SA_ifPKiSC_iPKfiiiSE_SE_iiiii
; %bb.0:
	s_load_dwordx8 s[24:31], s[0:1], 0x0
	s_load_dwordx8 s[16:23], s[0:1], 0x20
	s_load_dwordx2 s[6:7], s[0:1], 0x40
	s_load_dwordx2 s[10:11], s[0:1], 0x50
	s_load_dword s5, s[0:1], 0x48
	s_load_dword s33, s[0:1], 0x88
	s_load_dwordx4 s[40:43], s[0:1], 0x58
	s_load_dwordx4 s[36:39], s[0:1], 0x78
	s_add_u32 s8, s0, 0x90
	s_addc_u32 s9, s1, 0
	s_mov_b32 s12, s2
	s_mov_b32 s13, s3
	;; [unrolled: 1-line block ×4, first 2 shown]
	v_mov_b32_e32 v31, v0
	s_waitcnt lgkmcnt(0)
	v_mov_b32_e32 v0, s24
	v_mov_b32_e32 v1, s25
	;; [unrolled: 1-line block ×29, first 2 shown]
	s_mov_b32 s32, 0
	s_getpc_b64 s[0:1]
	s_add_u32 s0, s0, _ZN4vllm22paged_attention_kernelI14__hip_bfloat16S1_Li256ELi32ELi128ELNS_18Fp8KVCacheDataTypeE0ELb1ELi512EEEvPfS3_PT_PKS4_PKT0_SA_ifPKiSC_iPKfiiiSE_SE_iiiii@rel32@lo+4
	s_addc_u32 s1, s1, _ZN4vllm22paged_attention_kernelI14__hip_bfloat16S1_Li256ELi32ELi128ELNS_18Fp8KVCacheDataTypeE0ELb1ELi512EEEvPfS3_PT_PKS4_PKT0_SA_ifPKiSC_iPKfiiiSE_SE_iiiii@rel32@hi+12
	s_swappc_b64 s[30:31], s[0:1]
	s_endpgm
	.section	.rodata,"a",@progbits
	.p2align	6, 0x0
	.amdhsa_kernel _ZN4vllm25paged_attention_v2_kernelI14__hip_bfloat16S1_Li256ELi32ELi128ELNS_18Fp8KVCacheDataTypeE0ELb1ELi512EEEvPfS3_PT_PKS4_PKT0_SA_ifPKiSC_iPKfiiiSE_SE_iiiii
		.amdhsa_group_segment_fixed_size 528
		.amdhsa_private_segment_fixed_size 544
		.amdhsa_kernarg_size 400
		.amdhsa_user_sgpr_count 2
		.amdhsa_user_sgpr_dispatch_ptr 0
		.amdhsa_user_sgpr_queue_ptr 0
		.amdhsa_user_sgpr_kernarg_segment_ptr 1
		.amdhsa_user_sgpr_dispatch_id 0
		.amdhsa_user_sgpr_kernarg_preload_length 0
		.amdhsa_user_sgpr_kernarg_preload_offset 0
		.amdhsa_user_sgpr_private_segment_size 0
		.amdhsa_uses_dynamic_stack 0
		.amdhsa_enable_private_segment 1
		.amdhsa_system_sgpr_workgroup_id_x 1
		.amdhsa_system_sgpr_workgroup_id_y 1
		.amdhsa_system_sgpr_workgroup_id_z 1
		.amdhsa_system_sgpr_workgroup_info 0
		.amdhsa_system_vgpr_workitem_id 0
		.amdhsa_next_free_vgpr 128
		.amdhsa_next_free_sgpr 44
		.amdhsa_accum_offset 64
		.amdhsa_reserve_vcc 1
		.amdhsa_float_round_mode_32 0
		.amdhsa_float_round_mode_16_64 0
		.amdhsa_float_denorm_mode_32 3
		.amdhsa_float_denorm_mode_16_64 3
		.amdhsa_dx10_clamp 1
		.amdhsa_ieee_mode 1
		.amdhsa_fp16_overflow 0
		.amdhsa_tg_split 0
		.amdhsa_exception_fp_ieee_invalid_op 0
		.amdhsa_exception_fp_denorm_src 0
		.amdhsa_exception_fp_ieee_div_zero 0
		.amdhsa_exception_fp_ieee_overflow 0
		.amdhsa_exception_fp_ieee_underflow 0
		.amdhsa_exception_fp_ieee_inexact 0
		.amdhsa_exception_int_div_zero 0
	.end_amdhsa_kernel
	.section	.text._ZN4vllm25paged_attention_v2_kernelI14__hip_bfloat16S1_Li256ELi32ELi128ELNS_18Fp8KVCacheDataTypeE0ELb1ELi512EEEvPfS3_PT_PKS4_PKT0_SA_ifPKiSC_iPKfiiiSE_SE_iiiii,"axG",@progbits,_ZN4vllm25paged_attention_v2_kernelI14__hip_bfloat16S1_Li256ELi32ELi128ELNS_18Fp8KVCacheDataTypeE0ELb1ELi512EEEvPfS3_PT_PKS4_PKT0_SA_ifPKiSC_iPKfiiiSE_SE_iiiii,comdat
.Lfunc_end180:
	.size	_ZN4vllm25paged_attention_v2_kernelI14__hip_bfloat16S1_Li256ELi32ELi128ELNS_18Fp8KVCacheDataTypeE0ELb1ELi512EEEvPfS3_PT_PKS4_PKT0_SA_ifPKiSC_iPKfiiiSE_SE_iiiii, .Lfunc_end180-_ZN4vllm25paged_attention_v2_kernelI14__hip_bfloat16S1_Li256ELi32ELi128ELNS_18Fp8KVCacheDataTypeE0ELb1ELi512EEEvPfS3_PT_PKS4_PKT0_SA_ifPKiSC_iPKfiiiSE_SE_iiiii
                                        ; -- End function
	.section	.AMDGPU.csdata,"",@progbits
; Kernel info:
; codeLenInByte = 248
; NumSgprs: 50
; NumVgprs: 64
; NumAgprs: 64
; TotalNumVgprs: 128
; ScratchSize: 544
; MemoryBound: 0
; FloatMode: 240
; IeeeMode: 1
; LDSByteSize: 528 bytes/workgroup (compile time only)
; SGPRBlocks: 6
; VGPRBlocks: 15
; NumSGPRsForWavesPerEU: 50
; NumVGPRsForWavesPerEU: 128
; AccumOffset: 64
; Occupancy: 4
; WaveLimiterHint : 1
; COMPUTE_PGM_RSRC2:SCRATCH_EN: 1
; COMPUTE_PGM_RSRC2:USER_SGPR: 2
; COMPUTE_PGM_RSRC2:TRAP_HANDLER: 0
; COMPUTE_PGM_RSRC2:TGID_X_EN: 1
; COMPUTE_PGM_RSRC2:TGID_Y_EN: 1
; COMPUTE_PGM_RSRC2:TGID_Z_EN: 1
; COMPUTE_PGM_RSRC2:TIDIG_COMP_CNT: 0
; COMPUTE_PGM_RSRC3_GFX90A:ACCUM_OFFSET: 15
; COMPUTE_PGM_RSRC3_GFX90A:TG_SPLIT: 0
	.section	.text._ZN4vllm25paged_attention_v2_kernelI14__hip_bfloat16S1_Li32ELi32ELi128ELNS_18Fp8KVCacheDataTypeE0ELb0ELi512EEEvPfS3_PT_PKS4_PKT0_SA_ifPKiSC_iPKfiiiSE_SE_iiiii,"axG",@progbits,_ZN4vllm25paged_attention_v2_kernelI14__hip_bfloat16S1_Li32ELi32ELi128ELNS_18Fp8KVCacheDataTypeE0ELb0ELi512EEEvPfS3_PT_PKS4_PKT0_SA_ifPKiSC_iPKfiiiSE_SE_iiiii,comdat
	.protected	_ZN4vllm25paged_attention_v2_kernelI14__hip_bfloat16S1_Li32ELi32ELi128ELNS_18Fp8KVCacheDataTypeE0ELb0ELi512EEEvPfS3_PT_PKS4_PKT0_SA_ifPKiSC_iPKfiiiSE_SE_iiiii ; -- Begin function _ZN4vllm25paged_attention_v2_kernelI14__hip_bfloat16S1_Li32ELi32ELi128ELNS_18Fp8KVCacheDataTypeE0ELb0ELi512EEEvPfS3_PT_PKS4_PKT0_SA_ifPKiSC_iPKfiiiSE_SE_iiiii
	.globl	_ZN4vllm25paged_attention_v2_kernelI14__hip_bfloat16S1_Li32ELi32ELi128ELNS_18Fp8KVCacheDataTypeE0ELb0ELi512EEEvPfS3_PT_PKS4_PKT0_SA_ifPKiSC_iPKfiiiSE_SE_iiiii
	.p2align	8
	.type	_ZN4vllm25paged_attention_v2_kernelI14__hip_bfloat16S1_Li32ELi32ELi128ELNS_18Fp8KVCacheDataTypeE0ELb0ELi512EEEvPfS3_PT_PKS4_PKT0_SA_ifPKiSC_iPKfiiiSE_SE_iiiii,@function
_ZN4vllm25paged_attention_v2_kernelI14__hip_bfloat16S1_Li32ELi32ELi128ELNS_18Fp8KVCacheDataTypeE0ELb0ELi512EEEvPfS3_PT_PKS4_PKT0_SA_ifPKiSC_iPKfiiiSE_SE_iiiii: ; @_ZN4vllm25paged_attention_v2_kernelI14__hip_bfloat16S1_Li32ELi32ELi128ELNS_18Fp8KVCacheDataTypeE0ELb0ELi512EEEvPfS3_PT_PKS4_PKT0_SA_ifPKiSC_iPKfiiiSE_SE_iiiii
; %bb.0:
	s_load_dwordx2 s[6:7], s[0:1], 0x40
	s_mov_b32 s20, s3
	s_ashr_i32 s21, s3, 31
	s_lshl_b64 s[8:9], s[20:21], 2
	s_waitcnt lgkmcnt(0)
	s_add_u32 s6, s6, s8
	s_addc_u32 s7, s7, s9
	s_load_dword s33, s[6:7], 0x0
	s_lshl_b32 s40, s4, 9
	s_waitcnt lgkmcnt(0)
	s_cmp_ge_i32 s40, s33
	s_cbranch_scc1 .LBB181_163
; %bb.1:
	s_load_dword s21, s[0:1], 0x90
	s_load_dwordx2 s[10:11], s[0:1], 0x30
	s_waitcnt lgkmcnt(0)
	s_abs_i32 s6, s21
	s_abs_i32 s3, s10
	v_cvt_f32_u32_e32 v1, s3
	s_sub_i32 s7, 0, s3
	s_xor_b32 s5, s21, s10
	s_ashr_i32 s5, s5, 31
	v_rcp_iflag_f32_e32 v1, v1
	s_nop 0
	v_mul_f32_e32 v1, 0x4f7ffffe, v1
	v_cvt_u32_f32_e32 v1, v1
	s_nop 0
	v_readfirstlane_b32 s8, v1
	s_mul_i32 s7, s7, s8
	s_mul_hi_u32 s7, s8, s7
	s_add_i32 s8, s8, s7
	s_mul_hi_u32 s7, s6, s8
	s_mul_i32 s8, s7, s3
	s_sub_i32 s6, s6, s8
	s_add_i32 s9, s7, 1
	s_sub_i32 s8, s6, s3
	s_cmp_ge_u32 s6, s3
	s_cselect_b32 s7, s9, s7
	s_cselect_b32 s6, s8, s6
	s_add_i32 s8, s7, 1
	s_cmp_ge_u32 s6, s3
	s_cselect_b32 s3, s8, s7
	s_xor_b32 s3, s3, s5
	s_sub_i32 s12, s3, s5
	s_abs_i32 s8, s12
	v_cvt_f32_u32_e32 v1, s8
	s_load_dwordx2 s[6:7], s[0:1], 0x50
	s_sub_i32 s3, 0, s8
	s_abs_i32 s9, s2
	v_rcp_iflag_f32_e32 v1, v1
	s_mov_b32 s5, 0
	v_mul_f32_e32 v1, 0x4f7ffffe, v1
	v_cvt_u32_f32_e32 v1, v1
	s_nop 0
	v_readfirstlane_b32 s10, v1
	s_mul_i32 s3, s3, s10
	s_mul_hi_u32 s3, s10, s3
	s_add_i32 s10, s10, s3
	s_waitcnt lgkmcnt(0)
	s_cmp_eq_u64 s[6:7], 0
	s_mul_hi_u32 s10, s9, s10
	s_cbranch_scc1 .LBB181_3
; %bb.2:
	s_ashr_i32 s3, s2, 31
	s_lshl_b64 s[14:15], s[2:3], 2
	s_add_u32 s6, s6, s14
	s_addc_u32 s7, s7, s15
	s_load_dword s5, s[6:7], 0x0
.LBB181_3:
	s_ashr_i32 s17, s12, 31
	s_load_dwordx4 s[12:15], s[0:1], 0x58
	s_ashr_i32 s16, s2, 31
	v_and_b32_e32 v4, 1, v0
	s_lshl_b32 s22, s2, 5
	v_cmp_gt_u32_e32 vcc, 8, v0
	v_lshlrev_b32_e32 v6, 3, v0
	s_and_saveexec_b64 s[6:7], vcc
	s_cbranch_execz .LBB181_5
; %bb.4:
	s_load_dwordx2 s[18:19], s[0:1], 0x18
	s_waitcnt lgkmcnt(0)
	s_mul_i32 s24, s20, s12
	s_ashr_i32 s25, s24, 31
	s_lshl_b64 s[24:25], s[24:25], 1
	v_lshlrev_b32_e32 v1, 2, v0
	s_add_u32 s3, s18, s24
	s_addc_u32 s12, s19, s25
	s_ashr_i32 s23, s22, 31
	s_lshl_b64 s[18:19], s[22:23], 1
	s_add_u32 s18, s3, s18
	s_addc_u32 s19, s12, s19
	global_load_dwordx2 v[2:3], v6, s[18:19]
	v_and_b32_e32 v1, 0xff8, v1
	v_lshl_add_u32 v1, v4, 5, v1
	s_waitcnt vmcnt(0)
	ds_write_b64 v1, v[2:3]
.LBB181_5:
	s_or_b64 exec, exec, s[6:7]
	s_add_i32 s3, s33, 31
	s_ashr_i32 s6, s3, 31
	s_lshr_b32 s6, s6, 27
	s_add_i32 s3, s3, s6
	s_ashr_i32 s41, s3, 5
	s_lshl_b32 s3, s4, 4
	s_mul_i32 s7, s10, s8
	s_add_i32 s6, s3, 16
	s_sub_i32 s7, s9, s7
	s_min_i32 s23, s6, s41
	s_xor_b32 s6, s16, s17
	s_add_i32 s9, s10, 1
	s_waitcnt lgkmcnt(0)
	s_sub_i32 s12, s7, s8
	s_cmp_ge_u32 s7, s8
	s_cselect_b32 s9, s9, s10
	s_cselect_b32 s7, s12, s7
	s_add_i32 s10, s9, 1
	s_cmp_ge_u32 s7, s8
	s_load_dwordx2 s[26:27], s[0:1], 0x38
	s_load_dword s8, s[0:1], 0x48
	v_lshrrev_b32_e32 v7, 6, v0
	s_cselect_b32 s7, s10, s9
	s_xor_b32 s7, s7, s6
	v_or_b32_e32 v10, s3, v7
	s_waitcnt lgkmcnt(0)
	s_mul_i32 s28, s20, s8
	s_sub_i32 s10, s7, s6
	s_ashr_i32 s29, s28, 31
	v_cmp_gt_i32_e64 s[6:7], s23, v10
	v_cmp_le_i32_e32 vcc, s23, v10
	v_mbcnt_lo_u32_b32 v5, -1, 0
	s_barrier
	s_waitcnt lgkmcnt(0)
                                        ; implicit-def: $sgpr15
                                        ; implicit-def: $vgpr8
                                        ; implicit-def: $vgpr9
	s_and_saveexec_b64 s[8:9], vcc
	s_xor_b64 s[8:9], exec, s[8:9]
; %bb.6:
	v_mbcnt_hi_u32_b32 v8, -1, v5
	v_and_b32_e32 v1, 64, v8
	v_add_u32_e32 v9, 64, v1
	s_mov_b32 s15, 0xff7fffff
                                        ; implicit-def: $vgpr4
                                        ; implicit-def: $vgpr5
; %bb.7:
	s_or_saveexec_b64 s[34:35], s[8:9]
	s_load_dwordx4 s[16:19], s[0:1], 0x0
	s_load_dwordx2 s[24:25], s[0:1], 0x10
	s_load_dwordx2 s[30:31], s[0:1], 0x28
	s_load_dword s12, s[0:1], 0x98
	v_mov_b32_e32 v20, s15
	s_mul_i32 s14, s10, s14
	v_ashrrev_i32_e32 v11, 31, v10
	s_xor_b64 exec, exec, s[34:35]
	s_cbranch_execz .LBB181_13
; %bb.8:
	s_load_dwordx2 s[0:1], s[0:1], 0x20
	s_ashr_i32 s15, s14, 31
	s_lshl_b64 s[8:9], s[14:15], 1
	v_bfe_u32 v20, v0, 1, 5
	v_lshlrev_b32_e32 v2, 4, v20
	s_waitcnt lgkmcnt(0)
	s_add_u32 s0, s0, s8
	s_addc_u32 s1, s1, s9
	v_mov_b32_e32 v3, 0
	v_lshl_add_u64 v[8:9], s[0:1], 0, v[2:3]
	v_and_b32_e32 v2, 8, v6
	v_lshl_add_u64 v[2:3], v[8:9], 0, v[2:3]
	v_mbcnt_hi_u32_b32 v8, -1, v5
	v_lshlrev_b32_e32 v1, 5, v4
	v_and_b32_e32 v9, 64, v8
	ds_read_b128 v[16:19], v1
	ds_read_b128 v[24:27], v1 offset:16
	v_xor_b32_e32 v5, 1, v8
	v_add_u32_e32 v9, 64, v9
	v_cmp_lt_i32_e32 vcc, v5, v9
	s_sub_i32 s15, 1, s33
	s_lshl_b64 s[8:9], s[28:29], 2
	v_cndmask_b32_e32 v5, v8, v5, vcc
	v_cmp_eq_u32_e32 vcc, 0, v4
	v_lshlrev_b32_e32 v4, 5, v7
	v_add3_u32 v29, s40, v4, v20
	v_lshlrev_b32_e32 v4, 2, v20
	s_add_u32 s8, s26, s8
	v_lshl_or_b32 v4, v7, 7, v4
	s_addc_u32 s9, s27, s9
	s_mov_b32 s10, s13
	s_waitcnt lgkmcnt(1)
	v_lshlrev_b32_e32 v1, 16, v16
	v_and_b32_e32 v12, 0xffff0000, v16
	v_lshlrev_b32_e32 v13, 16, v17
	v_and_b32_e32 v14, 0xffff0000, v17
	v_lshlrev_b32_e32 v15, 16, v18
	v_and_b32_e32 v16, 0xffff0000, v18
	v_lshlrev_b32_e32 v17, 16, v19
	v_and_b32_e32 v18, 0xffff0000, v19
	s_waitcnt lgkmcnt(0)
	v_lshlrev_b32_e32 v19, 16, v24
	v_and_b32_e32 v21, 0xffff0000, v24
	v_lshlrev_b32_e32 v22, 16, v25
	v_and_b32_e32 v23, 0xffff0000, v25
	;; [unrolled: 2-line block ×4, first 2 shown]
	v_lshlrev_b32_e32 v28, 2, v5
	v_cmp_neq_f32_e64 s[0:1], s5, 0
	v_add_u32_e32 v30, 0x50, v4
	v_lshl_add_u64 v[4:5], v[10:11], 2, s[8:9]
	s_mov_b64 s[36:37], 0
	v_mov_b32_e32 v20, 0xff7fffff
	v_mov_b32_e32 v31, v10
	s_branch .LBB181_10
.LBB181_9:                              ;   in Loop: Header=BB181_10 Depth=1
	s_or_b64 exec, exec, s[38:39]
	v_add_u32_e32 v31, 2, v31
	v_cmp_le_i32_e64 s[8:9], s23, v31
	v_add_u32_e32 v29, 64, v29
	v_add_u32_e32 v30, 0x100, v30
	s_or_b64 s[36:37], s[8:9], s[36:37]
	v_lshl_add_u64 v[4:5], v[4:5], 0, 8
	s_andn2_b64 exec, exec, s[36:37]
	s_cbranch_execz .LBB181_12
.LBB181_10:                             ; =>This Inner Loop Header: Depth=1
	global_load_dword v32, v[4:5], off
	s_waitcnt vmcnt(0) lgkmcnt(0)
	v_mad_i64_i32 v[32:33], s[8:9], v32, s10, 0
	v_lshl_add_u64 v[32:33], v[32:33], 1, v[2:3]
	global_load_dwordx2 v[34:35], v[32:33], off
	global_load_dwordx2 v[36:37], v[32:33], off offset:512
	global_load_dwordx2 v[38:39], v[32:33], off offset:1024
	;; [unrolled: 1-line block ×3, first 2 shown]
	s_waitcnt vmcnt(3)
	v_lshlrev_b32_e32 v32, 16, v34
	s_waitcnt vmcnt(2)
	v_lshlrev_b32_e32 v42, 16, v36
	v_and_b32_e32 v36, 0xffff0000, v36
	v_and_b32_e32 v33, 0xffff0000, v34
	v_lshlrev_b32_e32 v43, 16, v37
	v_mul_f32_e32 v42, v15, v42
	v_mul_f32_e32 v36, v16, v36
	v_lshlrev_b32_e32 v34, 16, v35
	v_and_b32_e32 v37, 0xffff0000, v37
	s_waitcnt vmcnt(1)
	v_lshlrev_b32_e32 v44, 16, v38
	v_and_b32_e32 v38, 0xffff0000, v38
	v_mul_f32_e32 v43, v17, v43
	v_fmac_f32_e32 v42, v1, v32
	v_fmac_f32_e32 v36, v12, v33
	v_and_b32_e32 v35, 0xffff0000, v35
	v_lshlrev_b32_e32 v45, 16, v39
	s_waitcnt vmcnt(0)
	v_lshlrev_b32_e32 v46, 16, v40
	v_and_b32_e32 v40, 0xffff0000, v40
	v_mul_f32_e32 v37, v18, v37
	v_fmac_f32_e32 v43, v13, v34
	v_fmac_f32_e32 v42, v19, v44
	;; [unrolled: 1-line block ×3, first 2 shown]
	v_and_b32_e32 v39, 0xffff0000, v39
	v_lshlrev_b32_e32 v47, 16, v41
	v_fmac_f32_e32 v37, v14, v35
	v_fmac_f32_e32 v43, v22, v45
	v_fmac_f32_e32 v42, v24, v46
	v_fmac_f32_e32 v36, v25, v40
	v_and_b32_e32 v41, 0xffff0000, v41
	v_fmac_f32_e32 v37, v23, v39
	v_fmac_f32_e32 v43, v26, v47
	v_add_f32_e32 v32, v42, v36
	v_fmac_f32_e32 v37, v27, v41
	v_add_f32_e32 v32, v32, v43
	v_add_f32_e32 v32, v37, v32
	ds_bpermute_b32 v33, v28, v32
	s_and_saveexec_b64 s[38:39], vcc
	s_cbranch_execz .LBB181_9
; %bb.11:                               ;   in Loop: Header=BB181_10 Depth=1
	v_add_u32_e32 v34, s15, v29
	v_cvt_f32_i32_e32 v34, v34
	s_waitcnt lgkmcnt(0)
	v_add_f32_e32 v32, v32, v33
	v_cmp_gt_i32_e64 s[8:9], s33, v29
	v_max_f32_e32 v33, v20, v20
	v_mul_f32_e32 v34, s5, v34
	v_cndmask_b32_e64 v34, 0, v34, s[0:1]
	v_fmac_f32_e32 v34, s11, v32
	v_cndmask_b32_e64 v32, 0, v34, s[8:9]
	ds_write_b32 v30, v32
	v_max_f32_e32 v32, v33, v34
	v_cndmask_b32_e64 v20, v20, v32, s[8:9]
	s_branch .LBB181_9
.LBB181_12:
	s_or_b64 exec, exec, s[36:37]
.LBB181_13:
	s_or_b64 exec, exec, s[34:35]
	v_xor_b32_e32 v1, 32, v8
	v_cmp_lt_i32_e32 vcc, v1, v9
	v_xor_b32_e32 v4, 16, v8
	v_max_f32_e32 v3, v20, v20
	v_cndmask_b32_e32 v1, v8, v1, vcc
	v_lshlrev_b32_e32 v2, 2, v1
	ds_bpermute_b32 v1, v2, v20
	v_cmp_lt_i32_e32 vcc, v4, v9
	v_xor_b32_e32 v5, 8, v8
	v_xor_b32_e32 v12, 4, v8
	;; [unrolled: 1-line block ×3, first 2 shown]
	s_waitcnt lgkmcnt(0)
	v_max_f32_e32 v1, v1, v1
	v_max_f32_e32 v1, v3, v1
	v_cndmask_b32_e32 v3, v8, v4, vcc
	v_lshlrev_b32_e32 v3, 2, v3
	ds_bpermute_b32 v4, v3, v1
	v_cmp_lt_i32_e32 vcc, v5, v9
	s_waitcnt lgkmcnt(0)
	v_max_f32_e32 v4, v4, v4
	v_max_f32_e32 v1, v1, v4
	v_cndmask_b32_e32 v4, v8, v5, vcc
	v_lshlrev_b32_e32 v5, 2, v4
	ds_bpermute_b32 v4, v5, v1
	v_cmp_lt_i32_e32 vcc, v12, v9
	;; [unrolled: 7-line block ×3, first 2 shown]
	s_waitcnt lgkmcnt(0)
	v_max_f32_e32 v4, v4, v4
	v_max_f32_e32 v4, v1, v4
	v_cndmask_b32_e32 v1, v8, v13, vcc
	v_lshlrev_b32_e32 v20, 2, v1
	ds_bpermute_b32 v14, v20, v4
	v_and_b32_e32 v1, 63, v0
	v_cmp_eq_u32_e32 vcc, 0, v1
	v_lshlrev_b32_e32 v13, 2, v7
	s_and_saveexec_b64 s[0:1], vcc
	s_cbranch_execz .LBB181_15
; %bb.14:
	s_waitcnt lgkmcnt(0)
	v_max_f32_e32 v14, v14, v14
	v_max_f32_e32 v4, v4, v4
	;; [unrolled: 1-line block ×3, first 2 shown]
	ds_write_b32 v13, v4 offset:64
.LBB181_15:
	s_or_b64 exec, exec, s[0:1]
	v_cmp_gt_u32_e64 s[0:1], 2, v1
	v_mov_b32_e32 v4, 0xff7fffff
	s_waitcnt lgkmcnt(0)
	v_lshlrev_b32_e32 v14, 2, v1
	s_barrier
	s_and_saveexec_b64 s[8:9], s[0:1]
	s_cbranch_execz .LBB181_17
; %bb.16:
	ds_read_b32 v4, v14 offset:64
.LBB181_17:
	s_or_b64 exec, exec, s[8:9]
	v_xor_b32_e32 v15, 1, v8
	v_cmp_lt_i32_e64 s[8:9], v15, v9
	s_sub_i32 s3, s23, s3
	s_lshl_b32 s3, s3, 5
	v_cndmask_b32_e64 v9, v8, v15, s[8:9]
	v_lshlrev_b32_e32 v21, 2, v9
	s_waitcnt lgkmcnt(0)
	ds_bpermute_b32 v9, v21, v4
	v_max_f32_e32 v4, v4, v4
	v_lshlrev_b32_e32 v8, 2, v8
	v_and_b32_e32 v8, 0xffffff00, v8
	s_add_i32 s3, s3, s40
	s_waitcnt lgkmcnt(0)
	v_max_f32_e32 v9, v9, v9
	v_max_f32_e32 v4, v4, v9
	ds_bpermute_b32 v4, v8, v4
	s_min_i32 s5, s3, s33
	s_sub_i32 s3, s5, s40
	v_cmp_gt_i32_e64 s[8:9], s3, v0
	v_mov_b32_e32 v9, 0
	s_and_saveexec_b64 s[34:35], s[8:9]
	s_cbranch_execz .LBB181_21
; %bb.18:
	v_mov_b32_e32 v9, 0x50
	v_lshl_add_u32 v15, v0, 2, v9
	s_mov_b64 s[36:37], 0
	v_mov_b32_e32 v9, 0
	v_mov_b32_e32 v16, v0
.LBB181_19:                             ; =>This Inner Loop Header: Depth=1
	ds_read_b32 v17, v15
	v_add_u32_e32 v16, 0x80, v16
	v_cmp_le_i32_e64 s[10:11], s3, v16
	s_or_b64 s[36:37], s[10:11], s[36:37]
	s_waitcnt lgkmcnt(0)
	v_sub_f32_e32 v17, v17, v4
	v_mul_f32_e32 v17, 0x3fb8aa3b, v17
	v_exp_f32_e32 v17, v17
	ds_write_b32 v15, v17
	v_add_f32_e32 v9, v9, v17
	v_add_u32_e32 v15, 0x200, v15
	s_andn2_b64 exec, exec, s[36:37]
	s_cbranch_execnz .LBB181_19
; %bb.20:
	s_or_b64 exec, exec, s[36:37]
.LBB181_21:
	s_or_b64 exec, exec, s[34:35]
	ds_bpermute_b32 v2, v2, v9
	s_waitcnt lgkmcnt(0)
	v_add_f32_e32 v2, v9, v2
	ds_bpermute_b32 v3, v3, v2
	s_waitcnt lgkmcnt(0)
	v_add_f32_e32 v2, v2, v3
	ds_bpermute_b32 v3, v5, v2
	s_waitcnt lgkmcnt(0)
	v_add_f32_e32 v2, v2, v3
	ds_bpermute_b32 v3, v12, v2
	s_waitcnt lgkmcnt(0)
	v_add_f32_e32 v2, v2, v3
	ds_bpermute_b32 v3, v20, v2
	s_waitcnt lgkmcnt(0)
	v_add_f32_e32 v2, v2, v3
	ds_bpermute_b32 v3, v21, v2
	s_waitcnt lgkmcnt(0)
	v_add_f32_e32 v2, v2, v3
	s_and_saveexec_b64 s[10:11], vcc
	s_cbranch_execz .LBB181_23
; %bb.22:
	ds_write_b32 v13, v2 offset:72
.LBB181_23:
	s_or_b64 exec, exec, s[10:11]
	s_waitcnt lgkmcnt(0)
	s_barrier
	s_and_saveexec_b64 s[10:11], s[0:1]
	s_cbranch_execz .LBB181_25
; %bb.24:
	ds_read_b32 v2, v14 offset:72
.LBB181_25:
	s_or_b64 exec, exec, s[10:11]
	s_waitcnt lgkmcnt(0)
	ds_bpermute_b32 v3, v21, v2
	s_waitcnt lgkmcnt(0)
	v_add_f32_e32 v2, v2, v3
	ds_bpermute_b32 v5, v8, v2
	s_and_saveexec_b64 s[0:1], s[8:9]
	s_cbranch_execz .LBB181_38
; %bb.26:
	s_waitcnt lgkmcnt(0)
	v_add_f32_e32 v2, 0x358637bd, v5
	v_div_scale_f32 v3, s[8:9], v2, v2, 1.0
	v_rcp_f32_e32 v8, v3
	v_div_scale_f32 v9, vcc, 1.0, v2, 1.0
	s_mov_b64 s[10:11], -1
	v_fma_f32 v12, -v3, v8, 1.0
	v_fmac_f32_e32 v8, v12, v8
	v_mul_f32_e32 v12, v9, v8
	v_fma_f32 v13, -v3, v12, v9
	v_fmac_f32_e32 v12, v13, v8
	v_fma_f32 v3, -v3, v12, v9
	v_div_fmas_f32 v3, v3, v8, v12
	v_div_fixup_f32 v2, v3, v2, 1.0
	v_xad_u32 v3, v0, -1, s5
	v_subrev_u32_e32 v8, s40, v3
	s_movk_i32 s5, 0x7f
	v_cmp_lt_u32_e32 vcc, s5, v8
	v_mov_b32_e32 v3, v0
	s_and_saveexec_b64 s[8:9], vcc
	s_cbranch_execz .LBB181_35
; %bb.27:
	v_lshrrev_b32_e32 v8, 7, v8
	v_add_u32_e32 v12, -1, v8
	v_lshrrev_b32_e32 v9, 1, v12
	v_mov_b32_e32 v3, v2
	v_add_u32_e32 v9, 1, v9
	v_cmp_lt_u32_e32 vcc, 13, v12
	v_mov_b32_e32 v14, 0
	s_and_saveexec_b64 s[10:11], vcc
	s_cbranch_execz .LBB181_31
; %bb.28:
	v_mov_b32_e32 v13, 0x50
	v_and_b32_e32 v12, -8, v9
	v_lshl_add_u32 v13, v0, 2, v13
	s_mov_b32 s5, 0
	s_mov_b64 s[34:35], 0
.LBB181_29:                             ; =>This Inner Loop Header: Depth=1
	ds_read2st64_b32 v[14:15], v13 offset1:2
	ds_read2st64_b32 v[16:17], v13 offset0:4 offset1:6
	ds_read2st64_b32 v[18:19], v13 offset0:8 offset1:10
	;; [unrolled: 1-line block ×3, first 2 shown]
	v_add_u32_e32 v12, -8, v12
	s_waitcnt lgkmcnt(3)
	v_pk_mul_f32 v[14:15], v[2:3], v[14:15]
	s_waitcnt lgkmcnt(2)
	v_pk_mul_f32 v[16:17], v[2:3], v[16:17]
	ds_write2st64_b32 v13, v14, v15 offset1:2
	ds_write2st64_b32 v13, v16, v17 offset0:4 offset1:6
	ds_read2st64_b32 v[16:17], v13 offset0:16 offset1:18
	s_waitcnt lgkmcnt(4)
	v_pk_mul_f32 v[14:15], v[2:3], v[18:19]
	ds_write2st64_b32 v13, v14, v15 offset0:8 offset1:10
	s_waitcnt lgkmcnt(4)
	v_pk_mul_f32 v[14:15], v[2:3], v[22:23]
	ds_write2st64_b32 v13, v14, v15 offset0:12 offset1:14
	ds_read2st64_b32 v[14:15], v13 offset0:20 offset1:22
	s_waitcnt lgkmcnt(3)
	v_pk_mul_f32 v[16:17], v[2:3], v[16:17]
	ds_read2st64_b32 v[18:19], v13 offset0:24 offset1:26
	ds_write2st64_b32 v13, v16, v17 offset0:16 offset1:18
	ds_read2st64_b32 v[16:17], v13 offset0:28 offset1:30
	s_waitcnt lgkmcnt(3)
	v_pk_mul_f32 v[14:15], v[2:3], v[14:15]
	ds_write2st64_b32 v13, v14, v15 offset0:20 offset1:22
	s_waitcnt lgkmcnt(3)
	v_pk_mul_f32 v[14:15], v[2:3], v[18:19]
	ds_write2st64_b32 v13, v14, v15 offset0:24 offset1:26
	s_waitcnt lgkmcnt(2)
	v_pk_mul_f32 v[14:15], v[2:3], v[16:17]
	s_add_i32 s5, s5, 16
	v_cmp_eq_u32_e32 vcc, 0, v12
	ds_write2st64_b32 v13, v14, v15 offset0:28 offset1:30
	v_add_u32_e32 v13, 0x2000, v13
	s_or_b64 s[34:35], vcc, s[34:35]
	v_mov_b32_e32 v14, s5
	s_andn2_b64 exec, exec, s[34:35]
	s_cbranch_execnz .LBB181_29
; %bb.30:
	s_or_b64 exec, exec, s[34:35]
.LBB181_31:
	s_or_b64 exec, exec, s[10:11]
	v_and_b32_e32 v9, 7, v9
	v_cmp_ne_u32_e32 vcc, 0, v9
	s_and_saveexec_b64 s[10:11], vcc
	s_cbranch_execz .LBB181_34
; %bb.32:
	v_lshlrev_b32_e32 v12, 9, v14
	v_lshlrev_b32_e32 v13, 2, v0
	s_movk_i32 s5, 0x50
	v_add3_u32 v12, v12, v13, s5
	s_mov_b64 s[34:35], 0
.LBB181_33:                             ; =>This Inner Loop Header: Depth=1
	ds_read2st64_b32 v[14:15], v12 offset1:2
	v_add_u32_e32 v9, -1, v9
	v_cmp_eq_u32_e32 vcc, 0, v9
	s_or_b64 s[34:35], vcc, s[34:35]
	s_waitcnt lgkmcnt(0)
	v_pk_mul_f32 v[14:15], v[2:3], v[14:15]
	ds_write2st64_b32 v12, v14, v15 offset1:2
	v_add_u32_e32 v12, 0x400, v12
	s_andn2_b64 exec, exec, s[34:35]
	s_cbranch_execnz .LBB181_33
.LBB181_34:
	s_or_b64 exec, exec, s[10:11]
	v_add_u32_e32 v8, 1, v8
	v_and_b32_e32 v9, 0x3fffffe, v8
	v_cmp_ne_u32_e32 vcc, v8, v9
	v_lshl_add_u32 v3, v9, 7, v0
	s_orn2_b64 s[10:11], vcc, exec
.LBB181_35:
	s_or_b64 exec, exec, s[8:9]
	s_and_b64 exec, exec, s[10:11]
	s_cbranch_execz .LBB181_38
; %bb.36:
	v_mov_b32_e32 v8, 0x50
	v_lshl_add_u32 v8, v3, 2, v8
	s_mov_b64 s[8:9], 0
.LBB181_37:                             ; =>This Inner Loop Header: Depth=1
	ds_read_b32 v9, v8
	v_add_u32_e32 v3, 0x80, v3
	v_cmp_le_i32_e32 vcc, s3, v3
	s_or_b64 s[8:9], vcc, s[8:9]
	s_waitcnt lgkmcnt(0)
	v_mul_f32_e32 v9, v2, v9
	ds_write_b32 v8, v9
	v_add_u32_e32 v8, 0x200, v8
	s_andn2_b64 exec, exec, s[8:9]
	s_cbranch_execnz .LBB181_37
.LBB181_38:
	s_or_b64 exec, exec, s[0:1]
	v_cmp_eq_u32_e32 vcc, 0, v0
	s_waitcnt lgkmcnt(0)
	s_barrier
	s_and_saveexec_b64 s[0:1], vcc
	s_cbranch_execz .LBB181_40
; %bb.39:
	s_mul_i32 s3, s12, s20
	s_mul_i32 s8, s3, s21
	s_ashr_i32 s9, s8, 31
	s_lshl_b64 s[8:9], s[8:9], 2
	s_add_u32 s5, s18, s8
	s_mul_i32 s2, s12, s2
	s_addc_u32 s10, s19, s9
	s_ashr_i32 s3, s2, 31
	s_lshl_b64 s[2:3], s[2:3], 2
	s_add_u32 s15, s5, s2
	s_addc_u32 s19, s10, s3
	s_ashr_i32 s5, s4, 31
	s_lshl_b64 s[10:11], s[4:5], 2
	s_add_u32 s18, s15, s10
	s_addc_u32 s19, s19, s11
	s_add_u32 s5, s16, s8
	s_addc_u32 s8, s17, s9
	;; [unrolled: 2-line block ×3, first 2 shown]
	s_add_u32 s2, s2, s10
	v_mov_b32_e32 v2, 0
	s_addc_u32 s3, s3, s11
	global_store_dword v2, v4, s[18:19]
	global_store_dword v2, v5, s[2:3]
.LBB181_40:
	s_or_b64 exec, exec, s[0:1]
	v_mov_b32_e32 v13, 0
	v_and_b32_e32 v22, 3, v0
	v_mov_b32_e32 v12, v13
	s_and_saveexec_b64 s[2:3], s[6:7]
	s_cbranch_execz .LBB181_144
; %bb.41:
	s_ashr_i32 s15, s14, 31
	s_lshl_b64 s[0:1], s[14:15], 1
	s_add_u32 s0, s30, s0
	v_lshlrev_b32_e32 v3, 4, v0
	s_addc_u32 s1, s31, s1
	v_and_b32_e32 v14, 0x3f0, v3
	v_mov_b32_e32 v15, 0
	v_and_b32_e32 v2, 24, v6
	s_add_i32 s10, s41, -1
	v_lshl_add_u64 v[16:17], s[0:1], 0, v[14:15]
	v_lshl_add_u32 v3, v7, 5, s40
	s_lshl_b64 s[0:1], s[28:29], 2
	v_add3_u32 v14, v3, v2, 7
	v_lshlrev_b32_e32 v2, 5, v22
	s_add_u32 s0, s26, s0
	v_lshl_or_b32 v2, v7, 7, v2
	s_addc_u32 s1, s27, s1
	s_mov_b32 s5, s13
	v_add_u32_e32 v23, 0x50, v2
	v_lshl_add_u64 v[18:19], v[10:11], 2, s[0:1]
	s_mov_b64 s[6:7], 0
	s_mov_b32 s11, 0x7f800000
	s_movk_i32 s13, 0x7fff
	v_mov_b32_e32 v12, 0
	v_mov_b32_e32 v13, v15
	s_branch .LBB181_43
.LBB181_42:                             ;   in Loop: Header=BB181_43 Depth=1
	s_or_b64 exec, exec, s[0:1]
	v_and_b32_e32 v30, 0xffff0000, v26
	v_and_b32_e32 v26, 0xffff0000, v25
	;; [unrolled: 1-line block ×6, first 2 shown]
	v_pk_add_f32 v[8:9], v[8:9], v[24:25]
	v_and_b32_e32 v31, 0xffff0000, v35
	v_and_b32_e32 v27, 0xffff0000, v27
	v_mov_b32_e32 v24, v9
	v_pk_add_f32 v[8:9], v[8:9], v[24:25]
	v_pk_add_f32 v[24:25], v[26:27], v[30:31]
	v_and_b32_e32 v27, 0xffff0000, v28
	v_and_b32_e32 v26, 0xffff0000, v7
	;; [unrolled: 1-line block ×4, first 2 shown]
	v_pk_add_f32 v[8:9], v[8:9], v[24:25]
	v_mov_b32_e32 v24, v25
	v_pk_add_f32 v[2:3], v[2:3], v[26:27]
	v_pk_add_f32 v[8:9], v[8:9], v[24:25]
	v_and_b32_e32 v25, 0xffff0000, v6
	v_and_b32_e32 v24, 0xffff0000, v29
	;; [unrolled: 1-line block ×4, first 2 shown]
	v_mov_b32_e32 v6, v3
	v_pk_add_f32 v[2:3], v[2:3], v[6:7]
	v_pk_add_f32 v[4:5], v[4:5], v[24:25]
	v_add_u32_e32 v10, 2, v10
	v_pk_add_f32 v[2:3], v[2:3], v[4:5]
	v_mov_b32_e32 v4, v5
	v_pk_add_f32 v[2:3], v[2:3], v[4:5]
	v_pk_add_f32 v[8:9], v[12:13], v[8:9]
	v_mov_b32_e32 v3, v2
	v_pk_add_f32 v[12:13], v[12:13], v[2:3]
	v_cmp_le_i32_e32 vcc, s23, v10
	v_mov_b32_e32 v12, v8
	v_add_u32_e32 v14, 64, v14
	v_add_u32_e32 v23, 0x100, v23
	s_or_b64 s[6:7], vcc, s[6:7]
	v_lshl_add_u64 v[18:19], v[18:19], 0, 8
	s_andn2_b64 exec, exec, s[6:7]
	s_cbranch_execz .LBB181_143
.LBB181_43:                             ; =>This Inner Loop Header: Depth=1
	global_load_dword v28, v[18:19], off
	ds_read2_b64 v[6:9], v23 offset1:1
	ds_read2_b64 v[2:5], v23 offset0:2 offset1:3
                                        ; implicit-def: $vgpr36
	s_waitcnt lgkmcnt(1)
	v_and_b32_e32 v11, 0x7f800000, v6
	v_cmp_ne_u32_e32 vcc, s11, v11
	s_and_saveexec_b64 s[0:1], vcc
	s_xor_b64 s[0:1], exec, s[0:1]
; %bb.44:                               ;   in Loop: Header=BB181_43 Depth=1
	v_bfe_u32 v11, v6, 16, 1
	v_add3_u32 v36, v6, v11, s13
; %bb.45:                               ;   in Loop: Header=BB181_43 Depth=1
	s_andn2_saveexec_b64 s[0:1], s[0:1]
; %bb.46:                               ;   in Loop: Header=BB181_43 Depth=1
	v_or_b32_e32 v11, 0x10000, v6
	v_cmp_eq_u32_sdwa vcc, v6, v15 src0_sel:WORD_0 src1_sel:DWORD
	s_nop 1
	v_cndmask_b32_e32 v36, v11, v6, vcc
; %bb.47:                               ;   in Loop: Header=BB181_43 Depth=1
	s_or_b64 exec, exec, s[0:1]
	v_and_b32_e32 v6, 0x7f800000, v7
	v_cmp_ne_u32_e32 vcc, s11, v6
                                        ; implicit-def: $vgpr37
	s_and_saveexec_b64 s[0:1], vcc
	s_xor_b64 s[0:1], exec, s[0:1]
; %bb.48:                               ;   in Loop: Header=BB181_43 Depth=1
	v_bfe_u32 v6, v7, 16, 1
	v_add3_u32 v37, v7, v6, s13
; %bb.49:                               ;   in Loop: Header=BB181_43 Depth=1
	s_andn2_saveexec_b64 s[0:1], s[0:1]
; %bb.50:                               ;   in Loop: Header=BB181_43 Depth=1
	v_or_b32_e32 v6, 0x10000, v7
	v_cmp_eq_u32_sdwa vcc, v7, v15 src0_sel:WORD_0 src1_sel:DWORD
	s_nop 1
	v_cndmask_b32_e32 v37, v6, v7, vcc
; %bb.51:                               ;   in Loop: Header=BB181_43 Depth=1
	s_or_b64 exec, exec, s[0:1]
	v_and_b32_e32 v6, 0x7f800000, v8
	v_cmp_ne_u32_e32 vcc, s11, v6
                                        ; implicit-def: $vgpr11
	s_and_saveexec_b64 s[0:1], vcc
	s_xor_b64 s[0:1], exec, s[0:1]
; %bb.52:                               ;   in Loop: Header=BB181_43 Depth=1
	v_bfe_u32 v6, v8, 16, 1
	v_add3_u32 v11, v8, v6, s13
; %bb.53:                               ;   in Loop: Header=BB181_43 Depth=1
	s_andn2_saveexec_b64 s[0:1], s[0:1]
; %bb.54:                               ;   in Loop: Header=BB181_43 Depth=1
	v_or_b32_e32 v6, 0x10000, v8
	v_cmp_eq_u32_sdwa vcc, v8, v15 src0_sel:WORD_0 src1_sel:DWORD
	s_nop 1
	v_cndmask_b32_e32 v11, v6, v8, vcc
; %bb.55:                               ;   in Loop: Header=BB181_43 Depth=1
	s_or_b64 exec, exec, s[0:1]
	v_and_b32_e32 v6, 0x7f800000, v9
	v_cmp_ne_u32_e32 vcc, s11, v6
                                        ; implicit-def: $vgpr24
	s_and_saveexec_b64 s[0:1], vcc
	s_xor_b64 s[0:1], exec, s[0:1]
; %bb.56:                               ;   in Loop: Header=BB181_43 Depth=1
	v_bfe_u32 v6, v9, 16, 1
	v_add3_u32 v24, v9, v6, s13
                                        ; implicit-def: $vgpr6_vgpr7_vgpr8_vgpr9
; %bb.57:                               ;   in Loop: Header=BB181_43 Depth=1
	s_andn2_saveexec_b64 s[0:1], s[0:1]
; %bb.58:                               ;   in Loop: Header=BB181_43 Depth=1
	v_or_b32_e32 v6, 0x10000, v9
	v_cmp_eq_u32_sdwa vcc, v9, v15 src0_sel:WORD_0 src1_sel:DWORD
	s_nop 1
	v_cndmask_b32_e32 v24, v6, v9, vcc
; %bb.59:                               ;   in Loop: Header=BB181_43 Depth=1
	s_or_b64 exec, exec, s[0:1]
	s_waitcnt lgkmcnt(0)
	v_and_b32_e32 v6, 0x7f800000, v2
	v_cmp_ne_u32_e32 vcc, s11, v6
                                        ; implicit-def: $vgpr25
	s_and_saveexec_b64 s[0:1], vcc
	s_xor_b64 s[0:1], exec, s[0:1]
; %bb.60:                               ;   in Loop: Header=BB181_43 Depth=1
	v_bfe_u32 v6, v2, 16, 1
	v_add3_u32 v25, v2, v6, s13
; %bb.61:                               ;   in Loop: Header=BB181_43 Depth=1
	s_andn2_saveexec_b64 s[0:1], s[0:1]
; %bb.62:                               ;   in Loop: Header=BB181_43 Depth=1
	v_or_b32_e32 v6, 0x10000, v2
	v_cmp_eq_u32_sdwa vcc, v2, v15 src0_sel:WORD_0 src1_sel:DWORD
	s_nop 1
	v_cndmask_b32_e32 v25, v6, v2, vcc
; %bb.63:                               ;   in Loop: Header=BB181_43 Depth=1
	s_or_b64 exec, exec, s[0:1]
	v_and_b32_e32 v2, 0x7f800000, v3
	v_cmp_ne_u32_e32 vcc, s11, v2
                                        ; implicit-def: $vgpr26
	s_and_saveexec_b64 s[0:1], vcc
	s_xor_b64 s[0:1], exec, s[0:1]
; %bb.64:                               ;   in Loop: Header=BB181_43 Depth=1
	v_bfe_u32 v2, v3, 16, 1
	v_add3_u32 v26, v3, v2, s13
; %bb.65:                               ;   in Loop: Header=BB181_43 Depth=1
	s_andn2_saveexec_b64 s[0:1], s[0:1]
; %bb.66:                               ;   in Loop: Header=BB181_43 Depth=1
	v_or_b32_e32 v2, 0x10000, v3
	v_cmp_eq_u32_sdwa vcc, v3, v15 src0_sel:WORD_0 src1_sel:DWORD
	s_nop 1
	v_cndmask_b32_e32 v26, v2, v3, vcc
; %bb.67:                               ;   in Loop: Header=BB181_43 Depth=1
	s_or_b64 exec, exec, s[0:1]
	v_and_b32_e32 v2, 0x7f800000, v4
	v_cmp_ne_u32_e32 vcc, s11, v2
                                        ; implicit-def: $vgpr27
	s_and_saveexec_b64 s[0:1], vcc
	s_xor_b64 s[0:1], exec, s[0:1]
; %bb.68:                               ;   in Loop: Header=BB181_43 Depth=1
	v_bfe_u32 v2, v4, 16, 1
	v_add3_u32 v27, v4, v2, s13
; %bb.69:                               ;   in Loop: Header=BB181_43 Depth=1
	s_andn2_saveexec_b64 s[0:1], s[0:1]
; %bb.70:                               ;   in Loop: Header=BB181_43 Depth=1
	v_or_b32_e32 v2, 0x10000, v4
	v_cmp_eq_u32_sdwa vcc, v4, v15 src0_sel:WORD_0 src1_sel:DWORD
	s_nop 1
	v_cndmask_b32_e32 v27, v2, v4, vcc
; %bb.71:                               ;   in Loop: Header=BB181_43 Depth=1
	s_or_b64 exec, exec, s[0:1]
	v_and_b32_e32 v2, 0x7f800000, v5
	v_cmp_ne_u32_e32 vcc, s11, v2
                                        ; implicit-def: $vgpr35
	s_and_saveexec_b64 s[0:1], vcc
	s_xor_b64 s[0:1], exec, s[0:1]
; %bb.72:                               ;   in Loop: Header=BB181_43 Depth=1
	v_bfe_u32 v2, v5, 16, 1
	v_add3_u32 v35, v5, v2, s13
                                        ; implicit-def: $vgpr2_vgpr3_vgpr4_vgpr5
; %bb.73:                               ;   in Loop: Header=BB181_43 Depth=1
	s_andn2_saveexec_b64 s[0:1], s[0:1]
; %bb.74:                               ;   in Loop: Header=BB181_43 Depth=1
	v_or_b32_e32 v2, 0x10000, v5
	v_cmp_eq_u32_sdwa vcc, v5, v15 src0_sel:WORD_0 src1_sel:DWORD
	s_nop 1
	v_cndmask_b32_e32 v35, v2, v5, vcc
; %bb.75:                               ;   in Loop: Header=BB181_43 Depth=1
	s_or_b64 exec, exec, s[0:1]
	s_waitcnt vmcnt(0)
	v_mad_i64_i32 v[2:3], s[0:1], v28, s5, 0
	v_lshl_add_u64 v[6:7], v[2:3], 1, v[16:17]
	global_load_dwordx4 v[2:5], v[6:7], off
	v_add_u32_e32 v28, -7, v14
	v_cmp_eq_u32_e32 vcc, s10, v10
	v_add_u32_e32 v34, -6, v14
	v_add_u32_e32 v32, -5, v14
	;; [unrolled: 1-line block ×6, first 2 shown]
	s_waitcnt vmcnt(0)
	v_lshrrev_b32_e32 v9, 16, v2
	v_lshrrev_b32_e32 v40, 16, v3
	;; [unrolled: 1-line block ×4, first 2 shown]
	s_and_saveexec_b64 s[8:9], vcc
	s_cbranch_execz .LBB181_77
; %bb.76:                               ;   in Loop: Header=BB181_43 Depth=1
	v_cmp_gt_i32_e64 s[0:1], s33, v28
	s_nop 1
	v_cndmask_b32_e64 v2, 0, v2, s[0:1]
	v_cmp_gt_i32_e64 s[0:1], s33, v34
	s_nop 1
	v_cndmask_b32_e64 v9, 0, v9, s[0:1]
	;; [unrolled: 3-line block ×8, first 2 shown]
.LBB181_77:                             ;   in Loop: Header=BB181_43 Depth=1
	s_or_b64 exec, exec, s[8:9]
	v_and_b32_e32 v36, 0xffff0000, v36
	v_lshlrev_b32_e32 v2, 16, v2
	v_mul_f32_e32 v2, v36, v2
	v_and_b32_e32 v8, 0x7f800000, v2
	v_cmp_ne_u32_e64 s[0:1], s11, v8
                                        ; implicit-def: $vgpr8
	s_and_saveexec_b64 s[8:9], s[0:1]
	s_xor_b64 s[0:1], exec, s[8:9]
; %bb.78:                               ;   in Loop: Header=BB181_43 Depth=1
	v_bfe_u32 v8, v2, 16, 1
	v_add3_u32 v8, v2, v8, s13
                                        ; implicit-def: $vgpr2
; %bb.79:                               ;   in Loop: Header=BB181_43 Depth=1
	s_andn2_saveexec_b64 s[8:9], s[0:1]
; %bb.80:                               ;   in Loop: Header=BB181_43 Depth=1
	v_or_b32_e32 v8, 0x10000, v2
	v_cmp_eq_u32_sdwa s[0:1], v2, v15 src0_sel:WORD_0 src1_sel:DWORD
	s_nop 1
	v_cndmask_b32_e64 v8, v8, v2, s[0:1]
; %bb.81:                               ;   in Loop: Header=BB181_43 Depth=1
	s_or_b64 exec, exec, s[8:9]
	v_and_b32_e32 v37, 0xffff0000, v37
	v_lshlrev_b32_e32 v2, 16, v9
	v_mul_f32_e32 v2, v37, v2
	v_and_b32_e32 v9, 0x7f800000, v2
	v_cmp_ne_u32_e64 s[0:1], s11, v9
                                        ; implicit-def: $vgpr9
	s_and_saveexec_b64 s[8:9], s[0:1]
	s_xor_b64 s[0:1], exec, s[8:9]
; %bb.82:                               ;   in Loop: Header=BB181_43 Depth=1
	v_bfe_u32 v9, v2, 16, 1
	v_add3_u32 v9, v2, v9, s13
                                        ; implicit-def: $vgpr2
; %bb.83:                               ;   in Loop: Header=BB181_43 Depth=1
	s_andn2_saveexec_b64 s[8:9], s[0:1]
; %bb.84:                               ;   in Loop: Header=BB181_43 Depth=1
	v_or_b32_e32 v9, 0x10000, v2
	v_cmp_eq_u32_sdwa s[0:1], v2, v15 src0_sel:WORD_0 src1_sel:DWORD
	s_nop 1
	v_cndmask_b32_e64 v9, v9, v2, s[0:1]
; %bb.85:                               ;   in Loop: Header=BB181_43 Depth=1
	s_or_b64 exec, exec, s[8:9]
	v_and_b32_e32 v38, 0xffff0000, v11
	v_lshlrev_b32_e32 v2, 16, v3
	v_mul_f32_e32 v2, v38, v2
	v_and_b32_e32 v3, 0x7f800000, v2
	v_cmp_ne_u32_e64 s[0:1], s11, v3
                                        ; implicit-def: $vgpr11
	s_and_saveexec_b64 s[8:9], s[0:1]
	s_xor_b64 s[0:1], exec, s[8:9]
; %bb.86:                               ;   in Loop: Header=BB181_43 Depth=1
	v_bfe_u32 v3, v2, 16, 1
	v_add3_u32 v11, v2, v3, s13
                                        ; implicit-def: $vgpr2
; %bb.87:                               ;   in Loop: Header=BB181_43 Depth=1
	s_andn2_saveexec_b64 s[8:9], s[0:1]
; %bb.88:                               ;   in Loop: Header=BB181_43 Depth=1
	v_or_b32_e32 v3, 0x10000, v2
	v_cmp_eq_u32_sdwa s[0:1], v2, v15 src0_sel:WORD_0 src1_sel:DWORD
	s_nop 1
	v_cndmask_b32_e64 v11, v3, v2, s[0:1]
; %bb.89:                               ;   in Loop: Header=BB181_43 Depth=1
	s_or_b64 exec, exec, s[8:9]
	v_and_b32_e32 v39, 0xffff0000, v24
	v_lshlrev_b32_e32 v2, 16, v40
	v_mul_f32_e32 v2, v39, v2
	v_and_b32_e32 v3, 0x7f800000, v2
	v_cmp_ne_u32_e64 s[0:1], s11, v3
                                        ; implicit-def: $vgpr24
	s_and_saveexec_b64 s[8:9], s[0:1]
	s_xor_b64 s[0:1], exec, s[8:9]
; %bb.90:                               ;   in Loop: Header=BB181_43 Depth=1
	v_bfe_u32 v3, v2, 16, 1
	v_add3_u32 v24, v2, v3, s13
                                        ; implicit-def: $vgpr2
; %bb.91:                               ;   in Loop: Header=BB181_43 Depth=1
	s_andn2_saveexec_b64 s[8:9], s[0:1]
; %bb.92:                               ;   in Loop: Header=BB181_43 Depth=1
	v_or_b32_e32 v3, 0x10000, v2
	v_cmp_eq_u32_sdwa s[0:1], v2, v15 src0_sel:WORD_0 src1_sel:DWORD
	s_nop 1
	v_cndmask_b32_e64 v24, v3, v2, s[0:1]
; %bb.93:                               ;   in Loop: Header=BB181_43 Depth=1
	s_or_b64 exec, exec, s[8:9]
	v_and_b32_e32 v40, 0xffff0000, v25
	v_lshlrev_b32_e32 v2, 16, v4
	v_mul_f32_e32 v2, v40, v2
	v_and_b32_e32 v3, 0x7f800000, v2
	v_cmp_ne_u32_e64 s[0:1], s11, v3
                                        ; implicit-def: $vgpr25
	s_and_saveexec_b64 s[8:9], s[0:1]
	s_xor_b64 s[0:1], exec, s[8:9]
; %bb.94:                               ;   in Loop: Header=BB181_43 Depth=1
	v_bfe_u32 v3, v2, 16, 1
	v_add3_u32 v25, v2, v3, s13
                                        ; implicit-def: $vgpr2
; %bb.95:                               ;   in Loop: Header=BB181_43 Depth=1
	s_andn2_saveexec_b64 s[8:9], s[0:1]
; %bb.96:                               ;   in Loop: Header=BB181_43 Depth=1
	v_or_b32_e32 v3, 0x10000, v2
	v_cmp_eq_u32_sdwa s[0:1], v2, v15 src0_sel:WORD_0 src1_sel:DWORD
	s_nop 1
	v_cndmask_b32_e64 v25, v3, v2, s[0:1]
; %bb.97:                               ;   in Loop: Header=BB181_43 Depth=1
	s_or_b64 exec, exec, s[8:9]
	v_and_b32_e32 v41, 0xffff0000, v26
	v_lshlrev_b32_e32 v2, 16, v42
	v_mul_f32_e32 v2, v41, v2
	v_and_b32_e32 v3, 0x7f800000, v2
	v_cmp_ne_u32_e64 s[0:1], s11, v3
                                        ; implicit-def: $vgpr26
	s_and_saveexec_b64 s[8:9], s[0:1]
	s_xor_b64 s[0:1], exec, s[8:9]
; %bb.98:                               ;   in Loop: Header=BB181_43 Depth=1
	v_bfe_u32 v3, v2, 16, 1
	v_add3_u32 v26, v2, v3, s13
                                        ; implicit-def: $vgpr2
; %bb.99:                               ;   in Loop: Header=BB181_43 Depth=1
	s_andn2_saveexec_b64 s[8:9], s[0:1]
; %bb.100:                              ;   in Loop: Header=BB181_43 Depth=1
	v_or_b32_e32 v3, 0x10000, v2
	v_cmp_eq_u32_sdwa s[0:1], v2, v15 src0_sel:WORD_0 src1_sel:DWORD
	s_nop 1
	v_cndmask_b32_e64 v26, v3, v2, s[0:1]
; %bb.101:                              ;   in Loop: Header=BB181_43 Depth=1
	s_or_b64 exec, exec, s[8:9]
	v_and_b32_e32 v42, 0xffff0000, v27
	v_lshlrev_b32_e32 v2, 16, v5
	v_mul_f32_e32 v2, v42, v2
	v_and_b32_e32 v3, 0x7f800000, v2
	v_cmp_ne_u32_e64 s[0:1], s11, v3
                                        ; implicit-def: $vgpr27
	s_and_saveexec_b64 s[8:9], s[0:1]
	s_xor_b64 s[0:1], exec, s[8:9]
; %bb.102:                              ;   in Loop: Header=BB181_43 Depth=1
	v_bfe_u32 v3, v2, 16, 1
	v_add3_u32 v27, v2, v3, s13
                                        ; implicit-def: $vgpr2
; %bb.103:                              ;   in Loop: Header=BB181_43 Depth=1
	s_andn2_saveexec_b64 s[8:9], s[0:1]
; %bb.104:                              ;   in Loop: Header=BB181_43 Depth=1
	v_or_b32_e32 v3, 0x10000, v2
	v_cmp_eq_u32_sdwa s[0:1], v2, v15 src0_sel:WORD_0 src1_sel:DWORD
	s_nop 1
	v_cndmask_b32_e64 v27, v3, v2, s[0:1]
; %bb.105:                              ;   in Loop: Header=BB181_43 Depth=1
	s_or_b64 exec, exec, s[8:9]
	v_and_b32_e32 v43, 0xffff0000, v35
	v_lshlrev_b32_e32 v2, 16, v44
	v_mul_f32_e32 v2, v43, v2
	v_and_b32_e32 v3, 0x7f800000, v2
	v_cmp_ne_u32_e64 s[0:1], s11, v3
                                        ; implicit-def: $vgpr35
	s_and_saveexec_b64 s[8:9], s[0:1]
	s_xor_b64 s[0:1], exec, s[8:9]
; %bb.106:                              ;   in Loop: Header=BB181_43 Depth=1
	v_bfe_u32 v3, v2, 16, 1
	v_add3_u32 v35, v2, v3, s13
                                        ; implicit-def: $vgpr2
; %bb.107:                              ;   in Loop: Header=BB181_43 Depth=1
	s_andn2_saveexec_b64 s[8:9], s[0:1]
; %bb.108:                              ;   in Loop: Header=BB181_43 Depth=1
	v_or_b32_e32 v3, 0x10000, v2
	v_cmp_eq_u32_sdwa s[0:1], v2, v15 src0_sel:WORD_0 src1_sel:DWORD
	s_nop 1
	v_cndmask_b32_e64 v35, v3, v2, s[0:1]
; %bb.109:                              ;   in Loop: Header=BB181_43 Depth=1
	s_or_b64 exec, exec, s[8:9]
	global_load_dwordx4 v[2:5], v[6:7], off offset:1024
	s_waitcnt vmcnt(0)
	v_lshrrev_b32_e32 v7, 16, v2
	v_lshrrev_b32_e32 v45, 16, v3
	;; [unrolled: 1-line block ×4, first 2 shown]
	s_and_saveexec_b64 s[0:1], vcc
	s_cbranch_execz .LBB181_111
; %bb.110:                              ;   in Loop: Header=BB181_43 Depth=1
	v_cmp_gt_i32_e32 vcc, s33, v28
	s_nop 1
	v_cndmask_b32_e32 v2, 0, v2, vcc
	v_cmp_gt_i32_e32 vcc, s33, v34
	s_nop 1
	v_cndmask_b32_e32 v7, 0, v7, vcc
	;; [unrolled: 3-line block ×8, first 2 shown]
.LBB181_111:                            ;   in Loop: Header=BB181_43 Depth=1
	s_or_b64 exec, exec, s[0:1]
	v_lshlrev_b32_e32 v2, 16, v2
	v_mul_f32_e32 v28, v36, v2
	v_and_b32_e32 v2, 0x7f800000, v28
	v_cmp_ne_u32_e32 vcc, s11, v2
                                        ; implicit-def: $vgpr2
	s_and_saveexec_b64 s[0:1], vcc
	s_xor_b64 s[0:1], exec, s[0:1]
; %bb.112:                              ;   in Loop: Header=BB181_43 Depth=1
	v_bfe_u32 v2, v28, 16, 1
	v_add3_u32 v2, v28, v2, s13
                                        ; implicit-def: $vgpr28
; %bb.113:                              ;   in Loop: Header=BB181_43 Depth=1
	s_andn2_saveexec_b64 s[0:1], s[0:1]
; %bb.114:                              ;   in Loop: Header=BB181_43 Depth=1
	v_or_b32_e32 v2, 0x10000, v28
	v_cmp_eq_u32_sdwa vcc, v28, v15 src0_sel:WORD_0 src1_sel:DWORD
	s_nop 1
	v_cndmask_b32_e32 v2, v2, v28, vcc
; %bb.115:                              ;   in Loop: Header=BB181_43 Depth=1
	s_or_b64 exec, exec, s[0:1]
	v_lshlrev_b32_e32 v7, 16, v7
	v_mul_f32_e32 v28, v37, v7
	v_and_b32_e32 v7, 0x7f800000, v28
	v_cmp_ne_u32_e32 vcc, s11, v7
                                        ; implicit-def: $vgpr7
	s_and_saveexec_b64 s[0:1], vcc
	s_xor_b64 s[0:1], exec, s[0:1]
; %bb.116:                              ;   in Loop: Header=BB181_43 Depth=1
	v_bfe_u32 v7, v28, 16, 1
	v_add3_u32 v7, v28, v7, s13
                                        ; implicit-def: $vgpr28
; %bb.117:                              ;   in Loop: Header=BB181_43 Depth=1
	s_andn2_saveexec_b64 s[0:1], s[0:1]
; %bb.118:                              ;   in Loop: Header=BB181_43 Depth=1
	v_or_b32_e32 v7, 0x10000, v28
	v_cmp_eq_u32_sdwa vcc, v28, v15 src0_sel:WORD_0 src1_sel:DWORD
	s_nop 1
	v_cndmask_b32_e32 v7, v7, v28, vcc
; %bb.119:                              ;   in Loop: Header=BB181_43 Depth=1
	s_or_b64 exec, exec, s[0:1]
	v_lshlrev_b32_e32 v3, 16, v3
	v_mul_f32_e32 v28, v38, v3
	v_and_b32_e32 v3, 0x7f800000, v28
	v_cmp_ne_u32_e32 vcc, s11, v3
                                        ; implicit-def: $vgpr3
	s_and_saveexec_b64 s[0:1], vcc
	s_xor_b64 s[0:1], exec, s[0:1]
; %bb.120:                              ;   in Loop: Header=BB181_43 Depth=1
	v_bfe_u32 v3, v28, 16, 1
	v_add3_u32 v3, v28, v3, s13
                                        ; implicit-def: $vgpr28
; %bb.121:                              ;   in Loop: Header=BB181_43 Depth=1
	s_andn2_saveexec_b64 s[0:1], s[0:1]
; %bb.122:                              ;   in Loop: Header=BB181_43 Depth=1
	v_or_b32_e32 v3, 0x10000, v28
	v_cmp_eq_u32_sdwa vcc, v28, v15 src0_sel:WORD_0 src1_sel:DWORD
	s_nop 1
	v_cndmask_b32_e32 v3, v3, v28, vcc
; %bb.123:                              ;   in Loop: Header=BB181_43 Depth=1
	s_or_b64 exec, exec, s[0:1]
	v_lshlrev_b32_e32 v28, 16, v45
	v_mul_f32_e32 v29, v39, v28
	v_and_b32_e32 v28, 0x7f800000, v29
	v_cmp_ne_u32_e32 vcc, s11, v28
                                        ; implicit-def: $vgpr28
	s_and_saveexec_b64 s[0:1], vcc
	s_xor_b64 s[0:1], exec, s[0:1]
; %bb.124:                              ;   in Loop: Header=BB181_43 Depth=1
	v_bfe_u32 v28, v29, 16, 1
	v_add3_u32 v28, v29, v28, s13
                                        ; implicit-def: $vgpr29
; %bb.125:                              ;   in Loop: Header=BB181_43 Depth=1
	s_andn2_saveexec_b64 s[0:1], s[0:1]
; %bb.126:                              ;   in Loop: Header=BB181_43 Depth=1
	v_or_b32_e32 v28, 0x10000, v29
	v_cmp_eq_u32_sdwa vcc, v29, v15 src0_sel:WORD_0 src1_sel:DWORD
	s_nop 1
	v_cndmask_b32_e32 v28, v28, v29, vcc
; %bb.127:                              ;   in Loop: Header=BB181_43 Depth=1
	s_or_b64 exec, exec, s[0:1]
	v_lshlrev_b32_e32 v4, 16, v4
	v_mul_f32_e32 v29, v40, v4
	v_and_b32_e32 v4, 0x7f800000, v29
	v_cmp_ne_u32_e32 vcc, s11, v4
                                        ; implicit-def: $vgpr4
	s_and_saveexec_b64 s[0:1], vcc
	s_xor_b64 s[0:1], exec, s[0:1]
; %bb.128:                              ;   in Loop: Header=BB181_43 Depth=1
	v_bfe_u32 v4, v29, 16, 1
	v_add3_u32 v4, v29, v4, s13
                                        ; implicit-def: $vgpr29
; %bb.129:                              ;   in Loop: Header=BB181_43 Depth=1
	s_andn2_saveexec_b64 s[0:1], s[0:1]
; %bb.130:                              ;   in Loop: Header=BB181_43 Depth=1
	v_or_b32_e32 v4, 0x10000, v29
	v_cmp_eq_u32_sdwa vcc, v29, v15 src0_sel:WORD_0 src1_sel:DWORD
	s_nop 1
	v_cndmask_b32_e32 v4, v4, v29, vcc
; %bb.131:                              ;   in Loop: Header=BB181_43 Depth=1
	s_or_b64 exec, exec, s[0:1]
	v_lshlrev_b32_e32 v29, 16, v44
	v_mul_f32_e32 v30, v41, v29
	v_and_b32_e32 v29, 0x7f800000, v30
	v_cmp_ne_u32_e32 vcc, s11, v29
                                        ; implicit-def: $vgpr29
	s_and_saveexec_b64 s[0:1], vcc
	s_xor_b64 s[0:1], exec, s[0:1]
; %bb.132:                              ;   in Loop: Header=BB181_43 Depth=1
	v_bfe_u32 v29, v30, 16, 1
	v_add3_u32 v29, v30, v29, s13
                                        ; implicit-def: $vgpr30
; %bb.133:                              ;   in Loop: Header=BB181_43 Depth=1
	s_andn2_saveexec_b64 s[0:1], s[0:1]
; %bb.134:                              ;   in Loop: Header=BB181_43 Depth=1
	v_or_b32_e32 v29, 0x10000, v30
	v_cmp_eq_u32_sdwa vcc, v30, v15 src0_sel:WORD_0 src1_sel:DWORD
	s_nop 1
	v_cndmask_b32_e32 v29, v29, v30, vcc
; %bb.135:                              ;   in Loop: Header=BB181_43 Depth=1
	s_or_b64 exec, exec, s[0:1]
	v_lshlrev_b32_e32 v5, 16, v5
	v_mul_f32_e32 v30, v42, v5
	v_and_b32_e32 v5, 0x7f800000, v30
	v_cmp_ne_u32_e32 vcc, s11, v5
                                        ; implicit-def: $vgpr5
	s_and_saveexec_b64 s[0:1], vcc
	s_xor_b64 s[0:1], exec, s[0:1]
; %bb.136:                              ;   in Loop: Header=BB181_43 Depth=1
	v_bfe_u32 v5, v30, 16, 1
	v_add3_u32 v5, v30, v5, s13
                                        ; implicit-def: $vgpr30
; %bb.137:                              ;   in Loop: Header=BB181_43 Depth=1
	s_andn2_saveexec_b64 s[0:1], s[0:1]
; %bb.138:                              ;   in Loop: Header=BB181_43 Depth=1
	v_or_b32_e32 v5, 0x10000, v30
	v_cmp_eq_u32_sdwa vcc, v30, v15 src0_sel:WORD_0 src1_sel:DWORD
	s_nop 1
	v_cndmask_b32_e32 v5, v5, v30, vcc
; %bb.139:                              ;   in Loop: Header=BB181_43 Depth=1
	s_or_b64 exec, exec, s[0:1]
	v_lshlrev_b32_e32 v6, 16, v6
	v_mul_f32_e32 v30, v43, v6
	v_and_b32_e32 v6, 0x7f800000, v30
	v_cmp_ne_u32_e32 vcc, s11, v6
                                        ; implicit-def: $vgpr6
	s_and_saveexec_b64 s[0:1], vcc
	s_xor_b64 s[0:1], exec, s[0:1]
; %bb.140:                              ;   in Loop: Header=BB181_43 Depth=1
	v_bfe_u32 v6, v30, 16, 1
	v_add3_u32 v6, v30, v6, s13
                                        ; implicit-def: $vgpr30
; %bb.141:                              ;   in Loop: Header=BB181_43 Depth=1
	s_andn2_saveexec_b64 s[0:1], s[0:1]
	s_cbranch_execz .LBB181_42
; %bb.142:                              ;   in Loop: Header=BB181_43 Depth=1
	v_or_b32_e32 v6, 0x10000, v30
	v_cmp_eq_u32_sdwa vcc, v30, v15 src0_sel:WORD_0 src1_sel:DWORD
	s_nop 1
	v_cndmask_b32_e32 v6, v6, v30, vcc
	s_branch .LBB181_42
.LBB181_143:
	s_or_b64 exec, exec, s[6:7]
.LBB181_144:
	s_or_b64 exec, exec, s[2:3]
	ds_bpermute_b32 v2, v20, v12
	ds_bpermute_b32 v3, v20, v13
	v_and_b32_e32 v6, 0x3c3, v0
	v_cmp_eq_u32_e32 vcc, 64, v6
	s_waitcnt lgkmcnt(0)
	s_barrier
	v_pk_add_f32 v[2:3], v[12:13], v[2:3]
	ds_bpermute_b32 v4, v21, v2
	ds_bpermute_b32 v5, v21, v3
	s_waitcnt lgkmcnt(0)
	v_pk_add_f32 v[2:3], v[2:3], v[4:5]
	s_and_saveexec_b64 s[0:1], vcc
	s_cbranch_execz .LBB181_146
; %bb.145:
	v_add_u32_e32 v1, 0x50, v1
	v_add_u32_e32 v4, 0x50, v0
	ds_write_b32 v1, v2
	ds_write_b32 v4, v3
.LBB181_146:
	s_or_b64 exec, exec, s[0:1]
	v_cmp_gt_u32_e32 vcc, 64, v0
	s_waitcnt lgkmcnt(0)
	s_barrier
	s_and_saveexec_b64 s[2:3], vcc
	s_cbranch_execz .LBB181_152
; %bb.147:
	v_cmp_eq_u32_e64 s[0:1], 0, v22
	v_lshrrev_b32_e32 v1, 2, v0
	s_and_saveexec_b64 s[6:7], s[0:1]
	s_cbranch_execz .LBB181_149
; %bb.148:
	v_mov_b32_e32 v4, 0x50
	v_lshl_add_u32 v4, v1, 2, v4
	ds_read_b32 v4, v4
	s_waitcnt lgkmcnt(0)
	v_add_f32_e32 v2, v2, v4
.LBB181_149:
	s_or_b64 exec, exec, s[6:7]
	s_and_saveexec_b64 s[6:7], s[0:1]
	s_cbranch_execz .LBB181_151
; %bb.150:
	v_mov_b32_e32 v4, 0x50
	v_lshl_add_u32 v1, v1, 2, v4
	ds_read_b32 v1, v1 offset:64
	s_waitcnt lgkmcnt(0)
	v_add_f32_e32 v3, v3, v1
.LBB181_151:
	s_or_b64 exec, exec, s[6:7]
.LBB181_152:
	s_or_b64 exec, exec, s[2:3]
	s_barrier
	s_and_saveexec_b64 s[0:1], vcc
	s_cbranch_execz .LBB181_163
; %bb.153:
	v_cmp_eq_u32_e32 vcc, 0, v22
	s_and_b64 exec, exec, vcc
	s_cbranch_execz .LBB181_163
; %bb.154:
	s_mov_b32 s0, 0x7f800000
	v_and_b32_e32 v1, 0x7f800000, v2
	v_cmp_ne_u32_e32 vcc, s0, v1
                                        ; implicit-def: $vgpr4
	s_and_saveexec_b64 s[0:1], vcc
	s_xor_b64 s[0:1], exec, s[0:1]
; %bb.155:
	v_bfe_u32 v1, v2, 16, 1
	s_movk_i32 s2, 0x7fff
	v_add3_u32 v4, v2, v1, s2
; %bb.156:
	s_andn2_saveexec_b64 s[0:1], s[0:1]
; %bb.157:
	v_mov_b32_e32 v1, 0
	v_or_b32_e32 v4, 0x10000, v2
	v_cmp_eq_u32_sdwa vcc, v2, v1 src0_sel:WORD_0 src1_sel:DWORD
	s_nop 1
	v_cndmask_b32_e32 v4, v4, v2, vcc
; %bb.158:
	s_or_b64 exec, exec, s[0:1]
	s_mul_i32 s0, s12, s20
	s_mul_i32 s0, s0, s21
	s_lshl_b32 s0, s0, 5
	s_ashr_i32 s1, s0, 31
	s_lshl_b64 s[0:1], s[0:1], 1
	s_add_u32 s2, s24, s0
	s_mul_i32 s0, s12, s22
	s_addc_u32 s3, s25, s1
	s_ashr_i32 s1, s0, 31
	s_lshl_b64 s[0:1], s[0:1], 1
	s_add_u32 s2, s2, s0
	s_addc_u32 s3, s3, s1
	s_lshl_b32 s0, s4, 5
	s_ashr_i32 s1, s0, 31
	s_lshl_b64 s[0:1], s[0:1], 1
	s_add_u32 s0, s2, s0
	v_lshrrev_b32_e32 v0, 1, v0
	s_mov_b32 s2, 0x7f800000
	v_and_b32_e32 v2, 0x7f800000, v3
	s_addc_u32 s1, s3, s1
	v_and_b32_e32 v0, 0x1fe, v0
	v_mov_b32_e32 v1, 0
	v_cmp_ne_u32_e32 vcc, s2, v2
	global_store_short_d16_hi v0, v4, s[0:1]
                                        ; implicit-def: $vgpr4
	s_and_saveexec_b64 s[2:3], vcc
	s_xor_b64 s[2:3], exec, s[2:3]
; %bb.159:
	v_bfe_u32 v2, v3, 16, 1
	s_movk_i32 s4, 0x7fff
	v_add3_u32 v4, v3, v2, s4
                                        ; implicit-def: $vgpr2_vgpr3
; %bb.160:
	s_or_saveexec_b64 s[2:3], s[2:3]
	v_lshl_add_u64 v[0:1], s[0:1], 0, v[0:1]
	s_xor_b64 exec, exec, s[2:3]
; %bb.161:
	v_mov_b32_e32 v2, 0
	v_or_b32_e32 v4, 0x10000, v3
	v_cmp_eq_u32_sdwa vcc, v3, v2 src0_sel:WORD_0 src1_sel:DWORD
	s_nop 1
	v_cndmask_b32_e32 v4, v4, v3, vcc
; %bb.162:
	s_or_b64 exec, exec, s[2:3]
	global_store_short_d16_hi v[0:1], v4, off offset:32
.LBB181_163:
	s_endpgm
	.section	.rodata,"a",@progbits
	.p2align	6, 0x0
	.amdhsa_kernel _ZN4vllm25paged_attention_v2_kernelI14__hip_bfloat16S1_Li32ELi32ELi128ELNS_18Fp8KVCacheDataTypeE0ELb0ELi512EEEvPfS3_PT_PKS4_PKT0_SA_ifPKiSC_iPKfiiiSE_SE_iiiii
		.amdhsa_group_segment_fixed_size 80
		.amdhsa_private_segment_fixed_size 0
		.amdhsa_kernarg_size 400
		.amdhsa_user_sgpr_count 2
		.amdhsa_user_sgpr_dispatch_ptr 0
		.amdhsa_user_sgpr_queue_ptr 0
		.amdhsa_user_sgpr_kernarg_segment_ptr 1
		.amdhsa_user_sgpr_dispatch_id 0
		.amdhsa_user_sgpr_kernarg_preload_length 0
		.amdhsa_user_sgpr_kernarg_preload_offset 0
		.amdhsa_user_sgpr_private_segment_size 0
		.amdhsa_uses_dynamic_stack 0
		.amdhsa_enable_private_segment 0
		.amdhsa_system_sgpr_workgroup_id_x 1
		.amdhsa_system_sgpr_workgroup_id_y 1
		.amdhsa_system_sgpr_workgroup_id_z 1
		.amdhsa_system_sgpr_workgroup_info 0
		.amdhsa_system_vgpr_workitem_id 0
		.amdhsa_next_free_vgpr 48
		.amdhsa_next_free_sgpr 42
		.amdhsa_accum_offset 48
		.amdhsa_reserve_vcc 1
		.amdhsa_float_round_mode_32 0
		.amdhsa_float_round_mode_16_64 0
		.amdhsa_float_denorm_mode_32 3
		.amdhsa_float_denorm_mode_16_64 3
		.amdhsa_dx10_clamp 1
		.amdhsa_ieee_mode 1
		.amdhsa_fp16_overflow 0
		.amdhsa_tg_split 0
		.amdhsa_exception_fp_ieee_invalid_op 0
		.amdhsa_exception_fp_denorm_src 0
		.amdhsa_exception_fp_ieee_div_zero 0
		.amdhsa_exception_fp_ieee_overflow 0
		.amdhsa_exception_fp_ieee_underflow 0
		.amdhsa_exception_fp_ieee_inexact 0
		.amdhsa_exception_int_div_zero 0
	.end_amdhsa_kernel
	.section	.text._ZN4vllm25paged_attention_v2_kernelI14__hip_bfloat16S1_Li32ELi32ELi128ELNS_18Fp8KVCacheDataTypeE0ELb0ELi512EEEvPfS3_PT_PKS4_PKT0_SA_ifPKiSC_iPKfiiiSE_SE_iiiii,"axG",@progbits,_ZN4vllm25paged_attention_v2_kernelI14__hip_bfloat16S1_Li32ELi32ELi128ELNS_18Fp8KVCacheDataTypeE0ELb0ELi512EEEvPfS3_PT_PKS4_PKT0_SA_ifPKiSC_iPKfiiiSE_SE_iiiii,comdat
.Lfunc_end181:
	.size	_ZN4vllm25paged_attention_v2_kernelI14__hip_bfloat16S1_Li32ELi32ELi128ELNS_18Fp8KVCacheDataTypeE0ELb0ELi512EEEvPfS3_PT_PKS4_PKT0_SA_ifPKiSC_iPKfiiiSE_SE_iiiii, .Lfunc_end181-_ZN4vllm25paged_attention_v2_kernelI14__hip_bfloat16S1_Li32ELi32ELi128ELNS_18Fp8KVCacheDataTypeE0ELb0ELi512EEEvPfS3_PT_PKS4_PKT0_SA_ifPKiSC_iPKfiiiSE_SE_iiiii
                                        ; -- End function
	.section	.AMDGPU.csdata,"",@progbits
; Kernel info:
; codeLenInByte = 6164
; NumSgprs: 48
; NumVgprs: 48
; NumAgprs: 0
; TotalNumVgprs: 48
; ScratchSize: 0
; MemoryBound: 0
; FloatMode: 240
; IeeeMode: 1
; LDSByteSize: 80 bytes/workgroup (compile time only)
; SGPRBlocks: 5
; VGPRBlocks: 5
; NumSGPRsForWavesPerEU: 48
; NumVGPRsForWavesPerEU: 48
; AccumOffset: 48
; Occupancy: 8
; WaveLimiterHint : 1
; COMPUTE_PGM_RSRC2:SCRATCH_EN: 0
; COMPUTE_PGM_RSRC2:USER_SGPR: 2
; COMPUTE_PGM_RSRC2:TRAP_HANDLER: 0
; COMPUTE_PGM_RSRC2:TGID_X_EN: 1
; COMPUTE_PGM_RSRC2:TGID_Y_EN: 1
; COMPUTE_PGM_RSRC2:TGID_Z_EN: 1
; COMPUTE_PGM_RSRC2:TIDIG_COMP_CNT: 0
; COMPUTE_PGM_RSRC3_GFX90A:ACCUM_OFFSET: 11
; COMPUTE_PGM_RSRC3_GFX90A:TG_SPLIT: 0
	.section	.text._ZN4vllm25paged_attention_v2_kernelI14__hip_bfloat16S1_Li64ELi32ELi128ELNS_18Fp8KVCacheDataTypeE0ELb0ELi512EEEvPfS3_PT_PKS4_PKT0_SA_ifPKiSC_iPKfiiiSE_SE_iiiii,"axG",@progbits,_ZN4vllm25paged_attention_v2_kernelI14__hip_bfloat16S1_Li64ELi32ELi128ELNS_18Fp8KVCacheDataTypeE0ELb0ELi512EEEvPfS3_PT_PKS4_PKT0_SA_ifPKiSC_iPKfiiiSE_SE_iiiii,comdat
	.protected	_ZN4vllm25paged_attention_v2_kernelI14__hip_bfloat16S1_Li64ELi32ELi128ELNS_18Fp8KVCacheDataTypeE0ELb0ELi512EEEvPfS3_PT_PKS4_PKT0_SA_ifPKiSC_iPKfiiiSE_SE_iiiii ; -- Begin function _ZN4vllm25paged_attention_v2_kernelI14__hip_bfloat16S1_Li64ELi32ELi128ELNS_18Fp8KVCacheDataTypeE0ELb0ELi512EEEvPfS3_PT_PKS4_PKT0_SA_ifPKiSC_iPKfiiiSE_SE_iiiii
	.globl	_ZN4vllm25paged_attention_v2_kernelI14__hip_bfloat16S1_Li64ELi32ELi128ELNS_18Fp8KVCacheDataTypeE0ELb0ELi512EEEvPfS3_PT_PKS4_PKT0_SA_ifPKiSC_iPKfiiiSE_SE_iiiii
	.p2align	8
	.type	_ZN4vllm25paged_attention_v2_kernelI14__hip_bfloat16S1_Li64ELi32ELi128ELNS_18Fp8KVCacheDataTypeE0ELb0ELi512EEEvPfS3_PT_PKS4_PKT0_SA_ifPKiSC_iPKfiiiSE_SE_iiiii,@function
_ZN4vllm25paged_attention_v2_kernelI14__hip_bfloat16S1_Li64ELi32ELi128ELNS_18Fp8KVCacheDataTypeE0ELb0ELi512EEEvPfS3_PT_PKS4_PKT0_SA_ifPKiSC_iPKfiiiSE_SE_iiiii: ; @_ZN4vllm25paged_attention_v2_kernelI14__hip_bfloat16S1_Li64ELi32ELi128ELNS_18Fp8KVCacheDataTypeE0ELb0ELi512EEEvPfS3_PT_PKS4_PKT0_SA_ifPKiSC_iPKfiiiSE_SE_iiiii
; %bb.0:
	s_load_dwordx2 s[6:7], s[0:1], 0x40
	s_mov_b32 s20, s3
	s_ashr_i32 s21, s3, 31
	s_lshl_b64 s[8:9], s[20:21], 2
	s_waitcnt lgkmcnt(0)
	s_add_u32 s6, s6, s8
	s_addc_u32 s7, s7, s9
	s_load_dword s33, s[6:7], 0x0
	s_lshl_b32 s40, s4, 9
	s_waitcnt lgkmcnt(0)
	s_cmp_ge_i32 s40, s33
	s_cbranch_scc1 .LBB182_240
; %bb.1:
	s_load_dword s21, s[0:1], 0x90
	s_load_dwordx2 s[10:11], s[0:1], 0x30
	s_waitcnt lgkmcnt(0)
	s_abs_i32 s6, s21
	s_abs_i32 s3, s10
	v_cvt_f32_u32_e32 v1, s3
	s_sub_i32 s7, 0, s3
	s_xor_b32 s5, s21, s10
	s_ashr_i32 s5, s5, 31
	v_rcp_iflag_f32_e32 v1, v1
	s_nop 0
	v_mul_f32_e32 v1, 0x4f7ffffe, v1
	v_cvt_u32_f32_e32 v1, v1
	s_nop 0
	v_readfirstlane_b32 s8, v1
	s_mul_i32 s7, s7, s8
	s_mul_hi_u32 s7, s8, s7
	s_add_i32 s8, s8, s7
	s_mul_hi_u32 s7, s6, s8
	s_mul_i32 s8, s7, s3
	s_sub_i32 s6, s6, s8
	s_add_i32 s9, s7, 1
	s_sub_i32 s8, s6, s3
	s_cmp_ge_u32 s6, s3
	s_cselect_b32 s7, s9, s7
	s_cselect_b32 s6, s8, s6
	s_add_i32 s8, s7, 1
	s_cmp_ge_u32 s6, s3
	s_cselect_b32 s3, s8, s7
	s_xor_b32 s3, s3, s5
	s_sub_i32 s12, s3, s5
	s_abs_i32 s8, s12
	v_cvt_f32_u32_e32 v1, s8
	s_load_dwordx2 s[6:7], s[0:1], 0x50
	s_sub_i32 s3, 0, s8
	s_abs_i32 s9, s2
	v_rcp_iflag_f32_e32 v1, v1
	s_mov_b32 s5, 0
	v_mul_f32_e32 v1, 0x4f7ffffe, v1
	v_cvt_u32_f32_e32 v1, v1
	s_nop 0
	v_readfirstlane_b32 s10, v1
	s_mul_i32 s3, s3, s10
	s_mul_hi_u32 s3, s10, s3
	s_add_i32 s10, s10, s3
	s_waitcnt lgkmcnt(0)
	s_cmp_eq_u64 s[6:7], 0
	s_mul_hi_u32 s10, s9, s10
	s_cbranch_scc1 .LBB182_3
; %bb.2:
	s_ashr_i32 s3, s2, 31
	s_lshl_b64 s[14:15], s[2:3], 2
	s_add_u32 s6, s6, s14
	s_addc_u32 s7, s7, s15
	s_load_dword s5, s[6:7], 0x0
.LBB182_3:
	s_ashr_i32 s17, s12, 31
	s_load_dwordx4 s[12:15], s[0:1], 0x58
	s_ashr_i32 s16, s2, 31
	v_and_b32_e32 v4, 1, v0
	s_lshl_b32 s22, s2, 6
	v_cmp_gt_u32_e32 vcc, 16, v0
	v_lshlrev_b32_e32 v6, 3, v0
	s_and_saveexec_b64 s[6:7], vcc
	s_cbranch_execz .LBB182_5
; %bb.4:
	s_load_dwordx2 s[18:19], s[0:1], 0x18
	s_waitcnt lgkmcnt(0)
	s_mul_i32 s24, s20, s12
	s_ashr_i32 s25, s24, 31
	s_lshl_b64 s[24:25], s[24:25], 1
	v_lshlrev_b32_e32 v1, 2, v0
	s_add_u32 s3, s18, s24
	s_addc_u32 s12, s19, s25
	s_ashr_i32 s23, s22, 31
	s_lshl_b64 s[18:19], s[22:23], 1
	s_add_u32 s18, s3, s18
	s_addc_u32 s19, s12, s19
	global_load_dwordx2 v[2:3], v6, s[18:19]
	v_and_b32_e32 v1, 0xff8, v1
	v_lshl_add_u32 v1, v4, 6, v1
	s_waitcnt vmcnt(0)
	ds_write_b64 v1, v[2:3]
.LBB182_5:
	s_or_b64 exec, exec, s[6:7]
	s_add_i32 s3, s33, 31
	s_ashr_i32 s6, s3, 31
	s_lshr_b32 s6, s6, 27
	s_add_i32 s3, s3, s6
	s_ashr_i32 s41, s3, 5
	s_lshl_b32 s3, s4, 4
	s_mul_i32 s7, s10, s8
	s_add_i32 s6, s3, 16
	s_sub_i32 s7, s9, s7
	s_min_i32 s23, s6, s41
	s_xor_b32 s6, s16, s17
	s_add_i32 s9, s10, 1
	s_waitcnt lgkmcnt(0)
	s_sub_i32 s12, s7, s8
	s_cmp_ge_u32 s7, s8
	s_cselect_b32 s9, s9, s10
	s_cselect_b32 s7, s12, s7
	s_add_i32 s10, s9, 1
	s_cmp_ge_u32 s7, s8
	s_load_dwordx2 s[26:27], s[0:1], 0x38
	s_load_dword s8, s[0:1], 0x48
	v_lshrrev_b32_e32 v7, 6, v0
	s_cselect_b32 s7, s10, s9
	s_xor_b32 s7, s7, s6
	v_or_b32_e32 v10, s3, v7
	s_waitcnt lgkmcnt(0)
	s_mul_i32 s28, s20, s8
	s_sub_i32 s10, s7, s6
	s_ashr_i32 s29, s28, 31
	v_cmp_gt_i32_e64 s[8:9], s23, v10
	v_cmp_le_i32_e32 vcc, s23, v10
	v_mbcnt_lo_u32_b32 v5, -1, 0
	s_barrier
	s_waitcnt lgkmcnt(0)
                                        ; implicit-def: $sgpr15
                                        ; implicit-def: $vgpr8
                                        ; implicit-def: $vgpr9
	s_and_saveexec_b64 s[6:7], vcc
	s_xor_b64 s[6:7], exec, s[6:7]
; %bb.6:
	v_mbcnt_hi_u32_b32 v8, -1, v5
	v_and_b32_e32 v1, 64, v8
	v_add_u32_e32 v9, 64, v1
	s_mov_b32 s15, 0xff7fffff
                                        ; implicit-def: $vgpr4
                                        ; implicit-def: $vgpr5
; %bb.7:
	s_or_saveexec_b64 s[34:35], s[6:7]
	s_load_dwordx4 s[16:19], s[0:1], 0x0
	s_load_dwordx2 s[24:25], s[0:1], 0x10
	s_load_dwordx2 s[30:31], s[0:1], 0x28
	s_load_dword s12, s[0:1], 0x98
	v_mov_b32_e32 v36, s15
	s_mul_i32 s14, s10, s14
	v_ashrrev_i32_e32 v11, 31, v10
	s_xor_b64 exec, exec, s[34:35]
	s_cbranch_execz .LBB182_13
; %bb.8:
	s_load_dwordx2 s[0:1], s[0:1], 0x20
	s_ashr_i32 s15, s14, 31
	s_lshl_b64 s[6:7], s[14:15], 1
	v_bfe_u32 v36, v0, 1, 5
	v_lshlrev_b32_e32 v2, 4, v36
	s_waitcnt lgkmcnt(0)
	s_add_u32 s0, s0, s6
	s_addc_u32 s1, s1, s7
	v_mov_b32_e32 v3, 0
	v_lshl_add_u64 v[8:9], s[0:1], 0, v[2:3]
	v_and_b32_e32 v2, 8, v6
	v_lshl_add_u64 v[2:3], v[8:9], 0, v[2:3]
	v_mbcnt_hi_u32_b32 v8, -1, v5
	v_lshlrev_b32_e32 v1, 6, v4
	v_and_b32_e32 v9, 64, v8
	ds_read_b128 v[16:19], v1
	ds_read_b128 v[24:27], v1 offset:16
	ds_read_b128 v[32:35], v1 offset:32
	;; [unrolled: 1-line block ×3, first 2 shown]
	v_xor_b32_e32 v5, 1, v8
	v_add_u32_e32 v9, 64, v9
	v_cmp_lt_i32_e32 vcc, v5, v9
	s_sub_i32 s15, 1, s33
	s_lshl_b64 s[0:1], s[28:29], 2
	v_cndmask_b32_e32 v5, v8, v5, vcc
	v_cmp_eq_u32_e32 vcc, 0, v4
	v_lshlrev_b32_e32 v4, 5, v7
	v_add3_u32 v45, s40, v4, v36
	v_lshlrev_b32_e32 v4, 2, v36
	s_add_u32 s0, s26, s0
	v_lshl_or_b32 v4, v7, 7, v4
	s_addc_u32 s1, s27, s1
	s_mov_b32 s10, s13
	s_waitcnt lgkmcnt(3)
	v_lshlrev_b32_e32 v1, 16, v16
	v_and_b32_e32 v12, 0xffff0000, v16
	v_lshlrev_b32_e32 v13, 16, v17
	v_and_b32_e32 v14, 0xffff0000, v17
	v_lshlrev_b32_e32 v15, 16, v18
	v_and_b32_e32 v16, 0xffff0000, v18
	v_lshlrev_b32_e32 v17, 16, v19
	v_and_b32_e32 v18, 0xffff0000, v19
	s_waitcnt lgkmcnt(2)
	v_lshlrev_b32_e32 v19, 16, v24
	v_and_b32_e32 v20, 0xffff0000, v24
	v_lshlrev_b32_e32 v21, 16, v25
	v_and_b32_e32 v22, 0xffff0000, v25
	v_lshlrev_b32_e32 v23, 16, v26
	v_and_b32_e32 v24, 0xffff0000, v26
	v_lshlrev_b32_e32 v25, 16, v27
	v_and_b32_e32 v26, 0xffff0000, v27
	;; [unrolled: 9-line block ×4, first 2 shown]
	v_lshlrev_b32_e32 v44, 2, v5
	v_cmp_neq_f32_e64 s[6:7], s5, 0
	v_add_u32_e32 v46, 0x90, v4
	v_lshl_add_u64 v[4:5], v[10:11], 2, s[0:1]
	s_mov_b64 s[36:37], 0
	v_mov_b32_e32 v36, 0xff7fffff
	v_mov_b32_e32 v47, v10
	s_branch .LBB182_10
.LBB182_9:                              ;   in Loop: Header=BB182_10 Depth=1
	s_or_b64 exec, exec, s[38:39]
	v_add_u32_e32 v47, 2, v47
	v_cmp_le_i32_e64 s[0:1], s23, v47
	v_add_u32_e32 v45, 64, v45
	v_add_u32_e32 v46, 0x100, v46
	s_or_b64 s[36:37], s[0:1], s[36:37]
	v_lshl_add_u64 v[4:5], v[4:5], 0, 8
	s_andn2_b64 exec, exec, s[36:37]
	s_cbranch_execz .LBB182_12
.LBB182_10:                             ; =>This Inner Loop Header: Depth=1
	global_load_dword v48, v[4:5], off
	s_waitcnt vmcnt(0) lgkmcnt(0)
	v_mad_i64_i32 v[48:49], s[0:1], v48, s10, 0
	v_lshl_add_u64 v[48:49], v[48:49], 1, v[2:3]
	global_load_dwordx2 v[50:51], v[48:49], off
	global_load_dwordx2 v[52:53], v[48:49], off offset:512
	global_load_dwordx2 v[54:55], v[48:49], off offset:1024
	;; [unrolled: 1-line block ×6, first 2 shown]
	s_nop 0
	global_load_dwordx2 v[48:49], v[48:49], off offset:3584
	s_waitcnt vmcnt(7)
	v_lshlrev_b32_e32 v64, 16, v50
	s_waitcnt vmcnt(6)
	v_lshlrev_b32_e32 v66, 16, v52
	v_and_b32_e32 v52, 0xffff0000, v52
	v_and_b32_e32 v50, 0xffff0000, v50
	v_lshlrev_b32_e32 v67, 16, v53
	v_mul_f32_e32 v66, v15, v66
	v_mul_f32_e32 v52, v16, v52
	v_lshlrev_b32_e32 v65, 16, v51
	v_and_b32_e32 v53, 0xffff0000, v53
	s_waitcnt vmcnt(5)
	v_lshlrev_b32_e32 v68, 16, v54
	v_and_b32_e32 v54, 0xffff0000, v54
	v_mul_f32_e32 v67, v17, v67
	v_fmac_f32_e32 v66, v1, v64
	v_fmac_f32_e32 v52, v12, v50
	v_and_b32_e32 v51, 0xffff0000, v51
	v_lshlrev_b32_e32 v69, 16, v55
	s_waitcnt vmcnt(4)
	v_lshlrev_b32_e32 v70, 16, v56
	v_and_b32_e32 v56, 0xffff0000, v56
	v_mul_f32_e32 v53, v18, v53
	v_fmac_f32_e32 v67, v13, v65
	v_fmac_f32_e32 v66, v19, v68
	v_fmac_f32_e32 v52, v20, v54
	v_and_b32_e32 v55, 0xffff0000, v55
	v_lshlrev_b32_e32 v71, 16, v57
	s_waitcnt vmcnt(3)
	v_lshlrev_b32_e32 v72, 16, v58
	v_and_b32_e32 v58, 0xffff0000, v58
	v_fmac_f32_e32 v53, v14, v51
	v_fmac_f32_e32 v67, v21, v69
	v_fmac_f32_e32 v66, v23, v70
	v_fmac_f32_e32 v52, v24, v56
	v_and_b32_e32 v57, 0xffff0000, v57
	v_lshlrev_b32_e32 v73, 16, v59
	s_waitcnt vmcnt(2)
	v_lshlrev_b32_e32 v74, 16, v60
	v_and_b32_e32 v60, 0xffff0000, v60
	v_fmac_f32_e32 v53, v22, v55
	;; [unrolled: 9-line block ×4, first 2 shown]
	v_fmac_f32_e32 v67, v33, v75
	v_fmac_f32_e32 v66, v35, v76
	;; [unrolled: 1-line block ×3, first 2 shown]
	v_and_b32_e32 v63, 0xffff0000, v63
	v_lshlrev_b32_e32 v79, 16, v49
	v_fmac_f32_e32 v53, v34, v61
	v_fmac_f32_e32 v67, v38, v77
	;; [unrolled: 1-line block ×4, first 2 shown]
	v_and_b32_e32 v49, 0xffff0000, v49
	v_fmac_f32_e32 v53, v39, v63
	v_fmac_f32_e32 v67, v42, v79
	v_add_f32_e32 v48, v66, v52
	v_fmac_f32_e32 v53, v43, v49
	v_add_f32_e32 v48, v48, v67
	v_add_f32_e32 v48, v53, v48
	ds_bpermute_b32 v49, v44, v48
	s_and_saveexec_b64 s[38:39], vcc
	s_cbranch_execz .LBB182_9
; %bb.11:                               ;   in Loop: Header=BB182_10 Depth=1
	v_add_u32_e32 v50, s15, v45
	v_cvt_f32_i32_e32 v50, v50
	s_waitcnt lgkmcnt(0)
	v_add_f32_e32 v48, v48, v49
	v_cmp_gt_i32_e64 s[0:1], s33, v45
	v_max_f32_e32 v49, v36, v36
	v_mul_f32_e32 v50, s5, v50
	v_cndmask_b32_e64 v50, 0, v50, s[6:7]
	v_fmac_f32_e32 v50, s11, v48
	v_cndmask_b32_e64 v48, 0, v50, s[0:1]
	ds_write_b32 v46, v48
	v_max_f32_e32 v48, v49, v50
	v_cndmask_b32_e64 v36, v36, v48, s[0:1]
	s_branch .LBB182_9
.LBB182_12:
	s_or_b64 exec, exec, s[36:37]
.LBB182_13:
	s_or_b64 exec, exec, s[34:35]
	v_xor_b32_e32 v1, 32, v8
	v_cmp_lt_i32_e32 vcc, v1, v9
	v_xor_b32_e32 v4, 16, v8
	v_max_f32_e32 v3, v36, v36
	v_cndmask_b32_e32 v1, v8, v1, vcc
	v_lshlrev_b32_e32 v2, 2, v1
	ds_bpermute_b32 v1, v2, v36
	v_cmp_lt_i32_e32 vcc, v4, v9
	v_xor_b32_e32 v5, 8, v8
	v_xor_b32_e32 v12, 4, v8
	;; [unrolled: 1-line block ×3, first 2 shown]
	s_waitcnt lgkmcnt(0)
	v_max_f32_e32 v1, v1, v1
	v_max_f32_e32 v1, v3, v1
	v_cndmask_b32_e32 v3, v8, v4, vcc
	v_lshlrev_b32_e32 v3, 2, v3
	ds_bpermute_b32 v4, v3, v1
	v_cmp_lt_i32_e32 vcc, v5, v9
	s_waitcnt lgkmcnt(0)
	v_max_f32_e32 v4, v4, v4
	v_max_f32_e32 v1, v1, v4
	v_cndmask_b32_e32 v4, v8, v5, vcc
	v_lshlrev_b32_e32 v5, 2, v4
	ds_bpermute_b32 v4, v5, v1
	v_cmp_lt_i32_e32 vcc, v12, v9
	;; [unrolled: 7-line block ×3, first 2 shown]
	s_waitcnt lgkmcnt(0)
	v_max_f32_e32 v4, v4, v4
	v_max_f32_e32 v4, v1, v4
	v_cndmask_b32_e32 v1, v8, v13, vcc
	v_lshlrev_b32_e32 v22, 2, v1
	ds_bpermute_b32 v14, v22, v4
	v_and_b32_e32 v1, 63, v0
	v_cmp_eq_u32_e32 vcc, 0, v1
	v_lshlrev_b32_e32 v13, 2, v7
	s_and_saveexec_b64 s[0:1], vcc
	s_cbranch_execz .LBB182_15
; %bb.14:
	s_waitcnt lgkmcnt(0)
	v_max_f32_e32 v14, v14, v14
	v_max_f32_e32 v4, v4, v4
	v_max_f32_e32 v4, v4, v14
	ds_write_b32 v13, v4 offset:128
.LBB182_15:
	s_or_b64 exec, exec, s[0:1]
	v_cmp_gt_u32_e64 s[0:1], 2, v1
	v_mov_b32_e32 v4, 0xff7fffff
	s_waitcnt lgkmcnt(0)
	v_lshlrev_b32_e32 v14, 2, v1
	s_barrier
	s_and_saveexec_b64 s[6:7], s[0:1]
	s_cbranch_execz .LBB182_17
; %bb.16:
	ds_read_b32 v4, v14 offset:128
.LBB182_17:
	s_or_b64 exec, exec, s[6:7]
	v_xor_b32_e32 v15, 1, v8
	v_cmp_lt_i32_e64 s[6:7], v15, v9
	s_sub_i32 s3, s23, s3
	s_lshl_b32 s3, s3, 5
	v_cndmask_b32_e64 v9, v8, v15, s[6:7]
	v_lshlrev_b32_e32 v23, 2, v9
	s_waitcnt lgkmcnt(0)
	ds_bpermute_b32 v9, v23, v4
	v_max_f32_e32 v4, v4, v4
	v_lshlrev_b32_e32 v8, 2, v8
	v_and_b32_e32 v8, 0xffffff00, v8
	s_add_i32 s3, s3, s40
	s_waitcnt lgkmcnt(0)
	v_max_f32_e32 v9, v9, v9
	v_max_f32_e32 v4, v4, v9
	ds_bpermute_b32 v4, v8, v4
	s_min_i32 s5, s3, s33
	s_sub_i32 s3, s5, s40
	v_cmp_gt_i32_e64 s[6:7], s3, v0
	v_mov_b32_e32 v9, 0
	s_and_saveexec_b64 s[34:35], s[6:7]
	s_cbranch_execz .LBB182_21
; %bb.18:
	v_mov_b32_e32 v9, 0x90
	v_lshl_add_u32 v15, v0, 2, v9
	s_mov_b64 s[36:37], 0
	v_mov_b32_e32 v9, 0
	v_mov_b32_e32 v16, v0
.LBB182_19:                             ; =>This Inner Loop Header: Depth=1
	ds_read_b32 v17, v15
	v_add_u32_e32 v16, 0x80, v16
	v_cmp_le_i32_e64 s[10:11], s3, v16
	s_or_b64 s[36:37], s[10:11], s[36:37]
	s_waitcnt lgkmcnt(0)
	v_sub_f32_e32 v17, v17, v4
	v_mul_f32_e32 v17, 0x3fb8aa3b, v17
	v_exp_f32_e32 v17, v17
	ds_write_b32 v15, v17
	v_add_f32_e32 v9, v9, v17
	v_add_u32_e32 v15, 0x200, v15
	s_andn2_b64 exec, exec, s[36:37]
	s_cbranch_execnz .LBB182_19
; %bb.20:
	s_or_b64 exec, exec, s[36:37]
.LBB182_21:
	s_or_b64 exec, exec, s[34:35]
	ds_bpermute_b32 v2, v2, v9
	s_waitcnt lgkmcnt(0)
	v_add_f32_e32 v2, v9, v2
	ds_bpermute_b32 v3, v3, v2
	s_waitcnt lgkmcnt(0)
	v_add_f32_e32 v2, v2, v3
	;; [unrolled: 3-line block ×6, first 2 shown]
	s_and_saveexec_b64 s[10:11], vcc
	s_cbranch_execz .LBB182_23
; %bb.22:
	ds_write_b32 v13, v2 offset:136
.LBB182_23:
	s_or_b64 exec, exec, s[10:11]
	s_waitcnt lgkmcnt(0)
	s_barrier
	s_and_saveexec_b64 s[10:11], s[0:1]
	s_cbranch_execz .LBB182_25
; %bb.24:
	ds_read_b32 v2, v14 offset:136
.LBB182_25:
	s_or_b64 exec, exec, s[10:11]
	s_waitcnt lgkmcnt(0)
	ds_bpermute_b32 v3, v23, v2
	s_waitcnt lgkmcnt(0)
	v_add_f32_e32 v2, v2, v3
	ds_bpermute_b32 v5, v8, v2
	s_and_saveexec_b64 s[0:1], s[6:7]
	s_cbranch_execz .LBB182_38
; %bb.26:
	s_waitcnt lgkmcnt(0)
	v_add_f32_e32 v2, 0x358637bd, v5
	v_div_scale_f32 v3, s[6:7], v2, v2, 1.0
	v_rcp_f32_e32 v8, v3
	v_div_scale_f32 v9, vcc, 1.0, v2, 1.0
	s_mov_b64 s[10:11], -1
	v_fma_f32 v12, -v3, v8, 1.0
	v_fmac_f32_e32 v8, v12, v8
	v_mul_f32_e32 v12, v9, v8
	v_fma_f32 v13, -v3, v12, v9
	v_fmac_f32_e32 v12, v13, v8
	v_fma_f32 v3, -v3, v12, v9
	v_div_fmas_f32 v3, v3, v8, v12
	v_div_fixup_f32 v2, v3, v2, 1.0
	v_xad_u32 v3, v0, -1, s5
	v_subrev_u32_e32 v8, s40, v3
	s_movk_i32 s5, 0x7f
	v_cmp_lt_u32_e32 vcc, s5, v8
	v_mov_b32_e32 v3, v0
	s_and_saveexec_b64 s[6:7], vcc
	s_cbranch_execz .LBB182_35
; %bb.27:
	v_lshrrev_b32_e32 v8, 7, v8
	v_add_u32_e32 v12, -1, v8
	v_lshrrev_b32_e32 v9, 1, v12
	v_mov_b32_e32 v3, v2
	v_add_u32_e32 v9, 1, v9
	v_cmp_lt_u32_e32 vcc, 13, v12
	v_mov_b32_e32 v14, 0
	s_and_saveexec_b64 s[10:11], vcc
	s_cbranch_execz .LBB182_31
; %bb.28:
	v_mov_b32_e32 v13, 0x90
	v_and_b32_e32 v12, -8, v9
	v_lshl_add_u32 v13, v0, 2, v13
	s_mov_b32 s5, 0
	s_mov_b64 s[34:35], 0
.LBB182_29:                             ; =>This Inner Loop Header: Depth=1
	ds_read2st64_b32 v[14:15], v13 offset1:2
	ds_read2st64_b32 v[16:17], v13 offset0:4 offset1:6
	ds_read2st64_b32 v[18:19], v13 offset0:8 offset1:10
	;; [unrolled: 1-line block ×3, first 2 shown]
	v_add_u32_e32 v12, -8, v12
	s_waitcnt lgkmcnt(3)
	v_pk_mul_f32 v[14:15], v[2:3], v[14:15]
	s_waitcnt lgkmcnt(2)
	v_pk_mul_f32 v[16:17], v[2:3], v[16:17]
	ds_write2st64_b32 v13, v14, v15 offset1:2
	ds_write2st64_b32 v13, v16, v17 offset0:4 offset1:6
	ds_read2st64_b32 v[16:17], v13 offset0:16 offset1:18
	s_waitcnt lgkmcnt(4)
	v_pk_mul_f32 v[14:15], v[2:3], v[18:19]
	ds_write2st64_b32 v13, v14, v15 offset0:8 offset1:10
	s_waitcnt lgkmcnt(4)
	v_pk_mul_f32 v[14:15], v[2:3], v[20:21]
	ds_write2st64_b32 v13, v14, v15 offset0:12 offset1:14
	ds_read2st64_b32 v[14:15], v13 offset0:20 offset1:22
	s_waitcnt lgkmcnt(3)
	v_pk_mul_f32 v[16:17], v[2:3], v[16:17]
	ds_read2st64_b32 v[18:19], v13 offset0:24 offset1:26
	ds_write2st64_b32 v13, v16, v17 offset0:16 offset1:18
	ds_read2st64_b32 v[16:17], v13 offset0:28 offset1:30
	s_waitcnt lgkmcnt(3)
	v_pk_mul_f32 v[14:15], v[2:3], v[14:15]
	ds_write2st64_b32 v13, v14, v15 offset0:20 offset1:22
	s_waitcnt lgkmcnt(3)
	v_pk_mul_f32 v[14:15], v[2:3], v[18:19]
	ds_write2st64_b32 v13, v14, v15 offset0:24 offset1:26
	s_waitcnt lgkmcnt(2)
	v_pk_mul_f32 v[14:15], v[2:3], v[16:17]
	s_add_i32 s5, s5, 16
	v_cmp_eq_u32_e32 vcc, 0, v12
	ds_write2st64_b32 v13, v14, v15 offset0:28 offset1:30
	v_add_u32_e32 v13, 0x2000, v13
	s_or_b64 s[34:35], vcc, s[34:35]
	v_mov_b32_e32 v14, s5
	s_andn2_b64 exec, exec, s[34:35]
	s_cbranch_execnz .LBB182_29
; %bb.30:
	s_or_b64 exec, exec, s[34:35]
.LBB182_31:
	s_or_b64 exec, exec, s[10:11]
	v_and_b32_e32 v9, 7, v9
	v_cmp_ne_u32_e32 vcc, 0, v9
	s_and_saveexec_b64 s[10:11], vcc
	s_cbranch_execz .LBB182_34
; %bb.32:
	v_lshlrev_b32_e32 v12, 9, v14
	v_lshlrev_b32_e32 v13, 2, v0
	s_movk_i32 s5, 0x90
	v_add3_u32 v12, v12, v13, s5
	s_mov_b64 s[34:35], 0
.LBB182_33:                             ; =>This Inner Loop Header: Depth=1
	ds_read2st64_b32 v[14:15], v12 offset1:2
	v_add_u32_e32 v9, -1, v9
	v_cmp_eq_u32_e32 vcc, 0, v9
	s_or_b64 s[34:35], vcc, s[34:35]
	s_waitcnt lgkmcnt(0)
	v_pk_mul_f32 v[14:15], v[2:3], v[14:15]
	ds_write2st64_b32 v12, v14, v15 offset1:2
	v_add_u32_e32 v12, 0x400, v12
	s_andn2_b64 exec, exec, s[34:35]
	s_cbranch_execnz .LBB182_33
.LBB182_34:
	s_or_b64 exec, exec, s[10:11]
	v_add_u32_e32 v8, 1, v8
	v_and_b32_e32 v9, 0x3fffffe, v8
	v_cmp_ne_u32_e32 vcc, v8, v9
	v_lshl_add_u32 v3, v9, 7, v0
	s_orn2_b64 s[10:11], vcc, exec
.LBB182_35:
	s_or_b64 exec, exec, s[6:7]
	s_and_b64 exec, exec, s[10:11]
	s_cbranch_execz .LBB182_38
; %bb.36:
	v_mov_b32_e32 v8, 0x90
	v_lshl_add_u32 v8, v3, 2, v8
	s_mov_b64 s[6:7], 0
.LBB182_37:                             ; =>This Inner Loop Header: Depth=1
	ds_read_b32 v9, v8
	v_add_u32_e32 v3, 0x80, v3
	v_cmp_le_i32_e32 vcc, s3, v3
	s_or_b64 s[6:7], vcc, s[6:7]
	s_waitcnt lgkmcnt(0)
	v_mul_f32_e32 v9, v2, v9
	ds_write_b32 v8, v9
	v_add_u32_e32 v8, 0x200, v8
	s_andn2_b64 exec, exec, s[6:7]
	s_cbranch_execnz .LBB182_37
.LBB182_38:
	s_or_b64 exec, exec, s[0:1]
	v_cmp_eq_u32_e32 vcc, 0, v0
	s_waitcnt lgkmcnt(0)
	s_barrier
	s_and_saveexec_b64 s[0:1], vcc
	s_cbranch_execz .LBB182_40
; %bb.39:
	s_mul_i32 s3, s12, s20
	s_mul_i32 s6, s3, s21
	s_ashr_i32 s7, s6, 31
	s_lshl_b64 s[6:7], s[6:7], 2
	s_add_u32 s5, s18, s6
	s_mul_i32 s2, s12, s2
	s_addc_u32 s10, s19, s7
	s_ashr_i32 s3, s2, 31
	s_lshl_b64 s[2:3], s[2:3], 2
	s_add_u32 s15, s5, s2
	s_addc_u32 s19, s10, s3
	s_ashr_i32 s5, s4, 31
	s_lshl_b64 s[10:11], s[4:5], 2
	s_add_u32 s18, s15, s10
	s_addc_u32 s19, s19, s11
	s_add_u32 s5, s16, s6
	s_addc_u32 s6, s17, s7
	;; [unrolled: 2-line block ×3, first 2 shown]
	s_add_u32 s2, s2, s10
	v_mov_b32_e32 v2, 0
	s_addc_u32 s3, s3, s11
	global_store_dword v2, v4, s[18:19]
	global_store_dword v2, v5, s[2:3]
.LBB182_40:
	s_or_b64 exec, exec, s[0:1]
	v_mov_b32_e32 v13, 0
	v_and_b32_e32 v24, 3, v0
	v_mov_b32_e32 v12, 0
	v_mov_b32_e32 v15, 0
	;; [unrolled: 1-line block ×3, first 2 shown]
	s_and_saveexec_b64 s[2:3], s[8:9]
	s_cbranch_execz .LBB182_212
; %bb.41:
	s_ashr_i32 s15, s14, 31
	s_lshl_b64 s[0:1], s[14:15], 1
	s_add_u32 s0, s30, s0
	v_lshlrev_b32_e32 v3, 4, v0
	s_addc_u32 s1, s31, s1
	v_and_b32_e32 v16, 0x3f0, v3
	v_mov_b32_e32 v17, 0
	v_and_b32_e32 v2, 24, v6
	s_add_i32 s10, s41, -1
	v_lshl_add_u64 v[18:19], s[0:1], 0, v[16:17]
	v_lshl_add_u32 v3, v7, 5, s40
	s_lshl_b64 s[0:1], s[28:29], 2
	v_add3_u32 v16, v3, v2, 7
	v_lshlrev_b32_e32 v2, 5, v24
	s_add_u32 s0, s26, s0
	v_lshl_or_b32 v2, v7, 7, v2
	s_addc_u32 s1, s27, s1
	s_mov_b32 s5, s13
	v_add_u32_e32 v25, 0x90, v2
	v_lshl_add_u64 v[20:21], v[10:11], 2, s[0:1]
	s_mov_b64 s[6:7], 0
	s_mov_b32 s11, 0x7f800000
	s_movk_i32 s13, 0x7fff
	v_mov_b32_e32 v14, 0
	v_mov_b32_e32 v15, 0
	;; [unrolled: 1-line block ×4, first 2 shown]
	s_branch .LBB182_43
.LBB182_42:                             ;   in Loop: Header=BB182_43 Depth=1
	s_or_b64 exec, exec, s[0:1]
	v_and_b32_e32 v32, 0xffff0000, v28
	v_and_b32_e32 v28, 0xffff0000, v27
	;; [unrolled: 1-line block ×8, first 2 shown]
	v_pk_add_f32 v[8:9], v[8:9], v[26:27]
	v_pk_add_f32 v[26:27], v[28:29], v[32:33]
	v_add_f32_e32 v8, v8, v9
	v_add_f32_e32 v8, v8, v26
	;; [unrolled: 1-line block ×3, first 2 shown]
	v_and_b32_e32 v29, 0xffff0000, v49
	v_and_b32_e32 v28, 0xffff0000, v47
	;; [unrolled: 1-line block ×4, first 2 shown]
	v_add_f32_e32 v14, v14, v8
	v_and_b32_e32 v9, 0xffff0000, v53
	v_and_b32_e32 v8, 0xffff0000, v51
	;; [unrolled: 1-line block ×4, first 2 shown]
	v_pk_add_f32 v[28:29], v[32:33], v[28:29]
	v_pk_add_f32 v[8:9], v[26:27], v[8:9]
	v_add_f32_e32 v11, v28, v29
	v_add_f32_e32 v8, v11, v8
	;; [unrolled: 1-line block ×3, first 2 shown]
	v_and_b32_e32 v29, 0xffff0000, v57
	v_and_b32_e32 v28, 0xffff0000, v55
	;; [unrolled: 1-line block ×4, first 2 shown]
	v_add_f32_e32 v15, v15, v8
	v_and_b32_e32 v9, 0xffff0000, v61
	v_and_b32_e32 v8, 0xffff0000, v59
	;; [unrolled: 1-line block ×4, first 2 shown]
	v_pk_add_f32 v[28:29], v[32:33], v[28:29]
	v_pk_add_f32 v[8:9], v[26:27], v[8:9]
	v_add_f32_e32 v11, v28, v29
	v_add_f32_e32 v8, v11, v8
	v_add_f32_e32 v8, v8, v9
	v_and_b32_e32 v9, 0xffff0000, v7
	v_and_b32_e32 v7, 0xffff0000, v30
	v_and_b32_e32 v6, 0xffff0000, v6
	v_and_b32_e32 v3, 0xffff0000, v3
	v_and_b32_e32 v2, 0xffff0000, v2
	v_add_f32_e32 v12, v12, v8
	v_and_b32_e32 v8, 0xffff0000, v31
	v_and_b32_e32 v5, 0xffff0000, v5
	;; [unrolled: 1-line block ×3, first 2 shown]
	v_pk_add_f32 v[2:3], v[2:3], v[6:7]
	v_pk_add_f32 v[4:5], v[4:5], v[8:9]
	v_add_f32_e32 v2, v2, v3
	v_add_f32_e32 v2, v2, v4
	v_add_u32_e32 v10, 2, v10
	v_add_f32_e32 v2, v2, v5
	v_cmp_le_i32_e32 vcc, s23, v10
	v_add_f32_e32 v13, v13, v2
	v_add_u32_e32 v16, 64, v16
	v_add_u32_e32 v25, 0x100, v25
	s_or_b64 s[6:7], vcc, s[6:7]
	v_lshl_add_u64 v[20:21], v[20:21], 0, 8
	s_andn2_b64 exec, exec, s[6:7]
	s_cbranch_execz .LBB182_211
.LBB182_43:                             ; =>This Inner Loop Header: Depth=1
	global_load_dword v30, v[20:21], off
	ds_read2_b64 v[6:9], v25 offset1:1
	ds_read2_b64 v[2:5], v25 offset0:2 offset1:3
                                        ; implicit-def: $vgpr38
	s_waitcnt lgkmcnt(1)
	v_and_b32_e32 v11, 0x7f800000, v6
	v_cmp_ne_u32_e32 vcc, s11, v11
	s_and_saveexec_b64 s[0:1], vcc
	s_xor_b64 s[0:1], exec, s[0:1]
; %bb.44:                               ;   in Loop: Header=BB182_43 Depth=1
	v_bfe_u32 v11, v6, 16, 1
	v_add3_u32 v38, v6, v11, s13
; %bb.45:                               ;   in Loop: Header=BB182_43 Depth=1
	s_andn2_saveexec_b64 s[0:1], s[0:1]
; %bb.46:                               ;   in Loop: Header=BB182_43 Depth=1
	v_or_b32_e32 v11, 0x10000, v6
	v_cmp_eq_u32_sdwa vcc, v6, v17 src0_sel:WORD_0 src1_sel:DWORD
	s_nop 1
	v_cndmask_b32_e32 v38, v11, v6, vcc
; %bb.47:                               ;   in Loop: Header=BB182_43 Depth=1
	s_or_b64 exec, exec, s[0:1]
	v_and_b32_e32 v6, 0x7f800000, v7
	v_cmp_ne_u32_e32 vcc, s11, v6
                                        ; implicit-def: $vgpr39
	s_and_saveexec_b64 s[0:1], vcc
	s_xor_b64 s[0:1], exec, s[0:1]
; %bb.48:                               ;   in Loop: Header=BB182_43 Depth=1
	v_bfe_u32 v6, v7, 16, 1
	v_add3_u32 v39, v7, v6, s13
; %bb.49:                               ;   in Loop: Header=BB182_43 Depth=1
	s_andn2_saveexec_b64 s[0:1], s[0:1]
; %bb.50:                               ;   in Loop: Header=BB182_43 Depth=1
	v_or_b32_e32 v6, 0x10000, v7
	v_cmp_eq_u32_sdwa vcc, v7, v17 src0_sel:WORD_0 src1_sel:DWORD
	s_nop 1
	v_cndmask_b32_e32 v39, v6, v7, vcc
; %bb.51:                               ;   in Loop: Header=BB182_43 Depth=1
	s_or_b64 exec, exec, s[0:1]
	v_and_b32_e32 v6, 0x7f800000, v8
	v_cmp_ne_u32_e32 vcc, s11, v6
                                        ; implicit-def: $vgpr11
	s_and_saveexec_b64 s[0:1], vcc
	s_xor_b64 s[0:1], exec, s[0:1]
; %bb.52:                               ;   in Loop: Header=BB182_43 Depth=1
	v_bfe_u32 v6, v8, 16, 1
	v_add3_u32 v11, v8, v6, s13
; %bb.53:                               ;   in Loop: Header=BB182_43 Depth=1
	s_andn2_saveexec_b64 s[0:1], s[0:1]
; %bb.54:                               ;   in Loop: Header=BB182_43 Depth=1
	v_or_b32_e32 v6, 0x10000, v8
	v_cmp_eq_u32_sdwa vcc, v8, v17 src0_sel:WORD_0 src1_sel:DWORD
	s_nop 1
	v_cndmask_b32_e32 v11, v6, v8, vcc
; %bb.55:                               ;   in Loop: Header=BB182_43 Depth=1
	s_or_b64 exec, exec, s[0:1]
	v_and_b32_e32 v6, 0x7f800000, v9
	v_cmp_ne_u32_e32 vcc, s11, v6
                                        ; implicit-def: $vgpr26
	s_and_saveexec_b64 s[0:1], vcc
	s_xor_b64 s[0:1], exec, s[0:1]
; %bb.56:                               ;   in Loop: Header=BB182_43 Depth=1
	v_bfe_u32 v6, v9, 16, 1
	v_add3_u32 v26, v9, v6, s13
                                        ; implicit-def: $vgpr6_vgpr7_vgpr8_vgpr9
; %bb.57:                               ;   in Loop: Header=BB182_43 Depth=1
	s_andn2_saveexec_b64 s[0:1], s[0:1]
; %bb.58:                               ;   in Loop: Header=BB182_43 Depth=1
	v_or_b32_e32 v6, 0x10000, v9
	v_cmp_eq_u32_sdwa vcc, v9, v17 src0_sel:WORD_0 src1_sel:DWORD
	s_nop 1
	v_cndmask_b32_e32 v26, v6, v9, vcc
; %bb.59:                               ;   in Loop: Header=BB182_43 Depth=1
	s_or_b64 exec, exec, s[0:1]
	s_waitcnt lgkmcnt(0)
	v_and_b32_e32 v6, 0x7f800000, v2
	v_cmp_ne_u32_e32 vcc, s11, v6
                                        ; implicit-def: $vgpr27
	s_and_saveexec_b64 s[0:1], vcc
	s_xor_b64 s[0:1], exec, s[0:1]
; %bb.60:                               ;   in Loop: Header=BB182_43 Depth=1
	v_bfe_u32 v6, v2, 16, 1
	v_add3_u32 v27, v2, v6, s13
; %bb.61:                               ;   in Loop: Header=BB182_43 Depth=1
	s_andn2_saveexec_b64 s[0:1], s[0:1]
; %bb.62:                               ;   in Loop: Header=BB182_43 Depth=1
	v_or_b32_e32 v6, 0x10000, v2
	v_cmp_eq_u32_sdwa vcc, v2, v17 src0_sel:WORD_0 src1_sel:DWORD
	s_nop 1
	v_cndmask_b32_e32 v27, v6, v2, vcc
; %bb.63:                               ;   in Loop: Header=BB182_43 Depth=1
	s_or_b64 exec, exec, s[0:1]
	v_and_b32_e32 v2, 0x7f800000, v3
	v_cmp_ne_u32_e32 vcc, s11, v2
                                        ; implicit-def: $vgpr28
	s_and_saveexec_b64 s[0:1], vcc
	s_xor_b64 s[0:1], exec, s[0:1]
; %bb.64:                               ;   in Loop: Header=BB182_43 Depth=1
	v_bfe_u32 v2, v3, 16, 1
	v_add3_u32 v28, v3, v2, s13
; %bb.65:                               ;   in Loop: Header=BB182_43 Depth=1
	s_andn2_saveexec_b64 s[0:1], s[0:1]
; %bb.66:                               ;   in Loop: Header=BB182_43 Depth=1
	v_or_b32_e32 v2, 0x10000, v3
	v_cmp_eq_u32_sdwa vcc, v3, v17 src0_sel:WORD_0 src1_sel:DWORD
	s_nop 1
	v_cndmask_b32_e32 v28, v2, v3, vcc
; %bb.67:                               ;   in Loop: Header=BB182_43 Depth=1
	s_or_b64 exec, exec, s[0:1]
	v_and_b32_e32 v2, 0x7f800000, v4
	v_cmp_ne_u32_e32 vcc, s11, v2
                                        ; implicit-def: $vgpr29
	s_and_saveexec_b64 s[0:1], vcc
	s_xor_b64 s[0:1], exec, s[0:1]
; %bb.68:                               ;   in Loop: Header=BB182_43 Depth=1
	v_bfe_u32 v2, v4, 16, 1
	v_add3_u32 v29, v4, v2, s13
; %bb.69:                               ;   in Loop: Header=BB182_43 Depth=1
	s_andn2_saveexec_b64 s[0:1], s[0:1]
; %bb.70:                               ;   in Loop: Header=BB182_43 Depth=1
	v_or_b32_e32 v2, 0x10000, v4
	v_cmp_eq_u32_sdwa vcc, v4, v17 src0_sel:WORD_0 src1_sel:DWORD
	s_nop 1
	v_cndmask_b32_e32 v29, v2, v4, vcc
; %bb.71:                               ;   in Loop: Header=BB182_43 Depth=1
	s_or_b64 exec, exec, s[0:1]
	v_and_b32_e32 v2, 0x7f800000, v5
	v_cmp_ne_u32_e32 vcc, s11, v2
                                        ; implicit-def: $vgpr37
	s_and_saveexec_b64 s[0:1], vcc
	s_xor_b64 s[0:1], exec, s[0:1]
; %bb.72:                               ;   in Loop: Header=BB182_43 Depth=1
	v_bfe_u32 v2, v5, 16, 1
	v_add3_u32 v37, v5, v2, s13
                                        ; implicit-def: $vgpr2_vgpr3_vgpr4_vgpr5
; %bb.73:                               ;   in Loop: Header=BB182_43 Depth=1
	s_andn2_saveexec_b64 s[0:1], s[0:1]
; %bb.74:                               ;   in Loop: Header=BB182_43 Depth=1
	v_or_b32_e32 v2, 0x10000, v5
	v_cmp_eq_u32_sdwa vcc, v5, v17 src0_sel:WORD_0 src1_sel:DWORD
	s_nop 1
	v_cndmask_b32_e32 v37, v2, v5, vcc
; %bb.75:                               ;   in Loop: Header=BB182_43 Depth=1
	s_or_b64 exec, exec, s[0:1]
	s_waitcnt vmcnt(0)
	v_mad_i64_i32 v[2:3], s[0:1], v30, s5, 0
	v_lshl_add_u64 v[6:7], v[2:3], 1, v[18:19]
	global_load_dwordx4 v[2:5], v[6:7], off
	v_add_u32_e32 v30, -7, v16
	v_cmp_eq_u32_e32 vcc, s10, v10
	v_add_u32_e32 v36, -6, v16
	v_add_u32_e32 v34, -5, v16
	;; [unrolled: 1-line block ×6, first 2 shown]
	s_waitcnt vmcnt(0)
	v_lshrrev_b32_e32 v9, 16, v2
	v_lshrrev_b32_e32 v42, 16, v3
	;; [unrolled: 1-line block ×4, first 2 shown]
	s_and_saveexec_b64 s[8:9], vcc
	s_cbranch_execz .LBB182_77
; %bb.76:                               ;   in Loop: Header=BB182_43 Depth=1
	v_cmp_gt_i32_e64 s[0:1], s33, v30
	s_nop 1
	v_cndmask_b32_e64 v2, 0, v2, s[0:1]
	v_cmp_gt_i32_e64 s[0:1], s33, v36
	s_nop 1
	v_cndmask_b32_e64 v9, 0, v9, s[0:1]
	;; [unrolled: 3-line block ×8, first 2 shown]
.LBB182_77:                             ;   in Loop: Header=BB182_43 Depth=1
	s_or_b64 exec, exec, s[8:9]
	v_and_b32_e32 v38, 0xffff0000, v38
	v_lshlrev_b32_e32 v2, 16, v2
	v_mul_f32_e32 v2, v38, v2
	v_and_b32_e32 v8, 0x7f800000, v2
	v_cmp_ne_u32_e64 s[0:1], s11, v8
                                        ; implicit-def: $vgpr8
	s_and_saveexec_b64 s[8:9], s[0:1]
	s_xor_b64 s[0:1], exec, s[8:9]
; %bb.78:                               ;   in Loop: Header=BB182_43 Depth=1
	v_bfe_u32 v8, v2, 16, 1
	v_add3_u32 v8, v2, v8, s13
                                        ; implicit-def: $vgpr2
; %bb.79:                               ;   in Loop: Header=BB182_43 Depth=1
	s_andn2_saveexec_b64 s[8:9], s[0:1]
; %bb.80:                               ;   in Loop: Header=BB182_43 Depth=1
	v_or_b32_e32 v8, 0x10000, v2
	v_cmp_eq_u32_sdwa s[0:1], v2, v17 src0_sel:WORD_0 src1_sel:DWORD
	s_nop 1
	v_cndmask_b32_e64 v8, v8, v2, s[0:1]
; %bb.81:                               ;   in Loop: Header=BB182_43 Depth=1
	s_or_b64 exec, exec, s[8:9]
	v_and_b32_e32 v39, 0xffff0000, v39
	v_lshlrev_b32_e32 v2, 16, v9
	v_mul_f32_e32 v2, v39, v2
	v_and_b32_e32 v9, 0x7f800000, v2
	v_cmp_ne_u32_e64 s[0:1], s11, v9
                                        ; implicit-def: $vgpr9
	s_and_saveexec_b64 s[8:9], s[0:1]
	s_xor_b64 s[0:1], exec, s[8:9]
; %bb.82:                               ;   in Loop: Header=BB182_43 Depth=1
	v_bfe_u32 v9, v2, 16, 1
	v_add3_u32 v9, v2, v9, s13
                                        ; implicit-def: $vgpr2
; %bb.83:                               ;   in Loop: Header=BB182_43 Depth=1
	s_andn2_saveexec_b64 s[8:9], s[0:1]
; %bb.84:                               ;   in Loop: Header=BB182_43 Depth=1
	v_or_b32_e32 v9, 0x10000, v2
	v_cmp_eq_u32_sdwa s[0:1], v2, v17 src0_sel:WORD_0 src1_sel:DWORD
	s_nop 1
	v_cndmask_b32_e64 v9, v9, v2, s[0:1]
; %bb.85:                               ;   in Loop: Header=BB182_43 Depth=1
	s_or_b64 exec, exec, s[8:9]
	v_and_b32_e32 v40, 0xffff0000, v11
	v_lshlrev_b32_e32 v2, 16, v3
	v_mul_f32_e32 v2, v40, v2
	v_and_b32_e32 v3, 0x7f800000, v2
	v_cmp_ne_u32_e64 s[0:1], s11, v3
                                        ; implicit-def: $vgpr11
	s_and_saveexec_b64 s[8:9], s[0:1]
	s_xor_b64 s[0:1], exec, s[8:9]
; %bb.86:                               ;   in Loop: Header=BB182_43 Depth=1
	v_bfe_u32 v3, v2, 16, 1
	v_add3_u32 v11, v2, v3, s13
                                        ; implicit-def: $vgpr2
; %bb.87:                               ;   in Loop: Header=BB182_43 Depth=1
	s_andn2_saveexec_b64 s[8:9], s[0:1]
; %bb.88:                               ;   in Loop: Header=BB182_43 Depth=1
	v_or_b32_e32 v3, 0x10000, v2
	v_cmp_eq_u32_sdwa s[0:1], v2, v17 src0_sel:WORD_0 src1_sel:DWORD
	s_nop 1
	v_cndmask_b32_e64 v11, v3, v2, s[0:1]
; %bb.89:                               ;   in Loop: Header=BB182_43 Depth=1
	s_or_b64 exec, exec, s[8:9]
	v_and_b32_e32 v41, 0xffff0000, v26
	v_lshlrev_b32_e32 v2, 16, v42
	v_mul_f32_e32 v2, v41, v2
	v_and_b32_e32 v3, 0x7f800000, v2
	v_cmp_ne_u32_e64 s[0:1], s11, v3
                                        ; implicit-def: $vgpr26
	s_and_saveexec_b64 s[8:9], s[0:1]
	s_xor_b64 s[0:1], exec, s[8:9]
; %bb.90:                               ;   in Loop: Header=BB182_43 Depth=1
	v_bfe_u32 v3, v2, 16, 1
	v_add3_u32 v26, v2, v3, s13
                                        ; implicit-def: $vgpr2
; %bb.91:                               ;   in Loop: Header=BB182_43 Depth=1
	s_andn2_saveexec_b64 s[8:9], s[0:1]
; %bb.92:                               ;   in Loop: Header=BB182_43 Depth=1
	v_or_b32_e32 v3, 0x10000, v2
	v_cmp_eq_u32_sdwa s[0:1], v2, v17 src0_sel:WORD_0 src1_sel:DWORD
	s_nop 1
	v_cndmask_b32_e64 v26, v3, v2, s[0:1]
; %bb.93:                               ;   in Loop: Header=BB182_43 Depth=1
	s_or_b64 exec, exec, s[8:9]
	v_and_b32_e32 v42, 0xffff0000, v27
	v_lshlrev_b32_e32 v2, 16, v4
	v_mul_f32_e32 v2, v42, v2
	v_and_b32_e32 v3, 0x7f800000, v2
	v_cmp_ne_u32_e64 s[0:1], s11, v3
                                        ; implicit-def: $vgpr27
	s_and_saveexec_b64 s[8:9], s[0:1]
	s_xor_b64 s[0:1], exec, s[8:9]
; %bb.94:                               ;   in Loop: Header=BB182_43 Depth=1
	v_bfe_u32 v3, v2, 16, 1
	v_add3_u32 v27, v2, v3, s13
                                        ; implicit-def: $vgpr2
; %bb.95:                               ;   in Loop: Header=BB182_43 Depth=1
	s_andn2_saveexec_b64 s[8:9], s[0:1]
; %bb.96:                               ;   in Loop: Header=BB182_43 Depth=1
	v_or_b32_e32 v3, 0x10000, v2
	v_cmp_eq_u32_sdwa s[0:1], v2, v17 src0_sel:WORD_0 src1_sel:DWORD
	s_nop 1
	v_cndmask_b32_e64 v27, v3, v2, s[0:1]
; %bb.97:                               ;   in Loop: Header=BB182_43 Depth=1
	s_or_b64 exec, exec, s[8:9]
	v_and_b32_e32 v43, 0xffff0000, v28
	v_lshlrev_b32_e32 v2, 16, v44
	v_mul_f32_e32 v2, v43, v2
	v_and_b32_e32 v3, 0x7f800000, v2
	v_cmp_ne_u32_e64 s[0:1], s11, v3
                                        ; implicit-def: $vgpr28
	s_and_saveexec_b64 s[8:9], s[0:1]
	s_xor_b64 s[0:1], exec, s[8:9]
; %bb.98:                               ;   in Loop: Header=BB182_43 Depth=1
	v_bfe_u32 v3, v2, 16, 1
	v_add3_u32 v28, v2, v3, s13
                                        ; implicit-def: $vgpr2
; %bb.99:                               ;   in Loop: Header=BB182_43 Depth=1
	s_andn2_saveexec_b64 s[8:9], s[0:1]
; %bb.100:                              ;   in Loop: Header=BB182_43 Depth=1
	v_or_b32_e32 v3, 0x10000, v2
	v_cmp_eq_u32_sdwa s[0:1], v2, v17 src0_sel:WORD_0 src1_sel:DWORD
	s_nop 1
	v_cndmask_b32_e64 v28, v3, v2, s[0:1]
; %bb.101:                              ;   in Loop: Header=BB182_43 Depth=1
	s_or_b64 exec, exec, s[8:9]
	v_and_b32_e32 v44, 0xffff0000, v29
	v_lshlrev_b32_e32 v2, 16, v5
	v_mul_f32_e32 v2, v44, v2
	v_and_b32_e32 v3, 0x7f800000, v2
	v_cmp_ne_u32_e64 s[0:1], s11, v3
                                        ; implicit-def: $vgpr29
	s_and_saveexec_b64 s[8:9], s[0:1]
	s_xor_b64 s[0:1], exec, s[8:9]
; %bb.102:                              ;   in Loop: Header=BB182_43 Depth=1
	v_bfe_u32 v3, v2, 16, 1
	v_add3_u32 v29, v2, v3, s13
                                        ; implicit-def: $vgpr2
; %bb.103:                              ;   in Loop: Header=BB182_43 Depth=1
	s_andn2_saveexec_b64 s[8:9], s[0:1]
; %bb.104:                              ;   in Loop: Header=BB182_43 Depth=1
	v_or_b32_e32 v3, 0x10000, v2
	v_cmp_eq_u32_sdwa s[0:1], v2, v17 src0_sel:WORD_0 src1_sel:DWORD
	s_nop 1
	v_cndmask_b32_e64 v29, v3, v2, s[0:1]
; %bb.105:                              ;   in Loop: Header=BB182_43 Depth=1
	s_or_b64 exec, exec, s[8:9]
	v_and_b32_e32 v45, 0xffff0000, v37
	v_lshlrev_b32_e32 v2, 16, v46
	v_mul_f32_e32 v2, v45, v2
	v_and_b32_e32 v3, 0x7f800000, v2
	v_cmp_ne_u32_e64 s[0:1], s11, v3
                                        ; implicit-def: $vgpr37
	s_and_saveexec_b64 s[8:9], s[0:1]
	s_xor_b64 s[0:1], exec, s[8:9]
; %bb.106:                              ;   in Loop: Header=BB182_43 Depth=1
	v_bfe_u32 v3, v2, 16, 1
	v_add3_u32 v37, v2, v3, s13
                                        ; implicit-def: $vgpr2
; %bb.107:                              ;   in Loop: Header=BB182_43 Depth=1
	s_andn2_saveexec_b64 s[8:9], s[0:1]
; %bb.108:                              ;   in Loop: Header=BB182_43 Depth=1
	v_or_b32_e32 v3, 0x10000, v2
	v_cmp_eq_u32_sdwa s[0:1], v2, v17 src0_sel:WORD_0 src1_sel:DWORD
	s_nop 1
	v_cndmask_b32_e64 v37, v3, v2, s[0:1]
; %bb.109:                              ;   in Loop: Header=BB182_43 Depth=1
	s_or_b64 exec, exec, s[8:9]
	global_load_dwordx4 v[2:5], v[6:7], off offset:1024
	s_waitcnt vmcnt(0)
	v_lshrrev_b32_e32 v47, 16, v2
	v_lshrrev_b32_e32 v49, 16, v3
	v_lshrrev_b32_e32 v51, 16, v4
	v_lshrrev_b32_e32 v53, 16, v5
	s_and_saveexec_b64 s[8:9], vcc
	s_cbranch_execz .LBB182_111
; %bb.110:                              ;   in Loop: Header=BB182_43 Depth=1
	v_cmp_gt_i32_e64 s[0:1], s33, v30
	s_nop 1
	v_cndmask_b32_e64 v2, 0, v2, s[0:1]
	v_cmp_gt_i32_e64 s[0:1], s33, v36
	s_nop 1
	v_cndmask_b32_e64 v47, 0, v47, s[0:1]
	;; [unrolled: 3-line block ×8, first 2 shown]
.LBB182_111:                            ;   in Loop: Header=BB182_43 Depth=1
	s_or_b64 exec, exec, s[8:9]
	v_lshlrev_b32_e32 v2, 16, v2
	v_mul_f32_e32 v2, v38, v2
	v_and_b32_e32 v46, 0x7f800000, v2
	v_cmp_ne_u32_e64 s[0:1], s11, v46
                                        ; implicit-def: $vgpr46
	s_and_saveexec_b64 s[8:9], s[0:1]
	s_xor_b64 s[0:1], exec, s[8:9]
; %bb.112:                              ;   in Loop: Header=BB182_43 Depth=1
	v_bfe_u32 v46, v2, 16, 1
	v_add3_u32 v46, v2, v46, s13
                                        ; implicit-def: $vgpr2
; %bb.113:                              ;   in Loop: Header=BB182_43 Depth=1
	s_andn2_saveexec_b64 s[8:9], s[0:1]
; %bb.114:                              ;   in Loop: Header=BB182_43 Depth=1
	v_or_b32_e32 v46, 0x10000, v2
	v_cmp_eq_u32_sdwa s[0:1], v2, v17 src0_sel:WORD_0 src1_sel:DWORD
	s_nop 1
	v_cndmask_b32_e64 v46, v46, v2, s[0:1]
; %bb.115:                              ;   in Loop: Header=BB182_43 Depth=1
	s_or_b64 exec, exec, s[8:9]
	v_lshlrev_b32_e32 v2, 16, v47
	v_mul_f32_e32 v2, v39, v2
	v_and_b32_e32 v47, 0x7f800000, v2
	v_cmp_ne_u32_e64 s[0:1], s11, v47
                                        ; implicit-def: $vgpr47
	s_and_saveexec_b64 s[8:9], s[0:1]
	s_xor_b64 s[0:1], exec, s[8:9]
; %bb.116:                              ;   in Loop: Header=BB182_43 Depth=1
	v_bfe_u32 v47, v2, 16, 1
	v_add3_u32 v47, v2, v47, s13
                                        ; implicit-def: $vgpr2
; %bb.117:                              ;   in Loop: Header=BB182_43 Depth=1
	s_andn2_saveexec_b64 s[8:9], s[0:1]
; %bb.118:                              ;   in Loop: Header=BB182_43 Depth=1
	v_or_b32_e32 v47, 0x10000, v2
	v_cmp_eq_u32_sdwa s[0:1], v2, v17 src0_sel:WORD_0 src1_sel:DWORD
	s_nop 1
	v_cndmask_b32_e64 v47, v47, v2, s[0:1]
; %bb.119:                              ;   in Loop: Header=BB182_43 Depth=1
	s_or_b64 exec, exec, s[8:9]
	v_lshlrev_b32_e32 v2, 16, v3
	v_mul_f32_e32 v2, v40, v2
	v_and_b32_e32 v3, 0x7f800000, v2
	v_cmp_ne_u32_e64 s[0:1], s11, v3
                                        ; implicit-def: $vgpr48
	s_and_saveexec_b64 s[8:9], s[0:1]
	s_xor_b64 s[0:1], exec, s[8:9]
; %bb.120:                              ;   in Loop: Header=BB182_43 Depth=1
	v_bfe_u32 v3, v2, 16, 1
	v_add3_u32 v48, v2, v3, s13
                                        ; implicit-def: $vgpr2
; %bb.121:                              ;   in Loop: Header=BB182_43 Depth=1
	s_andn2_saveexec_b64 s[8:9], s[0:1]
; %bb.122:                              ;   in Loop: Header=BB182_43 Depth=1
	v_or_b32_e32 v3, 0x10000, v2
	v_cmp_eq_u32_sdwa s[0:1], v2, v17 src0_sel:WORD_0 src1_sel:DWORD
	s_nop 1
	v_cndmask_b32_e64 v48, v3, v2, s[0:1]
; %bb.123:                              ;   in Loop: Header=BB182_43 Depth=1
	s_or_b64 exec, exec, s[8:9]
	v_lshlrev_b32_e32 v2, 16, v49
	v_mul_f32_e32 v2, v41, v2
	v_and_b32_e32 v3, 0x7f800000, v2
	v_cmp_ne_u32_e64 s[0:1], s11, v3
                                        ; implicit-def: $vgpr49
	s_and_saveexec_b64 s[8:9], s[0:1]
	s_xor_b64 s[0:1], exec, s[8:9]
; %bb.124:                              ;   in Loop: Header=BB182_43 Depth=1
	v_bfe_u32 v3, v2, 16, 1
	v_add3_u32 v49, v2, v3, s13
                                        ; implicit-def: $vgpr2
; %bb.125:                              ;   in Loop: Header=BB182_43 Depth=1
	s_andn2_saveexec_b64 s[8:9], s[0:1]
; %bb.126:                              ;   in Loop: Header=BB182_43 Depth=1
	v_or_b32_e32 v3, 0x10000, v2
	v_cmp_eq_u32_sdwa s[0:1], v2, v17 src0_sel:WORD_0 src1_sel:DWORD
	s_nop 1
	v_cndmask_b32_e64 v49, v3, v2, s[0:1]
; %bb.127:                              ;   in Loop: Header=BB182_43 Depth=1
	s_or_b64 exec, exec, s[8:9]
	v_lshlrev_b32_e32 v2, 16, v4
	v_mul_f32_e32 v2, v42, v2
	v_and_b32_e32 v3, 0x7f800000, v2
	v_cmp_ne_u32_e64 s[0:1], s11, v3
                                        ; implicit-def: $vgpr50
	s_and_saveexec_b64 s[8:9], s[0:1]
	s_xor_b64 s[0:1], exec, s[8:9]
; %bb.128:                              ;   in Loop: Header=BB182_43 Depth=1
	v_bfe_u32 v3, v2, 16, 1
	v_add3_u32 v50, v2, v3, s13
                                        ; implicit-def: $vgpr2
; %bb.129:                              ;   in Loop: Header=BB182_43 Depth=1
	s_andn2_saveexec_b64 s[8:9], s[0:1]
; %bb.130:                              ;   in Loop: Header=BB182_43 Depth=1
	v_or_b32_e32 v3, 0x10000, v2
	v_cmp_eq_u32_sdwa s[0:1], v2, v17 src0_sel:WORD_0 src1_sel:DWORD
	s_nop 1
	v_cndmask_b32_e64 v50, v3, v2, s[0:1]
; %bb.131:                              ;   in Loop: Header=BB182_43 Depth=1
	s_or_b64 exec, exec, s[8:9]
	v_lshlrev_b32_e32 v2, 16, v51
	v_mul_f32_e32 v2, v43, v2
	v_and_b32_e32 v3, 0x7f800000, v2
	v_cmp_ne_u32_e64 s[0:1], s11, v3
                                        ; implicit-def: $vgpr51
	s_and_saveexec_b64 s[8:9], s[0:1]
	s_xor_b64 s[0:1], exec, s[8:9]
; %bb.132:                              ;   in Loop: Header=BB182_43 Depth=1
	v_bfe_u32 v3, v2, 16, 1
	v_add3_u32 v51, v2, v3, s13
                                        ; implicit-def: $vgpr2
; %bb.133:                              ;   in Loop: Header=BB182_43 Depth=1
	s_andn2_saveexec_b64 s[8:9], s[0:1]
; %bb.134:                              ;   in Loop: Header=BB182_43 Depth=1
	v_or_b32_e32 v3, 0x10000, v2
	v_cmp_eq_u32_sdwa s[0:1], v2, v17 src0_sel:WORD_0 src1_sel:DWORD
	s_nop 1
	v_cndmask_b32_e64 v51, v3, v2, s[0:1]
; %bb.135:                              ;   in Loop: Header=BB182_43 Depth=1
	s_or_b64 exec, exec, s[8:9]
	v_lshlrev_b32_e32 v2, 16, v5
	v_mul_f32_e32 v2, v44, v2
	v_and_b32_e32 v3, 0x7f800000, v2
	v_cmp_ne_u32_e64 s[0:1], s11, v3
                                        ; implicit-def: $vgpr52
	s_and_saveexec_b64 s[8:9], s[0:1]
	s_xor_b64 s[0:1], exec, s[8:9]
; %bb.136:                              ;   in Loop: Header=BB182_43 Depth=1
	v_bfe_u32 v3, v2, 16, 1
	v_add3_u32 v52, v2, v3, s13
                                        ; implicit-def: $vgpr2
; %bb.137:                              ;   in Loop: Header=BB182_43 Depth=1
	s_andn2_saveexec_b64 s[8:9], s[0:1]
; %bb.138:                              ;   in Loop: Header=BB182_43 Depth=1
	v_or_b32_e32 v3, 0x10000, v2
	v_cmp_eq_u32_sdwa s[0:1], v2, v17 src0_sel:WORD_0 src1_sel:DWORD
	s_nop 1
	v_cndmask_b32_e64 v52, v3, v2, s[0:1]
; %bb.139:                              ;   in Loop: Header=BB182_43 Depth=1
	s_or_b64 exec, exec, s[8:9]
	v_lshlrev_b32_e32 v2, 16, v53
	v_mul_f32_e32 v2, v45, v2
	v_and_b32_e32 v3, 0x7f800000, v2
	v_cmp_ne_u32_e64 s[0:1], s11, v3
                                        ; implicit-def: $vgpr53
	s_and_saveexec_b64 s[8:9], s[0:1]
	s_xor_b64 s[0:1], exec, s[8:9]
; %bb.140:                              ;   in Loop: Header=BB182_43 Depth=1
	v_bfe_u32 v3, v2, 16, 1
	v_add3_u32 v53, v2, v3, s13
                                        ; implicit-def: $vgpr2
; %bb.141:                              ;   in Loop: Header=BB182_43 Depth=1
	s_andn2_saveexec_b64 s[8:9], s[0:1]
; %bb.142:                              ;   in Loop: Header=BB182_43 Depth=1
	v_or_b32_e32 v3, 0x10000, v2
	v_cmp_eq_u32_sdwa s[0:1], v2, v17 src0_sel:WORD_0 src1_sel:DWORD
	s_nop 1
	v_cndmask_b32_e64 v53, v3, v2, s[0:1]
; %bb.143:                              ;   in Loop: Header=BB182_43 Depth=1
	s_or_b64 exec, exec, s[8:9]
	global_load_dwordx4 v[2:5], v[6:7], off offset:2048
	s_waitcnt vmcnt(0)
	v_lshrrev_b32_e32 v55, 16, v2
	v_lshrrev_b32_e32 v57, 16, v3
	;; [unrolled: 1-line block ×4, first 2 shown]
	s_and_saveexec_b64 s[8:9], vcc
	s_cbranch_execz .LBB182_145
; %bb.144:                              ;   in Loop: Header=BB182_43 Depth=1
	v_cmp_gt_i32_e64 s[0:1], s33, v30
	s_nop 1
	v_cndmask_b32_e64 v2, 0, v2, s[0:1]
	v_cmp_gt_i32_e64 s[0:1], s33, v36
	s_nop 1
	v_cndmask_b32_e64 v55, 0, v55, s[0:1]
	;; [unrolled: 3-line block ×8, first 2 shown]
.LBB182_145:                            ;   in Loop: Header=BB182_43 Depth=1
	s_or_b64 exec, exec, s[8:9]
	v_lshlrev_b32_e32 v2, 16, v2
	v_mul_f32_e32 v2, v38, v2
	v_and_b32_e32 v54, 0x7f800000, v2
	v_cmp_ne_u32_e64 s[0:1], s11, v54
                                        ; implicit-def: $vgpr54
	s_and_saveexec_b64 s[8:9], s[0:1]
	s_xor_b64 s[0:1], exec, s[8:9]
; %bb.146:                              ;   in Loop: Header=BB182_43 Depth=1
	v_bfe_u32 v54, v2, 16, 1
	v_add3_u32 v54, v2, v54, s13
                                        ; implicit-def: $vgpr2
; %bb.147:                              ;   in Loop: Header=BB182_43 Depth=1
	s_andn2_saveexec_b64 s[8:9], s[0:1]
; %bb.148:                              ;   in Loop: Header=BB182_43 Depth=1
	v_or_b32_e32 v54, 0x10000, v2
	v_cmp_eq_u32_sdwa s[0:1], v2, v17 src0_sel:WORD_0 src1_sel:DWORD
	s_nop 1
	v_cndmask_b32_e64 v54, v54, v2, s[0:1]
; %bb.149:                              ;   in Loop: Header=BB182_43 Depth=1
	s_or_b64 exec, exec, s[8:9]
	v_lshlrev_b32_e32 v2, 16, v55
	v_mul_f32_e32 v2, v39, v2
	v_and_b32_e32 v55, 0x7f800000, v2
	v_cmp_ne_u32_e64 s[0:1], s11, v55
                                        ; implicit-def: $vgpr55
	s_and_saveexec_b64 s[8:9], s[0:1]
	s_xor_b64 s[0:1], exec, s[8:9]
; %bb.150:                              ;   in Loop: Header=BB182_43 Depth=1
	v_bfe_u32 v55, v2, 16, 1
	v_add3_u32 v55, v2, v55, s13
                                        ; implicit-def: $vgpr2
; %bb.151:                              ;   in Loop: Header=BB182_43 Depth=1
	s_andn2_saveexec_b64 s[8:9], s[0:1]
; %bb.152:                              ;   in Loop: Header=BB182_43 Depth=1
	v_or_b32_e32 v55, 0x10000, v2
	v_cmp_eq_u32_sdwa s[0:1], v2, v17 src0_sel:WORD_0 src1_sel:DWORD
	s_nop 1
	v_cndmask_b32_e64 v55, v55, v2, s[0:1]
; %bb.153:                              ;   in Loop: Header=BB182_43 Depth=1
	s_or_b64 exec, exec, s[8:9]
	v_lshlrev_b32_e32 v2, 16, v3
	v_mul_f32_e32 v2, v40, v2
	v_and_b32_e32 v3, 0x7f800000, v2
	v_cmp_ne_u32_e64 s[0:1], s11, v3
                                        ; implicit-def: $vgpr56
	s_and_saveexec_b64 s[8:9], s[0:1]
	s_xor_b64 s[0:1], exec, s[8:9]
; %bb.154:                              ;   in Loop: Header=BB182_43 Depth=1
	v_bfe_u32 v3, v2, 16, 1
	v_add3_u32 v56, v2, v3, s13
                                        ; implicit-def: $vgpr2
; %bb.155:                              ;   in Loop: Header=BB182_43 Depth=1
	s_andn2_saveexec_b64 s[8:9], s[0:1]
; %bb.156:                              ;   in Loop: Header=BB182_43 Depth=1
	v_or_b32_e32 v3, 0x10000, v2
	v_cmp_eq_u32_sdwa s[0:1], v2, v17 src0_sel:WORD_0 src1_sel:DWORD
	s_nop 1
	v_cndmask_b32_e64 v56, v3, v2, s[0:1]
; %bb.157:                              ;   in Loop: Header=BB182_43 Depth=1
	s_or_b64 exec, exec, s[8:9]
	v_lshlrev_b32_e32 v2, 16, v57
	v_mul_f32_e32 v2, v41, v2
	v_and_b32_e32 v3, 0x7f800000, v2
	v_cmp_ne_u32_e64 s[0:1], s11, v3
                                        ; implicit-def: $vgpr57
	s_and_saveexec_b64 s[8:9], s[0:1]
	s_xor_b64 s[0:1], exec, s[8:9]
; %bb.158:                              ;   in Loop: Header=BB182_43 Depth=1
	v_bfe_u32 v3, v2, 16, 1
	v_add3_u32 v57, v2, v3, s13
                                        ; implicit-def: $vgpr2
; %bb.159:                              ;   in Loop: Header=BB182_43 Depth=1
	s_andn2_saveexec_b64 s[8:9], s[0:1]
; %bb.160:                              ;   in Loop: Header=BB182_43 Depth=1
	v_or_b32_e32 v3, 0x10000, v2
	v_cmp_eq_u32_sdwa s[0:1], v2, v17 src0_sel:WORD_0 src1_sel:DWORD
	s_nop 1
	v_cndmask_b32_e64 v57, v3, v2, s[0:1]
; %bb.161:                              ;   in Loop: Header=BB182_43 Depth=1
	s_or_b64 exec, exec, s[8:9]
	v_lshlrev_b32_e32 v2, 16, v4
	v_mul_f32_e32 v2, v42, v2
	v_and_b32_e32 v3, 0x7f800000, v2
	v_cmp_ne_u32_e64 s[0:1], s11, v3
                                        ; implicit-def: $vgpr58
	s_and_saveexec_b64 s[8:9], s[0:1]
	s_xor_b64 s[0:1], exec, s[8:9]
; %bb.162:                              ;   in Loop: Header=BB182_43 Depth=1
	v_bfe_u32 v3, v2, 16, 1
	v_add3_u32 v58, v2, v3, s13
                                        ; implicit-def: $vgpr2
; %bb.163:                              ;   in Loop: Header=BB182_43 Depth=1
	s_andn2_saveexec_b64 s[8:9], s[0:1]
; %bb.164:                              ;   in Loop: Header=BB182_43 Depth=1
	v_or_b32_e32 v3, 0x10000, v2
	v_cmp_eq_u32_sdwa s[0:1], v2, v17 src0_sel:WORD_0 src1_sel:DWORD
	s_nop 1
	v_cndmask_b32_e64 v58, v3, v2, s[0:1]
; %bb.165:                              ;   in Loop: Header=BB182_43 Depth=1
	s_or_b64 exec, exec, s[8:9]
	v_lshlrev_b32_e32 v2, 16, v59
	v_mul_f32_e32 v2, v43, v2
	v_and_b32_e32 v3, 0x7f800000, v2
	v_cmp_ne_u32_e64 s[0:1], s11, v3
                                        ; implicit-def: $vgpr59
	s_and_saveexec_b64 s[8:9], s[0:1]
	s_xor_b64 s[0:1], exec, s[8:9]
; %bb.166:                              ;   in Loop: Header=BB182_43 Depth=1
	v_bfe_u32 v3, v2, 16, 1
	v_add3_u32 v59, v2, v3, s13
                                        ; implicit-def: $vgpr2
; %bb.167:                              ;   in Loop: Header=BB182_43 Depth=1
	s_andn2_saveexec_b64 s[8:9], s[0:1]
; %bb.168:                              ;   in Loop: Header=BB182_43 Depth=1
	v_or_b32_e32 v3, 0x10000, v2
	v_cmp_eq_u32_sdwa s[0:1], v2, v17 src0_sel:WORD_0 src1_sel:DWORD
	s_nop 1
	v_cndmask_b32_e64 v59, v3, v2, s[0:1]
; %bb.169:                              ;   in Loop: Header=BB182_43 Depth=1
	s_or_b64 exec, exec, s[8:9]
	v_lshlrev_b32_e32 v2, 16, v5
	v_mul_f32_e32 v2, v44, v2
	v_and_b32_e32 v3, 0x7f800000, v2
	v_cmp_ne_u32_e64 s[0:1], s11, v3
                                        ; implicit-def: $vgpr60
	s_and_saveexec_b64 s[8:9], s[0:1]
	s_xor_b64 s[0:1], exec, s[8:9]
; %bb.170:                              ;   in Loop: Header=BB182_43 Depth=1
	v_bfe_u32 v3, v2, 16, 1
	v_add3_u32 v60, v2, v3, s13
                                        ; implicit-def: $vgpr2
; %bb.171:                              ;   in Loop: Header=BB182_43 Depth=1
	s_andn2_saveexec_b64 s[8:9], s[0:1]
; %bb.172:                              ;   in Loop: Header=BB182_43 Depth=1
	v_or_b32_e32 v3, 0x10000, v2
	v_cmp_eq_u32_sdwa s[0:1], v2, v17 src0_sel:WORD_0 src1_sel:DWORD
	s_nop 1
	v_cndmask_b32_e64 v60, v3, v2, s[0:1]
; %bb.173:                              ;   in Loop: Header=BB182_43 Depth=1
	s_or_b64 exec, exec, s[8:9]
	v_lshlrev_b32_e32 v2, 16, v61
	v_mul_f32_e32 v2, v45, v2
	v_and_b32_e32 v3, 0x7f800000, v2
	v_cmp_ne_u32_e64 s[0:1], s11, v3
                                        ; implicit-def: $vgpr61
	s_and_saveexec_b64 s[8:9], s[0:1]
	s_xor_b64 s[0:1], exec, s[8:9]
; %bb.174:                              ;   in Loop: Header=BB182_43 Depth=1
	v_bfe_u32 v3, v2, 16, 1
	v_add3_u32 v61, v2, v3, s13
                                        ; implicit-def: $vgpr2
; %bb.175:                              ;   in Loop: Header=BB182_43 Depth=1
	s_andn2_saveexec_b64 s[8:9], s[0:1]
; %bb.176:                              ;   in Loop: Header=BB182_43 Depth=1
	v_or_b32_e32 v3, 0x10000, v2
	v_cmp_eq_u32_sdwa s[0:1], v2, v17 src0_sel:WORD_0 src1_sel:DWORD
	s_nop 1
	v_cndmask_b32_e64 v61, v3, v2, s[0:1]
; %bb.177:                              ;   in Loop: Header=BB182_43 Depth=1
	s_or_b64 exec, exec, s[8:9]
	global_load_dwordx4 v[2:5], v[6:7], off offset:3072
	s_waitcnt vmcnt(0)
	v_lshrrev_b32_e32 v6, 16, v2
	v_lshrrev_b32_e32 v63, 16, v3
	;; [unrolled: 1-line block ×4, first 2 shown]
	s_and_saveexec_b64 s[0:1], vcc
	s_cbranch_execz .LBB182_179
; %bb.178:                              ;   in Loop: Header=BB182_43 Depth=1
	v_cmp_gt_i32_e32 vcc, s33, v30
	s_nop 1
	v_cndmask_b32_e32 v2, 0, v2, vcc
	v_cmp_gt_i32_e32 vcc, s33, v36
	s_nop 1
	v_cndmask_b32_e32 v6, 0, v6, vcc
	;; [unrolled: 3-line block ×8, first 2 shown]
.LBB182_179:                            ;   in Loop: Header=BB182_43 Depth=1
	s_or_b64 exec, exec, s[0:1]
	v_lshlrev_b32_e32 v2, 16, v2
	v_mul_f32_e32 v30, v38, v2
	v_and_b32_e32 v2, 0x7f800000, v30
	v_cmp_ne_u32_e32 vcc, s11, v2
                                        ; implicit-def: $vgpr2
	s_and_saveexec_b64 s[0:1], vcc
	s_xor_b64 s[0:1], exec, s[0:1]
; %bb.180:                              ;   in Loop: Header=BB182_43 Depth=1
	v_bfe_u32 v2, v30, 16, 1
	v_add3_u32 v2, v30, v2, s13
                                        ; implicit-def: $vgpr30
; %bb.181:                              ;   in Loop: Header=BB182_43 Depth=1
	s_andn2_saveexec_b64 s[0:1], s[0:1]
; %bb.182:                              ;   in Loop: Header=BB182_43 Depth=1
	v_or_b32_e32 v2, 0x10000, v30
	v_cmp_eq_u32_sdwa vcc, v30, v17 src0_sel:WORD_0 src1_sel:DWORD
	s_nop 1
	v_cndmask_b32_e32 v2, v2, v30, vcc
; %bb.183:                              ;   in Loop: Header=BB182_43 Depth=1
	s_or_b64 exec, exec, s[0:1]
	v_lshlrev_b32_e32 v6, 16, v6
	v_mul_f32_e32 v30, v39, v6
	v_and_b32_e32 v6, 0x7f800000, v30
	v_cmp_ne_u32_e32 vcc, s11, v6
                                        ; implicit-def: $vgpr6
	s_and_saveexec_b64 s[0:1], vcc
	s_xor_b64 s[0:1], exec, s[0:1]
; %bb.184:                              ;   in Loop: Header=BB182_43 Depth=1
	v_bfe_u32 v6, v30, 16, 1
	v_add3_u32 v6, v30, v6, s13
                                        ; implicit-def: $vgpr30
; %bb.185:                              ;   in Loop: Header=BB182_43 Depth=1
	s_andn2_saveexec_b64 s[0:1], s[0:1]
; %bb.186:                              ;   in Loop: Header=BB182_43 Depth=1
	v_or_b32_e32 v6, 0x10000, v30
	v_cmp_eq_u32_sdwa vcc, v30, v17 src0_sel:WORD_0 src1_sel:DWORD
	s_nop 1
	v_cndmask_b32_e32 v6, v6, v30, vcc
; %bb.187:                              ;   in Loop: Header=BB182_43 Depth=1
	s_or_b64 exec, exec, s[0:1]
	v_lshlrev_b32_e32 v3, 16, v3
	v_mul_f32_e32 v30, v40, v3
	v_and_b32_e32 v3, 0x7f800000, v30
	v_cmp_ne_u32_e32 vcc, s11, v3
                                        ; implicit-def: $vgpr3
	s_and_saveexec_b64 s[0:1], vcc
	s_xor_b64 s[0:1], exec, s[0:1]
; %bb.188:                              ;   in Loop: Header=BB182_43 Depth=1
	v_bfe_u32 v3, v30, 16, 1
	v_add3_u32 v3, v30, v3, s13
                                        ; implicit-def: $vgpr30
; %bb.189:                              ;   in Loop: Header=BB182_43 Depth=1
	s_andn2_saveexec_b64 s[0:1], s[0:1]
; %bb.190:                              ;   in Loop: Header=BB182_43 Depth=1
	v_or_b32_e32 v3, 0x10000, v30
	v_cmp_eq_u32_sdwa vcc, v30, v17 src0_sel:WORD_0 src1_sel:DWORD
	s_nop 1
	v_cndmask_b32_e32 v3, v3, v30, vcc
; %bb.191:                              ;   in Loop: Header=BB182_43 Depth=1
	s_or_b64 exec, exec, s[0:1]
	v_lshlrev_b32_e32 v30, 16, v63
	v_mul_f32_e32 v31, v41, v30
	v_and_b32_e32 v30, 0x7f800000, v31
	v_cmp_ne_u32_e32 vcc, s11, v30
                                        ; implicit-def: $vgpr30
	s_and_saveexec_b64 s[0:1], vcc
	s_xor_b64 s[0:1], exec, s[0:1]
; %bb.192:                              ;   in Loop: Header=BB182_43 Depth=1
	v_bfe_u32 v30, v31, 16, 1
	v_add3_u32 v30, v31, v30, s13
                                        ; implicit-def: $vgpr31
; %bb.193:                              ;   in Loop: Header=BB182_43 Depth=1
	s_andn2_saveexec_b64 s[0:1], s[0:1]
; %bb.194:                              ;   in Loop: Header=BB182_43 Depth=1
	v_or_b32_e32 v30, 0x10000, v31
	v_cmp_eq_u32_sdwa vcc, v31, v17 src0_sel:WORD_0 src1_sel:DWORD
	s_nop 1
	v_cndmask_b32_e32 v30, v30, v31, vcc
; %bb.195:                              ;   in Loop: Header=BB182_43 Depth=1
	s_or_b64 exec, exec, s[0:1]
	v_lshlrev_b32_e32 v4, 16, v4
	v_mul_f32_e32 v31, v42, v4
	v_and_b32_e32 v4, 0x7f800000, v31
	v_cmp_ne_u32_e32 vcc, s11, v4
                                        ; implicit-def: $vgpr4
	s_and_saveexec_b64 s[0:1], vcc
	s_xor_b64 s[0:1], exec, s[0:1]
; %bb.196:                              ;   in Loop: Header=BB182_43 Depth=1
	v_bfe_u32 v4, v31, 16, 1
	v_add3_u32 v4, v31, v4, s13
                                        ; implicit-def: $vgpr31
; %bb.197:                              ;   in Loop: Header=BB182_43 Depth=1
	s_andn2_saveexec_b64 s[0:1], s[0:1]
; %bb.198:                              ;   in Loop: Header=BB182_43 Depth=1
	v_or_b32_e32 v4, 0x10000, v31
	v_cmp_eq_u32_sdwa vcc, v31, v17 src0_sel:WORD_0 src1_sel:DWORD
	s_nop 1
	v_cndmask_b32_e32 v4, v4, v31, vcc
; %bb.199:                              ;   in Loop: Header=BB182_43 Depth=1
	s_or_b64 exec, exec, s[0:1]
	v_lshlrev_b32_e32 v31, 16, v62
	v_mul_f32_e32 v32, v43, v31
	v_and_b32_e32 v31, 0x7f800000, v32
	v_cmp_ne_u32_e32 vcc, s11, v31
                                        ; implicit-def: $vgpr31
	s_and_saveexec_b64 s[0:1], vcc
	s_xor_b64 s[0:1], exec, s[0:1]
; %bb.200:                              ;   in Loop: Header=BB182_43 Depth=1
	v_bfe_u32 v31, v32, 16, 1
	v_add3_u32 v31, v32, v31, s13
                                        ; implicit-def: $vgpr32
; %bb.201:                              ;   in Loop: Header=BB182_43 Depth=1
	s_andn2_saveexec_b64 s[0:1], s[0:1]
; %bb.202:                              ;   in Loop: Header=BB182_43 Depth=1
	v_or_b32_e32 v31, 0x10000, v32
	v_cmp_eq_u32_sdwa vcc, v32, v17 src0_sel:WORD_0 src1_sel:DWORD
	s_nop 1
	v_cndmask_b32_e32 v31, v31, v32, vcc
; %bb.203:                              ;   in Loop: Header=BB182_43 Depth=1
	s_or_b64 exec, exec, s[0:1]
	v_lshlrev_b32_e32 v5, 16, v5
	v_mul_f32_e32 v32, v44, v5
	v_and_b32_e32 v5, 0x7f800000, v32
	v_cmp_ne_u32_e32 vcc, s11, v5
                                        ; implicit-def: $vgpr5
	s_and_saveexec_b64 s[0:1], vcc
	s_xor_b64 s[0:1], exec, s[0:1]
; %bb.204:                              ;   in Loop: Header=BB182_43 Depth=1
	v_bfe_u32 v5, v32, 16, 1
	v_add3_u32 v5, v32, v5, s13
                                        ; implicit-def: $vgpr32
; %bb.205:                              ;   in Loop: Header=BB182_43 Depth=1
	s_andn2_saveexec_b64 s[0:1], s[0:1]
; %bb.206:                              ;   in Loop: Header=BB182_43 Depth=1
	v_or_b32_e32 v5, 0x10000, v32
	v_cmp_eq_u32_sdwa vcc, v32, v17 src0_sel:WORD_0 src1_sel:DWORD
	s_nop 1
	v_cndmask_b32_e32 v5, v5, v32, vcc
; %bb.207:                              ;   in Loop: Header=BB182_43 Depth=1
	s_or_b64 exec, exec, s[0:1]
	v_lshlrev_b32_e32 v7, 16, v7
	v_mul_f32_e32 v32, v45, v7
	v_and_b32_e32 v7, 0x7f800000, v32
	v_cmp_ne_u32_e32 vcc, s11, v7
                                        ; implicit-def: $vgpr7
	s_and_saveexec_b64 s[0:1], vcc
	s_xor_b64 s[0:1], exec, s[0:1]
; %bb.208:                              ;   in Loop: Header=BB182_43 Depth=1
	v_bfe_u32 v7, v32, 16, 1
	v_add3_u32 v7, v32, v7, s13
                                        ; implicit-def: $vgpr32
; %bb.209:                              ;   in Loop: Header=BB182_43 Depth=1
	s_andn2_saveexec_b64 s[0:1], s[0:1]
	s_cbranch_execz .LBB182_42
; %bb.210:                              ;   in Loop: Header=BB182_43 Depth=1
	v_or_b32_e32 v7, 0x10000, v32
	v_cmp_eq_u32_sdwa vcc, v32, v17 src0_sel:WORD_0 src1_sel:DWORD
	s_nop 1
	v_cndmask_b32_e32 v7, v7, v32, vcc
	s_branch .LBB182_42
.LBB182_211:
	s_or_b64 exec, exec, s[6:7]
.LBB182_212:
	s_or_b64 exec, exec, s[2:3]
	ds_bpermute_b32 v2, v22, v14
	ds_bpermute_b32 v3, v22, v15
	;; [unrolled: 1-line block ×4, first 2 shown]
	s_waitcnt lgkmcnt(0)
	s_barrier
	v_pk_add_f32 v[2:3], v[14:15], v[2:3]
	ds_bpermute_b32 v6, v23, v2
	ds_bpermute_b32 v7, v23, v3
	v_pk_add_f32 v[8:9], v[12:13], v[4:5]
	ds_bpermute_b32 v10, v23, v8
	ds_bpermute_b32 v11, v23, v9
	s_waitcnt lgkmcnt(0)
	v_pk_add_f32 v[4:5], v[2:3], v[6:7]
	v_and_b32_e32 v6, 0x3c3, v0
	v_cmp_eq_u32_e32 vcc, 64, v6
	v_pk_add_f32 v[2:3], v[8:9], v[10:11]
	s_and_saveexec_b64 s[0:1], vcc
	s_cbranch_execz .LBB182_214
; %bb.213:
	v_add_u32_e32 v1, 0x90, v1
	ds_write2_b32 v1, v4, v5 offset1:16
	ds_write2_b32 v1, v2, v3 offset0:32 offset1:48
.LBB182_214:
	s_or_b64 exec, exec, s[0:1]
	v_cmp_gt_u32_e32 vcc, 64, v0
	s_waitcnt lgkmcnt(0)
	s_barrier
	s_and_saveexec_b64 s[2:3], vcc
	s_cbranch_execz .LBB182_221
; %bb.215:
	v_cmp_eq_u32_e64 s[0:1], 0, v24
	v_lshrrev_b32_e32 v1, 2, v0
	s_and_saveexec_b64 s[6:7], s[0:1]
	s_cbranch_execnz .LBB182_241
; %bb.216:
	s_or_b64 exec, exec, s[6:7]
	s_and_saveexec_b64 s[6:7], s[0:1]
	s_cbranch_execnz .LBB182_242
.LBB182_217:
	s_or_b64 exec, exec, s[6:7]
	s_and_saveexec_b64 s[6:7], s[0:1]
	s_cbranch_execnz .LBB182_243
.LBB182_218:
	s_or_b64 exec, exec, s[6:7]
	s_and_saveexec_b64 s[6:7], s[0:1]
	s_cbranch_execz .LBB182_220
.LBB182_219:
	v_mov_b32_e32 v6, 0x90
	v_lshl_add_u32 v1, v1, 2, v6
	ds_read_b32 v1, v1 offset:192
	s_waitcnt lgkmcnt(0)
	v_add_f32_e32 v3, v3, v1
.LBB182_220:
	s_or_b64 exec, exec, s[6:7]
.LBB182_221:
	s_or_b64 exec, exec, s[2:3]
	s_barrier
	s_and_saveexec_b64 s[0:1], vcc
	s_cbranch_execz .LBB182_240
; %bb.222:
	v_cmp_eq_u32_e32 vcc, 0, v24
	s_and_b64 exec, exec, vcc
	s_cbranch_execz .LBB182_240
; %bb.223:
	s_mov_b32 s0, 0x7f800000
	v_and_b32_e32 v1, 0x7f800000, v4
	v_cmp_ne_u32_e32 vcc, s0, v1
                                        ; implicit-def: $vgpr6
	s_and_saveexec_b64 s[0:1], vcc
	s_xor_b64 s[0:1], exec, s[0:1]
; %bb.224:
	v_bfe_u32 v1, v4, 16, 1
	s_movk_i32 s2, 0x7fff
	v_add3_u32 v6, v4, v1, s2
; %bb.225:
	s_andn2_saveexec_b64 s[0:1], s[0:1]
; %bb.226:
	v_mov_b32_e32 v1, 0
	v_or_b32_e32 v6, 0x10000, v4
	v_cmp_eq_u32_sdwa vcc, v4, v1 src0_sel:WORD_0 src1_sel:DWORD
	s_nop 1
	v_cndmask_b32_e32 v6, v6, v4, vcc
; %bb.227:
	s_or_b64 exec, exec, s[0:1]
	s_mul_i32 s0, s12, s20
	s_mul_i32 s0, s0, s21
	s_lshl_b32 s0, s0, 6
	s_ashr_i32 s1, s0, 31
	s_lshl_b64 s[0:1], s[0:1], 1
	s_add_u32 s2, s24, s0
	s_mul_i32 s0, s12, s22
	s_addc_u32 s3, s25, s1
	s_ashr_i32 s1, s0, 31
	s_lshl_b64 s[0:1], s[0:1], 1
	s_add_u32 s2, s2, s0
	s_addc_u32 s3, s3, s1
	s_lshl_b32 s0, s4, 6
	s_ashr_i32 s1, s0, 31
	s_lshl_b64 s[0:1], s[0:1], 1
	s_add_u32 s0, s2, s0
	v_lshrrev_b32_e32 v0, 1, v0
	s_mov_b32 s2, 0x7f800000
	v_and_b32_e32 v4, 0x7f800000, v5
	s_addc_u32 s1, s3, s1
	v_and_b32_e32 v0, 0x1fe, v0
	v_mov_b32_e32 v1, 0
	v_cmp_ne_u32_e32 vcc, s2, v4
	global_store_short_d16_hi v0, v6, s[0:1]
                                        ; implicit-def: $vgpr4
	s_and_saveexec_b64 s[2:3], vcc
	s_xor_b64 s[2:3], exec, s[2:3]
; %bb.228:
	v_bfe_u32 v4, v5, 16, 1
	s_movk_i32 s4, 0x7fff
	v_add3_u32 v4, v5, v4, s4
; %bb.229:
	s_or_saveexec_b64 s[2:3], s[2:3]
	v_lshl_add_u64 v[6:7], s[0:1], 0, v[0:1]
	s_xor_b64 exec, exec, s[2:3]
; %bb.230:
	v_mov_b32_e32 v0, 0
	v_or_b32_e32 v1, 0x10000, v5
	v_cmp_eq_u32_sdwa vcc, v5, v0 src0_sel:WORD_0 src1_sel:DWORD
	s_nop 1
	v_cndmask_b32_e32 v4, v1, v5, vcc
; %bb.231:
	s_or_b64 exec, exec, s[2:3]
	s_mov_b32 s0, 0x7f800000
	v_and_b32_e32 v0, 0x7f800000, v2
	v_cmp_ne_u32_e32 vcc, s0, v0
	global_store_short_d16_hi v[6:7], v4, off offset:32
                                        ; implicit-def: $vgpr0
	s_and_saveexec_b64 s[0:1], vcc
	s_xor_b64 s[0:1], exec, s[0:1]
; %bb.232:
	v_bfe_u32 v0, v2, 16, 1
	s_movk_i32 s2, 0x7fff
	v_add3_u32 v0, v2, v0, s2
; %bb.233:
	s_andn2_saveexec_b64 s[0:1], s[0:1]
; %bb.234:
	v_mov_b32_e32 v0, 0
	v_or_b32_e32 v1, 0x10000, v2
	v_cmp_eq_u32_sdwa vcc, v2, v0 src0_sel:WORD_0 src1_sel:DWORD
	s_nop 1
	v_cndmask_b32_e32 v0, v1, v2, vcc
; %bb.235:
	s_or_b64 exec, exec, s[0:1]
	global_store_short_d16_hi v[6:7], v0, off offset:64
	s_mov_b32 s0, 0x7f800000
	v_and_b32_e32 v0, 0x7f800000, v3
	v_cmp_ne_u32_e32 vcc, s0, v0
                                        ; implicit-def: $vgpr4
	s_and_saveexec_b64 s[0:1], vcc
	s_xor_b64 s[0:1], exec, s[0:1]
; %bb.236:
	v_bfe_u32 v0, v3, 16, 1
	s_movk_i32 s2, 0x7fff
	v_add3_u32 v4, v3, v0, s2
                                        ; implicit-def: $vgpr0_vgpr1_vgpr2_vgpr3
; %bb.237:
	s_andn2_saveexec_b64 s[0:1], s[0:1]
; %bb.238:
	v_mov_b32_e32 v0, 0
	v_or_b32_e32 v1, 0x10000, v3
	v_cmp_eq_u32_sdwa vcc, v3, v0 src0_sel:WORD_0 src1_sel:DWORD
	s_nop 1
	v_cndmask_b32_e32 v4, v1, v3, vcc
; %bb.239:
	s_or_b64 exec, exec, s[0:1]
	global_store_short_d16_hi v[6:7], v4, off offset:96
.LBB182_240:
	s_endpgm
.LBB182_241:
	v_mov_b32_e32 v6, 0x90
	v_lshl_add_u32 v6, v1, 2, v6
	ds_read_b32 v6, v6
	s_waitcnt lgkmcnt(0)
	v_add_f32_e32 v4, v4, v6
	s_or_b64 exec, exec, s[6:7]
	s_and_saveexec_b64 s[6:7], s[0:1]
	s_cbranch_execz .LBB182_217
.LBB182_242:
	v_mov_b32_e32 v6, 0x90
	v_lshl_add_u32 v6, v1, 2, v6
	ds_read_b32 v6, v6 offset:64
	s_waitcnt lgkmcnt(0)
	v_add_f32_e32 v5, v5, v6
	s_or_b64 exec, exec, s[6:7]
	s_and_saveexec_b64 s[6:7], s[0:1]
	s_cbranch_execz .LBB182_218
.LBB182_243:
	v_mov_b32_e32 v6, 0x90
	v_lshl_add_u32 v6, v1, 2, v6
	ds_read_b32 v6, v6 offset:128
	s_waitcnt lgkmcnt(0)
	v_add_f32_e32 v2, v2, v6
	s_or_b64 exec, exec, s[6:7]
	s_and_saveexec_b64 s[6:7], s[0:1]
	s_cbranch_execnz .LBB182_219
	s_branch .LBB182_220
	.section	.rodata,"a",@progbits
	.p2align	6, 0x0
	.amdhsa_kernel _ZN4vllm25paged_attention_v2_kernelI14__hip_bfloat16S1_Li64ELi32ELi128ELNS_18Fp8KVCacheDataTypeE0ELb0ELi512EEEvPfS3_PT_PKS4_PKT0_SA_ifPKiSC_iPKfiiiSE_SE_iiiii
		.amdhsa_group_segment_fixed_size 144
		.amdhsa_private_segment_fixed_size 0
		.amdhsa_kernarg_size 400
		.amdhsa_user_sgpr_count 2
		.amdhsa_user_sgpr_dispatch_ptr 0
		.amdhsa_user_sgpr_queue_ptr 0
		.amdhsa_user_sgpr_kernarg_segment_ptr 1
		.amdhsa_user_sgpr_dispatch_id 0
		.amdhsa_user_sgpr_kernarg_preload_length 0
		.amdhsa_user_sgpr_kernarg_preload_offset 0
		.amdhsa_user_sgpr_private_segment_size 0
		.amdhsa_uses_dynamic_stack 0
		.amdhsa_enable_private_segment 0
		.amdhsa_system_sgpr_workgroup_id_x 1
		.amdhsa_system_sgpr_workgroup_id_y 1
		.amdhsa_system_sgpr_workgroup_id_z 1
		.amdhsa_system_sgpr_workgroup_info 0
		.amdhsa_system_vgpr_workitem_id 0
		.amdhsa_next_free_vgpr 80
		.amdhsa_next_free_sgpr 42
		.amdhsa_accum_offset 80
		.amdhsa_reserve_vcc 1
		.amdhsa_float_round_mode_32 0
		.amdhsa_float_round_mode_16_64 0
		.amdhsa_float_denorm_mode_32 3
		.amdhsa_float_denorm_mode_16_64 3
		.amdhsa_dx10_clamp 1
		.amdhsa_ieee_mode 1
		.amdhsa_fp16_overflow 0
		.amdhsa_tg_split 0
		.amdhsa_exception_fp_ieee_invalid_op 0
		.amdhsa_exception_fp_denorm_src 0
		.amdhsa_exception_fp_ieee_div_zero 0
		.amdhsa_exception_fp_ieee_overflow 0
		.amdhsa_exception_fp_ieee_underflow 0
		.amdhsa_exception_fp_ieee_inexact 0
		.amdhsa_exception_int_div_zero 0
	.end_amdhsa_kernel
	.section	.text._ZN4vllm25paged_attention_v2_kernelI14__hip_bfloat16S1_Li64ELi32ELi128ELNS_18Fp8KVCacheDataTypeE0ELb0ELi512EEEvPfS3_PT_PKS4_PKT0_SA_ifPKiSC_iPKfiiiSE_SE_iiiii,"axG",@progbits,_ZN4vllm25paged_attention_v2_kernelI14__hip_bfloat16S1_Li64ELi32ELi128ELNS_18Fp8KVCacheDataTypeE0ELb0ELi512EEEvPfS3_PT_PKS4_PKT0_SA_ifPKiSC_iPKfiiiSE_SE_iiiii,comdat
.Lfunc_end182:
	.size	_ZN4vllm25paged_attention_v2_kernelI14__hip_bfloat16S1_Li64ELi32ELi128ELNS_18Fp8KVCacheDataTypeE0ELb0ELi512EEEvPfS3_PT_PKS4_PKT0_SA_ifPKiSC_iPKfiiiSE_SE_iiiii, .Lfunc_end182-_ZN4vllm25paged_attention_v2_kernelI14__hip_bfloat16S1_Li64ELi32ELi128ELNS_18Fp8KVCacheDataTypeE0ELb0ELi512EEEvPfS3_PT_PKS4_PKT0_SA_ifPKiSC_iPKfiiiSE_SE_iiiii
                                        ; -- End function
	.section	.AMDGPU.csdata,"",@progbits
; Kernel info:
; codeLenInByte = 8744
; NumSgprs: 48
; NumVgprs: 80
; NumAgprs: 0
; TotalNumVgprs: 80
; ScratchSize: 0
; MemoryBound: 0
; FloatMode: 240
; IeeeMode: 1
; LDSByteSize: 144 bytes/workgroup (compile time only)
; SGPRBlocks: 5
; VGPRBlocks: 9
; NumSGPRsForWavesPerEU: 48
; NumVGPRsForWavesPerEU: 80
; AccumOffset: 80
; Occupancy: 6
; WaveLimiterHint : 1
; COMPUTE_PGM_RSRC2:SCRATCH_EN: 0
; COMPUTE_PGM_RSRC2:USER_SGPR: 2
; COMPUTE_PGM_RSRC2:TRAP_HANDLER: 0
; COMPUTE_PGM_RSRC2:TGID_X_EN: 1
; COMPUTE_PGM_RSRC2:TGID_Y_EN: 1
; COMPUTE_PGM_RSRC2:TGID_Z_EN: 1
; COMPUTE_PGM_RSRC2:TIDIG_COMP_CNT: 0
; COMPUTE_PGM_RSRC3_GFX90A:ACCUM_OFFSET: 19
; COMPUTE_PGM_RSRC3_GFX90A:TG_SPLIT: 0
	.section	.text._ZN4vllm25paged_attention_v2_kernelI14__hip_bfloat16S1_Li80ELi32ELi128ELNS_18Fp8KVCacheDataTypeE0ELb0ELi512EEEvPfS3_PT_PKS4_PKT0_SA_ifPKiSC_iPKfiiiSE_SE_iiiii,"axG",@progbits,_ZN4vllm25paged_attention_v2_kernelI14__hip_bfloat16S1_Li80ELi32ELi128ELNS_18Fp8KVCacheDataTypeE0ELb0ELi512EEEvPfS3_PT_PKS4_PKT0_SA_ifPKiSC_iPKfiiiSE_SE_iiiii,comdat
	.protected	_ZN4vllm25paged_attention_v2_kernelI14__hip_bfloat16S1_Li80ELi32ELi128ELNS_18Fp8KVCacheDataTypeE0ELb0ELi512EEEvPfS3_PT_PKS4_PKT0_SA_ifPKiSC_iPKfiiiSE_SE_iiiii ; -- Begin function _ZN4vllm25paged_attention_v2_kernelI14__hip_bfloat16S1_Li80ELi32ELi128ELNS_18Fp8KVCacheDataTypeE0ELb0ELi512EEEvPfS3_PT_PKS4_PKT0_SA_ifPKiSC_iPKfiiiSE_SE_iiiii
	.globl	_ZN4vllm25paged_attention_v2_kernelI14__hip_bfloat16S1_Li80ELi32ELi128ELNS_18Fp8KVCacheDataTypeE0ELb0ELi512EEEvPfS3_PT_PKS4_PKT0_SA_ifPKiSC_iPKfiiiSE_SE_iiiii
	.p2align	8
	.type	_ZN4vllm25paged_attention_v2_kernelI14__hip_bfloat16S1_Li80ELi32ELi128ELNS_18Fp8KVCacheDataTypeE0ELb0ELi512EEEvPfS3_PT_PKS4_PKT0_SA_ifPKiSC_iPKfiiiSE_SE_iiiii,@function
_ZN4vllm25paged_attention_v2_kernelI14__hip_bfloat16S1_Li80ELi32ELi128ELNS_18Fp8KVCacheDataTypeE0ELb0ELi512EEEvPfS3_PT_PKS4_PKT0_SA_ifPKiSC_iPKfiiiSE_SE_iiiii: ; @_ZN4vllm25paged_attention_v2_kernelI14__hip_bfloat16S1_Li80ELi32ELi128ELNS_18Fp8KVCacheDataTypeE0ELb0ELi512EEEvPfS3_PT_PKS4_PKT0_SA_ifPKiSC_iPKfiiiSE_SE_iiiii
; %bb.0:
	s_load_dwordx2 s[6:7], s[0:1], 0x40
	s_mov_b32 s20, s3
	s_ashr_i32 s21, s3, 31
	s_lshl_b64 s[8:9], s[20:21], 2
	s_waitcnt lgkmcnt(0)
	s_add_u32 s6, s6, s8
	s_addc_u32 s7, s7, s9
	s_load_dword s33, s[6:7], 0x0
	s_lshl_b32 s40, s4, 9
	s_waitcnt lgkmcnt(0)
	s_cmp_ge_i32 s40, s33
	s_cbranch_scc1 .LBB183_279
; %bb.1:
	s_load_dword s21, s[0:1], 0x90
	s_load_dwordx2 s[10:11], s[0:1], 0x30
	s_waitcnt lgkmcnt(0)
	s_abs_i32 s6, s21
	s_abs_i32 s3, s10
	v_cvt_f32_u32_e32 v1, s3
	s_sub_i32 s7, 0, s3
	s_xor_b32 s5, s21, s10
	s_ashr_i32 s5, s5, 31
	v_rcp_iflag_f32_e32 v1, v1
	s_nop 0
	v_mul_f32_e32 v1, 0x4f7ffffe, v1
	v_cvt_u32_f32_e32 v1, v1
	s_nop 0
	v_readfirstlane_b32 s8, v1
	s_mul_i32 s7, s7, s8
	s_mul_hi_u32 s7, s8, s7
	s_add_i32 s8, s8, s7
	s_mul_hi_u32 s7, s6, s8
	s_mul_i32 s8, s7, s3
	s_sub_i32 s6, s6, s8
	s_add_i32 s9, s7, 1
	s_sub_i32 s8, s6, s3
	s_cmp_ge_u32 s6, s3
	s_cselect_b32 s7, s9, s7
	s_cselect_b32 s6, s8, s6
	s_add_i32 s8, s7, 1
	s_cmp_ge_u32 s6, s3
	s_cselect_b32 s3, s8, s7
	s_xor_b32 s3, s3, s5
	s_sub_i32 s12, s3, s5
	s_abs_i32 s8, s12
	v_cvt_f32_u32_e32 v1, s8
	s_load_dwordx2 s[6:7], s[0:1], 0x50
	s_sub_i32 s3, 0, s8
	s_abs_i32 s9, s2
	v_rcp_iflag_f32_e32 v1, v1
	s_mov_b32 s5, 0
	v_mul_f32_e32 v1, 0x4f7ffffe, v1
	v_cvt_u32_f32_e32 v1, v1
	s_nop 0
	v_readfirstlane_b32 s10, v1
	s_mul_i32 s3, s3, s10
	s_mul_hi_u32 s3, s10, s3
	s_add_i32 s10, s10, s3
	s_waitcnt lgkmcnt(0)
	s_cmp_eq_u64 s[6:7], 0
	s_mul_hi_u32 s10, s9, s10
	s_cbranch_scc1 .LBB183_3
; %bb.2:
	s_ashr_i32 s3, s2, 31
	s_lshl_b64 s[14:15], s[2:3], 2
	s_add_u32 s6, s6, s14
	s_addc_u32 s7, s7, s15
	s_load_dword s5, s[6:7], 0x0
.LBB183_3:
	s_ashr_i32 s17, s12, 31
	s_load_dwordx4 s[12:15], s[0:1], 0x58
	s_ashr_i32 s16, s2, 31
	v_and_b32_e32 v4, 1, v0
	s_movk_i32 s3, 0x50
	s_mul_i32 s22, s2, 0x50
	v_cmp_gt_u32_e32 vcc, 20, v0
	v_lshlrev_b32_e32 v6, 3, v0
	s_and_saveexec_b64 s[6:7], vcc
	s_cbranch_execz .LBB183_5
; %bb.4:
	s_load_dwordx2 s[18:19], s[0:1], 0x18
	s_waitcnt lgkmcnt(0)
	s_mul_i32 s24, s20, s12
	s_ashr_i32 s25, s24, 31
	s_lshl_b64 s[24:25], s[24:25], 1
	v_lshlrev_b32_e32 v1, 2, v0
	s_add_u32 s12, s18, s24
	s_addc_u32 s15, s19, s25
	s_ashr_i32 s23, s22, 31
	s_lshl_b64 s[18:19], s[22:23], 1
	s_add_u32 s18, s12, s18
	s_addc_u32 s19, s15, s19
	global_load_dwordx2 v[2:3], v6, s[18:19]
	v_and_b32_e32 v1, 0xff8, v1
	v_mad_u32_u24 v1, v4, s3, v1
	s_waitcnt vmcnt(0)
	ds_write_b64 v1, v[2:3]
.LBB183_5:
	s_or_b64 exec, exec, s[6:7]
	s_add_i32 s3, s33, 31
	s_ashr_i32 s6, s3, 31
	s_lshr_b32 s6, s6, 27
	s_add_i32 s3, s3, s6
	s_ashr_i32 s41, s3, 5
	s_lshl_b32 s3, s4, 4
	s_mul_i32 s7, s10, s8
	s_add_i32 s6, s3, 16
	s_sub_i32 s7, s9, s7
	s_min_i32 s23, s6, s41
	s_xor_b32 s6, s16, s17
	s_add_i32 s9, s10, 1
	s_waitcnt lgkmcnt(0)
	s_sub_i32 s12, s7, s8
	s_cmp_ge_u32 s7, s8
	s_cselect_b32 s9, s9, s10
	s_cselect_b32 s7, s12, s7
	s_add_i32 s10, s9, 1
	s_cmp_ge_u32 s7, s8
	s_load_dwordx2 s[26:27], s[0:1], 0x38
	s_load_dword s8, s[0:1], 0x48
	v_lshrrev_b32_e32 v7, 6, v0
	s_cselect_b32 s7, s10, s9
	s_xor_b32 s7, s7, s6
	v_or_b32_e32 v10, s3, v7
	s_waitcnt lgkmcnt(0)
	s_mul_i32 s28, s20, s8
	s_sub_i32 s10, s7, s6
	s_ashr_i32 s29, s28, 31
	v_cmp_gt_i32_e64 s[8:9], s23, v10
	v_cmp_le_i32_e32 vcc, s23, v10
	v_mbcnt_lo_u32_b32 v5, -1, 0
	s_barrier
	s_waitcnt lgkmcnt(0)
                                        ; implicit-def: $sgpr15
                                        ; implicit-def: $vgpr8
                                        ; implicit-def: $vgpr9
	s_and_saveexec_b64 s[6:7], vcc
	s_xor_b64 s[6:7], exec, s[6:7]
; %bb.6:
	v_mbcnt_hi_u32_b32 v8, -1, v5
	v_and_b32_e32 v1, 64, v8
	v_add_u32_e32 v9, 64, v1
	s_mov_b32 s15, 0xff7fffff
                                        ; implicit-def: $vgpr4
                                        ; implicit-def: $vgpr5
; %bb.7:
	s_or_saveexec_b64 s[34:35], s[6:7]
	s_load_dwordx4 s[16:19], s[0:1], 0x0
	s_load_dwordx2 s[24:25], s[0:1], 0x10
	s_load_dwordx2 s[30:31], s[0:1], 0x28
	s_load_dword s12, s[0:1], 0x98
	v_mov_b32_e32 v44, s15
	s_mul_i32 s14, s10, s14
	v_ashrrev_i32_e32 v11, 31, v10
	s_xor_b64 exec, exec, s[34:35]
	s_cbranch_execz .LBB183_13
; %bb.8:
	s_load_dwordx2 s[0:1], s[0:1], 0x20
	s_ashr_i32 s15, s14, 31
	s_lshl_b64 s[6:7], s[14:15], 1
	v_bfe_u32 v44, v0, 1, 5
	v_lshlrev_b32_e32 v2, 4, v44
	s_waitcnt lgkmcnt(0)
	s_add_u32 s0, s0, s6
	s_addc_u32 s1, s1, s7
	v_mov_b32_e32 v3, 0
	v_lshl_add_u64 v[8:9], s[0:1], 0, v[2:3]
	v_and_b32_e32 v2, 8, v6
	v_lshl_add_u64 v[2:3], v[8:9], 0, v[2:3]
	v_mbcnt_hi_u32_b32 v8, -1, v5
	v_mul_u32_u24_e32 v39, 0x50, v4
	v_and_b32_e32 v9, 64, v8
	ds_read_b128 v[16:19], v39
	ds_read_b128 v[24:27], v39 offset:16
	ds_read_b128 v[32:35], v39 offset:32
	;; [unrolled: 1-line block ×4, first 2 shown]
	v_xor_b32_e32 v5, 1, v8
	v_add_u32_e32 v9, 64, v9
	v_cmp_lt_i32_e32 vcc, v5, v9
	s_sub_i32 s15, 1, s33
	s_lshl_b64 s[0:1], s[28:29], 2
	v_cndmask_b32_e32 v5, v8, v5, vcc
	v_cmp_eq_u32_e32 vcc, 0, v4
	v_lshlrev_b32_e32 v4, 5, v7
	v_add3_u32 v53, s40, v4, v44
	v_lshlrev_b32_e32 v4, 2, v44
	s_add_u32 s0, s26, s0
	v_lshl_or_b32 v4, v7, 7, v4
	s_addc_u32 s1, s27, s1
	s_mov_b32 s10, s13
	s_waitcnt lgkmcnt(4)
	v_lshlrev_b32_e32 v1, 16, v16
	v_and_b32_e32 v12, 0xffff0000, v16
	v_lshlrev_b32_e32 v13, 16, v17
	v_and_b32_e32 v14, 0xffff0000, v17
	v_lshlrev_b32_e32 v15, 16, v18
	v_and_b32_e32 v16, 0xffff0000, v18
	v_lshlrev_b32_e32 v17, 16, v19
	v_and_b32_e32 v18, 0xffff0000, v19
	s_waitcnt lgkmcnt(3)
	v_lshlrev_b32_e32 v19, 16, v24
	v_and_b32_e32 v20, 0xffff0000, v24
	v_lshlrev_b32_e32 v21, 16, v25
	v_and_b32_e32 v22, 0xffff0000, v25
	v_lshlrev_b32_e32 v23, 16, v26
	v_and_b32_e32 v24, 0xffff0000, v26
	v_lshlrev_b32_e32 v25, 16, v27
	v_and_b32_e32 v26, 0xffff0000, v27
	;; [unrolled: 9-line block ×5, first 2 shown]
	v_lshlrev_b32_e32 v52, 2, v5
	v_cmp_neq_f32_e64 s[6:7], s5, 0
	v_add_u32_e32 v54, 0xb0, v4
	v_lshl_add_u64 v[4:5], v[10:11], 2, s[0:1]
	s_mov_b64 s[36:37], 0
	v_mov_b32_e32 v44, 0xff7fffff
	s_movk_i32 s42, 0x1000
	v_mov_b32_e32 v55, v10
	s_branch .LBB183_10
.LBB183_9:                              ;   in Loop: Header=BB183_10 Depth=1
	s_or_b64 exec, exec, s[38:39]
	v_add_u32_e32 v55, 2, v55
	v_cmp_le_i32_e64 s[0:1], s23, v55
	v_add_u32_e32 v53, 64, v53
	v_add_u32_e32 v54, 0x100, v54
	s_or_b64 s[36:37], s[0:1], s[36:37]
	v_lshl_add_u64 v[4:5], v[4:5], 0, 8
	s_andn2_b64 exec, exec, s[36:37]
	s_cbranch_execz .LBB183_12
.LBB183_10:                             ; =>This Inner Loop Header: Depth=1
	global_load_dword v56, v[4:5], off
	s_waitcnt vmcnt(0) lgkmcnt(0)
	v_mad_i64_i32 v[56:57], s[0:1], v56, s10, 0
	v_lshl_add_u64 v[56:57], v[56:57], 1, v[2:3]
	global_load_dwordx2 v[58:59], v[56:57], off
	global_load_dwordx2 v[60:61], v[56:57], off offset:512
	global_load_dwordx2 v[62:63], v[56:57], off offset:1024
	;; [unrolled: 1-line block ×7, first 2 shown]
	v_add_co_u32_e64 v56, s[0:1], s42, v56
	s_waitcnt vmcnt(7)
	v_lshlrev_b32_e32 v76, 16, v58
	v_addc_co_u32_e64 v57, s[0:1], 0, v57, s[0:1]
	global_load_dwordx2 v[74:75], v[56:57], off
	s_nop 0
	global_load_dwordx2 v[56:57], v[56:57], off offset:512
	s_waitcnt vmcnt(8)
	v_lshlrev_b32_e32 v78, 16, v60
	v_and_b32_e32 v60, 0xffff0000, v60
	v_and_b32_e32 v58, 0xffff0000, v58
	v_lshlrev_b32_e32 v79, 16, v61
	v_mul_f32_e32 v78, v15, v78
	v_mul_f32_e32 v60, v16, v60
	v_lshlrev_b32_e32 v77, 16, v59
	v_and_b32_e32 v61, 0xffff0000, v61
	s_waitcnt vmcnt(7)
	v_lshlrev_b32_e32 v80, 16, v62
	v_and_b32_e32 v62, 0xffff0000, v62
	v_mul_f32_e32 v79, v17, v79
	v_fmac_f32_e32 v78, v1, v76
	v_fmac_f32_e32 v60, v12, v58
	v_and_b32_e32 v59, 0xffff0000, v59
	v_lshlrev_b32_e32 v81, 16, v63
	s_waitcnt vmcnt(6)
	v_lshlrev_b32_e32 v82, 16, v64
	v_and_b32_e32 v64, 0xffff0000, v64
	v_mul_f32_e32 v61, v18, v61
	v_fmac_f32_e32 v79, v13, v77
	v_fmac_f32_e32 v78, v19, v80
	v_fmac_f32_e32 v60, v20, v62
	v_and_b32_e32 v63, 0xffff0000, v63
	v_lshlrev_b32_e32 v83, 16, v65
	s_waitcnt vmcnt(5)
	v_lshlrev_b32_e32 v84, 16, v66
	v_and_b32_e32 v66, 0xffff0000, v66
	v_fmac_f32_e32 v61, v14, v59
	v_fmac_f32_e32 v79, v21, v81
	v_fmac_f32_e32 v78, v23, v82
	v_fmac_f32_e32 v60, v24, v64
	v_and_b32_e32 v65, 0xffff0000, v65
	v_lshlrev_b32_e32 v85, 16, v67
	s_waitcnt vmcnt(4)
	v_lshlrev_b32_e32 v86, 16, v68
	v_and_b32_e32 v68, 0xffff0000, v68
	v_fmac_f32_e32 v61, v22, v63
	;; [unrolled: 9-line block ×4, first 2 shown]
	v_fmac_f32_e32 v79, v33, v87
	v_fmac_f32_e32 v78, v35, v88
	;; [unrolled: 1-line block ×3, first 2 shown]
	v_and_b32_e32 v71, 0xffff0000, v71
	v_lshlrev_b32_e32 v91, 16, v73
	v_fmac_f32_e32 v61, v34, v69
	v_fmac_f32_e32 v79, v37, v89
	;; [unrolled: 1-line block ×4, first 2 shown]
	v_and_b32_e32 v73, 0xffff0000, v73
	v_fmac_f32_e32 v61, v38, v71
	v_fmac_f32_e32 v79, v41, v91
	;; [unrolled: 1-line block ×3, first 2 shown]
	s_waitcnt vmcnt(1)
	v_lshlrev_b32_e32 v92, 16, v74
	v_and_b32_e32 v74, 0xffff0000, v74
	v_lshlrev_b32_e32 v93, 16, v75
	s_waitcnt vmcnt(0)
	v_lshlrev_b32_e32 v94, 16, v56
	v_and_b32_e32 v56, 0xffff0000, v56
	v_fmac_f32_e32 v78, v43, v92
	v_fmac_f32_e32 v60, v45, v74
	v_and_b32_e32 v75, 0xffff0000, v75
	v_lshlrev_b32_e32 v95, 16, v57
	v_fmac_f32_e32 v79, v46, v93
	v_fmac_f32_e32 v78, v48, v94
	;; [unrolled: 1-line block ×3, first 2 shown]
	v_and_b32_e32 v57, 0xffff0000, v57
	v_fmac_f32_e32 v61, v47, v75
	v_fmac_f32_e32 v79, v50, v95
	v_add_f32_e32 v56, v78, v60
	v_fmac_f32_e32 v61, v51, v57
	v_add_f32_e32 v56, v56, v79
	v_add_f32_e32 v56, v61, v56
	ds_bpermute_b32 v57, v52, v56
	s_and_saveexec_b64 s[38:39], vcc
	s_cbranch_execz .LBB183_9
; %bb.11:                               ;   in Loop: Header=BB183_10 Depth=1
	v_add_u32_e32 v58, s15, v53
	v_cvt_f32_i32_e32 v58, v58
	s_waitcnt lgkmcnt(0)
	v_add_f32_e32 v56, v56, v57
	v_cmp_gt_i32_e64 s[0:1], s33, v53
	v_max_f32_e32 v57, v44, v44
	v_mul_f32_e32 v58, s5, v58
	v_cndmask_b32_e64 v58, 0, v58, s[6:7]
	v_fmac_f32_e32 v58, s11, v56
	v_cndmask_b32_e64 v56, 0, v58, s[0:1]
	ds_write_b32 v54, v56
	v_max_f32_e32 v56, v57, v58
	v_cndmask_b32_e64 v44, v44, v56, s[0:1]
	s_branch .LBB183_9
.LBB183_12:
	s_or_b64 exec, exec, s[36:37]
.LBB183_13:
	s_or_b64 exec, exec, s[34:35]
	v_xor_b32_e32 v1, 32, v8
	v_cmp_lt_i32_e32 vcc, v1, v9
	v_xor_b32_e32 v4, 16, v8
	v_max_f32_e32 v3, v44, v44
	v_cndmask_b32_e32 v1, v8, v1, vcc
	v_lshlrev_b32_e32 v2, 2, v1
	ds_bpermute_b32 v1, v2, v44
	v_cmp_lt_i32_e32 vcc, v4, v9
	v_xor_b32_e32 v5, 8, v8
	v_xor_b32_e32 v12, 4, v8
	;; [unrolled: 1-line block ×3, first 2 shown]
	s_waitcnt lgkmcnt(0)
	v_max_f32_e32 v1, v1, v1
	v_max_f32_e32 v1, v3, v1
	v_cndmask_b32_e32 v3, v8, v4, vcc
	v_lshlrev_b32_e32 v3, 2, v3
	ds_bpermute_b32 v4, v3, v1
	v_cmp_lt_i32_e32 vcc, v5, v9
	s_waitcnt lgkmcnt(0)
	v_max_f32_e32 v4, v4, v4
	v_max_f32_e32 v1, v1, v4
	v_cndmask_b32_e32 v4, v8, v5, vcc
	v_lshlrev_b32_e32 v5, 2, v4
	ds_bpermute_b32 v4, v5, v1
	v_cmp_lt_i32_e32 vcc, v12, v9
	s_waitcnt lgkmcnt(0)
	v_max_f32_e32 v4, v4, v4
	v_max_f32_e32 v1, v1, v4
	v_cndmask_b32_e32 v4, v8, v12, vcc
	v_lshlrev_b32_e32 v12, 2, v4
	ds_bpermute_b32 v4, v12, v1
	v_cmp_lt_i32_e32 vcc, v13, v9
	s_waitcnt lgkmcnt(0)
	v_max_f32_e32 v4, v4, v4
	v_max_f32_e32 v4, v1, v4
	v_cndmask_b32_e32 v1, v8, v13, vcc
	v_lshlrev_b32_e32 v22, 2, v1
	ds_bpermute_b32 v14, v22, v4
	v_and_b32_e32 v1, 63, v0
	v_cmp_eq_u32_e32 vcc, 0, v1
	v_lshlrev_b32_e32 v13, 2, v7
	s_and_saveexec_b64 s[0:1], vcc
	s_cbranch_execz .LBB183_15
; %bb.14:
	s_waitcnt lgkmcnt(0)
	v_max_f32_e32 v14, v14, v14
	v_max_f32_e32 v4, v4, v4
	;; [unrolled: 1-line block ×3, first 2 shown]
	ds_write_b32 v13, v4 offset:160
.LBB183_15:
	s_or_b64 exec, exec, s[0:1]
	v_cmp_gt_u32_e64 s[0:1], 2, v1
	v_mov_b32_e32 v4, 0xff7fffff
	s_waitcnt lgkmcnt(0)
	v_lshlrev_b32_e32 v14, 2, v1
	s_barrier
	s_and_saveexec_b64 s[6:7], s[0:1]
	s_cbranch_execz .LBB183_17
; %bb.16:
	ds_read_b32 v4, v14 offset:160
.LBB183_17:
	s_or_b64 exec, exec, s[6:7]
	v_xor_b32_e32 v15, 1, v8
	v_cmp_lt_i32_e64 s[6:7], v15, v9
	s_sub_i32 s3, s23, s3
	s_lshl_b32 s3, s3, 5
	v_cndmask_b32_e64 v9, v8, v15, s[6:7]
	v_lshlrev_b32_e32 v23, 2, v9
	s_waitcnt lgkmcnt(0)
	ds_bpermute_b32 v9, v23, v4
	v_max_f32_e32 v4, v4, v4
	v_lshlrev_b32_e32 v8, 2, v8
	v_and_b32_e32 v8, 0xffffff00, v8
	s_add_i32 s3, s3, s40
	s_waitcnt lgkmcnt(0)
	v_max_f32_e32 v9, v9, v9
	v_max_f32_e32 v4, v4, v9
	ds_bpermute_b32 v4, v8, v4
	s_min_i32 s5, s3, s33
	s_sub_i32 s3, s5, s40
	v_cmp_gt_i32_e64 s[6:7], s3, v0
	v_mov_b32_e32 v9, 0
	s_and_saveexec_b64 s[34:35], s[6:7]
	s_cbranch_execz .LBB183_21
; %bb.18:
	v_mov_b32_e32 v9, 0xb0
	v_lshl_add_u32 v15, v0, 2, v9
	s_mov_b64 s[36:37], 0
	v_mov_b32_e32 v9, 0
	v_mov_b32_e32 v16, v0
.LBB183_19:                             ; =>This Inner Loop Header: Depth=1
	ds_read_b32 v17, v15
	v_add_u32_e32 v16, 0x80, v16
	v_cmp_le_i32_e64 s[10:11], s3, v16
	s_or_b64 s[36:37], s[10:11], s[36:37]
	s_waitcnt lgkmcnt(0)
	v_sub_f32_e32 v17, v17, v4
	v_mul_f32_e32 v17, 0x3fb8aa3b, v17
	v_exp_f32_e32 v17, v17
	ds_write_b32 v15, v17
	v_add_f32_e32 v9, v9, v17
	v_add_u32_e32 v15, 0x200, v15
	s_andn2_b64 exec, exec, s[36:37]
	s_cbranch_execnz .LBB183_19
; %bb.20:
	s_or_b64 exec, exec, s[36:37]
.LBB183_21:
	s_or_b64 exec, exec, s[34:35]
	ds_bpermute_b32 v2, v2, v9
	s_waitcnt lgkmcnt(0)
	v_add_f32_e32 v2, v9, v2
	ds_bpermute_b32 v3, v3, v2
	s_waitcnt lgkmcnt(0)
	v_add_f32_e32 v2, v2, v3
	;; [unrolled: 3-line block ×6, first 2 shown]
	s_and_saveexec_b64 s[10:11], vcc
	s_cbranch_execz .LBB183_23
; %bb.22:
	ds_write_b32 v13, v2 offset:168
.LBB183_23:
	s_or_b64 exec, exec, s[10:11]
	s_waitcnt lgkmcnt(0)
	s_barrier
	s_and_saveexec_b64 s[10:11], s[0:1]
	s_cbranch_execz .LBB183_25
; %bb.24:
	ds_read_b32 v2, v14 offset:168
.LBB183_25:
	s_or_b64 exec, exec, s[10:11]
	s_waitcnt lgkmcnt(0)
	ds_bpermute_b32 v3, v23, v2
	s_waitcnt lgkmcnt(0)
	v_add_f32_e32 v2, v2, v3
	ds_bpermute_b32 v5, v8, v2
	s_and_saveexec_b64 s[0:1], s[6:7]
	s_cbranch_execz .LBB183_38
; %bb.26:
	s_waitcnt lgkmcnt(0)
	v_add_f32_e32 v2, 0x358637bd, v5
	v_div_scale_f32 v3, s[6:7], v2, v2, 1.0
	v_rcp_f32_e32 v8, v3
	v_div_scale_f32 v9, vcc, 1.0, v2, 1.0
	s_mov_b64 s[10:11], -1
	v_fma_f32 v12, -v3, v8, 1.0
	v_fmac_f32_e32 v8, v12, v8
	v_mul_f32_e32 v12, v9, v8
	v_fma_f32 v13, -v3, v12, v9
	v_fmac_f32_e32 v12, v13, v8
	v_fma_f32 v3, -v3, v12, v9
	v_div_fmas_f32 v3, v3, v8, v12
	v_div_fixup_f32 v2, v3, v2, 1.0
	v_xad_u32 v3, v0, -1, s5
	v_subrev_u32_e32 v8, s40, v3
	s_movk_i32 s5, 0x7f
	v_cmp_lt_u32_e32 vcc, s5, v8
	v_mov_b32_e32 v3, v0
	s_and_saveexec_b64 s[6:7], vcc
	s_cbranch_execz .LBB183_35
; %bb.27:
	v_lshrrev_b32_e32 v8, 7, v8
	v_add_u32_e32 v12, -1, v8
	v_lshrrev_b32_e32 v9, 1, v12
	v_mov_b32_e32 v3, v2
	v_add_u32_e32 v9, 1, v9
	v_cmp_lt_u32_e32 vcc, 13, v12
	v_mov_b32_e32 v14, 0
	s_and_saveexec_b64 s[10:11], vcc
	s_cbranch_execz .LBB183_31
; %bb.28:
	v_mov_b32_e32 v13, 0xb0
	v_and_b32_e32 v12, -8, v9
	v_lshl_add_u32 v13, v0, 2, v13
	s_mov_b32 s5, 0
	s_mov_b64 s[34:35], 0
.LBB183_29:                             ; =>This Inner Loop Header: Depth=1
	ds_read2st64_b32 v[14:15], v13 offset1:2
	ds_read2st64_b32 v[16:17], v13 offset0:4 offset1:6
	ds_read2st64_b32 v[18:19], v13 offset0:8 offset1:10
	;; [unrolled: 1-line block ×3, first 2 shown]
	v_add_u32_e32 v12, -8, v12
	s_waitcnt lgkmcnt(3)
	v_pk_mul_f32 v[14:15], v[2:3], v[14:15]
	s_waitcnt lgkmcnt(2)
	v_pk_mul_f32 v[16:17], v[2:3], v[16:17]
	ds_write2st64_b32 v13, v14, v15 offset1:2
	ds_write2st64_b32 v13, v16, v17 offset0:4 offset1:6
	ds_read2st64_b32 v[16:17], v13 offset0:16 offset1:18
	s_waitcnt lgkmcnt(4)
	v_pk_mul_f32 v[14:15], v[2:3], v[18:19]
	ds_write2st64_b32 v13, v14, v15 offset0:8 offset1:10
	s_waitcnt lgkmcnt(4)
	v_pk_mul_f32 v[14:15], v[2:3], v[20:21]
	ds_write2st64_b32 v13, v14, v15 offset0:12 offset1:14
	ds_read2st64_b32 v[14:15], v13 offset0:20 offset1:22
	s_waitcnt lgkmcnt(3)
	v_pk_mul_f32 v[16:17], v[2:3], v[16:17]
	ds_read2st64_b32 v[18:19], v13 offset0:24 offset1:26
	ds_write2st64_b32 v13, v16, v17 offset0:16 offset1:18
	ds_read2st64_b32 v[16:17], v13 offset0:28 offset1:30
	s_waitcnt lgkmcnt(3)
	v_pk_mul_f32 v[14:15], v[2:3], v[14:15]
	ds_write2st64_b32 v13, v14, v15 offset0:20 offset1:22
	s_waitcnt lgkmcnt(3)
	v_pk_mul_f32 v[14:15], v[2:3], v[18:19]
	ds_write2st64_b32 v13, v14, v15 offset0:24 offset1:26
	s_waitcnt lgkmcnt(2)
	v_pk_mul_f32 v[14:15], v[2:3], v[16:17]
	s_add_i32 s5, s5, 16
	v_cmp_eq_u32_e32 vcc, 0, v12
	ds_write2st64_b32 v13, v14, v15 offset0:28 offset1:30
	v_add_u32_e32 v13, 0x2000, v13
	s_or_b64 s[34:35], vcc, s[34:35]
	v_mov_b32_e32 v14, s5
	s_andn2_b64 exec, exec, s[34:35]
	s_cbranch_execnz .LBB183_29
; %bb.30:
	s_or_b64 exec, exec, s[34:35]
.LBB183_31:
	s_or_b64 exec, exec, s[10:11]
	v_and_b32_e32 v9, 7, v9
	v_cmp_ne_u32_e32 vcc, 0, v9
	s_and_saveexec_b64 s[10:11], vcc
	s_cbranch_execz .LBB183_34
; %bb.32:
	v_lshlrev_b32_e32 v12, 9, v14
	v_lshlrev_b32_e32 v13, 2, v0
	s_movk_i32 s5, 0xb0
	v_add3_u32 v12, v12, v13, s5
	s_mov_b64 s[34:35], 0
.LBB183_33:                             ; =>This Inner Loop Header: Depth=1
	ds_read2st64_b32 v[14:15], v12 offset1:2
	v_add_u32_e32 v9, -1, v9
	v_cmp_eq_u32_e32 vcc, 0, v9
	s_or_b64 s[34:35], vcc, s[34:35]
	s_waitcnt lgkmcnt(0)
	v_pk_mul_f32 v[14:15], v[2:3], v[14:15]
	ds_write2st64_b32 v12, v14, v15 offset1:2
	v_add_u32_e32 v12, 0x400, v12
	s_andn2_b64 exec, exec, s[34:35]
	s_cbranch_execnz .LBB183_33
.LBB183_34:
	s_or_b64 exec, exec, s[10:11]
	v_add_u32_e32 v8, 1, v8
	v_and_b32_e32 v9, 0x3fffffe, v8
	v_cmp_ne_u32_e32 vcc, v8, v9
	v_lshl_add_u32 v3, v9, 7, v0
	s_orn2_b64 s[10:11], vcc, exec
.LBB183_35:
	s_or_b64 exec, exec, s[6:7]
	s_and_b64 exec, exec, s[10:11]
	s_cbranch_execz .LBB183_38
; %bb.36:
	v_mov_b32_e32 v8, 0xb0
	v_lshl_add_u32 v8, v3, 2, v8
	s_mov_b64 s[6:7], 0
.LBB183_37:                             ; =>This Inner Loop Header: Depth=1
	ds_read_b32 v9, v8
	v_add_u32_e32 v3, 0x80, v3
	v_cmp_le_i32_e32 vcc, s3, v3
	s_or_b64 s[6:7], vcc, s[6:7]
	s_waitcnt lgkmcnt(0)
	v_mul_f32_e32 v9, v2, v9
	ds_write_b32 v8, v9
	v_add_u32_e32 v8, 0x200, v8
	s_andn2_b64 exec, exec, s[6:7]
	s_cbranch_execnz .LBB183_37
.LBB183_38:
	s_or_b64 exec, exec, s[0:1]
	v_cmp_eq_u32_e32 vcc, 0, v0
	s_waitcnt lgkmcnt(0)
	s_barrier
	s_and_saveexec_b64 s[0:1], vcc
	s_cbranch_execz .LBB183_40
; %bb.39:
	s_mul_i32 s3, s12, s20
	s_mul_i32 s6, s3, s21
	s_ashr_i32 s7, s6, 31
	s_lshl_b64 s[6:7], s[6:7], 2
	s_add_u32 s5, s18, s6
	s_mul_i32 s2, s12, s2
	s_addc_u32 s10, s19, s7
	s_ashr_i32 s3, s2, 31
	s_lshl_b64 s[2:3], s[2:3], 2
	s_add_u32 s15, s5, s2
	s_addc_u32 s19, s10, s3
	s_ashr_i32 s5, s4, 31
	s_lshl_b64 s[10:11], s[4:5], 2
	s_add_u32 s18, s15, s10
	s_addc_u32 s19, s19, s11
	s_add_u32 s5, s16, s6
	s_addc_u32 s6, s17, s7
	s_add_u32 s2, s5, s2
	s_addc_u32 s3, s6, s3
	s_add_u32 s2, s2, s10
	v_mov_b32_e32 v2, 0
	s_addc_u32 s3, s3, s11
	global_store_dword v2, v4, s[18:19]
	global_store_dword v2, v5, s[2:3]
.LBB183_40:
	s_or_b64 exec, exec, s[0:1]
	v_mov_b32_e32 v25, 0
	v_and_b32_e32 v24, 3, v0
	v_mov_b32_e32 v13, 0
	v_mov_b32_e32 v12, 0
	;; [unrolled: 1-line block ×4, first 2 shown]
	s_and_saveexec_b64 s[2:3], s[8:9]
	s_cbranch_execz .LBB183_246
; %bb.41:
	s_ashr_i32 s15, s14, 31
	s_lshl_b64 s[0:1], s[14:15], 1
	s_add_u32 s6, s30, s0
	v_and_b32_e32 v3, 24, v6
	s_mov_b32 s5, s13
	s_addc_u32 s7, s31, s1
	s_add_i32 s13, s41, -1
	v_lshl_add_u32 v5, v7, 5, s40
	s_lshl_b64 s[0:1], s[28:29], 2
	v_and_b32_e32 v2, 0x1f8, v6
	v_add3_u32 v26, v5, v3, 7
	v_lshlrev_b32_e32 v3, 5, v24
	s_add_u32 s0, s26, s0
	v_mov_b32_e32 v17, 0
	v_or_b32_e32 v4, 0x800, v2
	v_lshl_or_b32 v3, v7, 7, v3
	s_addc_u32 s1, s27, s1
	v_add_u32_e32 v27, 0xb0, v3
	v_lshl_add_u64 v[18:19], v[10:11], 2, s[0:1]
	s_mov_b64 s[8:9], 0
	s_mov_b32 s14, 0x7f800000
	s_movk_i32 s15, 0x7fff
	v_lshlrev_b32_e32 v16, 1, v2
	v_lshlrev_b32_e32 v20, 1, v4
	v_mov_b32_e32 v14, v17
	v_mov_b32_e32 v15, v17
	;; [unrolled: 1-line block ×5, first 2 shown]
	s_branch .LBB183_43
.LBB183_42:                             ;   in Loop: Header=BB183_43 Depth=1
	s_or_b64 exec, exec, s[0:1]
	v_and_b32_e32 v36, 0xffff0000, v32
	v_and_b32_e32 v32, 0xffff0000, v31
	;; [unrolled: 1-line block ×8, first 2 shown]
	v_pk_add_f32 v[28:29], v[28:29], v[30:31]
	v_pk_add_f32 v[30:31], v[32:33], v[36:37]
	v_add_f32_e32 v11, v28, v29
	v_add_f32_e32 v11, v11, v30
	v_and_b32_e32 v33, 0xffff0000, v53
	v_and_b32_e32 v32, 0xffff0000, v51
	;; [unrolled: 1-line block ×4, first 2 shown]
	v_add_f32_e32 v11, v11, v31
	v_and_b32_e32 v29, 0xffff0000, v57
	v_and_b32_e32 v28, 0xffff0000, v55
	;; [unrolled: 1-line block ×4, first 2 shown]
	v_pk_add_f32 v[32:33], v[36:37], v[32:33]
	v_add_f32_e32 v14, v14, v11
	v_pk_add_f32 v[28:29], v[30:31], v[28:29]
	v_add_f32_e32 v11, v32, v33
	v_add_f32_e32 v11, v11, v28
	v_and_b32_e32 v33, 0xffff0000, v61
	v_and_b32_e32 v32, 0xffff0000, v59
	;; [unrolled: 1-line block ×4, first 2 shown]
	v_add_f32_e32 v11, v11, v29
	v_and_b32_e32 v29, 0xffff0000, v65
	v_and_b32_e32 v28, 0xffff0000, v63
	;; [unrolled: 1-line block ×4, first 2 shown]
	v_pk_add_f32 v[32:33], v[36:37], v[32:33]
	v_add_f32_e32 v15, v15, v11
	v_pk_add_f32 v[28:29], v[30:31], v[28:29]
	v_add_f32_e32 v11, v32, v33
	v_add_f32_e32 v11, v11, v28
	v_and_b32_e32 v33, 0xffff0000, v67
	v_and_b32_e32 v32, 0xffff0000, v9
	;; [unrolled: 1-line block ×4, first 2 shown]
	v_add_f32_e32 v11, v11, v29
	v_and_b32_e32 v29, 0xffff0000, v71
	v_and_b32_e32 v28, 0xffff0000, v69
	;; [unrolled: 1-line block ×4, first 2 shown]
	v_pk_add_f32 v[8:9], v[8:9], v[32:33]
	v_pk_add_f32 v[28:29], v[30:31], v[28:29]
	v_add_f32_e32 v8, v8, v9
	v_add_f32_e32 v8, v8, v28
	;; [unrolled: 1-line block ×3, first 2 shown]
	v_and_b32_e32 v9, 0xffff0000, v7
	v_and_b32_e32 v7, 0xffff0000, v21
	;; [unrolled: 1-line block ×5, first 2 shown]
	v_add_f32_e32 v13, v13, v8
	v_and_b32_e32 v8, 0xffff0000, v34
	v_and_b32_e32 v5, 0xffff0000, v5
	;; [unrolled: 1-line block ×3, first 2 shown]
	v_pk_add_f32 v[2:3], v[2:3], v[6:7]
	v_pk_add_f32 v[4:5], v[4:5], v[8:9]
	v_add_f32_e32 v2, v2, v3
	v_add_f32_e32 v2, v2, v4
	v_add_u32_e32 v10, 2, v10
	v_add_f32_e32 v2, v2, v5
	v_cmp_le_i32_e32 vcc, s23, v10
	v_add_f32_e32 v12, v12, v11
	v_add_f32_e32 v25, v25, v2
	v_add_u32_e32 v26, 64, v26
	v_add_u32_e32 v27, 0x100, v27
	s_or_b64 s[8:9], vcc, s[8:9]
	v_lshl_add_u64 v[18:19], v[18:19], 0, 8
	s_andn2_b64 exec, exec, s[8:9]
	s_cbranch_execz .LBB183_245
.LBB183_43:                             ; =>This Inner Loop Header: Depth=1
	global_load_dword v34, v[18:19], off
	ds_read2_b64 v[6:9], v27 offset1:1
	ds_read2_b64 v[2:5], v27 offset0:2 offset1:3
	s_waitcnt lgkmcnt(1)
	v_and_b32_e32 v11, 0x7f800000, v6
	v_cmp_ne_u32_e32 vcc, s14, v11
                                        ; implicit-def: $vgpr11
	s_and_saveexec_b64 s[0:1], vcc
	s_xor_b64 s[0:1], exec, s[0:1]
; %bb.44:                               ;   in Loop: Header=BB183_43 Depth=1
	v_bfe_u32 v11, v6, 16, 1
	v_add3_u32 v11, v6, v11, s15
; %bb.45:                               ;   in Loop: Header=BB183_43 Depth=1
	s_andn2_saveexec_b64 s[0:1], s[0:1]
; %bb.46:                               ;   in Loop: Header=BB183_43 Depth=1
	v_or_b32_e32 v11, 0x10000, v6
	v_cmp_eq_u32_sdwa vcc, v6, v17 src0_sel:WORD_0 src1_sel:DWORD
	s_nop 1
	v_cndmask_b32_e32 v11, v11, v6, vcc
; %bb.47:                               ;   in Loop: Header=BB183_43 Depth=1
	s_or_b64 exec, exec, s[0:1]
	v_and_b32_e32 v6, 0x7f800000, v7
	v_cmp_ne_u32_e32 vcc, s14, v6
                                        ; implicit-def: $vgpr28
	s_and_saveexec_b64 s[0:1], vcc
	s_xor_b64 s[0:1], exec, s[0:1]
; %bb.48:                               ;   in Loop: Header=BB183_43 Depth=1
	v_bfe_u32 v6, v7, 16, 1
	v_add3_u32 v28, v7, v6, s15
; %bb.49:                               ;   in Loop: Header=BB183_43 Depth=1
	s_andn2_saveexec_b64 s[0:1], s[0:1]
; %bb.50:                               ;   in Loop: Header=BB183_43 Depth=1
	v_or_b32_e32 v6, 0x10000, v7
	v_cmp_eq_u32_sdwa vcc, v7, v17 src0_sel:WORD_0 src1_sel:DWORD
	s_nop 1
	v_cndmask_b32_e32 v28, v6, v7, vcc
; %bb.51:                               ;   in Loop: Header=BB183_43 Depth=1
	s_or_b64 exec, exec, s[0:1]
	v_and_b32_e32 v6, 0x7f800000, v8
	v_cmp_ne_u32_e32 vcc, s14, v6
                                        ; implicit-def: $vgpr29
	s_and_saveexec_b64 s[0:1], vcc
	s_xor_b64 s[0:1], exec, s[0:1]
; %bb.52:                               ;   in Loop: Header=BB183_43 Depth=1
	v_bfe_u32 v6, v8, 16, 1
	v_add3_u32 v29, v8, v6, s15
; %bb.53:                               ;   in Loop: Header=BB183_43 Depth=1
	s_andn2_saveexec_b64 s[0:1], s[0:1]
; %bb.54:                               ;   in Loop: Header=BB183_43 Depth=1
	v_or_b32_e32 v6, 0x10000, v8
	v_cmp_eq_u32_sdwa vcc, v8, v17 src0_sel:WORD_0 src1_sel:DWORD
	s_nop 1
	v_cndmask_b32_e32 v29, v6, v8, vcc
; %bb.55:                               ;   in Loop: Header=BB183_43 Depth=1
	s_or_b64 exec, exec, s[0:1]
	v_and_b32_e32 v6, 0x7f800000, v9
	v_cmp_ne_u32_e32 vcc, s14, v6
                                        ; implicit-def: $vgpr30
	s_and_saveexec_b64 s[0:1], vcc
	s_xor_b64 s[0:1], exec, s[0:1]
; %bb.56:                               ;   in Loop: Header=BB183_43 Depth=1
	v_bfe_u32 v6, v9, 16, 1
	v_add3_u32 v30, v9, v6, s15
                                        ; implicit-def: $vgpr6_vgpr7_vgpr8_vgpr9
; %bb.57:                               ;   in Loop: Header=BB183_43 Depth=1
	s_andn2_saveexec_b64 s[0:1], s[0:1]
; %bb.58:                               ;   in Loop: Header=BB183_43 Depth=1
	v_or_b32_e32 v6, 0x10000, v9
	v_cmp_eq_u32_sdwa vcc, v9, v17 src0_sel:WORD_0 src1_sel:DWORD
	s_nop 1
	v_cndmask_b32_e32 v30, v6, v9, vcc
; %bb.59:                               ;   in Loop: Header=BB183_43 Depth=1
	s_or_b64 exec, exec, s[0:1]
	s_waitcnt lgkmcnt(0)
	v_and_b32_e32 v6, 0x7f800000, v2
	v_cmp_ne_u32_e32 vcc, s14, v6
                                        ; implicit-def: $vgpr31
	s_and_saveexec_b64 s[0:1], vcc
	s_xor_b64 s[0:1], exec, s[0:1]
; %bb.60:                               ;   in Loop: Header=BB183_43 Depth=1
	v_bfe_u32 v6, v2, 16, 1
	v_add3_u32 v31, v2, v6, s15
; %bb.61:                               ;   in Loop: Header=BB183_43 Depth=1
	s_andn2_saveexec_b64 s[0:1], s[0:1]
; %bb.62:                               ;   in Loop: Header=BB183_43 Depth=1
	v_or_b32_e32 v6, 0x10000, v2
	v_cmp_eq_u32_sdwa vcc, v2, v17 src0_sel:WORD_0 src1_sel:DWORD
	s_nop 1
	v_cndmask_b32_e32 v31, v6, v2, vcc
; %bb.63:                               ;   in Loop: Header=BB183_43 Depth=1
	s_or_b64 exec, exec, s[0:1]
	v_and_b32_e32 v2, 0x7f800000, v3
	v_cmp_ne_u32_e32 vcc, s14, v2
                                        ; implicit-def: $vgpr32
	s_and_saveexec_b64 s[0:1], vcc
	s_xor_b64 s[0:1], exec, s[0:1]
; %bb.64:                               ;   in Loop: Header=BB183_43 Depth=1
	v_bfe_u32 v2, v3, 16, 1
	v_add3_u32 v32, v3, v2, s15
; %bb.65:                               ;   in Loop: Header=BB183_43 Depth=1
	s_andn2_saveexec_b64 s[0:1], s[0:1]
; %bb.66:                               ;   in Loop: Header=BB183_43 Depth=1
	v_or_b32_e32 v2, 0x10000, v3
	v_cmp_eq_u32_sdwa vcc, v3, v17 src0_sel:WORD_0 src1_sel:DWORD
	s_nop 1
	v_cndmask_b32_e32 v32, v2, v3, vcc
; %bb.67:                               ;   in Loop: Header=BB183_43 Depth=1
	s_or_b64 exec, exec, s[0:1]
	v_and_b32_e32 v2, 0x7f800000, v4
	v_cmp_ne_u32_e32 vcc, s14, v2
                                        ; implicit-def: $vgpr33
	s_and_saveexec_b64 s[0:1], vcc
	s_xor_b64 s[0:1], exec, s[0:1]
; %bb.68:                               ;   in Loop: Header=BB183_43 Depth=1
	v_bfe_u32 v2, v4, 16, 1
	v_add3_u32 v33, v4, v2, s15
; %bb.69:                               ;   in Loop: Header=BB183_43 Depth=1
	s_andn2_saveexec_b64 s[0:1], s[0:1]
; %bb.70:                               ;   in Loop: Header=BB183_43 Depth=1
	v_or_b32_e32 v2, 0x10000, v4
	v_cmp_eq_u32_sdwa vcc, v4, v17 src0_sel:WORD_0 src1_sel:DWORD
	s_nop 1
	v_cndmask_b32_e32 v33, v2, v4, vcc
; %bb.71:                               ;   in Loop: Header=BB183_43 Depth=1
	s_or_b64 exec, exec, s[0:1]
	v_and_b32_e32 v2, 0x7f800000, v5
	v_cmp_ne_u32_e32 vcc, s14, v2
                                        ; implicit-def: $vgpr21
	s_and_saveexec_b64 s[0:1], vcc
	s_xor_b64 s[0:1], exec, s[0:1]
; %bb.72:                               ;   in Loop: Header=BB183_43 Depth=1
	v_bfe_u32 v2, v5, 16, 1
	v_add3_u32 v21, v5, v2, s15
                                        ; implicit-def: $vgpr2_vgpr3_vgpr4_vgpr5
; %bb.73:                               ;   in Loop: Header=BB183_43 Depth=1
	s_andn2_saveexec_b64 s[0:1], s[0:1]
; %bb.74:                               ;   in Loop: Header=BB183_43 Depth=1
	v_or_b32_e32 v2, 0x10000, v5
	v_cmp_eq_u32_sdwa vcc, v5, v17 src0_sel:WORD_0 src1_sel:DWORD
	s_nop 1
	v_cndmask_b32_e32 v21, v2, v5, vcc
; %bb.75:                               ;   in Loop: Header=BB183_43 Depth=1
	s_or_b64 exec, exec, s[0:1]
	s_waitcnt vmcnt(0)
	v_mad_i64_i32 v[2:3], s[0:1], v34, s5, 0
	v_lshl_add_u64 v[6:7], v[2:3], 1, s[6:7]
	v_lshl_add_u64 v[8:9], v[6:7], 0, v[16:17]
	global_load_dwordx4 v[2:5], v[8:9], off
	v_add_u32_e32 v34, -7, v26
	v_cmp_eq_u32_e32 vcc, s13, v10
	v_add_u32_e32 v40, -6, v26
	v_add_u32_e32 v38, -5, v26
	;; [unrolled: 1-line block ×6, first 2 shown]
	s_waitcnt vmcnt(0)
	v_lshrrev_b32_e32 v44, 16, v2
	v_lshrrev_b32_e32 v46, 16, v3
	;; [unrolled: 1-line block ×4, first 2 shown]
	s_and_saveexec_b64 s[10:11], vcc
	s_cbranch_execz .LBB183_77
; %bb.76:                               ;   in Loop: Header=BB183_43 Depth=1
	v_cmp_gt_i32_e64 s[0:1], s33, v34
	s_nop 1
	v_cndmask_b32_e64 v2, 0, v2, s[0:1]
	v_cmp_gt_i32_e64 s[0:1], s33, v40
	s_nop 1
	v_cndmask_b32_e64 v44, 0, v44, s[0:1]
	;; [unrolled: 3-line block ×8, first 2 shown]
.LBB183_77:                             ;   in Loop: Header=BB183_43 Depth=1
	s_or_b64 exec, exec, s[10:11]
	v_and_b32_e32 v42, 0xffff0000, v11
	v_lshlrev_b32_e32 v2, 16, v2
	v_mul_f32_e32 v2, v42, v2
	v_and_b32_e32 v11, 0x7f800000, v2
	v_cmp_ne_u32_e64 s[0:1], s14, v11
                                        ; implicit-def: $vgpr11
	s_and_saveexec_b64 s[10:11], s[0:1]
	s_xor_b64 s[0:1], exec, s[10:11]
; %bb.78:                               ;   in Loop: Header=BB183_43 Depth=1
	v_bfe_u32 v11, v2, 16, 1
	v_add3_u32 v11, v2, v11, s15
                                        ; implicit-def: $vgpr2
; %bb.79:                               ;   in Loop: Header=BB183_43 Depth=1
	s_andn2_saveexec_b64 s[10:11], s[0:1]
; %bb.80:                               ;   in Loop: Header=BB183_43 Depth=1
	v_or_b32_e32 v11, 0x10000, v2
	v_cmp_eq_u32_sdwa s[0:1], v2, v17 src0_sel:WORD_0 src1_sel:DWORD
	s_nop 1
	v_cndmask_b32_e64 v11, v11, v2, s[0:1]
; %bb.81:                               ;   in Loop: Header=BB183_43 Depth=1
	s_or_b64 exec, exec, s[10:11]
	v_and_b32_e32 v43, 0xffff0000, v28
	v_lshlrev_b32_e32 v2, 16, v44
	v_mul_f32_e32 v2, v43, v2
	v_and_b32_e32 v28, 0x7f800000, v2
	v_cmp_ne_u32_e64 s[0:1], s14, v28
                                        ; implicit-def: $vgpr28
	s_and_saveexec_b64 s[10:11], s[0:1]
	s_xor_b64 s[0:1], exec, s[10:11]
; %bb.82:                               ;   in Loop: Header=BB183_43 Depth=1
	v_bfe_u32 v28, v2, 16, 1
	v_add3_u32 v28, v2, v28, s15
                                        ; implicit-def: $vgpr2
; %bb.83:                               ;   in Loop: Header=BB183_43 Depth=1
	s_andn2_saveexec_b64 s[10:11], s[0:1]
; %bb.84:                               ;   in Loop: Header=BB183_43 Depth=1
	v_or_b32_e32 v28, 0x10000, v2
	v_cmp_eq_u32_sdwa s[0:1], v2, v17 src0_sel:WORD_0 src1_sel:DWORD
	s_nop 1
	v_cndmask_b32_e64 v28, v28, v2, s[0:1]
; %bb.85:                               ;   in Loop: Header=BB183_43 Depth=1
	s_or_b64 exec, exec, s[10:11]
	v_and_b32_e32 v44, 0xffff0000, v29
	v_lshlrev_b32_e32 v2, 16, v3
	v_mul_f32_e32 v2, v44, v2
	v_and_b32_e32 v3, 0x7f800000, v2
	v_cmp_ne_u32_e64 s[0:1], s14, v3
                                        ; implicit-def: $vgpr29
	s_and_saveexec_b64 s[10:11], s[0:1]
	s_xor_b64 s[0:1], exec, s[10:11]
; %bb.86:                               ;   in Loop: Header=BB183_43 Depth=1
	v_bfe_u32 v3, v2, 16, 1
	v_add3_u32 v29, v2, v3, s15
                                        ; implicit-def: $vgpr2
; %bb.87:                               ;   in Loop: Header=BB183_43 Depth=1
	s_andn2_saveexec_b64 s[10:11], s[0:1]
; %bb.88:                               ;   in Loop: Header=BB183_43 Depth=1
	v_or_b32_e32 v3, 0x10000, v2
	v_cmp_eq_u32_sdwa s[0:1], v2, v17 src0_sel:WORD_0 src1_sel:DWORD
	s_nop 1
	v_cndmask_b32_e64 v29, v3, v2, s[0:1]
; %bb.89:                               ;   in Loop: Header=BB183_43 Depth=1
	s_or_b64 exec, exec, s[10:11]
	v_and_b32_e32 v45, 0xffff0000, v30
	v_lshlrev_b32_e32 v2, 16, v46
	v_mul_f32_e32 v2, v45, v2
	v_and_b32_e32 v3, 0x7f800000, v2
	v_cmp_ne_u32_e64 s[0:1], s14, v3
                                        ; implicit-def: $vgpr30
	s_and_saveexec_b64 s[10:11], s[0:1]
	s_xor_b64 s[0:1], exec, s[10:11]
; %bb.90:                               ;   in Loop: Header=BB183_43 Depth=1
	v_bfe_u32 v3, v2, 16, 1
	v_add3_u32 v30, v2, v3, s15
                                        ; implicit-def: $vgpr2
; %bb.91:                               ;   in Loop: Header=BB183_43 Depth=1
	s_andn2_saveexec_b64 s[10:11], s[0:1]
; %bb.92:                               ;   in Loop: Header=BB183_43 Depth=1
	v_or_b32_e32 v3, 0x10000, v2
	v_cmp_eq_u32_sdwa s[0:1], v2, v17 src0_sel:WORD_0 src1_sel:DWORD
	s_nop 1
	v_cndmask_b32_e64 v30, v3, v2, s[0:1]
; %bb.93:                               ;   in Loop: Header=BB183_43 Depth=1
	s_or_b64 exec, exec, s[10:11]
	v_and_b32_e32 v46, 0xffff0000, v31
	v_lshlrev_b32_e32 v2, 16, v4
	v_mul_f32_e32 v2, v46, v2
	v_and_b32_e32 v3, 0x7f800000, v2
	v_cmp_ne_u32_e64 s[0:1], s14, v3
                                        ; implicit-def: $vgpr31
	s_and_saveexec_b64 s[10:11], s[0:1]
	s_xor_b64 s[0:1], exec, s[10:11]
; %bb.94:                               ;   in Loop: Header=BB183_43 Depth=1
	v_bfe_u32 v3, v2, 16, 1
	v_add3_u32 v31, v2, v3, s15
                                        ; implicit-def: $vgpr2
; %bb.95:                               ;   in Loop: Header=BB183_43 Depth=1
	s_andn2_saveexec_b64 s[10:11], s[0:1]
; %bb.96:                               ;   in Loop: Header=BB183_43 Depth=1
	v_or_b32_e32 v3, 0x10000, v2
	v_cmp_eq_u32_sdwa s[0:1], v2, v17 src0_sel:WORD_0 src1_sel:DWORD
	s_nop 1
	v_cndmask_b32_e64 v31, v3, v2, s[0:1]
; %bb.97:                               ;   in Loop: Header=BB183_43 Depth=1
	s_or_b64 exec, exec, s[10:11]
	v_and_b32_e32 v47, 0xffff0000, v32
	v_lshlrev_b32_e32 v2, 16, v48
	v_mul_f32_e32 v2, v47, v2
	v_and_b32_e32 v3, 0x7f800000, v2
	v_cmp_ne_u32_e64 s[0:1], s14, v3
                                        ; implicit-def: $vgpr32
	s_and_saveexec_b64 s[10:11], s[0:1]
	s_xor_b64 s[0:1], exec, s[10:11]
; %bb.98:                               ;   in Loop: Header=BB183_43 Depth=1
	v_bfe_u32 v3, v2, 16, 1
	v_add3_u32 v32, v2, v3, s15
                                        ; implicit-def: $vgpr2
; %bb.99:                               ;   in Loop: Header=BB183_43 Depth=1
	s_andn2_saveexec_b64 s[10:11], s[0:1]
; %bb.100:                              ;   in Loop: Header=BB183_43 Depth=1
	v_or_b32_e32 v3, 0x10000, v2
	v_cmp_eq_u32_sdwa s[0:1], v2, v17 src0_sel:WORD_0 src1_sel:DWORD
	s_nop 1
	v_cndmask_b32_e64 v32, v3, v2, s[0:1]
; %bb.101:                              ;   in Loop: Header=BB183_43 Depth=1
	s_or_b64 exec, exec, s[10:11]
	v_and_b32_e32 v48, 0xffff0000, v33
	v_lshlrev_b32_e32 v2, 16, v5
	v_mul_f32_e32 v2, v48, v2
	v_and_b32_e32 v3, 0x7f800000, v2
	v_cmp_ne_u32_e64 s[0:1], s14, v3
                                        ; implicit-def: $vgpr33
	s_and_saveexec_b64 s[10:11], s[0:1]
	s_xor_b64 s[0:1], exec, s[10:11]
; %bb.102:                              ;   in Loop: Header=BB183_43 Depth=1
	v_bfe_u32 v3, v2, 16, 1
	v_add3_u32 v33, v2, v3, s15
                                        ; implicit-def: $vgpr2
; %bb.103:                              ;   in Loop: Header=BB183_43 Depth=1
	s_andn2_saveexec_b64 s[10:11], s[0:1]
; %bb.104:                              ;   in Loop: Header=BB183_43 Depth=1
	v_or_b32_e32 v3, 0x10000, v2
	v_cmp_eq_u32_sdwa s[0:1], v2, v17 src0_sel:WORD_0 src1_sel:DWORD
	s_nop 1
	v_cndmask_b32_e64 v33, v3, v2, s[0:1]
; %bb.105:                              ;   in Loop: Header=BB183_43 Depth=1
	s_or_b64 exec, exec, s[10:11]
	v_and_b32_e32 v49, 0xffff0000, v21
	v_lshlrev_b32_e32 v2, 16, v41
	v_mul_f32_e32 v2, v49, v2
	v_and_b32_e32 v3, 0x7f800000, v2
	v_cmp_ne_u32_e64 s[0:1], s14, v3
                                        ; implicit-def: $vgpr41
	s_and_saveexec_b64 s[10:11], s[0:1]
	s_xor_b64 s[0:1], exec, s[10:11]
; %bb.106:                              ;   in Loop: Header=BB183_43 Depth=1
	v_bfe_u32 v3, v2, 16, 1
	v_add3_u32 v41, v2, v3, s15
                                        ; implicit-def: $vgpr2
; %bb.107:                              ;   in Loop: Header=BB183_43 Depth=1
	s_andn2_saveexec_b64 s[10:11], s[0:1]
; %bb.108:                              ;   in Loop: Header=BB183_43 Depth=1
	v_or_b32_e32 v3, 0x10000, v2
	v_cmp_eq_u32_sdwa s[0:1], v2, v17 src0_sel:WORD_0 src1_sel:DWORD
	s_nop 1
	v_cndmask_b32_e64 v41, v3, v2, s[0:1]
; %bb.109:                              ;   in Loop: Header=BB183_43 Depth=1
	s_or_b64 exec, exec, s[10:11]
	global_load_dwordx4 v[2:5], v[8:9], off offset:1024
	s_waitcnt vmcnt(0)
	v_lshrrev_b32_e32 v51, 16, v2
	v_lshrrev_b32_e32 v53, 16, v3
	;; [unrolled: 1-line block ×4, first 2 shown]
	s_and_saveexec_b64 s[10:11], vcc
	s_cbranch_execz .LBB183_111
; %bb.110:                              ;   in Loop: Header=BB183_43 Depth=1
	v_cmp_gt_i32_e64 s[0:1], s33, v34
	s_nop 1
	v_cndmask_b32_e64 v2, 0, v2, s[0:1]
	v_cmp_gt_i32_e64 s[0:1], s33, v40
	s_nop 1
	v_cndmask_b32_e64 v51, 0, v51, s[0:1]
	v_cmp_gt_i32_e64 s[0:1], s33, v38
	s_nop 1
	v_cndmask_b32_e64 v3, 0, v3, s[0:1]
	v_cmp_gt_i32_e64 s[0:1], s33, v37
	s_nop 1
	v_cndmask_b32_e64 v53, 0, v53, s[0:1]
	v_cmp_gt_i32_e64 s[0:1], s33, v36
	s_nop 1
	v_cndmask_b32_e64 v4, 0, v4, s[0:1]
	v_cmp_gt_i32_e64 s[0:1], s33, v35
	s_nop 1
	v_cndmask_b32_e64 v55, 0, v55, s[0:1]
	v_cmp_gt_i32_e64 s[0:1], s33, v39
	s_nop 1
	v_cndmask_b32_e64 v5, 0, v5, s[0:1]
	v_cmp_gt_i32_e64 s[0:1], s33, v26
	s_nop 1
	v_cndmask_b32_e64 v21, 0, v21, s[0:1]
.LBB183_111:                            ;   in Loop: Header=BB183_43 Depth=1
	s_or_b64 exec, exec, s[10:11]
	v_lshlrev_b32_e32 v2, 16, v2
	v_mul_f32_e32 v2, v42, v2
	v_and_b32_e32 v50, 0x7f800000, v2
	v_cmp_ne_u32_e64 s[0:1], s14, v50
                                        ; implicit-def: $vgpr50
	s_and_saveexec_b64 s[10:11], s[0:1]
	s_xor_b64 s[0:1], exec, s[10:11]
; %bb.112:                              ;   in Loop: Header=BB183_43 Depth=1
	v_bfe_u32 v50, v2, 16, 1
	v_add3_u32 v50, v2, v50, s15
                                        ; implicit-def: $vgpr2
; %bb.113:                              ;   in Loop: Header=BB183_43 Depth=1
	s_andn2_saveexec_b64 s[10:11], s[0:1]
; %bb.114:                              ;   in Loop: Header=BB183_43 Depth=1
	v_or_b32_e32 v50, 0x10000, v2
	v_cmp_eq_u32_sdwa s[0:1], v2, v17 src0_sel:WORD_0 src1_sel:DWORD
	s_nop 1
	v_cndmask_b32_e64 v50, v50, v2, s[0:1]
; %bb.115:                              ;   in Loop: Header=BB183_43 Depth=1
	s_or_b64 exec, exec, s[10:11]
	v_lshlrev_b32_e32 v2, 16, v51
	v_mul_f32_e32 v2, v43, v2
	v_and_b32_e32 v51, 0x7f800000, v2
	v_cmp_ne_u32_e64 s[0:1], s14, v51
                                        ; implicit-def: $vgpr51
	s_and_saveexec_b64 s[10:11], s[0:1]
	s_xor_b64 s[0:1], exec, s[10:11]
; %bb.116:                              ;   in Loop: Header=BB183_43 Depth=1
	v_bfe_u32 v51, v2, 16, 1
	v_add3_u32 v51, v2, v51, s15
                                        ; implicit-def: $vgpr2
; %bb.117:                              ;   in Loop: Header=BB183_43 Depth=1
	s_andn2_saveexec_b64 s[10:11], s[0:1]
; %bb.118:                              ;   in Loop: Header=BB183_43 Depth=1
	v_or_b32_e32 v51, 0x10000, v2
	v_cmp_eq_u32_sdwa s[0:1], v2, v17 src0_sel:WORD_0 src1_sel:DWORD
	s_nop 1
	v_cndmask_b32_e64 v51, v51, v2, s[0:1]
; %bb.119:                              ;   in Loop: Header=BB183_43 Depth=1
	s_or_b64 exec, exec, s[10:11]
	v_lshlrev_b32_e32 v2, 16, v3
	v_mul_f32_e32 v2, v44, v2
	v_and_b32_e32 v3, 0x7f800000, v2
	v_cmp_ne_u32_e64 s[0:1], s14, v3
                                        ; implicit-def: $vgpr52
	s_and_saveexec_b64 s[10:11], s[0:1]
	s_xor_b64 s[0:1], exec, s[10:11]
; %bb.120:                              ;   in Loop: Header=BB183_43 Depth=1
	v_bfe_u32 v3, v2, 16, 1
	v_add3_u32 v52, v2, v3, s15
                                        ; implicit-def: $vgpr2
; %bb.121:                              ;   in Loop: Header=BB183_43 Depth=1
	s_andn2_saveexec_b64 s[10:11], s[0:1]
; %bb.122:                              ;   in Loop: Header=BB183_43 Depth=1
	v_or_b32_e32 v3, 0x10000, v2
	v_cmp_eq_u32_sdwa s[0:1], v2, v17 src0_sel:WORD_0 src1_sel:DWORD
	s_nop 1
	v_cndmask_b32_e64 v52, v3, v2, s[0:1]
; %bb.123:                              ;   in Loop: Header=BB183_43 Depth=1
	s_or_b64 exec, exec, s[10:11]
	v_lshlrev_b32_e32 v2, 16, v53
	v_mul_f32_e32 v2, v45, v2
	v_and_b32_e32 v3, 0x7f800000, v2
	v_cmp_ne_u32_e64 s[0:1], s14, v3
                                        ; implicit-def: $vgpr53
	s_and_saveexec_b64 s[10:11], s[0:1]
	s_xor_b64 s[0:1], exec, s[10:11]
; %bb.124:                              ;   in Loop: Header=BB183_43 Depth=1
	v_bfe_u32 v3, v2, 16, 1
	v_add3_u32 v53, v2, v3, s15
                                        ; implicit-def: $vgpr2
; %bb.125:                              ;   in Loop: Header=BB183_43 Depth=1
	s_andn2_saveexec_b64 s[10:11], s[0:1]
; %bb.126:                              ;   in Loop: Header=BB183_43 Depth=1
	v_or_b32_e32 v3, 0x10000, v2
	v_cmp_eq_u32_sdwa s[0:1], v2, v17 src0_sel:WORD_0 src1_sel:DWORD
	s_nop 1
	v_cndmask_b32_e64 v53, v3, v2, s[0:1]
; %bb.127:                              ;   in Loop: Header=BB183_43 Depth=1
	s_or_b64 exec, exec, s[10:11]
	v_lshlrev_b32_e32 v2, 16, v4
	v_mul_f32_e32 v2, v46, v2
	v_and_b32_e32 v3, 0x7f800000, v2
	v_cmp_ne_u32_e64 s[0:1], s14, v3
                                        ; implicit-def: $vgpr54
	s_and_saveexec_b64 s[10:11], s[0:1]
	s_xor_b64 s[0:1], exec, s[10:11]
; %bb.128:                              ;   in Loop: Header=BB183_43 Depth=1
	v_bfe_u32 v3, v2, 16, 1
	v_add3_u32 v54, v2, v3, s15
                                        ; implicit-def: $vgpr2
; %bb.129:                              ;   in Loop: Header=BB183_43 Depth=1
	s_andn2_saveexec_b64 s[10:11], s[0:1]
; %bb.130:                              ;   in Loop: Header=BB183_43 Depth=1
	v_or_b32_e32 v3, 0x10000, v2
	v_cmp_eq_u32_sdwa s[0:1], v2, v17 src0_sel:WORD_0 src1_sel:DWORD
	s_nop 1
	v_cndmask_b32_e64 v54, v3, v2, s[0:1]
; %bb.131:                              ;   in Loop: Header=BB183_43 Depth=1
	s_or_b64 exec, exec, s[10:11]
	v_lshlrev_b32_e32 v2, 16, v55
	v_mul_f32_e32 v2, v47, v2
	v_and_b32_e32 v3, 0x7f800000, v2
	v_cmp_ne_u32_e64 s[0:1], s14, v3
                                        ; implicit-def: $vgpr55
	s_and_saveexec_b64 s[10:11], s[0:1]
	s_xor_b64 s[0:1], exec, s[10:11]
; %bb.132:                              ;   in Loop: Header=BB183_43 Depth=1
	v_bfe_u32 v3, v2, 16, 1
	v_add3_u32 v55, v2, v3, s15
                                        ; implicit-def: $vgpr2
; %bb.133:                              ;   in Loop: Header=BB183_43 Depth=1
	s_andn2_saveexec_b64 s[10:11], s[0:1]
; %bb.134:                              ;   in Loop: Header=BB183_43 Depth=1
	v_or_b32_e32 v3, 0x10000, v2
	v_cmp_eq_u32_sdwa s[0:1], v2, v17 src0_sel:WORD_0 src1_sel:DWORD
	s_nop 1
	v_cndmask_b32_e64 v55, v3, v2, s[0:1]
; %bb.135:                              ;   in Loop: Header=BB183_43 Depth=1
	s_or_b64 exec, exec, s[10:11]
	v_lshlrev_b32_e32 v2, 16, v5
	v_mul_f32_e32 v2, v48, v2
	v_and_b32_e32 v3, 0x7f800000, v2
	v_cmp_ne_u32_e64 s[0:1], s14, v3
                                        ; implicit-def: $vgpr56
	s_and_saveexec_b64 s[10:11], s[0:1]
	s_xor_b64 s[0:1], exec, s[10:11]
; %bb.136:                              ;   in Loop: Header=BB183_43 Depth=1
	v_bfe_u32 v3, v2, 16, 1
	v_add3_u32 v56, v2, v3, s15
                                        ; implicit-def: $vgpr2
; %bb.137:                              ;   in Loop: Header=BB183_43 Depth=1
	s_andn2_saveexec_b64 s[10:11], s[0:1]
; %bb.138:                              ;   in Loop: Header=BB183_43 Depth=1
	v_or_b32_e32 v3, 0x10000, v2
	v_cmp_eq_u32_sdwa s[0:1], v2, v17 src0_sel:WORD_0 src1_sel:DWORD
	s_nop 1
	v_cndmask_b32_e64 v56, v3, v2, s[0:1]
; %bb.139:                              ;   in Loop: Header=BB183_43 Depth=1
	s_or_b64 exec, exec, s[10:11]
	v_lshlrev_b32_e32 v2, 16, v21
	v_mul_f32_e32 v2, v49, v2
	v_and_b32_e32 v3, 0x7f800000, v2
	v_cmp_ne_u32_e64 s[0:1], s14, v3
                                        ; implicit-def: $vgpr57
	s_and_saveexec_b64 s[10:11], s[0:1]
	s_xor_b64 s[0:1], exec, s[10:11]
; %bb.140:                              ;   in Loop: Header=BB183_43 Depth=1
	v_bfe_u32 v3, v2, 16, 1
	v_add3_u32 v57, v2, v3, s15
                                        ; implicit-def: $vgpr2
; %bb.141:                              ;   in Loop: Header=BB183_43 Depth=1
	s_andn2_saveexec_b64 s[10:11], s[0:1]
; %bb.142:                              ;   in Loop: Header=BB183_43 Depth=1
	v_or_b32_e32 v3, 0x10000, v2
	v_cmp_eq_u32_sdwa s[0:1], v2, v17 src0_sel:WORD_0 src1_sel:DWORD
	s_nop 1
	v_cndmask_b32_e64 v57, v3, v2, s[0:1]
; %bb.143:                              ;   in Loop: Header=BB183_43 Depth=1
	s_or_b64 exec, exec, s[10:11]
	global_load_dwordx4 v[2:5], v[8:9], off offset:2048
	s_waitcnt vmcnt(0)
	v_lshrrev_b32_e32 v59, 16, v2
	v_lshrrev_b32_e32 v61, 16, v3
	v_lshrrev_b32_e32 v63, 16, v4
	v_lshrrev_b32_e32 v21, 16, v5
	s_and_saveexec_b64 s[10:11], vcc
	s_cbranch_execz .LBB183_145
; %bb.144:                              ;   in Loop: Header=BB183_43 Depth=1
	v_cmp_gt_i32_e64 s[0:1], s33, v34
	s_nop 1
	v_cndmask_b32_e64 v2, 0, v2, s[0:1]
	v_cmp_gt_i32_e64 s[0:1], s33, v40
	s_nop 1
	v_cndmask_b32_e64 v59, 0, v59, s[0:1]
	;; [unrolled: 3-line block ×8, first 2 shown]
.LBB183_145:                            ;   in Loop: Header=BB183_43 Depth=1
	s_or_b64 exec, exec, s[10:11]
	v_lshlrev_b32_e32 v2, 16, v2
	v_mul_f32_e32 v2, v42, v2
	v_and_b32_e32 v58, 0x7f800000, v2
	v_cmp_ne_u32_e64 s[0:1], s14, v58
                                        ; implicit-def: $vgpr58
	s_and_saveexec_b64 s[10:11], s[0:1]
	s_xor_b64 s[0:1], exec, s[10:11]
; %bb.146:                              ;   in Loop: Header=BB183_43 Depth=1
	v_bfe_u32 v58, v2, 16, 1
	v_add3_u32 v58, v2, v58, s15
                                        ; implicit-def: $vgpr2
; %bb.147:                              ;   in Loop: Header=BB183_43 Depth=1
	s_andn2_saveexec_b64 s[10:11], s[0:1]
; %bb.148:                              ;   in Loop: Header=BB183_43 Depth=1
	v_or_b32_e32 v58, 0x10000, v2
	v_cmp_eq_u32_sdwa s[0:1], v2, v17 src0_sel:WORD_0 src1_sel:DWORD
	s_nop 1
	v_cndmask_b32_e64 v58, v58, v2, s[0:1]
; %bb.149:                              ;   in Loop: Header=BB183_43 Depth=1
	s_or_b64 exec, exec, s[10:11]
	v_lshlrev_b32_e32 v2, 16, v59
	v_mul_f32_e32 v2, v43, v2
	v_and_b32_e32 v59, 0x7f800000, v2
	v_cmp_ne_u32_e64 s[0:1], s14, v59
                                        ; implicit-def: $vgpr59
	s_and_saveexec_b64 s[10:11], s[0:1]
	s_xor_b64 s[0:1], exec, s[10:11]
; %bb.150:                              ;   in Loop: Header=BB183_43 Depth=1
	v_bfe_u32 v59, v2, 16, 1
	v_add3_u32 v59, v2, v59, s15
                                        ; implicit-def: $vgpr2
; %bb.151:                              ;   in Loop: Header=BB183_43 Depth=1
	s_andn2_saveexec_b64 s[10:11], s[0:1]
; %bb.152:                              ;   in Loop: Header=BB183_43 Depth=1
	v_or_b32_e32 v59, 0x10000, v2
	v_cmp_eq_u32_sdwa s[0:1], v2, v17 src0_sel:WORD_0 src1_sel:DWORD
	s_nop 1
	v_cndmask_b32_e64 v59, v59, v2, s[0:1]
; %bb.153:                              ;   in Loop: Header=BB183_43 Depth=1
	s_or_b64 exec, exec, s[10:11]
	v_lshlrev_b32_e32 v2, 16, v3
	v_mul_f32_e32 v2, v44, v2
	v_and_b32_e32 v3, 0x7f800000, v2
	v_cmp_ne_u32_e64 s[0:1], s14, v3
                                        ; implicit-def: $vgpr60
	s_and_saveexec_b64 s[10:11], s[0:1]
	s_xor_b64 s[0:1], exec, s[10:11]
; %bb.154:                              ;   in Loop: Header=BB183_43 Depth=1
	v_bfe_u32 v3, v2, 16, 1
	v_add3_u32 v60, v2, v3, s15
                                        ; implicit-def: $vgpr2
; %bb.155:                              ;   in Loop: Header=BB183_43 Depth=1
	s_andn2_saveexec_b64 s[10:11], s[0:1]
; %bb.156:                              ;   in Loop: Header=BB183_43 Depth=1
	v_or_b32_e32 v3, 0x10000, v2
	v_cmp_eq_u32_sdwa s[0:1], v2, v17 src0_sel:WORD_0 src1_sel:DWORD
	s_nop 1
	v_cndmask_b32_e64 v60, v3, v2, s[0:1]
; %bb.157:                              ;   in Loop: Header=BB183_43 Depth=1
	s_or_b64 exec, exec, s[10:11]
	v_lshlrev_b32_e32 v2, 16, v61
	v_mul_f32_e32 v2, v45, v2
	v_and_b32_e32 v3, 0x7f800000, v2
	v_cmp_ne_u32_e64 s[0:1], s14, v3
                                        ; implicit-def: $vgpr61
	s_and_saveexec_b64 s[10:11], s[0:1]
	s_xor_b64 s[0:1], exec, s[10:11]
; %bb.158:                              ;   in Loop: Header=BB183_43 Depth=1
	v_bfe_u32 v3, v2, 16, 1
	v_add3_u32 v61, v2, v3, s15
                                        ; implicit-def: $vgpr2
; %bb.159:                              ;   in Loop: Header=BB183_43 Depth=1
	s_andn2_saveexec_b64 s[10:11], s[0:1]
; %bb.160:                              ;   in Loop: Header=BB183_43 Depth=1
	v_or_b32_e32 v3, 0x10000, v2
	v_cmp_eq_u32_sdwa s[0:1], v2, v17 src0_sel:WORD_0 src1_sel:DWORD
	s_nop 1
	v_cndmask_b32_e64 v61, v3, v2, s[0:1]
; %bb.161:                              ;   in Loop: Header=BB183_43 Depth=1
	s_or_b64 exec, exec, s[10:11]
	v_lshlrev_b32_e32 v2, 16, v4
	v_mul_f32_e32 v2, v46, v2
	v_and_b32_e32 v3, 0x7f800000, v2
	v_cmp_ne_u32_e64 s[0:1], s14, v3
                                        ; implicit-def: $vgpr62
	s_and_saveexec_b64 s[10:11], s[0:1]
	s_xor_b64 s[0:1], exec, s[10:11]
; %bb.162:                              ;   in Loop: Header=BB183_43 Depth=1
	v_bfe_u32 v3, v2, 16, 1
	v_add3_u32 v62, v2, v3, s15
                                        ; implicit-def: $vgpr2
; %bb.163:                              ;   in Loop: Header=BB183_43 Depth=1
	s_andn2_saveexec_b64 s[10:11], s[0:1]
; %bb.164:                              ;   in Loop: Header=BB183_43 Depth=1
	v_or_b32_e32 v3, 0x10000, v2
	v_cmp_eq_u32_sdwa s[0:1], v2, v17 src0_sel:WORD_0 src1_sel:DWORD
	s_nop 1
	v_cndmask_b32_e64 v62, v3, v2, s[0:1]
; %bb.165:                              ;   in Loop: Header=BB183_43 Depth=1
	s_or_b64 exec, exec, s[10:11]
	v_lshlrev_b32_e32 v2, 16, v63
	v_mul_f32_e32 v2, v47, v2
	v_and_b32_e32 v3, 0x7f800000, v2
	v_cmp_ne_u32_e64 s[0:1], s14, v3
                                        ; implicit-def: $vgpr63
	s_and_saveexec_b64 s[10:11], s[0:1]
	s_xor_b64 s[0:1], exec, s[10:11]
; %bb.166:                              ;   in Loop: Header=BB183_43 Depth=1
	v_bfe_u32 v3, v2, 16, 1
	v_add3_u32 v63, v2, v3, s15
                                        ; implicit-def: $vgpr2
; %bb.167:                              ;   in Loop: Header=BB183_43 Depth=1
	s_andn2_saveexec_b64 s[10:11], s[0:1]
; %bb.168:                              ;   in Loop: Header=BB183_43 Depth=1
	v_or_b32_e32 v3, 0x10000, v2
	v_cmp_eq_u32_sdwa s[0:1], v2, v17 src0_sel:WORD_0 src1_sel:DWORD
	s_nop 1
	v_cndmask_b32_e64 v63, v3, v2, s[0:1]
; %bb.169:                              ;   in Loop: Header=BB183_43 Depth=1
	s_or_b64 exec, exec, s[10:11]
	v_lshlrev_b32_e32 v2, 16, v5
	v_mul_f32_e32 v2, v48, v2
	v_and_b32_e32 v3, 0x7f800000, v2
	v_cmp_ne_u32_e64 s[0:1], s14, v3
                                        ; implicit-def: $vgpr64
	s_and_saveexec_b64 s[10:11], s[0:1]
	s_xor_b64 s[0:1], exec, s[10:11]
; %bb.170:                              ;   in Loop: Header=BB183_43 Depth=1
	v_bfe_u32 v3, v2, 16, 1
	v_add3_u32 v64, v2, v3, s15
                                        ; implicit-def: $vgpr2
; %bb.171:                              ;   in Loop: Header=BB183_43 Depth=1
	s_andn2_saveexec_b64 s[10:11], s[0:1]
; %bb.172:                              ;   in Loop: Header=BB183_43 Depth=1
	v_or_b32_e32 v3, 0x10000, v2
	v_cmp_eq_u32_sdwa s[0:1], v2, v17 src0_sel:WORD_0 src1_sel:DWORD
	s_nop 1
	v_cndmask_b32_e64 v64, v3, v2, s[0:1]
; %bb.173:                              ;   in Loop: Header=BB183_43 Depth=1
	s_or_b64 exec, exec, s[10:11]
	v_lshlrev_b32_e32 v2, 16, v21
	v_mul_f32_e32 v2, v49, v2
	v_and_b32_e32 v3, 0x7f800000, v2
	v_cmp_ne_u32_e64 s[0:1], s14, v3
                                        ; implicit-def: $vgpr65
	s_and_saveexec_b64 s[10:11], s[0:1]
	s_xor_b64 s[0:1], exec, s[10:11]
; %bb.174:                              ;   in Loop: Header=BB183_43 Depth=1
	v_bfe_u32 v3, v2, 16, 1
	v_add3_u32 v65, v2, v3, s15
                                        ; implicit-def: $vgpr2
; %bb.175:                              ;   in Loop: Header=BB183_43 Depth=1
	s_andn2_saveexec_b64 s[10:11], s[0:1]
; %bb.176:                              ;   in Loop: Header=BB183_43 Depth=1
	v_or_b32_e32 v3, 0x10000, v2
	v_cmp_eq_u32_sdwa s[0:1], v2, v17 src0_sel:WORD_0 src1_sel:DWORD
	s_nop 1
	v_cndmask_b32_e64 v65, v3, v2, s[0:1]
; %bb.177:                              ;   in Loop: Header=BB183_43 Depth=1
	s_or_b64 exec, exec, s[10:11]
	global_load_dwordx4 v[2:5], v[8:9], off offset:3072
	s_waitcnt vmcnt(0)
	v_lshrrev_b32_e32 v9, 16, v2
	v_lshrrev_b32_e32 v67, 16, v3
	;; [unrolled: 1-line block ×4, first 2 shown]
	s_and_saveexec_b64 s[10:11], vcc
	s_cbranch_execz .LBB183_179
; %bb.178:                              ;   in Loop: Header=BB183_43 Depth=1
	v_cmp_gt_i32_e64 s[0:1], s33, v34
	s_nop 1
	v_cndmask_b32_e64 v2, 0, v2, s[0:1]
	v_cmp_gt_i32_e64 s[0:1], s33, v40
	s_nop 1
	v_cndmask_b32_e64 v9, 0, v9, s[0:1]
	;; [unrolled: 3-line block ×8, first 2 shown]
.LBB183_179:                            ;   in Loop: Header=BB183_43 Depth=1
	s_or_b64 exec, exec, s[10:11]
	v_lshlrev_b32_e32 v2, 16, v2
	v_mul_f32_e32 v2, v42, v2
	v_and_b32_e32 v8, 0x7f800000, v2
	v_cmp_ne_u32_e64 s[0:1], s14, v8
                                        ; implicit-def: $vgpr8
	s_and_saveexec_b64 s[10:11], s[0:1]
	s_xor_b64 s[0:1], exec, s[10:11]
; %bb.180:                              ;   in Loop: Header=BB183_43 Depth=1
	v_bfe_u32 v8, v2, 16, 1
	v_add3_u32 v8, v2, v8, s15
                                        ; implicit-def: $vgpr2
; %bb.181:                              ;   in Loop: Header=BB183_43 Depth=1
	s_andn2_saveexec_b64 s[10:11], s[0:1]
; %bb.182:                              ;   in Loop: Header=BB183_43 Depth=1
	v_or_b32_e32 v8, 0x10000, v2
	v_cmp_eq_u32_sdwa s[0:1], v2, v17 src0_sel:WORD_0 src1_sel:DWORD
	s_nop 1
	v_cndmask_b32_e64 v8, v8, v2, s[0:1]
; %bb.183:                              ;   in Loop: Header=BB183_43 Depth=1
	s_or_b64 exec, exec, s[10:11]
	v_lshlrev_b32_e32 v2, 16, v9
	v_mul_f32_e32 v2, v43, v2
	v_and_b32_e32 v9, 0x7f800000, v2
	v_cmp_ne_u32_e64 s[0:1], s14, v9
                                        ; implicit-def: $vgpr9
	s_and_saveexec_b64 s[10:11], s[0:1]
	s_xor_b64 s[0:1], exec, s[10:11]
; %bb.184:                              ;   in Loop: Header=BB183_43 Depth=1
	v_bfe_u32 v9, v2, 16, 1
	v_add3_u32 v9, v2, v9, s15
                                        ; implicit-def: $vgpr2
; %bb.185:                              ;   in Loop: Header=BB183_43 Depth=1
	s_andn2_saveexec_b64 s[10:11], s[0:1]
; %bb.186:                              ;   in Loop: Header=BB183_43 Depth=1
	v_or_b32_e32 v9, 0x10000, v2
	v_cmp_eq_u32_sdwa s[0:1], v2, v17 src0_sel:WORD_0 src1_sel:DWORD
	s_nop 1
	v_cndmask_b32_e64 v9, v9, v2, s[0:1]
; %bb.187:                              ;   in Loop: Header=BB183_43 Depth=1
	s_or_b64 exec, exec, s[10:11]
	v_lshlrev_b32_e32 v2, 16, v3
	v_mul_f32_e32 v2, v44, v2
	v_and_b32_e32 v3, 0x7f800000, v2
	v_cmp_ne_u32_e64 s[0:1], s14, v3
                                        ; implicit-def: $vgpr66
	s_and_saveexec_b64 s[10:11], s[0:1]
	s_xor_b64 s[0:1], exec, s[10:11]
; %bb.188:                              ;   in Loop: Header=BB183_43 Depth=1
	v_bfe_u32 v3, v2, 16, 1
	v_add3_u32 v66, v2, v3, s15
                                        ; implicit-def: $vgpr2
; %bb.189:                              ;   in Loop: Header=BB183_43 Depth=1
	s_andn2_saveexec_b64 s[10:11], s[0:1]
; %bb.190:                              ;   in Loop: Header=BB183_43 Depth=1
	v_or_b32_e32 v3, 0x10000, v2
	v_cmp_eq_u32_sdwa s[0:1], v2, v17 src0_sel:WORD_0 src1_sel:DWORD
	s_nop 1
	v_cndmask_b32_e64 v66, v3, v2, s[0:1]
; %bb.191:                              ;   in Loop: Header=BB183_43 Depth=1
	s_or_b64 exec, exec, s[10:11]
	v_lshlrev_b32_e32 v2, 16, v67
	v_mul_f32_e32 v2, v45, v2
	v_and_b32_e32 v3, 0x7f800000, v2
	v_cmp_ne_u32_e64 s[0:1], s14, v3
                                        ; implicit-def: $vgpr67
	s_and_saveexec_b64 s[10:11], s[0:1]
	s_xor_b64 s[0:1], exec, s[10:11]
; %bb.192:                              ;   in Loop: Header=BB183_43 Depth=1
	v_bfe_u32 v3, v2, 16, 1
	v_add3_u32 v67, v2, v3, s15
                                        ; implicit-def: $vgpr2
; %bb.193:                              ;   in Loop: Header=BB183_43 Depth=1
	s_andn2_saveexec_b64 s[10:11], s[0:1]
; %bb.194:                              ;   in Loop: Header=BB183_43 Depth=1
	v_or_b32_e32 v3, 0x10000, v2
	v_cmp_eq_u32_sdwa s[0:1], v2, v17 src0_sel:WORD_0 src1_sel:DWORD
	s_nop 1
	v_cndmask_b32_e64 v67, v3, v2, s[0:1]
; %bb.195:                              ;   in Loop: Header=BB183_43 Depth=1
	s_or_b64 exec, exec, s[10:11]
	v_lshlrev_b32_e32 v2, 16, v4
	v_mul_f32_e32 v2, v46, v2
	v_and_b32_e32 v3, 0x7f800000, v2
	v_cmp_ne_u32_e64 s[0:1], s14, v3
                                        ; implicit-def: $vgpr68
	s_and_saveexec_b64 s[10:11], s[0:1]
	s_xor_b64 s[0:1], exec, s[10:11]
; %bb.196:                              ;   in Loop: Header=BB183_43 Depth=1
	v_bfe_u32 v3, v2, 16, 1
	v_add3_u32 v68, v2, v3, s15
                                        ; implicit-def: $vgpr2
; %bb.197:                              ;   in Loop: Header=BB183_43 Depth=1
	s_andn2_saveexec_b64 s[10:11], s[0:1]
; %bb.198:                              ;   in Loop: Header=BB183_43 Depth=1
	v_or_b32_e32 v3, 0x10000, v2
	v_cmp_eq_u32_sdwa s[0:1], v2, v17 src0_sel:WORD_0 src1_sel:DWORD
	s_nop 1
	v_cndmask_b32_e64 v68, v3, v2, s[0:1]
; %bb.199:                              ;   in Loop: Header=BB183_43 Depth=1
	s_or_b64 exec, exec, s[10:11]
	v_lshlrev_b32_e32 v2, 16, v69
	v_mul_f32_e32 v2, v47, v2
	v_and_b32_e32 v3, 0x7f800000, v2
	v_cmp_ne_u32_e64 s[0:1], s14, v3
                                        ; implicit-def: $vgpr69
	s_and_saveexec_b64 s[10:11], s[0:1]
	s_xor_b64 s[0:1], exec, s[10:11]
; %bb.200:                              ;   in Loop: Header=BB183_43 Depth=1
	v_bfe_u32 v3, v2, 16, 1
	v_add3_u32 v69, v2, v3, s15
                                        ; implicit-def: $vgpr2
; %bb.201:                              ;   in Loop: Header=BB183_43 Depth=1
	s_andn2_saveexec_b64 s[10:11], s[0:1]
; %bb.202:                              ;   in Loop: Header=BB183_43 Depth=1
	v_or_b32_e32 v3, 0x10000, v2
	v_cmp_eq_u32_sdwa s[0:1], v2, v17 src0_sel:WORD_0 src1_sel:DWORD
	s_nop 1
	v_cndmask_b32_e64 v69, v3, v2, s[0:1]
; %bb.203:                              ;   in Loop: Header=BB183_43 Depth=1
	s_or_b64 exec, exec, s[10:11]
	v_lshlrev_b32_e32 v2, 16, v5
	v_mul_f32_e32 v2, v48, v2
	v_and_b32_e32 v3, 0x7f800000, v2
	v_cmp_ne_u32_e64 s[0:1], s14, v3
                                        ; implicit-def: $vgpr70
	s_and_saveexec_b64 s[10:11], s[0:1]
	s_xor_b64 s[0:1], exec, s[10:11]
; %bb.204:                              ;   in Loop: Header=BB183_43 Depth=1
	v_bfe_u32 v3, v2, 16, 1
	v_add3_u32 v70, v2, v3, s15
                                        ; implicit-def: $vgpr2
; %bb.205:                              ;   in Loop: Header=BB183_43 Depth=1
	s_andn2_saveexec_b64 s[10:11], s[0:1]
; %bb.206:                              ;   in Loop: Header=BB183_43 Depth=1
	v_or_b32_e32 v3, 0x10000, v2
	v_cmp_eq_u32_sdwa s[0:1], v2, v17 src0_sel:WORD_0 src1_sel:DWORD
	s_nop 1
	v_cndmask_b32_e64 v70, v3, v2, s[0:1]
; %bb.207:                              ;   in Loop: Header=BB183_43 Depth=1
	s_or_b64 exec, exec, s[10:11]
	v_lshlrev_b32_e32 v2, 16, v21
	v_mul_f32_e32 v2, v49, v2
	v_and_b32_e32 v3, 0x7f800000, v2
	v_cmp_ne_u32_e64 s[0:1], s14, v3
                                        ; implicit-def: $vgpr71
	s_and_saveexec_b64 s[10:11], s[0:1]
	s_xor_b64 s[0:1], exec, s[10:11]
; %bb.208:                              ;   in Loop: Header=BB183_43 Depth=1
	v_bfe_u32 v3, v2, 16, 1
	v_add3_u32 v71, v2, v3, s15
                                        ; implicit-def: $vgpr2
; %bb.209:                              ;   in Loop: Header=BB183_43 Depth=1
	s_andn2_saveexec_b64 s[10:11], s[0:1]
; %bb.210:                              ;   in Loop: Header=BB183_43 Depth=1
	v_or_b32_e32 v3, 0x10000, v2
	v_cmp_eq_u32_sdwa s[0:1], v2, v17 src0_sel:WORD_0 src1_sel:DWORD
	s_nop 1
	v_cndmask_b32_e64 v71, v3, v2, s[0:1]
; %bb.211:                              ;   in Loop: Header=BB183_43 Depth=1
	s_or_b64 exec, exec, s[10:11]
	v_mov_b32_e32 v21, v17
	v_lshl_add_u64 v[2:3], v[6:7], 0, v[20:21]
	global_load_dwordx4 v[2:5], v[2:3], off
	s_waitcnt vmcnt(0)
	v_lshrrev_b32_e32 v6, 16, v2
	v_lshrrev_b32_e32 v21, 16, v3
	;; [unrolled: 1-line block ×4, first 2 shown]
	s_and_saveexec_b64 s[0:1], vcc
	s_cbranch_execz .LBB183_213
; %bb.212:                              ;   in Loop: Header=BB183_43 Depth=1
	v_cmp_gt_i32_e32 vcc, s33, v34
	s_nop 1
	v_cndmask_b32_e32 v2, 0, v2, vcc
	v_cmp_gt_i32_e32 vcc, s33, v40
	s_nop 1
	v_cndmask_b32_e32 v6, 0, v6, vcc
	v_cmp_gt_i32_e32 vcc, s33, v38
	s_nop 1
	v_cndmask_b32_e32 v3, 0, v3, vcc
	v_cmp_gt_i32_e32 vcc, s33, v37
	s_nop 1
	v_cndmask_b32_e32 v21, 0, v21, vcc
	v_cmp_gt_i32_e32 vcc, s33, v36
	s_nop 1
	v_cndmask_b32_e32 v4, 0, v4, vcc
	v_cmp_gt_i32_e32 vcc, s33, v35
	s_nop 1
	v_cndmask_b32_e32 v72, 0, v72, vcc
	v_cmp_gt_i32_e32 vcc, s33, v39
	s_nop 1
	v_cndmask_b32_e32 v5, 0, v5, vcc
	v_cmp_gt_i32_e32 vcc, s33, v26
	s_nop 1
	v_cndmask_b32_e32 v7, 0, v7, vcc
.LBB183_213:                            ;   in Loop: Header=BB183_43 Depth=1
	s_or_b64 exec, exec, s[0:1]
	v_lshlrev_b32_e32 v2, 16, v2
	v_mul_f32_e32 v34, v42, v2
	v_and_b32_e32 v2, 0x7f800000, v34
	v_cmp_ne_u32_e32 vcc, s14, v2
                                        ; implicit-def: $vgpr2
	s_and_saveexec_b64 s[0:1], vcc
	s_xor_b64 s[0:1], exec, s[0:1]
; %bb.214:                              ;   in Loop: Header=BB183_43 Depth=1
	v_bfe_u32 v2, v34, 16, 1
	v_add3_u32 v2, v34, v2, s15
                                        ; implicit-def: $vgpr34
; %bb.215:                              ;   in Loop: Header=BB183_43 Depth=1
	s_andn2_saveexec_b64 s[0:1], s[0:1]
; %bb.216:                              ;   in Loop: Header=BB183_43 Depth=1
	v_or_b32_e32 v2, 0x10000, v34
	v_cmp_eq_u32_sdwa vcc, v34, v17 src0_sel:WORD_0 src1_sel:DWORD
	s_nop 1
	v_cndmask_b32_e32 v2, v2, v34, vcc
; %bb.217:                              ;   in Loop: Header=BB183_43 Depth=1
	s_or_b64 exec, exec, s[0:1]
	v_lshlrev_b32_e32 v6, 16, v6
	v_mul_f32_e32 v34, v43, v6
	v_and_b32_e32 v6, 0x7f800000, v34
	v_cmp_ne_u32_e32 vcc, s14, v6
                                        ; implicit-def: $vgpr6
	s_and_saveexec_b64 s[0:1], vcc
	s_xor_b64 s[0:1], exec, s[0:1]
; %bb.218:                              ;   in Loop: Header=BB183_43 Depth=1
	v_bfe_u32 v6, v34, 16, 1
	v_add3_u32 v6, v34, v6, s15
                                        ; implicit-def: $vgpr34
; %bb.219:                              ;   in Loop: Header=BB183_43 Depth=1
	s_andn2_saveexec_b64 s[0:1], s[0:1]
; %bb.220:                              ;   in Loop: Header=BB183_43 Depth=1
	v_or_b32_e32 v6, 0x10000, v34
	v_cmp_eq_u32_sdwa vcc, v34, v17 src0_sel:WORD_0 src1_sel:DWORD
	s_nop 1
	v_cndmask_b32_e32 v6, v6, v34, vcc
; %bb.221:                              ;   in Loop: Header=BB183_43 Depth=1
	s_or_b64 exec, exec, s[0:1]
	v_lshlrev_b32_e32 v3, 16, v3
	v_mul_f32_e32 v34, v44, v3
	v_and_b32_e32 v3, 0x7f800000, v34
	v_cmp_ne_u32_e32 vcc, s14, v3
                                        ; implicit-def: $vgpr3
	s_and_saveexec_b64 s[0:1], vcc
	s_xor_b64 s[0:1], exec, s[0:1]
; %bb.222:                              ;   in Loop: Header=BB183_43 Depth=1
	v_bfe_u32 v3, v34, 16, 1
	v_add3_u32 v3, v34, v3, s15
                                        ; implicit-def: $vgpr34
; %bb.223:                              ;   in Loop: Header=BB183_43 Depth=1
	s_andn2_saveexec_b64 s[0:1], s[0:1]
; %bb.224:                              ;   in Loop: Header=BB183_43 Depth=1
	v_or_b32_e32 v3, 0x10000, v34
	v_cmp_eq_u32_sdwa vcc, v34, v17 src0_sel:WORD_0 src1_sel:DWORD
	s_nop 1
	v_cndmask_b32_e32 v3, v3, v34, vcc
; %bb.225:                              ;   in Loop: Header=BB183_43 Depth=1
	s_or_b64 exec, exec, s[0:1]
	v_lshlrev_b32_e32 v21, 16, v21
	v_mul_f32_e32 v34, v45, v21
	v_and_b32_e32 v21, 0x7f800000, v34
	v_cmp_ne_u32_e32 vcc, s14, v21
                                        ; implicit-def: $vgpr21
	s_and_saveexec_b64 s[0:1], vcc
	s_xor_b64 s[0:1], exec, s[0:1]
; %bb.226:                              ;   in Loop: Header=BB183_43 Depth=1
	v_bfe_u32 v21, v34, 16, 1
	v_add3_u32 v21, v34, v21, s15
                                        ; implicit-def: $vgpr34
; %bb.227:                              ;   in Loop: Header=BB183_43 Depth=1
	s_andn2_saveexec_b64 s[0:1], s[0:1]
; %bb.228:                              ;   in Loop: Header=BB183_43 Depth=1
	v_or_b32_e32 v21, 0x10000, v34
	v_cmp_eq_u32_sdwa vcc, v34, v17 src0_sel:WORD_0 src1_sel:DWORD
	s_nop 1
	v_cndmask_b32_e32 v21, v21, v34, vcc
; %bb.229:                              ;   in Loop: Header=BB183_43 Depth=1
	s_or_b64 exec, exec, s[0:1]
	v_lshlrev_b32_e32 v4, 16, v4
	v_mul_f32_e32 v34, v46, v4
	v_and_b32_e32 v4, 0x7f800000, v34
	v_cmp_ne_u32_e32 vcc, s14, v4
                                        ; implicit-def: $vgpr4
	s_and_saveexec_b64 s[0:1], vcc
	s_xor_b64 s[0:1], exec, s[0:1]
; %bb.230:                              ;   in Loop: Header=BB183_43 Depth=1
	v_bfe_u32 v4, v34, 16, 1
	v_add3_u32 v4, v34, v4, s15
                                        ; implicit-def: $vgpr34
; %bb.231:                              ;   in Loop: Header=BB183_43 Depth=1
	s_andn2_saveexec_b64 s[0:1], s[0:1]
; %bb.232:                              ;   in Loop: Header=BB183_43 Depth=1
	v_or_b32_e32 v4, 0x10000, v34
	v_cmp_eq_u32_sdwa vcc, v34, v17 src0_sel:WORD_0 src1_sel:DWORD
	s_nop 1
	v_cndmask_b32_e32 v4, v4, v34, vcc
; %bb.233:                              ;   in Loop: Header=BB183_43 Depth=1
	s_or_b64 exec, exec, s[0:1]
	v_lshlrev_b32_e32 v34, 16, v72
	v_mul_f32_e32 v35, v47, v34
	v_and_b32_e32 v34, 0x7f800000, v35
	v_cmp_ne_u32_e32 vcc, s14, v34
                                        ; implicit-def: $vgpr34
	s_and_saveexec_b64 s[0:1], vcc
	s_xor_b64 s[0:1], exec, s[0:1]
; %bb.234:                              ;   in Loop: Header=BB183_43 Depth=1
	v_bfe_u32 v34, v35, 16, 1
	v_add3_u32 v34, v35, v34, s15
                                        ; implicit-def: $vgpr35
; %bb.235:                              ;   in Loop: Header=BB183_43 Depth=1
	s_andn2_saveexec_b64 s[0:1], s[0:1]
; %bb.236:                              ;   in Loop: Header=BB183_43 Depth=1
	v_or_b32_e32 v34, 0x10000, v35
	v_cmp_eq_u32_sdwa vcc, v35, v17 src0_sel:WORD_0 src1_sel:DWORD
	s_nop 1
	v_cndmask_b32_e32 v34, v34, v35, vcc
; %bb.237:                              ;   in Loop: Header=BB183_43 Depth=1
	s_or_b64 exec, exec, s[0:1]
	v_lshlrev_b32_e32 v5, 16, v5
	v_mul_f32_e32 v35, v48, v5
	v_and_b32_e32 v5, 0x7f800000, v35
	v_cmp_ne_u32_e32 vcc, s14, v5
                                        ; implicit-def: $vgpr5
	s_and_saveexec_b64 s[0:1], vcc
	s_xor_b64 s[0:1], exec, s[0:1]
; %bb.238:                              ;   in Loop: Header=BB183_43 Depth=1
	v_bfe_u32 v5, v35, 16, 1
	v_add3_u32 v5, v35, v5, s15
                                        ; implicit-def: $vgpr35
; %bb.239:                              ;   in Loop: Header=BB183_43 Depth=1
	s_andn2_saveexec_b64 s[0:1], s[0:1]
; %bb.240:                              ;   in Loop: Header=BB183_43 Depth=1
	v_or_b32_e32 v5, 0x10000, v35
	v_cmp_eq_u32_sdwa vcc, v35, v17 src0_sel:WORD_0 src1_sel:DWORD
	s_nop 1
	v_cndmask_b32_e32 v5, v5, v35, vcc
; %bb.241:                              ;   in Loop: Header=BB183_43 Depth=1
	s_or_b64 exec, exec, s[0:1]
	v_lshlrev_b32_e32 v7, 16, v7
	v_mul_f32_e32 v35, v49, v7
	v_and_b32_e32 v7, 0x7f800000, v35
	v_cmp_ne_u32_e32 vcc, s14, v7
                                        ; implicit-def: $vgpr7
	s_and_saveexec_b64 s[0:1], vcc
	s_xor_b64 s[0:1], exec, s[0:1]
; %bb.242:                              ;   in Loop: Header=BB183_43 Depth=1
	v_bfe_u32 v7, v35, 16, 1
	v_add3_u32 v7, v35, v7, s15
                                        ; implicit-def: $vgpr35
; %bb.243:                              ;   in Loop: Header=BB183_43 Depth=1
	s_andn2_saveexec_b64 s[0:1], s[0:1]
	s_cbranch_execz .LBB183_42
; %bb.244:                              ;   in Loop: Header=BB183_43 Depth=1
	v_or_b32_e32 v7, 0x10000, v35
	v_cmp_eq_u32_sdwa vcc, v35, v17 src0_sel:WORD_0 src1_sel:DWORD
	s_nop 1
	v_cndmask_b32_e32 v7, v7, v35, vcc
	s_branch .LBB183_42
.LBB183_245:
	s_or_b64 exec, exec, s[8:9]
.LBB183_246:
	s_or_b64 exec, exec, s[2:3]
	ds_bpermute_b32 v2, v22, v14
	ds_bpermute_b32 v3, v22, v15
	;; [unrolled: 1-line block ×5, first 2 shown]
	s_waitcnt lgkmcnt(0)
	v_pk_add_f32 v[2:3], v[14:15], v[2:3]
	ds_bpermute_b32 v6, v23, v2
	v_pk_add_f32 v[4:5], v[12:13], v[4:5]
	ds_bpermute_b32 v7, v23, v3
	ds_bpermute_b32 v8, v23, v4
	;; [unrolled: 1-line block ×3, first 2 shown]
	v_add_f32_e32 v10, v25, v10
	ds_bpermute_b32 v11, v23, v10
	s_waitcnt lgkmcnt(3)
	v_pk_add_f32 v[6:7], v[2:3], v[6:7]
	s_barrier
	s_waitcnt lgkmcnt(1)
	v_pk_add_f32 v[2:3], v[4:5], v[8:9]
	v_and_b32_e32 v5, 0x3c3, v0
	s_waitcnt lgkmcnt(0)
	v_add_f32_e32 v4, v10, v11
	v_cmp_eq_u32_e32 vcc, 64, v5
	s_and_saveexec_b64 s[0:1], vcc
	s_cbranch_execz .LBB183_248
; %bb.247:
	v_add_u32_e32 v1, 0xb0, v1
	ds_write2_b32 v1, v6, v7 offset1:16
	ds_write2_b32 v1, v2, v3 offset0:32 offset1:48
	ds_write_b32 v1, v4 offset:256
.LBB183_248:
	s_or_b64 exec, exec, s[0:1]
	v_cmp_gt_u32_e32 vcc, 64, v0
	s_waitcnt lgkmcnt(0)
	s_barrier
	s_and_saveexec_b64 s[2:3], vcc
	s_cbranch_execz .LBB183_256
; %bb.249:
	v_cmp_eq_u32_e64 s[0:1], 0, v24
	v_lshrrev_b32_e32 v1, 2, v0
	s_and_saveexec_b64 s[6:7], s[0:1]
	s_cbranch_execnz .LBB183_280
; %bb.250:
	s_or_b64 exec, exec, s[6:7]
	s_and_saveexec_b64 s[6:7], s[0:1]
	s_cbranch_execnz .LBB183_281
.LBB183_251:
	s_or_b64 exec, exec, s[6:7]
	s_and_saveexec_b64 s[6:7], s[0:1]
	s_cbranch_execnz .LBB183_282
.LBB183_252:
	s_or_b64 exec, exec, s[6:7]
	s_and_saveexec_b64 s[6:7], s[0:1]
	s_cbranch_execnz .LBB183_283
.LBB183_253:
	s_or_b64 exec, exec, s[6:7]
	s_and_saveexec_b64 s[6:7], s[0:1]
	s_cbranch_execz .LBB183_255
.LBB183_254:
	v_mov_b32_e32 v5, 0xb0
	v_lshl_add_u32 v1, v1, 2, v5
	ds_read_b32 v1, v1 offset:256
	s_waitcnt lgkmcnt(0)
	v_add_f32_e32 v4, v4, v1
.LBB183_255:
	s_or_b64 exec, exec, s[6:7]
.LBB183_256:
	s_or_b64 exec, exec, s[2:3]
	s_barrier
	s_and_saveexec_b64 s[0:1], vcc
	s_cbranch_execz .LBB183_279
; %bb.257:
	v_cmp_eq_u32_e32 vcc, 0, v24
	s_and_b64 exec, exec, vcc
	s_cbranch_execz .LBB183_279
; %bb.258:
	s_mov_b32 s0, 0x7f800000
	v_and_b32_e32 v1, 0x7f800000, v6
	v_cmp_ne_u32_e32 vcc, s0, v1
                                        ; implicit-def: $vgpr5
	s_and_saveexec_b64 s[0:1], vcc
	s_xor_b64 s[0:1], exec, s[0:1]
; %bb.259:
	v_bfe_u32 v1, v6, 16, 1
	s_movk_i32 s2, 0x7fff
	v_add3_u32 v5, v6, v1, s2
; %bb.260:
	s_andn2_saveexec_b64 s[0:1], s[0:1]
; %bb.261:
	v_mov_b32_e32 v1, 0
	v_or_b32_e32 v5, 0x10000, v6
	v_cmp_eq_u32_sdwa vcc, v6, v1 src0_sel:WORD_0 src1_sel:DWORD
	s_nop 1
	v_cndmask_b32_e32 v5, v5, v6, vcc
; %bb.262:
	s_or_b64 exec, exec, s[0:1]
	s_mul_i32 s0, s12, s20
	s_mul_i32 s0, s0, s21
	s_mulk_i32 s0, 0x50
	s_ashr_i32 s1, s0, 31
	s_lshl_b64 s[0:1], s[0:1], 1
	s_add_u32 s2, s24, s0
	s_mul_i32 s0, s12, s22
	s_addc_u32 s3, s25, s1
	s_ashr_i32 s1, s0, 31
	s_lshl_b64 s[0:1], s[0:1], 1
	s_add_u32 s2, s2, s0
	s_mul_i32 s0, s4, 0x50
	s_addc_u32 s3, s3, s1
	s_ashr_i32 s1, s0, 31
	s_lshl_b64 s[0:1], s[0:1], 1
	s_add_u32 s0, s2, s0
	v_lshrrev_b32_e32 v0, 1, v0
	s_addc_u32 s1, s3, s1
	v_and_b32_e32 v0, 0x1fe, v0
	global_store_short_d16_hi v0, v5, s[0:1]
	s_mov_b32 s2, 0x7f800000
	v_and_b32_e32 v5, 0x7f800000, v7
	v_mov_b32_e32 v1, 0
	v_cmp_ne_u32_e32 vcc, s2, v5
                                        ; implicit-def: $vgpr5
	s_and_saveexec_b64 s[2:3], vcc
	s_xor_b64 s[2:3], exec, s[2:3]
; %bb.263:
	v_bfe_u32 v5, v7, 16, 1
	s_movk_i32 s4, 0x7fff
	v_add3_u32 v5, v7, v5, s4
; %bb.264:
	s_or_saveexec_b64 s[2:3], s[2:3]
	v_lshl_add_u64 v[8:9], s[0:1], 0, v[0:1]
	s_xor_b64 exec, exec, s[2:3]
; %bb.265:
	v_mov_b32_e32 v0, 0
	v_or_b32_e32 v1, 0x10000, v7
	v_cmp_eq_u32_sdwa vcc, v7, v0 src0_sel:WORD_0 src1_sel:DWORD
	s_nop 1
	v_cndmask_b32_e32 v5, v1, v7, vcc
; %bb.266:
	s_or_b64 exec, exec, s[2:3]
	s_mov_b32 s0, 0x7f800000
	v_and_b32_e32 v0, 0x7f800000, v2
	v_cmp_ne_u32_e32 vcc, s0, v0
	global_store_short_d16_hi v[8:9], v5, off offset:32
                                        ; implicit-def: $vgpr0
	s_and_saveexec_b64 s[0:1], vcc
	s_xor_b64 s[0:1], exec, s[0:1]
; %bb.267:
	v_bfe_u32 v0, v2, 16, 1
	s_movk_i32 s2, 0x7fff
	v_add3_u32 v0, v2, v0, s2
; %bb.268:
	s_andn2_saveexec_b64 s[0:1], s[0:1]
; %bb.269:
	v_mov_b32_e32 v0, 0
	v_or_b32_e32 v1, 0x10000, v2
	v_cmp_eq_u32_sdwa vcc, v2, v0 src0_sel:WORD_0 src1_sel:DWORD
	s_nop 1
	v_cndmask_b32_e32 v0, v1, v2, vcc
; %bb.270:
	s_or_b64 exec, exec, s[0:1]
	global_store_short_d16_hi v[8:9], v0, off offset:64
	s_mov_b32 s0, 0x7f800000
	v_and_b32_e32 v0, 0x7f800000, v3
	v_cmp_ne_u32_e32 vcc, s0, v0
                                        ; implicit-def: $vgpr0
	s_and_saveexec_b64 s[0:1], vcc
	s_xor_b64 s[0:1], exec, s[0:1]
; %bb.271:
	v_bfe_u32 v0, v3, 16, 1
	s_movk_i32 s2, 0x7fff
	v_add3_u32 v0, v3, v0, s2
; %bb.272:
	s_andn2_saveexec_b64 s[0:1], s[0:1]
; %bb.273:
	v_mov_b32_e32 v0, 0
	v_or_b32_e32 v1, 0x10000, v3
	v_cmp_eq_u32_sdwa vcc, v3, v0 src0_sel:WORD_0 src1_sel:DWORD
	s_nop 1
	v_cndmask_b32_e32 v0, v1, v3, vcc
; %bb.274:
	s_or_b64 exec, exec, s[0:1]
	global_store_short_d16_hi v[8:9], v0, off offset:96
	s_mov_b32 s0, 0x7f800000
	v_and_b32_e32 v0, 0x7f800000, v4
	v_cmp_ne_u32_e32 vcc, s0, v0
                                        ; implicit-def: $vgpr5
	s_and_saveexec_b64 s[0:1], vcc
	s_xor_b64 s[0:1], exec, s[0:1]
; %bb.275:
	v_bfe_u32 v0, v4, 16, 1
	s_movk_i32 s2, 0x7fff
	v_add3_u32 v5, v4, v0, s2
                                        ; implicit-def: $vgpr0_vgpr1_vgpr2_vgpr3_vgpr4
; %bb.276:
	s_andn2_saveexec_b64 s[0:1], s[0:1]
; %bb.277:
	v_mov_b32_e32 v0, 0
	v_or_b32_e32 v1, 0x10000, v4
	v_cmp_eq_u32_sdwa vcc, v4, v0 src0_sel:WORD_0 src1_sel:DWORD
	s_nop 1
	v_cndmask_b32_e32 v5, v1, v4, vcc
; %bb.278:
	s_or_b64 exec, exec, s[0:1]
	global_store_short_d16_hi v[8:9], v5, off offset:128
.LBB183_279:
	s_endpgm
.LBB183_280:
	v_mov_b32_e32 v5, 0xb0
	v_lshl_add_u32 v5, v1, 2, v5
	ds_read_b32 v5, v5
	s_waitcnt lgkmcnt(0)
	v_add_f32_e32 v6, v6, v5
	s_or_b64 exec, exec, s[6:7]
	s_and_saveexec_b64 s[6:7], s[0:1]
	s_cbranch_execz .LBB183_251
.LBB183_281:
	v_mov_b32_e32 v5, 0xb0
	v_lshl_add_u32 v5, v1, 2, v5
	ds_read_b32 v5, v5 offset:64
	s_waitcnt lgkmcnt(0)
	v_add_f32_e32 v7, v7, v5
	s_or_b64 exec, exec, s[6:7]
	s_and_saveexec_b64 s[6:7], s[0:1]
	s_cbranch_execz .LBB183_252
.LBB183_282:
	v_mov_b32_e32 v5, 0xb0
	v_lshl_add_u32 v5, v1, 2, v5
	ds_read_b32 v5, v5 offset:128
	s_waitcnt lgkmcnt(0)
	v_add_f32_e32 v2, v2, v5
	s_or_b64 exec, exec, s[6:7]
	s_and_saveexec_b64 s[6:7], s[0:1]
	s_cbranch_execz .LBB183_253
.LBB183_283:
	v_mov_b32_e32 v5, 0xb0
	v_lshl_add_u32 v5, v1, 2, v5
	ds_read_b32 v5, v5 offset:192
	s_waitcnt lgkmcnt(0)
	v_add_f32_e32 v3, v3, v5
	s_or_b64 exec, exec, s[6:7]
	s_and_saveexec_b64 s[6:7], s[0:1]
	s_cbranch_execnz .LBB183_254
	s_branch .LBB183_255
	.section	.rodata,"a",@progbits
	.p2align	6, 0x0
	.amdhsa_kernel _ZN4vllm25paged_attention_v2_kernelI14__hip_bfloat16S1_Li80ELi32ELi128ELNS_18Fp8KVCacheDataTypeE0ELb0ELi512EEEvPfS3_PT_PKS4_PKT0_SA_ifPKiSC_iPKfiiiSE_SE_iiiii
		.amdhsa_group_segment_fixed_size 176
		.amdhsa_private_segment_fixed_size 0
		.amdhsa_kernarg_size 400
		.amdhsa_user_sgpr_count 2
		.amdhsa_user_sgpr_dispatch_ptr 0
		.amdhsa_user_sgpr_queue_ptr 0
		.amdhsa_user_sgpr_kernarg_segment_ptr 1
		.amdhsa_user_sgpr_dispatch_id 0
		.amdhsa_user_sgpr_kernarg_preload_length 0
		.amdhsa_user_sgpr_kernarg_preload_offset 0
		.amdhsa_user_sgpr_private_segment_size 0
		.amdhsa_uses_dynamic_stack 0
		.amdhsa_enable_private_segment 0
		.amdhsa_system_sgpr_workgroup_id_x 1
		.amdhsa_system_sgpr_workgroup_id_y 1
		.amdhsa_system_sgpr_workgroup_id_z 1
		.amdhsa_system_sgpr_workgroup_info 0
		.amdhsa_system_vgpr_workitem_id 0
		.amdhsa_next_free_vgpr 96
		.amdhsa_next_free_sgpr 43
		.amdhsa_accum_offset 96
		.amdhsa_reserve_vcc 1
		.amdhsa_float_round_mode_32 0
		.amdhsa_float_round_mode_16_64 0
		.amdhsa_float_denorm_mode_32 3
		.amdhsa_float_denorm_mode_16_64 3
		.amdhsa_dx10_clamp 1
		.amdhsa_ieee_mode 1
		.amdhsa_fp16_overflow 0
		.amdhsa_tg_split 0
		.amdhsa_exception_fp_ieee_invalid_op 0
		.amdhsa_exception_fp_denorm_src 0
		.amdhsa_exception_fp_ieee_div_zero 0
		.amdhsa_exception_fp_ieee_overflow 0
		.amdhsa_exception_fp_ieee_underflow 0
		.amdhsa_exception_fp_ieee_inexact 0
		.amdhsa_exception_int_div_zero 0
	.end_amdhsa_kernel
	.section	.text._ZN4vllm25paged_attention_v2_kernelI14__hip_bfloat16S1_Li80ELi32ELi128ELNS_18Fp8KVCacheDataTypeE0ELb0ELi512EEEvPfS3_PT_PKS4_PKT0_SA_ifPKiSC_iPKfiiiSE_SE_iiiii,"axG",@progbits,_ZN4vllm25paged_attention_v2_kernelI14__hip_bfloat16S1_Li80ELi32ELi128ELNS_18Fp8KVCacheDataTypeE0ELb0ELi512EEEvPfS3_PT_PKS4_PKT0_SA_ifPKiSC_iPKfiiiSE_SE_iiiii,comdat
.Lfunc_end183:
	.size	_ZN4vllm25paged_attention_v2_kernelI14__hip_bfloat16S1_Li80ELi32ELi128ELNS_18Fp8KVCacheDataTypeE0ELb0ELi512EEEvPfS3_PT_PKS4_PKT0_SA_ifPKiSC_iPKfiiiSE_SE_iiiii, .Lfunc_end183-_ZN4vllm25paged_attention_v2_kernelI14__hip_bfloat16S1_Li80ELi32ELi128ELNS_18Fp8KVCacheDataTypeE0ELb0ELi512EEEvPfS3_PT_PKS4_PKT0_SA_ifPKiSC_iPKfiiiSE_SE_iiiii
                                        ; -- End function
	.section	.AMDGPU.csdata,"",@progbits
; Kernel info:
; codeLenInByte = 10132
; NumSgprs: 49
; NumVgprs: 96
; NumAgprs: 0
; TotalNumVgprs: 96
; ScratchSize: 0
; MemoryBound: 0
; FloatMode: 240
; IeeeMode: 1
; LDSByteSize: 176 bytes/workgroup (compile time only)
; SGPRBlocks: 6
; VGPRBlocks: 11
; NumSGPRsForWavesPerEU: 49
; NumVGPRsForWavesPerEU: 96
; AccumOffset: 96
; Occupancy: 5
; WaveLimiterHint : 1
; COMPUTE_PGM_RSRC2:SCRATCH_EN: 0
; COMPUTE_PGM_RSRC2:USER_SGPR: 2
; COMPUTE_PGM_RSRC2:TRAP_HANDLER: 0
; COMPUTE_PGM_RSRC2:TGID_X_EN: 1
; COMPUTE_PGM_RSRC2:TGID_Y_EN: 1
; COMPUTE_PGM_RSRC2:TGID_Z_EN: 1
; COMPUTE_PGM_RSRC2:TIDIG_COMP_CNT: 0
; COMPUTE_PGM_RSRC3_GFX90A:ACCUM_OFFSET: 23
; COMPUTE_PGM_RSRC3_GFX90A:TG_SPLIT: 0
	.section	.text._ZN4vllm25paged_attention_v2_kernelI14__hip_bfloat16S1_Li96ELi32ELi128ELNS_18Fp8KVCacheDataTypeE0ELb0ELi512EEEvPfS3_PT_PKS4_PKT0_SA_ifPKiSC_iPKfiiiSE_SE_iiiii,"axG",@progbits,_ZN4vllm25paged_attention_v2_kernelI14__hip_bfloat16S1_Li96ELi32ELi128ELNS_18Fp8KVCacheDataTypeE0ELb0ELi512EEEvPfS3_PT_PKS4_PKT0_SA_ifPKiSC_iPKfiiiSE_SE_iiiii,comdat
	.protected	_ZN4vllm25paged_attention_v2_kernelI14__hip_bfloat16S1_Li96ELi32ELi128ELNS_18Fp8KVCacheDataTypeE0ELb0ELi512EEEvPfS3_PT_PKS4_PKT0_SA_ifPKiSC_iPKfiiiSE_SE_iiiii ; -- Begin function _ZN4vllm25paged_attention_v2_kernelI14__hip_bfloat16S1_Li96ELi32ELi128ELNS_18Fp8KVCacheDataTypeE0ELb0ELi512EEEvPfS3_PT_PKS4_PKT0_SA_ifPKiSC_iPKfiiiSE_SE_iiiii
	.globl	_ZN4vllm25paged_attention_v2_kernelI14__hip_bfloat16S1_Li96ELi32ELi128ELNS_18Fp8KVCacheDataTypeE0ELb0ELi512EEEvPfS3_PT_PKS4_PKT0_SA_ifPKiSC_iPKfiiiSE_SE_iiiii
	.p2align	8
	.type	_ZN4vllm25paged_attention_v2_kernelI14__hip_bfloat16S1_Li96ELi32ELi128ELNS_18Fp8KVCacheDataTypeE0ELb0ELi512EEEvPfS3_PT_PKS4_PKT0_SA_ifPKiSC_iPKfiiiSE_SE_iiiii,@function
_ZN4vllm25paged_attention_v2_kernelI14__hip_bfloat16S1_Li96ELi32ELi128ELNS_18Fp8KVCacheDataTypeE0ELb0ELi512EEEvPfS3_PT_PKS4_PKT0_SA_ifPKiSC_iPKfiiiSE_SE_iiiii: ; @_ZN4vllm25paged_attention_v2_kernelI14__hip_bfloat16S1_Li96ELi32ELi128ELNS_18Fp8KVCacheDataTypeE0ELb0ELi512EEEvPfS3_PT_PKS4_PKT0_SA_ifPKiSC_iPKfiiiSE_SE_iiiii
; %bb.0:
	s_load_dwordx2 s[6:7], s[0:1], 0x40
	s_mov_b32 s20, s3
	s_ashr_i32 s21, s3, 31
	s_lshl_b64 s[8:9], s[20:21], 2
	s_waitcnt lgkmcnt(0)
	s_add_u32 s6, s6, s8
	s_addc_u32 s7, s7, s9
	s_load_dword s33, s[6:7], 0x0
	s_lshl_b32 s40, s4, 9
	s_waitcnt lgkmcnt(0)
	s_cmp_ge_i32 s40, s33
	s_cbranch_scc1 .LBB184_318
; %bb.1:
	s_load_dword s21, s[0:1], 0x90
	s_load_dwordx2 s[10:11], s[0:1], 0x30
	s_waitcnt lgkmcnt(0)
	s_abs_i32 s6, s21
	s_abs_i32 s3, s10
	v_cvt_f32_u32_e32 v1, s3
	s_sub_i32 s7, 0, s3
	s_xor_b32 s5, s21, s10
	s_ashr_i32 s5, s5, 31
	v_rcp_iflag_f32_e32 v1, v1
	s_nop 0
	v_mul_f32_e32 v1, 0x4f7ffffe, v1
	v_cvt_u32_f32_e32 v1, v1
	s_nop 0
	v_readfirstlane_b32 s8, v1
	s_mul_i32 s7, s7, s8
	s_mul_hi_u32 s7, s8, s7
	s_add_i32 s8, s8, s7
	s_mul_hi_u32 s7, s6, s8
	s_mul_i32 s8, s7, s3
	s_sub_i32 s6, s6, s8
	s_add_i32 s9, s7, 1
	s_sub_i32 s8, s6, s3
	s_cmp_ge_u32 s6, s3
	s_cselect_b32 s7, s9, s7
	s_cselect_b32 s6, s8, s6
	s_add_i32 s8, s7, 1
	s_cmp_ge_u32 s6, s3
	s_cselect_b32 s3, s8, s7
	s_xor_b32 s3, s3, s5
	s_sub_i32 s12, s3, s5
	s_abs_i32 s8, s12
	v_cvt_f32_u32_e32 v1, s8
	s_load_dwordx2 s[6:7], s[0:1], 0x50
	s_sub_i32 s3, 0, s8
	s_abs_i32 s9, s2
	v_rcp_iflag_f32_e32 v1, v1
	s_mov_b32 s5, 0
	v_mul_f32_e32 v1, 0x4f7ffffe, v1
	v_cvt_u32_f32_e32 v1, v1
	s_nop 0
	v_readfirstlane_b32 s10, v1
	s_mul_i32 s3, s3, s10
	s_mul_hi_u32 s3, s10, s3
	s_add_i32 s10, s10, s3
	s_waitcnt lgkmcnt(0)
	s_cmp_eq_u64 s[6:7], 0
	s_mul_hi_u32 s10, s9, s10
	s_cbranch_scc1 .LBB184_3
; %bb.2:
	s_ashr_i32 s3, s2, 31
	s_lshl_b64 s[14:15], s[2:3], 2
	s_add_u32 s6, s6, s14
	s_addc_u32 s7, s7, s15
	s_load_dword s5, s[6:7], 0x0
.LBB184_3:
	s_ashr_i32 s17, s12, 31
	s_load_dwordx4 s[12:15], s[0:1], 0x58
	s_ashr_i32 s16, s2, 31
	v_and_b32_e32 v4, 1, v0
	s_movk_i32 s3, 0x60
	s_mul_i32 s22, s2, 0x60
	v_cmp_gt_u32_e32 vcc, 24, v0
	v_lshlrev_b32_e32 v22, 3, v0
	s_and_saveexec_b64 s[6:7], vcc
	s_cbranch_execz .LBB184_5
; %bb.4:
	s_load_dwordx2 s[18:19], s[0:1], 0x18
	s_waitcnt lgkmcnt(0)
	s_mul_i32 s24, s20, s12
	s_ashr_i32 s25, s24, 31
	s_lshl_b64 s[24:25], s[24:25], 1
	v_lshlrev_b32_e32 v1, 2, v0
	s_add_u32 s12, s18, s24
	s_addc_u32 s15, s19, s25
	s_ashr_i32 s23, s22, 31
	s_lshl_b64 s[18:19], s[22:23], 1
	s_add_u32 s18, s12, s18
	s_addc_u32 s19, s15, s19
	global_load_dwordx2 v[2:3], v22, s[18:19]
	v_and_b32_e32 v1, 0xff8, v1
	v_mad_u32_u24 v1, v4, s3, v1
	s_waitcnt vmcnt(0)
	ds_write_b64 v1, v[2:3]
.LBB184_5:
	s_or_b64 exec, exec, s[6:7]
	s_add_i32 s3, s33, 31
	s_ashr_i32 s6, s3, 31
	s_lshr_b32 s6, s6, 27
	s_add_i32 s3, s3, s6
	s_ashr_i32 s41, s3, 5
	s_lshl_b32 s3, s4, 4
	s_mul_i32 s7, s10, s8
	s_add_i32 s6, s3, 16
	s_sub_i32 s7, s9, s7
	s_min_i32 s23, s6, s41
	s_xor_b32 s6, s16, s17
	s_add_i32 s9, s10, 1
	s_waitcnt lgkmcnt(0)
	s_sub_i32 s12, s7, s8
	s_cmp_ge_u32 s7, s8
	s_cselect_b32 s9, s9, s10
	s_cselect_b32 s7, s12, s7
	s_add_i32 s10, s9, 1
	s_cmp_ge_u32 s7, s8
	s_load_dwordx2 s[26:27], s[0:1], 0x38
	s_load_dword s8, s[0:1], 0x48
	v_lshrrev_b32_e32 v23, 6, v0
	s_cselect_b32 s7, s10, s9
	s_xor_b32 s7, s7, s6
	v_or_b32_e32 v10, s3, v23
	s_waitcnt lgkmcnt(0)
	s_mul_i32 s28, s20, s8
	s_sub_i32 s10, s7, s6
	s_ashr_i32 s29, s28, 31
	v_cmp_gt_i32_e64 s[8:9], s23, v10
	v_cmp_le_i32_e32 vcc, s23, v10
	v_mbcnt_lo_u32_b32 v5, -1, 0
	s_barrier
	s_waitcnt lgkmcnt(0)
                                        ; implicit-def: $sgpr15
                                        ; implicit-def: $vgpr24
                                        ; implicit-def: $vgpr25
	s_and_saveexec_b64 s[6:7], vcc
	s_xor_b64 s[6:7], exec, s[6:7]
; %bb.6:
	v_mbcnt_hi_u32_b32 v24, -1, v5
	v_and_b32_e32 v1, 64, v24
	v_add_u32_e32 v25, 64, v1
	s_mov_b32 s15, 0xff7fffff
                                        ; implicit-def: $vgpr4
                                        ; implicit-def: $vgpr5
; %bb.7:
	s_or_saveexec_b64 s[34:35], s[6:7]
	s_load_dwordx4 s[16:19], s[0:1], 0x0
	s_load_dwordx2 s[24:25], s[0:1], 0x10
	s_load_dwordx2 s[30:31], s[0:1], 0x28
	s_load_dword s12, s[0:1], 0x98
	v_mov_b32_e32 v73, s15
	s_mul_i32 s14, s10, s14
	v_ashrrev_i32_e32 v11, 31, v10
	s_xor_b64 exec, exec, s[34:35]
	s_cbranch_execz .LBB184_13
; %bb.8:
	v_mul_u32_u24_e32 v2, 0x60, v4
	ds_read_b128 v[6:9], v2
	s_load_dwordx2 s[0:1], s[0:1], 0x20
	ds_read_b128 v[12:15], v2 offset:16
	ds_read_b128 v[16:19], v2 offset:32
	ds_read_b128 v[54:57], v2 offset:48
	s_ashr_i32 s15, s14, 31
	s_lshl_b64 s[6:7], s[14:15], 1
	s_waitcnt lgkmcnt(0)
	v_lshlrev_b32_e32 v1, 16, v6
	v_and_b32_e32 v26, 0xffff0000, v6
	v_lshlrev_b32_e32 v27, 16, v7
	v_and_b32_e32 v28, 0xffff0000, v7
	;; [unrolled: 2-line block ×4, first 2 shown]
	ds_read_b128 v[6:9], v2 offset:64
	v_bfe_u32 v20, v0, 1, 5
	s_add_u32 s0, s0, s6
	s_addc_u32 s1, s1, s7
	v_lshlrev_b32_e32 v33, 16, v12
	v_and_b32_e32 v34, 0xffff0000, v12
	v_lshlrev_b32_e32 v35, 16, v13
	v_and_b32_e32 v36, 0xffff0000, v13
	;; [unrolled: 2-line block ×4, first 2 shown]
	ds_read_b128 v[12:15], v2 offset:80
	v_lshlrev_b32_e32 v2, 4, v20
	v_mov_b32_e32 v3, 0
	v_lshlrev_b32_e32 v49, 16, v54
	v_and_b32_e32 v50, 0xffff0000, v54
	v_lshlrev_b32_e32 v51, 16, v55
	v_and_b32_e32 v52, 0xffff0000, v55
	;; [unrolled: 2-line block ×4, first 2 shown]
	s_waitcnt lgkmcnt(1)
	v_lshlrev_b32_e32 v57, 16, v6
	v_and_b32_e32 v58, 0xffff0000, v6
	v_lshlrev_b32_e32 v59, 16, v7
	v_and_b32_e32 v60, 0xffff0000, v7
	v_lshl_add_u64 v[6:7], s[0:1], 0, v[2:3]
	v_and_b32_e32 v2, 8, v22
	v_mbcnt_hi_u32_b32 v24, -1, v5
	v_lshl_add_u64 v[2:3], v[6:7], 0, v[2:3]
	v_and_b32_e32 v6, 64, v24
	v_xor_b32_e32 v5, 1, v24
	v_add_u32_e32 v25, 64, v6
	v_cmp_lt_i32_e32 vcc, v5, v25
	s_sub_i32 s15, 1, s33
	s_lshl_b64 s[0:1], s[28:29], 2
	v_cndmask_b32_e32 v5, v24, v5, vcc
	v_cmp_eq_u32_e32 vcc, 0, v4
	v_lshlrev_b32_e32 v4, 5, v23
	v_add3_u32 v75, s40, v4, v20
	v_lshlrev_b32_e32 v4, 2, v20
	s_add_u32 s0, s26, s0
	v_lshl_or_b32 v4, v23, 7, v4
	s_addc_u32 s1, s27, s1
	s_mov_b32 s10, s13
	v_lshlrev_b32_e32 v41, 16, v16
	v_and_b32_e32 v42, 0xffff0000, v16
	v_lshlrev_b32_e32 v43, 16, v17
	v_and_b32_e32 v44, 0xffff0000, v17
	;; [unrolled: 2-line block ×6, first 2 shown]
	s_waitcnt lgkmcnt(0)
	v_lshlrev_b32_e32 v65, 16, v12
	v_and_b32_e32 v66, 0xffff0000, v12
	v_lshlrev_b32_e32 v67, 16, v13
	v_and_b32_e32 v68, 0xffff0000, v13
	;; [unrolled: 2-line block ×4, first 2 shown]
	v_lshlrev_b32_e32 v74, 2, v5
	v_cmp_neq_f32_e64 s[6:7], s5, 0
	v_add_u32_e32 v76, 0xd0, v4
	s_mov_b64 s[36:37], 0
	s_movk_i32 s42, 0x1000
	v_mov_b32_e32 v73, 0xff7fffff
	v_mov_b32_e32 v77, v10
	v_lshl_add_u64 v[4:5], v[10:11], 2, s[0:1]
	s_branch .LBB184_10
.LBB184_9:                              ;   in Loop: Header=BB184_10 Depth=1
	s_or_b64 exec, exec, s[38:39]
	v_add_u32_e32 v77, 2, v77
	v_cmp_le_i32_e64 s[0:1], s23, v77
	v_add_u32_e32 v75, 64, v75
	v_add_u32_e32 v76, 0x100, v76
	s_or_b64 s[36:37], s[0:1], s[36:37]
	v_lshl_add_u64 v[4:5], v[4:5], 0, 8
	s_andn2_b64 exec, exec, s[36:37]
	s_cbranch_execz .LBB184_12
.LBB184_10:                             ; =>This Inner Loop Header: Depth=1
	global_load_dword v6, v[4:5], off
	s_waitcnt vmcnt(0) lgkmcnt(0)
	v_mad_i64_i32 v[6:7], s[0:1], v6, s10, 0
	v_lshl_add_u64 v[78:79], v[6:7], 1, v[2:3]
	global_load_dwordx2 v[14:15], v[78:79], off
	global_load_dwordx2 v[12:13], v[78:79], off offset:512
	global_load_dwordx2 v[8:9], v[78:79], off offset:1024
	;; [unrolled: 1-line block ×7, first 2 shown]
	v_add_co_u32_e64 v78, s[0:1], s42, v78
	s_waitcnt vmcnt(7)
	v_lshlrev_b32_e32 v88, 16, v14
	v_addc_co_u32_e64 v79, s[0:1], 0, v79, s[0:1]
	global_load_dwordx2 v[82:83], v[78:79], off
	global_load_dwordx2 v[84:85], v[78:79], off offset:512
	global_load_dwordx2 v[86:87], v[78:79], off offset:1024
	s_nop 0
	global_load_dwordx2 v[78:79], v[78:79], off offset:1536
	s_waitcnt vmcnt(10)
	v_lshlrev_b32_e32 v90, 16, v12
	v_and_b32_e32 v12, 0xffff0000, v12
	v_and_b32_e32 v14, 0xffff0000, v14
	v_lshlrev_b32_e32 v91, 16, v13
	v_mul_f32_e32 v90, v29, v90
	v_mul_f32_e32 v12, v30, v12
	v_lshlrev_b32_e32 v89, 16, v15
	v_and_b32_e32 v13, 0xffff0000, v13
	s_waitcnt vmcnt(9)
	v_lshlrev_b32_e32 v92, 16, v8
	v_and_b32_e32 v8, 0xffff0000, v8
	v_mul_f32_e32 v91, v31, v91
	v_fmac_f32_e32 v90, v1, v88
	v_fmac_f32_e32 v12, v26, v14
	v_and_b32_e32 v15, 0xffff0000, v15
	v_lshlrev_b32_e32 v93, 16, v9
	s_waitcnt vmcnt(8)
	v_lshlrev_b32_e32 v94, 16, v6
	v_and_b32_e32 v6, 0xffff0000, v6
	v_mul_f32_e32 v13, v32, v13
	v_fmac_f32_e32 v91, v27, v89
	v_fmac_f32_e32 v90, v33, v92
	v_fmac_f32_e32 v12, v34, v8
	v_and_b32_e32 v9, 0xffff0000, v9
	v_lshlrev_b32_e32 v95, 16, v7
	s_waitcnt vmcnt(7)
	v_lshlrev_b32_e32 v96, 16, v20
	v_and_b32_e32 v20, 0xffff0000, v20
	v_fmac_f32_e32 v13, v28, v15
	v_fmac_f32_e32 v91, v35, v93
	v_fmac_f32_e32 v90, v37, v94
	v_fmac_f32_e32 v12, v38, v6
	v_and_b32_e32 v7, 0xffff0000, v7
	v_lshlrev_b32_e32 v97, 16, v21
	s_waitcnt vmcnt(6)
	v_lshlrev_b32_e32 v98, 16, v18
	v_and_b32_e32 v18, 0xffff0000, v18
	v_fmac_f32_e32 v13, v36, v9
	v_fmac_f32_e32 v91, v39, v95
	v_fmac_f32_e32 v90, v41, v96
	v_fmac_f32_e32 v12, v42, v20
	v_and_b32_e32 v21, 0xffff0000, v21
	v_lshlrev_b32_e32 v99, 16, v19
	s_waitcnt vmcnt(5)
	v_lshlrev_b32_e32 v100, 16, v16
	v_and_b32_e32 v16, 0xffff0000, v16
	v_fmac_f32_e32 v13, v40, v7
	v_fmac_f32_e32 v91, v43, v97
	v_fmac_f32_e32 v90, v45, v98
	v_fmac_f32_e32 v12, v46, v18
	v_and_b32_e32 v19, 0xffff0000, v19
	v_lshlrev_b32_e32 v101, 16, v17
	s_waitcnt vmcnt(4)
	v_lshlrev_b32_e32 v102, 16, v80
	v_and_b32_e32 v80, 0xffff0000, v80
	v_fmac_f32_e32 v13, v44, v21
	v_fmac_f32_e32 v91, v47, v99
	v_fmac_f32_e32 v90, v49, v100
	;; [unrolled: 1-line block ×3, first 2 shown]
	v_and_b32_e32 v17, 0xffff0000, v17
	v_lshlrev_b32_e32 v103, 16, v81
	v_fmac_f32_e32 v13, v48, v19
	v_fmac_f32_e32 v91, v51, v101
	;; [unrolled: 1-line block ×4, first 2 shown]
	v_and_b32_e32 v81, 0xffff0000, v81
	v_fmac_f32_e32 v13, v52, v17
	v_fmac_f32_e32 v91, v55, v103
	;; [unrolled: 1-line block ×3, first 2 shown]
	s_waitcnt vmcnt(3)
	v_lshlrev_b32_e32 v104, 16, v82
	v_and_b32_e32 v82, 0xffff0000, v82
	v_lshlrev_b32_e32 v105, 16, v83
	s_waitcnt vmcnt(2)
	v_lshlrev_b32_e32 v106, 16, v84
	v_and_b32_e32 v84, 0xffff0000, v84
	v_fmac_f32_e32 v90, v57, v104
	v_fmac_f32_e32 v12, v58, v82
	v_and_b32_e32 v83, 0xffff0000, v83
	v_lshlrev_b32_e32 v107, 16, v85
	s_waitcnt vmcnt(1)
	v_lshlrev_b32_e32 v108, 16, v86
	v_and_b32_e32 v86, 0xffff0000, v86
	v_fmac_f32_e32 v91, v59, v105
	v_fmac_f32_e32 v90, v61, v106
	;; [unrolled: 1-line block ×3, first 2 shown]
	v_and_b32_e32 v85, 0xffff0000, v85
	v_lshlrev_b32_e32 v109, 16, v87
	s_waitcnt vmcnt(0)
	v_lshlrev_b32_e32 v110, 16, v78
	v_and_b32_e32 v78, 0xffff0000, v78
	v_fmac_f32_e32 v13, v60, v83
	v_fmac_f32_e32 v91, v63, v107
	;; [unrolled: 1-line block ×4, first 2 shown]
	v_and_b32_e32 v87, 0xffff0000, v87
	v_lshlrev_b32_e32 v111, 16, v79
	v_fmac_f32_e32 v13, v64, v85
	v_fmac_f32_e32 v91, v67, v109
	;; [unrolled: 1-line block ×4, first 2 shown]
	v_and_b32_e32 v79, 0xffff0000, v79
	v_fmac_f32_e32 v13, v68, v87
	v_fmac_f32_e32 v91, v71, v111
	v_add_f32_e32 v6, v90, v12
	v_fmac_f32_e32 v13, v72, v79
	v_add_f32_e32 v6, v6, v91
	v_add_f32_e32 v6, v13, v6
	ds_bpermute_b32 v7, v74, v6
	s_and_saveexec_b64 s[38:39], vcc
	s_cbranch_execz .LBB184_9
; %bb.11:                               ;   in Loop: Header=BB184_10 Depth=1
	v_add_u32_e32 v8, s15, v75
	v_cvt_f32_i32_e32 v8, v8
	s_waitcnt lgkmcnt(0)
	v_add_f32_e32 v6, v6, v7
	v_cmp_gt_i32_e64 s[0:1], s33, v75
	v_max_f32_e32 v7, v73, v73
	v_mul_f32_e32 v8, s5, v8
	v_cndmask_b32_e64 v8, 0, v8, s[6:7]
	v_fmac_f32_e32 v8, s11, v6
	v_cndmask_b32_e64 v6, 0, v8, s[0:1]
	ds_write_b32 v76, v6
	v_max_f32_e32 v6, v7, v8
	v_cndmask_b32_e64 v73, v73, v6, s[0:1]
	s_branch .LBB184_9
.LBB184_12:
	s_or_b64 exec, exec, s[36:37]
.LBB184_13:
	s_or_b64 exec, exec, s[34:35]
	v_xor_b32_e32 v1, 32, v24
	v_cmp_lt_i32_e32 vcc, v1, v25
	v_xor_b32_e32 v4, 16, v24
	v_max_f32_e32 v3, v73, v73
	v_cndmask_b32_e32 v1, v24, v1, vcc
	v_lshlrev_b32_e32 v2, 2, v1
	ds_bpermute_b32 v1, v2, v73
	v_cmp_lt_i32_e32 vcc, v4, v25
	v_xor_b32_e32 v5, 8, v24
	v_xor_b32_e32 v6, 4, v24
	s_waitcnt lgkmcnt(0)
	v_xor_b32_e32 v7, 2, v24
	v_max_f32_e32 v1, v1, v1
	v_max_f32_e32 v1, v3, v1
	v_cndmask_b32_e32 v3, v24, v4, vcc
	v_lshlrev_b32_e32 v3, 2, v3
	ds_bpermute_b32 v4, v3, v1
	v_cmp_lt_i32_e32 vcc, v5, v25
	s_waitcnt lgkmcnt(0)
	v_max_f32_e32 v4, v4, v4
	v_max_f32_e32 v1, v1, v4
	v_cndmask_b32_e32 v4, v24, v5, vcc
	v_lshlrev_b32_e32 v5, 2, v4
	ds_bpermute_b32 v4, v5, v1
	v_cmp_lt_i32_e32 vcc, v6, v25
	s_waitcnt lgkmcnt(0)
	;; [unrolled: 7-line block ×3, first 2 shown]
	v_max_f32_e32 v4, v4, v4
	v_max_f32_e32 v4, v1, v4
	v_cndmask_b32_e32 v1, v24, v7, vcc
	v_lshlrev_b32_e32 v26, 2, v1
	ds_bpermute_b32 v8, v26, v4
	v_and_b32_e32 v1, 63, v0
	v_cmp_eq_u32_e32 vcc, 0, v1
	v_lshlrev_b32_e32 v7, 2, v23
	s_and_saveexec_b64 s[0:1], vcc
	s_cbranch_execz .LBB184_15
; %bb.14:
	s_waitcnt lgkmcnt(0)
	v_max_f32_e32 v8, v8, v8
	v_max_f32_e32 v4, v4, v4
	;; [unrolled: 1-line block ×3, first 2 shown]
	ds_write_b32 v7, v4 offset:192
.LBB184_15:
	s_or_b64 exec, exec, s[0:1]
	v_cmp_gt_u32_e64 s[0:1], 2, v1
	v_mov_b32_e32 v4, 0xff7fffff
	s_waitcnt lgkmcnt(0)
	v_lshlrev_b32_e32 v8, 2, v1
	s_barrier
	s_and_saveexec_b64 s[6:7], s[0:1]
	s_cbranch_execz .LBB184_17
; %bb.16:
	ds_read_b32 v4, v8 offset:192
.LBB184_17:
	s_or_b64 exec, exec, s[6:7]
	v_xor_b32_e32 v9, 1, v24
	v_cmp_lt_i32_e64 s[6:7], v9, v25
	s_sub_i32 s3, s23, s3
	s_lshl_b32 s3, s3, 5
	v_cndmask_b32_e64 v9, v24, v9, s[6:7]
	v_lshlrev_b32_e32 v27, 2, v9
	s_waitcnt lgkmcnt(0)
	ds_bpermute_b32 v9, v27, v4
	v_max_f32_e32 v4, v4, v4
	s_add_i32 s3, s3, s40
	s_min_i32 s5, s3, s33
	s_sub_i32 s3, s5, s40
	s_waitcnt lgkmcnt(0)
	v_max_f32_e32 v9, v9, v9
	v_max_f32_e32 v4, v4, v9
	v_lshlrev_b32_e32 v9, 2, v24
	v_and_b32_e32 v9, 0xffffff00, v9
	ds_bpermute_b32 v4, v9, v4
	v_cmp_gt_i32_e64 s[6:7], s3, v0
	v_mov_b32_e32 v12, 0
	s_and_saveexec_b64 s[34:35], s[6:7]
	s_cbranch_execz .LBB184_21
; %bb.18:
	v_mov_b32_e32 v12, 0xd0
	v_lshl_add_u32 v13, v0, 2, v12
	s_mov_b64 s[36:37], 0
	v_mov_b32_e32 v12, 0
	v_mov_b32_e32 v14, v0
.LBB184_19:                             ; =>This Inner Loop Header: Depth=1
	ds_read_b32 v15, v13
	v_add_u32_e32 v14, 0x80, v14
	v_cmp_le_i32_e64 s[10:11], s3, v14
	s_or_b64 s[36:37], s[10:11], s[36:37]
	s_waitcnt lgkmcnt(0)
	v_sub_f32_e32 v15, v15, v4
	v_mul_f32_e32 v15, 0x3fb8aa3b, v15
	v_exp_f32_e32 v15, v15
	ds_write_b32 v13, v15
	v_add_f32_e32 v12, v12, v15
	v_add_u32_e32 v13, 0x200, v13
	s_andn2_b64 exec, exec, s[36:37]
	s_cbranch_execnz .LBB184_19
; %bb.20:
	s_or_b64 exec, exec, s[36:37]
.LBB184_21:
	s_or_b64 exec, exec, s[34:35]
	ds_bpermute_b32 v2, v2, v12
	s_waitcnt lgkmcnt(0)
	v_add_f32_e32 v2, v12, v2
	ds_bpermute_b32 v3, v3, v2
	s_waitcnt lgkmcnt(0)
	v_add_f32_e32 v2, v2, v3
	;; [unrolled: 3-line block ×6, first 2 shown]
	s_and_saveexec_b64 s[10:11], vcc
	s_cbranch_execz .LBB184_23
; %bb.22:
	ds_write_b32 v7, v2 offset:200
.LBB184_23:
	s_or_b64 exec, exec, s[10:11]
	s_waitcnt lgkmcnt(0)
	s_barrier
	s_and_saveexec_b64 s[10:11], s[0:1]
	s_cbranch_execz .LBB184_25
; %bb.24:
	ds_read_b32 v2, v8 offset:200
.LBB184_25:
	s_or_b64 exec, exec, s[10:11]
	s_waitcnt lgkmcnt(0)
	ds_bpermute_b32 v3, v27, v2
	s_waitcnt lgkmcnt(0)
	v_add_f32_e32 v2, v2, v3
	ds_bpermute_b32 v5, v9, v2
	s_and_saveexec_b64 s[0:1], s[6:7]
	s_cbranch_execz .LBB184_38
; %bb.26:
	s_waitcnt lgkmcnt(0)
	v_add_f32_e32 v2, 0x358637bd, v5
	v_div_scale_f32 v3, s[6:7], v2, v2, 1.0
	v_rcp_f32_e32 v6, v3
	v_div_scale_f32 v7, vcc, 1.0, v2, 1.0
	s_mov_b64 s[10:11], -1
	v_fma_f32 v8, -v3, v6, 1.0
	v_fmac_f32_e32 v6, v8, v6
	v_mul_f32_e32 v8, v7, v6
	v_fma_f32 v9, -v3, v8, v7
	v_fmac_f32_e32 v8, v9, v6
	v_fma_f32 v3, -v3, v8, v7
	v_div_fmas_f32 v3, v3, v6, v8
	v_div_fixup_f32 v2, v3, v2, 1.0
	v_xad_u32 v3, v0, -1, s5
	v_subrev_u32_e32 v6, s40, v3
	s_movk_i32 s5, 0x7f
	v_cmp_lt_u32_e32 vcc, s5, v6
	v_mov_b32_e32 v3, v0
	s_and_saveexec_b64 s[6:7], vcc
	s_cbranch_execz .LBB184_35
; %bb.27:
	v_lshrrev_b32_e32 v6, 7, v6
	v_add_u32_e32 v8, -1, v6
	v_lshrrev_b32_e32 v7, 1, v8
	v_mov_b32_e32 v3, v2
	v_add_u32_e32 v7, 1, v7
	v_cmp_lt_u32_e32 vcc, 13, v8
	v_mov_b32_e32 v12, 0
	s_and_saveexec_b64 s[10:11], vcc
	s_cbranch_execz .LBB184_31
; %bb.28:
	v_mov_b32_e32 v9, 0xd0
	v_and_b32_e32 v8, -8, v7
	v_lshl_add_u32 v9, v0, 2, v9
	s_mov_b32 s5, 0
	s_mov_b64 s[34:35], 0
.LBB184_29:                             ; =>This Inner Loop Header: Depth=1
	ds_read2st64_b32 v[12:13], v9 offset1:2
	ds_read2st64_b32 v[14:15], v9 offset0:4 offset1:6
	ds_read2st64_b32 v[16:17], v9 offset0:8 offset1:10
	;; [unrolled: 1-line block ×3, first 2 shown]
	v_add_u32_e32 v8, -8, v8
	s_waitcnt lgkmcnt(3)
	v_pk_mul_f32 v[12:13], v[2:3], v[12:13]
	s_waitcnt lgkmcnt(2)
	v_pk_mul_f32 v[14:15], v[2:3], v[14:15]
	ds_write2st64_b32 v9, v12, v13 offset1:2
	ds_write2st64_b32 v9, v14, v15 offset0:4 offset1:6
	ds_read2st64_b32 v[14:15], v9 offset0:16 offset1:18
	s_waitcnt lgkmcnt(4)
	v_pk_mul_f32 v[12:13], v[2:3], v[16:17]
	ds_write2st64_b32 v9, v12, v13 offset0:8 offset1:10
	s_waitcnt lgkmcnt(4)
	v_pk_mul_f32 v[12:13], v[2:3], v[18:19]
	ds_write2st64_b32 v9, v12, v13 offset0:12 offset1:14
	ds_read2st64_b32 v[12:13], v9 offset0:20 offset1:22
	s_waitcnt lgkmcnt(3)
	v_pk_mul_f32 v[14:15], v[2:3], v[14:15]
	ds_read2st64_b32 v[16:17], v9 offset0:24 offset1:26
	ds_write2st64_b32 v9, v14, v15 offset0:16 offset1:18
	ds_read2st64_b32 v[14:15], v9 offset0:28 offset1:30
	s_waitcnt lgkmcnt(3)
	v_pk_mul_f32 v[12:13], v[2:3], v[12:13]
	ds_write2st64_b32 v9, v12, v13 offset0:20 offset1:22
	s_waitcnt lgkmcnt(3)
	v_pk_mul_f32 v[12:13], v[2:3], v[16:17]
	ds_write2st64_b32 v9, v12, v13 offset0:24 offset1:26
	s_waitcnt lgkmcnt(2)
	v_pk_mul_f32 v[12:13], v[2:3], v[14:15]
	s_add_i32 s5, s5, 16
	v_cmp_eq_u32_e32 vcc, 0, v8
	ds_write2st64_b32 v9, v12, v13 offset0:28 offset1:30
	v_add_u32_e32 v9, 0x2000, v9
	s_or_b64 s[34:35], vcc, s[34:35]
	v_mov_b32_e32 v12, s5
	s_andn2_b64 exec, exec, s[34:35]
	s_cbranch_execnz .LBB184_29
; %bb.30:
	s_or_b64 exec, exec, s[34:35]
.LBB184_31:
	s_or_b64 exec, exec, s[10:11]
	v_and_b32_e32 v7, 7, v7
	v_cmp_ne_u32_e32 vcc, 0, v7
	s_and_saveexec_b64 s[10:11], vcc
	s_cbranch_execz .LBB184_34
; %bb.32:
	v_lshlrev_b32_e32 v8, 9, v12
	v_lshlrev_b32_e32 v9, 2, v0
	s_movk_i32 s5, 0xd0
	v_add3_u32 v8, v8, v9, s5
	s_mov_b64 s[34:35], 0
.LBB184_33:                             ; =>This Inner Loop Header: Depth=1
	ds_read2st64_b32 v[12:13], v8 offset1:2
	v_add_u32_e32 v7, -1, v7
	v_cmp_eq_u32_e32 vcc, 0, v7
	s_or_b64 s[34:35], vcc, s[34:35]
	s_waitcnt lgkmcnt(0)
	v_pk_mul_f32 v[12:13], v[2:3], v[12:13]
	ds_write2st64_b32 v8, v12, v13 offset1:2
	v_add_u32_e32 v8, 0x400, v8
	s_andn2_b64 exec, exec, s[34:35]
	s_cbranch_execnz .LBB184_33
.LBB184_34:
	s_or_b64 exec, exec, s[10:11]
	v_add_u32_e32 v6, 1, v6
	v_and_b32_e32 v7, 0x3fffffe, v6
	v_cmp_ne_u32_e32 vcc, v6, v7
	v_lshl_add_u32 v3, v7, 7, v0
	s_orn2_b64 s[10:11], vcc, exec
.LBB184_35:
	s_or_b64 exec, exec, s[6:7]
	s_and_b64 exec, exec, s[10:11]
	s_cbranch_execz .LBB184_38
; %bb.36:
	v_mov_b32_e32 v6, 0xd0
	v_lshl_add_u32 v6, v3, 2, v6
	s_mov_b64 s[6:7], 0
.LBB184_37:                             ; =>This Inner Loop Header: Depth=1
	ds_read_b32 v7, v6
	v_add_u32_e32 v3, 0x80, v3
	v_cmp_le_i32_e32 vcc, s3, v3
	s_or_b64 s[6:7], vcc, s[6:7]
	s_waitcnt lgkmcnt(0)
	v_mul_f32_e32 v7, v2, v7
	ds_write_b32 v6, v7
	v_add_u32_e32 v6, 0x200, v6
	s_andn2_b64 exec, exec, s[6:7]
	s_cbranch_execnz .LBB184_37
.LBB184_38:
	s_or_b64 exec, exec, s[0:1]
	v_cmp_eq_u32_e32 vcc, 0, v0
	s_waitcnt lgkmcnt(0)
	s_barrier
	s_and_saveexec_b64 s[0:1], vcc
	s_cbranch_execz .LBB184_40
; %bb.39:
	s_mul_i32 s3, s12, s20
	s_mul_i32 s6, s3, s21
	s_ashr_i32 s7, s6, 31
	s_lshl_b64 s[6:7], s[6:7], 2
	s_add_u32 s5, s18, s6
	s_mul_i32 s2, s12, s2
	s_addc_u32 s10, s19, s7
	s_ashr_i32 s3, s2, 31
	s_lshl_b64 s[2:3], s[2:3], 2
	s_add_u32 s15, s5, s2
	s_addc_u32 s19, s10, s3
	s_ashr_i32 s5, s4, 31
	s_lshl_b64 s[10:11], s[4:5], 2
	s_add_u32 s18, s15, s10
	s_addc_u32 s19, s19, s11
	s_add_u32 s5, s16, s6
	s_addc_u32 s6, s17, s7
	;; [unrolled: 2-line block ×3, first 2 shown]
	s_add_u32 s2, s2, s10
	v_mov_b32_e32 v2, 0
	s_addc_u32 s3, s3, s11
	global_store_dword v2, v4, s[18:19]
	global_store_dword v2, v5, s[2:3]
.LBB184_40:
	s_or_b64 exec, exec, s[0:1]
	v_mov_b32_e32 v13, 0
	v_and_b32_e32 v28, 3, v0
	v_mov_b32_e32 v12, 0
	v_mov_b32_e32 v15, 0
	;; [unrolled: 1-line block ×5, first 2 shown]
	s_and_saveexec_b64 s[2:3], s[8:9]
	s_cbranch_execz .LBB184_280
; %bb.41:
	s_ashr_i32 s15, s14, 31
	s_lshl_b64 s[0:1], s[14:15], 1
	s_add_u32 s6, s30, s0
	v_and_b32_e32 v3, 24, v22
	s_mov_b32 s5, s13
	s_addc_u32 s7, s31, s1
	s_add_i32 s13, s41, -1
	v_lshl_add_u32 v5, v23, 5, s40
	s_lshl_b64 s[0:1], s[28:29], 2
	v_and_b32_e32 v2, 0x1f8, v22
	v_add3_u32 v29, v5, v3, 7
	v_lshlrev_b32_e32 v3, 5, v28
	s_add_u32 s0, s26, s0
	v_mov_b32_e32 v19, 0
	v_or_b32_e32 v4, 0x800, v2
	v_or_b32_e32 v6, 0xa00, v2
	v_lshl_or_b32 v3, v23, 7, v3
	s_addc_u32 s1, s27, s1
	v_add_u32_e32 v30, 0xd0, v3
	v_lshl_add_u64 v[20:21], v[10:11], 2, s[0:1]
	s_mov_b64 s[8:9], 0
	s_mov_b32 s14, 0x7f800000
	s_movk_i32 s15, 0x7fff
	v_lshlrev_b32_e32 v18, 1, v2
	v_lshlrev_b32_e32 v22, 1, v4
	;; [unrolled: 1-line block ×3, first 2 shown]
	v_mov_b32_e32 v16, v19
	v_mov_b32_e32 v17, v19
	;; [unrolled: 1-line block ×6, first 2 shown]
	s_branch .LBB184_43
.LBB184_42:                             ;   in Loop: Header=BB184_43 Depth=1
	s_or_b64 exec, exec, s[0:1]
	v_and_b32_e32 v41, 0xffff0000, v33
	v_and_b32_e32 v40, 0xffff0000, v31
	;; [unrolled: 1-line block ×8, first 2 shown]
	v_pk_add_f32 v[32:33], v[32:33], v[40:41]
	v_pk_add_f32 v[34:35], v[34:35], v[38:39]
	v_add_f32_e32 v11, v32, v33
	v_add_f32_e32 v11, v11, v34
	v_and_b32_e32 v39, 0xffff0000, v56
	v_and_b32_e32 v38, 0xffff0000, v54
	;; [unrolled: 1-line block ×4, first 2 shown]
	v_add_f32_e32 v11, v11, v35
	v_and_b32_e32 v33, 0xffff0000, v60
	v_and_b32_e32 v32, 0xffff0000, v58
	;; [unrolled: 1-line block ×4, first 2 shown]
	v_pk_add_f32 v[38:39], v[40:41], v[38:39]
	v_add_f32_e32 v16, v16, v11
	v_pk_add_f32 v[32:33], v[34:35], v[32:33]
	v_add_f32_e32 v11, v38, v39
	v_add_f32_e32 v11, v11, v32
	v_and_b32_e32 v39, 0xffff0000, v64
	v_and_b32_e32 v38, 0xffff0000, v62
	;; [unrolled: 1-line block ×4, first 2 shown]
	v_add_f32_e32 v11, v11, v33
	v_and_b32_e32 v33, 0xffff0000, v68
	v_and_b32_e32 v32, 0xffff0000, v66
	;; [unrolled: 1-line block ×4, first 2 shown]
	v_pk_add_f32 v[38:39], v[40:41], v[38:39]
	v_add_f32_e32 v17, v17, v11
	v_pk_add_f32 v[32:33], v[34:35], v[32:33]
	v_add_f32_e32 v11, v38, v39
	v_add_f32_e32 v11, v11, v32
	v_and_b32_e32 v39, 0xffff0000, v70
	v_and_b32_e32 v38, 0xffff0000, v9
	;; [unrolled: 1-line block ×4, first 2 shown]
	v_add_f32_e32 v11, v11, v33
	v_and_b32_e32 v33, 0xffff0000, v74
	v_and_b32_e32 v32, 0xffff0000, v72
	;; [unrolled: 1-line block ×4, first 2 shown]
	v_pk_add_f32 v[8:9], v[8:9], v[38:39]
	v_pk_add_f32 v[32:33], v[34:35], v[32:33]
	v_add_f32_e32 v8, v8, v9
	v_add_f32_e32 v8, v8, v32
	v_add_f32_e32 v8, v8, v33
	v_and_b32_e32 v35, 0xffff0000, v77
	v_and_b32_e32 v34, 0xffff0000, v75
	;; [unrolled: 1-line block ×4, first 2 shown]
	v_add_f32_e32 v15, v15, v8
	v_and_b32_e32 v9, 0xffff0000, v81
	v_and_b32_e32 v8, 0xffff0000, v79
	;; [unrolled: 1-line block ×4, first 2 shown]
	v_pk_add_f32 v[34:35], v[38:39], v[34:35]
	v_add_f32_e32 v14, v14, v11
	v_pk_add_f32 v[8:9], v[32:33], v[8:9]
	v_add_f32_e32 v11, v34, v35
	v_add_f32_e32 v8, v11, v8
	;; [unrolled: 1-line block ×3, first 2 shown]
	v_and_b32_e32 v9, 0xffff0000, v7
	v_and_b32_e32 v7, 0xffff0000, v25
	;; [unrolled: 1-line block ×5, first 2 shown]
	v_add_f32_e32 v12, v12, v8
	v_and_b32_e32 v8, 0xffff0000, v37
	v_and_b32_e32 v5, 0xffff0000, v5
	;; [unrolled: 1-line block ×3, first 2 shown]
	v_pk_add_f32 v[2:3], v[2:3], v[6:7]
	v_pk_add_f32 v[4:5], v[4:5], v[8:9]
	v_add_f32_e32 v2, v2, v3
	v_add_f32_e32 v2, v2, v4
	v_add_u32_e32 v10, 2, v10
	v_add_f32_e32 v2, v2, v5
	v_cmp_le_i32_e32 vcc, s23, v10
	v_add_f32_e32 v13, v13, v2
	v_add_u32_e32 v29, 64, v29
	v_add_u32_e32 v30, 0x100, v30
	s_or_b64 s[8:9], vcc, s[8:9]
	v_lshl_add_u64 v[20:21], v[20:21], 0, 8
	s_andn2_b64 exec, exec, s[8:9]
	s_cbranch_execz .LBB184_279
.LBB184_43:                             ; =>This Inner Loop Header: Depth=1
	global_load_dword v36, v[20:21], off
	ds_read2_b64 v[6:9], v30 offset1:1
	ds_read2_b64 v[2:5], v30 offset0:2 offset1:3
	s_waitcnt lgkmcnt(1)
	v_and_b32_e32 v11, 0x7f800000, v6
	v_cmp_ne_u32_e32 vcc, s14, v11
                                        ; implicit-def: $vgpr11
	s_and_saveexec_b64 s[0:1], vcc
	s_xor_b64 s[0:1], exec, s[0:1]
; %bb.44:                               ;   in Loop: Header=BB184_43 Depth=1
	v_bfe_u32 v11, v6, 16, 1
	v_add3_u32 v11, v6, v11, s15
; %bb.45:                               ;   in Loop: Header=BB184_43 Depth=1
	s_andn2_saveexec_b64 s[0:1], s[0:1]
; %bb.46:                               ;   in Loop: Header=BB184_43 Depth=1
	v_or_b32_e32 v11, 0x10000, v6
	v_cmp_eq_u32_sdwa vcc, v6, v19 src0_sel:WORD_0 src1_sel:DWORD
	s_nop 1
	v_cndmask_b32_e32 v11, v11, v6, vcc
; %bb.47:                               ;   in Loop: Header=BB184_43 Depth=1
	s_or_b64 exec, exec, s[0:1]
	v_and_b32_e32 v6, 0x7f800000, v7
	v_cmp_ne_u32_e32 vcc, s14, v6
                                        ; implicit-def: $vgpr31
	s_and_saveexec_b64 s[0:1], vcc
	s_xor_b64 s[0:1], exec, s[0:1]
; %bb.48:                               ;   in Loop: Header=BB184_43 Depth=1
	v_bfe_u32 v6, v7, 16, 1
	v_add3_u32 v31, v7, v6, s15
; %bb.49:                               ;   in Loop: Header=BB184_43 Depth=1
	s_andn2_saveexec_b64 s[0:1], s[0:1]
; %bb.50:                               ;   in Loop: Header=BB184_43 Depth=1
	v_or_b32_e32 v6, 0x10000, v7
	v_cmp_eq_u32_sdwa vcc, v7, v19 src0_sel:WORD_0 src1_sel:DWORD
	s_nop 1
	v_cndmask_b32_e32 v31, v6, v7, vcc
; %bb.51:                               ;   in Loop: Header=BB184_43 Depth=1
	s_or_b64 exec, exec, s[0:1]
	v_and_b32_e32 v6, 0x7f800000, v8
	v_cmp_ne_u32_e32 vcc, s14, v6
                                        ; implicit-def: $vgpr32
	s_and_saveexec_b64 s[0:1], vcc
	s_xor_b64 s[0:1], exec, s[0:1]
; %bb.52:                               ;   in Loop: Header=BB184_43 Depth=1
	v_bfe_u32 v6, v8, 16, 1
	v_add3_u32 v32, v8, v6, s15
; %bb.53:                               ;   in Loop: Header=BB184_43 Depth=1
	s_andn2_saveexec_b64 s[0:1], s[0:1]
; %bb.54:                               ;   in Loop: Header=BB184_43 Depth=1
	v_or_b32_e32 v6, 0x10000, v8
	v_cmp_eq_u32_sdwa vcc, v8, v19 src0_sel:WORD_0 src1_sel:DWORD
	s_nop 1
	v_cndmask_b32_e32 v32, v6, v8, vcc
; %bb.55:                               ;   in Loop: Header=BB184_43 Depth=1
	s_or_b64 exec, exec, s[0:1]
	v_and_b32_e32 v6, 0x7f800000, v9
	v_cmp_ne_u32_e32 vcc, s14, v6
                                        ; implicit-def: $vgpr33
	s_and_saveexec_b64 s[0:1], vcc
	s_xor_b64 s[0:1], exec, s[0:1]
; %bb.56:                               ;   in Loop: Header=BB184_43 Depth=1
	v_bfe_u32 v6, v9, 16, 1
	v_add3_u32 v33, v9, v6, s15
                                        ; implicit-def: $vgpr6_vgpr7_vgpr8_vgpr9
; %bb.57:                               ;   in Loop: Header=BB184_43 Depth=1
	s_andn2_saveexec_b64 s[0:1], s[0:1]
; %bb.58:                               ;   in Loop: Header=BB184_43 Depth=1
	v_or_b32_e32 v6, 0x10000, v9
	v_cmp_eq_u32_sdwa vcc, v9, v19 src0_sel:WORD_0 src1_sel:DWORD
	s_nop 1
	v_cndmask_b32_e32 v33, v6, v9, vcc
; %bb.59:                               ;   in Loop: Header=BB184_43 Depth=1
	s_or_b64 exec, exec, s[0:1]
	s_waitcnt lgkmcnt(0)
	v_and_b32_e32 v6, 0x7f800000, v2
	v_cmp_ne_u32_e32 vcc, s14, v6
                                        ; implicit-def: $vgpr34
	s_and_saveexec_b64 s[0:1], vcc
	s_xor_b64 s[0:1], exec, s[0:1]
; %bb.60:                               ;   in Loop: Header=BB184_43 Depth=1
	v_bfe_u32 v6, v2, 16, 1
	v_add3_u32 v34, v2, v6, s15
; %bb.61:                               ;   in Loop: Header=BB184_43 Depth=1
	s_andn2_saveexec_b64 s[0:1], s[0:1]
; %bb.62:                               ;   in Loop: Header=BB184_43 Depth=1
	v_or_b32_e32 v6, 0x10000, v2
	v_cmp_eq_u32_sdwa vcc, v2, v19 src0_sel:WORD_0 src1_sel:DWORD
	s_nop 1
	v_cndmask_b32_e32 v34, v6, v2, vcc
; %bb.63:                               ;   in Loop: Header=BB184_43 Depth=1
	s_or_b64 exec, exec, s[0:1]
	v_and_b32_e32 v2, 0x7f800000, v3
	v_cmp_ne_u32_e32 vcc, s14, v2
                                        ; implicit-def: $vgpr35
	s_and_saveexec_b64 s[0:1], vcc
	s_xor_b64 s[0:1], exec, s[0:1]
; %bb.64:                               ;   in Loop: Header=BB184_43 Depth=1
	v_bfe_u32 v2, v3, 16, 1
	v_add3_u32 v35, v3, v2, s15
; %bb.65:                               ;   in Loop: Header=BB184_43 Depth=1
	s_andn2_saveexec_b64 s[0:1], s[0:1]
; %bb.66:                               ;   in Loop: Header=BB184_43 Depth=1
	v_or_b32_e32 v2, 0x10000, v3
	v_cmp_eq_u32_sdwa vcc, v3, v19 src0_sel:WORD_0 src1_sel:DWORD
	s_nop 1
	v_cndmask_b32_e32 v35, v2, v3, vcc
; %bb.67:                               ;   in Loop: Header=BB184_43 Depth=1
	s_or_b64 exec, exec, s[0:1]
	v_and_b32_e32 v2, 0x7f800000, v4
	v_cmp_ne_u32_e32 vcc, s14, v2
                                        ; implicit-def: $vgpr25
	s_and_saveexec_b64 s[0:1], vcc
	s_xor_b64 s[0:1], exec, s[0:1]
; %bb.68:                               ;   in Loop: Header=BB184_43 Depth=1
	v_bfe_u32 v2, v4, 16, 1
	v_add3_u32 v25, v4, v2, s15
; %bb.69:                               ;   in Loop: Header=BB184_43 Depth=1
	s_andn2_saveexec_b64 s[0:1], s[0:1]
; %bb.70:                               ;   in Loop: Header=BB184_43 Depth=1
	v_or_b32_e32 v2, 0x10000, v4
	v_cmp_eq_u32_sdwa vcc, v4, v19 src0_sel:WORD_0 src1_sel:DWORD
	s_nop 1
	v_cndmask_b32_e32 v25, v2, v4, vcc
; %bb.71:                               ;   in Loop: Header=BB184_43 Depth=1
	s_or_b64 exec, exec, s[0:1]
	v_and_b32_e32 v2, 0x7f800000, v5
	v_cmp_ne_u32_e32 vcc, s14, v2
                                        ; implicit-def: $vgpr23
	s_and_saveexec_b64 s[0:1], vcc
	s_xor_b64 s[0:1], exec, s[0:1]
; %bb.72:                               ;   in Loop: Header=BB184_43 Depth=1
	v_bfe_u32 v2, v5, 16, 1
	v_add3_u32 v23, v5, v2, s15
                                        ; implicit-def: $vgpr2_vgpr3_vgpr4_vgpr5
; %bb.73:                               ;   in Loop: Header=BB184_43 Depth=1
	s_andn2_saveexec_b64 s[0:1], s[0:1]
; %bb.74:                               ;   in Loop: Header=BB184_43 Depth=1
	v_or_b32_e32 v2, 0x10000, v5
	v_cmp_eq_u32_sdwa vcc, v5, v19 src0_sel:WORD_0 src1_sel:DWORD
	s_nop 1
	v_cndmask_b32_e32 v23, v2, v5, vcc
; %bb.75:                               ;   in Loop: Header=BB184_43 Depth=1
	s_or_b64 exec, exec, s[0:1]
	s_waitcnt vmcnt(0)
	v_mad_i64_i32 v[2:3], s[0:1], v36, s5, 0
	v_lshl_add_u64 v[6:7], v[2:3], 1, s[6:7]
	v_lshl_add_u64 v[8:9], v[6:7], 0, v[18:19]
	global_load_dwordx4 v[2:5], v[8:9], off
	v_add_u32_e32 v37, -7, v29
	v_cmp_eq_u32_e32 vcc, s13, v10
	v_add_u32_e32 v43, -6, v29
	v_add_u32_e32 v41, -5, v29
	;; [unrolled: 1-line block ×6, first 2 shown]
	s_waitcnt vmcnt(0)
	v_lshrrev_b32_e32 v47, 16, v2
	v_lshrrev_b32_e32 v49, 16, v3
	;; [unrolled: 1-line block ×4, first 2 shown]
	s_and_saveexec_b64 s[10:11], vcc
	s_cbranch_execz .LBB184_77
; %bb.76:                               ;   in Loop: Header=BB184_43 Depth=1
	v_cmp_gt_i32_e64 s[0:1], s33, v37
	s_nop 1
	v_cndmask_b32_e64 v2, 0, v2, s[0:1]
	v_cmp_gt_i32_e64 s[0:1], s33, v43
	s_nop 1
	v_cndmask_b32_e64 v47, 0, v47, s[0:1]
	v_cmp_gt_i32_e64 s[0:1], s33, v41
	s_nop 1
	v_cndmask_b32_e64 v3, 0, v3, s[0:1]
	v_cmp_gt_i32_e64 s[0:1], s33, v40
	s_nop 1
	v_cndmask_b32_e64 v49, 0, v49, s[0:1]
	v_cmp_gt_i32_e64 s[0:1], s33, v39
	s_nop 1
	v_cndmask_b32_e64 v4, 0, v4, s[0:1]
	v_cmp_gt_i32_e64 s[0:1], s33, v38
	s_nop 1
	v_cndmask_b32_e64 v36, 0, v36, s[0:1]
	v_cmp_gt_i32_e64 s[0:1], s33, v42
	s_nop 1
	v_cndmask_b32_e64 v5, 0, v5, s[0:1]
	v_cmp_gt_i32_e64 s[0:1], s33, v29
	s_nop 1
	v_cndmask_b32_e64 v44, 0, v44, s[0:1]
.LBB184_77:                             ;   in Loop: Header=BB184_43 Depth=1
	s_or_b64 exec, exec, s[10:11]
	v_and_b32_e32 v45, 0xffff0000, v11
	v_lshlrev_b32_e32 v2, 16, v2
	v_mul_f32_e32 v2, v45, v2
	v_and_b32_e32 v11, 0x7f800000, v2
	v_cmp_ne_u32_e64 s[0:1], s14, v11
                                        ; implicit-def: $vgpr11
	s_and_saveexec_b64 s[10:11], s[0:1]
	s_xor_b64 s[0:1], exec, s[10:11]
; %bb.78:                               ;   in Loop: Header=BB184_43 Depth=1
	v_bfe_u32 v11, v2, 16, 1
	v_add3_u32 v11, v2, v11, s15
                                        ; implicit-def: $vgpr2
; %bb.79:                               ;   in Loop: Header=BB184_43 Depth=1
	s_andn2_saveexec_b64 s[10:11], s[0:1]
; %bb.80:                               ;   in Loop: Header=BB184_43 Depth=1
	v_or_b32_e32 v11, 0x10000, v2
	v_cmp_eq_u32_sdwa s[0:1], v2, v19 src0_sel:WORD_0 src1_sel:DWORD
	s_nop 1
	v_cndmask_b32_e64 v11, v11, v2, s[0:1]
; %bb.81:                               ;   in Loop: Header=BB184_43 Depth=1
	s_or_b64 exec, exec, s[10:11]
	v_and_b32_e32 v46, 0xffff0000, v31
	v_lshlrev_b32_e32 v2, 16, v47
	v_mul_f32_e32 v2, v46, v2
	v_and_b32_e32 v31, 0x7f800000, v2
	v_cmp_ne_u32_e64 s[0:1], s14, v31
                                        ; implicit-def: $vgpr31
	s_and_saveexec_b64 s[10:11], s[0:1]
	s_xor_b64 s[0:1], exec, s[10:11]
; %bb.82:                               ;   in Loop: Header=BB184_43 Depth=1
	v_bfe_u32 v31, v2, 16, 1
	v_add3_u32 v31, v2, v31, s15
                                        ; implicit-def: $vgpr2
; %bb.83:                               ;   in Loop: Header=BB184_43 Depth=1
	s_andn2_saveexec_b64 s[10:11], s[0:1]
; %bb.84:                               ;   in Loop: Header=BB184_43 Depth=1
	v_or_b32_e32 v31, 0x10000, v2
	v_cmp_eq_u32_sdwa s[0:1], v2, v19 src0_sel:WORD_0 src1_sel:DWORD
	s_nop 1
	v_cndmask_b32_e64 v31, v31, v2, s[0:1]
; %bb.85:                               ;   in Loop: Header=BB184_43 Depth=1
	s_or_b64 exec, exec, s[10:11]
	v_and_b32_e32 v47, 0xffff0000, v32
	v_lshlrev_b32_e32 v2, 16, v3
	v_mul_f32_e32 v2, v47, v2
	v_and_b32_e32 v3, 0x7f800000, v2
	v_cmp_ne_u32_e64 s[0:1], s14, v3
                                        ; implicit-def: $vgpr32
	s_and_saveexec_b64 s[10:11], s[0:1]
	s_xor_b64 s[0:1], exec, s[10:11]
; %bb.86:                               ;   in Loop: Header=BB184_43 Depth=1
	v_bfe_u32 v3, v2, 16, 1
	v_add3_u32 v32, v2, v3, s15
                                        ; implicit-def: $vgpr2
; %bb.87:                               ;   in Loop: Header=BB184_43 Depth=1
	s_andn2_saveexec_b64 s[10:11], s[0:1]
; %bb.88:                               ;   in Loop: Header=BB184_43 Depth=1
	v_or_b32_e32 v3, 0x10000, v2
	v_cmp_eq_u32_sdwa s[0:1], v2, v19 src0_sel:WORD_0 src1_sel:DWORD
	s_nop 1
	v_cndmask_b32_e64 v32, v3, v2, s[0:1]
; %bb.89:                               ;   in Loop: Header=BB184_43 Depth=1
	s_or_b64 exec, exec, s[10:11]
	v_and_b32_e32 v48, 0xffff0000, v33
	v_lshlrev_b32_e32 v2, 16, v49
	v_mul_f32_e32 v2, v48, v2
	v_and_b32_e32 v3, 0x7f800000, v2
	v_cmp_ne_u32_e64 s[0:1], s14, v3
                                        ; implicit-def: $vgpr33
	s_and_saveexec_b64 s[10:11], s[0:1]
	s_xor_b64 s[0:1], exec, s[10:11]
; %bb.90:                               ;   in Loop: Header=BB184_43 Depth=1
	v_bfe_u32 v3, v2, 16, 1
	v_add3_u32 v33, v2, v3, s15
                                        ; implicit-def: $vgpr2
; %bb.91:                               ;   in Loop: Header=BB184_43 Depth=1
	s_andn2_saveexec_b64 s[10:11], s[0:1]
; %bb.92:                               ;   in Loop: Header=BB184_43 Depth=1
	v_or_b32_e32 v3, 0x10000, v2
	v_cmp_eq_u32_sdwa s[0:1], v2, v19 src0_sel:WORD_0 src1_sel:DWORD
	s_nop 1
	v_cndmask_b32_e64 v33, v3, v2, s[0:1]
; %bb.93:                               ;   in Loop: Header=BB184_43 Depth=1
	s_or_b64 exec, exec, s[10:11]
	v_and_b32_e32 v49, 0xffff0000, v34
	v_lshlrev_b32_e32 v2, 16, v4
	v_mul_f32_e32 v2, v49, v2
	v_and_b32_e32 v3, 0x7f800000, v2
	v_cmp_ne_u32_e64 s[0:1], s14, v3
                                        ; implicit-def: $vgpr34
	s_and_saveexec_b64 s[10:11], s[0:1]
	s_xor_b64 s[0:1], exec, s[10:11]
; %bb.94:                               ;   in Loop: Header=BB184_43 Depth=1
	v_bfe_u32 v3, v2, 16, 1
	v_add3_u32 v34, v2, v3, s15
                                        ; implicit-def: $vgpr2
; %bb.95:                               ;   in Loop: Header=BB184_43 Depth=1
	s_andn2_saveexec_b64 s[10:11], s[0:1]
; %bb.96:                               ;   in Loop: Header=BB184_43 Depth=1
	v_or_b32_e32 v3, 0x10000, v2
	v_cmp_eq_u32_sdwa s[0:1], v2, v19 src0_sel:WORD_0 src1_sel:DWORD
	s_nop 1
	v_cndmask_b32_e64 v34, v3, v2, s[0:1]
; %bb.97:                               ;   in Loop: Header=BB184_43 Depth=1
	s_or_b64 exec, exec, s[10:11]
	v_and_b32_e32 v50, 0xffff0000, v35
	v_lshlrev_b32_e32 v2, 16, v36
	v_mul_f32_e32 v2, v50, v2
	v_and_b32_e32 v3, 0x7f800000, v2
	v_cmp_ne_u32_e64 s[0:1], s14, v3
                                        ; implicit-def: $vgpr35
	s_and_saveexec_b64 s[10:11], s[0:1]
	s_xor_b64 s[0:1], exec, s[10:11]
; %bb.98:                               ;   in Loop: Header=BB184_43 Depth=1
	v_bfe_u32 v3, v2, 16, 1
	v_add3_u32 v35, v2, v3, s15
                                        ; implicit-def: $vgpr2
; %bb.99:                               ;   in Loop: Header=BB184_43 Depth=1
	s_andn2_saveexec_b64 s[10:11], s[0:1]
; %bb.100:                              ;   in Loop: Header=BB184_43 Depth=1
	v_or_b32_e32 v3, 0x10000, v2
	v_cmp_eq_u32_sdwa s[0:1], v2, v19 src0_sel:WORD_0 src1_sel:DWORD
	s_nop 1
	v_cndmask_b32_e64 v35, v3, v2, s[0:1]
; %bb.101:                              ;   in Loop: Header=BB184_43 Depth=1
	s_or_b64 exec, exec, s[10:11]
	v_and_b32_e32 v51, 0xffff0000, v25
	v_lshlrev_b32_e32 v2, 16, v5
	v_mul_f32_e32 v2, v51, v2
	v_and_b32_e32 v3, 0x7f800000, v2
	v_cmp_ne_u32_e64 s[0:1], s14, v3
                                        ; implicit-def: $vgpr36
	s_and_saveexec_b64 s[10:11], s[0:1]
	s_xor_b64 s[0:1], exec, s[10:11]
; %bb.102:                              ;   in Loop: Header=BB184_43 Depth=1
	v_bfe_u32 v3, v2, 16, 1
	v_add3_u32 v36, v2, v3, s15
                                        ; implicit-def: $vgpr2
; %bb.103:                              ;   in Loop: Header=BB184_43 Depth=1
	s_andn2_saveexec_b64 s[10:11], s[0:1]
; %bb.104:                              ;   in Loop: Header=BB184_43 Depth=1
	v_or_b32_e32 v3, 0x10000, v2
	v_cmp_eq_u32_sdwa s[0:1], v2, v19 src0_sel:WORD_0 src1_sel:DWORD
	s_nop 1
	v_cndmask_b32_e64 v36, v3, v2, s[0:1]
; %bb.105:                              ;   in Loop: Header=BB184_43 Depth=1
	s_or_b64 exec, exec, s[10:11]
	v_and_b32_e32 v52, 0xffff0000, v23
	v_lshlrev_b32_e32 v2, 16, v44
	v_mul_f32_e32 v2, v52, v2
	v_and_b32_e32 v3, 0x7f800000, v2
	v_cmp_ne_u32_e64 s[0:1], s14, v3
                                        ; implicit-def: $vgpr44
	s_and_saveexec_b64 s[10:11], s[0:1]
	s_xor_b64 s[0:1], exec, s[10:11]
; %bb.106:                              ;   in Loop: Header=BB184_43 Depth=1
	v_bfe_u32 v3, v2, 16, 1
	v_add3_u32 v44, v2, v3, s15
                                        ; implicit-def: $vgpr2
; %bb.107:                              ;   in Loop: Header=BB184_43 Depth=1
	s_andn2_saveexec_b64 s[10:11], s[0:1]
; %bb.108:                              ;   in Loop: Header=BB184_43 Depth=1
	v_or_b32_e32 v3, 0x10000, v2
	v_cmp_eq_u32_sdwa s[0:1], v2, v19 src0_sel:WORD_0 src1_sel:DWORD
	s_nop 1
	v_cndmask_b32_e64 v44, v3, v2, s[0:1]
; %bb.109:                              ;   in Loop: Header=BB184_43 Depth=1
	s_or_b64 exec, exec, s[10:11]
	global_load_dwordx4 v[2:5], v[8:9], off offset:1024
	s_waitcnt vmcnt(0)
	v_lshrrev_b32_e32 v54, 16, v2
	v_lshrrev_b32_e32 v56, 16, v3
	;; [unrolled: 1-line block ×4, first 2 shown]
	s_and_saveexec_b64 s[10:11], vcc
	s_cbranch_execz .LBB184_111
; %bb.110:                              ;   in Loop: Header=BB184_43 Depth=1
	v_cmp_gt_i32_e64 s[0:1], s33, v37
	s_nop 1
	v_cndmask_b32_e64 v2, 0, v2, s[0:1]
	v_cmp_gt_i32_e64 s[0:1], s33, v43
	s_nop 1
	v_cndmask_b32_e64 v54, 0, v54, s[0:1]
	;; [unrolled: 3-line block ×8, first 2 shown]
.LBB184_111:                            ;   in Loop: Header=BB184_43 Depth=1
	s_or_b64 exec, exec, s[10:11]
	v_lshlrev_b32_e32 v2, 16, v2
	v_mul_f32_e32 v2, v45, v2
	v_and_b32_e32 v53, 0x7f800000, v2
	v_cmp_ne_u32_e64 s[0:1], s14, v53
                                        ; implicit-def: $vgpr53
	s_and_saveexec_b64 s[10:11], s[0:1]
	s_xor_b64 s[0:1], exec, s[10:11]
; %bb.112:                              ;   in Loop: Header=BB184_43 Depth=1
	v_bfe_u32 v53, v2, 16, 1
	v_add3_u32 v53, v2, v53, s15
                                        ; implicit-def: $vgpr2
; %bb.113:                              ;   in Loop: Header=BB184_43 Depth=1
	s_andn2_saveexec_b64 s[10:11], s[0:1]
; %bb.114:                              ;   in Loop: Header=BB184_43 Depth=1
	v_or_b32_e32 v53, 0x10000, v2
	v_cmp_eq_u32_sdwa s[0:1], v2, v19 src0_sel:WORD_0 src1_sel:DWORD
	s_nop 1
	v_cndmask_b32_e64 v53, v53, v2, s[0:1]
; %bb.115:                              ;   in Loop: Header=BB184_43 Depth=1
	s_or_b64 exec, exec, s[10:11]
	v_lshlrev_b32_e32 v2, 16, v54
	v_mul_f32_e32 v2, v46, v2
	v_and_b32_e32 v54, 0x7f800000, v2
	v_cmp_ne_u32_e64 s[0:1], s14, v54
                                        ; implicit-def: $vgpr54
	s_and_saveexec_b64 s[10:11], s[0:1]
	s_xor_b64 s[0:1], exec, s[10:11]
; %bb.116:                              ;   in Loop: Header=BB184_43 Depth=1
	v_bfe_u32 v54, v2, 16, 1
	v_add3_u32 v54, v2, v54, s15
                                        ; implicit-def: $vgpr2
; %bb.117:                              ;   in Loop: Header=BB184_43 Depth=1
	s_andn2_saveexec_b64 s[10:11], s[0:1]
; %bb.118:                              ;   in Loop: Header=BB184_43 Depth=1
	v_or_b32_e32 v54, 0x10000, v2
	v_cmp_eq_u32_sdwa s[0:1], v2, v19 src0_sel:WORD_0 src1_sel:DWORD
	s_nop 1
	v_cndmask_b32_e64 v54, v54, v2, s[0:1]
; %bb.119:                              ;   in Loop: Header=BB184_43 Depth=1
	s_or_b64 exec, exec, s[10:11]
	v_lshlrev_b32_e32 v2, 16, v3
	v_mul_f32_e32 v2, v47, v2
	v_and_b32_e32 v3, 0x7f800000, v2
	v_cmp_ne_u32_e64 s[0:1], s14, v3
                                        ; implicit-def: $vgpr55
	s_and_saveexec_b64 s[10:11], s[0:1]
	s_xor_b64 s[0:1], exec, s[10:11]
; %bb.120:                              ;   in Loop: Header=BB184_43 Depth=1
	v_bfe_u32 v3, v2, 16, 1
	v_add3_u32 v55, v2, v3, s15
                                        ; implicit-def: $vgpr2
; %bb.121:                              ;   in Loop: Header=BB184_43 Depth=1
	s_andn2_saveexec_b64 s[10:11], s[0:1]
; %bb.122:                              ;   in Loop: Header=BB184_43 Depth=1
	v_or_b32_e32 v3, 0x10000, v2
	v_cmp_eq_u32_sdwa s[0:1], v2, v19 src0_sel:WORD_0 src1_sel:DWORD
	s_nop 1
	v_cndmask_b32_e64 v55, v3, v2, s[0:1]
; %bb.123:                              ;   in Loop: Header=BB184_43 Depth=1
	s_or_b64 exec, exec, s[10:11]
	v_lshlrev_b32_e32 v2, 16, v56
	v_mul_f32_e32 v2, v48, v2
	v_and_b32_e32 v3, 0x7f800000, v2
	v_cmp_ne_u32_e64 s[0:1], s14, v3
                                        ; implicit-def: $vgpr56
	s_and_saveexec_b64 s[10:11], s[0:1]
	s_xor_b64 s[0:1], exec, s[10:11]
; %bb.124:                              ;   in Loop: Header=BB184_43 Depth=1
	v_bfe_u32 v3, v2, 16, 1
	v_add3_u32 v56, v2, v3, s15
                                        ; implicit-def: $vgpr2
; %bb.125:                              ;   in Loop: Header=BB184_43 Depth=1
	s_andn2_saveexec_b64 s[10:11], s[0:1]
; %bb.126:                              ;   in Loop: Header=BB184_43 Depth=1
	v_or_b32_e32 v3, 0x10000, v2
	v_cmp_eq_u32_sdwa s[0:1], v2, v19 src0_sel:WORD_0 src1_sel:DWORD
	s_nop 1
	v_cndmask_b32_e64 v56, v3, v2, s[0:1]
; %bb.127:                              ;   in Loop: Header=BB184_43 Depth=1
	s_or_b64 exec, exec, s[10:11]
	v_lshlrev_b32_e32 v2, 16, v4
	v_mul_f32_e32 v2, v49, v2
	v_and_b32_e32 v3, 0x7f800000, v2
	v_cmp_ne_u32_e64 s[0:1], s14, v3
                                        ; implicit-def: $vgpr57
	s_and_saveexec_b64 s[10:11], s[0:1]
	s_xor_b64 s[0:1], exec, s[10:11]
; %bb.128:                              ;   in Loop: Header=BB184_43 Depth=1
	v_bfe_u32 v3, v2, 16, 1
	v_add3_u32 v57, v2, v3, s15
                                        ; implicit-def: $vgpr2
; %bb.129:                              ;   in Loop: Header=BB184_43 Depth=1
	s_andn2_saveexec_b64 s[10:11], s[0:1]
; %bb.130:                              ;   in Loop: Header=BB184_43 Depth=1
	v_or_b32_e32 v3, 0x10000, v2
	v_cmp_eq_u32_sdwa s[0:1], v2, v19 src0_sel:WORD_0 src1_sel:DWORD
	s_nop 1
	v_cndmask_b32_e64 v57, v3, v2, s[0:1]
; %bb.131:                              ;   in Loop: Header=BB184_43 Depth=1
	s_or_b64 exec, exec, s[10:11]
	v_lshlrev_b32_e32 v2, 16, v25
	v_mul_f32_e32 v2, v50, v2
	v_and_b32_e32 v3, 0x7f800000, v2
	v_cmp_ne_u32_e64 s[0:1], s14, v3
                                        ; implicit-def: $vgpr58
	s_and_saveexec_b64 s[10:11], s[0:1]
	s_xor_b64 s[0:1], exec, s[10:11]
; %bb.132:                              ;   in Loop: Header=BB184_43 Depth=1
	v_bfe_u32 v3, v2, 16, 1
	v_add3_u32 v58, v2, v3, s15
                                        ; implicit-def: $vgpr2
; %bb.133:                              ;   in Loop: Header=BB184_43 Depth=1
	s_andn2_saveexec_b64 s[10:11], s[0:1]
; %bb.134:                              ;   in Loop: Header=BB184_43 Depth=1
	v_or_b32_e32 v3, 0x10000, v2
	v_cmp_eq_u32_sdwa s[0:1], v2, v19 src0_sel:WORD_0 src1_sel:DWORD
	s_nop 1
	v_cndmask_b32_e64 v58, v3, v2, s[0:1]
; %bb.135:                              ;   in Loop: Header=BB184_43 Depth=1
	s_or_b64 exec, exec, s[10:11]
	v_lshlrev_b32_e32 v2, 16, v5
	v_mul_f32_e32 v2, v51, v2
	v_and_b32_e32 v3, 0x7f800000, v2
	v_cmp_ne_u32_e64 s[0:1], s14, v3
                                        ; implicit-def: $vgpr59
	s_and_saveexec_b64 s[10:11], s[0:1]
	s_xor_b64 s[0:1], exec, s[10:11]
; %bb.136:                              ;   in Loop: Header=BB184_43 Depth=1
	v_bfe_u32 v3, v2, 16, 1
	v_add3_u32 v59, v2, v3, s15
                                        ; implicit-def: $vgpr2
; %bb.137:                              ;   in Loop: Header=BB184_43 Depth=1
	s_andn2_saveexec_b64 s[10:11], s[0:1]
; %bb.138:                              ;   in Loop: Header=BB184_43 Depth=1
	v_or_b32_e32 v3, 0x10000, v2
	v_cmp_eq_u32_sdwa s[0:1], v2, v19 src0_sel:WORD_0 src1_sel:DWORD
	s_nop 1
	v_cndmask_b32_e64 v59, v3, v2, s[0:1]
; %bb.139:                              ;   in Loop: Header=BB184_43 Depth=1
	s_or_b64 exec, exec, s[10:11]
	v_lshlrev_b32_e32 v2, 16, v23
	v_mul_f32_e32 v2, v52, v2
	v_and_b32_e32 v3, 0x7f800000, v2
	v_cmp_ne_u32_e64 s[0:1], s14, v3
                                        ; implicit-def: $vgpr60
	s_and_saveexec_b64 s[10:11], s[0:1]
	s_xor_b64 s[0:1], exec, s[10:11]
; %bb.140:                              ;   in Loop: Header=BB184_43 Depth=1
	v_bfe_u32 v3, v2, 16, 1
	v_add3_u32 v60, v2, v3, s15
                                        ; implicit-def: $vgpr2
; %bb.141:                              ;   in Loop: Header=BB184_43 Depth=1
	s_andn2_saveexec_b64 s[10:11], s[0:1]
; %bb.142:                              ;   in Loop: Header=BB184_43 Depth=1
	v_or_b32_e32 v3, 0x10000, v2
	v_cmp_eq_u32_sdwa s[0:1], v2, v19 src0_sel:WORD_0 src1_sel:DWORD
	s_nop 1
	v_cndmask_b32_e64 v60, v3, v2, s[0:1]
; %bb.143:                              ;   in Loop: Header=BB184_43 Depth=1
	s_or_b64 exec, exec, s[10:11]
	global_load_dwordx4 v[2:5], v[8:9], off offset:2048
	s_waitcnt vmcnt(0)
	v_lshrrev_b32_e32 v62, 16, v2
	v_lshrrev_b32_e32 v64, 16, v3
	;; [unrolled: 1-line block ×4, first 2 shown]
	s_and_saveexec_b64 s[10:11], vcc
	s_cbranch_execz .LBB184_145
; %bb.144:                              ;   in Loop: Header=BB184_43 Depth=1
	v_cmp_gt_i32_e64 s[0:1], s33, v37
	s_nop 1
	v_cndmask_b32_e64 v2, 0, v2, s[0:1]
	v_cmp_gt_i32_e64 s[0:1], s33, v43
	s_nop 1
	v_cndmask_b32_e64 v62, 0, v62, s[0:1]
	;; [unrolled: 3-line block ×8, first 2 shown]
.LBB184_145:                            ;   in Loop: Header=BB184_43 Depth=1
	s_or_b64 exec, exec, s[10:11]
	v_lshlrev_b32_e32 v2, 16, v2
	v_mul_f32_e32 v2, v45, v2
	v_and_b32_e32 v61, 0x7f800000, v2
	v_cmp_ne_u32_e64 s[0:1], s14, v61
                                        ; implicit-def: $vgpr61
	s_and_saveexec_b64 s[10:11], s[0:1]
	s_xor_b64 s[0:1], exec, s[10:11]
; %bb.146:                              ;   in Loop: Header=BB184_43 Depth=1
	v_bfe_u32 v61, v2, 16, 1
	v_add3_u32 v61, v2, v61, s15
                                        ; implicit-def: $vgpr2
; %bb.147:                              ;   in Loop: Header=BB184_43 Depth=1
	s_andn2_saveexec_b64 s[10:11], s[0:1]
; %bb.148:                              ;   in Loop: Header=BB184_43 Depth=1
	v_or_b32_e32 v61, 0x10000, v2
	v_cmp_eq_u32_sdwa s[0:1], v2, v19 src0_sel:WORD_0 src1_sel:DWORD
	s_nop 1
	v_cndmask_b32_e64 v61, v61, v2, s[0:1]
; %bb.149:                              ;   in Loop: Header=BB184_43 Depth=1
	s_or_b64 exec, exec, s[10:11]
	v_lshlrev_b32_e32 v2, 16, v62
	v_mul_f32_e32 v2, v46, v2
	v_and_b32_e32 v62, 0x7f800000, v2
	v_cmp_ne_u32_e64 s[0:1], s14, v62
                                        ; implicit-def: $vgpr62
	s_and_saveexec_b64 s[10:11], s[0:1]
	s_xor_b64 s[0:1], exec, s[10:11]
; %bb.150:                              ;   in Loop: Header=BB184_43 Depth=1
	v_bfe_u32 v62, v2, 16, 1
	v_add3_u32 v62, v2, v62, s15
                                        ; implicit-def: $vgpr2
; %bb.151:                              ;   in Loop: Header=BB184_43 Depth=1
	s_andn2_saveexec_b64 s[10:11], s[0:1]
; %bb.152:                              ;   in Loop: Header=BB184_43 Depth=1
	v_or_b32_e32 v62, 0x10000, v2
	v_cmp_eq_u32_sdwa s[0:1], v2, v19 src0_sel:WORD_0 src1_sel:DWORD
	s_nop 1
	v_cndmask_b32_e64 v62, v62, v2, s[0:1]
; %bb.153:                              ;   in Loop: Header=BB184_43 Depth=1
	s_or_b64 exec, exec, s[10:11]
	v_lshlrev_b32_e32 v2, 16, v3
	v_mul_f32_e32 v2, v47, v2
	v_and_b32_e32 v3, 0x7f800000, v2
	v_cmp_ne_u32_e64 s[0:1], s14, v3
                                        ; implicit-def: $vgpr63
	s_and_saveexec_b64 s[10:11], s[0:1]
	s_xor_b64 s[0:1], exec, s[10:11]
; %bb.154:                              ;   in Loop: Header=BB184_43 Depth=1
	v_bfe_u32 v3, v2, 16, 1
	v_add3_u32 v63, v2, v3, s15
                                        ; implicit-def: $vgpr2
; %bb.155:                              ;   in Loop: Header=BB184_43 Depth=1
	s_andn2_saveexec_b64 s[10:11], s[0:1]
; %bb.156:                              ;   in Loop: Header=BB184_43 Depth=1
	v_or_b32_e32 v3, 0x10000, v2
	v_cmp_eq_u32_sdwa s[0:1], v2, v19 src0_sel:WORD_0 src1_sel:DWORD
	s_nop 1
	v_cndmask_b32_e64 v63, v3, v2, s[0:1]
; %bb.157:                              ;   in Loop: Header=BB184_43 Depth=1
	s_or_b64 exec, exec, s[10:11]
	v_lshlrev_b32_e32 v2, 16, v64
	v_mul_f32_e32 v2, v48, v2
	v_and_b32_e32 v3, 0x7f800000, v2
	v_cmp_ne_u32_e64 s[0:1], s14, v3
                                        ; implicit-def: $vgpr64
	s_and_saveexec_b64 s[10:11], s[0:1]
	s_xor_b64 s[0:1], exec, s[10:11]
; %bb.158:                              ;   in Loop: Header=BB184_43 Depth=1
	v_bfe_u32 v3, v2, 16, 1
	v_add3_u32 v64, v2, v3, s15
                                        ; implicit-def: $vgpr2
; %bb.159:                              ;   in Loop: Header=BB184_43 Depth=1
	s_andn2_saveexec_b64 s[10:11], s[0:1]
; %bb.160:                              ;   in Loop: Header=BB184_43 Depth=1
	v_or_b32_e32 v3, 0x10000, v2
	v_cmp_eq_u32_sdwa s[0:1], v2, v19 src0_sel:WORD_0 src1_sel:DWORD
	s_nop 1
	v_cndmask_b32_e64 v64, v3, v2, s[0:1]
; %bb.161:                              ;   in Loop: Header=BB184_43 Depth=1
	s_or_b64 exec, exec, s[10:11]
	v_lshlrev_b32_e32 v2, 16, v4
	v_mul_f32_e32 v2, v49, v2
	v_and_b32_e32 v3, 0x7f800000, v2
	v_cmp_ne_u32_e64 s[0:1], s14, v3
                                        ; implicit-def: $vgpr65
	s_and_saveexec_b64 s[10:11], s[0:1]
	s_xor_b64 s[0:1], exec, s[10:11]
; %bb.162:                              ;   in Loop: Header=BB184_43 Depth=1
	v_bfe_u32 v3, v2, 16, 1
	v_add3_u32 v65, v2, v3, s15
                                        ; implicit-def: $vgpr2
; %bb.163:                              ;   in Loop: Header=BB184_43 Depth=1
	s_andn2_saveexec_b64 s[10:11], s[0:1]
; %bb.164:                              ;   in Loop: Header=BB184_43 Depth=1
	v_or_b32_e32 v3, 0x10000, v2
	v_cmp_eq_u32_sdwa s[0:1], v2, v19 src0_sel:WORD_0 src1_sel:DWORD
	s_nop 1
	v_cndmask_b32_e64 v65, v3, v2, s[0:1]
; %bb.165:                              ;   in Loop: Header=BB184_43 Depth=1
	s_or_b64 exec, exec, s[10:11]
	v_lshlrev_b32_e32 v2, 16, v25
	v_mul_f32_e32 v2, v50, v2
	v_and_b32_e32 v3, 0x7f800000, v2
	v_cmp_ne_u32_e64 s[0:1], s14, v3
                                        ; implicit-def: $vgpr66
	s_and_saveexec_b64 s[10:11], s[0:1]
	s_xor_b64 s[0:1], exec, s[10:11]
; %bb.166:                              ;   in Loop: Header=BB184_43 Depth=1
	v_bfe_u32 v3, v2, 16, 1
	v_add3_u32 v66, v2, v3, s15
                                        ; implicit-def: $vgpr2
; %bb.167:                              ;   in Loop: Header=BB184_43 Depth=1
	s_andn2_saveexec_b64 s[10:11], s[0:1]
; %bb.168:                              ;   in Loop: Header=BB184_43 Depth=1
	v_or_b32_e32 v3, 0x10000, v2
	v_cmp_eq_u32_sdwa s[0:1], v2, v19 src0_sel:WORD_0 src1_sel:DWORD
	s_nop 1
	v_cndmask_b32_e64 v66, v3, v2, s[0:1]
; %bb.169:                              ;   in Loop: Header=BB184_43 Depth=1
	s_or_b64 exec, exec, s[10:11]
	v_lshlrev_b32_e32 v2, 16, v5
	v_mul_f32_e32 v2, v51, v2
	v_and_b32_e32 v3, 0x7f800000, v2
	v_cmp_ne_u32_e64 s[0:1], s14, v3
                                        ; implicit-def: $vgpr67
	s_and_saveexec_b64 s[10:11], s[0:1]
	s_xor_b64 s[0:1], exec, s[10:11]
; %bb.170:                              ;   in Loop: Header=BB184_43 Depth=1
	v_bfe_u32 v3, v2, 16, 1
	v_add3_u32 v67, v2, v3, s15
                                        ; implicit-def: $vgpr2
; %bb.171:                              ;   in Loop: Header=BB184_43 Depth=1
	s_andn2_saveexec_b64 s[10:11], s[0:1]
; %bb.172:                              ;   in Loop: Header=BB184_43 Depth=1
	v_or_b32_e32 v3, 0x10000, v2
	v_cmp_eq_u32_sdwa s[0:1], v2, v19 src0_sel:WORD_0 src1_sel:DWORD
	s_nop 1
	v_cndmask_b32_e64 v67, v3, v2, s[0:1]
; %bb.173:                              ;   in Loop: Header=BB184_43 Depth=1
	s_or_b64 exec, exec, s[10:11]
	v_lshlrev_b32_e32 v2, 16, v23
	v_mul_f32_e32 v2, v52, v2
	v_and_b32_e32 v3, 0x7f800000, v2
	v_cmp_ne_u32_e64 s[0:1], s14, v3
                                        ; implicit-def: $vgpr68
	s_and_saveexec_b64 s[10:11], s[0:1]
	s_xor_b64 s[0:1], exec, s[10:11]
; %bb.174:                              ;   in Loop: Header=BB184_43 Depth=1
	v_bfe_u32 v3, v2, 16, 1
	v_add3_u32 v68, v2, v3, s15
                                        ; implicit-def: $vgpr2
; %bb.175:                              ;   in Loop: Header=BB184_43 Depth=1
	s_andn2_saveexec_b64 s[10:11], s[0:1]
; %bb.176:                              ;   in Loop: Header=BB184_43 Depth=1
	v_or_b32_e32 v3, 0x10000, v2
	v_cmp_eq_u32_sdwa s[0:1], v2, v19 src0_sel:WORD_0 src1_sel:DWORD
	s_nop 1
	v_cndmask_b32_e64 v68, v3, v2, s[0:1]
; %bb.177:                              ;   in Loop: Header=BB184_43 Depth=1
	s_or_b64 exec, exec, s[10:11]
	global_load_dwordx4 v[2:5], v[8:9], off offset:3072
	s_waitcnt vmcnt(0)
	v_lshrrev_b32_e32 v9, 16, v2
	v_lshrrev_b32_e32 v70, 16, v3
	;; [unrolled: 1-line block ×4, first 2 shown]
	s_and_saveexec_b64 s[10:11], vcc
	s_cbranch_execz .LBB184_179
; %bb.178:                              ;   in Loop: Header=BB184_43 Depth=1
	v_cmp_gt_i32_e64 s[0:1], s33, v37
	s_nop 1
	v_cndmask_b32_e64 v2, 0, v2, s[0:1]
	v_cmp_gt_i32_e64 s[0:1], s33, v43
	s_nop 1
	v_cndmask_b32_e64 v9, 0, v9, s[0:1]
	;; [unrolled: 3-line block ×8, first 2 shown]
.LBB184_179:                            ;   in Loop: Header=BB184_43 Depth=1
	s_or_b64 exec, exec, s[10:11]
	v_lshlrev_b32_e32 v2, 16, v2
	v_mul_f32_e32 v2, v45, v2
	v_and_b32_e32 v8, 0x7f800000, v2
	v_cmp_ne_u32_e64 s[0:1], s14, v8
                                        ; implicit-def: $vgpr8
	s_and_saveexec_b64 s[10:11], s[0:1]
	s_xor_b64 s[0:1], exec, s[10:11]
; %bb.180:                              ;   in Loop: Header=BB184_43 Depth=1
	v_bfe_u32 v8, v2, 16, 1
	v_add3_u32 v8, v2, v8, s15
                                        ; implicit-def: $vgpr2
; %bb.181:                              ;   in Loop: Header=BB184_43 Depth=1
	s_andn2_saveexec_b64 s[10:11], s[0:1]
; %bb.182:                              ;   in Loop: Header=BB184_43 Depth=1
	v_or_b32_e32 v8, 0x10000, v2
	v_cmp_eq_u32_sdwa s[0:1], v2, v19 src0_sel:WORD_0 src1_sel:DWORD
	s_nop 1
	v_cndmask_b32_e64 v8, v8, v2, s[0:1]
; %bb.183:                              ;   in Loop: Header=BB184_43 Depth=1
	s_or_b64 exec, exec, s[10:11]
	v_lshlrev_b32_e32 v2, 16, v9
	v_mul_f32_e32 v2, v46, v2
	v_and_b32_e32 v9, 0x7f800000, v2
	v_cmp_ne_u32_e64 s[0:1], s14, v9
                                        ; implicit-def: $vgpr9
	s_and_saveexec_b64 s[10:11], s[0:1]
	s_xor_b64 s[0:1], exec, s[10:11]
; %bb.184:                              ;   in Loop: Header=BB184_43 Depth=1
	v_bfe_u32 v9, v2, 16, 1
	v_add3_u32 v9, v2, v9, s15
                                        ; implicit-def: $vgpr2
; %bb.185:                              ;   in Loop: Header=BB184_43 Depth=1
	s_andn2_saveexec_b64 s[10:11], s[0:1]
; %bb.186:                              ;   in Loop: Header=BB184_43 Depth=1
	v_or_b32_e32 v9, 0x10000, v2
	v_cmp_eq_u32_sdwa s[0:1], v2, v19 src0_sel:WORD_0 src1_sel:DWORD
	s_nop 1
	v_cndmask_b32_e64 v9, v9, v2, s[0:1]
; %bb.187:                              ;   in Loop: Header=BB184_43 Depth=1
	s_or_b64 exec, exec, s[10:11]
	v_lshlrev_b32_e32 v2, 16, v3
	v_mul_f32_e32 v2, v47, v2
	v_and_b32_e32 v3, 0x7f800000, v2
	v_cmp_ne_u32_e64 s[0:1], s14, v3
                                        ; implicit-def: $vgpr69
	s_and_saveexec_b64 s[10:11], s[0:1]
	s_xor_b64 s[0:1], exec, s[10:11]
; %bb.188:                              ;   in Loop: Header=BB184_43 Depth=1
	v_bfe_u32 v3, v2, 16, 1
	v_add3_u32 v69, v2, v3, s15
                                        ; implicit-def: $vgpr2
; %bb.189:                              ;   in Loop: Header=BB184_43 Depth=1
	s_andn2_saveexec_b64 s[10:11], s[0:1]
; %bb.190:                              ;   in Loop: Header=BB184_43 Depth=1
	v_or_b32_e32 v3, 0x10000, v2
	v_cmp_eq_u32_sdwa s[0:1], v2, v19 src0_sel:WORD_0 src1_sel:DWORD
	s_nop 1
	v_cndmask_b32_e64 v69, v3, v2, s[0:1]
; %bb.191:                              ;   in Loop: Header=BB184_43 Depth=1
	s_or_b64 exec, exec, s[10:11]
	v_lshlrev_b32_e32 v2, 16, v70
	v_mul_f32_e32 v2, v48, v2
	v_and_b32_e32 v3, 0x7f800000, v2
	v_cmp_ne_u32_e64 s[0:1], s14, v3
                                        ; implicit-def: $vgpr70
	s_and_saveexec_b64 s[10:11], s[0:1]
	s_xor_b64 s[0:1], exec, s[10:11]
; %bb.192:                              ;   in Loop: Header=BB184_43 Depth=1
	v_bfe_u32 v3, v2, 16, 1
	v_add3_u32 v70, v2, v3, s15
                                        ; implicit-def: $vgpr2
; %bb.193:                              ;   in Loop: Header=BB184_43 Depth=1
	s_andn2_saveexec_b64 s[10:11], s[0:1]
; %bb.194:                              ;   in Loop: Header=BB184_43 Depth=1
	v_or_b32_e32 v3, 0x10000, v2
	v_cmp_eq_u32_sdwa s[0:1], v2, v19 src0_sel:WORD_0 src1_sel:DWORD
	s_nop 1
	v_cndmask_b32_e64 v70, v3, v2, s[0:1]
; %bb.195:                              ;   in Loop: Header=BB184_43 Depth=1
	s_or_b64 exec, exec, s[10:11]
	v_lshlrev_b32_e32 v2, 16, v4
	v_mul_f32_e32 v2, v49, v2
	v_and_b32_e32 v3, 0x7f800000, v2
	v_cmp_ne_u32_e64 s[0:1], s14, v3
                                        ; implicit-def: $vgpr71
	s_and_saveexec_b64 s[10:11], s[0:1]
	s_xor_b64 s[0:1], exec, s[10:11]
; %bb.196:                              ;   in Loop: Header=BB184_43 Depth=1
	v_bfe_u32 v3, v2, 16, 1
	v_add3_u32 v71, v2, v3, s15
                                        ; implicit-def: $vgpr2
; %bb.197:                              ;   in Loop: Header=BB184_43 Depth=1
	s_andn2_saveexec_b64 s[10:11], s[0:1]
; %bb.198:                              ;   in Loop: Header=BB184_43 Depth=1
	v_or_b32_e32 v3, 0x10000, v2
	v_cmp_eq_u32_sdwa s[0:1], v2, v19 src0_sel:WORD_0 src1_sel:DWORD
	s_nop 1
	v_cndmask_b32_e64 v71, v3, v2, s[0:1]
; %bb.199:                              ;   in Loop: Header=BB184_43 Depth=1
	s_or_b64 exec, exec, s[10:11]
	v_lshlrev_b32_e32 v2, 16, v25
	v_mul_f32_e32 v2, v50, v2
	v_and_b32_e32 v3, 0x7f800000, v2
	v_cmp_ne_u32_e64 s[0:1], s14, v3
                                        ; implicit-def: $vgpr72
	s_and_saveexec_b64 s[10:11], s[0:1]
	s_xor_b64 s[0:1], exec, s[10:11]
; %bb.200:                              ;   in Loop: Header=BB184_43 Depth=1
	v_bfe_u32 v3, v2, 16, 1
	v_add3_u32 v72, v2, v3, s15
                                        ; implicit-def: $vgpr2
; %bb.201:                              ;   in Loop: Header=BB184_43 Depth=1
	s_andn2_saveexec_b64 s[10:11], s[0:1]
; %bb.202:                              ;   in Loop: Header=BB184_43 Depth=1
	v_or_b32_e32 v3, 0x10000, v2
	v_cmp_eq_u32_sdwa s[0:1], v2, v19 src0_sel:WORD_0 src1_sel:DWORD
	s_nop 1
	v_cndmask_b32_e64 v72, v3, v2, s[0:1]
; %bb.203:                              ;   in Loop: Header=BB184_43 Depth=1
	s_or_b64 exec, exec, s[10:11]
	v_lshlrev_b32_e32 v2, 16, v5
	v_mul_f32_e32 v2, v51, v2
	v_and_b32_e32 v3, 0x7f800000, v2
	v_cmp_ne_u32_e64 s[0:1], s14, v3
                                        ; implicit-def: $vgpr73
	s_and_saveexec_b64 s[10:11], s[0:1]
	s_xor_b64 s[0:1], exec, s[10:11]
; %bb.204:                              ;   in Loop: Header=BB184_43 Depth=1
	v_bfe_u32 v3, v2, 16, 1
	v_add3_u32 v73, v2, v3, s15
                                        ; implicit-def: $vgpr2
; %bb.205:                              ;   in Loop: Header=BB184_43 Depth=1
	s_andn2_saveexec_b64 s[10:11], s[0:1]
; %bb.206:                              ;   in Loop: Header=BB184_43 Depth=1
	v_or_b32_e32 v3, 0x10000, v2
	v_cmp_eq_u32_sdwa s[0:1], v2, v19 src0_sel:WORD_0 src1_sel:DWORD
	s_nop 1
	v_cndmask_b32_e64 v73, v3, v2, s[0:1]
; %bb.207:                              ;   in Loop: Header=BB184_43 Depth=1
	s_or_b64 exec, exec, s[10:11]
	v_lshlrev_b32_e32 v2, 16, v23
	v_mul_f32_e32 v2, v52, v2
	v_and_b32_e32 v3, 0x7f800000, v2
	v_cmp_ne_u32_e64 s[0:1], s14, v3
                                        ; implicit-def: $vgpr74
	s_and_saveexec_b64 s[10:11], s[0:1]
	s_xor_b64 s[0:1], exec, s[10:11]
; %bb.208:                              ;   in Loop: Header=BB184_43 Depth=1
	v_bfe_u32 v3, v2, 16, 1
	v_add3_u32 v74, v2, v3, s15
                                        ; implicit-def: $vgpr2
; %bb.209:                              ;   in Loop: Header=BB184_43 Depth=1
	s_andn2_saveexec_b64 s[10:11], s[0:1]
; %bb.210:                              ;   in Loop: Header=BB184_43 Depth=1
	v_or_b32_e32 v3, 0x10000, v2
	v_cmp_eq_u32_sdwa s[0:1], v2, v19 src0_sel:WORD_0 src1_sel:DWORD
	s_nop 1
	v_cndmask_b32_e64 v74, v3, v2, s[0:1]
; %bb.211:                              ;   in Loop: Header=BB184_43 Depth=1
	s_or_b64 exec, exec, s[10:11]
	v_mov_b32_e32 v23, v19
	v_lshl_add_u64 v[2:3], v[6:7], 0, v[22:23]
	global_load_dwordx4 v[2:5], v[2:3], off
	s_waitcnt vmcnt(0)
	v_lshrrev_b32_e32 v75, 16, v2
	v_lshrrev_b32_e32 v77, 16, v3
	;; [unrolled: 1-line block ×4, first 2 shown]
	s_and_saveexec_b64 s[10:11], vcc
	s_cbranch_execz .LBB184_213
; %bb.212:                              ;   in Loop: Header=BB184_43 Depth=1
	v_cmp_gt_i32_e64 s[0:1], s33, v37
	s_nop 1
	v_cndmask_b32_e64 v2, 0, v2, s[0:1]
	v_cmp_gt_i32_e64 s[0:1], s33, v43
	s_nop 1
	v_cndmask_b32_e64 v75, 0, v75, s[0:1]
	;; [unrolled: 3-line block ×8, first 2 shown]
.LBB184_213:                            ;   in Loop: Header=BB184_43 Depth=1
	s_or_b64 exec, exec, s[10:11]
	v_lshlrev_b32_e32 v2, 16, v2
	v_mul_f32_e32 v2, v45, v2
	v_and_b32_e32 v23, 0x7f800000, v2
	v_cmp_ne_u32_e64 s[0:1], s14, v23
                                        ; implicit-def: $vgpr23
	s_and_saveexec_b64 s[10:11], s[0:1]
	s_xor_b64 s[0:1], exec, s[10:11]
; %bb.214:                              ;   in Loop: Header=BB184_43 Depth=1
	v_bfe_u32 v23, v2, 16, 1
	v_add3_u32 v23, v2, v23, s15
                                        ; implicit-def: $vgpr2
; %bb.215:                              ;   in Loop: Header=BB184_43 Depth=1
	s_andn2_saveexec_b64 s[10:11], s[0:1]
; %bb.216:                              ;   in Loop: Header=BB184_43 Depth=1
	v_or_b32_e32 v23, 0x10000, v2
	v_cmp_eq_u32_sdwa s[0:1], v2, v19 src0_sel:WORD_0 src1_sel:DWORD
	s_nop 1
	v_cndmask_b32_e64 v23, v23, v2, s[0:1]
; %bb.217:                              ;   in Loop: Header=BB184_43 Depth=1
	s_or_b64 exec, exec, s[10:11]
	v_lshlrev_b32_e32 v2, 16, v75
	v_mul_f32_e32 v2, v46, v2
	v_and_b32_e32 v75, 0x7f800000, v2
	v_cmp_ne_u32_e64 s[0:1], s14, v75
                                        ; implicit-def: $vgpr75
	s_and_saveexec_b64 s[10:11], s[0:1]
	s_xor_b64 s[0:1], exec, s[10:11]
; %bb.218:                              ;   in Loop: Header=BB184_43 Depth=1
	v_bfe_u32 v75, v2, 16, 1
	v_add3_u32 v75, v2, v75, s15
                                        ; implicit-def: $vgpr2
; %bb.219:                              ;   in Loop: Header=BB184_43 Depth=1
	s_andn2_saveexec_b64 s[10:11], s[0:1]
; %bb.220:                              ;   in Loop: Header=BB184_43 Depth=1
	v_or_b32_e32 v75, 0x10000, v2
	v_cmp_eq_u32_sdwa s[0:1], v2, v19 src0_sel:WORD_0 src1_sel:DWORD
	s_nop 1
	v_cndmask_b32_e64 v75, v75, v2, s[0:1]
; %bb.221:                              ;   in Loop: Header=BB184_43 Depth=1
	s_or_b64 exec, exec, s[10:11]
	v_lshlrev_b32_e32 v2, 16, v3
	v_mul_f32_e32 v2, v47, v2
	v_and_b32_e32 v3, 0x7f800000, v2
	v_cmp_ne_u32_e64 s[0:1], s14, v3
                                        ; implicit-def: $vgpr76
	s_and_saveexec_b64 s[10:11], s[0:1]
	s_xor_b64 s[0:1], exec, s[10:11]
; %bb.222:                              ;   in Loop: Header=BB184_43 Depth=1
	v_bfe_u32 v3, v2, 16, 1
	v_add3_u32 v76, v2, v3, s15
                                        ; implicit-def: $vgpr2
; %bb.223:                              ;   in Loop: Header=BB184_43 Depth=1
	s_andn2_saveexec_b64 s[10:11], s[0:1]
; %bb.224:                              ;   in Loop: Header=BB184_43 Depth=1
	v_or_b32_e32 v3, 0x10000, v2
	v_cmp_eq_u32_sdwa s[0:1], v2, v19 src0_sel:WORD_0 src1_sel:DWORD
	s_nop 1
	v_cndmask_b32_e64 v76, v3, v2, s[0:1]
; %bb.225:                              ;   in Loop: Header=BB184_43 Depth=1
	s_or_b64 exec, exec, s[10:11]
	v_lshlrev_b32_e32 v2, 16, v77
	v_mul_f32_e32 v2, v48, v2
	v_and_b32_e32 v3, 0x7f800000, v2
	v_cmp_ne_u32_e64 s[0:1], s14, v3
                                        ; implicit-def: $vgpr77
	s_and_saveexec_b64 s[10:11], s[0:1]
	s_xor_b64 s[0:1], exec, s[10:11]
; %bb.226:                              ;   in Loop: Header=BB184_43 Depth=1
	v_bfe_u32 v3, v2, 16, 1
	v_add3_u32 v77, v2, v3, s15
                                        ; implicit-def: $vgpr2
; %bb.227:                              ;   in Loop: Header=BB184_43 Depth=1
	s_andn2_saveexec_b64 s[10:11], s[0:1]
; %bb.228:                              ;   in Loop: Header=BB184_43 Depth=1
	v_or_b32_e32 v3, 0x10000, v2
	v_cmp_eq_u32_sdwa s[0:1], v2, v19 src0_sel:WORD_0 src1_sel:DWORD
	s_nop 1
	v_cndmask_b32_e64 v77, v3, v2, s[0:1]
; %bb.229:                              ;   in Loop: Header=BB184_43 Depth=1
	s_or_b64 exec, exec, s[10:11]
	v_lshlrev_b32_e32 v2, 16, v4
	v_mul_f32_e32 v2, v49, v2
	v_and_b32_e32 v3, 0x7f800000, v2
	v_cmp_ne_u32_e64 s[0:1], s14, v3
                                        ; implicit-def: $vgpr78
	s_and_saveexec_b64 s[10:11], s[0:1]
	s_xor_b64 s[0:1], exec, s[10:11]
; %bb.230:                              ;   in Loop: Header=BB184_43 Depth=1
	v_bfe_u32 v3, v2, 16, 1
	v_add3_u32 v78, v2, v3, s15
                                        ; implicit-def: $vgpr2
; %bb.231:                              ;   in Loop: Header=BB184_43 Depth=1
	s_andn2_saveexec_b64 s[10:11], s[0:1]
; %bb.232:                              ;   in Loop: Header=BB184_43 Depth=1
	v_or_b32_e32 v3, 0x10000, v2
	v_cmp_eq_u32_sdwa s[0:1], v2, v19 src0_sel:WORD_0 src1_sel:DWORD
	s_nop 1
	v_cndmask_b32_e64 v78, v3, v2, s[0:1]
; %bb.233:                              ;   in Loop: Header=BB184_43 Depth=1
	s_or_b64 exec, exec, s[10:11]
	v_lshlrev_b32_e32 v2, 16, v79
	v_mul_f32_e32 v2, v50, v2
	v_and_b32_e32 v3, 0x7f800000, v2
	v_cmp_ne_u32_e64 s[0:1], s14, v3
                                        ; implicit-def: $vgpr79
	s_and_saveexec_b64 s[10:11], s[0:1]
	s_xor_b64 s[0:1], exec, s[10:11]
; %bb.234:                              ;   in Loop: Header=BB184_43 Depth=1
	v_bfe_u32 v3, v2, 16, 1
	v_add3_u32 v79, v2, v3, s15
                                        ; implicit-def: $vgpr2
; %bb.235:                              ;   in Loop: Header=BB184_43 Depth=1
	s_andn2_saveexec_b64 s[10:11], s[0:1]
; %bb.236:                              ;   in Loop: Header=BB184_43 Depth=1
	v_or_b32_e32 v3, 0x10000, v2
	v_cmp_eq_u32_sdwa s[0:1], v2, v19 src0_sel:WORD_0 src1_sel:DWORD
	s_nop 1
	v_cndmask_b32_e64 v79, v3, v2, s[0:1]
; %bb.237:                              ;   in Loop: Header=BB184_43 Depth=1
	s_or_b64 exec, exec, s[10:11]
	v_lshlrev_b32_e32 v2, 16, v5
	v_mul_f32_e32 v2, v51, v2
	v_and_b32_e32 v3, 0x7f800000, v2
	v_cmp_ne_u32_e64 s[0:1], s14, v3
                                        ; implicit-def: $vgpr80
	s_and_saveexec_b64 s[10:11], s[0:1]
	s_xor_b64 s[0:1], exec, s[10:11]
; %bb.238:                              ;   in Loop: Header=BB184_43 Depth=1
	v_bfe_u32 v3, v2, 16, 1
	v_add3_u32 v80, v2, v3, s15
                                        ; implicit-def: $vgpr2
; %bb.239:                              ;   in Loop: Header=BB184_43 Depth=1
	s_andn2_saveexec_b64 s[10:11], s[0:1]
; %bb.240:                              ;   in Loop: Header=BB184_43 Depth=1
	v_or_b32_e32 v3, 0x10000, v2
	v_cmp_eq_u32_sdwa s[0:1], v2, v19 src0_sel:WORD_0 src1_sel:DWORD
	s_nop 1
	v_cndmask_b32_e64 v80, v3, v2, s[0:1]
; %bb.241:                              ;   in Loop: Header=BB184_43 Depth=1
	s_or_b64 exec, exec, s[10:11]
	v_lshlrev_b32_e32 v2, 16, v25
	v_mul_f32_e32 v2, v52, v2
	v_and_b32_e32 v3, 0x7f800000, v2
	v_cmp_ne_u32_e64 s[0:1], s14, v3
                                        ; implicit-def: $vgpr81
	s_and_saveexec_b64 s[10:11], s[0:1]
	s_xor_b64 s[0:1], exec, s[10:11]
; %bb.242:                              ;   in Loop: Header=BB184_43 Depth=1
	v_bfe_u32 v3, v2, 16, 1
	v_add3_u32 v81, v2, v3, s15
                                        ; implicit-def: $vgpr2
; %bb.243:                              ;   in Loop: Header=BB184_43 Depth=1
	s_andn2_saveexec_b64 s[10:11], s[0:1]
; %bb.244:                              ;   in Loop: Header=BB184_43 Depth=1
	v_or_b32_e32 v3, 0x10000, v2
	v_cmp_eq_u32_sdwa s[0:1], v2, v19 src0_sel:WORD_0 src1_sel:DWORD
	s_nop 1
	v_cndmask_b32_e64 v81, v3, v2, s[0:1]
; %bb.245:                              ;   in Loop: Header=BB184_43 Depth=1
	s_or_b64 exec, exec, s[10:11]
	v_mov_b32_e32 v25, v19
	v_lshl_add_u64 v[2:3], v[6:7], 0, v[24:25]
	global_load_dwordx4 v[2:5], v[2:3], off
	s_waitcnt vmcnt(0)
	v_lshrrev_b32_e32 v6, 16, v2
	v_lshrrev_b32_e32 v25, 16, v3
	;; [unrolled: 1-line block ×4, first 2 shown]
	s_and_saveexec_b64 s[0:1], vcc
	s_cbranch_execz .LBB184_247
; %bb.246:                              ;   in Loop: Header=BB184_43 Depth=1
	v_cmp_gt_i32_e32 vcc, s33, v37
	s_nop 1
	v_cndmask_b32_e32 v2, 0, v2, vcc
	v_cmp_gt_i32_e32 vcc, s33, v43
	s_nop 1
	v_cndmask_b32_e32 v6, 0, v6, vcc
	;; [unrolled: 3-line block ×8, first 2 shown]
.LBB184_247:                            ;   in Loop: Header=BB184_43 Depth=1
	s_or_b64 exec, exec, s[0:1]
	v_lshlrev_b32_e32 v2, 16, v2
	v_mul_f32_e32 v37, v45, v2
	v_and_b32_e32 v2, 0x7f800000, v37
	v_cmp_ne_u32_e32 vcc, s14, v2
                                        ; implicit-def: $vgpr2
	s_and_saveexec_b64 s[0:1], vcc
	s_xor_b64 s[0:1], exec, s[0:1]
; %bb.248:                              ;   in Loop: Header=BB184_43 Depth=1
	v_bfe_u32 v2, v37, 16, 1
	v_add3_u32 v2, v37, v2, s15
                                        ; implicit-def: $vgpr37
; %bb.249:                              ;   in Loop: Header=BB184_43 Depth=1
	s_andn2_saveexec_b64 s[0:1], s[0:1]
; %bb.250:                              ;   in Loop: Header=BB184_43 Depth=1
	v_or_b32_e32 v2, 0x10000, v37
	v_cmp_eq_u32_sdwa vcc, v37, v19 src0_sel:WORD_0 src1_sel:DWORD
	s_nop 1
	v_cndmask_b32_e32 v2, v2, v37, vcc
; %bb.251:                              ;   in Loop: Header=BB184_43 Depth=1
	s_or_b64 exec, exec, s[0:1]
	v_lshlrev_b32_e32 v6, 16, v6
	v_mul_f32_e32 v37, v46, v6
	v_and_b32_e32 v6, 0x7f800000, v37
	v_cmp_ne_u32_e32 vcc, s14, v6
                                        ; implicit-def: $vgpr6
	s_and_saveexec_b64 s[0:1], vcc
	s_xor_b64 s[0:1], exec, s[0:1]
; %bb.252:                              ;   in Loop: Header=BB184_43 Depth=1
	v_bfe_u32 v6, v37, 16, 1
	v_add3_u32 v6, v37, v6, s15
                                        ; implicit-def: $vgpr37
; %bb.253:                              ;   in Loop: Header=BB184_43 Depth=1
	s_andn2_saveexec_b64 s[0:1], s[0:1]
; %bb.254:                              ;   in Loop: Header=BB184_43 Depth=1
	v_or_b32_e32 v6, 0x10000, v37
	v_cmp_eq_u32_sdwa vcc, v37, v19 src0_sel:WORD_0 src1_sel:DWORD
	s_nop 1
	v_cndmask_b32_e32 v6, v6, v37, vcc
; %bb.255:                              ;   in Loop: Header=BB184_43 Depth=1
	s_or_b64 exec, exec, s[0:1]
	v_lshlrev_b32_e32 v3, 16, v3
	v_mul_f32_e32 v37, v47, v3
	v_and_b32_e32 v3, 0x7f800000, v37
	v_cmp_ne_u32_e32 vcc, s14, v3
                                        ; implicit-def: $vgpr3
	s_and_saveexec_b64 s[0:1], vcc
	s_xor_b64 s[0:1], exec, s[0:1]
; %bb.256:                              ;   in Loop: Header=BB184_43 Depth=1
	v_bfe_u32 v3, v37, 16, 1
	v_add3_u32 v3, v37, v3, s15
                                        ; implicit-def: $vgpr37
; %bb.257:                              ;   in Loop: Header=BB184_43 Depth=1
	s_andn2_saveexec_b64 s[0:1], s[0:1]
; %bb.258:                              ;   in Loop: Header=BB184_43 Depth=1
	v_or_b32_e32 v3, 0x10000, v37
	v_cmp_eq_u32_sdwa vcc, v37, v19 src0_sel:WORD_0 src1_sel:DWORD
	s_nop 1
	v_cndmask_b32_e32 v3, v3, v37, vcc
; %bb.259:                              ;   in Loop: Header=BB184_43 Depth=1
	s_or_b64 exec, exec, s[0:1]
	v_lshlrev_b32_e32 v25, 16, v25
	v_mul_f32_e32 v37, v48, v25
	v_and_b32_e32 v25, 0x7f800000, v37
	v_cmp_ne_u32_e32 vcc, s14, v25
                                        ; implicit-def: $vgpr25
	s_and_saveexec_b64 s[0:1], vcc
	s_xor_b64 s[0:1], exec, s[0:1]
; %bb.260:                              ;   in Loop: Header=BB184_43 Depth=1
	v_bfe_u32 v25, v37, 16, 1
	v_add3_u32 v25, v37, v25, s15
                                        ; implicit-def: $vgpr37
; %bb.261:                              ;   in Loop: Header=BB184_43 Depth=1
	s_andn2_saveexec_b64 s[0:1], s[0:1]
; %bb.262:                              ;   in Loop: Header=BB184_43 Depth=1
	v_or_b32_e32 v25, 0x10000, v37
	v_cmp_eq_u32_sdwa vcc, v37, v19 src0_sel:WORD_0 src1_sel:DWORD
	s_nop 1
	v_cndmask_b32_e32 v25, v25, v37, vcc
; %bb.263:                              ;   in Loop: Header=BB184_43 Depth=1
	s_or_b64 exec, exec, s[0:1]
	v_lshlrev_b32_e32 v4, 16, v4
	v_mul_f32_e32 v37, v49, v4
	v_and_b32_e32 v4, 0x7f800000, v37
	v_cmp_ne_u32_e32 vcc, s14, v4
                                        ; implicit-def: $vgpr4
	s_and_saveexec_b64 s[0:1], vcc
	s_xor_b64 s[0:1], exec, s[0:1]
; %bb.264:                              ;   in Loop: Header=BB184_43 Depth=1
	v_bfe_u32 v4, v37, 16, 1
	v_add3_u32 v4, v37, v4, s15
                                        ; implicit-def: $vgpr37
; %bb.265:                              ;   in Loop: Header=BB184_43 Depth=1
	s_andn2_saveexec_b64 s[0:1], s[0:1]
; %bb.266:                              ;   in Loop: Header=BB184_43 Depth=1
	v_or_b32_e32 v4, 0x10000, v37
	v_cmp_eq_u32_sdwa vcc, v37, v19 src0_sel:WORD_0 src1_sel:DWORD
	s_nop 1
	v_cndmask_b32_e32 v4, v4, v37, vcc
; %bb.267:                              ;   in Loop: Header=BB184_43 Depth=1
	s_or_b64 exec, exec, s[0:1]
	v_lshlrev_b32_e32 v37, 16, v82
	v_mul_f32_e32 v38, v50, v37
	v_and_b32_e32 v37, 0x7f800000, v38
	v_cmp_ne_u32_e32 vcc, s14, v37
                                        ; implicit-def: $vgpr37
	s_and_saveexec_b64 s[0:1], vcc
	s_xor_b64 s[0:1], exec, s[0:1]
; %bb.268:                              ;   in Loop: Header=BB184_43 Depth=1
	v_bfe_u32 v37, v38, 16, 1
	v_add3_u32 v37, v38, v37, s15
                                        ; implicit-def: $vgpr38
; %bb.269:                              ;   in Loop: Header=BB184_43 Depth=1
	s_andn2_saveexec_b64 s[0:1], s[0:1]
; %bb.270:                              ;   in Loop: Header=BB184_43 Depth=1
	v_or_b32_e32 v37, 0x10000, v38
	v_cmp_eq_u32_sdwa vcc, v38, v19 src0_sel:WORD_0 src1_sel:DWORD
	s_nop 1
	v_cndmask_b32_e32 v37, v37, v38, vcc
; %bb.271:                              ;   in Loop: Header=BB184_43 Depth=1
	s_or_b64 exec, exec, s[0:1]
	v_lshlrev_b32_e32 v5, 16, v5
	v_mul_f32_e32 v38, v51, v5
	v_and_b32_e32 v5, 0x7f800000, v38
	v_cmp_ne_u32_e32 vcc, s14, v5
                                        ; implicit-def: $vgpr5
	s_and_saveexec_b64 s[0:1], vcc
	s_xor_b64 s[0:1], exec, s[0:1]
; %bb.272:                              ;   in Loop: Header=BB184_43 Depth=1
	v_bfe_u32 v5, v38, 16, 1
	v_add3_u32 v5, v38, v5, s15
                                        ; implicit-def: $vgpr38
; %bb.273:                              ;   in Loop: Header=BB184_43 Depth=1
	s_andn2_saveexec_b64 s[0:1], s[0:1]
; %bb.274:                              ;   in Loop: Header=BB184_43 Depth=1
	v_or_b32_e32 v5, 0x10000, v38
	v_cmp_eq_u32_sdwa vcc, v38, v19 src0_sel:WORD_0 src1_sel:DWORD
	s_nop 1
	v_cndmask_b32_e32 v5, v5, v38, vcc
; %bb.275:                              ;   in Loop: Header=BB184_43 Depth=1
	s_or_b64 exec, exec, s[0:1]
	v_lshlrev_b32_e32 v7, 16, v7
	v_mul_f32_e32 v38, v52, v7
	v_and_b32_e32 v7, 0x7f800000, v38
	v_cmp_ne_u32_e32 vcc, s14, v7
                                        ; implicit-def: $vgpr7
	s_and_saveexec_b64 s[0:1], vcc
	s_xor_b64 s[0:1], exec, s[0:1]
; %bb.276:                              ;   in Loop: Header=BB184_43 Depth=1
	v_bfe_u32 v7, v38, 16, 1
	v_add3_u32 v7, v38, v7, s15
                                        ; implicit-def: $vgpr38
; %bb.277:                              ;   in Loop: Header=BB184_43 Depth=1
	s_andn2_saveexec_b64 s[0:1], s[0:1]
	s_cbranch_execz .LBB184_42
; %bb.278:                              ;   in Loop: Header=BB184_43 Depth=1
	v_or_b32_e32 v7, 0x10000, v38
	v_cmp_eq_u32_sdwa vcc, v38, v19 src0_sel:WORD_0 src1_sel:DWORD
	s_nop 1
	v_cndmask_b32_e32 v7, v7, v38, vcc
	s_branch .LBB184_42
.LBB184_279:
	s_or_b64 exec, exec, s[8:9]
.LBB184_280:
	s_or_b64 exec, exec, s[2:3]
	ds_bpermute_b32 v2, v26, v16
	ds_bpermute_b32 v3, v26, v17
	;; [unrolled: 1-line block ×6, first 2 shown]
	s_waitcnt lgkmcnt(4)
	v_pk_add_f32 v[2:3], v[16:17], v[2:3]
	ds_bpermute_b32 v8, v27, v2
	ds_bpermute_b32 v9, v27, v3
	s_waitcnt lgkmcnt(4)
	v_pk_add_f32 v[4:5], v[14:15], v[4:5]
	s_waitcnt lgkmcnt(2)
	v_pk_add_f32 v[12:13], v[12:13], v[6:7]
	ds_bpermute_b32 v10, v27, v4
	ds_bpermute_b32 v11, v27, v5
	;; [unrolled: 1-line block ×4, first 2 shown]
	s_waitcnt lgkmcnt(4)
	v_pk_add_f32 v[6:7], v[2:3], v[8:9]
	v_and_b32_e32 v8, 0x3c3, v0
	s_waitcnt lgkmcnt(2)
	v_pk_add_f32 v[2:3], v[4:5], v[10:11]
	v_cmp_eq_u32_e32 vcc, 64, v8
	s_waitcnt lgkmcnt(0)
	v_pk_add_f32 v[4:5], v[12:13], v[14:15]
	s_barrier
	s_and_saveexec_b64 s[0:1], vcc
	s_cbranch_execz .LBB184_282
; %bb.281:
	v_add_u32_e32 v1, 0xd0, v1
	ds_write2_b32 v1, v6, v7 offset1:16
	ds_write2_b32 v1, v2, v3 offset0:32 offset1:48
	ds_write2_b32 v1, v4, v5 offset0:64 offset1:80
.LBB184_282:
	s_or_b64 exec, exec, s[0:1]
	v_cmp_gt_u32_e32 vcc, 64, v0
	s_waitcnt lgkmcnt(0)
	s_barrier
	s_and_saveexec_b64 s[2:3], vcc
	s_cbranch_execz .LBB184_291
; %bb.283:
	v_cmp_eq_u32_e64 s[0:1], 0, v28
	v_lshrrev_b32_e32 v1, 2, v0
	s_and_saveexec_b64 s[6:7], s[0:1]
	s_cbranch_execnz .LBB184_319
; %bb.284:
	s_or_b64 exec, exec, s[6:7]
	s_and_saveexec_b64 s[6:7], s[0:1]
	s_cbranch_execnz .LBB184_320
.LBB184_285:
	s_or_b64 exec, exec, s[6:7]
	s_and_saveexec_b64 s[6:7], s[0:1]
	s_cbranch_execnz .LBB184_321
.LBB184_286:
	s_or_b64 exec, exec, s[6:7]
	s_and_saveexec_b64 s[6:7], s[0:1]
	s_cbranch_execnz .LBB184_322
.LBB184_287:
	s_or_b64 exec, exec, s[6:7]
	s_and_saveexec_b64 s[6:7], s[0:1]
	s_cbranch_execnz .LBB184_323
.LBB184_288:
	s_or_b64 exec, exec, s[6:7]
	s_and_saveexec_b64 s[6:7], s[0:1]
	s_cbranch_execz .LBB184_290
.LBB184_289:
	v_mov_b32_e32 v8, 0xd0
	v_lshl_add_u32 v1, v1, 2, v8
	ds_read_b32 v1, v1 offset:320
	s_waitcnt lgkmcnt(0)
	v_add_f32_e32 v5, v5, v1
.LBB184_290:
	s_or_b64 exec, exec, s[6:7]
.LBB184_291:
	s_or_b64 exec, exec, s[2:3]
	s_barrier
	s_and_saveexec_b64 s[0:1], vcc
	s_cbranch_execz .LBB184_318
; %bb.292:
	v_cmp_eq_u32_e32 vcc, 0, v28
	s_and_b64 exec, exec, vcc
	s_cbranch_execz .LBB184_318
; %bb.293:
	s_mov_b32 s0, 0x7f800000
	v_and_b32_e32 v1, 0x7f800000, v6
	v_cmp_ne_u32_e32 vcc, s0, v1
                                        ; implicit-def: $vgpr8
	s_and_saveexec_b64 s[0:1], vcc
	s_xor_b64 s[0:1], exec, s[0:1]
; %bb.294:
	v_bfe_u32 v1, v6, 16, 1
	s_movk_i32 s2, 0x7fff
	v_add3_u32 v8, v6, v1, s2
; %bb.295:
	s_andn2_saveexec_b64 s[0:1], s[0:1]
; %bb.296:
	v_mov_b32_e32 v1, 0
	v_or_b32_e32 v8, 0x10000, v6
	v_cmp_eq_u32_sdwa vcc, v6, v1 src0_sel:WORD_0 src1_sel:DWORD
	s_nop 1
	v_cndmask_b32_e32 v8, v8, v6, vcc
; %bb.297:
	s_or_b64 exec, exec, s[0:1]
	s_mul_i32 s0, s12, s20
	s_mul_i32 s0, s0, s21
	s_mulk_i32 s0, 0x60
	s_ashr_i32 s1, s0, 31
	s_lshl_b64 s[0:1], s[0:1], 1
	s_add_u32 s2, s24, s0
	s_mul_i32 s0, s12, s22
	s_addc_u32 s3, s25, s1
	s_ashr_i32 s1, s0, 31
	s_lshl_b64 s[0:1], s[0:1], 1
	s_add_u32 s2, s2, s0
	s_mul_i32 s0, s4, 0x60
	s_addc_u32 s3, s3, s1
	s_ashr_i32 s1, s0, 31
	s_lshl_b64 s[0:1], s[0:1], 1
	s_add_u32 s0, s2, s0
	v_lshrrev_b32_e32 v0, 1, v0
	s_mov_b32 s2, 0x7f800000
	v_and_b32_e32 v6, 0x7f800000, v7
	s_addc_u32 s1, s3, s1
	v_and_b32_e32 v0, 0x1fe, v0
	v_mov_b32_e32 v1, 0
	v_cmp_ne_u32_e32 vcc, s2, v6
	global_store_short_d16_hi v0, v8, s[0:1]
                                        ; implicit-def: $vgpr6
	s_and_saveexec_b64 s[2:3], vcc
	s_xor_b64 s[2:3], exec, s[2:3]
; %bb.298:
	v_bfe_u32 v6, v7, 16, 1
	s_movk_i32 s4, 0x7fff
	v_add3_u32 v6, v7, v6, s4
; %bb.299:
	s_or_saveexec_b64 s[2:3], s[2:3]
	v_lshl_add_u64 v[8:9], s[0:1], 0, v[0:1]
	s_xor_b64 exec, exec, s[2:3]
; %bb.300:
	v_mov_b32_e32 v0, 0
	v_or_b32_e32 v1, 0x10000, v7
	v_cmp_eq_u32_sdwa vcc, v7, v0 src0_sel:WORD_0 src1_sel:DWORD
	s_nop 1
	v_cndmask_b32_e32 v6, v1, v7, vcc
; %bb.301:
	s_or_b64 exec, exec, s[2:3]
	s_mov_b32 s0, 0x7f800000
	v_and_b32_e32 v0, 0x7f800000, v2
	v_cmp_ne_u32_e32 vcc, s0, v0
	global_store_short_d16_hi v[8:9], v6, off offset:32
                                        ; implicit-def: $vgpr0
	s_and_saveexec_b64 s[0:1], vcc
	s_xor_b64 s[0:1], exec, s[0:1]
; %bb.302:
	v_bfe_u32 v0, v2, 16, 1
	s_movk_i32 s2, 0x7fff
	v_add3_u32 v0, v2, v0, s2
; %bb.303:
	s_andn2_saveexec_b64 s[0:1], s[0:1]
; %bb.304:
	v_mov_b32_e32 v0, 0
	v_or_b32_e32 v1, 0x10000, v2
	v_cmp_eq_u32_sdwa vcc, v2, v0 src0_sel:WORD_0 src1_sel:DWORD
	s_nop 1
	v_cndmask_b32_e32 v0, v1, v2, vcc
; %bb.305:
	s_or_b64 exec, exec, s[0:1]
	global_store_short_d16_hi v[8:9], v0, off offset:64
	s_mov_b32 s0, 0x7f800000
	v_and_b32_e32 v0, 0x7f800000, v3
	v_cmp_ne_u32_e32 vcc, s0, v0
                                        ; implicit-def: $vgpr0
	s_and_saveexec_b64 s[0:1], vcc
	s_xor_b64 s[0:1], exec, s[0:1]
; %bb.306:
	v_bfe_u32 v0, v3, 16, 1
	s_movk_i32 s2, 0x7fff
	v_add3_u32 v0, v3, v0, s2
; %bb.307:
	s_andn2_saveexec_b64 s[0:1], s[0:1]
; %bb.308:
	v_mov_b32_e32 v0, 0
	v_or_b32_e32 v1, 0x10000, v3
	v_cmp_eq_u32_sdwa vcc, v3, v0 src0_sel:WORD_0 src1_sel:DWORD
	s_nop 1
	v_cndmask_b32_e32 v0, v1, v3, vcc
; %bb.309:
	s_or_b64 exec, exec, s[0:1]
	global_store_short_d16_hi v[8:9], v0, off offset:96
	s_mov_b32 s0, 0x7f800000
	v_and_b32_e32 v0, 0x7f800000, v4
	v_cmp_ne_u32_e32 vcc, s0, v0
                                        ; implicit-def: $vgpr0
	s_and_saveexec_b64 s[0:1], vcc
	s_xor_b64 s[0:1], exec, s[0:1]
; %bb.310:
	v_bfe_u32 v0, v4, 16, 1
	s_movk_i32 s2, 0x7fff
	v_add3_u32 v0, v4, v0, s2
; %bb.311:
	s_andn2_saveexec_b64 s[0:1], s[0:1]
; %bb.312:
	v_mov_b32_e32 v0, 0
	v_or_b32_e32 v1, 0x10000, v4
	v_cmp_eq_u32_sdwa vcc, v4, v0 src0_sel:WORD_0 src1_sel:DWORD
	s_nop 1
	v_cndmask_b32_e32 v0, v1, v4, vcc
; %bb.313:
	s_or_b64 exec, exec, s[0:1]
	global_store_short_d16_hi v[8:9], v0, off offset:128
	s_mov_b32 s0, 0x7f800000
	v_and_b32_e32 v0, 0x7f800000, v5
	v_cmp_ne_u32_e32 vcc, s0, v0
                                        ; implicit-def: $vgpr6
	s_and_saveexec_b64 s[0:1], vcc
	s_xor_b64 s[0:1], exec, s[0:1]
; %bb.314:
	v_bfe_u32 v0, v5, 16, 1
	s_movk_i32 s2, 0x7fff
	v_add3_u32 v6, v5, v0, s2
                                        ; implicit-def: $vgpr0_vgpr1_vgpr2_vgpr3_vgpr4_vgpr5
; %bb.315:
	s_andn2_saveexec_b64 s[0:1], s[0:1]
; %bb.316:
	v_mov_b32_e32 v0, 0
	v_or_b32_e32 v1, 0x10000, v5
	v_cmp_eq_u32_sdwa vcc, v5, v0 src0_sel:WORD_0 src1_sel:DWORD
	s_nop 1
	v_cndmask_b32_e32 v6, v1, v5, vcc
; %bb.317:
	s_or_b64 exec, exec, s[0:1]
	global_store_short_d16_hi v[8:9], v6, off offset:160
.LBB184_318:
	s_endpgm
.LBB184_319:
	v_mov_b32_e32 v8, 0xd0
	v_lshl_add_u32 v8, v1, 2, v8
	ds_read_b32 v8, v8
	s_waitcnt lgkmcnt(0)
	v_add_f32_e32 v6, v6, v8
	s_or_b64 exec, exec, s[6:7]
	s_and_saveexec_b64 s[6:7], s[0:1]
	s_cbranch_execz .LBB184_285
.LBB184_320:
	v_mov_b32_e32 v8, 0xd0
	v_lshl_add_u32 v8, v1, 2, v8
	ds_read_b32 v8, v8 offset:64
	s_waitcnt lgkmcnt(0)
	v_add_f32_e32 v7, v7, v8
	s_or_b64 exec, exec, s[6:7]
	s_and_saveexec_b64 s[6:7], s[0:1]
	s_cbranch_execz .LBB184_286
.LBB184_321:
	v_mov_b32_e32 v8, 0xd0
	v_lshl_add_u32 v8, v1, 2, v8
	ds_read_b32 v8, v8 offset:128
	s_waitcnt lgkmcnt(0)
	v_add_f32_e32 v2, v2, v8
	s_or_b64 exec, exec, s[6:7]
	s_and_saveexec_b64 s[6:7], s[0:1]
	s_cbranch_execz .LBB184_287
.LBB184_322:
	v_mov_b32_e32 v8, 0xd0
	v_lshl_add_u32 v8, v1, 2, v8
	ds_read_b32 v8, v8 offset:192
	s_waitcnt lgkmcnt(0)
	v_add_f32_e32 v3, v3, v8
	s_or_b64 exec, exec, s[6:7]
	s_and_saveexec_b64 s[6:7], s[0:1]
	s_cbranch_execz .LBB184_288
.LBB184_323:
	v_mov_b32_e32 v8, 0xd0
	v_lshl_add_u32 v8, v1, 2, v8
	ds_read_b32 v8, v8 offset:256
	s_waitcnt lgkmcnt(0)
	v_add_f32_e32 v4, v4, v8
	s_or_b64 exec, exec, s[6:7]
	s_and_saveexec_b64 s[6:7], s[0:1]
	s_cbranch_execnz .LBB184_289
	s_branch .LBB184_290
	.section	.rodata,"a",@progbits
	.p2align	6, 0x0
	.amdhsa_kernel _ZN4vllm25paged_attention_v2_kernelI14__hip_bfloat16S1_Li96ELi32ELi128ELNS_18Fp8KVCacheDataTypeE0ELb0ELi512EEEvPfS3_PT_PKS4_PKT0_SA_ifPKiSC_iPKfiiiSE_SE_iiiii
		.amdhsa_group_segment_fixed_size 208
		.amdhsa_private_segment_fixed_size 0
		.amdhsa_kernarg_size 400
		.amdhsa_user_sgpr_count 2
		.amdhsa_user_sgpr_dispatch_ptr 0
		.amdhsa_user_sgpr_queue_ptr 0
		.amdhsa_user_sgpr_kernarg_segment_ptr 1
		.amdhsa_user_sgpr_dispatch_id 0
		.amdhsa_user_sgpr_kernarg_preload_length 0
		.amdhsa_user_sgpr_kernarg_preload_offset 0
		.amdhsa_user_sgpr_private_segment_size 0
		.amdhsa_uses_dynamic_stack 0
		.amdhsa_enable_private_segment 0
		.amdhsa_system_sgpr_workgroup_id_x 1
		.amdhsa_system_sgpr_workgroup_id_y 1
		.amdhsa_system_sgpr_workgroup_id_z 1
		.amdhsa_system_sgpr_workgroup_info 0
		.amdhsa_system_vgpr_workitem_id 0
		.amdhsa_next_free_vgpr 112
		.amdhsa_next_free_sgpr 43
		.amdhsa_accum_offset 112
		.amdhsa_reserve_vcc 1
		.amdhsa_float_round_mode_32 0
		.amdhsa_float_round_mode_16_64 0
		.amdhsa_float_denorm_mode_32 3
		.amdhsa_float_denorm_mode_16_64 3
		.amdhsa_dx10_clamp 1
		.amdhsa_ieee_mode 1
		.amdhsa_fp16_overflow 0
		.amdhsa_tg_split 0
		.amdhsa_exception_fp_ieee_invalid_op 0
		.amdhsa_exception_fp_denorm_src 0
		.amdhsa_exception_fp_ieee_div_zero 0
		.amdhsa_exception_fp_ieee_overflow 0
		.amdhsa_exception_fp_ieee_underflow 0
		.amdhsa_exception_fp_ieee_inexact 0
		.amdhsa_exception_int_div_zero 0
	.end_amdhsa_kernel
	.section	.text._ZN4vllm25paged_attention_v2_kernelI14__hip_bfloat16S1_Li96ELi32ELi128ELNS_18Fp8KVCacheDataTypeE0ELb0ELi512EEEvPfS3_PT_PKS4_PKT0_SA_ifPKiSC_iPKfiiiSE_SE_iiiii,"axG",@progbits,_ZN4vllm25paged_attention_v2_kernelI14__hip_bfloat16S1_Li96ELi32ELi128ELNS_18Fp8KVCacheDataTypeE0ELb0ELi512EEEvPfS3_PT_PKS4_PKT0_SA_ifPKiSC_iPKfiiiSE_SE_iiiii,comdat
.Lfunc_end184:
	.size	_ZN4vllm25paged_attention_v2_kernelI14__hip_bfloat16S1_Li96ELi32ELi128ELNS_18Fp8KVCacheDataTypeE0ELb0ELi512EEEvPfS3_PT_PKS4_PKT0_SA_ifPKiSC_iPKfiiiSE_SE_iiiii, .Lfunc_end184-_ZN4vllm25paged_attention_v2_kernelI14__hip_bfloat16S1_Li96ELi32ELi128ELNS_18Fp8KVCacheDataTypeE0ELb0ELi512EEEvPfS3_PT_PKS4_PKT0_SA_ifPKiSC_iPKfiiiSE_SE_iiiii
                                        ; -- End function
	.section	.AMDGPU.csdata,"",@progbits
; Kernel info:
; codeLenInByte = 11460
; NumSgprs: 49
; NumVgprs: 112
; NumAgprs: 0
; TotalNumVgprs: 112
; ScratchSize: 0
; MemoryBound: 0
; FloatMode: 240
; IeeeMode: 1
; LDSByteSize: 208 bytes/workgroup (compile time only)
; SGPRBlocks: 6
; VGPRBlocks: 13
; NumSGPRsForWavesPerEU: 49
; NumVGPRsForWavesPerEU: 112
; AccumOffset: 112
; Occupancy: 4
; WaveLimiterHint : 1
; COMPUTE_PGM_RSRC2:SCRATCH_EN: 0
; COMPUTE_PGM_RSRC2:USER_SGPR: 2
; COMPUTE_PGM_RSRC2:TRAP_HANDLER: 0
; COMPUTE_PGM_RSRC2:TGID_X_EN: 1
; COMPUTE_PGM_RSRC2:TGID_Y_EN: 1
; COMPUTE_PGM_RSRC2:TGID_Z_EN: 1
; COMPUTE_PGM_RSRC2:TIDIG_COMP_CNT: 0
; COMPUTE_PGM_RSRC3_GFX90A:ACCUM_OFFSET: 27
; COMPUTE_PGM_RSRC3_GFX90A:TG_SPLIT: 0
	.section	.text._ZN4vllm25paged_attention_v2_kernelI14__hip_bfloat16S1_Li112ELi32ELi128ELNS_18Fp8KVCacheDataTypeE0ELb0ELi512EEEvPfS3_PT_PKS4_PKT0_SA_ifPKiSC_iPKfiiiSE_SE_iiiii,"axG",@progbits,_ZN4vllm25paged_attention_v2_kernelI14__hip_bfloat16S1_Li112ELi32ELi128ELNS_18Fp8KVCacheDataTypeE0ELb0ELi512EEEvPfS3_PT_PKS4_PKT0_SA_ifPKiSC_iPKfiiiSE_SE_iiiii,comdat
	.protected	_ZN4vllm25paged_attention_v2_kernelI14__hip_bfloat16S1_Li112ELi32ELi128ELNS_18Fp8KVCacheDataTypeE0ELb0ELi512EEEvPfS3_PT_PKS4_PKT0_SA_ifPKiSC_iPKfiiiSE_SE_iiiii ; -- Begin function _ZN4vllm25paged_attention_v2_kernelI14__hip_bfloat16S1_Li112ELi32ELi128ELNS_18Fp8KVCacheDataTypeE0ELb0ELi512EEEvPfS3_PT_PKS4_PKT0_SA_ifPKiSC_iPKfiiiSE_SE_iiiii
	.globl	_ZN4vllm25paged_attention_v2_kernelI14__hip_bfloat16S1_Li112ELi32ELi128ELNS_18Fp8KVCacheDataTypeE0ELb0ELi512EEEvPfS3_PT_PKS4_PKT0_SA_ifPKiSC_iPKfiiiSE_SE_iiiii
	.p2align	8
	.type	_ZN4vllm25paged_attention_v2_kernelI14__hip_bfloat16S1_Li112ELi32ELi128ELNS_18Fp8KVCacheDataTypeE0ELb0ELi512EEEvPfS3_PT_PKS4_PKT0_SA_ifPKiSC_iPKfiiiSE_SE_iiiii,@function
_ZN4vllm25paged_attention_v2_kernelI14__hip_bfloat16S1_Li112ELi32ELi128ELNS_18Fp8KVCacheDataTypeE0ELb0ELi512EEEvPfS3_PT_PKS4_PKT0_SA_ifPKiSC_iPKfiiiSE_SE_iiiii: ; @_ZN4vllm25paged_attention_v2_kernelI14__hip_bfloat16S1_Li112ELi32ELi128ELNS_18Fp8KVCacheDataTypeE0ELb0ELi512EEEvPfS3_PT_PKS4_PKT0_SA_ifPKiSC_iPKfiiiSE_SE_iiiii
; %bb.0:
	s_load_dwordx2 s[6:7], s[0:1], 0x40
	s_mov_b32 s20, s3
	s_ashr_i32 s21, s3, 31
	s_lshl_b64 s[8:9], s[20:21], 2
	s_waitcnt lgkmcnt(0)
	s_add_u32 s6, s6, s8
	s_addc_u32 s7, s7, s9
	s_load_dword s33, s[6:7], 0x0
	s_lshl_b32 s40, s4, 9
	s_waitcnt lgkmcnt(0)
	s_cmp_ge_i32 s40, s33
	s_cbranch_scc1 .LBB185_357
; %bb.1:
	s_load_dword s21, s[0:1], 0x90
	s_load_dwordx2 s[10:11], s[0:1], 0x30
	s_waitcnt lgkmcnt(0)
	s_abs_i32 s6, s21
	s_abs_i32 s3, s10
	v_cvt_f32_u32_e32 v1, s3
	s_sub_i32 s7, 0, s3
	s_xor_b32 s5, s21, s10
	s_ashr_i32 s5, s5, 31
	v_rcp_iflag_f32_e32 v1, v1
	s_nop 0
	v_mul_f32_e32 v1, 0x4f7ffffe, v1
	v_cvt_u32_f32_e32 v1, v1
	s_nop 0
	v_readfirstlane_b32 s8, v1
	s_mul_i32 s7, s7, s8
	s_mul_hi_u32 s7, s8, s7
	s_add_i32 s8, s8, s7
	s_mul_hi_u32 s7, s6, s8
	s_mul_i32 s8, s7, s3
	s_sub_i32 s6, s6, s8
	s_add_i32 s9, s7, 1
	s_sub_i32 s8, s6, s3
	s_cmp_ge_u32 s6, s3
	s_cselect_b32 s7, s9, s7
	s_cselect_b32 s6, s8, s6
	s_add_i32 s8, s7, 1
	s_cmp_ge_u32 s6, s3
	s_cselect_b32 s3, s8, s7
	s_xor_b32 s3, s3, s5
	s_sub_i32 s12, s3, s5
	s_abs_i32 s8, s12
	v_cvt_f32_u32_e32 v1, s8
	s_load_dwordx2 s[6:7], s[0:1], 0x50
	s_sub_i32 s3, 0, s8
	s_abs_i32 s9, s2
	v_rcp_iflag_f32_e32 v1, v1
	s_mov_b32 s5, 0
	v_mul_f32_e32 v1, 0x4f7ffffe, v1
	v_cvt_u32_f32_e32 v1, v1
	s_nop 0
	v_readfirstlane_b32 s10, v1
	s_mul_i32 s3, s3, s10
	s_mul_hi_u32 s3, s10, s3
	s_add_i32 s10, s10, s3
	s_waitcnt lgkmcnt(0)
	s_cmp_eq_u64 s[6:7], 0
	s_mul_hi_u32 s10, s9, s10
	s_cbranch_scc1 .LBB185_3
; %bb.2:
	s_ashr_i32 s3, s2, 31
	s_lshl_b64 s[14:15], s[2:3], 2
	s_add_u32 s6, s6, s14
	s_addc_u32 s7, s7, s15
	s_load_dword s5, s[6:7], 0x0
.LBB185_3:
	s_ashr_i32 s17, s12, 31
	s_load_dwordx4 s[12:15], s[0:1], 0x58
	s_ashr_i32 s16, s2, 31
	v_and_b32_e32 v4, 1, v0
	s_movk_i32 s3, 0x70
	s_mul_i32 s22, s2, 0x70
	v_cmp_gt_u32_e32 vcc, 28, v0
	v_lshlrev_b32_e32 v18, 3, v0
	s_and_saveexec_b64 s[6:7], vcc
	s_cbranch_execz .LBB185_5
; %bb.4:
	s_load_dwordx2 s[18:19], s[0:1], 0x18
	s_waitcnt lgkmcnt(0)
	s_mul_i32 s24, s20, s12
	s_ashr_i32 s25, s24, 31
	s_lshl_b64 s[24:25], s[24:25], 1
	v_lshlrev_b32_e32 v1, 2, v0
	s_add_u32 s12, s18, s24
	s_addc_u32 s15, s19, s25
	s_ashr_i32 s23, s22, 31
	s_lshl_b64 s[18:19], s[22:23], 1
	s_add_u32 s18, s12, s18
	s_addc_u32 s19, s15, s19
	global_load_dwordx2 v[2:3], v18, s[18:19]
	v_and_b32_e32 v1, 0xff8, v1
	v_mad_u32_u24 v1, v4, s3, v1
	s_waitcnt vmcnt(0)
	ds_write_b64 v1, v[2:3]
.LBB185_5:
	s_or_b64 exec, exec, s[6:7]
	s_add_i32 s3, s33, 31
	s_ashr_i32 s6, s3, 31
	s_lshr_b32 s6, s6, 27
	s_add_i32 s3, s3, s6
	s_ashr_i32 s41, s3, 5
	s_lshl_b32 s3, s4, 4
	s_mul_i32 s7, s10, s8
	s_add_i32 s6, s3, 16
	s_sub_i32 s7, s9, s7
	s_min_i32 s23, s6, s41
	s_xor_b32 s6, s16, s17
	s_add_i32 s9, s10, 1
	s_waitcnt lgkmcnt(0)
	s_sub_i32 s12, s7, s8
	s_cmp_ge_u32 s7, s8
	s_cselect_b32 s9, s9, s10
	s_cselect_b32 s7, s12, s7
	s_add_i32 s10, s9, 1
	s_cmp_ge_u32 s7, s8
	s_load_dwordx2 s[26:27], s[0:1], 0x38
	s_load_dword s8, s[0:1], 0x48
	v_lshrrev_b32_e32 v20, 6, v0
	s_cselect_b32 s7, s10, s9
	s_xor_b32 s7, s7, s6
	v_or_b32_e32 v10, s3, v20
	s_waitcnt lgkmcnt(0)
	s_mul_i32 s28, s20, s8
	s_sub_i32 s10, s7, s6
	s_ashr_i32 s29, s28, 31
	v_cmp_gt_i32_e64 s[8:9], s23, v10
	v_cmp_le_i32_e32 vcc, s23, v10
	v_mbcnt_lo_u32_b32 v5, -1, 0
	s_barrier
	s_waitcnt lgkmcnt(0)
                                        ; implicit-def: $sgpr15
                                        ; implicit-def: $vgpr12
                                        ; implicit-def: $vgpr13
	s_and_saveexec_b64 s[6:7], vcc
	s_xor_b64 s[6:7], exec, s[6:7]
; %bb.6:
	v_mbcnt_hi_u32_b32 v12, -1, v5
	v_and_b32_e32 v1, 64, v12
	v_add_u32_e32 v13, 64, v1
	s_mov_b32 s15, 0xff7fffff
                                        ; implicit-def: $vgpr4
                                        ; implicit-def: $vgpr5
; %bb.7:
	s_or_saveexec_b64 s[34:35], s[6:7]
	s_load_dwordx4 s[16:19], s[0:1], 0x0
	s_load_dwordx2 s[24:25], s[0:1], 0x10
	s_load_dwordx2 s[30:31], s[0:1], 0x28
	s_load_dword s12, s[0:1], 0x98
	v_mov_b32_e32 v71, s15
	s_mul_i32 s14, s10, s14
	v_ashrrev_i32_e32 v11, 31, v10
	s_xor_b64 exec, exec, s[34:35]
	s_cbranch_execz .LBB185_13
; %bb.8:
	v_mul_u32_u24_e32 v2, 0x70, v4
	ds_read_b128 v[6:9], v2
	ds_read_b128 v[28:31], v2 offset:16
	ds_read_b128 v[36:39], v2 offset:32
	;; [unrolled: 1-line block ×3, first 2 shown]
	s_load_dwordx2 s[0:1], s[0:1], 0x20
	s_waitcnt lgkmcnt(0)
	v_lshlrev_b32_e32 v1, 16, v6
	v_and_b32_e32 v14, 0xffff0000, v6
	v_lshlrev_b32_e32 v15, 16, v7
	v_and_b32_e32 v16, 0xffff0000, v7
	;; [unrolled: 2-line block ×4, first 2 shown]
	ds_read_b128 v[6:9], v2 offset:64
	ds_read_b128 v[60:63], v2 offset:80
	v_lshlrev_b32_e32 v23, 16, v28
	v_and_b32_e32 v24, 0xffff0000, v28
	v_lshlrev_b32_e32 v25, 16, v29
	v_and_b32_e32 v26, 0xffff0000, v29
	v_lshlrev_b32_e32 v27, 16, v30
	v_and_b32_e32 v28, 0xffff0000, v30
	v_lshlrev_b32_e32 v29, 16, v31
	v_and_b32_e32 v30, 0xffff0000, v31
	v_lshlrev_b32_e32 v31, 16, v36
	v_and_b32_e32 v32, 0xffff0000, v36
	v_lshlrev_b32_e32 v33, 16, v37
	v_and_b32_e32 v34, 0xffff0000, v37
	v_lshlrev_b32_e32 v35, 16, v38
	v_and_b32_e32 v36, 0xffff0000, v38
	v_lshlrev_b32_e32 v37, 16, v39
	v_and_b32_e32 v38, 0xffff0000, v39
	v_lshlrev_b32_e32 v39, 16, v44
	v_and_b32_e32 v40, 0xffff0000, v44
	v_lshlrev_b32_e32 v41, 16, v45
	v_and_b32_e32 v42, 0xffff0000, v45
	v_lshlrev_b32_e32 v43, 16, v46
	v_and_b32_e32 v44, 0xffff0000, v46
	v_lshlrev_b32_e32 v45, 16, v47
	v_and_b32_e32 v46, 0xffff0000, v47
	s_waitcnt lgkmcnt(1)
	v_lshlrev_b32_e32 v47, 16, v6
	v_and_b32_e32 v48, 0xffff0000, v6
	v_lshlrev_b32_e32 v49, 16, v7
	v_and_b32_e32 v50, 0xffff0000, v7
	;; [unrolled: 2-line block ×4, first 2 shown]
	ds_read_b128 v[6:9], v2 offset:96
	s_ashr_i32 s15, s14, 31
	s_lshl_b64 s[6:7], s[14:15], 1
	v_mbcnt_hi_u32_b32 v12, -1, v5
	s_add_u32 s0, s0, s6
	s_waitcnt lgkmcnt(0)
	v_lshlrev_b32_e32 v67, 16, v8
	v_and_b32_e32 v68, 0xffff0000, v8
	v_bfe_u32 v8, v0, 1, 5
	v_cmp_eq_u32_e32 vcc, 0, v4
	v_and_b32_e32 v4, 64, v12
	s_addc_u32 s1, s1, s7
	v_lshlrev_b32_e32 v2, 4, v8
	v_mov_b32_e32 v3, 0
	v_add_u32_e32 v13, 64, v4
	v_xor_b32_e32 v4, 1, v12
	v_lshlrev_b32_e32 v55, 16, v60
	v_and_b32_e32 v56, 0xffff0000, v60
	v_lshlrev_b32_e32 v57, 16, v61
	v_and_b32_e32 v58, 0xffff0000, v61
	;; [unrolled: 2-line block ×6, first 2 shown]
	v_lshl_add_u64 v[6:7], s[0:1], 0, v[2:3]
	v_cmp_lt_i32_e64 s[0:1], v4, v13
	s_sub_i32 s15, 1, s33
	v_and_b32_e32 v2, 8, v18
	v_cndmask_b32_e64 v4, v12, v4, s[0:1]
	v_lshlrev_b32_e32 v72, 2, v4
	v_lshlrev_b32_e32 v4, 5, v20
	s_lshl_b64 s[0:1], s[28:29], 2
	v_add3_u32 v73, s40, v4, v8
	v_lshlrev_b32_e32 v4, 2, v8
	s_add_u32 s0, s26, s0
	v_lshl_or_b32 v4, v20, 7, v4
	s_addc_u32 s1, s27, s1
	v_lshlrev_b32_e32 v69, 16, v9
	v_and_b32_e32 v70, 0xffff0000, v9
	v_lshl_add_u64 v[2:3], v[6:7], 0, v[2:3]
	s_mov_b32 s10, s13
	v_cmp_neq_f32_e64 s[6:7], s5, 0
	v_add_u32_e32 v74, 0xf0, v4
	s_mov_b64 s[36:37], 0
	s_movk_i32 s42, 0x1000
	v_mov_b32_e32 v71, 0xff7fffff
	v_mov_b32_e32 v75, v10
	v_lshl_add_u64 v[4:5], v[10:11], 2, s[0:1]
	s_branch .LBB185_10
.LBB185_9:                              ;   in Loop: Header=BB185_10 Depth=1
	s_or_b64 exec, exec, s[38:39]
	v_add_u32_e32 v75, 2, v75
	v_cmp_le_i32_e64 s[0:1], s23, v75
	v_add_u32_e32 v73, 64, v73
	v_add_u32_e32 v74, 0x100, v74
	s_or_b64 s[36:37], s[0:1], s[36:37]
	v_lshl_add_u64 v[4:5], v[4:5], 0, 8
	s_andn2_b64 exec, exec, s[36:37]
	s_cbranch_execz .LBB185_12
.LBB185_10:                             ; =>This Inner Loop Header: Depth=1
	global_load_dword v6, v[4:5], off
	s_waitcnt vmcnt(0) lgkmcnt(0)
	v_mad_i64_i32 v[6:7], s[0:1], v6, s10, 0
	v_lshl_add_u64 v[6:7], v[6:7], 1, v[2:3]
	global_load_dwordx2 v[8:9], v[6:7], off
	global_load_dwordx2 v[76:77], v[6:7], off offset:512
	global_load_dwordx2 v[78:79], v[6:7], off offset:1024
	;; [unrolled: 1-line block ×4, first 2 shown]
	s_waitcnt vmcnt(4)
	v_lshlrev_b32_e32 v88, 16, v8
	v_and_b32_e32 v89, 0xffff0000, v8
	v_lshlrev_b32_e32 v98, 16, v9
	v_and_b32_e32 v99, 0xffff0000, v9
	global_load_dwordx2 v[8:9], v[6:7], off offset:2560
	s_waitcnt vmcnt(4)
	v_lshlrev_b32_e32 v100, 16, v76
	v_and_b32_e32 v101, 0xffff0000, v76
	v_lshlrev_b32_e32 v102, 16, v77
	v_and_b32_e32 v103, 0xffff0000, v77
	s_waitcnt vmcnt(3)
	v_lshlrev_b32_e32 v76, 16, v78
	v_and_b32_e32 v77, 0xffff0000, v78
	v_lshlrev_b32_e32 v78, 16, v79
	s_waitcnt vmcnt(2)
	v_lshlrev_b32_e32 v80, 16, v82
	v_and_b32_e32 v81, 0xffff0000, v82
	v_and_b32_e32 v79, 0xffff0000, v79
	v_lshlrev_b32_e32 v82, 16, v83
	s_waitcnt vmcnt(1)
	v_lshlrev_b32_e32 v84, 16, v86
	v_and_b32_e32 v85, 0xffff0000, v86
	v_and_b32_e32 v83, 0xffff0000, v83
	v_lshlrev_b32_e32 v86, 16, v87
	v_and_b32_e32 v87, 0xffff0000, v87
	s_waitcnt vmcnt(0)
	v_lshlrev_b32_e32 v90, 16, v8
	v_and_b32_e32 v91, 0xffff0000, v8
	v_lshlrev_b32_e32 v92, 16, v9
	v_and_b32_e32 v93, 0xffff0000, v9
	global_load_dwordx2 v[8:9], v[6:7], off offset:3072
	s_waitcnt vmcnt(0)
	v_lshlrev_b32_e32 v94, 16, v8
	v_and_b32_e32 v95, 0xffff0000, v8
	v_add_co_u32_e64 v8, s[0:1], s42, v6
	v_lshlrev_b32_e32 v96, 16, v9
	v_and_b32_e32 v97, 0xffff0000, v9
	v_addc_co_u32_e64 v9, s[0:1], 0, v7, s[0:1]
	global_load_dwordx2 v[6:7], v[6:7], off offset:3584
	s_waitcnt vmcnt(0)
	v_lshlrev_b32_e32 v104, 16, v6
	v_and_b32_e32 v105, 0xffff0000, v6
	v_lshlrev_b32_e32 v106, 16, v7
	v_and_b32_e32 v107, 0xffff0000, v7
	v_mul_f32_e32 v6, v17, v100
	v_mul_f32_e32 v7, v19, v101
	v_fmac_f32_e32 v6, v1, v88
	v_fmac_f32_e32 v7, v14, v89
	v_mul_f32_e32 v88, v21, v102
	v_mul_f32_e32 v89, v22, v103
	v_fmac_f32_e32 v88, v15, v98
	v_fmac_f32_e32 v89, v16, v99
	global_load_dwordx2 v[98:99], v[8:9], off
	v_fmac_f32_e32 v6, v23, v76
	v_fmac_f32_e32 v7, v24, v77
	;; [unrolled: 1-line block ×24, first 2 shown]
	s_waitcnt vmcnt(0)
	v_lshlrev_b32_e32 v100, 16, v98
	v_and_b32_e32 v101, 0xffff0000, v98
	v_lshlrev_b32_e32 v102, 16, v99
	v_and_b32_e32 v103, 0xffff0000, v99
	global_load_dwordx2 v[98:99], v[8:9], off offset:512
	v_fmac_f32_e32 v6, v47, v100
	v_fmac_f32_e32 v7, v48, v101
	v_fmac_f32_e32 v88, v49, v102
	v_fmac_f32_e32 v89, v50, v103
	s_waitcnt vmcnt(0)
	v_lshlrev_b32_e32 v108, 16, v98
	v_and_b32_e32 v109, 0xffff0000, v98
	v_lshlrev_b32_e32 v110, 16, v99
	v_and_b32_e32 v111, 0xffff0000, v99
	global_load_dwordx2 v[98:99], v[8:9], off offset:1024
	v_fmac_f32_e32 v6, v51, v108
	v_fmac_f32_e32 v7, v52, v109
	v_fmac_f32_e32 v88, v53, v110
	v_fmac_f32_e32 v89, v54, v111
	;; [unrolled: 10-line block ×3, first 2 shown]
	s_waitcnt vmcnt(0)
	v_lshlrev_b32_e32 v116, 16, v98
	v_and_b32_e32 v117, 0xffff0000, v98
	v_lshlrev_b32_e32 v118, 16, v99
	v_and_b32_e32 v119, 0xffff0000, v99
	global_load_dwordx2 v[98:99], v[8:9], off offset:2048
	v_fmac_f32_e32 v6, v59, v116
	global_load_dwordx2 v[8:9], v[8:9], off offset:2560
	v_fmac_f32_e32 v7, v60, v117
	v_fmac_f32_e32 v88, v61, v118
	;; [unrolled: 1-line block ×3, first 2 shown]
	s_waitcnt vmcnt(1)
	v_lshlrev_b32_e32 v120, 16, v98
	v_and_b32_e32 v98, 0xffff0000, v98
	v_lshlrev_b32_e32 v121, 16, v99
	s_waitcnt vmcnt(0)
	v_lshlrev_b32_e32 v122, 16, v8
	v_and_b32_e32 v8, 0xffff0000, v8
	v_fmac_f32_e32 v6, v63, v120
	v_fmac_f32_e32 v7, v64, v98
	v_and_b32_e32 v99, 0xffff0000, v99
	v_lshlrev_b32_e32 v123, 16, v9
	v_fmac_f32_e32 v88, v65, v121
	v_fmac_f32_e32 v6, v67, v122
	;; [unrolled: 1-line block ×3, first 2 shown]
	v_and_b32_e32 v9, 0xffff0000, v9
	v_fmac_f32_e32 v89, v66, v99
	v_fmac_f32_e32 v88, v69, v123
	v_add_f32_e32 v6, v6, v7
	v_fmac_f32_e32 v89, v70, v9
	v_add_f32_e32 v6, v6, v88
	v_add_f32_e32 v6, v89, v6
	ds_bpermute_b32 v7, v72, v6
	s_and_saveexec_b64 s[38:39], vcc
	s_cbranch_execz .LBB185_9
; %bb.11:                               ;   in Loop: Header=BB185_10 Depth=1
	v_add_u32_e32 v8, s15, v73
	v_cvt_f32_i32_e32 v8, v8
	s_waitcnt lgkmcnt(0)
	v_add_f32_e32 v6, v6, v7
	v_cmp_gt_i32_e64 s[0:1], s33, v73
	v_max_f32_e32 v7, v71, v71
	v_mul_f32_e32 v8, s5, v8
	v_cndmask_b32_e64 v8, 0, v8, s[6:7]
	v_fmac_f32_e32 v8, s11, v6
	v_cndmask_b32_e64 v6, 0, v8, s[0:1]
	ds_write_b32 v74, v6
	v_max_f32_e32 v6, v7, v8
	v_cndmask_b32_e64 v71, v71, v6, s[0:1]
	s_branch .LBB185_9
.LBB185_12:
	s_or_b64 exec, exec, s[36:37]
.LBB185_13:
	s_or_b64 exec, exec, s[34:35]
	v_xor_b32_e32 v1, 32, v12
	v_cmp_lt_i32_e32 vcc, v1, v13
	v_xor_b32_e32 v4, 16, v12
	v_max_f32_e32 v3, v71, v71
	v_cndmask_b32_e32 v1, v12, v1, vcc
	v_lshlrev_b32_e32 v2, 2, v1
	ds_bpermute_b32 v1, v2, v71
	v_cmp_lt_i32_e32 vcc, v4, v13
	v_xor_b32_e32 v5, 8, v12
	v_xor_b32_e32 v6, 4, v12
	s_waitcnt lgkmcnt(0)
	v_xor_b32_e32 v7, 2, v12
	v_max_f32_e32 v1, v1, v1
	v_max_f32_e32 v1, v3, v1
	v_cndmask_b32_e32 v3, v12, v4, vcc
	v_lshlrev_b32_e32 v3, 2, v3
	ds_bpermute_b32 v4, v3, v1
	v_cmp_lt_i32_e32 vcc, v5, v13
	s_waitcnt lgkmcnt(0)
	v_max_f32_e32 v4, v4, v4
	v_max_f32_e32 v1, v1, v4
	v_cndmask_b32_e32 v4, v12, v5, vcc
	v_lshlrev_b32_e32 v5, 2, v4
	ds_bpermute_b32 v4, v5, v1
	v_cmp_lt_i32_e32 vcc, v6, v13
	s_waitcnt lgkmcnt(0)
	;; [unrolled: 7-line block ×3, first 2 shown]
	v_max_f32_e32 v4, v4, v4
	v_max_f32_e32 v4, v1, v4
	v_cndmask_b32_e32 v1, v12, v7, vcc
	v_lshlrev_b32_e32 v28, 2, v1
	ds_bpermute_b32 v8, v28, v4
	v_and_b32_e32 v1, 63, v0
	v_cmp_eq_u32_e32 vcc, 0, v1
	v_lshlrev_b32_e32 v7, 2, v20
	s_and_saveexec_b64 s[0:1], vcc
	s_cbranch_execz .LBB185_15
; %bb.14:
	s_waitcnt lgkmcnt(0)
	v_max_f32_e32 v8, v8, v8
	v_max_f32_e32 v4, v4, v4
	;; [unrolled: 1-line block ×3, first 2 shown]
	ds_write_b32 v7, v4 offset:224
.LBB185_15:
	s_or_b64 exec, exec, s[0:1]
	v_cmp_gt_u32_e64 s[0:1], 2, v1
	v_mov_b32_e32 v4, 0xff7fffff
	s_waitcnt lgkmcnt(0)
	v_lshlrev_b32_e32 v8, 2, v1
	s_barrier
	s_and_saveexec_b64 s[6:7], s[0:1]
	s_cbranch_execz .LBB185_17
; %bb.16:
	ds_read_b32 v4, v8 offset:224
.LBB185_17:
	s_or_b64 exec, exec, s[6:7]
	v_xor_b32_e32 v9, 1, v12
	v_cmp_lt_i32_e64 s[6:7], v9, v13
	s_sub_i32 s3, s23, s3
	s_lshl_b32 s3, s3, 5
	v_cndmask_b32_e64 v9, v12, v9, s[6:7]
	v_lshlrev_b32_e32 v29, 2, v9
	s_waitcnt lgkmcnt(0)
	ds_bpermute_b32 v9, v29, v4
	v_max_f32_e32 v4, v4, v4
	s_add_i32 s3, s3, s40
	s_min_i32 s5, s3, s33
	s_sub_i32 s3, s5, s40
	s_waitcnt lgkmcnt(0)
	v_max_f32_e32 v9, v9, v9
	v_max_f32_e32 v4, v4, v9
	v_lshlrev_b32_e32 v9, 2, v12
	v_and_b32_e32 v9, 0xffffff00, v9
	ds_bpermute_b32 v4, v9, v4
	v_cmp_gt_i32_e64 s[6:7], s3, v0
	v_mov_b32_e32 v12, 0
	s_and_saveexec_b64 s[34:35], s[6:7]
	s_cbranch_execz .LBB185_21
; %bb.18:
	v_mov_b32_e32 v12, 0xf0
	v_lshl_add_u32 v13, v0, 2, v12
	s_mov_b64 s[36:37], 0
	v_mov_b32_e32 v12, 0
	v_mov_b32_e32 v14, v0
.LBB185_19:                             ; =>This Inner Loop Header: Depth=1
	ds_read_b32 v15, v13
	v_add_u32_e32 v14, 0x80, v14
	v_cmp_le_i32_e64 s[10:11], s3, v14
	s_or_b64 s[36:37], s[10:11], s[36:37]
	s_waitcnt lgkmcnt(0)
	v_sub_f32_e32 v15, v15, v4
	v_mul_f32_e32 v15, 0x3fb8aa3b, v15
	v_exp_f32_e32 v15, v15
	ds_write_b32 v13, v15
	v_add_f32_e32 v12, v12, v15
	v_add_u32_e32 v13, 0x200, v13
	s_andn2_b64 exec, exec, s[36:37]
	s_cbranch_execnz .LBB185_19
; %bb.20:
	s_or_b64 exec, exec, s[36:37]
.LBB185_21:
	s_or_b64 exec, exec, s[34:35]
	ds_bpermute_b32 v2, v2, v12
	s_waitcnt lgkmcnt(0)
	v_add_f32_e32 v2, v12, v2
	ds_bpermute_b32 v3, v3, v2
	s_waitcnt lgkmcnt(0)
	v_add_f32_e32 v2, v2, v3
	;; [unrolled: 3-line block ×6, first 2 shown]
	s_and_saveexec_b64 s[10:11], vcc
	s_cbranch_execz .LBB185_23
; %bb.22:
	ds_write_b32 v7, v2 offset:232
.LBB185_23:
	s_or_b64 exec, exec, s[10:11]
	s_waitcnt lgkmcnt(0)
	s_barrier
	s_and_saveexec_b64 s[10:11], s[0:1]
	s_cbranch_execz .LBB185_25
; %bb.24:
	ds_read_b32 v2, v8 offset:232
.LBB185_25:
	s_or_b64 exec, exec, s[10:11]
	s_waitcnt lgkmcnt(0)
	ds_bpermute_b32 v3, v29, v2
	s_waitcnt lgkmcnt(0)
	v_add_f32_e32 v2, v2, v3
	ds_bpermute_b32 v5, v9, v2
	s_and_saveexec_b64 s[0:1], s[6:7]
	s_cbranch_execz .LBB185_38
; %bb.26:
	s_waitcnt lgkmcnt(0)
	v_add_f32_e32 v2, 0x358637bd, v5
	v_div_scale_f32 v3, s[6:7], v2, v2, 1.0
	v_rcp_f32_e32 v6, v3
	v_div_scale_f32 v7, vcc, 1.0, v2, 1.0
	s_mov_b64 s[10:11], -1
	v_fma_f32 v8, -v3, v6, 1.0
	v_fmac_f32_e32 v6, v8, v6
	v_mul_f32_e32 v8, v7, v6
	v_fma_f32 v9, -v3, v8, v7
	v_fmac_f32_e32 v8, v9, v6
	v_fma_f32 v3, -v3, v8, v7
	v_div_fmas_f32 v3, v3, v6, v8
	v_div_fixup_f32 v2, v3, v2, 1.0
	v_xad_u32 v3, v0, -1, s5
	v_subrev_u32_e32 v6, s40, v3
	s_movk_i32 s5, 0x7f
	v_cmp_lt_u32_e32 vcc, s5, v6
	v_mov_b32_e32 v3, v0
	s_and_saveexec_b64 s[6:7], vcc
	s_cbranch_execz .LBB185_35
; %bb.27:
	v_lshrrev_b32_e32 v6, 7, v6
	v_add_u32_e32 v8, -1, v6
	v_lshrrev_b32_e32 v7, 1, v8
	v_mov_b32_e32 v3, v2
	v_add_u32_e32 v7, 1, v7
	v_cmp_lt_u32_e32 vcc, 13, v8
	v_mov_b32_e32 v12, 0
	s_and_saveexec_b64 s[10:11], vcc
	s_cbranch_execz .LBB185_31
; %bb.28:
	v_mov_b32_e32 v9, 0xf0
	v_and_b32_e32 v8, -8, v7
	v_lshl_add_u32 v9, v0, 2, v9
	s_mov_b32 s5, 0
	s_mov_b64 s[34:35], 0
.LBB185_29:                             ; =>This Inner Loop Header: Depth=1
	ds_read2st64_b32 v[12:13], v9 offset1:2
	ds_read2st64_b32 v[14:15], v9 offset0:4 offset1:6
	ds_read2st64_b32 v[16:17], v9 offset0:8 offset1:10
	ds_read2st64_b32 v[22:23], v9 offset0:12 offset1:14
	v_add_u32_e32 v8, -8, v8
	s_waitcnt lgkmcnt(3)
	v_pk_mul_f32 v[12:13], v[2:3], v[12:13]
	s_waitcnt lgkmcnt(2)
	v_pk_mul_f32 v[14:15], v[2:3], v[14:15]
	ds_write2st64_b32 v9, v12, v13 offset1:2
	ds_write2st64_b32 v9, v14, v15 offset0:4 offset1:6
	ds_read2st64_b32 v[14:15], v9 offset0:16 offset1:18
	s_waitcnt lgkmcnt(4)
	v_pk_mul_f32 v[12:13], v[2:3], v[16:17]
	ds_write2st64_b32 v9, v12, v13 offset0:8 offset1:10
	s_waitcnt lgkmcnt(4)
	v_pk_mul_f32 v[12:13], v[2:3], v[22:23]
	ds_write2st64_b32 v9, v12, v13 offset0:12 offset1:14
	ds_read2st64_b32 v[12:13], v9 offset0:20 offset1:22
	s_waitcnt lgkmcnt(3)
	v_pk_mul_f32 v[14:15], v[2:3], v[14:15]
	ds_read2st64_b32 v[16:17], v9 offset0:24 offset1:26
	ds_write2st64_b32 v9, v14, v15 offset0:16 offset1:18
	ds_read2st64_b32 v[14:15], v9 offset0:28 offset1:30
	s_waitcnt lgkmcnt(3)
	v_pk_mul_f32 v[12:13], v[2:3], v[12:13]
	ds_write2st64_b32 v9, v12, v13 offset0:20 offset1:22
	s_waitcnt lgkmcnt(3)
	v_pk_mul_f32 v[12:13], v[2:3], v[16:17]
	ds_write2st64_b32 v9, v12, v13 offset0:24 offset1:26
	s_waitcnt lgkmcnt(2)
	v_pk_mul_f32 v[12:13], v[2:3], v[14:15]
	s_add_i32 s5, s5, 16
	v_cmp_eq_u32_e32 vcc, 0, v8
	ds_write2st64_b32 v9, v12, v13 offset0:28 offset1:30
	v_add_u32_e32 v9, 0x2000, v9
	s_or_b64 s[34:35], vcc, s[34:35]
	v_mov_b32_e32 v12, s5
	s_andn2_b64 exec, exec, s[34:35]
	s_cbranch_execnz .LBB185_29
; %bb.30:
	s_or_b64 exec, exec, s[34:35]
.LBB185_31:
	s_or_b64 exec, exec, s[10:11]
	v_and_b32_e32 v7, 7, v7
	v_cmp_ne_u32_e32 vcc, 0, v7
	s_and_saveexec_b64 s[10:11], vcc
	s_cbranch_execz .LBB185_34
; %bb.32:
	v_lshlrev_b32_e32 v8, 9, v12
	v_lshlrev_b32_e32 v9, 2, v0
	s_movk_i32 s5, 0xf0
	v_add3_u32 v8, v8, v9, s5
	s_mov_b64 s[34:35], 0
.LBB185_33:                             ; =>This Inner Loop Header: Depth=1
	ds_read2st64_b32 v[12:13], v8 offset1:2
	v_add_u32_e32 v7, -1, v7
	v_cmp_eq_u32_e32 vcc, 0, v7
	s_or_b64 s[34:35], vcc, s[34:35]
	s_waitcnt lgkmcnt(0)
	v_pk_mul_f32 v[12:13], v[2:3], v[12:13]
	ds_write2st64_b32 v8, v12, v13 offset1:2
	v_add_u32_e32 v8, 0x400, v8
	s_andn2_b64 exec, exec, s[34:35]
	s_cbranch_execnz .LBB185_33
.LBB185_34:
	s_or_b64 exec, exec, s[10:11]
	v_add_u32_e32 v6, 1, v6
	v_and_b32_e32 v7, 0x3fffffe, v6
	v_cmp_ne_u32_e32 vcc, v6, v7
	v_lshl_add_u32 v3, v7, 7, v0
	s_orn2_b64 s[10:11], vcc, exec
.LBB185_35:
	s_or_b64 exec, exec, s[6:7]
	s_and_b64 exec, exec, s[10:11]
	s_cbranch_execz .LBB185_38
; %bb.36:
	v_mov_b32_e32 v6, 0xf0
	v_lshl_add_u32 v6, v3, 2, v6
	s_mov_b64 s[6:7], 0
.LBB185_37:                             ; =>This Inner Loop Header: Depth=1
	ds_read_b32 v7, v6
	v_add_u32_e32 v3, 0x80, v3
	v_cmp_le_i32_e32 vcc, s3, v3
	s_or_b64 s[6:7], vcc, s[6:7]
	s_waitcnt lgkmcnt(0)
	v_mul_f32_e32 v7, v2, v7
	ds_write_b32 v6, v7
	v_add_u32_e32 v6, 0x200, v6
	s_andn2_b64 exec, exec, s[6:7]
	s_cbranch_execnz .LBB185_37
.LBB185_38:
	s_or_b64 exec, exec, s[0:1]
	v_cmp_eq_u32_e32 vcc, 0, v0
	s_waitcnt lgkmcnt(0)
	s_barrier
	s_and_saveexec_b64 s[0:1], vcc
	s_cbranch_execz .LBB185_40
; %bb.39:
	s_mul_i32 s3, s12, s20
	s_mul_i32 s6, s3, s21
	s_ashr_i32 s7, s6, 31
	s_lshl_b64 s[6:7], s[6:7], 2
	s_add_u32 s5, s18, s6
	s_mul_i32 s2, s12, s2
	s_addc_u32 s10, s19, s7
	s_ashr_i32 s3, s2, 31
	s_lshl_b64 s[2:3], s[2:3], 2
	s_add_u32 s15, s5, s2
	s_addc_u32 s19, s10, s3
	s_ashr_i32 s5, s4, 31
	s_lshl_b64 s[10:11], s[4:5], 2
	s_add_u32 s18, s15, s10
	s_addc_u32 s19, s19, s11
	s_add_u32 s5, s16, s6
	s_addc_u32 s6, s17, s7
	;; [unrolled: 2-line block ×3, first 2 shown]
	s_add_u32 s2, s2, s10
	v_mov_b32_e32 v2, 0
	s_addc_u32 s3, s3, s11
	global_store_dword v2, v4, s[18:19]
	global_store_dword v2, v5, s[2:3]
.LBB185_40:
	s_or_b64 exec, exec, s[0:1]
	v_mov_b32_e32 v31, 0
	v_and_b32_e32 v30, 3, v0
	v_mov_b32_e32 v13, 0
	v_mov_b32_e32 v12, 0
	;; [unrolled: 1-line block ×6, first 2 shown]
	s_and_saveexec_b64 s[2:3], s[8:9]
	s_cbranch_execz .LBB185_314
; %bb.41:
	s_ashr_i32 s15, s14, 31
	s_lshl_b64 s[0:1], s[14:15], 1
	s_add_u32 s6, s30, s0
	v_and_b32_e32 v3, 24, v18
	s_mov_b32 s5, s13
	s_addc_u32 s7, s31, s1
	s_add_i32 s13, s41, -1
	v_lshl_add_u32 v5, v20, 5, s40
	s_lshl_b64 s[0:1], s[28:29], 2
	v_and_b32_e32 v2, 0x1f8, v18
	v_add3_u32 v32, v5, v3, 7
	v_lshlrev_b32_e32 v3, 5, v30
	s_add_u32 s0, s26, s0
	v_mov_b32_e32 v19, 0
	v_or_b32_e32 v4, 0x800, v2
	v_or_b32_e32 v6, 0xa00, v2
	v_or_b32_e32 v8, 0xc00, v2
	v_lshl_or_b32 v3, v20, 7, v3
	s_addc_u32 s1, s27, s1
	v_add_u32_e32 v33, 0xf0, v3
	v_lshl_add_u64 v[20:21], v[10:11], 2, s[0:1]
	s_mov_b64 s[8:9], 0
	s_mov_b32 s14, 0x7f800000
	s_movk_i32 s15, 0x7fff
	v_lshlrev_b32_e32 v18, 1, v2
	v_lshlrev_b32_e32 v22, 1, v4
	v_lshlrev_b32_e32 v24, 1, v6
	v_lshlrev_b32_e32 v26, 1, v8
	v_mov_b32_e32 v16, v19
	v_mov_b32_e32 v17, v19
	;; [unrolled: 1-line block ×7, first 2 shown]
	s_branch .LBB185_43
.LBB185_42:                             ;   in Loop: Header=BB185_43 Depth=1
	s_or_b64 exec, exec, s[0:1]
	v_and_b32_e32 v42, 0xffff0000, v38
	v_and_b32_e32 v38, 0xffff0000, v37
	;; [unrolled: 1-line block ×8, first 2 shown]
	v_pk_add_f32 v[34:35], v[34:35], v[36:37]
	v_pk_add_f32 v[36:37], v[38:39], v[42:43]
	v_add_f32_e32 v11, v34, v35
	v_add_f32_e32 v11, v11, v36
	v_and_b32_e32 v39, 0xffff0000, v59
	v_and_b32_e32 v38, 0xffff0000, v57
	;; [unrolled: 1-line block ×4, first 2 shown]
	v_add_f32_e32 v11, v11, v37
	v_and_b32_e32 v35, 0xffff0000, v63
	v_and_b32_e32 v34, 0xffff0000, v61
	;; [unrolled: 1-line block ×4, first 2 shown]
	v_pk_add_f32 v[38:39], v[42:43], v[38:39]
	v_add_f32_e32 v16, v16, v11
	v_pk_add_f32 v[34:35], v[36:37], v[34:35]
	v_add_f32_e32 v11, v38, v39
	v_add_f32_e32 v11, v11, v34
	v_and_b32_e32 v39, 0xffff0000, v67
	v_and_b32_e32 v38, 0xffff0000, v65
	;; [unrolled: 1-line block ×4, first 2 shown]
	v_add_f32_e32 v11, v11, v35
	v_and_b32_e32 v35, 0xffff0000, v71
	v_and_b32_e32 v34, 0xffff0000, v69
	v_and_b32_e32 v37, 0xffff0000, v70
	v_and_b32_e32 v36, 0xffff0000, v68
	v_pk_add_f32 v[38:39], v[42:43], v[38:39]
	v_add_f32_e32 v17, v17, v11
	v_pk_add_f32 v[34:35], v[36:37], v[34:35]
	v_add_f32_e32 v11, v38, v39
	v_add_f32_e32 v11, v11, v34
	v_and_b32_e32 v39, 0xffff0000, v73
	v_and_b32_e32 v38, 0xffff0000, v9
	;; [unrolled: 1-line block ×4, first 2 shown]
	v_add_f32_e32 v11, v11, v35
	v_and_b32_e32 v35, 0xffff0000, v77
	v_and_b32_e32 v34, 0xffff0000, v75
	;; [unrolled: 1-line block ×4, first 2 shown]
	v_pk_add_f32 v[8:9], v[8:9], v[38:39]
	v_pk_add_f32 v[34:35], v[36:37], v[34:35]
	v_add_f32_e32 v8, v8, v9
	v_add_f32_e32 v8, v8, v34
	;; [unrolled: 1-line block ×3, first 2 shown]
	v_and_b32_e32 v37, 0xffff0000, v80
	v_and_b32_e32 v36, 0xffff0000, v78
	;; [unrolled: 1-line block ×4, first 2 shown]
	v_add_f32_e32 v15, v15, v8
	v_and_b32_e32 v9, 0xffff0000, v84
	v_and_b32_e32 v8, 0xffff0000, v82
	;; [unrolled: 1-line block ×4, first 2 shown]
	v_pk_add_f32 v[36:37], v[38:39], v[36:37]
	v_add_f32_e32 v14, v14, v11
	v_pk_add_f32 v[8:9], v[34:35], v[8:9]
	v_add_f32_e32 v11, v36, v37
	v_add_f32_e32 v8, v11, v8
	;; [unrolled: 1-line block ×3, first 2 shown]
	v_and_b32_e32 v37, 0xffff0000, v87
	v_and_b32_e32 v36, 0xffff0000, v85
	;; [unrolled: 1-line block ×4, first 2 shown]
	v_add_f32_e32 v12, v12, v8
	v_and_b32_e32 v9, 0xffff0000, v91
	v_and_b32_e32 v8, 0xffff0000, v89
	;; [unrolled: 1-line block ×4, first 2 shown]
	v_pk_add_f32 v[36:37], v[38:39], v[36:37]
	v_pk_add_f32 v[8:9], v[34:35], v[8:9]
	v_add_f32_e32 v11, v36, v37
	v_add_f32_e32 v8, v11, v8
	;; [unrolled: 1-line block ×3, first 2 shown]
	v_and_b32_e32 v7, 0xffff0000, v7
	v_and_b32_e32 v6, 0xffff0000, v6
	;; [unrolled: 1-line block ×4, first 2 shown]
	v_add_f32_e32 v13, v13, v8
	v_and_b32_e32 v9, 0xffff0000, v27
	v_and_b32_e32 v8, 0xffff0000, v40
	;; [unrolled: 1-line block ×4, first 2 shown]
	v_pk_add_f32 v[2:3], v[2:3], v[6:7]
	v_pk_add_f32 v[4:5], v[4:5], v[8:9]
	v_add_f32_e32 v2, v2, v3
	v_add_f32_e32 v2, v2, v4
	v_add_u32_e32 v10, 2, v10
	v_add_f32_e32 v2, v2, v5
	v_cmp_le_i32_e32 vcc, s23, v10
	v_add_f32_e32 v31, v31, v2
	v_add_u32_e32 v32, 64, v32
	v_add_u32_e32 v33, 0x100, v33
	s_or_b64 s[8:9], vcc, s[8:9]
	v_lshl_add_u64 v[20:21], v[20:21], 0, 8
	s_andn2_b64 exec, exec, s[8:9]
	s_cbranch_execz .LBB185_313
.LBB185_43:                             ; =>This Inner Loop Header: Depth=1
	global_load_dword v38, v[20:21], off
	ds_read2_b64 v[6:9], v33 offset1:1
	ds_read2_b64 v[2:5], v33 offset0:2 offset1:3
	s_waitcnt lgkmcnt(1)
	v_and_b32_e32 v11, 0x7f800000, v6
	v_cmp_ne_u32_e32 vcc, s14, v11
                                        ; implicit-def: $vgpr11
	s_and_saveexec_b64 s[0:1], vcc
	s_xor_b64 s[0:1], exec, s[0:1]
; %bb.44:                               ;   in Loop: Header=BB185_43 Depth=1
	v_bfe_u32 v11, v6, 16, 1
	v_add3_u32 v11, v6, v11, s15
; %bb.45:                               ;   in Loop: Header=BB185_43 Depth=1
	s_andn2_saveexec_b64 s[0:1], s[0:1]
; %bb.46:                               ;   in Loop: Header=BB185_43 Depth=1
	v_or_b32_e32 v11, 0x10000, v6
	v_cmp_eq_u32_sdwa vcc, v6, v19 src0_sel:WORD_0 src1_sel:DWORD
	s_nop 1
	v_cndmask_b32_e32 v11, v11, v6, vcc
; %bb.47:                               ;   in Loop: Header=BB185_43 Depth=1
	s_or_b64 exec, exec, s[0:1]
	v_and_b32_e32 v6, 0x7f800000, v7
	v_cmp_ne_u32_e32 vcc, s14, v6
                                        ; implicit-def: $vgpr34
	s_and_saveexec_b64 s[0:1], vcc
	s_xor_b64 s[0:1], exec, s[0:1]
; %bb.48:                               ;   in Loop: Header=BB185_43 Depth=1
	v_bfe_u32 v6, v7, 16, 1
	v_add3_u32 v34, v7, v6, s15
; %bb.49:                               ;   in Loop: Header=BB185_43 Depth=1
	s_andn2_saveexec_b64 s[0:1], s[0:1]
; %bb.50:                               ;   in Loop: Header=BB185_43 Depth=1
	v_or_b32_e32 v6, 0x10000, v7
	v_cmp_eq_u32_sdwa vcc, v7, v19 src0_sel:WORD_0 src1_sel:DWORD
	s_nop 1
	v_cndmask_b32_e32 v34, v6, v7, vcc
; %bb.51:                               ;   in Loop: Header=BB185_43 Depth=1
	s_or_b64 exec, exec, s[0:1]
	v_and_b32_e32 v6, 0x7f800000, v8
	v_cmp_ne_u32_e32 vcc, s14, v6
                                        ; implicit-def: $vgpr35
	s_and_saveexec_b64 s[0:1], vcc
	s_xor_b64 s[0:1], exec, s[0:1]
; %bb.52:                               ;   in Loop: Header=BB185_43 Depth=1
	v_bfe_u32 v6, v8, 16, 1
	v_add3_u32 v35, v8, v6, s15
; %bb.53:                               ;   in Loop: Header=BB185_43 Depth=1
	s_andn2_saveexec_b64 s[0:1], s[0:1]
; %bb.54:                               ;   in Loop: Header=BB185_43 Depth=1
	v_or_b32_e32 v6, 0x10000, v8
	v_cmp_eq_u32_sdwa vcc, v8, v19 src0_sel:WORD_0 src1_sel:DWORD
	s_nop 1
	v_cndmask_b32_e32 v35, v6, v8, vcc
; %bb.55:                               ;   in Loop: Header=BB185_43 Depth=1
	s_or_b64 exec, exec, s[0:1]
	v_and_b32_e32 v6, 0x7f800000, v9
	v_cmp_ne_u32_e32 vcc, s14, v6
                                        ; implicit-def: $vgpr36
	s_and_saveexec_b64 s[0:1], vcc
	s_xor_b64 s[0:1], exec, s[0:1]
; %bb.56:                               ;   in Loop: Header=BB185_43 Depth=1
	v_bfe_u32 v6, v9, 16, 1
	v_add3_u32 v36, v9, v6, s15
                                        ; implicit-def: $vgpr6_vgpr7_vgpr8_vgpr9
; %bb.57:                               ;   in Loop: Header=BB185_43 Depth=1
	s_andn2_saveexec_b64 s[0:1], s[0:1]
; %bb.58:                               ;   in Loop: Header=BB185_43 Depth=1
	v_or_b32_e32 v6, 0x10000, v9
	v_cmp_eq_u32_sdwa vcc, v9, v19 src0_sel:WORD_0 src1_sel:DWORD
	s_nop 1
	v_cndmask_b32_e32 v36, v6, v9, vcc
; %bb.59:                               ;   in Loop: Header=BB185_43 Depth=1
	s_or_b64 exec, exec, s[0:1]
	s_waitcnt lgkmcnt(0)
	v_and_b32_e32 v6, 0x7f800000, v2
	v_cmp_ne_u32_e32 vcc, s14, v6
                                        ; implicit-def: $vgpr37
	s_and_saveexec_b64 s[0:1], vcc
	s_xor_b64 s[0:1], exec, s[0:1]
; %bb.60:                               ;   in Loop: Header=BB185_43 Depth=1
	v_bfe_u32 v6, v2, 16, 1
	v_add3_u32 v37, v2, v6, s15
; %bb.61:                               ;   in Loop: Header=BB185_43 Depth=1
	s_andn2_saveexec_b64 s[0:1], s[0:1]
; %bb.62:                               ;   in Loop: Header=BB185_43 Depth=1
	v_or_b32_e32 v6, 0x10000, v2
	v_cmp_eq_u32_sdwa vcc, v2, v19 src0_sel:WORD_0 src1_sel:DWORD
	s_nop 1
	v_cndmask_b32_e32 v37, v6, v2, vcc
; %bb.63:                               ;   in Loop: Header=BB185_43 Depth=1
	s_or_b64 exec, exec, s[0:1]
	v_and_b32_e32 v2, 0x7f800000, v3
	v_cmp_ne_u32_e32 vcc, s14, v2
                                        ; implicit-def: $vgpr27
	s_and_saveexec_b64 s[0:1], vcc
	s_xor_b64 s[0:1], exec, s[0:1]
; %bb.64:                               ;   in Loop: Header=BB185_43 Depth=1
	v_bfe_u32 v2, v3, 16, 1
	v_add3_u32 v27, v3, v2, s15
; %bb.65:                               ;   in Loop: Header=BB185_43 Depth=1
	s_andn2_saveexec_b64 s[0:1], s[0:1]
; %bb.66:                               ;   in Loop: Header=BB185_43 Depth=1
	v_or_b32_e32 v2, 0x10000, v3
	v_cmp_eq_u32_sdwa vcc, v3, v19 src0_sel:WORD_0 src1_sel:DWORD
	s_nop 1
	v_cndmask_b32_e32 v27, v2, v3, vcc
; %bb.67:                               ;   in Loop: Header=BB185_43 Depth=1
	s_or_b64 exec, exec, s[0:1]
	v_and_b32_e32 v2, 0x7f800000, v4
	v_cmp_ne_u32_e32 vcc, s14, v2
                                        ; implicit-def: $vgpr25
	s_and_saveexec_b64 s[0:1], vcc
	s_xor_b64 s[0:1], exec, s[0:1]
; %bb.68:                               ;   in Loop: Header=BB185_43 Depth=1
	v_bfe_u32 v2, v4, 16, 1
	v_add3_u32 v25, v4, v2, s15
; %bb.69:                               ;   in Loop: Header=BB185_43 Depth=1
	s_andn2_saveexec_b64 s[0:1], s[0:1]
; %bb.70:                               ;   in Loop: Header=BB185_43 Depth=1
	v_or_b32_e32 v2, 0x10000, v4
	v_cmp_eq_u32_sdwa vcc, v4, v19 src0_sel:WORD_0 src1_sel:DWORD
	s_nop 1
	v_cndmask_b32_e32 v25, v2, v4, vcc
; %bb.71:                               ;   in Loop: Header=BB185_43 Depth=1
	s_or_b64 exec, exec, s[0:1]
	v_and_b32_e32 v2, 0x7f800000, v5
	v_cmp_ne_u32_e32 vcc, s14, v2
                                        ; implicit-def: $vgpr23
	s_and_saveexec_b64 s[0:1], vcc
	s_xor_b64 s[0:1], exec, s[0:1]
; %bb.72:                               ;   in Loop: Header=BB185_43 Depth=1
	v_bfe_u32 v2, v5, 16, 1
	v_add3_u32 v23, v5, v2, s15
                                        ; implicit-def: $vgpr2_vgpr3_vgpr4_vgpr5
; %bb.73:                               ;   in Loop: Header=BB185_43 Depth=1
	s_andn2_saveexec_b64 s[0:1], s[0:1]
; %bb.74:                               ;   in Loop: Header=BB185_43 Depth=1
	v_or_b32_e32 v2, 0x10000, v5
	v_cmp_eq_u32_sdwa vcc, v5, v19 src0_sel:WORD_0 src1_sel:DWORD
	s_nop 1
	v_cndmask_b32_e32 v23, v2, v5, vcc
; %bb.75:                               ;   in Loop: Header=BB185_43 Depth=1
	s_or_b64 exec, exec, s[0:1]
	s_waitcnt vmcnt(0)
	v_mad_i64_i32 v[2:3], s[0:1], v38, s5, 0
	v_lshl_add_u64 v[6:7], v[2:3], 1, s[6:7]
	v_lshl_add_u64 v[8:9], v[6:7], 0, v[18:19]
	global_load_dwordx4 v[2:5], v[8:9], off
	v_add_u32_e32 v40, -7, v32
	v_cmp_eq_u32_e32 vcc, s13, v10
	v_add_u32_e32 v46, -6, v32
	v_add_u32_e32 v44, -5, v32
	;; [unrolled: 1-line block ×6, first 2 shown]
	s_waitcnt vmcnt(0)
	v_lshrrev_b32_e32 v50, 16, v2
	v_lshrrev_b32_e32 v39, 16, v3
	;; [unrolled: 1-line block ×4, first 2 shown]
	s_and_saveexec_b64 s[10:11], vcc
	s_cbranch_execz .LBB185_77
; %bb.76:                               ;   in Loop: Header=BB185_43 Depth=1
	v_cmp_gt_i32_e64 s[0:1], s33, v40
	s_nop 1
	v_cndmask_b32_e64 v2, 0, v2, s[0:1]
	v_cmp_gt_i32_e64 s[0:1], s33, v46
	s_nop 1
	v_cndmask_b32_e64 v50, 0, v50, s[0:1]
	v_cmp_gt_i32_e64 s[0:1], s33, v44
	s_nop 1
	v_cndmask_b32_e64 v3, 0, v3, s[0:1]
	v_cmp_gt_i32_e64 s[0:1], s33, v43
	s_nop 1
	v_cndmask_b32_e64 v39, 0, v39, s[0:1]
	v_cmp_gt_i32_e64 s[0:1], s33, v42
	s_nop 1
	v_cndmask_b32_e64 v4, 0, v4, s[0:1]
	v_cmp_gt_i32_e64 s[0:1], s33, v41
	s_nop 1
	v_cndmask_b32_e64 v38, 0, v38, s[0:1]
	v_cmp_gt_i32_e64 s[0:1], s33, v45
	s_nop 1
	v_cndmask_b32_e64 v5, 0, v5, s[0:1]
	v_cmp_gt_i32_e64 s[0:1], s33, v32
	s_nop 1
	v_cndmask_b32_e64 v47, 0, v47, s[0:1]
.LBB185_77:                             ;   in Loop: Header=BB185_43 Depth=1
	s_or_b64 exec, exec, s[10:11]
	v_and_b32_e32 v48, 0xffff0000, v11
	v_lshlrev_b32_e32 v2, 16, v2
	v_mul_f32_e32 v2, v48, v2
	v_and_b32_e32 v11, 0x7f800000, v2
	v_cmp_ne_u32_e64 s[0:1], s14, v11
                                        ; implicit-def: $vgpr11
	s_and_saveexec_b64 s[10:11], s[0:1]
	s_xor_b64 s[0:1], exec, s[10:11]
; %bb.78:                               ;   in Loop: Header=BB185_43 Depth=1
	v_bfe_u32 v11, v2, 16, 1
	v_add3_u32 v11, v2, v11, s15
                                        ; implicit-def: $vgpr2
; %bb.79:                               ;   in Loop: Header=BB185_43 Depth=1
	s_andn2_saveexec_b64 s[10:11], s[0:1]
; %bb.80:                               ;   in Loop: Header=BB185_43 Depth=1
	v_or_b32_e32 v11, 0x10000, v2
	v_cmp_eq_u32_sdwa s[0:1], v2, v19 src0_sel:WORD_0 src1_sel:DWORD
	s_nop 1
	v_cndmask_b32_e64 v11, v11, v2, s[0:1]
; %bb.81:                               ;   in Loop: Header=BB185_43 Depth=1
	s_or_b64 exec, exec, s[10:11]
	v_and_b32_e32 v49, 0xffff0000, v34
	v_lshlrev_b32_e32 v2, 16, v50
	v_mul_f32_e32 v2, v49, v2
	v_and_b32_e32 v34, 0x7f800000, v2
	v_cmp_ne_u32_e64 s[0:1], s14, v34
                                        ; implicit-def: $vgpr34
	s_and_saveexec_b64 s[10:11], s[0:1]
	s_xor_b64 s[0:1], exec, s[10:11]
; %bb.82:                               ;   in Loop: Header=BB185_43 Depth=1
	v_bfe_u32 v34, v2, 16, 1
	v_add3_u32 v34, v2, v34, s15
                                        ; implicit-def: $vgpr2
; %bb.83:                               ;   in Loop: Header=BB185_43 Depth=1
	s_andn2_saveexec_b64 s[10:11], s[0:1]
; %bb.84:                               ;   in Loop: Header=BB185_43 Depth=1
	v_or_b32_e32 v34, 0x10000, v2
	v_cmp_eq_u32_sdwa s[0:1], v2, v19 src0_sel:WORD_0 src1_sel:DWORD
	s_nop 1
	v_cndmask_b32_e64 v34, v34, v2, s[0:1]
; %bb.85:                               ;   in Loop: Header=BB185_43 Depth=1
	s_or_b64 exec, exec, s[10:11]
	v_and_b32_e32 v50, 0xffff0000, v35
	v_lshlrev_b32_e32 v2, 16, v3
	v_mul_f32_e32 v2, v50, v2
	v_and_b32_e32 v3, 0x7f800000, v2
	v_cmp_ne_u32_e64 s[0:1], s14, v3
                                        ; implicit-def: $vgpr35
	s_and_saveexec_b64 s[10:11], s[0:1]
	s_xor_b64 s[0:1], exec, s[10:11]
; %bb.86:                               ;   in Loop: Header=BB185_43 Depth=1
	v_bfe_u32 v3, v2, 16, 1
	v_add3_u32 v35, v2, v3, s15
                                        ; implicit-def: $vgpr2
; %bb.87:                               ;   in Loop: Header=BB185_43 Depth=1
	s_andn2_saveexec_b64 s[10:11], s[0:1]
; %bb.88:                               ;   in Loop: Header=BB185_43 Depth=1
	v_or_b32_e32 v3, 0x10000, v2
	v_cmp_eq_u32_sdwa s[0:1], v2, v19 src0_sel:WORD_0 src1_sel:DWORD
	s_nop 1
	v_cndmask_b32_e64 v35, v3, v2, s[0:1]
; %bb.89:                               ;   in Loop: Header=BB185_43 Depth=1
	s_or_b64 exec, exec, s[10:11]
	v_and_b32_e32 v51, 0xffff0000, v36
	v_lshlrev_b32_e32 v2, 16, v39
	v_mul_f32_e32 v2, v51, v2
	v_and_b32_e32 v3, 0x7f800000, v2
	v_cmp_ne_u32_e64 s[0:1], s14, v3
                                        ; implicit-def: $vgpr36
	s_and_saveexec_b64 s[10:11], s[0:1]
	s_xor_b64 s[0:1], exec, s[10:11]
; %bb.90:                               ;   in Loop: Header=BB185_43 Depth=1
	v_bfe_u32 v3, v2, 16, 1
	v_add3_u32 v36, v2, v3, s15
                                        ; implicit-def: $vgpr2
; %bb.91:                               ;   in Loop: Header=BB185_43 Depth=1
	s_andn2_saveexec_b64 s[10:11], s[0:1]
; %bb.92:                               ;   in Loop: Header=BB185_43 Depth=1
	v_or_b32_e32 v3, 0x10000, v2
	v_cmp_eq_u32_sdwa s[0:1], v2, v19 src0_sel:WORD_0 src1_sel:DWORD
	s_nop 1
	v_cndmask_b32_e64 v36, v3, v2, s[0:1]
; %bb.93:                               ;   in Loop: Header=BB185_43 Depth=1
	s_or_b64 exec, exec, s[10:11]
	v_and_b32_e32 v52, 0xffff0000, v37
	v_lshlrev_b32_e32 v2, 16, v4
	v_mul_f32_e32 v2, v52, v2
	v_and_b32_e32 v3, 0x7f800000, v2
	v_cmp_ne_u32_e64 s[0:1], s14, v3
                                        ; implicit-def: $vgpr37
	s_and_saveexec_b64 s[10:11], s[0:1]
	s_xor_b64 s[0:1], exec, s[10:11]
; %bb.94:                               ;   in Loop: Header=BB185_43 Depth=1
	v_bfe_u32 v3, v2, 16, 1
	v_add3_u32 v37, v2, v3, s15
                                        ; implicit-def: $vgpr2
; %bb.95:                               ;   in Loop: Header=BB185_43 Depth=1
	s_andn2_saveexec_b64 s[10:11], s[0:1]
; %bb.96:                               ;   in Loop: Header=BB185_43 Depth=1
	v_or_b32_e32 v3, 0x10000, v2
	v_cmp_eq_u32_sdwa s[0:1], v2, v19 src0_sel:WORD_0 src1_sel:DWORD
	s_nop 1
	v_cndmask_b32_e64 v37, v3, v2, s[0:1]
; %bb.97:                               ;   in Loop: Header=BB185_43 Depth=1
	s_or_b64 exec, exec, s[10:11]
	v_and_b32_e32 v53, 0xffff0000, v27
	v_lshlrev_b32_e32 v2, 16, v38
	v_mul_f32_e32 v2, v53, v2
	v_and_b32_e32 v3, 0x7f800000, v2
	v_cmp_ne_u32_e64 s[0:1], s14, v3
                                        ; implicit-def: $vgpr38
	s_and_saveexec_b64 s[10:11], s[0:1]
	s_xor_b64 s[0:1], exec, s[10:11]
; %bb.98:                               ;   in Loop: Header=BB185_43 Depth=1
	v_bfe_u32 v3, v2, 16, 1
	v_add3_u32 v38, v2, v3, s15
                                        ; implicit-def: $vgpr2
; %bb.99:                               ;   in Loop: Header=BB185_43 Depth=1
	s_andn2_saveexec_b64 s[10:11], s[0:1]
; %bb.100:                              ;   in Loop: Header=BB185_43 Depth=1
	v_or_b32_e32 v3, 0x10000, v2
	v_cmp_eq_u32_sdwa s[0:1], v2, v19 src0_sel:WORD_0 src1_sel:DWORD
	s_nop 1
	v_cndmask_b32_e64 v38, v3, v2, s[0:1]
; %bb.101:                              ;   in Loop: Header=BB185_43 Depth=1
	s_or_b64 exec, exec, s[10:11]
	v_and_b32_e32 v54, 0xffff0000, v25
	v_lshlrev_b32_e32 v2, 16, v5
	v_mul_f32_e32 v2, v54, v2
	v_and_b32_e32 v3, 0x7f800000, v2
	v_cmp_ne_u32_e64 s[0:1], s14, v3
                                        ; implicit-def: $vgpr39
	s_and_saveexec_b64 s[10:11], s[0:1]
	s_xor_b64 s[0:1], exec, s[10:11]
; %bb.102:                              ;   in Loop: Header=BB185_43 Depth=1
	v_bfe_u32 v3, v2, 16, 1
	v_add3_u32 v39, v2, v3, s15
                                        ; implicit-def: $vgpr2
; %bb.103:                              ;   in Loop: Header=BB185_43 Depth=1
	s_andn2_saveexec_b64 s[10:11], s[0:1]
; %bb.104:                              ;   in Loop: Header=BB185_43 Depth=1
	v_or_b32_e32 v3, 0x10000, v2
	v_cmp_eq_u32_sdwa s[0:1], v2, v19 src0_sel:WORD_0 src1_sel:DWORD
	s_nop 1
	v_cndmask_b32_e64 v39, v3, v2, s[0:1]
; %bb.105:                              ;   in Loop: Header=BB185_43 Depth=1
	s_or_b64 exec, exec, s[10:11]
	v_and_b32_e32 v55, 0xffff0000, v23
	v_lshlrev_b32_e32 v2, 16, v47
	v_mul_f32_e32 v2, v55, v2
	v_and_b32_e32 v3, 0x7f800000, v2
	v_cmp_ne_u32_e64 s[0:1], s14, v3
                                        ; implicit-def: $vgpr47
	s_and_saveexec_b64 s[10:11], s[0:1]
	s_xor_b64 s[0:1], exec, s[10:11]
; %bb.106:                              ;   in Loop: Header=BB185_43 Depth=1
	v_bfe_u32 v3, v2, 16, 1
	v_add3_u32 v47, v2, v3, s15
                                        ; implicit-def: $vgpr2
; %bb.107:                              ;   in Loop: Header=BB185_43 Depth=1
	s_andn2_saveexec_b64 s[10:11], s[0:1]
; %bb.108:                              ;   in Loop: Header=BB185_43 Depth=1
	v_or_b32_e32 v3, 0x10000, v2
	v_cmp_eq_u32_sdwa s[0:1], v2, v19 src0_sel:WORD_0 src1_sel:DWORD
	s_nop 1
	v_cndmask_b32_e64 v47, v3, v2, s[0:1]
; %bb.109:                              ;   in Loop: Header=BB185_43 Depth=1
	s_or_b64 exec, exec, s[10:11]
	global_load_dwordx4 v[2:5], v[8:9], off offset:1024
	s_waitcnt vmcnt(0)
	v_lshrrev_b32_e32 v57, 16, v2
	v_lshrrev_b32_e32 v27, 16, v3
	;; [unrolled: 1-line block ×4, first 2 shown]
	s_and_saveexec_b64 s[10:11], vcc
	s_cbranch_execz .LBB185_111
; %bb.110:                              ;   in Loop: Header=BB185_43 Depth=1
	v_cmp_gt_i32_e64 s[0:1], s33, v40
	s_nop 1
	v_cndmask_b32_e64 v2, 0, v2, s[0:1]
	v_cmp_gt_i32_e64 s[0:1], s33, v46
	s_nop 1
	v_cndmask_b32_e64 v57, 0, v57, s[0:1]
	;; [unrolled: 3-line block ×8, first 2 shown]
.LBB185_111:                            ;   in Loop: Header=BB185_43 Depth=1
	s_or_b64 exec, exec, s[10:11]
	v_lshlrev_b32_e32 v2, 16, v2
	v_mul_f32_e32 v2, v48, v2
	v_and_b32_e32 v56, 0x7f800000, v2
	v_cmp_ne_u32_e64 s[0:1], s14, v56
                                        ; implicit-def: $vgpr56
	s_and_saveexec_b64 s[10:11], s[0:1]
	s_xor_b64 s[0:1], exec, s[10:11]
; %bb.112:                              ;   in Loop: Header=BB185_43 Depth=1
	v_bfe_u32 v56, v2, 16, 1
	v_add3_u32 v56, v2, v56, s15
                                        ; implicit-def: $vgpr2
; %bb.113:                              ;   in Loop: Header=BB185_43 Depth=1
	s_andn2_saveexec_b64 s[10:11], s[0:1]
; %bb.114:                              ;   in Loop: Header=BB185_43 Depth=1
	v_or_b32_e32 v56, 0x10000, v2
	v_cmp_eq_u32_sdwa s[0:1], v2, v19 src0_sel:WORD_0 src1_sel:DWORD
	s_nop 1
	v_cndmask_b32_e64 v56, v56, v2, s[0:1]
; %bb.115:                              ;   in Loop: Header=BB185_43 Depth=1
	s_or_b64 exec, exec, s[10:11]
	v_lshlrev_b32_e32 v2, 16, v57
	v_mul_f32_e32 v2, v49, v2
	v_and_b32_e32 v57, 0x7f800000, v2
	v_cmp_ne_u32_e64 s[0:1], s14, v57
                                        ; implicit-def: $vgpr57
	s_and_saveexec_b64 s[10:11], s[0:1]
	s_xor_b64 s[0:1], exec, s[10:11]
; %bb.116:                              ;   in Loop: Header=BB185_43 Depth=1
	v_bfe_u32 v57, v2, 16, 1
	v_add3_u32 v57, v2, v57, s15
                                        ; implicit-def: $vgpr2
; %bb.117:                              ;   in Loop: Header=BB185_43 Depth=1
	s_andn2_saveexec_b64 s[10:11], s[0:1]
; %bb.118:                              ;   in Loop: Header=BB185_43 Depth=1
	v_or_b32_e32 v57, 0x10000, v2
	v_cmp_eq_u32_sdwa s[0:1], v2, v19 src0_sel:WORD_0 src1_sel:DWORD
	s_nop 1
	v_cndmask_b32_e64 v57, v57, v2, s[0:1]
; %bb.119:                              ;   in Loop: Header=BB185_43 Depth=1
	s_or_b64 exec, exec, s[10:11]
	v_lshlrev_b32_e32 v2, 16, v3
	v_mul_f32_e32 v2, v50, v2
	v_and_b32_e32 v3, 0x7f800000, v2
	v_cmp_ne_u32_e64 s[0:1], s14, v3
                                        ; implicit-def: $vgpr58
	s_and_saveexec_b64 s[10:11], s[0:1]
	s_xor_b64 s[0:1], exec, s[10:11]
; %bb.120:                              ;   in Loop: Header=BB185_43 Depth=1
	v_bfe_u32 v3, v2, 16, 1
	v_add3_u32 v58, v2, v3, s15
                                        ; implicit-def: $vgpr2
; %bb.121:                              ;   in Loop: Header=BB185_43 Depth=1
	s_andn2_saveexec_b64 s[10:11], s[0:1]
; %bb.122:                              ;   in Loop: Header=BB185_43 Depth=1
	v_or_b32_e32 v3, 0x10000, v2
	v_cmp_eq_u32_sdwa s[0:1], v2, v19 src0_sel:WORD_0 src1_sel:DWORD
	s_nop 1
	v_cndmask_b32_e64 v58, v3, v2, s[0:1]
; %bb.123:                              ;   in Loop: Header=BB185_43 Depth=1
	s_or_b64 exec, exec, s[10:11]
	v_lshlrev_b32_e32 v2, 16, v27
	v_mul_f32_e32 v2, v51, v2
	v_and_b32_e32 v3, 0x7f800000, v2
	v_cmp_ne_u32_e64 s[0:1], s14, v3
                                        ; implicit-def: $vgpr59
	s_and_saveexec_b64 s[10:11], s[0:1]
	s_xor_b64 s[0:1], exec, s[10:11]
; %bb.124:                              ;   in Loop: Header=BB185_43 Depth=1
	v_bfe_u32 v3, v2, 16, 1
	v_add3_u32 v59, v2, v3, s15
                                        ; implicit-def: $vgpr2
; %bb.125:                              ;   in Loop: Header=BB185_43 Depth=1
	s_andn2_saveexec_b64 s[10:11], s[0:1]
; %bb.126:                              ;   in Loop: Header=BB185_43 Depth=1
	v_or_b32_e32 v3, 0x10000, v2
	v_cmp_eq_u32_sdwa s[0:1], v2, v19 src0_sel:WORD_0 src1_sel:DWORD
	s_nop 1
	v_cndmask_b32_e64 v59, v3, v2, s[0:1]
; %bb.127:                              ;   in Loop: Header=BB185_43 Depth=1
	s_or_b64 exec, exec, s[10:11]
	v_lshlrev_b32_e32 v2, 16, v4
	v_mul_f32_e32 v2, v52, v2
	v_and_b32_e32 v3, 0x7f800000, v2
	v_cmp_ne_u32_e64 s[0:1], s14, v3
                                        ; implicit-def: $vgpr60
	s_and_saveexec_b64 s[10:11], s[0:1]
	s_xor_b64 s[0:1], exec, s[10:11]
; %bb.128:                              ;   in Loop: Header=BB185_43 Depth=1
	v_bfe_u32 v3, v2, 16, 1
	v_add3_u32 v60, v2, v3, s15
                                        ; implicit-def: $vgpr2
; %bb.129:                              ;   in Loop: Header=BB185_43 Depth=1
	s_andn2_saveexec_b64 s[10:11], s[0:1]
; %bb.130:                              ;   in Loop: Header=BB185_43 Depth=1
	v_or_b32_e32 v3, 0x10000, v2
	v_cmp_eq_u32_sdwa s[0:1], v2, v19 src0_sel:WORD_0 src1_sel:DWORD
	s_nop 1
	v_cndmask_b32_e64 v60, v3, v2, s[0:1]
; %bb.131:                              ;   in Loop: Header=BB185_43 Depth=1
	s_or_b64 exec, exec, s[10:11]
	v_lshlrev_b32_e32 v2, 16, v25
	v_mul_f32_e32 v2, v53, v2
	v_and_b32_e32 v3, 0x7f800000, v2
	v_cmp_ne_u32_e64 s[0:1], s14, v3
                                        ; implicit-def: $vgpr61
	s_and_saveexec_b64 s[10:11], s[0:1]
	s_xor_b64 s[0:1], exec, s[10:11]
; %bb.132:                              ;   in Loop: Header=BB185_43 Depth=1
	v_bfe_u32 v3, v2, 16, 1
	v_add3_u32 v61, v2, v3, s15
                                        ; implicit-def: $vgpr2
; %bb.133:                              ;   in Loop: Header=BB185_43 Depth=1
	s_andn2_saveexec_b64 s[10:11], s[0:1]
; %bb.134:                              ;   in Loop: Header=BB185_43 Depth=1
	v_or_b32_e32 v3, 0x10000, v2
	v_cmp_eq_u32_sdwa s[0:1], v2, v19 src0_sel:WORD_0 src1_sel:DWORD
	s_nop 1
	v_cndmask_b32_e64 v61, v3, v2, s[0:1]
; %bb.135:                              ;   in Loop: Header=BB185_43 Depth=1
	s_or_b64 exec, exec, s[10:11]
	v_lshlrev_b32_e32 v2, 16, v5
	v_mul_f32_e32 v2, v54, v2
	v_and_b32_e32 v3, 0x7f800000, v2
	v_cmp_ne_u32_e64 s[0:1], s14, v3
                                        ; implicit-def: $vgpr62
	s_and_saveexec_b64 s[10:11], s[0:1]
	s_xor_b64 s[0:1], exec, s[10:11]
; %bb.136:                              ;   in Loop: Header=BB185_43 Depth=1
	v_bfe_u32 v3, v2, 16, 1
	v_add3_u32 v62, v2, v3, s15
                                        ; implicit-def: $vgpr2
; %bb.137:                              ;   in Loop: Header=BB185_43 Depth=1
	s_andn2_saveexec_b64 s[10:11], s[0:1]
; %bb.138:                              ;   in Loop: Header=BB185_43 Depth=1
	v_or_b32_e32 v3, 0x10000, v2
	v_cmp_eq_u32_sdwa s[0:1], v2, v19 src0_sel:WORD_0 src1_sel:DWORD
	s_nop 1
	v_cndmask_b32_e64 v62, v3, v2, s[0:1]
; %bb.139:                              ;   in Loop: Header=BB185_43 Depth=1
	s_or_b64 exec, exec, s[10:11]
	v_lshlrev_b32_e32 v2, 16, v23
	v_mul_f32_e32 v2, v55, v2
	v_and_b32_e32 v3, 0x7f800000, v2
	v_cmp_ne_u32_e64 s[0:1], s14, v3
                                        ; implicit-def: $vgpr63
	s_and_saveexec_b64 s[10:11], s[0:1]
	s_xor_b64 s[0:1], exec, s[10:11]
; %bb.140:                              ;   in Loop: Header=BB185_43 Depth=1
	v_bfe_u32 v3, v2, 16, 1
	v_add3_u32 v63, v2, v3, s15
                                        ; implicit-def: $vgpr2
; %bb.141:                              ;   in Loop: Header=BB185_43 Depth=1
	s_andn2_saveexec_b64 s[10:11], s[0:1]
; %bb.142:                              ;   in Loop: Header=BB185_43 Depth=1
	v_or_b32_e32 v3, 0x10000, v2
	v_cmp_eq_u32_sdwa s[0:1], v2, v19 src0_sel:WORD_0 src1_sel:DWORD
	s_nop 1
	v_cndmask_b32_e64 v63, v3, v2, s[0:1]
; %bb.143:                              ;   in Loop: Header=BB185_43 Depth=1
	s_or_b64 exec, exec, s[10:11]
	global_load_dwordx4 v[2:5], v[8:9], off offset:2048
	s_waitcnt vmcnt(0)
	v_lshrrev_b32_e32 v65, 16, v2
	v_lshrrev_b32_e32 v27, 16, v3
	;; [unrolled: 1-line block ×4, first 2 shown]
	s_and_saveexec_b64 s[10:11], vcc
	s_cbranch_execz .LBB185_145
; %bb.144:                              ;   in Loop: Header=BB185_43 Depth=1
	v_cmp_gt_i32_e64 s[0:1], s33, v40
	s_nop 1
	v_cndmask_b32_e64 v2, 0, v2, s[0:1]
	v_cmp_gt_i32_e64 s[0:1], s33, v46
	s_nop 1
	v_cndmask_b32_e64 v65, 0, v65, s[0:1]
	;; [unrolled: 3-line block ×8, first 2 shown]
.LBB185_145:                            ;   in Loop: Header=BB185_43 Depth=1
	s_or_b64 exec, exec, s[10:11]
	v_lshlrev_b32_e32 v2, 16, v2
	v_mul_f32_e32 v2, v48, v2
	v_and_b32_e32 v64, 0x7f800000, v2
	v_cmp_ne_u32_e64 s[0:1], s14, v64
                                        ; implicit-def: $vgpr64
	s_and_saveexec_b64 s[10:11], s[0:1]
	s_xor_b64 s[0:1], exec, s[10:11]
; %bb.146:                              ;   in Loop: Header=BB185_43 Depth=1
	v_bfe_u32 v64, v2, 16, 1
	v_add3_u32 v64, v2, v64, s15
                                        ; implicit-def: $vgpr2
; %bb.147:                              ;   in Loop: Header=BB185_43 Depth=1
	s_andn2_saveexec_b64 s[10:11], s[0:1]
; %bb.148:                              ;   in Loop: Header=BB185_43 Depth=1
	v_or_b32_e32 v64, 0x10000, v2
	v_cmp_eq_u32_sdwa s[0:1], v2, v19 src0_sel:WORD_0 src1_sel:DWORD
	s_nop 1
	v_cndmask_b32_e64 v64, v64, v2, s[0:1]
; %bb.149:                              ;   in Loop: Header=BB185_43 Depth=1
	s_or_b64 exec, exec, s[10:11]
	v_lshlrev_b32_e32 v2, 16, v65
	v_mul_f32_e32 v2, v49, v2
	v_and_b32_e32 v65, 0x7f800000, v2
	v_cmp_ne_u32_e64 s[0:1], s14, v65
                                        ; implicit-def: $vgpr65
	s_and_saveexec_b64 s[10:11], s[0:1]
	s_xor_b64 s[0:1], exec, s[10:11]
; %bb.150:                              ;   in Loop: Header=BB185_43 Depth=1
	v_bfe_u32 v65, v2, 16, 1
	v_add3_u32 v65, v2, v65, s15
                                        ; implicit-def: $vgpr2
; %bb.151:                              ;   in Loop: Header=BB185_43 Depth=1
	s_andn2_saveexec_b64 s[10:11], s[0:1]
; %bb.152:                              ;   in Loop: Header=BB185_43 Depth=1
	v_or_b32_e32 v65, 0x10000, v2
	v_cmp_eq_u32_sdwa s[0:1], v2, v19 src0_sel:WORD_0 src1_sel:DWORD
	s_nop 1
	v_cndmask_b32_e64 v65, v65, v2, s[0:1]
; %bb.153:                              ;   in Loop: Header=BB185_43 Depth=1
	s_or_b64 exec, exec, s[10:11]
	v_lshlrev_b32_e32 v2, 16, v3
	v_mul_f32_e32 v2, v50, v2
	v_and_b32_e32 v3, 0x7f800000, v2
	v_cmp_ne_u32_e64 s[0:1], s14, v3
                                        ; implicit-def: $vgpr66
	s_and_saveexec_b64 s[10:11], s[0:1]
	s_xor_b64 s[0:1], exec, s[10:11]
; %bb.154:                              ;   in Loop: Header=BB185_43 Depth=1
	v_bfe_u32 v3, v2, 16, 1
	v_add3_u32 v66, v2, v3, s15
                                        ; implicit-def: $vgpr2
; %bb.155:                              ;   in Loop: Header=BB185_43 Depth=1
	s_andn2_saveexec_b64 s[10:11], s[0:1]
; %bb.156:                              ;   in Loop: Header=BB185_43 Depth=1
	v_or_b32_e32 v3, 0x10000, v2
	v_cmp_eq_u32_sdwa s[0:1], v2, v19 src0_sel:WORD_0 src1_sel:DWORD
	s_nop 1
	v_cndmask_b32_e64 v66, v3, v2, s[0:1]
; %bb.157:                              ;   in Loop: Header=BB185_43 Depth=1
	s_or_b64 exec, exec, s[10:11]
	v_lshlrev_b32_e32 v2, 16, v27
	v_mul_f32_e32 v2, v51, v2
	v_and_b32_e32 v3, 0x7f800000, v2
	v_cmp_ne_u32_e64 s[0:1], s14, v3
                                        ; implicit-def: $vgpr67
	s_and_saveexec_b64 s[10:11], s[0:1]
	s_xor_b64 s[0:1], exec, s[10:11]
; %bb.158:                              ;   in Loop: Header=BB185_43 Depth=1
	v_bfe_u32 v3, v2, 16, 1
	v_add3_u32 v67, v2, v3, s15
                                        ; implicit-def: $vgpr2
; %bb.159:                              ;   in Loop: Header=BB185_43 Depth=1
	s_andn2_saveexec_b64 s[10:11], s[0:1]
; %bb.160:                              ;   in Loop: Header=BB185_43 Depth=1
	v_or_b32_e32 v3, 0x10000, v2
	v_cmp_eq_u32_sdwa s[0:1], v2, v19 src0_sel:WORD_0 src1_sel:DWORD
	s_nop 1
	v_cndmask_b32_e64 v67, v3, v2, s[0:1]
; %bb.161:                              ;   in Loop: Header=BB185_43 Depth=1
	s_or_b64 exec, exec, s[10:11]
	v_lshlrev_b32_e32 v2, 16, v4
	v_mul_f32_e32 v2, v52, v2
	v_and_b32_e32 v3, 0x7f800000, v2
	v_cmp_ne_u32_e64 s[0:1], s14, v3
                                        ; implicit-def: $vgpr68
	s_and_saveexec_b64 s[10:11], s[0:1]
	s_xor_b64 s[0:1], exec, s[10:11]
; %bb.162:                              ;   in Loop: Header=BB185_43 Depth=1
	v_bfe_u32 v3, v2, 16, 1
	v_add3_u32 v68, v2, v3, s15
                                        ; implicit-def: $vgpr2
; %bb.163:                              ;   in Loop: Header=BB185_43 Depth=1
	s_andn2_saveexec_b64 s[10:11], s[0:1]
; %bb.164:                              ;   in Loop: Header=BB185_43 Depth=1
	v_or_b32_e32 v3, 0x10000, v2
	v_cmp_eq_u32_sdwa s[0:1], v2, v19 src0_sel:WORD_0 src1_sel:DWORD
	s_nop 1
	v_cndmask_b32_e64 v68, v3, v2, s[0:1]
; %bb.165:                              ;   in Loop: Header=BB185_43 Depth=1
	s_or_b64 exec, exec, s[10:11]
	v_lshlrev_b32_e32 v2, 16, v25
	v_mul_f32_e32 v2, v53, v2
	v_and_b32_e32 v3, 0x7f800000, v2
	v_cmp_ne_u32_e64 s[0:1], s14, v3
                                        ; implicit-def: $vgpr69
	s_and_saveexec_b64 s[10:11], s[0:1]
	s_xor_b64 s[0:1], exec, s[10:11]
; %bb.166:                              ;   in Loop: Header=BB185_43 Depth=1
	v_bfe_u32 v3, v2, 16, 1
	v_add3_u32 v69, v2, v3, s15
                                        ; implicit-def: $vgpr2
; %bb.167:                              ;   in Loop: Header=BB185_43 Depth=1
	s_andn2_saveexec_b64 s[10:11], s[0:1]
; %bb.168:                              ;   in Loop: Header=BB185_43 Depth=1
	v_or_b32_e32 v3, 0x10000, v2
	v_cmp_eq_u32_sdwa s[0:1], v2, v19 src0_sel:WORD_0 src1_sel:DWORD
	s_nop 1
	v_cndmask_b32_e64 v69, v3, v2, s[0:1]
; %bb.169:                              ;   in Loop: Header=BB185_43 Depth=1
	s_or_b64 exec, exec, s[10:11]
	v_lshlrev_b32_e32 v2, 16, v5
	v_mul_f32_e32 v2, v54, v2
	v_and_b32_e32 v3, 0x7f800000, v2
	v_cmp_ne_u32_e64 s[0:1], s14, v3
                                        ; implicit-def: $vgpr70
	s_and_saveexec_b64 s[10:11], s[0:1]
	s_xor_b64 s[0:1], exec, s[10:11]
; %bb.170:                              ;   in Loop: Header=BB185_43 Depth=1
	v_bfe_u32 v3, v2, 16, 1
	v_add3_u32 v70, v2, v3, s15
                                        ; implicit-def: $vgpr2
; %bb.171:                              ;   in Loop: Header=BB185_43 Depth=1
	s_andn2_saveexec_b64 s[10:11], s[0:1]
; %bb.172:                              ;   in Loop: Header=BB185_43 Depth=1
	v_or_b32_e32 v3, 0x10000, v2
	v_cmp_eq_u32_sdwa s[0:1], v2, v19 src0_sel:WORD_0 src1_sel:DWORD
	s_nop 1
	v_cndmask_b32_e64 v70, v3, v2, s[0:1]
; %bb.173:                              ;   in Loop: Header=BB185_43 Depth=1
	s_or_b64 exec, exec, s[10:11]
	v_lshlrev_b32_e32 v2, 16, v23
	v_mul_f32_e32 v2, v55, v2
	v_and_b32_e32 v3, 0x7f800000, v2
	v_cmp_ne_u32_e64 s[0:1], s14, v3
                                        ; implicit-def: $vgpr71
	s_and_saveexec_b64 s[10:11], s[0:1]
	s_xor_b64 s[0:1], exec, s[10:11]
; %bb.174:                              ;   in Loop: Header=BB185_43 Depth=1
	v_bfe_u32 v3, v2, 16, 1
	v_add3_u32 v71, v2, v3, s15
                                        ; implicit-def: $vgpr2
; %bb.175:                              ;   in Loop: Header=BB185_43 Depth=1
	s_andn2_saveexec_b64 s[10:11], s[0:1]
; %bb.176:                              ;   in Loop: Header=BB185_43 Depth=1
	v_or_b32_e32 v3, 0x10000, v2
	v_cmp_eq_u32_sdwa s[0:1], v2, v19 src0_sel:WORD_0 src1_sel:DWORD
	s_nop 1
	v_cndmask_b32_e64 v71, v3, v2, s[0:1]
; %bb.177:                              ;   in Loop: Header=BB185_43 Depth=1
	s_or_b64 exec, exec, s[10:11]
	global_load_dwordx4 v[2:5], v[8:9], off offset:3072
	s_waitcnt vmcnt(0)
	v_lshrrev_b32_e32 v9, 16, v2
	v_lshrrev_b32_e32 v27, 16, v3
	;; [unrolled: 1-line block ×4, first 2 shown]
	s_and_saveexec_b64 s[10:11], vcc
	s_cbranch_execz .LBB185_179
; %bb.178:                              ;   in Loop: Header=BB185_43 Depth=1
	v_cmp_gt_i32_e64 s[0:1], s33, v40
	s_nop 1
	v_cndmask_b32_e64 v2, 0, v2, s[0:1]
	v_cmp_gt_i32_e64 s[0:1], s33, v46
	s_nop 1
	v_cndmask_b32_e64 v9, 0, v9, s[0:1]
	v_cmp_gt_i32_e64 s[0:1], s33, v44
	s_nop 1
	v_cndmask_b32_e64 v3, 0, v3, s[0:1]
	v_cmp_gt_i32_e64 s[0:1], s33, v43
	s_nop 1
	v_cndmask_b32_e64 v27, 0, v27, s[0:1]
	v_cmp_gt_i32_e64 s[0:1], s33, v42
	s_nop 1
	v_cndmask_b32_e64 v4, 0, v4, s[0:1]
	v_cmp_gt_i32_e64 s[0:1], s33, v41
	s_nop 1
	v_cndmask_b32_e64 v25, 0, v25, s[0:1]
	v_cmp_gt_i32_e64 s[0:1], s33, v45
	s_nop 1
	v_cndmask_b32_e64 v5, 0, v5, s[0:1]
	v_cmp_gt_i32_e64 s[0:1], s33, v32
	s_nop 1
	v_cndmask_b32_e64 v23, 0, v23, s[0:1]
.LBB185_179:                            ;   in Loop: Header=BB185_43 Depth=1
	s_or_b64 exec, exec, s[10:11]
	v_lshlrev_b32_e32 v2, 16, v2
	v_mul_f32_e32 v2, v48, v2
	v_and_b32_e32 v8, 0x7f800000, v2
	v_cmp_ne_u32_e64 s[0:1], s14, v8
                                        ; implicit-def: $vgpr8
	s_and_saveexec_b64 s[10:11], s[0:1]
	s_xor_b64 s[0:1], exec, s[10:11]
; %bb.180:                              ;   in Loop: Header=BB185_43 Depth=1
	v_bfe_u32 v8, v2, 16, 1
	v_add3_u32 v8, v2, v8, s15
                                        ; implicit-def: $vgpr2
; %bb.181:                              ;   in Loop: Header=BB185_43 Depth=1
	s_andn2_saveexec_b64 s[10:11], s[0:1]
; %bb.182:                              ;   in Loop: Header=BB185_43 Depth=1
	v_or_b32_e32 v8, 0x10000, v2
	v_cmp_eq_u32_sdwa s[0:1], v2, v19 src0_sel:WORD_0 src1_sel:DWORD
	s_nop 1
	v_cndmask_b32_e64 v8, v8, v2, s[0:1]
; %bb.183:                              ;   in Loop: Header=BB185_43 Depth=1
	s_or_b64 exec, exec, s[10:11]
	v_lshlrev_b32_e32 v2, 16, v9
	v_mul_f32_e32 v2, v49, v2
	v_and_b32_e32 v9, 0x7f800000, v2
	v_cmp_ne_u32_e64 s[0:1], s14, v9
                                        ; implicit-def: $vgpr9
	s_and_saveexec_b64 s[10:11], s[0:1]
	s_xor_b64 s[0:1], exec, s[10:11]
; %bb.184:                              ;   in Loop: Header=BB185_43 Depth=1
	v_bfe_u32 v9, v2, 16, 1
	v_add3_u32 v9, v2, v9, s15
                                        ; implicit-def: $vgpr2
; %bb.185:                              ;   in Loop: Header=BB185_43 Depth=1
	s_andn2_saveexec_b64 s[10:11], s[0:1]
; %bb.186:                              ;   in Loop: Header=BB185_43 Depth=1
	v_or_b32_e32 v9, 0x10000, v2
	v_cmp_eq_u32_sdwa s[0:1], v2, v19 src0_sel:WORD_0 src1_sel:DWORD
	s_nop 1
	v_cndmask_b32_e64 v9, v9, v2, s[0:1]
; %bb.187:                              ;   in Loop: Header=BB185_43 Depth=1
	s_or_b64 exec, exec, s[10:11]
	v_lshlrev_b32_e32 v2, 16, v3
	v_mul_f32_e32 v2, v50, v2
	v_and_b32_e32 v3, 0x7f800000, v2
	v_cmp_ne_u32_e64 s[0:1], s14, v3
                                        ; implicit-def: $vgpr72
	s_and_saveexec_b64 s[10:11], s[0:1]
	s_xor_b64 s[0:1], exec, s[10:11]
; %bb.188:                              ;   in Loop: Header=BB185_43 Depth=1
	v_bfe_u32 v3, v2, 16, 1
	v_add3_u32 v72, v2, v3, s15
                                        ; implicit-def: $vgpr2
; %bb.189:                              ;   in Loop: Header=BB185_43 Depth=1
	s_andn2_saveexec_b64 s[10:11], s[0:1]
; %bb.190:                              ;   in Loop: Header=BB185_43 Depth=1
	v_or_b32_e32 v3, 0x10000, v2
	v_cmp_eq_u32_sdwa s[0:1], v2, v19 src0_sel:WORD_0 src1_sel:DWORD
	s_nop 1
	v_cndmask_b32_e64 v72, v3, v2, s[0:1]
; %bb.191:                              ;   in Loop: Header=BB185_43 Depth=1
	s_or_b64 exec, exec, s[10:11]
	v_lshlrev_b32_e32 v2, 16, v27
	v_mul_f32_e32 v2, v51, v2
	v_and_b32_e32 v3, 0x7f800000, v2
	v_cmp_ne_u32_e64 s[0:1], s14, v3
                                        ; implicit-def: $vgpr73
	s_and_saveexec_b64 s[10:11], s[0:1]
	s_xor_b64 s[0:1], exec, s[10:11]
; %bb.192:                              ;   in Loop: Header=BB185_43 Depth=1
	v_bfe_u32 v3, v2, 16, 1
	v_add3_u32 v73, v2, v3, s15
                                        ; implicit-def: $vgpr2
; %bb.193:                              ;   in Loop: Header=BB185_43 Depth=1
	s_andn2_saveexec_b64 s[10:11], s[0:1]
; %bb.194:                              ;   in Loop: Header=BB185_43 Depth=1
	v_or_b32_e32 v3, 0x10000, v2
	v_cmp_eq_u32_sdwa s[0:1], v2, v19 src0_sel:WORD_0 src1_sel:DWORD
	s_nop 1
	v_cndmask_b32_e64 v73, v3, v2, s[0:1]
; %bb.195:                              ;   in Loop: Header=BB185_43 Depth=1
	s_or_b64 exec, exec, s[10:11]
	v_lshlrev_b32_e32 v2, 16, v4
	v_mul_f32_e32 v2, v52, v2
	v_and_b32_e32 v3, 0x7f800000, v2
	v_cmp_ne_u32_e64 s[0:1], s14, v3
                                        ; implicit-def: $vgpr74
	s_and_saveexec_b64 s[10:11], s[0:1]
	s_xor_b64 s[0:1], exec, s[10:11]
; %bb.196:                              ;   in Loop: Header=BB185_43 Depth=1
	v_bfe_u32 v3, v2, 16, 1
	v_add3_u32 v74, v2, v3, s15
                                        ; implicit-def: $vgpr2
; %bb.197:                              ;   in Loop: Header=BB185_43 Depth=1
	s_andn2_saveexec_b64 s[10:11], s[0:1]
; %bb.198:                              ;   in Loop: Header=BB185_43 Depth=1
	v_or_b32_e32 v3, 0x10000, v2
	v_cmp_eq_u32_sdwa s[0:1], v2, v19 src0_sel:WORD_0 src1_sel:DWORD
	s_nop 1
	v_cndmask_b32_e64 v74, v3, v2, s[0:1]
; %bb.199:                              ;   in Loop: Header=BB185_43 Depth=1
	s_or_b64 exec, exec, s[10:11]
	v_lshlrev_b32_e32 v2, 16, v25
	v_mul_f32_e32 v2, v53, v2
	v_and_b32_e32 v3, 0x7f800000, v2
	v_cmp_ne_u32_e64 s[0:1], s14, v3
                                        ; implicit-def: $vgpr75
	s_and_saveexec_b64 s[10:11], s[0:1]
	s_xor_b64 s[0:1], exec, s[10:11]
; %bb.200:                              ;   in Loop: Header=BB185_43 Depth=1
	v_bfe_u32 v3, v2, 16, 1
	v_add3_u32 v75, v2, v3, s15
                                        ; implicit-def: $vgpr2
; %bb.201:                              ;   in Loop: Header=BB185_43 Depth=1
	s_andn2_saveexec_b64 s[10:11], s[0:1]
; %bb.202:                              ;   in Loop: Header=BB185_43 Depth=1
	v_or_b32_e32 v3, 0x10000, v2
	v_cmp_eq_u32_sdwa s[0:1], v2, v19 src0_sel:WORD_0 src1_sel:DWORD
	s_nop 1
	v_cndmask_b32_e64 v75, v3, v2, s[0:1]
; %bb.203:                              ;   in Loop: Header=BB185_43 Depth=1
	s_or_b64 exec, exec, s[10:11]
	v_lshlrev_b32_e32 v2, 16, v5
	v_mul_f32_e32 v2, v54, v2
	v_and_b32_e32 v3, 0x7f800000, v2
	v_cmp_ne_u32_e64 s[0:1], s14, v3
                                        ; implicit-def: $vgpr76
	s_and_saveexec_b64 s[10:11], s[0:1]
	s_xor_b64 s[0:1], exec, s[10:11]
; %bb.204:                              ;   in Loop: Header=BB185_43 Depth=1
	v_bfe_u32 v3, v2, 16, 1
	v_add3_u32 v76, v2, v3, s15
                                        ; implicit-def: $vgpr2
; %bb.205:                              ;   in Loop: Header=BB185_43 Depth=1
	s_andn2_saveexec_b64 s[10:11], s[0:1]
; %bb.206:                              ;   in Loop: Header=BB185_43 Depth=1
	v_or_b32_e32 v3, 0x10000, v2
	v_cmp_eq_u32_sdwa s[0:1], v2, v19 src0_sel:WORD_0 src1_sel:DWORD
	s_nop 1
	v_cndmask_b32_e64 v76, v3, v2, s[0:1]
; %bb.207:                              ;   in Loop: Header=BB185_43 Depth=1
	s_or_b64 exec, exec, s[10:11]
	v_lshlrev_b32_e32 v2, 16, v23
	v_mul_f32_e32 v2, v55, v2
	v_and_b32_e32 v3, 0x7f800000, v2
	v_cmp_ne_u32_e64 s[0:1], s14, v3
                                        ; implicit-def: $vgpr77
	s_and_saveexec_b64 s[10:11], s[0:1]
	s_xor_b64 s[0:1], exec, s[10:11]
; %bb.208:                              ;   in Loop: Header=BB185_43 Depth=1
	v_bfe_u32 v3, v2, 16, 1
	v_add3_u32 v77, v2, v3, s15
                                        ; implicit-def: $vgpr2
; %bb.209:                              ;   in Loop: Header=BB185_43 Depth=1
	s_andn2_saveexec_b64 s[10:11], s[0:1]
; %bb.210:                              ;   in Loop: Header=BB185_43 Depth=1
	v_or_b32_e32 v3, 0x10000, v2
	v_cmp_eq_u32_sdwa s[0:1], v2, v19 src0_sel:WORD_0 src1_sel:DWORD
	s_nop 1
	v_cndmask_b32_e64 v77, v3, v2, s[0:1]
; %bb.211:                              ;   in Loop: Header=BB185_43 Depth=1
	s_or_b64 exec, exec, s[10:11]
	v_mov_b32_e32 v23, v19
	v_lshl_add_u64 v[2:3], v[6:7], 0, v[22:23]
	global_load_dwordx4 v[2:5], v[2:3], off
	s_waitcnt vmcnt(0)
	v_lshrrev_b32_e32 v78, 16, v2
	v_lshrrev_b32_e32 v80, 16, v3
	;; [unrolled: 1-line block ×4, first 2 shown]
	s_and_saveexec_b64 s[10:11], vcc
	s_cbranch_execz .LBB185_213
; %bb.212:                              ;   in Loop: Header=BB185_43 Depth=1
	v_cmp_gt_i32_e64 s[0:1], s33, v40
	s_nop 1
	v_cndmask_b32_e64 v2, 0, v2, s[0:1]
	v_cmp_gt_i32_e64 s[0:1], s33, v46
	s_nop 1
	v_cndmask_b32_e64 v78, 0, v78, s[0:1]
	;; [unrolled: 3-line block ×8, first 2 shown]
.LBB185_213:                            ;   in Loop: Header=BB185_43 Depth=1
	s_or_b64 exec, exec, s[10:11]
	v_lshlrev_b32_e32 v2, 16, v2
	v_mul_f32_e32 v2, v48, v2
	v_and_b32_e32 v23, 0x7f800000, v2
	v_cmp_ne_u32_e64 s[0:1], s14, v23
                                        ; implicit-def: $vgpr23
	s_and_saveexec_b64 s[10:11], s[0:1]
	s_xor_b64 s[0:1], exec, s[10:11]
; %bb.214:                              ;   in Loop: Header=BB185_43 Depth=1
	v_bfe_u32 v23, v2, 16, 1
	v_add3_u32 v23, v2, v23, s15
                                        ; implicit-def: $vgpr2
; %bb.215:                              ;   in Loop: Header=BB185_43 Depth=1
	s_andn2_saveexec_b64 s[10:11], s[0:1]
; %bb.216:                              ;   in Loop: Header=BB185_43 Depth=1
	v_or_b32_e32 v23, 0x10000, v2
	v_cmp_eq_u32_sdwa s[0:1], v2, v19 src0_sel:WORD_0 src1_sel:DWORD
	s_nop 1
	v_cndmask_b32_e64 v23, v23, v2, s[0:1]
; %bb.217:                              ;   in Loop: Header=BB185_43 Depth=1
	s_or_b64 exec, exec, s[10:11]
	v_lshlrev_b32_e32 v2, 16, v78
	v_mul_f32_e32 v2, v49, v2
	v_and_b32_e32 v78, 0x7f800000, v2
	v_cmp_ne_u32_e64 s[0:1], s14, v78
                                        ; implicit-def: $vgpr78
	s_and_saveexec_b64 s[10:11], s[0:1]
	s_xor_b64 s[0:1], exec, s[10:11]
; %bb.218:                              ;   in Loop: Header=BB185_43 Depth=1
	v_bfe_u32 v78, v2, 16, 1
	v_add3_u32 v78, v2, v78, s15
                                        ; implicit-def: $vgpr2
; %bb.219:                              ;   in Loop: Header=BB185_43 Depth=1
	s_andn2_saveexec_b64 s[10:11], s[0:1]
; %bb.220:                              ;   in Loop: Header=BB185_43 Depth=1
	v_or_b32_e32 v78, 0x10000, v2
	v_cmp_eq_u32_sdwa s[0:1], v2, v19 src0_sel:WORD_0 src1_sel:DWORD
	s_nop 1
	v_cndmask_b32_e64 v78, v78, v2, s[0:1]
; %bb.221:                              ;   in Loop: Header=BB185_43 Depth=1
	s_or_b64 exec, exec, s[10:11]
	v_lshlrev_b32_e32 v2, 16, v3
	v_mul_f32_e32 v2, v50, v2
	v_and_b32_e32 v3, 0x7f800000, v2
	v_cmp_ne_u32_e64 s[0:1], s14, v3
                                        ; implicit-def: $vgpr79
	s_and_saveexec_b64 s[10:11], s[0:1]
	s_xor_b64 s[0:1], exec, s[10:11]
; %bb.222:                              ;   in Loop: Header=BB185_43 Depth=1
	v_bfe_u32 v3, v2, 16, 1
	v_add3_u32 v79, v2, v3, s15
                                        ; implicit-def: $vgpr2
; %bb.223:                              ;   in Loop: Header=BB185_43 Depth=1
	s_andn2_saveexec_b64 s[10:11], s[0:1]
; %bb.224:                              ;   in Loop: Header=BB185_43 Depth=1
	v_or_b32_e32 v3, 0x10000, v2
	v_cmp_eq_u32_sdwa s[0:1], v2, v19 src0_sel:WORD_0 src1_sel:DWORD
	s_nop 1
	v_cndmask_b32_e64 v79, v3, v2, s[0:1]
; %bb.225:                              ;   in Loop: Header=BB185_43 Depth=1
	s_or_b64 exec, exec, s[10:11]
	v_lshlrev_b32_e32 v2, 16, v80
	v_mul_f32_e32 v2, v51, v2
	v_and_b32_e32 v3, 0x7f800000, v2
	v_cmp_ne_u32_e64 s[0:1], s14, v3
                                        ; implicit-def: $vgpr80
	s_and_saveexec_b64 s[10:11], s[0:1]
	s_xor_b64 s[0:1], exec, s[10:11]
; %bb.226:                              ;   in Loop: Header=BB185_43 Depth=1
	v_bfe_u32 v3, v2, 16, 1
	v_add3_u32 v80, v2, v3, s15
                                        ; implicit-def: $vgpr2
; %bb.227:                              ;   in Loop: Header=BB185_43 Depth=1
	s_andn2_saveexec_b64 s[10:11], s[0:1]
; %bb.228:                              ;   in Loop: Header=BB185_43 Depth=1
	v_or_b32_e32 v3, 0x10000, v2
	v_cmp_eq_u32_sdwa s[0:1], v2, v19 src0_sel:WORD_0 src1_sel:DWORD
	s_nop 1
	v_cndmask_b32_e64 v80, v3, v2, s[0:1]
; %bb.229:                              ;   in Loop: Header=BB185_43 Depth=1
	s_or_b64 exec, exec, s[10:11]
	v_lshlrev_b32_e32 v2, 16, v4
	v_mul_f32_e32 v2, v52, v2
	v_and_b32_e32 v3, 0x7f800000, v2
	v_cmp_ne_u32_e64 s[0:1], s14, v3
                                        ; implicit-def: $vgpr81
	s_and_saveexec_b64 s[10:11], s[0:1]
	s_xor_b64 s[0:1], exec, s[10:11]
; %bb.230:                              ;   in Loop: Header=BB185_43 Depth=1
	v_bfe_u32 v3, v2, 16, 1
	v_add3_u32 v81, v2, v3, s15
                                        ; implicit-def: $vgpr2
; %bb.231:                              ;   in Loop: Header=BB185_43 Depth=1
	s_andn2_saveexec_b64 s[10:11], s[0:1]
; %bb.232:                              ;   in Loop: Header=BB185_43 Depth=1
	v_or_b32_e32 v3, 0x10000, v2
	v_cmp_eq_u32_sdwa s[0:1], v2, v19 src0_sel:WORD_0 src1_sel:DWORD
	s_nop 1
	v_cndmask_b32_e64 v81, v3, v2, s[0:1]
; %bb.233:                              ;   in Loop: Header=BB185_43 Depth=1
	s_or_b64 exec, exec, s[10:11]
	v_lshlrev_b32_e32 v2, 16, v27
	v_mul_f32_e32 v2, v53, v2
	v_and_b32_e32 v3, 0x7f800000, v2
	v_cmp_ne_u32_e64 s[0:1], s14, v3
                                        ; implicit-def: $vgpr82
	s_and_saveexec_b64 s[10:11], s[0:1]
	s_xor_b64 s[0:1], exec, s[10:11]
; %bb.234:                              ;   in Loop: Header=BB185_43 Depth=1
	v_bfe_u32 v3, v2, 16, 1
	v_add3_u32 v82, v2, v3, s15
                                        ; implicit-def: $vgpr2
; %bb.235:                              ;   in Loop: Header=BB185_43 Depth=1
	s_andn2_saveexec_b64 s[10:11], s[0:1]
; %bb.236:                              ;   in Loop: Header=BB185_43 Depth=1
	v_or_b32_e32 v3, 0x10000, v2
	v_cmp_eq_u32_sdwa s[0:1], v2, v19 src0_sel:WORD_0 src1_sel:DWORD
	s_nop 1
	v_cndmask_b32_e64 v82, v3, v2, s[0:1]
; %bb.237:                              ;   in Loop: Header=BB185_43 Depth=1
	s_or_b64 exec, exec, s[10:11]
	v_lshlrev_b32_e32 v2, 16, v5
	v_mul_f32_e32 v2, v54, v2
	v_and_b32_e32 v3, 0x7f800000, v2
	v_cmp_ne_u32_e64 s[0:1], s14, v3
                                        ; implicit-def: $vgpr83
	s_and_saveexec_b64 s[10:11], s[0:1]
	s_xor_b64 s[0:1], exec, s[10:11]
; %bb.238:                              ;   in Loop: Header=BB185_43 Depth=1
	v_bfe_u32 v3, v2, 16, 1
	v_add3_u32 v83, v2, v3, s15
                                        ; implicit-def: $vgpr2
; %bb.239:                              ;   in Loop: Header=BB185_43 Depth=1
	s_andn2_saveexec_b64 s[10:11], s[0:1]
; %bb.240:                              ;   in Loop: Header=BB185_43 Depth=1
	v_or_b32_e32 v3, 0x10000, v2
	v_cmp_eq_u32_sdwa s[0:1], v2, v19 src0_sel:WORD_0 src1_sel:DWORD
	s_nop 1
	v_cndmask_b32_e64 v83, v3, v2, s[0:1]
; %bb.241:                              ;   in Loop: Header=BB185_43 Depth=1
	s_or_b64 exec, exec, s[10:11]
	v_lshlrev_b32_e32 v2, 16, v25
	v_mul_f32_e32 v2, v55, v2
	v_and_b32_e32 v3, 0x7f800000, v2
	v_cmp_ne_u32_e64 s[0:1], s14, v3
                                        ; implicit-def: $vgpr84
	s_and_saveexec_b64 s[10:11], s[0:1]
	s_xor_b64 s[0:1], exec, s[10:11]
; %bb.242:                              ;   in Loop: Header=BB185_43 Depth=1
	v_bfe_u32 v3, v2, 16, 1
	v_add3_u32 v84, v2, v3, s15
                                        ; implicit-def: $vgpr2
; %bb.243:                              ;   in Loop: Header=BB185_43 Depth=1
	s_andn2_saveexec_b64 s[10:11], s[0:1]
; %bb.244:                              ;   in Loop: Header=BB185_43 Depth=1
	v_or_b32_e32 v3, 0x10000, v2
	v_cmp_eq_u32_sdwa s[0:1], v2, v19 src0_sel:WORD_0 src1_sel:DWORD
	s_nop 1
	v_cndmask_b32_e64 v84, v3, v2, s[0:1]
; %bb.245:                              ;   in Loop: Header=BB185_43 Depth=1
	s_or_b64 exec, exec, s[10:11]
	v_mov_b32_e32 v25, v19
	v_lshl_add_u64 v[2:3], v[6:7], 0, v[24:25]
	global_load_dwordx4 v[2:5], v[2:3], off
	s_waitcnt vmcnt(0)
	v_lshrrev_b32_e32 v85, 16, v2
	v_lshrrev_b32_e32 v87, 16, v3
	;; [unrolled: 1-line block ×4, first 2 shown]
	s_and_saveexec_b64 s[10:11], vcc
	s_cbranch_execz .LBB185_247
; %bb.246:                              ;   in Loop: Header=BB185_43 Depth=1
	v_cmp_gt_i32_e64 s[0:1], s33, v40
	s_nop 1
	v_cndmask_b32_e64 v2, 0, v2, s[0:1]
	v_cmp_gt_i32_e64 s[0:1], s33, v46
	s_nop 1
	v_cndmask_b32_e64 v85, 0, v85, s[0:1]
	;; [unrolled: 3-line block ×8, first 2 shown]
.LBB185_247:                            ;   in Loop: Header=BB185_43 Depth=1
	s_or_b64 exec, exec, s[10:11]
	v_lshlrev_b32_e32 v2, 16, v2
	v_mul_f32_e32 v2, v48, v2
	v_and_b32_e32 v25, 0x7f800000, v2
	v_cmp_ne_u32_e64 s[0:1], s14, v25
                                        ; implicit-def: $vgpr25
	s_and_saveexec_b64 s[10:11], s[0:1]
	s_xor_b64 s[0:1], exec, s[10:11]
; %bb.248:                              ;   in Loop: Header=BB185_43 Depth=1
	v_bfe_u32 v25, v2, 16, 1
	v_add3_u32 v25, v2, v25, s15
                                        ; implicit-def: $vgpr2
; %bb.249:                              ;   in Loop: Header=BB185_43 Depth=1
	s_andn2_saveexec_b64 s[10:11], s[0:1]
; %bb.250:                              ;   in Loop: Header=BB185_43 Depth=1
	v_or_b32_e32 v25, 0x10000, v2
	v_cmp_eq_u32_sdwa s[0:1], v2, v19 src0_sel:WORD_0 src1_sel:DWORD
	s_nop 1
	v_cndmask_b32_e64 v25, v25, v2, s[0:1]
; %bb.251:                              ;   in Loop: Header=BB185_43 Depth=1
	s_or_b64 exec, exec, s[10:11]
	v_lshlrev_b32_e32 v2, 16, v85
	v_mul_f32_e32 v2, v49, v2
	v_and_b32_e32 v85, 0x7f800000, v2
	v_cmp_ne_u32_e64 s[0:1], s14, v85
                                        ; implicit-def: $vgpr85
	s_and_saveexec_b64 s[10:11], s[0:1]
	s_xor_b64 s[0:1], exec, s[10:11]
; %bb.252:                              ;   in Loop: Header=BB185_43 Depth=1
	v_bfe_u32 v85, v2, 16, 1
	v_add3_u32 v85, v2, v85, s15
                                        ; implicit-def: $vgpr2
; %bb.253:                              ;   in Loop: Header=BB185_43 Depth=1
	s_andn2_saveexec_b64 s[10:11], s[0:1]
; %bb.254:                              ;   in Loop: Header=BB185_43 Depth=1
	v_or_b32_e32 v85, 0x10000, v2
	v_cmp_eq_u32_sdwa s[0:1], v2, v19 src0_sel:WORD_0 src1_sel:DWORD
	s_nop 1
	v_cndmask_b32_e64 v85, v85, v2, s[0:1]
; %bb.255:                              ;   in Loop: Header=BB185_43 Depth=1
	s_or_b64 exec, exec, s[10:11]
	v_lshlrev_b32_e32 v2, 16, v3
	v_mul_f32_e32 v2, v50, v2
	v_and_b32_e32 v3, 0x7f800000, v2
	v_cmp_ne_u32_e64 s[0:1], s14, v3
                                        ; implicit-def: $vgpr86
	s_and_saveexec_b64 s[10:11], s[0:1]
	s_xor_b64 s[0:1], exec, s[10:11]
; %bb.256:                              ;   in Loop: Header=BB185_43 Depth=1
	v_bfe_u32 v3, v2, 16, 1
	v_add3_u32 v86, v2, v3, s15
                                        ; implicit-def: $vgpr2
; %bb.257:                              ;   in Loop: Header=BB185_43 Depth=1
	s_andn2_saveexec_b64 s[10:11], s[0:1]
; %bb.258:                              ;   in Loop: Header=BB185_43 Depth=1
	v_or_b32_e32 v3, 0x10000, v2
	v_cmp_eq_u32_sdwa s[0:1], v2, v19 src0_sel:WORD_0 src1_sel:DWORD
	s_nop 1
	v_cndmask_b32_e64 v86, v3, v2, s[0:1]
; %bb.259:                              ;   in Loop: Header=BB185_43 Depth=1
	s_or_b64 exec, exec, s[10:11]
	v_lshlrev_b32_e32 v2, 16, v87
	v_mul_f32_e32 v2, v51, v2
	v_and_b32_e32 v3, 0x7f800000, v2
	v_cmp_ne_u32_e64 s[0:1], s14, v3
                                        ; implicit-def: $vgpr87
	s_and_saveexec_b64 s[10:11], s[0:1]
	s_xor_b64 s[0:1], exec, s[10:11]
; %bb.260:                              ;   in Loop: Header=BB185_43 Depth=1
	v_bfe_u32 v3, v2, 16, 1
	v_add3_u32 v87, v2, v3, s15
                                        ; implicit-def: $vgpr2
; %bb.261:                              ;   in Loop: Header=BB185_43 Depth=1
	s_andn2_saveexec_b64 s[10:11], s[0:1]
; %bb.262:                              ;   in Loop: Header=BB185_43 Depth=1
	v_or_b32_e32 v3, 0x10000, v2
	v_cmp_eq_u32_sdwa s[0:1], v2, v19 src0_sel:WORD_0 src1_sel:DWORD
	s_nop 1
	v_cndmask_b32_e64 v87, v3, v2, s[0:1]
; %bb.263:                              ;   in Loop: Header=BB185_43 Depth=1
	s_or_b64 exec, exec, s[10:11]
	v_lshlrev_b32_e32 v2, 16, v4
	v_mul_f32_e32 v2, v52, v2
	v_and_b32_e32 v3, 0x7f800000, v2
	v_cmp_ne_u32_e64 s[0:1], s14, v3
                                        ; implicit-def: $vgpr88
	s_and_saveexec_b64 s[10:11], s[0:1]
	s_xor_b64 s[0:1], exec, s[10:11]
; %bb.264:                              ;   in Loop: Header=BB185_43 Depth=1
	v_bfe_u32 v3, v2, 16, 1
	v_add3_u32 v88, v2, v3, s15
                                        ; implicit-def: $vgpr2
; %bb.265:                              ;   in Loop: Header=BB185_43 Depth=1
	s_andn2_saveexec_b64 s[10:11], s[0:1]
; %bb.266:                              ;   in Loop: Header=BB185_43 Depth=1
	v_or_b32_e32 v3, 0x10000, v2
	v_cmp_eq_u32_sdwa s[0:1], v2, v19 src0_sel:WORD_0 src1_sel:DWORD
	s_nop 1
	v_cndmask_b32_e64 v88, v3, v2, s[0:1]
; %bb.267:                              ;   in Loop: Header=BB185_43 Depth=1
	s_or_b64 exec, exec, s[10:11]
	v_lshlrev_b32_e32 v2, 16, v89
	v_mul_f32_e32 v2, v53, v2
	v_and_b32_e32 v3, 0x7f800000, v2
	v_cmp_ne_u32_e64 s[0:1], s14, v3
                                        ; implicit-def: $vgpr89
	s_and_saveexec_b64 s[10:11], s[0:1]
	s_xor_b64 s[0:1], exec, s[10:11]
; %bb.268:                              ;   in Loop: Header=BB185_43 Depth=1
	v_bfe_u32 v3, v2, 16, 1
	v_add3_u32 v89, v2, v3, s15
                                        ; implicit-def: $vgpr2
; %bb.269:                              ;   in Loop: Header=BB185_43 Depth=1
	s_andn2_saveexec_b64 s[10:11], s[0:1]
; %bb.270:                              ;   in Loop: Header=BB185_43 Depth=1
	v_or_b32_e32 v3, 0x10000, v2
	v_cmp_eq_u32_sdwa s[0:1], v2, v19 src0_sel:WORD_0 src1_sel:DWORD
	s_nop 1
	v_cndmask_b32_e64 v89, v3, v2, s[0:1]
; %bb.271:                              ;   in Loop: Header=BB185_43 Depth=1
	s_or_b64 exec, exec, s[10:11]
	v_lshlrev_b32_e32 v2, 16, v5
	v_mul_f32_e32 v2, v54, v2
	v_and_b32_e32 v3, 0x7f800000, v2
	v_cmp_ne_u32_e64 s[0:1], s14, v3
                                        ; implicit-def: $vgpr90
	s_and_saveexec_b64 s[10:11], s[0:1]
	s_xor_b64 s[0:1], exec, s[10:11]
; %bb.272:                              ;   in Loop: Header=BB185_43 Depth=1
	v_bfe_u32 v3, v2, 16, 1
	v_add3_u32 v90, v2, v3, s15
                                        ; implicit-def: $vgpr2
; %bb.273:                              ;   in Loop: Header=BB185_43 Depth=1
	s_andn2_saveexec_b64 s[10:11], s[0:1]
; %bb.274:                              ;   in Loop: Header=BB185_43 Depth=1
	v_or_b32_e32 v3, 0x10000, v2
	v_cmp_eq_u32_sdwa s[0:1], v2, v19 src0_sel:WORD_0 src1_sel:DWORD
	s_nop 1
	v_cndmask_b32_e64 v90, v3, v2, s[0:1]
; %bb.275:                              ;   in Loop: Header=BB185_43 Depth=1
	s_or_b64 exec, exec, s[10:11]
	v_lshlrev_b32_e32 v2, 16, v27
	v_mul_f32_e32 v2, v55, v2
	v_and_b32_e32 v3, 0x7f800000, v2
	v_cmp_ne_u32_e64 s[0:1], s14, v3
                                        ; implicit-def: $vgpr91
	s_and_saveexec_b64 s[10:11], s[0:1]
	s_xor_b64 s[0:1], exec, s[10:11]
; %bb.276:                              ;   in Loop: Header=BB185_43 Depth=1
	v_bfe_u32 v3, v2, 16, 1
	v_add3_u32 v91, v2, v3, s15
                                        ; implicit-def: $vgpr2
; %bb.277:                              ;   in Loop: Header=BB185_43 Depth=1
	s_andn2_saveexec_b64 s[10:11], s[0:1]
; %bb.278:                              ;   in Loop: Header=BB185_43 Depth=1
	v_or_b32_e32 v3, 0x10000, v2
	v_cmp_eq_u32_sdwa s[0:1], v2, v19 src0_sel:WORD_0 src1_sel:DWORD
	s_nop 1
	v_cndmask_b32_e64 v91, v3, v2, s[0:1]
; %bb.279:                              ;   in Loop: Header=BB185_43 Depth=1
	s_or_b64 exec, exec, s[10:11]
	v_mov_b32_e32 v27, v19
	v_lshl_add_u64 v[2:3], v[6:7], 0, v[26:27]
	global_load_dwordx4 v[2:5], v[2:3], off
	s_waitcnt vmcnt(0)
	v_lshrrev_b32_e32 v6, 16, v2
	v_lshrrev_b32_e32 v7, 16, v3
	;; [unrolled: 1-line block ×4, first 2 shown]
	s_and_saveexec_b64 s[0:1], vcc
	s_cbranch_execz .LBB185_281
; %bb.280:                              ;   in Loop: Header=BB185_43 Depth=1
	v_cmp_gt_i32_e32 vcc, s33, v40
	s_nop 1
	v_cndmask_b32_e32 v2, 0, v2, vcc
	v_cmp_gt_i32_e32 vcc, s33, v46
	s_nop 1
	v_cndmask_b32_e32 v6, 0, v6, vcc
	;; [unrolled: 3-line block ×8, first 2 shown]
.LBB185_281:                            ;   in Loop: Header=BB185_43 Depth=1
	s_or_b64 exec, exec, s[0:1]
	v_lshlrev_b32_e32 v2, 16, v2
	v_mul_f32_e32 v40, v48, v2
	v_and_b32_e32 v2, 0x7f800000, v40
	v_cmp_ne_u32_e32 vcc, s14, v2
                                        ; implicit-def: $vgpr2
	s_and_saveexec_b64 s[0:1], vcc
	s_xor_b64 s[0:1], exec, s[0:1]
; %bb.282:                              ;   in Loop: Header=BB185_43 Depth=1
	v_bfe_u32 v2, v40, 16, 1
	v_add3_u32 v2, v40, v2, s15
                                        ; implicit-def: $vgpr40
; %bb.283:                              ;   in Loop: Header=BB185_43 Depth=1
	s_andn2_saveexec_b64 s[0:1], s[0:1]
; %bb.284:                              ;   in Loop: Header=BB185_43 Depth=1
	v_or_b32_e32 v2, 0x10000, v40
	v_cmp_eq_u32_sdwa vcc, v40, v19 src0_sel:WORD_0 src1_sel:DWORD
	s_nop 1
	v_cndmask_b32_e32 v2, v2, v40, vcc
; %bb.285:                              ;   in Loop: Header=BB185_43 Depth=1
	s_or_b64 exec, exec, s[0:1]
	v_lshlrev_b32_e32 v6, 16, v6
	v_mul_f32_e32 v40, v49, v6
	v_and_b32_e32 v6, 0x7f800000, v40
	v_cmp_ne_u32_e32 vcc, s14, v6
                                        ; implicit-def: $vgpr6
	s_and_saveexec_b64 s[0:1], vcc
	s_xor_b64 s[0:1], exec, s[0:1]
; %bb.286:                              ;   in Loop: Header=BB185_43 Depth=1
	v_bfe_u32 v6, v40, 16, 1
	v_add3_u32 v6, v40, v6, s15
                                        ; implicit-def: $vgpr40
; %bb.287:                              ;   in Loop: Header=BB185_43 Depth=1
	s_andn2_saveexec_b64 s[0:1], s[0:1]
; %bb.288:                              ;   in Loop: Header=BB185_43 Depth=1
	v_or_b32_e32 v6, 0x10000, v40
	v_cmp_eq_u32_sdwa vcc, v40, v19 src0_sel:WORD_0 src1_sel:DWORD
	s_nop 1
	v_cndmask_b32_e32 v6, v6, v40, vcc
; %bb.289:                              ;   in Loop: Header=BB185_43 Depth=1
	s_or_b64 exec, exec, s[0:1]
	v_lshlrev_b32_e32 v3, 16, v3
	v_mul_f32_e32 v40, v50, v3
	v_and_b32_e32 v3, 0x7f800000, v40
	v_cmp_ne_u32_e32 vcc, s14, v3
                                        ; implicit-def: $vgpr3
	s_and_saveexec_b64 s[0:1], vcc
	s_xor_b64 s[0:1], exec, s[0:1]
; %bb.290:                              ;   in Loop: Header=BB185_43 Depth=1
	v_bfe_u32 v3, v40, 16, 1
	v_add3_u32 v3, v40, v3, s15
                                        ; implicit-def: $vgpr40
; %bb.291:                              ;   in Loop: Header=BB185_43 Depth=1
	s_andn2_saveexec_b64 s[0:1], s[0:1]
; %bb.292:                              ;   in Loop: Header=BB185_43 Depth=1
	v_or_b32_e32 v3, 0x10000, v40
	v_cmp_eq_u32_sdwa vcc, v40, v19 src0_sel:WORD_0 src1_sel:DWORD
	s_nop 1
	v_cndmask_b32_e32 v3, v3, v40, vcc
; %bb.293:                              ;   in Loop: Header=BB185_43 Depth=1
	s_or_b64 exec, exec, s[0:1]
	v_lshlrev_b32_e32 v7, 16, v7
	v_mul_f32_e32 v40, v51, v7
	v_and_b32_e32 v7, 0x7f800000, v40
	v_cmp_ne_u32_e32 vcc, s14, v7
                                        ; implicit-def: $vgpr7
	s_and_saveexec_b64 s[0:1], vcc
	s_xor_b64 s[0:1], exec, s[0:1]
; %bb.294:                              ;   in Loop: Header=BB185_43 Depth=1
	v_bfe_u32 v7, v40, 16, 1
	v_add3_u32 v7, v40, v7, s15
                                        ; implicit-def: $vgpr40
; %bb.295:                              ;   in Loop: Header=BB185_43 Depth=1
	s_andn2_saveexec_b64 s[0:1], s[0:1]
; %bb.296:                              ;   in Loop: Header=BB185_43 Depth=1
	v_or_b32_e32 v7, 0x10000, v40
	v_cmp_eq_u32_sdwa vcc, v40, v19 src0_sel:WORD_0 src1_sel:DWORD
	s_nop 1
	v_cndmask_b32_e32 v7, v7, v40, vcc
; %bb.297:                              ;   in Loop: Header=BB185_43 Depth=1
	s_or_b64 exec, exec, s[0:1]
	v_lshlrev_b32_e32 v4, 16, v4
	v_mul_f32_e32 v40, v52, v4
	v_and_b32_e32 v4, 0x7f800000, v40
	v_cmp_ne_u32_e32 vcc, s14, v4
                                        ; implicit-def: $vgpr4
	s_and_saveexec_b64 s[0:1], vcc
	s_xor_b64 s[0:1], exec, s[0:1]
; %bb.298:                              ;   in Loop: Header=BB185_43 Depth=1
	v_bfe_u32 v4, v40, 16, 1
	v_add3_u32 v4, v40, v4, s15
                                        ; implicit-def: $vgpr40
; %bb.299:                              ;   in Loop: Header=BB185_43 Depth=1
	s_andn2_saveexec_b64 s[0:1], s[0:1]
; %bb.300:                              ;   in Loop: Header=BB185_43 Depth=1
	v_or_b32_e32 v4, 0x10000, v40
	v_cmp_eq_u32_sdwa vcc, v40, v19 src0_sel:WORD_0 src1_sel:DWORD
	s_nop 1
	v_cndmask_b32_e32 v4, v4, v40, vcc
; %bb.301:                              ;   in Loop: Header=BB185_43 Depth=1
	s_or_b64 exec, exec, s[0:1]
	v_lshlrev_b32_e32 v40, 16, v92
	v_mul_f32_e32 v41, v53, v40
	v_and_b32_e32 v40, 0x7f800000, v41
	v_cmp_ne_u32_e32 vcc, s14, v40
                                        ; implicit-def: $vgpr40
	s_and_saveexec_b64 s[0:1], vcc
	s_xor_b64 s[0:1], exec, s[0:1]
; %bb.302:                              ;   in Loop: Header=BB185_43 Depth=1
	v_bfe_u32 v40, v41, 16, 1
	v_add3_u32 v40, v41, v40, s15
                                        ; implicit-def: $vgpr41
; %bb.303:                              ;   in Loop: Header=BB185_43 Depth=1
	s_andn2_saveexec_b64 s[0:1], s[0:1]
; %bb.304:                              ;   in Loop: Header=BB185_43 Depth=1
	v_or_b32_e32 v40, 0x10000, v41
	v_cmp_eq_u32_sdwa vcc, v41, v19 src0_sel:WORD_0 src1_sel:DWORD
	s_nop 1
	v_cndmask_b32_e32 v40, v40, v41, vcc
; %bb.305:                              ;   in Loop: Header=BB185_43 Depth=1
	s_or_b64 exec, exec, s[0:1]
	v_lshlrev_b32_e32 v5, 16, v5
	v_mul_f32_e32 v41, v54, v5
	v_and_b32_e32 v5, 0x7f800000, v41
	v_cmp_ne_u32_e32 vcc, s14, v5
                                        ; implicit-def: $vgpr5
	s_and_saveexec_b64 s[0:1], vcc
	s_xor_b64 s[0:1], exec, s[0:1]
; %bb.306:                              ;   in Loop: Header=BB185_43 Depth=1
	v_bfe_u32 v5, v41, 16, 1
	v_add3_u32 v5, v41, v5, s15
                                        ; implicit-def: $vgpr41
; %bb.307:                              ;   in Loop: Header=BB185_43 Depth=1
	s_andn2_saveexec_b64 s[0:1], s[0:1]
; %bb.308:                              ;   in Loop: Header=BB185_43 Depth=1
	v_or_b32_e32 v5, 0x10000, v41
	v_cmp_eq_u32_sdwa vcc, v41, v19 src0_sel:WORD_0 src1_sel:DWORD
	s_nop 1
	v_cndmask_b32_e32 v5, v5, v41, vcc
; %bb.309:                              ;   in Loop: Header=BB185_43 Depth=1
	s_or_b64 exec, exec, s[0:1]
	v_lshlrev_b32_e32 v27, 16, v27
	v_mul_f32_e32 v41, v55, v27
	v_and_b32_e32 v27, 0x7f800000, v41
	v_cmp_ne_u32_e32 vcc, s14, v27
                                        ; implicit-def: $vgpr27
	s_and_saveexec_b64 s[0:1], vcc
	s_xor_b64 s[0:1], exec, s[0:1]
; %bb.310:                              ;   in Loop: Header=BB185_43 Depth=1
	v_bfe_u32 v27, v41, 16, 1
	v_add3_u32 v27, v41, v27, s15
                                        ; implicit-def: $vgpr41
; %bb.311:                              ;   in Loop: Header=BB185_43 Depth=1
	s_andn2_saveexec_b64 s[0:1], s[0:1]
	s_cbranch_execz .LBB185_42
; %bb.312:                              ;   in Loop: Header=BB185_43 Depth=1
	v_or_b32_e32 v27, 0x10000, v41
	v_cmp_eq_u32_sdwa vcc, v41, v19 src0_sel:WORD_0 src1_sel:DWORD
	s_nop 1
	v_cndmask_b32_e32 v27, v27, v41, vcc
	s_branch .LBB185_42
.LBB185_313:
	s_or_b64 exec, exec, s[8:9]
.LBB185_314:
	s_or_b64 exec, exec, s[2:3]
	ds_bpermute_b32 v2, v28, v16
	ds_bpermute_b32 v3, v28, v17
	;; [unrolled: 1-line block ×6, first 2 shown]
	s_waitcnt lgkmcnt(4)
	v_pk_add_f32 v[2:3], v[16:17], v[2:3]
	ds_bpermute_b32 v16, v28, v31
	ds_bpermute_b32 v6, v29, v2
	;; [unrolled: 1-line block ×3, first 2 shown]
	s_waitcnt lgkmcnt(5)
	v_pk_add_f32 v[4:5], v[14:15], v[4:5]
	s_waitcnt lgkmcnt(3)
	v_pk_add_f32 v[12:13], v[12:13], v[8:9]
	s_waitcnt lgkmcnt(2)
	v_add_f32_e32 v16, v31, v16
	ds_bpermute_b32 v10, v29, v4
	ds_bpermute_b32 v11, v29, v5
	;; [unrolled: 1-line block ×5, first 2 shown]
	s_waitcnt lgkmcnt(5)
	v_pk_add_f32 v[8:9], v[2:3], v[6:7]
	v_and_b32_e32 v7, 0x3c3, v0
	s_waitcnt lgkmcnt(3)
	v_pk_add_f32 v[4:5], v[4:5], v[10:11]
	s_waitcnt lgkmcnt(1)
	v_pk_add_f32 v[2:3], v[12:13], v[14:15]
	s_waitcnt lgkmcnt(0)
	v_add_f32_e32 v6, v16, v17
	v_cmp_eq_u32_e32 vcc, 64, v7
	s_barrier
	s_and_saveexec_b64 s[0:1], vcc
	s_cbranch_execz .LBB185_316
; %bb.315:
	v_add_u32_e32 v1, 0xf0, v1
	ds_write2_b32 v1, v8, v9 offset1:16
	ds_write2_b32 v1, v4, v5 offset0:32 offset1:48
	ds_write2_b32 v1, v2, v3 offset0:64 offset1:80
	ds_write_b32 v1, v6 offset:384
.LBB185_316:
	s_or_b64 exec, exec, s[0:1]
	v_cmp_gt_u32_e32 vcc, 64, v0
	s_waitcnt lgkmcnt(0)
	s_barrier
	s_and_saveexec_b64 s[2:3], vcc
	s_cbranch_execz .LBB185_326
; %bb.317:
	v_cmp_eq_u32_e64 s[0:1], 0, v30
	v_lshrrev_b32_e32 v1, 2, v0
	s_and_saveexec_b64 s[6:7], s[0:1]
	s_cbranch_execnz .LBB185_358
; %bb.318:
	s_or_b64 exec, exec, s[6:7]
	s_and_saveexec_b64 s[6:7], s[0:1]
	s_cbranch_execnz .LBB185_359
.LBB185_319:
	s_or_b64 exec, exec, s[6:7]
	s_and_saveexec_b64 s[6:7], s[0:1]
	s_cbranch_execnz .LBB185_360
.LBB185_320:
	s_or_b64 exec, exec, s[6:7]
	s_and_saveexec_b64 s[6:7], s[0:1]
	s_cbranch_execnz .LBB185_361
.LBB185_321:
	s_or_b64 exec, exec, s[6:7]
	s_and_saveexec_b64 s[6:7], s[0:1]
	s_cbranch_execnz .LBB185_362
.LBB185_322:
	s_or_b64 exec, exec, s[6:7]
	s_and_saveexec_b64 s[6:7], s[0:1]
	s_cbranch_execnz .LBB185_363
.LBB185_323:
	s_or_b64 exec, exec, s[6:7]
	s_and_saveexec_b64 s[6:7], s[0:1]
	s_cbranch_execz .LBB185_325
.LBB185_324:
	v_mov_b32_e32 v7, 0xf0
	v_lshl_add_u32 v1, v1, 2, v7
	ds_read_b32 v1, v1 offset:384
	s_waitcnt lgkmcnt(0)
	v_add_f32_e32 v6, v6, v1
.LBB185_325:
	s_or_b64 exec, exec, s[6:7]
.LBB185_326:
	s_or_b64 exec, exec, s[2:3]
	s_barrier
	s_and_saveexec_b64 s[0:1], vcc
	s_cbranch_execz .LBB185_357
; %bb.327:
	v_cmp_eq_u32_e32 vcc, 0, v30
	s_and_b64 exec, exec, vcc
	s_cbranch_execz .LBB185_357
; %bb.328:
	s_mov_b32 s0, 0x7f800000
	v_and_b32_e32 v1, 0x7f800000, v8
	v_cmp_ne_u32_e32 vcc, s0, v1
                                        ; implicit-def: $vgpr7
	s_and_saveexec_b64 s[0:1], vcc
	s_xor_b64 s[0:1], exec, s[0:1]
; %bb.329:
	v_bfe_u32 v1, v8, 16, 1
	s_movk_i32 s2, 0x7fff
	v_add3_u32 v7, v8, v1, s2
; %bb.330:
	s_andn2_saveexec_b64 s[0:1], s[0:1]
; %bb.331:
	v_mov_b32_e32 v1, 0
	v_or_b32_e32 v7, 0x10000, v8
	v_cmp_eq_u32_sdwa vcc, v8, v1 src0_sel:WORD_0 src1_sel:DWORD
	s_nop 1
	v_cndmask_b32_e32 v7, v7, v8, vcc
; %bb.332:
	s_or_b64 exec, exec, s[0:1]
	s_mul_i32 s0, s12, s20
	s_mul_i32 s0, s0, s21
	s_mulk_i32 s0, 0x70
	s_ashr_i32 s1, s0, 31
	s_lshl_b64 s[0:1], s[0:1], 1
	s_add_u32 s2, s24, s0
	s_mul_i32 s0, s12, s22
	s_addc_u32 s3, s25, s1
	s_ashr_i32 s1, s0, 31
	s_lshl_b64 s[0:1], s[0:1], 1
	s_add_u32 s2, s2, s0
	s_mul_i32 s0, s4, 0x70
	s_addc_u32 s3, s3, s1
	s_ashr_i32 s1, s0, 31
	s_lshl_b64 s[0:1], s[0:1], 1
	s_add_u32 s0, s2, s0
	v_lshrrev_b32_e32 v0, 1, v0
	s_addc_u32 s1, s3, s1
	v_and_b32_e32 v0, 0x1fe, v0
	global_store_short_d16_hi v0, v7, s[0:1]
	s_mov_b32 s2, 0x7f800000
	v_and_b32_e32 v7, 0x7f800000, v9
	v_mov_b32_e32 v1, 0
	v_cmp_ne_u32_e32 vcc, s2, v7
                                        ; implicit-def: $vgpr7
	s_and_saveexec_b64 s[2:3], vcc
	s_xor_b64 s[2:3], exec, s[2:3]
; %bb.333:
	v_bfe_u32 v7, v9, 16, 1
	s_movk_i32 s4, 0x7fff
	v_add3_u32 v7, v9, v7, s4
; %bb.334:
	s_or_saveexec_b64 s[2:3], s[2:3]
	v_lshl_add_u64 v[10:11], s[0:1], 0, v[0:1]
	s_xor_b64 exec, exec, s[2:3]
; %bb.335:
	v_mov_b32_e32 v0, 0
	v_or_b32_e32 v1, 0x10000, v9
	v_cmp_eq_u32_sdwa vcc, v9, v0 src0_sel:WORD_0 src1_sel:DWORD
	s_nop 1
	v_cndmask_b32_e32 v7, v1, v9, vcc
; %bb.336:
	s_or_b64 exec, exec, s[2:3]
	s_mov_b32 s0, 0x7f800000
	v_and_b32_e32 v0, 0x7f800000, v4
	v_cmp_ne_u32_e32 vcc, s0, v0
	global_store_short_d16_hi v[10:11], v7, off offset:32
                                        ; implicit-def: $vgpr0
	s_and_saveexec_b64 s[0:1], vcc
	s_xor_b64 s[0:1], exec, s[0:1]
; %bb.337:
	v_bfe_u32 v0, v4, 16, 1
	s_movk_i32 s2, 0x7fff
	v_add3_u32 v0, v4, v0, s2
; %bb.338:
	s_andn2_saveexec_b64 s[0:1], s[0:1]
; %bb.339:
	v_mov_b32_e32 v0, 0
	v_or_b32_e32 v1, 0x10000, v4
	v_cmp_eq_u32_sdwa vcc, v4, v0 src0_sel:WORD_0 src1_sel:DWORD
	s_nop 1
	v_cndmask_b32_e32 v0, v1, v4, vcc
; %bb.340:
	s_or_b64 exec, exec, s[0:1]
	global_store_short_d16_hi v[10:11], v0, off offset:64
	s_mov_b32 s0, 0x7f800000
	v_and_b32_e32 v0, 0x7f800000, v5
	v_cmp_ne_u32_e32 vcc, s0, v0
                                        ; implicit-def: $vgpr0
	s_and_saveexec_b64 s[0:1], vcc
	s_xor_b64 s[0:1], exec, s[0:1]
; %bb.341:
	v_bfe_u32 v0, v5, 16, 1
	s_movk_i32 s2, 0x7fff
	v_add3_u32 v0, v5, v0, s2
; %bb.342:
	s_andn2_saveexec_b64 s[0:1], s[0:1]
; %bb.343:
	v_mov_b32_e32 v0, 0
	v_or_b32_e32 v1, 0x10000, v5
	v_cmp_eq_u32_sdwa vcc, v5, v0 src0_sel:WORD_0 src1_sel:DWORD
	s_nop 1
	v_cndmask_b32_e32 v0, v1, v5, vcc
; %bb.344:
	s_or_b64 exec, exec, s[0:1]
	global_store_short_d16_hi v[10:11], v0, off offset:96
	s_mov_b32 s0, 0x7f800000
	v_and_b32_e32 v0, 0x7f800000, v2
	v_cmp_ne_u32_e32 vcc, s0, v0
	;; [unrolled: 21-line block ×4, first 2 shown]
                                        ; implicit-def: $vgpr7
	s_and_saveexec_b64 s[0:1], vcc
	s_xor_b64 s[0:1], exec, s[0:1]
; %bb.353:
	v_bfe_u32 v0, v6, 16, 1
	s_movk_i32 s2, 0x7fff
	v_add3_u32 v7, v6, v0, s2
                                        ; implicit-def: $vgpr0_vgpr1_vgpr2_vgpr3_vgpr4_vgpr5_vgpr6
; %bb.354:
	s_andn2_saveexec_b64 s[0:1], s[0:1]
; %bb.355:
	v_mov_b32_e32 v0, 0
	v_or_b32_e32 v1, 0x10000, v6
	v_cmp_eq_u32_sdwa vcc, v6, v0 src0_sel:WORD_0 src1_sel:DWORD
	s_nop 1
	v_cndmask_b32_e32 v7, v1, v6, vcc
; %bb.356:
	s_or_b64 exec, exec, s[0:1]
	global_store_short_d16_hi v[10:11], v7, off offset:192
.LBB185_357:
	s_endpgm
.LBB185_358:
	v_mov_b32_e32 v7, 0xf0
	v_lshl_add_u32 v7, v1, 2, v7
	ds_read_b32 v7, v7
	s_waitcnt lgkmcnt(0)
	v_add_f32_e32 v8, v8, v7
	s_or_b64 exec, exec, s[6:7]
	s_and_saveexec_b64 s[6:7], s[0:1]
	s_cbranch_execz .LBB185_319
.LBB185_359:
	v_mov_b32_e32 v7, 0xf0
	v_lshl_add_u32 v7, v1, 2, v7
	ds_read_b32 v7, v7 offset:64
	s_waitcnt lgkmcnt(0)
	v_add_f32_e32 v9, v9, v7
	s_or_b64 exec, exec, s[6:7]
	s_and_saveexec_b64 s[6:7], s[0:1]
	s_cbranch_execz .LBB185_320
.LBB185_360:
	v_mov_b32_e32 v7, 0xf0
	v_lshl_add_u32 v7, v1, 2, v7
	ds_read_b32 v7, v7 offset:128
	s_waitcnt lgkmcnt(0)
	v_add_f32_e32 v4, v4, v7
	s_or_b64 exec, exec, s[6:7]
	s_and_saveexec_b64 s[6:7], s[0:1]
	s_cbranch_execz .LBB185_321
.LBB185_361:
	v_mov_b32_e32 v7, 0xf0
	v_lshl_add_u32 v7, v1, 2, v7
	ds_read_b32 v7, v7 offset:192
	s_waitcnt lgkmcnt(0)
	v_add_f32_e32 v5, v5, v7
	s_or_b64 exec, exec, s[6:7]
	s_and_saveexec_b64 s[6:7], s[0:1]
	s_cbranch_execz .LBB185_322
.LBB185_362:
	v_mov_b32_e32 v7, 0xf0
	v_lshl_add_u32 v7, v1, 2, v7
	ds_read_b32 v7, v7 offset:256
	s_waitcnt lgkmcnt(0)
	v_add_f32_e32 v2, v2, v7
	s_or_b64 exec, exec, s[6:7]
	s_and_saveexec_b64 s[6:7], s[0:1]
	s_cbranch_execz .LBB185_323
.LBB185_363:
	v_mov_b32_e32 v7, 0xf0
	v_lshl_add_u32 v7, v1, 2, v7
	ds_read_b32 v7, v7 offset:320
	s_waitcnt lgkmcnt(0)
	v_add_f32_e32 v3, v3, v7
	s_or_b64 exec, exec, s[6:7]
	s_and_saveexec_b64 s[6:7], s[0:1]
	s_cbranch_execnz .LBB185_324
	s_branch .LBB185_325
	.section	.rodata,"a",@progbits
	.p2align	6, 0x0
	.amdhsa_kernel _ZN4vllm25paged_attention_v2_kernelI14__hip_bfloat16S1_Li112ELi32ELi128ELNS_18Fp8KVCacheDataTypeE0ELb0ELi512EEEvPfS3_PT_PKS4_PKT0_SA_ifPKiSC_iPKfiiiSE_SE_iiiii
		.amdhsa_group_segment_fixed_size 240
		.amdhsa_private_segment_fixed_size 0
		.amdhsa_kernarg_size 400
		.amdhsa_user_sgpr_count 2
		.amdhsa_user_sgpr_dispatch_ptr 0
		.amdhsa_user_sgpr_queue_ptr 0
		.amdhsa_user_sgpr_kernarg_segment_ptr 1
		.amdhsa_user_sgpr_dispatch_id 0
		.amdhsa_user_sgpr_kernarg_preload_length 0
		.amdhsa_user_sgpr_kernarg_preload_offset 0
		.amdhsa_user_sgpr_private_segment_size 0
		.amdhsa_uses_dynamic_stack 0
		.amdhsa_enable_private_segment 0
		.amdhsa_system_sgpr_workgroup_id_x 1
		.amdhsa_system_sgpr_workgroup_id_y 1
		.amdhsa_system_sgpr_workgroup_id_z 1
		.amdhsa_system_sgpr_workgroup_info 0
		.amdhsa_system_vgpr_workitem_id 0
		.amdhsa_next_free_vgpr 124
		.amdhsa_next_free_sgpr 43
		.amdhsa_accum_offset 124
		.amdhsa_reserve_vcc 1
		.amdhsa_float_round_mode_32 0
		.amdhsa_float_round_mode_16_64 0
		.amdhsa_float_denorm_mode_32 3
		.amdhsa_float_denorm_mode_16_64 3
		.amdhsa_dx10_clamp 1
		.amdhsa_ieee_mode 1
		.amdhsa_fp16_overflow 0
		.amdhsa_tg_split 0
		.amdhsa_exception_fp_ieee_invalid_op 0
		.amdhsa_exception_fp_denorm_src 0
		.amdhsa_exception_fp_ieee_div_zero 0
		.amdhsa_exception_fp_ieee_overflow 0
		.amdhsa_exception_fp_ieee_underflow 0
		.amdhsa_exception_fp_ieee_inexact 0
		.amdhsa_exception_int_div_zero 0
	.end_amdhsa_kernel
	.section	.text._ZN4vllm25paged_attention_v2_kernelI14__hip_bfloat16S1_Li112ELi32ELi128ELNS_18Fp8KVCacheDataTypeE0ELb0ELi512EEEvPfS3_PT_PKS4_PKT0_SA_ifPKiSC_iPKfiiiSE_SE_iiiii,"axG",@progbits,_ZN4vllm25paged_attention_v2_kernelI14__hip_bfloat16S1_Li112ELi32ELi128ELNS_18Fp8KVCacheDataTypeE0ELb0ELi512EEEvPfS3_PT_PKS4_PKT0_SA_ifPKiSC_iPKfiiiSE_SE_iiiii,comdat
.Lfunc_end185:
	.size	_ZN4vllm25paged_attention_v2_kernelI14__hip_bfloat16S1_Li112ELi32ELi128ELNS_18Fp8KVCacheDataTypeE0ELb0ELi512EEEvPfS3_PT_PKS4_PKT0_SA_ifPKiSC_iPKfiiiSE_SE_iiiii, .Lfunc_end185-_ZN4vllm25paged_attention_v2_kernelI14__hip_bfloat16S1_Li112ELi32ELi128ELNS_18Fp8KVCacheDataTypeE0ELb0ELi512EEEvPfS3_PT_PKS4_PKT0_SA_ifPKiSC_iPKfiiiSE_SE_iiiii
                                        ; -- End function
	.section	.AMDGPU.csdata,"",@progbits
; Kernel info:
; codeLenInByte = 12812
; NumSgprs: 49
; NumVgprs: 124
; NumAgprs: 0
; TotalNumVgprs: 124
; ScratchSize: 0
; MemoryBound: 0
; FloatMode: 240
; IeeeMode: 1
; LDSByteSize: 240 bytes/workgroup (compile time only)
; SGPRBlocks: 6
; VGPRBlocks: 15
; NumSGPRsForWavesPerEU: 49
; NumVGPRsForWavesPerEU: 124
; AccumOffset: 124
; Occupancy: 4
; WaveLimiterHint : 1
; COMPUTE_PGM_RSRC2:SCRATCH_EN: 0
; COMPUTE_PGM_RSRC2:USER_SGPR: 2
; COMPUTE_PGM_RSRC2:TRAP_HANDLER: 0
; COMPUTE_PGM_RSRC2:TGID_X_EN: 1
; COMPUTE_PGM_RSRC2:TGID_Y_EN: 1
; COMPUTE_PGM_RSRC2:TGID_Z_EN: 1
; COMPUTE_PGM_RSRC2:TIDIG_COMP_CNT: 0
; COMPUTE_PGM_RSRC3_GFX90A:ACCUM_OFFSET: 30
; COMPUTE_PGM_RSRC3_GFX90A:TG_SPLIT: 0
	.section	.text._ZN4vllm25paged_attention_v2_kernelI14__hip_bfloat16S1_Li120ELi32ELi128ELNS_18Fp8KVCacheDataTypeE0ELb0ELi512EEEvPfS3_PT_PKS4_PKT0_SA_ifPKiSC_iPKfiiiSE_SE_iiiii,"axG",@progbits,_ZN4vllm25paged_attention_v2_kernelI14__hip_bfloat16S1_Li120ELi32ELi128ELNS_18Fp8KVCacheDataTypeE0ELb0ELi512EEEvPfS3_PT_PKS4_PKT0_SA_ifPKiSC_iPKfiiiSE_SE_iiiii,comdat
	.protected	_ZN4vllm25paged_attention_v2_kernelI14__hip_bfloat16S1_Li120ELi32ELi128ELNS_18Fp8KVCacheDataTypeE0ELb0ELi512EEEvPfS3_PT_PKS4_PKT0_SA_ifPKiSC_iPKfiiiSE_SE_iiiii ; -- Begin function _ZN4vllm25paged_attention_v2_kernelI14__hip_bfloat16S1_Li120ELi32ELi128ELNS_18Fp8KVCacheDataTypeE0ELb0ELi512EEEvPfS3_PT_PKS4_PKT0_SA_ifPKiSC_iPKfiiiSE_SE_iiiii
	.globl	_ZN4vllm25paged_attention_v2_kernelI14__hip_bfloat16S1_Li120ELi32ELi128ELNS_18Fp8KVCacheDataTypeE0ELb0ELi512EEEvPfS3_PT_PKS4_PKT0_SA_ifPKiSC_iPKfiiiSE_SE_iiiii
	.p2align	8
	.type	_ZN4vllm25paged_attention_v2_kernelI14__hip_bfloat16S1_Li120ELi32ELi128ELNS_18Fp8KVCacheDataTypeE0ELb0ELi512EEEvPfS3_PT_PKS4_PKT0_SA_ifPKiSC_iPKfiiiSE_SE_iiiii,@function
_ZN4vllm25paged_attention_v2_kernelI14__hip_bfloat16S1_Li120ELi32ELi128ELNS_18Fp8KVCacheDataTypeE0ELb0ELi512EEEvPfS3_PT_PKS4_PKT0_SA_ifPKiSC_iPKfiiiSE_SE_iiiii: ; @_ZN4vllm25paged_attention_v2_kernelI14__hip_bfloat16S1_Li120ELi32ELi128ELNS_18Fp8KVCacheDataTypeE0ELb0ELi512EEEvPfS3_PT_PKS4_PKT0_SA_ifPKiSC_iPKfiiiSE_SE_iiiii
; %bb.0:
	s_load_dwordx2 s[6:7], s[0:1], 0x40
	s_mov_b32 s24, s3
	s_ashr_i32 s25, s3, 31
	s_lshl_b64 s[8:9], s[24:25], 2
	s_waitcnt lgkmcnt(0)
	s_add_u32 s6, s6, s8
	s_addc_u32 s7, s7, s9
	s_load_dword s25, s[6:7], 0x0
	s_lshl_b32 s40, s4, 9
	s_waitcnt lgkmcnt(0)
	s_cmp_ge_i32 s40, s25
	s_cbranch_scc1 .LBB186_404
; %bb.1:
	s_load_dword s5, s[0:1], 0x90
	s_load_dwordx2 s[10:11], s[0:1], 0x30
	s_mov_b32 s41, 0
	s_waitcnt lgkmcnt(0)
	s_abs_i32 s7, s5
	s_abs_i32 s3, s10
	v_cvt_f32_u32_e32 v1, s3
	s_sub_i32 s8, 0, s3
	s_xor_b32 s6, s5, s10
	s_ashr_i32 s6, s6, 31
	v_rcp_iflag_f32_e32 v1, v1
	s_nop 0
	v_mul_f32_e32 v1, 0x4f7ffffe, v1
	v_cvt_u32_f32_e32 v1, v1
	s_nop 0
	v_readfirstlane_b32 s9, v1
	s_mul_i32 s8, s8, s9
	s_mul_hi_u32 s8, s9, s8
	s_add_i32 s9, s9, s8
	s_mul_hi_u32 s8, s7, s9
	s_mul_i32 s9, s8, s3
	s_sub_i32 s7, s7, s9
	s_add_i32 s10, s8, 1
	s_sub_i32 s9, s7, s3
	s_cmp_ge_u32 s7, s3
	s_cselect_b32 s8, s10, s8
	s_cselect_b32 s7, s9, s7
	s_add_i32 s9, s8, 1
	s_cmp_ge_u32 s7, s3
	s_cselect_b32 s3, s9, s8
	s_xor_b32 s3, s3, s6
	s_sub_i32 s10, s3, s6
	s_abs_i32 s8, s10
	v_cvt_f32_u32_e32 v1, s8
	s_load_dwordx2 s[6:7], s[0:1], 0x50
	s_sub_i32 s3, 0, s8
	s_abs_i32 s9, s2
	v_rcp_iflag_f32_e32 v1, v1
	s_nop 0
	v_mul_f32_e32 v1, 0x4f7ffffe, v1
	v_cvt_u32_f32_e32 v1, v1
	s_nop 0
	v_readfirstlane_b32 s12, v1
	s_mul_i32 s3, s3, s12
	s_mul_hi_u32 s3, s12, s3
	s_add_i32 s12, s12, s3
	s_waitcnt lgkmcnt(0)
	s_cmp_eq_u64 s[6:7], 0
	s_mul_hi_u32 s16, s9, s12
	s_cbranch_scc1 .LBB186_3
; %bb.2:
	s_ashr_i32 s3, s2, 31
	s_lshl_b64 s[12:13], s[2:3], 2
	s_add_u32 s6, s6, s12
	s_addc_u32 s7, s7, s13
	s_load_dword s41, s[6:7], 0x0
.LBB186_3:
	s_load_dwordx4 s[12:15], s[0:1], 0x58
	s_ashr_i32 s17, s2, 31
	s_ashr_i32 s18, s10, 31
	v_and_b32_e32 v4, 1, v0
	s_movk_i32 s3, 0x78
	s_mul_i32 s20, s2, 0x78
	v_cmp_gt_u32_e32 vcc, 30, v0
	v_lshlrev_b32_e32 v30, 3, v0
	s_and_saveexec_b64 s[6:7], vcc
	s_cbranch_execz .LBB186_5
; %bb.4:
	s_load_dwordx2 s[22:23], s[0:1], 0x18
	s_waitcnt lgkmcnt(0)
	s_mul_i32 s26, s24, s12
	s_ashr_i32 s27, s26, 31
	s_lshl_b64 s[26:27], s[26:27], 1
	v_lshlrev_b32_e32 v1, 2, v0
	s_add_u32 s10, s22, s26
	s_addc_u32 s12, s23, s27
	s_ashr_i32 s21, s20, 31
	s_lshl_b64 s[22:23], s[20:21], 1
	s_add_u32 s22, s10, s22
	s_addc_u32 s23, s12, s23
	global_load_dwordx2 v[2:3], v30, s[22:23]
	v_and_b32_e32 v1, 0xff8, v1
	v_mad_u32_u24 v1, v4, s3, v1
	s_waitcnt vmcnt(0)
	ds_write_b64 v1, v[2:3]
.LBB186_5:
	s_or_b64 exec, exec, s[6:7]
	s_add_i32 s3, s25, 31
	s_ashr_i32 s6, s3, 31
	s_lshr_b32 s6, s6, 27
	s_add_i32 s3, s3, s6
	s_lshl_b32 s10, s4, 4
	s_mul_i32 s7, s16, s8
	s_ashr_i32 s3, s3, 5
	s_add_i32 s6, s10, 16
	s_sub_i32 s7, s9, s7
	s_min_i32 s33, s6, s3
	s_xor_b32 s6, s17, s18
	s_add_i32 s9, s16, 1
	s_waitcnt lgkmcnt(0)
	s_sub_i32 s12, s7, s8
	s_cmp_ge_u32 s7, s8
	s_cselect_b32 s9, s9, s16
	s_cselect_b32 s7, s12, s7
	s_add_i32 s12, s9, 1
	s_cmp_ge_u32 s7, s8
	s_load_dwordx2 s[26:27], s[0:1], 0x38
	s_load_dword s8, s[0:1], 0x48
	v_lshrrev_b32_e32 v31, 6, v0
	s_cselect_b32 s7, s12, s9
	s_xor_b32 s7, s7, s6
	v_or_b32_e32 v10, s10, v31
	s_waitcnt lgkmcnt(0)
	s_mul_i32 s28, s24, s8
	s_sub_i32 s12, s7, s6
	s_ashr_i32 s29, s28, 31
	v_cmp_gt_i32_e64 s[8:9], s33, v10
	v_cmp_le_i32_e32 vcc, s33, v10
	v_mbcnt_lo_u32_b32 v5, -1, 0
	s_barrier
	s_waitcnt lgkmcnt(0)
                                        ; implicit-def: $sgpr15
                                        ; implicit-def: $vgpr33
                                        ; implicit-def: $vgpr32
	s_and_saveexec_b64 s[6:7], vcc
	s_xor_b64 s[6:7], exec, s[6:7]
; %bb.6:
	v_mbcnt_hi_u32_b32 v33, -1, v5
	v_and_b32_e32 v1, 64, v33
	v_add_u32_e32 v32, 64, v1
	s_mov_b32 s15, 0xff7fffff
                                        ; implicit-def: $vgpr4
                                        ; implicit-def: $vgpr5
; %bb.7:
	s_or_saveexec_b64 s[34:35], s[6:7]
	s_load_dwordx4 s[16:19], s[0:1], 0x0
	s_load_dwordx2 s[22:23], s[0:1], 0x10
	s_load_dwordx2 s[30:31], s[0:1], 0x28
	s_load_dword s21, s[0:1], 0x98
	v_mov_b32_e32 v89, s15
	s_mul_i32 s14, s12, s14
	v_ashrrev_i32_e32 v11, 31, v10
	s_xor_b64 exec, exec, s[34:35]
	s_cbranch_execz .LBB186_13
; %bb.8:
	v_mul_u32_u24_e32 v2, 0x78, v4
	ds_read2_b64 v[6:9], v2 offset1:1
	ds_read2_b64 v[12:15], v2 offset0:2 offset1:3
	s_load_dwordx2 s[0:1], s[0:1], 0x20
	s_ashr_i32 s15, s14, 31
	s_lshl_b64 s[6:7], s[14:15], 1
	s_waitcnt lgkmcnt(0)
	v_lshlrev_b32_e32 v1, 16, v6
	v_and_b32_e32 v34, 0xffff0000, v6
	v_lshlrev_b32_e32 v35, 16, v7
	v_and_b32_e32 v36, 0xffff0000, v7
	;; [unrolled: 2-line block ×4, first 2 shown]
	ds_read2_b64 v[6:9], v2 offset0:4 offset1:5
	v_lshlrev_b32_e32 v41, 16, v12
	v_and_b32_e32 v42, 0xffff0000, v12
	v_lshlrev_b32_e32 v43, 16, v13
	v_and_b32_e32 v44, 0xffff0000, v13
	v_lshlrev_b32_e32 v45, 16, v14
	v_and_b32_e32 v46, 0xffff0000, v14
	v_lshlrev_b32_e32 v47, 16, v15
	v_and_b32_e32 v48, 0xffff0000, v15
	ds_read2_b64 v[12:15], v2 offset0:6 offset1:7
	s_waitcnt lgkmcnt(1)
	v_lshlrev_b32_e32 v49, 16, v6
	v_and_b32_e32 v50, 0xffff0000, v6
	v_lshlrev_b32_e32 v51, 16, v7
	v_and_b32_e32 v52, 0xffff0000, v7
	v_lshlrev_b32_e32 v53, 16, v8
	v_and_b32_e32 v54, 0xffff0000, v8
	v_lshlrev_b32_e32 v55, 16, v9
	v_and_b32_e32 v56, 0xffff0000, v9
	ds_read2_b64 v[6:9], v2 offset0:8 offset1:9
	s_waitcnt lgkmcnt(1)
	;; [unrolled: 10-line block ×3, first 2 shown]
	v_lshlrev_b32_e32 v65, 16, v6
	v_and_b32_e32 v66, 0xffff0000, v6
	v_lshlrev_b32_e32 v67, 16, v7
	v_and_b32_e32 v68, 0xffff0000, v7
	;; [unrolled: 2-line block ×4, first 2 shown]
	ds_read2_b64 v[6:9], v2 offset0:12 offset1:13
	v_mbcnt_hi_u32_b32 v33, -1, v5
	s_waitcnt lgkmcnt(1)
	v_lshlrev_b32_e32 v73, 16, v12
	v_and_b32_e32 v74, 0xffff0000, v12
	v_lshlrev_b32_e32 v75, 16, v13
	v_and_b32_e32 v76, 0xffff0000, v13
	ds_read_b64 v[12:13], v2 offset:112
	s_waitcnt lgkmcnt(1)
	v_lshlrev_b32_e32 v85, 16, v8
	v_and_b32_e32 v86, 0xffff0000, v8
	s_add_u32 s0, s0, s6
	v_bfe_u32 v8, v0, 1, 5
	v_cmp_eq_u32_e32 vcc, 0, v4
	v_and_b32_e32 v4, 64, v33
	s_addc_u32 s1, s1, s7
	v_lshlrev_b32_e32 v2, 4, v8
	v_mov_b32_e32 v3, 0
	v_add_u32_e32 v32, 64, v4
	v_xor_b32_e32 v4, 1, v33
	v_lshlrev_b32_e32 v81, 16, v6
	v_and_b32_e32 v82, 0xffff0000, v6
	v_lshlrev_b32_e32 v83, 16, v7
	v_and_b32_e32 v84, 0xffff0000, v7
	v_lshl_add_u64 v[6:7], s[0:1], 0, v[2:3]
	v_cmp_lt_i32_e64 s[0:1], v4, v32
	s_sub_i32 s15, 1, s25
	v_and_b32_e32 v2, 8, v30
	v_cndmask_b32_e64 v4, v33, v4, s[0:1]
	v_lshlrev_b32_e32 v94, 2, v4
	v_lshlrev_b32_e32 v4, 5, v31
	s_lshl_b64 s[0:1], s[28:29], 2
	v_add3_u32 v95, s40, v4, v8
	v_lshlrev_b32_e32 v4, 2, v8
	s_add_u32 s0, s26, s0
	v_lshl_or_b32 v4, v31, 7, v4
	s_addc_u32 s1, s27, s1
	v_lshlrev_b32_e32 v77, 16, v14
	v_and_b32_e32 v78, 0xffff0000, v14
	v_lshlrev_b32_e32 v79, 16, v15
	v_and_b32_e32 v80, 0xffff0000, v15
	;; [unrolled: 2-line block ×3, first 2 shown]
	v_lshl_add_u64 v[2:3], v[6:7], 0, v[2:3]
	s_waitcnt lgkmcnt(0)
	v_lshlrev_b32_e32 v90, 16, v12
	v_and_b32_e32 v91, 0xffff0000, v12
	v_lshlrev_b32_e32 v92, 16, v13
	v_and_b32_e32 v93, 0xffff0000, v13
	s_mov_b32 s12, s13
	v_cmp_neq_f32_e64 s[6:7], s41, 0
	v_add_u32_e32 v96, 0x100, v4
	s_mov_b64 s[36:37], 0
	s_movk_i32 s42, 0x1000
	v_mov_b32_e32 v89, 0xff7fffff
	v_mov_b32_e32 v97, v10
	v_lshl_add_u64 v[4:5], v[10:11], 2, s[0:1]
	s_branch .LBB186_10
.LBB186_9:                              ;   in Loop: Header=BB186_10 Depth=1
	s_or_b64 exec, exec, s[38:39]
	v_add_u32_e32 v97, 2, v97
	v_cmp_le_i32_e64 s[0:1], s33, v97
	v_add_u32_e32 v95, 64, v95
	v_add_u32_e32 v96, 0x100, v96
	s_or_b64 s[36:37], s[0:1], s[36:37]
	v_lshl_add_u64 v[4:5], v[4:5], 0, 8
	s_andn2_b64 exec, exec, s[36:37]
	s_cbranch_execz .LBB186_12
.LBB186_10:                             ; =>This Inner Loop Header: Depth=1
	global_load_dword v6, v[4:5], off
	s_waitcnt vmcnt(0) lgkmcnt(0)
	v_mad_i64_i32 v[6:7], s[0:1], v6, s12, 0
	v_lshl_add_u64 v[6:7], v[6:7], 1, v[2:3]
	global_load_dwordx2 v[98:99], v[6:7], off
	global_load_dwordx2 v[100:101], v[6:7], off offset:512
	global_load_dwordx2 v[102:103], v[6:7], off offset:1024
	global_load_dwordx2 v[104:105], v[6:7], off offset:1536
	global_load_dwordx2 v[28:29], v[6:7], off offset:2048
	global_load_dwordx2 v[26:27], v[6:7], off offset:2560
	global_load_dwordx2 v[24:25], v[6:7], off offset:3072
	global_load_dwordx2 v[22:23], v[6:7], off offset:3584
	v_add_co_u32_e64 v6, s[0:1], s42, v6
	s_waitcnt vmcnt(7)
	v_lshlrev_b32_e32 v106, 16, v98
	v_addc_co_u32_e64 v7, s[0:1], 0, v7, s[0:1]
	global_load_dwordx2 v[20:21], v[6:7], off
	global_load_dwordx2 v[18:19], v[6:7], off offset:512
	global_load_dwordx2 v[16:17], v[6:7], off offset:1024
	;; [unrolled: 1-line block ×5, first 2 shown]
	s_nop 0
	global_load_dwordx2 v[6:7], v[6:7], off offset:3072
	v_and_b32_e32 v107, 0xffff0000, v98
	v_lshlrev_b32_e32 v108, 16, v99
	v_and_b32_e32 v109, 0xffff0000, v99
	s_waitcnt vmcnt(13)
	v_lshlrev_b32_e32 v98, 16, v100
	v_and_b32_e32 v99, 0xffff0000, v100
	v_mul_f32_e32 v98, v37, v98
	v_mul_f32_e32 v99, v38, v99
	v_lshlrev_b32_e32 v100, 16, v101
	v_fmac_f32_e32 v98, v1, v106
	v_fmac_f32_e32 v99, v34, v107
	v_and_b32_e32 v101, 0xffff0000, v101
	v_mul_f32_e32 v100, v39, v100
	s_waitcnt vmcnt(12)
	v_lshlrev_b32_e32 v106, 16, v102
	v_and_b32_e32 v102, 0xffff0000, v102
	v_fmac_f32_e32 v100, v35, v108
	v_mul_f32_e32 v101, v40, v101
	v_fmac_f32_e32 v99, v42, v102
	v_lshlrev_b32_e32 v102, 16, v103
	v_fmac_f32_e32 v101, v36, v109
	v_fmac_f32_e32 v98, v41, v106
	v_and_b32_e32 v103, 0xffff0000, v103
	v_fmac_f32_e32 v100, v43, v102
	s_waitcnt vmcnt(11)
	v_lshlrev_b32_e32 v102, 16, v104
	v_fmac_f32_e32 v101, v44, v103
	v_and_b32_e32 v103, 0xffff0000, v104
	v_fmac_f32_e32 v98, v45, v102
	v_lshlrev_b32_e32 v102, 16, v105
	v_fmac_f32_e32 v99, v46, v103
	v_fmac_f32_e32 v100, v47, v102
	s_waitcnt vmcnt(10)
	v_lshlrev_b32_e32 v102, 16, v28
	v_and_b32_e32 v28, 0xffff0000, v28
	v_fmac_f32_e32 v99, v50, v28
	v_lshlrev_b32_e32 v28, 16, v29
	v_fmac_f32_e32 v100, v51, v28
	s_waitcnt vmcnt(9)
	v_lshlrev_b32_e32 v28, 16, v26
	v_and_b32_e32 v26, 0xffff0000, v26
	v_fmac_f32_e32 v99, v54, v26
	v_lshlrev_b32_e32 v26, 16, v27
	v_fmac_f32_e32 v100, v55, v26
	s_waitcnt vmcnt(8)
	v_lshlrev_b32_e32 v26, 16, v24
	v_and_b32_e32 v24, 0xffff0000, v24
	v_fmac_f32_e32 v99, v58, v24
	v_lshlrev_b32_e32 v24, 16, v25
	v_fmac_f32_e32 v100, v59, v24
	s_waitcnt vmcnt(7)
	v_lshlrev_b32_e32 v24, 16, v22
	v_and_b32_e32 v22, 0xffff0000, v22
	v_fmac_f32_e32 v99, v62, v22
	v_lshlrev_b32_e32 v22, 16, v23
	v_fmac_f32_e32 v100, v63, v22
	v_and_b32_e32 v103, 0xffff0000, v105
	v_fmac_f32_e32 v98, v49, v102
	v_fmac_f32_e32 v101, v48, v103
	v_and_b32_e32 v29, 0xffff0000, v29
	v_fmac_f32_e32 v98, v53, v28
	v_fmac_f32_e32 v101, v52, v29
	v_and_b32_e32 v27, 0xffff0000, v27
	v_fmac_f32_e32 v98, v57, v26
	v_fmac_f32_e32 v101, v56, v27
	v_and_b32_e32 v25, 0xffff0000, v25
	v_fmac_f32_e32 v98, v61, v24
	v_fmac_f32_e32 v101, v60, v25
	v_and_b32_e32 v23, 0xffff0000, v23
	v_fmac_f32_e32 v101, v64, v23
	s_waitcnt vmcnt(6)
	v_lshlrev_b32_e32 v22, 16, v20
	v_and_b32_e32 v20, 0xffff0000, v20
	v_fmac_f32_e32 v99, v66, v20
	v_lshlrev_b32_e32 v20, 16, v21
	v_fmac_f32_e32 v100, v67, v20
	s_waitcnt vmcnt(5)
	v_lshlrev_b32_e32 v20, 16, v18
	v_and_b32_e32 v18, 0xffff0000, v18
	v_fmac_f32_e32 v99, v70, v18
	v_lshlrev_b32_e32 v18, 16, v19
	v_fmac_f32_e32 v100, v71, v18
	;; [unrolled: 6-line block ×3, first 2 shown]
	s_waitcnt vmcnt(3)
	v_lshlrev_b32_e32 v16, 16, v14
	v_and_b32_e32 v14, 0xffff0000, v14
	v_fmac_f32_e32 v98, v65, v22
	v_fmac_f32_e32 v99, v78, v14
	v_lshlrev_b32_e32 v14, 16, v15
	v_and_b32_e32 v21, 0xffff0000, v21
	v_fmac_f32_e32 v98, v69, v20
	v_fmac_f32_e32 v100, v79, v14
	s_waitcnt vmcnt(2)
	v_lshlrev_b32_e32 v14, 16, v12
	v_and_b32_e32 v12, 0xffff0000, v12
	v_fmac_f32_e32 v101, v68, v21
	v_and_b32_e32 v19, 0xffff0000, v19
	v_fmac_f32_e32 v98, v73, v18
	v_fmac_f32_e32 v99, v82, v12
	v_lshlrev_b32_e32 v12, 16, v13
	v_fmac_f32_e32 v101, v72, v19
	v_and_b32_e32 v17, 0xffff0000, v17
	v_fmac_f32_e32 v98, v77, v16
	v_fmac_f32_e32 v100, v83, v12
	s_waitcnt vmcnt(1)
	v_lshlrev_b32_e32 v12, 16, v8
	v_and_b32_e32 v8, 0xffff0000, v8
	v_fmac_f32_e32 v101, v76, v17
	v_and_b32_e32 v15, 0xffff0000, v15
	v_fmac_f32_e32 v98, v81, v14
	v_fmac_f32_e32 v99, v86, v8
	v_lshlrev_b32_e32 v8, 16, v9
	v_fmac_f32_e32 v101, v80, v15
	;; [unrolled: 12-line block ×3, first 2 shown]
	v_and_b32_e32 v7, 0xffff0000, v7
	v_fmac_f32_e32 v100, v92, v6
	v_add_f32_e32 v6, v98, v99
	v_fmac_f32_e32 v101, v93, v7
	v_add_f32_e32 v6, v6, v100
	v_add_f32_e32 v6, v101, v6
	ds_bpermute_b32 v7, v94, v6
	s_and_saveexec_b64 s[38:39], vcc
	s_cbranch_execz .LBB186_9
; %bb.11:                               ;   in Loop: Header=BB186_10 Depth=1
	v_add_u32_e32 v8, s15, v95
	v_cvt_f32_i32_e32 v8, v8
	s_waitcnt lgkmcnt(0)
	v_add_f32_e32 v6, v6, v7
	v_cmp_gt_i32_e64 s[0:1], s25, v95
	v_max_f32_e32 v7, v89, v89
	v_mul_f32_e32 v8, s41, v8
	v_cndmask_b32_e64 v8, 0, v8, s[6:7]
	v_fmac_f32_e32 v8, s11, v6
	v_cndmask_b32_e64 v6, 0, v8, s[0:1]
	ds_write_b32 v96, v6
	v_max_f32_e32 v6, v7, v8
	v_cndmask_b32_e64 v89, v89, v6, s[0:1]
	s_branch .LBB186_9
.LBB186_12:
	s_or_b64 exec, exec, s[36:37]
.LBB186_13:
	s_or_b64 exec, exec, s[34:35]
	v_xor_b32_e32 v1, 32, v33
	v_cmp_lt_i32_e32 vcc, v1, v32
	v_xor_b32_e32 v4, 16, v33
	v_max_f32_e32 v3, v89, v89
	v_cndmask_b32_e32 v1, v33, v1, vcc
	v_lshlrev_b32_e32 v2, 2, v1
	ds_bpermute_b32 v1, v2, v89
	v_cmp_lt_i32_e32 vcc, v4, v32
	v_xor_b32_e32 v5, 8, v33
	v_xor_b32_e32 v8, 2, v33
	s_waitcnt lgkmcnt(0)
	v_max_f32_e32 v1, v1, v1
	v_max_f32_e32 v1, v3, v1
	v_cndmask_b32_e32 v3, v33, v4, vcc
	v_lshlrev_b32_e32 v3, 2, v3
	ds_bpermute_b32 v4, v3, v1
	v_cmp_lt_i32_e32 vcc, v5, v32
	s_waitcnt lgkmcnt(0)
	v_max_f32_e32 v4, v4, v4
	v_max_f32_e32 v1, v1, v4
	v_cndmask_b32_e32 v4, v33, v5, vcc
	v_lshlrev_b32_e32 v6, 2, v4
	ds_bpermute_b32 v4, v6, v1
	v_xor_b32_e32 v5, 4, v33
	v_cmp_lt_i32_e32 vcc, v5, v32
	s_waitcnt lgkmcnt(0)
	v_max_f32_e32 v4, v4, v4
	v_max_f32_e32 v1, v1, v4
	v_cndmask_b32_e32 v4, v33, v5, vcc
	v_lshlrev_b32_e32 v7, 2, v4
	ds_bpermute_b32 v4, v7, v1
	v_cmp_lt_i32_e32 vcc, v8, v32
	s_waitcnt lgkmcnt(0)
	v_max_f32_e32 v4, v4, v4
	v_max_f32_e32 v5, v1, v4
	v_cndmask_b32_e32 v1, v33, v8, vcc
	v_lshlrev_b32_e32 v1, 2, v1
	ds_bpermute_b32 v9, v1, v5
	v_and_b32_e32 v4, 63, v0
	v_cmp_eq_u32_e32 vcc, 0, v4
	v_lshlrev_b32_e32 v8, 2, v31
	s_and_saveexec_b64 s[0:1], vcc
	s_cbranch_execz .LBB186_15
; %bb.14:
	s_waitcnt lgkmcnt(0)
	v_max_f32_e32 v9, v9, v9
	v_max_f32_e32 v5, v5, v5
	v_max_f32_e32 v5, v5, v9
	ds_write_b32 v8, v5 offset:240
.LBB186_15:
	s_or_b64 exec, exec, s[0:1]
	v_cmp_gt_u32_e64 s[0:1], 2, v4
	v_mov_b32_e32 v5, 0xff7fffff
	s_waitcnt lgkmcnt(0)
	v_lshlrev_b32_e32 v9, 2, v4
	s_barrier
	s_and_saveexec_b64 s[6:7], s[0:1]
	s_cbranch_execz .LBB186_17
; %bb.16:
	ds_read_b32 v5, v9 offset:240
.LBB186_17:
	s_or_b64 exec, exec, s[6:7]
	v_xor_b32_e32 v12, 1, v33
	v_cmp_lt_i32_e64 s[6:7], v12, v32
	v_mov_b32_e32 v13, 0
	s_nop 0
	v_cndmask_b32_e64 v12, v33, v12, s[6:7]
	v_lshlrev_b32_e32 v32, 2, v12
	s_waitcnt lgkmcnt(0)
	ds_bpermute_b32 v12, v32, v5
	v_max_f32_e32 v5, v5, v5
	s_sub_i32 s6, s33, s10
	s_lshl_b32 s6, s6, 5
	s_add_i32 s6, s6, s40
	s_waitcnt lgkmcnt(0)
	v_max_f32_e32 v12, v12, v12
	v_max_f32_e32 v5, v5, v12
	v_lshlrev_b32_e32 v12, 2, v33
	v_and_b32_e32 v12, 0xffffff00, v12
	ds_bpermute_b32 v5, v12, v5
	s_min_i32 s15, s6, s25
	s_sub_i32 s12, s15, s40
	v_cmp_gt_i32_e64 s[6:7], s12, v0
	s_and_saveexec_b64 s[34:35], s[6:7]
	s_cbranch_execz .LBB186_21
; %bb.18:
	v_mov_b32_e32 v13, 0x100
	v_lshl_add_u32 v14, v0, 2, v13
	s_mov_b64 s[36:37], 0
	v_mov_b32_e32 v13, 0
	v_mov_b32_e32 v15, v0
.LBB186_19:                             ; =>This Inner Loop Header: Depth=1
	ds_read_b32 v16, v14
	v_add_u32_e32 v15, 0x80, v15
	v_cmp_le_i32_e64 s[10:11], s12, v15
	s_or_b64 s[36:37], s[10:11], s[36:37]
	s_waitcnt lgkmcnt(0)
	v_sub_f32_e32 v16, v16, v5
	v_mul_f32_e32 v16, 0x3fb8aa3b, v16
	v_exp_f32_e32 v16, v16
	ds_write_b32 v14, v16
	v_add_f32_e32 v13, v13, v16
	v_add_u32_e32 v14, 0x200, v14
	s_andn2_b64 exec, exec, s[36:37]
	s_cbranch_execnz .LBB186_19
; %bb.20:
	s_or_b64 exec, exec, s[36:37]
.LBB186_21:
	s_or_b64 exec, exec, s[34:35]
	ds_bpermute_b32 v2, v2, v13
	s_waitcnt lgkmcnt(0)
	v_add_f32_e32 v2, v13, v2
	ds_bpermute_b32 v3, v3, v2
	s_waitcnt lgkmcnt(0)
	v_add_f32_e32 v2, v2, v3
	;; [unrolled: 3-line block ×6, first 2 shown]
	s_and_saveexec_b64 s[10:11], vcc
	s_cbranch_execz .LBB186_23
; %bb.22:
	ds_write_b32 v8, v2 offset:248
.LBB186_23:
	s_or_b64 exec, exec, s[10:11]
	s_waitcnt lgkmcnt(0)
	s_barrier
	s_and_saveexec_b64 s[10:11], s[0:1]
	s_cbranch_execz .LBB186_25
; %bb.24:
	ds_read_b32 v2, v9 offset:248
.LBB186_25:
	s_or_b64 exec, exec, s[10:11]
	s_waitcnt lgkmcnt(0)
	ds_bpermute_b32 v3, v32, v2
	s_waitcnt lgkmcnt(0)
	v_add_f32_e32 v2, v2, v3
	ds_bpermute_b32 v6, v12, v2
	s_and_saveexec_b64 s[0:1], s[6:7]
	s_cbranch_execz .LBB186_38
; %bb.26:
	s_waitcnt lgkmcnt(0)
	v_add_f32_e32 v2, 0x358637bd, v6
	v_div_scale_f32 v3, s[6:7], v2, v2, 1.0
	v_rcp_f32_e32 v7, v3
	v_div_scale_f32 v8, vcc, 1.0, v2, 1.0
	s_movk_i32 s6, 0x7f
	v_fma_f32 v9, -v3, v7, 1.0
	v_fmac_f32_e32 v7, v9, v7
	v_mul_f32_e32 v9, v8, v7
	v_fma_f32 v12, -v3, v9, v8
	v_fmac_f32_e32 v9, v12, v7
	v_fma_f32 v3, -v3, v9, v8
	v_div_fmas_f32 v3, v3, v7, v9
	v_div_fixup_f32 v2, v3, v2, 1.0
	v_xad_u32 v3, v0, -1, s15
	v_subrev_u32_e32 v7, s40, v3
	v_cmp_lt_u32_e32 vcc, s6, v7
	s_mov_b64 s[10:11], -1
	v_mov_b32_e32 v3, v0
	s_and_saveexec_b64 s[6:7], vcc
	s_cbranch_execz .LBB186_35
; %bb.27:
	v_lshrrev_b32_e32 v7, 7, v7
	v_add_u32_e32 v9, -1, v7
	v_lshrrev_b32_e32 v8, 1, v9
	v_mov_b32_e32 v3, v2
	v_add_u32_e32 v8, 1, v8
	v_cmp_lt_u32_e32 vcc, 13, v9
	v_mov_b32_e32 v13, 0
	s_and_saveexec_b64 s[10:11], vcc
	s_cbranch_execz .LBB186_31
; %bb.28:
	v_mov_b32_e32 v12, 0x100
	v_and_b32_e32 v9, -8, v8
	v_lshl_add_u32 v12, v0, 2, v12
	s_mov_b32 s15, 0
	s_mov_b64 s[34:35], 0
.LBB186_29:                             ; =>This Inner Loop Header: Depth=1
	ds_read2st64_b32 v[14:15], v12 offset1:2
	ds_read2st64_b32 v[16:17], v12 offset0:4 offset1:6
	ds_read2st64_b32 v[18:19], v12 offset0:8 offset1:10
	;; [unrolled: 1-line block ×3, first 2 shown]
	v_add_u32_e32 v9, -8, v9
	s_waitcnt lgkmcnt(3)
	v_pk_mul_f32 v[14:15], v[2:3], v[14:15]
	s_waitcnt lgkmcnt(2)
	v_pk_mul_f32 v[16:17], v[2:3], v[16:17]
	ds_write2st64_b32 v12, v14, v15 offset1:2
	ds_write2st64_b32 v12, v16, v17 offset0:4 offset1:6
	ds_read2st64_b32 v[16:17], v12 offset0:16 offset1:18
	s_waitcnt lgkmcnt(4)
	v_pk_mul_f32 v[14:15], v[2:3], v[18:19]
	ds_write2st64_b32 v12, v14, v15 offset0:8 offset1:10
	s_waitcnt lgkmcnt(4)
	v_pk_mul_f32 v[14:15], v[2:3], v[20:21]
	ds_write2st64_b32 v12, v14, v15 offset0:12 offset1:14
	ds_read2st64_b32 v[14:15], v12 offset0:20 offset1:22
	s_waitcnt lgkmcnt(3)
	v_pk_mul_f32 v[16:17], v[2:3], v[16:17]
	ds_read2st64_b32 v[18:19], v12 offset0:24 offset1:26
	ds_write2st64_b32 v12, v16, v17 offset0:16 offset1:18
	ds_read2st64_b32 v[16:17], v12 offset0:28 offset1:30
	s_waitcnt lgkmcnt(3)
	v_pk_mul_f32 v[14:15], v[2:3], v[14:15]
	ds_write2st64_b32 v12, v14, v15 offset0:20 offset1:22
	s_waitcnt lgkmcnt(3)
	v_pk_mul_f32 v[14:15], v[2:3], v[18:19]
	ds_write2st64_b32 v12, v14, v15 offset0:24 offset1:26
	s_waitcnt lgkmcnt(2)
	v_pk_mul_f32 v[14:15], v[2:3], v[16:17]
	s_add_i32 s15, s15, 16
	v_cmp_eq_u32_e32 vcc, 0, v9
	ds_write2st64_b32 v12, v14, v15 offset0:28 offset1:30
	v_add_u32_e32 v12, 0x2000, v12
	s_or_b64 s[34:35], vcc, s[34:35]
	v_mov_b32_e32 v13, s15
	s_andn2_b64 exec, exec, s[34:35]
	s_cbranch_execnz .LBB186_29
; %bb.30:
	s_or_b64 exec, exec, s[34:35]
.LBB186_31:
	s_or_b64 exec, exec, s[10:11]
	v_and_b32_e32 v8, 7, v8
	v_cmp_ne_u32_e32 vcc, 0, v8
	s_and_saveexec_b64 s[10:11], vcc
	s_cbranch_execz .LBB186_34
; %bb.32:
	v_lshlrev_b32_e32 v9, 9, v13
	v_lshlrev_b32_e32 v12, 2, v0
	s_movk_i32 s15, 0x100
	v_add3_u32 v9, v9, v12, s15
	s_mov_b64 s[34:35], 0
.LBB186_33:                             ; =>This Inner Loop Header: Depth=1
	ds_read2st64_b32 v[12:13], v9 offset1:2
	v_add_u32_e32 v8, -1, v8
	v_cmp_eq_u32_e32 vcc, 0, v8
	s_or_b64 s[34:35], vcc, s[34:35]
	s_waitcnt lgkmcnt(0)
	v_pk_mul_f32 v[12:13], v[2:3], v[12:13]
	ds_write2st64_b32 v9, v12, v13 offset1:2
	v_add_u32_e32 v9, 0x400, v9
	s_andn2_b64 exec, exec, s[34:35]
	s_cbranch_execnz .LBB186_33
.LBB186_34:
	s_or_b64 exec, exec, s[10:11]
	v_add_u32_e32 v7, 1, v7
	v_and_b32_e32 v8, 0x3fffffe, v7
	v_cmp_ne_u32_e32 vcc, v7, v8
	v_lshl_add_u32 v3, v8, 7, v0
	s_orn2_b64 s[10:11], vcc, exec
.LBB186_35:
	s_or_b64 exec, exec, s[6:7]
	s_and_b64 exec, exec, s[10:11]
	s_cbranch_execz .LBB186_38
; %bb.36:
	v_mov_b32_e32 v7, 0x100
	v_lshl_add_u32 v7, v3, 2, v7
	s_mov_b64 s[6:7], 0
.LBB186_37:                             ; =>This Inner Loop Header: Depth=1
	ds_read_b32 v8, v7
	v_add_u32_e32 v3, 0x80, v3
	v_cmp_le_i32_e32 vcc, s12, v3
	s_or_b64 s[6:7], vcc, s[6:7]
	s_waitcnt lgkmcnt(0)
	v_mul_f32_e32 v8, v2, v8
	ds_write_b32 v7, v8
	v_add_u32_e32 v7, 0x200, v7
	s_andn2_b64 exec, exec, s[6:7]
	s_cbranch_execnz .LBB186_37
.LBB186_38:
	s_or_b64 exec, exec, s[0:1]
	s_mul_i32 s0, s21, s24
	v_cmp_eq_u32_e32 vcc, 0, v0
	s_mul_i32 s6, s0, s5
	s_waitcnt lgkmcnt(0)
	s_barrier
	s_and_saveexec_b64 s[0:1], vcc
	s_cbranch_execz .LBB186_40
; %bb.39:
	s_ashr_i32 s7, s6, 31
	s_lshl_b64 s[10:11], s[6:7], 2
	s_add_u32 s5, s18, s10
	s_mul_i32 s18, s21, s2
	s_addc_u32 s7, s19, s11
	s_ashr_i32 s19, s18, 31
	s_lshl_b64 s[18:19], s[18:19], 2
	s_add_u32 s2, s5, s18
	s_addc_u32 s7, s7, s19
	s_ashr_i32 s5, s4, 31
	s_lshl_b64 s[34:35], s[4:5], 2
	s_add_u32 s36, s2, s34
	s_addc_u32 s37, s7, s35
	s_add_u32 s2, s16, s10
	s_addc_u32 s5, s17, s11
	;; [unrolled: 2-line block ×3, first 2 shown]
	s_add_u32 s10, s2, s34
	v_mov_b32_e32 v2, 0
	s_addc_u32 s11, s5, s35
	global_store_dword v2, v5, s[36:37]
	global_store_dword v2, v6, s[10:11]
.LBB186_40:
	s_or_b64 exec, exec, s[0:1]
	v_mov_b32_e32 v13, 0
	v_lshrrev_b32_e32 v34, 2, v4
	v_and_b32_e32 v33, 3, v0
	v_mov_b32_e32 v12, 0
	v_mov_b32_e32 v15, 0
	;; [unrolled: 1-line block ×7, first 2 shown]
	s_and_saveexec_b64 s[10:11], s[8:9]
	s_cbranch_execz .LBB186_350
; %bb.41:
	s_ashr_i32 s15, s14, 31
	s_lshl_b64 s[0:1], s[14:15], 1
	v_and_b32_e32 v3, 24, v30
	s_add_u32 s8, s30, s0
	v_or_b32_e32 v5, 0x70, v34
	s_movk_i32 s0, 0x78
	s_addc_u32 s9, s31, s1
	s_add_i32 s7, s3, -1
	v_cmp_gt_u32_e32 vcc, s0, v5
	v_lshl_or_b32 v12, v5, 5, v3
	v_lshl_add_u32 v5, v31, 5, s40
	s_lshl_b64 s[0:1], s[28:29], 2
	v_lshl_or_b32 v2, v34, 5, v3
	v_add3_u32 v35, v5, v3, 7
	v_lshlrev_b32_e32 v3, 5, v33
	s_add_u32 s0, s26, s0
	v_mov_b32_e32 v21, 0
	v_or_b32_e32 v4, 0x800, v2
	v_or_b32_e32 v6, 0xa00, v2
	;; [unrolled: 1-line block ×3, first 2 shown]
	v_lshl_or_b32 v3, v31, 7, v3
	s_addc_u32 s1, s27, s1
	s_mov_b32 s5, s13
	v_add_u32_e32 v36, 0x100, v3
	v_lshl_add_u64 v[22:23], v[10:11], 2, s[0:1]
	s_mov_b64 s[12:13], 0
	s_mov_b32 s16, 0x7f800000
	s_movk_i32 s17, 0x7fff
	v_lshlrev_b32_e32 v20, 1, v2
	v_lshlrev_b32_e32 v24, 1, v4
	;; [unrolled: 1-line block ×5, first 2 shown]
	v_mov_b32_e32 v18, v21
	v_mov_b32_e32 v19, v21
	;; [unrolled: 1-line block ×8, first 2 shown]
	s_branch .LBB186_44
.LBB186_42:                             ;   in Loop: Header=BB186_44 Depth=1
	s_or_b64 exec, exec, s[14:15]
	v_and_b32_e32 v47, 0xffff0000, v45
	v_and_b32_e32 v45, 0xffff0000, v44
	;; [unrolled: 1-line block ×8, first 2 shown]
	v_pk_add_f32 v[2:3], v[2:3], v[44:45]
	v_pk_add_f32 v[4:5], v[4:5], v[46:47]
	v_add_f32_e32 v2, v2, v3
	v_add_f32_e32 v2, v2, v4
	;; [unrolled: 1-line block ×4, first 2 shown]
.LBB186_43:                             ;   in Loop: Header=BB186_44 Depth=1
	s_or_b64 exec, exec, s[2:3]
	v_and_b32_e32 v7, 0xffff0000, v39
	v_and_b32_e32 v6, 0xffff0000, v37
	;; [unrolled: 1-line block ×8, first 2 shown]
	v_pk_add_f32 v[6:7], v[38:39], v[6:7]
	v_pk_add_f32 v[2:3], v[4:5], v[2:3]
	v_add_f32_e32 v4, v6, v7
	v_add_f32_e32 v2, v4, v2
	v_add_f32_e32 v2, v2, v3
	v_and_b32_e32 v7, 0xffff0000, v56
	v_and_b32_e32 v6, 0xffff0000, v54
	v_and_b32_e32 v39, 0xffff0000, v55
	v_and_b32_e32 v38, 0xffff0000, v53
	v_add_f32_e32 v18, v18, v2
	v_and_b32_e32 v3, 0xffff0000, v60
	v_and_b32_e32 v2, 0xffff0000, v58
	v_and_b32_e32 v5, 0xffff0000, v59
	v_and_b32_e32 v4, 0xffff0000, v57
	v_pk_add_f32 v[6:7], v[38:39], v[6:7]
	v_pk_add_f32 v[2:3], v[4:5], v[2:3]
	v_add_f32_e32 v4, v6, v7
	v_add_f32_e32 v2, v4, v2
	v_add_f32_e32 v2, v2, v3
	v_and_b32_e32 v7, 0xffff0000, v64
	v_and_b32_e32 v6, 0xffff0000, v62
	v_and_b32_e32 v39, 0xffff0000, v63
	v_and_b32_e32 v38, 0xffff0000, v61
	v_add_f32_e32 v19, v19, v2
	v_and_b32_e32 v3, 0xffff0000, v68
	v_and_b32_e32 v2, 0xffff0000, v66
	v_and_b32_e32 v5, 0xffff0000, v67
	v_and_b32_e32 v4, 0xffff0000, v65
	;; [unrolled: 14-line block ×6, first 2 shown]
	v_pk_add_f32 v[6:7], v[8:9], v[6:7]
	v_pk_add_f32 v[2:3], v[4:5], v[2:3]
	v_add_f32_e32 v4, v6, v7
	v_add_f32_e32 v2, v4, v2
	v_add_u32_e32 v10, 2, v10
	v_add_f32_e32 v2, v2, v3
	v_cmp_le_i32_e64 s[0:1], s33, v10
	v_add_f32_e32 v12, v12, v2
	v_add_u32_e32 v35, 64, v35
	v_add_u32_e32 v36, 0x100, v36
	s_or_b64 s[12:13], s[0:1], s[12:13]
	v_lshl_add_u64 v[22:23], v[22:23], 0, 8
	s_andn2_b64 exec, exec, s[12:13]
	s_cbranch_execz .LBB186_349
.LBB186_44:                             ; =>This Inner Loop Header: Depth=1
	global_load_dword v40, v[22:23], off
	ds_read2_b64 v[6:9], v36 offset1:1
	ds_read2_b64 v[2:5], v36 offset0:2 offset1:3
	s_waitcnt lgkmcnt(1)
	v_and_b32_e32 v11, 0x7f800000, v6
	v_cmp_ne_u32_e64 s[0:1], s16, v11
                                        ; implicit-def: $vgpr11
	s_and_saveexec_b64 s[2:3], s[0:1]
	s_xor_b64 s[0:1], exec, s[2:3]
; %bb.45:                               ;   in Loop: Header=BB186_44 Depth=1
	v_bfe_u32 v11, v6, 16, 1
	v_add3_u32 v11, v6, v11, s17
; %bb.46:                               ;   in Loop: Header=BB186_44 Depth=1
	s_andn2_saveexec_b64 s[2:3], s[0:1]
; %bb.47:                               ;   in Loop: Header=BB186_44 Depth=1
	v_or_b32_e32 v11, 0x10000, v6
	v_cmp_eq_u32_sdwa s[0:1], v6, v21 src0_sel:WORD_0 src1_sel:DWORD
	s_nop 1
	v_cndmask_b32_e64 v11, v11, v6, s[0:1]
; %bb.48:                               ;   in Loop: Header=BB186_44 Depth=1
	s_or_b64 exec, exec, s[2:3]
	v_and_b32_e32 v6, 0x7f800000, v7
	v_cmp_ne_u32_e64 s[0:1], s16, v6
                                        ; implicit-def: $vgpr37
	s_and_saveexec_b64 s[2:3], s[0:1]
	s_xor_b64 s[0:1], exec, s[2:3]
; %bb.49:                               ;   in Loop: Header=BB186_44 Depth=1
	v_bfe_u32 v6, v7, 16, 1
	v_add3_u32 v37, v7, v6, s17
; %bb.50:                               ;   in Loop: Header=BB186_44 Depth=1
	s_andn2_saveexec_b64 s[2:3], s[0:1]
; %bb.51:                               ;   in Loop: Header=BB186_44 Depth=1
	v_or_b32_e32 v6, 0x10000, v7
	v_cmp_eq_u32_sdwa s[0:1], v7, v21 src0_sel:WORD_0 src1_sel:DWORD
	s_nop 1
	v_cndmask_b32_e64 v37, v6, v7, s[0:1]
; %bb.52:                               ;   in Loop: Header=BB186_44 Depth=1
	s_or_b64 exec, exec, s[2:3]
	v_and_b32_e32 v6, 0x7f800000, v8
	v_cmp_ne_u32_e64 s[0:1], s16, v6
                                        ; implicit-def: $vgpr38
	s_and_saveexec_b64 s[2:3], s[0:1]
	s_xor_b64 s[0:1], exec, s[2:3]
; %bb.53:                               ;   in Loop: Header=BB186_44 Depth=1
	v_bfe_u32 v6, v8, 16, 1
	v_add3_u32 v38, v8, v6, s17
; %bb.54:                               ;   in Loop: Header=BB186_44 Depth=1
	s_andn2_saveexec_b64 s[2:3], s[0:1]
; %bb.55:                               ;   in Loop: Header=BB186_44 Depth=1
	v_or_b32_e32 v6, 0x10000, v8
	v_cmp_eq_u32_sdwa s[0:1], v8, v21 src0_sel:WORD_0 src1_sel:DWORD
	s_nop 1
	v_cndmask_b32_e64 v38, v6, v8, s[0:1]
; %bb.56:                               ;   in Loop: Header=BB186_44 Depth=1
	s_or_b64 exec, exec, s[2:3]
	v_and_b32_e32 v6, 0x7f800000, v9
	v_cmp_ne_u32_e64 s[0:1], s16, v6
                                        ; implicit-def: $vgpr39
	s_and_saveexec_b64 s[2:3], s[0:1]
	s_xor_b64 s[0:1], exec, s[2:3]
; %bb.57:                               ;   in Loop: Header=BB186_44 Depth=1
	v_bfe_u32 v6, v9, 16, 1
	v_add3_u32 v39, v9, v6, s17
                                        ; implicit-def: $vgpr6_vgpr7_vgpr8_vgpr9
; %bb.58:                               ;   in Loop: Header=BB186_44 Depth=1
	s_andn2_saveexec_b64 s[2:3], s[0:1]
; %bb.59:                               ;   in Loop: Header=BB186_44 Depth=1
	v_or_b32_e32 v6, 0x10000, v9
	v_cmp_eq_u32_sdwa s[0:1], v9, v21 src0_sel:WORD_0 src1_sel:DWORD
	s_nop 1
	v_cndmask_b32_e64 v39, v6, v9, s[0:1]
; %bb.60:                               ;   in Loop: Header=BB186_44 Depth=1
	s_or_b64 exec, exec, s[2:3]
	s_waitcnt lgkmcnt(0)
	v_and_b32_e32 v6, 0x7f800000, v2
	v_cmp_ne_u32_e64 s[0:1], s16, v6
                                        ; implicit-def: $vgpr31
	s_and_saveexec_b64 s[2:3], s[0:1]
	s_xor_b64 s[0:1], exec, s[2:3]
; %bb.61:                               ;   in Loop: Header=BB186_44 Depth=1
	v_bfe_u32 v6, v2, 16, 1
	v_add3_u32 v31, v2, v6, s17
; %bb.62:                               ;   in Loop: Header=BB186_44 Depth=1
	s_andn2_saveexec_b64 s[2:3], s[0:1]
; %bb.63:                               ;   in Loop: Header=BB186_44 Depth=1
	v_or_b32_e32 v6, 0x10000, v2
	v_cmp_eq_u32_sdwa s[0:1], v2, v21 src0_sel:WORD_0 src1_sel:DWORD
	s_nop 1
	v_cndmask_b32_e64 v31, v6, v2, s[0:1]
; %bb.64:                               ;   in Loop: Header=BB186_44 Depth=1
	s_or_b64 exec, exec, s[2:3]
	v_and_b32_e32 v2, 0x7f800000, v3
	v_cmp_ne_u32_e64 s[0:1], s16, v2
                                        ; implicit-def: $vgpr29
	s_and_saveexec_b64 s[2:3], s[0:1]
	s_xor_b64 s[0:1], exec, s[2:3]
; %bb.65:                               ;   in Loop: Header=BB186_44 Depth=1
	v_bfe_u32 v2, v3, 16, 1
	v_add3_u32 v29, v3, v2, s17
; %bb.66:                               ;   in Loop: Header=BB186_44 Depth=1
	s_andn2_saveexec_b64 s[2:3], s[0:1]
; %bb.67:                               ;   in Loop: Header=BB186_44 Depth=1
	v_or_b32_e32 v2, 0x10000, v3
	v_cmp_eq_u32_sdwa s[0:1], v3, v21 src0_sel:WORD_0 src1_sel:DWORD
	s_nop 1
	v_cndmask_b32_e64 v29, v2, v3, s[0:1]
; %bb.68:                               ;   in Loop: Header=BB186_44 Depth=1
	s_or_b64 exec, exec, s[2:3]
	v_and_b32_e32 v2, 0x7f800000, v4
	v_cmp_ne_u32_e64 s[0:1], s16, v2
                                        ; implicit-def: $vgpr27
	s_and_saveexec_b64 s[2:3], s[0:1]
	s_xor_b64 s[0:1], exec, s[2:3]
; %bb.69:                               ;   in Loop: Header=BB186_44 Depth=1
	v_bfe_u32 v2, v4, 16, 1
	v_add3_u32 v27, v4, v2, s17
; %bb.70:                               ;   in Loop: Header=BB186_44 Depth=1
	s_andn2_saveexec_b64 s[2:3], s[0:1]
; %bb.71:                               ;   in Loop: Header=BB186_44 Depth=1
	v_or_b32_e32 v2, 0x10000, v4
	v_cmp_eq_u32_sdwa s[0:1], v4, v21 src0_sel:WORD_0 src1_sel:DWORD
	s_nop 1
	v_cndmask_b32_e64 v27, v2, v4, s[0:1]
; %bb.72:                               ;   in Loop: Header=BB186_44 Depth=1
	s_or_b64 exec, exec, s[2:3]
	v_and_b32_e32 v2, 0x7f800000, v5
	v_cmp_ne_u32_e64 s[0:1], s16, v2
                                        ; implicit-def: $vgpr25
	s_and_saveexec_b64 s[2:3], s[0:1]
	s_xor_b64 s[0:1], exec, s[2:3]
; %bb.73:                               ;   in Loop: Header=BB186_44 Depth=1
	v_bfe_u32 v2, v5, 16, 1
	v_add3_u32 v25, v5, v2, s17
                                        ; implicit-def: $vgpr2_vgpr3_vgpr4_vgpr5
; %bb.74:                               ;   in Loop: Header=BB186_44 Depth=1
	s_andn2_saveexec_b64 s[2:3], s[0:1]
; %bb.75:                               ;   in Loop: Header=BB186_44 Depth=1
	v_or_b32_e32 v2, 0x10000, v5
	v_cmp_eq_u32_sdwa s[0:1], v5, v21 src0_sel:WORD_0 src1_sel:DWORD
	s_nop 1
	v_cndmask_b32_e64 v25, v2, v5, s[0:1]
; %bb.76:                               ;   in Loop: Header=BB186_44 Depth=1
	s_or_b64 exec, exec, s[2:3]
	s_waitcnt vmcnt(0)
	v_mad_i64_i32 v[2:3], s[0:1], v40, s5, 0
	v_lshl_add_u64 v[6:7], v[2:3], 1, s[8:9]
	v_lshl_add_u64 v[8:9], v[6:7], 0, v[20:21]
	global_load_dwordx4 v[2:5], v[8:9], off
	v_add_u32_e32 v44, -7, v35
	v_cmp_eq_u32_e64 s[0:1], s7, v10
	s_waitcnt vmcnt(0)
	v_lshrrev_b32_e32 v42, 16, v2
	v_lshrrev_b32_e32 v40, 16, v3
	;; [unrolled: 1-line block ×4, first 2 shown]
	s_and_saveexec_b64 s[14:15], s[0:1]
	s_cbranch_execz .LBB186_78
; %bb.77:                               ;   in Loop: Header=BB186_44 Depth=1
	v_cmp_gt_i32_e64 s[2:3], s25, v44
	v_add_u32_e32 v45, -6, v35
	s_nop 0
	v_cndmask_b32_e64 v2, 0, v2, s[2:3]
	v_cmp_gt_i32_e64 s[2:3], s25, v45
	v_add_u32_e32 v45, -5, v35
	s_nop 0
	v_cndmask_b32_e64 v42, 0, v42, s[2:3]
	;; [unrolled: 4-line block ×6, first 2 shown]
	v_cmp_gt_i32_e64 s[2:3], s25, v45
	s_nop 1
	v_cndmask_b32_e64 v5, 0, v5, s[2:3]
	v_cmp_gt_i32_e64 s[2:3], s25, v35
	s_nop 1
	v_cndmask_b32_e64 v43, 0, v43, s[2:3]
.LBB186_78:                             ;   in Loop: Header=BB186_44 Depth=1
	s_or_b64 exec, exec, s[14:15]
	v_and_b32_e32 v45, 0xffff0000, v11
	v_lshlrev_b32_e32 v2, 16, v2
	v_mul_f32_e32 v2, v45, v2
	v_and_b32_e32 v11, 0x7f800000, v2
	v_cmp_ne_u32_e64 s[2:3], s16, v11
                                        ; implicit-def: $vgpr11
	s_and_saveexec_b64 s[14:15], s[2:3]
	s_xor_b64 s[2:3], exec, s[14:15]
; %bb.79:                               ;   in Loop: Header=BB186_44 Depth=1
	v_bfe_u32 v11, v2, 16, 1
	v_add3_u32 v11, v2, v11, s17
                                        ; implicit-def: $vgpr2
; %bb.80:                               ;   in Loop: Header=BB186_44 Depth=1
	s_andn2_saveexec_b64 s[14:15], s[2:3]
; %bb.81:                               ;   in Loop: Header=BB186_44 Depth=1
	v_or_b32_e32 v11, 0x10000, v2
	v_cmp_eq_u32_sdwa s[2:3], v2, v21 src0_sel:WORD_0 src1_sel:DWORD
	s_nop 1
	v_cndmask_b32_e64 v11, v11, v2, s[2:3]
; %bb.82:                               ;   in Loop: Header=BB186_44 Depth=1
	s_or_b64 exec, exec, s[14:15]
	v_and_b32_e32 v46, 0xffff0000, v37
	v_lshlrev_b32_e32 v2, 16, v42
	v_mul_f32_e32 v2, v46, v2
	v_and_b32_e32 v37, 0x7f800000, v2
	v_cmp_ne_u32_e64 s[2:3], s16, v37
                                        ; implicit-def: $vgpr37
	s_and_saveexec_b64 s[14:15], s[2:3]
	s_xor_b64 s[2:3], exec, s[14:15]
; %bb.83:                               ;   in Loop: Header=BB186_44 Depth=1
	v_bfe_u32 v37, v2, 16, 1
	v_add3_u32 v37, v2, v37, s17
                                        ; implicit-def: $vgpr2
; %bb.84:                               ;   in Loop: Header=BB186_44 Depth=1
	s_andn2_saveexec_b64 s[14:15], s[2:3]
; %bb.85:                               ;   in Loop: Header=BB186_44 Depth=1
	v_or_b32_e32 v37, 0x10000, v2
	v_cmp_eq_u32_sdwa s[2:3], v2, v21 src0_sel:WORD_0 src1_sel:DWORD
	s_nop 1
	v_cndmask_b32_e64 v37, v37, v2, s[2:3]
; %bb.86:                               ;   in Loop: Header=BB186_44 Depth=1
	s_or_b64 exec, exec, s[14:15]
	v_and_b32_e32 v47, 0xffff0000, v38
	v_lshlrev_b32_e32 v2, 16, v3
	v_mul_f32_e32 v2, v47, v2
	v_and_b32_e32 v3, 0x7f800000, v2
	v_cmp_ne_u32_e64 s[2:3], s16, v3
                                        ; implicit-def: $vgpr38
	s_and_saveexec_b64 s[14:15], s[2:3]
	s_xor_b64 s[2:3], exec, s[14:15]
; %bb.87:                               ;   in Loop: Header=BB186_44 Depth=1
	v_bfe_u32 v3, v2, 16, 1
	v_add3_u32 v38, v2, v3, s17
                                        ; implicit-def: $vgpr2
; %bb.88:                               ;   in Loop: Header=BB186_44 Depth=1
	s_andn2_saveexec_b64 s[14:15], s[2:3]
; %bb.89:                               ;   in Loop: Header=BB186_44 Depth=1
	v_or_b32_e32 v3, 0x10000, v2
	v_cmp_eq_u32_sdwa s[2:3], v2, v21 src0_sel:WORD_0 src1_sel:DWORD
	s_nop 1
	v_cndmask_b32_e64 v38, v3, v2, s[2:3]
; %bb.90:                               ;   in Loop: Header=BB186_44 Depth=1
	s_or_b64 exec, exec, s[14:15]
	v_and_b32_e32 v48, 0xffff0000, v39
	v_lshlrev_b32_e32 v2, 16, v40
	v_mul_f32_e32 v2, v48, v2
	v_and_b32_e32 v3, 0x7f800000, v2
	v_cmp_ne_u32_e64 s[2:3], s16, v3
                                        ; implicit-def: $vgpr39
	s_and_saveexec_b64 s[14:15], s[2:3]
	s_xor_b64 s[2:3], exec, s[14:15]
; %bb.91:                               ;   in Loop: Header=BB186_44 Depth=1
	v_bfe_u32 v3, v2, 16, 1
	v_add3_u32 v39, v2, v3, s17
                                        ; implicit-def: $vgpr2
; %bb.92:                               ;   in Loop: Header=BB186_44 Depth=1
	s_andn2_saveexec_b64 s[14:15], s[2:3]
; %bb.93:                               ;   in Loop: Header=BB186_44 Depth=1
	v_or_b32_e32 v3, 0x10000, v2
	v_cmp_eq_u32_sdwa s[2:3], v2, v21 src0_sel:WORD_0 src1_sel:DWORD
	s_nop 1
	v_cndmask_b32_e64 v39, v3, v2, s[2:3]
; %bb.94:                               ;   in Loop: Header=BB186_44 Depth=1
	s_or_b64 exec, exec, s[14:15]
	v_and_b32_e32 v49, 0xffff0000, v31
	v_lshlrev_b32_e32 v2, 16, v4
	v_mul_f32_e32 v2, v49, v2
	v_and_b32_e32 v3, 0x7f800000, v2
	v_cmp_ne_u32_e64 s[2:3], s16, v3
                                        ; implicit-def: $vgpr40
	s_and_saveexec_b64 s[14:15], s[2:3]
	s_xor_b64 s[2:3], exec, s[14:15]
; %bb.95:                               ;   in Loop: Header=BB186_44 Depth=1
	v_bfe_u32 v3, v2, 16, 1
	v_add3_u32 v40, v2, v3, s17
                                        ; implicit-def: $vgpr2
; %bb.96:                               ;   in Loop: Header=BB186_44 Depth=1
	s_andn2_saveexec_b64 s[14:15], s[2:3]
; %bb.97:                               ;   in Loop: Header=BB186_44 Depth=1
	v_or_b32_e32 v3, 0x10000, v2
	v_cmp_eq_u32_sdwa s[2:3], v2, v21 src0_sel:WORD_0 src1_sel:DWORD
	s_nop 1
	v_cndmask_b32_e64 v40, v3, v2, s[2:3]
; %bb.98:                               ;   in Loop: Header=BB186_44 Depth=1
	s_or_b64 exec, exec, s[14:15]
	v_and_b32_e32 v50, 0xffff0000, v29
	v_lshlrev_b32_e32 v2, 16, v41
	v_mul_f32_e32 v2, v50, v2
	v_and_b32_e32 v3, 0x7f800000, v2
	v_cmp_ne_u32_e64 s[2:3], s16, v3
                                        ; implicit-def: $vgpr41
	s_and_saveexec_b64 s[14:15], s[2:3]
	s_xor_b64 s[2:3], exec, s[14:15]
; %bb.99:                               ;   in Loop: Header=BB186_44 Depth=1
	v_bfe_u32 v3, v2, 16, 1
	v_add3_u32 v41, v2, v3, s17
                                        ; implicit-def: $vgpr2
; %bb.100:                              ;   in Loop: Header=BB186_44 Depth=1
	s_andn2_saveexec_b64 s[14:15], s[2:3]
; %bb.101:                              ;   in Loop: Header=BB186_44 Depth=1
	v_or_b32_e32 v3, 0x10000, v2
	v_cmp_eq_u32_sdwa s[2:3], v2, v21 src0_sel:WORD_0 src1_sel:DWORD
	s_nop 1
	v_cndmask_b32_e64 v41, v3, v2, s[2:3]
; %bb.102:                              ;   in Loop: Header=BB186_44 Depth=1
	s_or_b64 exec, exec, s[14:15]
	v_and_b32_e32 v51, 0xffff0000, v27
	v_lshlrev_b32_e32 v2, 16, v5
	v_mul_f32_e32 v2, v51, v2
	v_and_b32_e32 v3, 0x7f800000, v2
	v_cmp_ne_u32_e64 s[2:3], s16, v3
                                        ; implicit-def: $vgpr42
	s_and_saveexec_b64 s[14:15], s[2:3]
	s_xor_b64 s[2:3], exec, s[14:15]
; %bb.103:                              ;   in Loop: Header=BB186_44 Depth=1
	v_bfe_u32 v3, v2, 16, 1
	v_add3_u32 v42, v2, v3, s17
                                        ; implicit-def: $vgpr2
; %bb.104:                              ;   in Loop: Header=BB186_44 Depth=1
	s_andn2_saveexec_b64 s[14:15], s[2:3]
; %bb.105:                              ;   in Loop: Header=BB186_44 Depth=1
	v_or_b32_e32 v3, 0x10000, v2
	v_cmp_eq_u32_sdwa s[2:3], v2, v21 src0_sel:WORD_0 src1_sel:DWORD
	s_nop 1
	v_cndmask_b32_e64 v42, v3, v2, s[2:3]
; %bb.106:                              ;   in Loop: Header=BB186_44 Depth=1
	s_or_b64 exec, exec, s[14:15]
	v_and_b32_e32 v52, 0xffff0000, v25
	v_lshlrev_b32_e32 v2, 16, v43
	v_mul_f32_e32 v2, v52, v2
	v_and_b32_e32 v3, 0x7f800000, v2
	v_cmp_ne_u32_e64 s[2:3], s16, v3
                                        ; implicit-def: $vgpr43
	s_and_saveexec_b64 s[14:15], s[2:3]
	s_xor_b64 s[2:3], exec, s[14:15]
; %bb.107:                              ;   in Loop: Header=BB186_44 Depth=1
	v_bfe_u32 v3, v2, 16, 1
	v_add3_u32 v43, v2, v3, s17
                                        ; implicit-def: $vgpr2
; %bb.108:                              ;   in Loop: Header=BB186_44 Depth=1
	s_andn2_saveexec_b64 s[14:15], s[2:3]
; %bb.109:                              ;   in Loop: Header=BB186_44 Depth=1
	v_or_b32_e32 v3, 0x10000, v2
	v_cmp_eq_u32_sdwa s[2:3], v2, v21 src0_sel:WORD_0 src1_sel:DWORD
	s_nop 1
	v_cndmask_b32_e64 v43, v3, v2, s[2:3]
; %bb.110:                              ;   in Loop: Header=BB186_44 Depth=1
	s_or_b64 exec, exec, s[14:15]
	global_load_dwordx4 v[2:5], v[8:9], off offset:1024
	s_waitcnt vmcnt(0)
	v_lshrrev_b32_e32 v31, 16, v2
	v_lshrrev_b32_e32 v29, 16, v3
	;; [unrolled: 1-line block ×4, first 2 shown]
	s_and_saveexec_b64 s[14:15], s[0:1]
	s_cbranch_execz .LBB186_112
; %bb.111:                              ;   in Loop: Header=BB186_44 Depth=1
	v_cmp_gt_i32_e64 s[2:3], s25, v44
	v_add_u32_e32 v53, -6, v35
	s_nop 0
	v_cndmask_b32_e64 v2, 0, v2, s[2:3]
	v_cmp_gt_i32_e64 s[2:3], s25, v53
	v_add_u32_e32 v53, -5, v35
	s_nop 0
	v_cndmask_b32_e64 v31, 0, v31, s[2:3]
	;; [unrolled: 4-line block ×6, first 2 shown]
	v_cmp_gt_i32_e64 s[2:3], s25, v53
	s_nop 1
	v_cndmask_b32_e64 v5, 0, v5, s[2:3]
	v_cmp_gt_i32_e64 s[2:3], s25, v35
	s_nop 1
	v_cndmask_b32_e64 v25, 0, v25, s[2:3]
.LBB186_112:                            ;   in Loop: Header=BB186_44 Depth=1
	s_or_b64 exec, exec, s[14:15]
	v_lshlrev_b32_e32 v2, 16, v2
	v_mul_f32_e32 v2, v45, v2
	v_and_b32_e32 v53, 0x7f800000, v2
	v_cmp_ne_u32_e64 s[2:3], s16, v53
                                        ; implicit-def: $vgpr53
	s_and_saveexec_b64 s[14:15], s[2:3]
	s_xor_b64 s[2:3], exec, s[14:15]
; %bb.113:                              ;   in Loop: Header=BB186_44 Depth=1
	v_bfe_u32 v53, v2, 16, 1
	v_add3_u32 v53, v2, v53, s17
                                        ; implicit-def: $vgpr2
; %bb.114:                              ;   in Loop: Header=BB186_44 Depth=1
	s_andn2_saveexec_b64 s[14:15], s[2:3]
; %bb.115:                              ;   in Loop: Header=BB186_44 Depth=1
	v_or_b32_e32 v53, 0x10000, v2
	v_cmp_eq_u32_sdwa s[2:3], v2, v21 src0_sel:WORD_0 src1_sel:DWORD
	s_nop 1
	v_cndmask_b32_e64 v53, v53, v2, s[2:3]
; %bb.116:                              ;   in Loop: Header=BB186_44 Depth=1
	s_or_b64 exec, exec, s[14:15]
	v_lshlrev_b32_e32 v2, 16, v31
	v_mul_f32_e32 v2, v46, v2
	v_and_b32_e32 v31, 0x7f800000, v2
	v_cmp_ne_u32_e64 s[2:3], s16, v31
                                        ; implicit-def: $vgpr54
	s_and_saveexec_b64 s[14:15], s[2:3]
	s_xor_b64 s[2:3], exec, s[14:15]
; %bb.117:                              ;   in Loop: Header=BB186_44 Depth=1
	v_bfe_u32 v31, v2, 16, 1
	v_add3_u32 v54, v2, v31, s17
                                        ; implicit-def: $vgpr2
; %bb.118:                              ;   in Loop: Header=BB186_44 Depth=1
	s_andn2_saveexec_b64 s[14:15], s[2:3]
; %bb.119:                              ;   in Loop: Header=BB186_44 Depth=1
	v_or_b32_e32 v31, 0x10000, v2
	v_cmp_eq_u32_sdwa s[2:3], v2, v21 src0_sel:WORD_0 src1_sel:DWORD
	s_nop 1
	v_cndmask_b32_e64 v54, v31, v2, s[2:3]
; %bb.120:                              ;   in Loop: Header=BB186_44 Depth=1
	s_or_b64 exec, exec, s[14:15]
	v_lshlrev_b32_e32 v2, 16, v3
	v_mul_f32_e32 v2, v47, v2
	v_and_b32_e32 v3, 0x7f800000, v2
	v_cmp_ne_u32_e64 s[2:3], s16, v3
                                        ; implicit-def: $vgpr55
	s_and_saveexec_b64 s[14:15], s[2:3]
	s_xor_b64 s[2:3], exec, s[14:15]
; %bb.121:                              ;   in Loop: Header=BB186_44 Depth=1
	v_bfe_u32 v3, v2, 16, 1
	v_add3_u32 v55, v2, v3, s17
                                        ; implicit-def: $vgpr2
; %bb.122:                              ;   in Loop: Header=BB186_44 Depth=1
	s_andn2_saveexec_b64 s[14:15], s[2:3]
; %bb.123:                              ;   in Loop: Header=BB186_44 Depth=1
	v_or_b32_e32 v3, 0x10000, v2
	v_cmp_eq_u32_sdwa s[2:3], v2, v21 src0_sel:WORD_0 src1_sel:DWORD
	s_nop 1
	v_cndmask_b32_e64 v55, v3, v2, s[2:3]
; %bb.124:                              ;   in Loop: Header=BB186_44 Depth=1
	s_or_b64 exec, exec, s[14:15]
	v_lshlrev_b32_e32 v2, 16, v29
	v_mul_f32_e32 v2, v48, v2
	v_and_b32_e32 v3, 0x7f800000, v2
	v_cmp_ne_u32_e64 s[2:3], s16, v3
                                        ; implicit-def: $vgpr56
	s_and_saveexec_b64 s[14:15], s[2:3]
	s_xor_b64 s[2:3], exec, s[14:15]
; %bb.125:                              ;   in Loop: Header=BB186_44 Depth=1
	v_bfe_u32 v3, v2, 16, 1
	v_add3_u32 v56, v2, v3, s17
                                        ; implicit-def: $vgpr2
; %bb.126:                              ;   in Loop: Header=BB186_44 Depth=1
	s_andn2_saveexec_b64 s[14:15], s[2:3]
; %bb.127:                              ;   in Loop: Header=BB186_44 Depth=1
	v_or_b32_e32 v3, 0x10000, v2
	v_cmp_eq_u32_sdwa s[2:3], v2, v21 src0_sel:WORD_0 src1_sel:DWORD
	s_nop 1
	v_cndmask_b32_e64 v56, v3, v2, s[2:3]
; %bb.128:                              ;   in Loop: Header=BB186_44 Depth=1
	s_or_b64 exec, exec, s[14:15]
	v_lshlrev_b32_e32 v2, 16, v4
	v_mul_f32_e32 v2, v49, v2
	v_and_b32_e32 v3, 0x7f800000, v2
	v_cmp_ne_u32_e64 s[2:3], s16, v3
                                        ; implicit-def: $vgpr57
	s_and_saveexec_b64 s[14:15], s[2:3]
	s_xor_b64 s[2:3], exec, s[14:15]
; %bb.129:                              ;   in Loop: Header=BB186_44 Depth=1
	v_bfe_u32 v3, v2, 16, 1
	v_add3_u32 v57, v2, v3, s17
                                        ; implicit-def: $vgpr2
; %bb.130:                              ;   in Loop: Header=BB186_44 Depth=1
	s_andn2_saveexec_b64 s[14:15], s[2:3]
; %bb.131:                              ;   in Loop: Header=BB186_44 Depth=1
	v_or_b32_e32 v3, 0x10000, v2
	v_cmp_eq_u32_sdwa s[2:3], v2, v21 src0_sel:WORD_0 src1_sel:DWORD
	s_nop 1
	v_cndmask_b32_e64 v57, v3, v2, s[2:3]
; %bb.132:                              ;   in Loop: Header=BB186_44 Depth=1
	s_or_b64 exec, exec, s[14:15]
	v_lshlrev_b32_e32 v2, 16, v27
	v_mul_f32_e32 v2, v50, v2
	v_and_b32_e32 v3, 0x7f800000, v2
	v_cmp_ne_u32_e64 s[2:3], s16, v3
                                        ; implicit-def: $vgpr58
	s_and_saveexec_b64 s[14:15], s[2:3]
	s_xor_b64 s[2:3], exec, s[14:15]
; %bb.133:                              ;   in Loop: Header=BB186_44 Depth=1
	v_bfe_u32 v3, v2, 16, 1
	v_add3_u32 v58, v2, v3, s17
                                        ; implicit-def: $vgpr2
; %bb.134:                              ;   in Loop: Header=BB186_44 Depth=1
	s_andn2_saveexec_b64 s[14:15], s[2:3]
; %bb.135:                              ;   in Loop: Header=BB186_44 Depth=1
	v_or_b32_e32 v3, 0x10000, v2
	v_cmp_eq_u32_sdwa s[2:3], v2, v21 src0_sel:WORD_0 src1_sel:DWORD
	s_nop 1
	v_cndmask_b32_e64 v58, v3, v2, s[2:3]
; %bb.136:                              ;   in Loop: Header=BB186_44 Depth=1
	s_or_b64 exec, exec, s[14:15]
	v_lshlrev_b32_e32 v2, 16, v5
	v_mul_f32_e32 v2, v51, v2
	v_and_b32_e32 v3, 0x7f800000, v2
	v_cmp_ne_u32_e64 s[2:3], s16, v3
                                        ; implicit-def: $vgpr59
	s_and_saveexec_b64 s[14:15], s[2:3]
	s_xor_b64 s[2:3], exec, s[14:15]
; %bb.137:                              ;   in Loop: Header=BB186_44 Depth=1
	v_bfe_u32 v3, v2, 16, 1
	v_add3_u32 v59, v2, v3, s17
                                        ; implicit-def: $vgpr2
; %bb.138:                              ;   in Loop: Header=BB186_44 Depth=1
	s_andn2_saveexec_b64 s[14:15], s[2:3]
; %bb.139:                              ;   in Loop: Header=BB186_44 Depth=1
	v_or_b32_e32 v3, 0x10000, v2
	v_cmp_eq_u32_sdwa s[2:3], v2, v21 src0_sel:WORD_0 src1_sel:DWORD
	s_nop 1
	v_cndmask_b32_e64 v59, v3, v2, s[2:3]
; %bb.140:                              ;   in Loop: Header=BB186_44 Depth=1
	s_or_b64 exec, exec, s[14:15]
	v_lshlrev_b32_e32 v2, 16, v25
	v_mul_f32_e32 v2, v52, v2
	v_and_b32_e32 v3, 0x7f800000, v2
	v_cmp_ne_u32_e64 s[2:3], s16, v3
                                        ; implicit-def: $vgpr60
	s_and_saveexec_b64 s[14:15], s[2:3]
	s_xor_b64 s[2:3], exec, s[14:15]
; %bb.141:                              ;   in Loop: Header=BB186_44 Depth=1
	v_bfe_u32 v3, v2, 16, 1
	v_add3_u32 v60, v2, v3, s17
                                        ; implicit-def: $vgpr2
; %bb.142:                              ;   in Loop: Header=BB186_44 Depth=1
	s_andn2_saveexec_b64 s[14:15], s[2:3]
; %bb.143:                              ;   in Loop: Header=BB186_44 Depth=1
	v_or_b32_e32 v3, 0x10000, v2
	v_cmp_eq_u32_sdwa s[2:3], v2, v21 src0_sel:WORD_0 src1_sel:DWORD
	s_nop 1
	v_cndmask_b32_e64 v60, v3, v2, s[2:3]
; %bb.144:                              ;   in Loop: Header=BB186_44 Depth=1
	s_or_b64 exec, exec, s[14:15]
	global_load_dwordx4 v[2:5], v[8:9], off offset:2048
	s_waitcnt vmcnt(0)
	v_lshrrev_b32_e32 v31, 16, v2
	v_lshrrev_b32_e32 v29, 16, v3
	;; [unrolled: 1-line block ×4, first 2 shown]
	s_and_saveexec_b64 s[14:15], s[0:1]
	s_cbranch_execz .LBB186_146
; %bb.145:                              ;   in Loop: Header=BB186_44 Depth=1
	v_cmp_gt_i32_e64 s[2:3], s25, v44
	v_add_u32_e32 v61, -6, v35
	s_nop 0
	v_cndmask_b32_e64 v2, 0, v2, s[2:3]
	v_cmp_gt_i32_e64 s[2:3], s25, v61
	v_add_u32_e32 v61, -5, v35
	s_nop 0
	v_cndmask_b32_e64 v31, 0, v31, s[2:3]
	;; [unrolled: 4-line block ×6, first 2 shown]
	v_cmp_gt_i32_e64 s[2:3], s25, v61
	s_nop 1
	v_cndmask_b32_e64 v5, 0, v5, s[2:3]
	v_cmp_gt_i32_e64 s[2:3], s25, v35
	s_nop 1
	v_cndmask_b32_e64 v25, 0, v25, s[2:3]
.LBB186_146:                            ;   in Loop: Header=BB186_44 Depth=1
	s_or_b64 exec, exec, s[14:15]
	v_lshlrev_b32_e32 v2, 16, v2
	v_mul_f32_e32 v2, v45, v2
	v_and_b32_e32 v61, 0x7f800000, v2
	v_cmp_ne_u32_e64 s[2:3], s16, v61
                                        ; implicit-def: $vgpr61
	s_and_saveexec_b64 s[14:15], s[2:3]
	s_xor_b64 s[2:3], exec, s[14:15]
; %bb.147:                              ;   in Loop: Header=BB186_44 Depth=1
	v_bfe_u32 v61, v2, 16, 1
	v_add3_u32 v61, v2, v61, s17
                                        ; implicit-def: $vgpr2
; %bb.148:                              ;   in Loop: Header=BB186_44 Depth=1
	s_andn2_saveexec_b64 s[14:15], s[2:3]
; %bb.149:                              ;   in Loop: Header=BB186_44 Depth=1
	v_or_b32_e32 v61, 0x10000, v2
	v_cmp_eq_u32_sdwa s[2:3], v2, v21 src0_sel:WORD_0 src1_sel:DWORD
	s_nop 1
	v_cndmask_b32_e64 v61, v61, v2, s[2:3]
; %bb.150:                              ;   in Loop: Header=BB186_44 Depth=1
	s_or_b64 exec, exec, s[14:15]
	v_lshlrev_b32_e32 v2, 16, v31
	v_mul_f32_e32 v2, v46, v2
	v_and_b32_e32 v31, 0x7f800000, v2
	v_cmp_ne_u32_e64 s[2:3], s16, v31
                                        ; implicit-def: $vgpr62
	s_and_saveexec_b64 s[14:15], s[2:3]
	s_xor_b64 s[2:3], exec, s[14:15]
; %bb.151:                              ;   in Loop: Header=BB186_44 Depth=1
	v_bfe_u32 v31, v2, 16, 1
	v_add3_u32 v62, v2, v31, s17
                                        ; implicit-def: $vgpr2
; %bb.152:                              ;   in Loop: Header=BB186_44 Depth=1
	s_andn2_saveexec_b64 s[14:15], s[2:3]
; %bb.153:                              ;   in Loop: Header=BB186_44 Depth=1
	v_or_b32_e32 v31, 0x10000, v2
	v_cmp_eq_u32_sdwa s[2:3], v2, v21 src0_sel:WORD_0 src1_sel:DWORD
	s_nop 1
	v_cndmask_b32_e64 v62, v31, v2, s[2:3]
; %bb.154:                              ;   in Loop: Header=BB186_44 Depth=1
	s_or_b64 exec, exec, s[14:15]
	v_lshlrev_b32_e32 v2, 16, v3
	v_mul_f32_e32 v2, v47, v2
	v_and_b32_e32 v3, 0x7f800000, v2
	v_cmp_ne_u32_e64 s[2:3], s16, v3
                                        ; implicit-def: $vgpr63
	s_and_saveexec_b64 s[14:15], s[2:3]
	s_xor_b64 s[2:3], exec, s[14:15]
; %bb.155:                              ;   in Loop: Header=BB186_44 Depth=1
	v_bfe_u32 v3, v2, 16, 1
	v_add3_u32 v63, v2, v3, s17
                                        ; implicit-def: $vgpr2
; %bb.156:                              ;   in Loop: Header=BB186_44 Depth=1
	s_andn2_saveexec_b64 s[14:15], s[2:3]
; %bb.157:                              ;   in Loop: Header=BB186_44 Depth=1
	v_or_b32_e32 v3, 0x10000, v2
	v_cmp_eq_u32_sdwa s[2:3], v2, v21 src0_sel:WORD_0 src1_sel:DWORD
	s_nop 1
	v_cndmask_b32_e64 v63, v3, v2, s[2:3]
; %bb.158:                              ;   in Loop: Header=BB186_44 Depth=1
	s_or_b64 exec, exec, s[14:15]
	v_lshlrev_b32_e32 v2, 16, v29
	v_mul_f32_e32 v2, v48, v2
	v_and_b32_e32 v3, 0x7f800000, v2
	v_cmp_ne_u32_e64 s[2:3], s16, v3
                                        ; implicit-def: $vgpr64
	s_and_saveexec_b64 s[14:15], s[2:3]
	s_xor_b64 s[2:3], exec, s[14:15]
; %bb.159:                              ;   in Loop: Header=BB186_44 Depth=1
	v_bfe_u32 v3, v2, 16, 1
	v_add3_u32 v64, v2, v3, s17
                                        ; implicit-def: $vgpr2
; %bb.160:                              ;   in Loop: Header=BB186_44 Depth=1
	s_andn2_saveexec_b64 s[14:15], s[2:3]
; %bb.161:                              ;   in Loop: Header=BB186_44 Depth=1
	v_or_b32_e32 v3, 0x10000, v2
	v_cmp_eq_u32_sdwa s[2:3], v2, v21 src0_sel:WORD_0 src1_sel:DWORD
	s_nop 1
	v_cndmask_b32_e64 v64, v3, v2, s[2:3]
; %bb.162:                              ;   in Loop: Header=BB186_44 Depth=1
	s_or_b64 exec, exec, s[14:15]
	v_lshlrev_b32_e32 v2, 16, v4
	v_mul_f32_e32 v2, v49, v2
	v_and_b32_e32 v3, 0x7f800000, v2
	v_cmp_ne_u32_e64 s[2:3], s16, v3
                                        ; implicit-def: $vgpr65
	s_and_saveexec_b64 s[14:15], s[2:3]
	s_xor_b64 s[2:3], exec, s[14:15]
; %bb.163:                              ;   in Loop: Header=BB186_44 Depth=1
	v_bfe_u32 v3, v2, 16, 1
	v_add3_u32 v65, v2, v3, s17
                                        ; implicit-def: $vgpr2
; %bb.164:                              ;   in Loop: Header=BB186_44 Depth=1
	s_andn2_saveexec_b64 s[14:15], s[2:3]
; %bb.165:                              ;   in Loop: Header=BB186_44 Depth=1
	v_or_b32_e32 v3, 0x10000, v2
	v_cmp_eq_u32_sdwa s[2:3], v2, v21 src0_sel:WORD_0 src1_sel:DWORD
	s_nop 1
	v_cndmask_b32_e64 v65, v3, v2, s[2:3]
; %bb.166:                              ;   in Loop: Header=BB186_44 Depth=1
	s_or_b64 exec, exec, s[14:15]
	v_lshlrev_b32_e32 v2, 16, v27
	v_mul_f32_e32 v2, v50, v2
	v_and_b32_e32 v3, 0x7f800000, v2
	v_cmp_ne_u32_e64 s[2:3], s16, v3
                                        ; implicit-def: $vgpr66
	s_and_saveexec_b64 s[14:15], s[2:3]
	s_xor_b64 s[2:3], exec, s[14:15]
; %bb.167:                              ;   in Loop: Header=BB186_44 Depth=1
	v_bfe_u32 v3, v2, 16, 1
	v_add3_u32 v66, v2, v3, s17
                                        ; implicit-def: $vgpr2
; %bb.168:                              ;   in Loop: Header=BB186_44 Depth=1
	s_andn2_saveexec_b64 s[14:15], s[2:3]
; %bb.169:                              ;   in Loop: Header=BB186_44 Depth=1
	v_or_b32_e32 v3, 0x10000, v2
	v_cmp_eq_u32_sdwa s[2:3], v2, v21 src0_sel:WORD_0 src1_sel:DWORD
	s_nop 1
	v_cndmask_b32_e64 v66, v3, v2, s[2:3]
; %bb.170:                              ;   in Loop: Header=BB186_44 Depth=1
	s_or_b64 exec, exec, s[14:15]
	v_lshlrev_b32_e32 v2, 16, v5
	v_mul_f32_e32 v2, v51, v2
	v_and_b32_e32 v3, 0x7f800000, v2
	v_cmp_ne_u32_e64 s[2:3], s16, v3
                                        ; implicit-def: $vgpr67
	s_and_saveexec_b64 s[14:15], s[2:3]
	s_xor_b64 s[2:3], exec, s[14:15]
; %bb.171:                              ;   in Loop: Header=BB186_44 Depth=1
	v_bfe_u32 v3, v2, 16, 1
	v_add3_u32 v67, v2, v3, s17
                                        ; implicit-def: $vgpr2
; %bb.172:                              ;   in Loop: Header=BB186_44 Depth=1
	s_andn2_saveexec_b64 s[14:15], s[2:3]
; %bb.173:                              ;   in Loop: Header=BB186_44 Depth=1
	v_or_b32_e32 v3, 0x10000, v2
	v_cmp_eq_u32_sdwa s[2:3], v2, v21 src0_sel:WORD_0 src1_sel:DWORD
	s_nop 1
	v_cndmask_b32_e64 v67, v3, v2, s[2:3]
; %bb.174:                              ;   in Loop: Header=BB186_44 Depth=1
	s_or_b64 exec, exec, s[14:15]
	v_lshlrev_b32_e32 v2, 16, v25
	v_mul_f32_e32 v2, v52, v2
	v_and_b32_e32 v3, 0x7f800000, v2
	v_cmp_ne_u32_e64 s[2:3], s16, v3
                                        ; implicit-def: $vgpr68
	s_and_saveexec_b64 s[14:15], s[2:3]
	s_xor_b64 s[2:3], exec, s[14:15]
; %bb.175:                              ;   in Loop: Header=BB186_44 Depth=1
	v_bfe_u32 v3, v2, 16, 1
	v_add3_u32 v68, v2, v3, s17
                                        ; implicit-def: $vgpr2
; %bb.176:                              ;   in Loop: Header=BB186_44 Depth=1
	s_andn2_saveexec_b64 s[14:15], s[2:3]
; %bb.177:                              ;   in Loop: Header=BB186_44 Depth=1
	v_or_b32_e32 v3, 0x10000, v2
	v_cmp_eq_u32_sdwa s[2:3], v2, v21 src0_sel:WORD_0 src1_sel:DWORD
	s_nop 1
	v_cndmask_b32_e64 v68, v3, v2, s[2:3]
; %bb.178:                              ;   in Loop: Header=BB186_44 Depth=1
	s_or_b64 exec, exec, s[14:15]
	global_load_dwordx4 v[2:5], v[8:9], off offset:3072
	s_waitcnt vmcnt(0)
	v_lshrrev_b32_e32 v9, 16, v2
	v_lshrrev_b32_e32 v29, 16, v3
	;; [unrolled: 1-line block ×4, first 2 shown]
	s_and_saveexec_b64 s[14:15], s[0:1]
	s_cbranch_execz .LBB186_180
; %bb.179:                              ;   in Loop: Header=BB186_44 Depth=1
	v_cmp_gt_i32_e64 s[2:3], s25, v44
	v_add_u32_e32 v8, -6, v35
	s_nop 0
	v_cndmask_b32_e64 v2, 0, v2, s[2:3]
	v_cmp_gt_i32_e64 s[2:3], s25, v8
	v_add_u32_e32 v8, -5, v35
	s_nop 0
	v_cndmask_b32_e64 v9, 0, v9, s[2:3]
	;; [unrolled: 4-line block ×6, first 2 shown]
	v_cmp_gt_i32_e64 s[2:3], s25, v8
	s_nop 1
	v_cndmask_b32_e64 v5, 0, v5, s[2:3]
	v_cmp_gt_i32_e64 s[2:3], s25, v35
	s_nop 1
	v_cndmask_b32_e64 v25, 0, v25, s[2:3]
.LBB186_180:                            ;   in Loop: Header=BB186_44 Depth=1
	s_or_b64 exec, exec, s[14:15]
	v_lshlrev_b32_e32 v2, 16, v2
	v_mul_f32_e32 v2, v45, v2
	v_and_b32_e32 v8, 0x7f800000, v2
	v_cmp_ne_u32_e64 s[2:3], s16, v8
                                        ; implicit-def: $vgpr8
	s_and_saveexec_b64 s[14:15], s[2:3]
	s_xor_b64 s[2:3], exec, s[14:15]
; %bb.181:                              ;   in Loop: Header=BB186_44 Depth=1
	v_bfe_u32 v8, v2, 16, 1
	v_add3_u32 v8, v2, v8, s17
                                        ; implicit-def: $vgpr2
; %bb.182:                              ;   in Loop: Header=BB186_44 Depth=1
	s_andn2_saveexec_b64 s[14:15], s[2:3]
; %bb.183:                              ;   in Loop: Header=BB186_44 Depth=1
	v_or_b32_e32 v8, 0x10000, v2
	v_cmp_eq_u32_sdwa s[2:3], v2, v21 src0_sel:WORD_0 src1_sel:DWORD
	s_nop 1
	v_cndmask_b32_e64 v8, v8, v2, s[2:3]
; %bb.184:                              ;   in Loop: Header=BB186_44 Depth=1
	s_or_b64 exec, exec, s[14:15]
	v_lshlrev_b32_e32 v2, 16, v9
	v_mul_f32_e32 v2, v46, v2
	v_and_b32_e32 v9, 0x7f800000, v2
	v_cmp_ne_u32_e64 s[2:3], s16, v9
                                        ; implicit-def: $vgpr9
	s_and_saveexec_b64 s[14:15], s[2:3]
	s_xor_b64 s[2:3], exec, s[14:15]
; %bb.185:                              ;   in Loop: Header=BB186_44 Depth=1
	v_bfe_u32 v9, v2, 16, 1
	v_add3_u32 v9, v2, v9, s17
                                        ; implicit-def: $vgpr2
; %bb.186:                              ;   in Loop: Header=BB186_44 Depth=1
	s_andn2_saveexec_b64 s[14:15], s[2:3]
; %bb.187:                              ;   in Loop: Header=BB186_44 Depth=1
	v_or_b32_e32 v9, 0x10000, v2
	v_cmp_eq_u32_sdwa s[2:3], v2, v21 src0_sel:WORD_0 src1_sel:DWORD
	s_nop 1
	v_cndmask_b32_e64 v9, v9, v2, s[2:3]
; %bb.188:                              ;   in Loop: Header=BB186_44 Depth=1
	s_or_b64 exec, exec, s[14:15]
	v_lshlrev_b32_e32 v2, 16, v3
	v_mul_f32_e32 v2, v47, v2
	v_and_b32_e32 v3, 0x7f800000, v2
	v_cmp_ne_u32_e64 s[2:3], s16, v3
                                        ; implicit-def: $vgpr69
	s_and_saveexec_b64 s[14:15], s[2:3]
	s_xor_b64 s[2:3], exec, s[14:15]
; %bb.189:                              ;   in Loop: Header=BB186_44 Depth=1
	v_bfe_u32 v3, v2, 16, 1
	v_add3_u32 v69, v2, v3, s17
                                        ; implicit-def: $vgpr2
; %bb.190:                              ;   in Loop: Header=BB186_44 Depth=1
	s_andn2_saveexec_b64 s[14:15], s[2:3]
; %bb.191:                              ;   in Loop: Header=BB186_44 Depth=1
	v_or_b32_e32 v3, 0x10000, v2
	v_cmp_eq_u32_sdwa s[2:3], v2, v21 src0_sel:WORD_0 src1_sel:DWORD
	s_nop 1
	v_cndmask_b32_e64 v69, v3, v2, s[2:3]
; %bb.192:                              ;   in Loop: Header=BB186_44 Depth=1
	s_or_b64 exec, exec, s[14:15]
	v_lshlrev_b32_e32 v2, 16, v29
	v_mul_f32_e32 v2, v48, v2
	v_and_b32_e32 v3, 0x7f800000, v2
	v_cmp_ne_u32_e64 s[2:3], s16, v3
                                        ; implicit-def: $vgpr70
	s_and_saveexec_b64 s[14:15], s[2:3]
	s_xor_b64 s[2:3], exec, s[14:15]
; %bb.193:                              ;   in Loop: Header=BB186_44 Depth=1
	v_bfe_u32 v3, v2, 16, 1
	v_add3_u32 v70, v2, v3, s17
                                        ; implicit-def: $vgpr2
; %bb.194:                              ;   in Loop: Header=BB186_44 Depth=1
	s_andn2_saveexec_b64 s[14:15], s[2:3]
; %bb.195:                              ;   in Loop: Header=BB186_44 Depth=1
	v_or_b32_e32 v3, 0x10000, v2
	v_cmp_eq_u32_sdwa s[2:3], v2, v21 src0_sel:WORD_0 src1_sel:DWORD
	s_nop 1
	v_cndmask_b32_e64 v70, v3, v2, s[2:3]
; %bb.196:                              ;   in Loop: Header=BB186_44 Depth=1
	s_or_b64 exec, exec, s[14:15]
	v_lshlrev_b32_e32 v2, 16, v4
	v_mul_f32_e32 v2, v49, v2
	v_and_b32_e32 v3, 0x7f800000, v2
	v_cmp_ne_u32_e64 s[2:3], s16, v3
                                        ; implicit-def: $vgpr71
	s_and_saveexec_b64 s[14:15], s[2:3]
	s_xor_b64 s[2:3], exec, s[14:15]
; %bb.197:                              ;   in Loop: Header=BB186_44 Depth=1
	v_bfe_u32 v3, v2, 16, 1
	v_add3_u32 v71, v2, v3, s17
                                        ; implicit-def: $vgpr2
; %bb.198:                              ;   in Loop: Header=BB186_44 Depth=1
	s_andn2_saveexec_b64 s[14:15], s[2:3]
; %bb.199:                              ;   in Loop: Header=BB186_44 Depth=1
	v_or_b32_e32 v3, 0x10000, v2
	v_cmp_eq_u32_sdwa s[2:3], v2, v21 src0_sel:WORD_0 src1_sel:DWORD
	s_nop 1
	v_cndmask_b32_e64 v71, v3, v2, s[2:3]
; %bb.200:                              ;   in Loop: Header=BB186_44 Depth=1
	s_or_b64 exec, exec, s[14:15]
	v_lshlrev_b32_e32 v2, 16, v27
	v_mul_f32_e32 v2, v50, v2
	v_and_b32_e32 v3, 0x7f800000, v2
	v_cmp_ne_u32_e64 s[2:3], s16, v3
                                        ; implicit-def: $vgpr72
	s_and_saveexec_b64 s[14:15], s[2:3]
	s_xor_b64 s[2:3], exec, s[14:15]
; %bb.201:                              ;   in Loop: Header=BB186_44 Depth=1
	v_bfe_u32 v3, v2, 16, 1
	v_add3_u32 v72, v2, v3, s17
                                        ; implicit-def: $vgpr2
; %bb.202:                              ;   in Loop: Header=BB186_44 Depth=1
	s_andn2_saveexec_b64 s[14:15], s[2:3]
; %bb.203:                              ;   in Loop: Header=BB186_44 Depth=1
	v_or_b32_e32 v3, 0x10000, v2
	v_cmp_eq_u32_sdwa s[2:3], v2, v21 src0_sel:WORD_0 src1_sel:DWORD
	s_nop 1
	v_cndmask_b32_e64 v72, v3, v2, s[2:3]
; %bb.204:                              ;   in Loop: Header=BB186_44 Depth=1
	s_or_b64 exec, exec, s[14:15]
	v_lshlrev_b32_e32 v2, 16, v5
	v_mul_f32_e32 v2, v51, v2
	v_and_b32_e32 v3, 0x7f800000, v2
	v_cmp_ne_u32_e64 s[2:3], s16, v3
                                        ; implicit-def: $vgpr73
	s_and_saveexec_b64 s[14:15], s[2:3]
	s_xor_b64 s[2:3], exec, s[14:15]
; %bb.205:                              ;   in Loop: Header=BB186_44 Depth=1
	v_bfe_u32 v3, v2, 16, 1
	v_add3_u32 v73, v2, v3, s17
                                        ; implicit-def: $vgpr2
; %bb.206:                              ;   in Loop: Header=BB186_44 Depth=1
	s_andn2_saveexec_b64 s[14:15], s[2:3]
; %bb.207:                              ;   in Loop: Header=BB186_44 Depth=1
	v_or_b32_e32 v3, 0x10000, v2
	v_cmp_eq_u32_sdwa s[2:3], v2, v21 src0_sel:WORD_0 src1_sel:DWORD
	s_nop 1
	v_cndmask_b32_e64 v73, v3, v2, s[2:3]
; %bb.208:                              ;   in Loop: Header=BB186_44 Depth=1
	s_or_b64 exec, exec, s[14:15]
	v_lshlrev_b32_e32 v2, 16, v25
	v_mul_f32_e32 v2, v52, v2
	v_and_b32_e32 v3, 0x7f800000, v2
	v_cmp_ne_u32_e64 s[2:3], s16, v3
                                        ; implicit-def: $vgpr74
	s_and_saveexec_b64 s[14:15], s[2:3]
	s_xor_b64 s[2:3], exec, s[14:15]
; %bb.209:                              ;   in Loop: Header=BB186_44 Depth=1
	v_bfe_u32 v3, v2, 16, 1
	v_add3_u32 v74, v2, v3, s17
                                        ; implicit-def: $vgpr2
; %bb.210:                              ;   in Loop: Header=BB186_44 Depth=1
	s_andn2_saveexec_b64 s[14:15], s[2:3]
; %bb.211:                              ;   in Loop: Header=BB186_44 Depth=1
	v_or_b32_e32 v3, 0x10000, v2
	v_cmp_eq_u32_sdwa s[2:3], v2, v21 src0_sel:WORD_0 src1_sel:DWORD
	s_nop 1
	v_cndmask_b32_e64 v74, v3, v2, s[2:3]
; %bb.212:                              ;   in Loop: Header=BB186_44 Depth=1
	s_or_b64 exec, exec, s[14:15]
	v_mov_b32_e32 v25, v21
	v_lshl_add_u64 v[2:3], v[6:7], 0, v[24:25]
	global_load_dwordx4 v[2:5], v[2:3], off
	s_waitcnt vmcnt(0)
	v_lshrrev_b32_e32 v75, 16, v2
	v_lshrrev_b32_e32 v31, 16, v3
	;; [unrolled: 1-line block ×4, first 2 shown]
	s_and_saveexec_b64 s[14:15], s[0:1]
	s_cbranch_execz .LBB186_214
; %bb.213:                              ;   in Loop: Header=BB186_44 Depth=1
	v_cmp_gt_i32_e64 s[2:3], s25, v44
	v_add_u32_e32 v25, -6, v35
	s_nop 0
	v_cndmask_b32_e64 v2, 0, v2, s[2:3]
	v_cmp_gt_i32_e64 s[2:3], s25, v25
	v_add_u32_e32 v25, -5, v35
	s_nop 0
	v_cndmask_b32_e64 v75, 0, v75, s[2:3]
	;; [unrolled: 4-line block ×6, first 2 shown]
	v_cmp_gt_i32_e64 s[2:3], s25, v25
	s_nop 1
	v_cndmask_b32_e64 v5, 0, v5, s[2:3]
	v_cmp_gt_i32_e64 s[2:3], s25, v35
	s_nop 1
	v_cndmask_b32_e64 v27, 0, v27, s[2:3]
.LBB186_214:                            ;   in Loop: Header=BB186_44 Depth=1
	s_or_b64 exec, exec, s[14:15]
	v_lshlrev_b32_e32 v2, 16, v2
	v_mul_f32_e32 v2, v45, v2
	v_and_b32_e32 v25, 0x7f800000, v2
	v_cmp_ne_u32_e64 s[2:3], s16, v25
                                        ; implicit-def: $vgpr25
	s_and_saveexec_b64 s[14:15], s[2:3]
	s_xor_b64 s[2:3], exec, s[14:15]
; %bb.215:                              ;   in Loop: Header=BB186_44 Depth=1
	v_bfe_u32 v25, v2, 16, 1
	v_add3_u32 v25, v2, v25, s17
                                        ; implicit-def: $vgpr2
; %bb.216:                              ;   in Loop: Header=BB186_44 Depth=1
	s_andn2_saveexec_b64 s[14:15], s[2:3]
; %bb.217:                              ;   in Loop: Header=BB186_44 Depth=1
	v_or_b32_e32 v25, 0x10000, v2
	v_cmp_eq_u32_sdwa s[2:3], v2, v21 src0_sel:WORD_0 src1_sel:DWORD
	s_nop 1
	v_cndmask_b32_e64 v25, v25, v2, s[2:3]
; %bb.218:                              ;   in Loop: Header=BB186_44 Depth=1
	s_or_b64 exec, exec, s[14:15]
	v_lshlrev_b32_e32 v2, 16, v75
	v_mul_f32_e32 v2, v46, v2
	v_and_b32_e32 v75, 0x7f800000, v2
	v_cmp_ne_u32_e64 s[2:3], s16, v75
                                        ; implicit-def: $vgpr75
	s_and_saveexec_b64 s[14:15], s[2:3]
	s_xor_b64 s[2:3], exec, s[14:15]
; %bb.219:                              ;   in Loop: Header=BB186_44 Depth=1
	v_bfe_u32 v75, v2, 16, 1
	v_add3_u32 v75, v2, v75, s17
                                        ; implicit-def: $vgpr2
; %bb.220:                              ;   in Loop: Header=BB186_44 Depth=1
	s_andn2_saveexec_b64 s[14:15], s[2:3]
; %bb.221:                              ;   in Loop: Header=BB186_44 Depth=1
	v_or_b32_e32 v75, 0x10000, v2
	v_cmp_eq_u32_sdwa s[2:3], v2, v21 src0_sel:WORD_0 src1_sel:DWORD
	s_nop 1
	v_cndmask_b32_e64 v75, v75, v2, s[2:3]
; %bb.222:                              ;   in Loop: Header=BB186_44 Depth=1
	s_or_b64 exec, exec, s[14:15]
	v_lshlrev_b32_e32 v2, 16, v3
	v_mul_f32_e32 v2, v47, v2
	v_and_b32_e32 v3, 0x7f800000, v2
	v_cmp_ne_u32_e64 s[2:3], s16, v3
                                        ; implicit-def: $vgpr76
	s_and_saveexec_b64 s[14:15], s[2:3]
	s_xor_b64 s[2:3], exec, s[14:15]
; %bb.223:                              ;   in Loop: Header=BB186_44 Depth=1
	v_bfe_u32 v3, v2, 16, 1
	v_add3_u32 v76, v2, v3, s17
                                        ; implicit-def: $vgpr2
; %bb.224:                              ;   in Loop: Header=BB186_44 Depth=1
	s_andn2_saveexec_b64 s[14:15], s[2:3]
; %bb.225:                              ;   in Loop: Header=BB186_44 Depth=1
	v_or_b32_e32 v3, 0x10000, v2
	v_cmp_eq_u32_sdwa s[2:3], v2, v21 src0_sel:WORD_0 src1_sel:DWORD
	s_nop 1
	v_cndmask_b32_e64 v76, v3, v2, s[2:3]
; %bb.226:                              ;   in Loop: Header=BB186_44 Depth=1
	s_or_b64 exec, exec, s[14:15]
	v_lshlrev_b32_e32 v2, 16, v31
	v_mul_f32_e32 v2, v48, v2
	v_and_b32_e32 v3, 0x7f800000, v2
	v_cmp_ne_u32_e64 s[2:3], s16, v3
                                        ; implicit-def: $vgpr77
	s_and_saveexec_b64 s[14:15], s[2:3]
	s_xor_b64 s[2:3], exec, s[14:15]
; %bb.227:                              ;   in Loop: Header=BB186_44 Depth=1
	v_bfe_u32 v3, v2, 16, 1
	v_add3_u32 v77, v2, v3, s17
                                        ; implicit-def: $vgpr2
; %bb.228:                              ;   in Loop: Header=BB186_44 Depth=1
	s_andn2_saveexec_b64 s[14:15], s[2:3]
; %bb.229:                              ;   in Loop: Header=BB186_44 Depth=1
	v_or_b32_e32 v3, 0x10000, v2
	v_cmp_eq_u32_sdwa s[2:3], v2, v21 src0_sel:WORD_0 src1_sel:DWORD
	s_nop 1
	v_cndmask_b32_e64 v77, v3, v2, s[2:3]
; %bb.230:                              ;   in Loop: Header=BB186_44 Depth=1
	s_or_b64 exec, exec, s[14:15]
	v_lshlrev_b32_e32 v2, 16, v4
	v_mul_f32_e32 v2, v49, v2
	v_and_b32_e32 v3, 0x7f800000, v2
	v_cmp_ne_u32_e64 s[2:3], s16, v3
                                        ; implicit-def: $vgpr78
	s_and_saveexec_b64 s[14:15], s[2:3]
	s_xor_b64 s[2:3], exec, s[14:15]
; %bb.231:                              ;   in Loop: Header=BB186_44 Depth=1
	v_bfe_u32 v3, v2, 16, 1
	v_add3_u32 v78, v2, v3, s17
                                        ; implicit-def: $vgpr2
; %bb.232:                              ;   in Loop: Header=BB186_44 Depth=1
	s_andn2_saveexec_b64 s[14:15], s[2:3]
; %bb.233:                              ;   in Loop: Header=BB186_44 Depth=1
	v_or_b32_e32 v3, 0x10000, v2
	v_cmp_eq_u32_sdwa s[2:3], v2, v21 src0_sel:WORD_0 src1_sel:DWORD
	s_nop 1
	v_cndmask_b32_e64 v78, v3, v2, s[2:3]
; %bb.234:                              ;   in Loop: Header=BB186_44 Depth=1
	s_or_b64 exec, exec, s[14:15]
	v_lshlrev_b32_e32 v2, 16, v29
	v_mul_f32_e32 v2, v50, v2
	v_and_b32_e32 v3, 0x7f800000, v2
	v_cmp_ne_u32_e64 s[2:3], s16, v3
                                        ; implicit-def: $vgpr79
	s_and_saveexec_b64 s[14:15], s[2:3]
	s_xor_b64 s[2:3], exec, s[14:15]
; %bb.235:                              ;   in Loop: Header=BB186_44 Depth=1
	v_bfe_u32 v3, v2, 16, 1
	v_add3_u32 v79, v2, v3, s17
                                        ; implicit-def: $vgpr2
; %bb.236:                              ;   in Loop: Header=BB186_44 Depth=1
	s_andn2_saveexec_b64 s[14:15], s[2:3]
; %bb.237:                              ;   in Loop: Header=BB186_44 Depth=1
	v_or_b32_e32 v3, 0x10000, v2
	v_cmp_eq_u32_sdwa s[2:3], v2, v21 src0_sel:WORD_0 src1_sel:DWORD
	s_nop 1
	v_cndmask_b32_e64 v79, v3, v2, s[2:3]
; %bb.238:                              ;   in Loop: Header=BB186_44 Depth=1
	s_or_b64 exec, exec, s[14:15]
	v_lshlrev_b32_e32 v2, 16, v5
	v_mul_f32_e32 v2, v51, v2
	v_and_b32_e32 v3, 0x7f800000, v2
	v_cmp_ne_u32_e64 s[2:3], s16, v3
                                        ; implicit-def: $vgpr80
	s_and_saveexec_b64 s[14:15], s[2:3]
	s_xor_b64 s[2:3], exec, s[14:15]
; %bb.239:                              ;   in Loop: Header=BB186_44 Depth=1
	v_bfe_u32 v3, v2, 16, 1
	v_add3_u32 v80, v2, v3, s17
                                        ; implicit-def: $vgpr2
; %bb.240:                              ;   in Loop: Header=BB186_44 Depth=1
	s_andn2_saveexec_b64 s[14:15], s[2:3]
; %bb.241:                              ;   in Loop: Header=BB186_44 Depth=1
	v_or_b32_e32 v3, 0x10000, v2
	v_cmp_eq_u32_sdwa s[2:3], v2, v21 src0_sel:WORD_0 src1_sel:DWORD
	s_nop 1
	v_cndmask_b32_e64 v80, v3, v2, s[2:3]
; %bb.242:                              ;   in Loop: Header=BB186_44 Depth=1
	s_or_b64 exec, exec, s[14:15]
	v_lshlrev_b32_e32 v2, 16, v27
	v_mul_f32_e32 v2, v52, v2
	v_and_b32_e32 v3, 0x7f800000, v2
	v_cmp_ne_u32_e64 s[2:3], s16, v3
                                        ; implicit-def: $vgpr81
	s_and_saveexec_b64 s[14:15], s[2:3]
	s_xor_b64 s[2:3], exec, s[14:15]
; %bb.243:                              ;   in Loop: Header=BB186_44 Depth=1
	v_bfe_u32 v3, v2, 16, 1
	v_add3_u32 v81, v2, v3, s17
                                        ; implicit-def: $vgpr2
; %bb.244:                              ;   in Loop: Header=BB186_44 Depth=1
	s_andn2_saveexec_b64 s[14:15], s[2:3]
; %bb.245:                              ;   in Loop: Header=BB186_44 Depth=1
	v_or_b32_e32 v3, 0x10000, v2
	v_cmp_eq_u32_sdwa s[2:3], v2, v21 src0_sel:WORD_0 src1_sel:DWORD
	s_nop 1
	v_cndmask_b32_e64 v81, v3, v2, s[2:3]
; %bb.246:                              ;   in Loop: Header=BB186_44 Depth=1
	s_or_b64 exec, exec, s[14:15]
	v_mov_b32_e32 v27, v21
	v_lshl_add_u64 v[2:3], v[6:7], 0, v[26:27]
	global_load_dwordx4 v[2:5], v[2:3], off
	s_waitcnt vmcnt(0)
	v_lshrrev_b32_e32 v82, 16, v2
	v_lshrrev_b32_e32 v84, 16, v3
	v_lshrrev_b32_e32 v31, 16, v4
	v_lshrrev_b32_e32 v29, 16, v5
	s_and_saveexec_b64 s[14:15], s[0:1]
	s_cbranch_execz .LBB186_248
; %bb.247:                              ;   in Loop: Header=BB186_44 Depth=1
	v_cmp_gt_i32_e64 s[2:3], s25, v44
	v_add_u32_e32 v27, -6, v35
	s_nop 0
	v_cndmask_b32_e64 v2, 0, v2, s[2:3]
	v_cmp_gt_i32_e64 s[2:3], s25, v27
	v_add_u32_e32 v27, -5, v35
	s_nop 0
	v_cndmask_b32_e64 v82, 0, v82, s[2:3]
	;; [unrolled: 4-line block ×6, first 2 shown]
	v_cmp_gt_i32_e64 s[2:3], s25, v27
	s_nop 1
	v_cndmask_b32_e64 v5, 0, v5, s[2:3]
	v_cmp_gt_i32_e64 s[2:3], s25, v35
	s_nop 1
	v_cndmask_b32_e64 v29, 0, v29, s[2:3]
.LBB186_248:                            ;   in Loop: Header=BB186_44 Depth=1
	s_or_b64 exec, exec, s[14:15]
	v_lshlrev_b32_e32 v2, 16, v2
	v_mul_f32_e32 v2, v45, v2
	v_and_b32_e32 v27, 0x7f800000, v2
	v_cmp_ne_u32_e64 s[2:3], s16, v27
                                        ; implicit-def: $vgpr27
	s_and_saveexec_b64 s[14:15], s[2:3]
	s_xor_b64 s[2:3], exec, s[14:15]
; %bb.249:                              ;   in Loop: Header=BB186_44 Depth=1
	v_bfe_u32 v27, v2, 16, 1
	v_add3_u32 v27, v2, v27, s17
                                        ; implicit-def: $vgpr2
; %bb.250:                              ;   in Loop: Header=BB186_44 Depth=1
	s_andn2_saveexec_b64 s[14:15], s[2:3]
; %bb.251:                              ;   in Loop: Header=BB186_44 Depth=1
	v_or_b32_e32 v27, 0x10000, v2
	v_cmp_eq_u32_sdwa s[2:3], v2, v21 src0_sel:WORD_0 src1_sel:DWORD
	s_nop 1
	v_cndmask_b32_e64 v27, v27, v2, s[2:3]
; %bb.252:                              ;   in Loop: Header=BB186_44 Depth=1
	s_or_b64 exec, exec, s[14:15]
	v_lshlrev_b32_e32 v2, 16, v82
	v_mul_f32_e32 v2, v46, v2
	v_and_b32_e32 v82, 0x7f800000, v2
	v_cmp_ne_u32_e64 s[2:3], s16, v82
                                        ; implicit-def: $vgpr82
	s_and_saveexec_b64 s[14:15], s[2:3]
	s_xor_b64 s[2:3], exec, s[14:15]
; %bb.253:                              ;   in Loop: Header=BB186_44 Depth=1
	v_bfe_u32 v82, v2, 16, 1
	v_add3_u32 v82, v2, v82, s17
                                        ; implicit-def: $vgpr2
; %bb.254:                              ;   in Loop: Header=BB186_44 Depth=1
	s_andn2_saveexec_b64 s[14:15], s[2:3]
; %bb.255:                              ;   in Loop: Header=BB186_44 Depth=1
	v_or_b32_e32 v82, 0x10000, v2
	v_cmp_eq_u32_sdwa s[2:3], v2, v21 src0_sel:WORD_0 src1_sel:DWORD
	s_nop 1
	v_cndmask_b32_e64 v82, v82, v2, s[2:3]
; %bb.256:                              ;   in Loop: Header=BB186_44 Depth=1
	s_or_b64 exec, exec, s[14:15]
	v_lshlrev_b32_e32 v2, 16, v3
	v_mul_f32_e32 v2, v47, v2
	v_and_b32_e32 v3, 0x7f800000, v2
	v_cmp_ne_u32_e64 s[2:3], s16, v3
                                        ; implicit-def: $vgpr83
	s_and_saveexec_b64 s[14:15], s[2:3]
	s_xor_b64 s[2:3], exec, s[14:15]
; %bb.257:                              ;   in Loop: Header=BB186_44 Depth=1
	v_bfe_u32 v3, v2, 16, 1
	v_add3_u32 v83, v2, v3, s17
                                        ; implicit-def: $vgpr2
; %bb.258:                              ;   in Loop: Header=BB186_44 Depth=1
	s_andn2_saveexec_b64 s[14:15], s[2:3]
; %bb.259:                              ;   in Loop: Header=BB186_44 Depth=1
	v_or_b32_e32 v3, 0x10000, v2
	v_cmp_eq_u32_sdwa s[2:3], v2, v21 src0_sel:WORD_0 src1_sel:DWORD
	s_nop 1
	v_cndmask_b32_e64 v83, v3, v2, s[2:3]
; %bb.260:                              ;   in Loop: Header=BB186_44 Depth=1
	s_or_b64 exec, exec, s[14:15]
	v_lshlrev_b32_e32 v2, 16, v84
	v_mul_f32_e32 v2, v48, v2
	v_and_b32_e32 v3, 0x7f800000, v2
	v_cmp_ne_u32_e64 s[2:3], s16, v3
                                        ; implicit-def: $vgpr84
	s_and_saveexec_b64 s[14:15], s[2:3]
	s_xor_b64 s[2:3], exec, s[14:15]
; %bb.261:                              ;   in Loop: Header=BB186_44 Depth=1
	v_bfe_u32 v3, v2, 16, 1
	v_add3_u32 v84, v2, v3, s17
                                        ; implicit-def: $vgpr2
; %bb.262:                              ;   in Loop: Header=BB186_44 Depth=1
	s_andn2_saveexec_b64 s[14:15], s[2:3]
; %bb.263:                              ;   in Loop: Header=BB186_44 Depth=1
	v_or_b32_e32 v3, 0x10000, v2
	v_cmp_eq_u32_sdwa s[2:3], v2, v21 src0_sel:WORD_0 src1_sel:DWORD
	s_nop 1
	v_cndmask_b32_e64 v84, v3, v2, s[2:3]
; %bb.264:                              ;   in Loop: Header=BB186_44 Depth=1
	s_or_b64 exec, exec, s[14:15]
	v_lshlrev_b32_e32 v2, 16, v4
	v_mul_f32_e32 v2, v49, v2
	v_and_b32_e32 v3, 0x7f800000, v2
	v_cmp_ne_u32_e64 s[2:3], s16, v3
                                        ; implicit-def: $vgpr85
	s_and_saveexec_b64 s[14:15], s[2:3]
	s_xor_b64 s[2:3], exec, s[14:15]
; %bb.265:                              ;   in Loop: Header=BB186_44 Depth=1
	v_bfe_u32 v3, v2, 16, 1
	v_add3_u32 v85, v2, v3, s17
                                        ; implicit-def: $vgpr2
; %bb.266:                              ;   in Loop: Header=BB186_44 Depth=1
	s_andn2_saveexec_b64 s[14:15], s[2:3]
; %bb.267:                              ;   in Loop: Header=BB186_44 Depth=1
	v_or_b32_e32 v3, 0x10000, v2
	v_cmp_eq_u32_sdwa s[2:3], v2, v21 src0_sel:WORD_0 src1_sel:DWORD
	s_nop 1
	v_cndmask_b32_e64 v85, v3, v2, s[2:3]
; %bb.268:                              ;   in Loop: Header=BB186_44 Depth=1
	s_or_b64 exec, exec, s[14:15]
	v_lshlrev_b32_e32 v2, 16, v31
	v_mul_f32_e32 v2, v50, v2
	v_and_b32_e32 v3, 0x7f800000, v2
	v_cmp_ne_u32_e64 s[2:3], s16, v3
                                        ; implicit-def: $vgpr86
	s_and_saveexec_b64 s[14:15], s[2:3]
	s_xor_b64 s[2:3], exec, s[14:15]
; %bb.269:                              ;   in Loop: Header=BB186_44 Depth=1
	v_bfe_u32 v3, v2, 16, 1
	v_add3_u32 v86, v2, v3, s17
                                        ; implicit-def: $vgpr2
; %bb.270:                              ;   in Loop: Header=BB186_44 Depth=1
	s_andn2_saveexec_b64 s[14:15], s[2:3]
; %bb.271:                              ;   in Loop: Header=BB186_44 Depth=1
	v_or_b32_e32 v3, 0x10000, v2
	v_cmp_eq_u32_sdwa s[2:3], v2, v21 src0_sel:WORD_0 src1_sel:DWORD
	s_nop 1
	v_cndmask_b32_e64 v86, v3, v2, s[2:3]
; %bb.272:                              ;   in Loop: Header=BB186_44 Depth=1
	s_or_b64 exec, exec, s[14:15]
	v_lshlrev_b32_e32 v2, 16, v5
	v_mul_f32_e32 v2, v51, v2
	v_and_b32_e32 v3, 0x7f800000, v2
	v_cmp_ne_u32_e64 s[2:3], s16, v3
                                        ; implicit-def: $vgpr87
	s_and_saveexec_b64 s[14:15], s[2:3]
	s_xor_b64 s[2:3], exec, s[14:15]
; %bb.273:                              ;   in Loop: Header=BB186_44 Depth=1
	v_bfe_u32 v3, v2, 16, 1
	v_add3_u32 v87, v2, v3, s17
                                        ; implicit-def: $vgpr2
; %bb.274:                              ;   in Loop: Header=BB186_44 Depth=1
	s_andn2_saveexec_b64 s[14:15], s[2:3]
; %bb.275:                              ;   in Loop: Header=BB186_44 Depth=1
	v_or_b32_e32 v3, 0x10000, v2
	v_cmp_eq_u32_sdwa s[2:3], v2, v21 src0_sel:WORD_0 src1_sel:DWORD
	s_nop 1
	v_cndmask_b32_e64 v87, v3, v2, s[2:3]
; %bb.276:                              ;   in Loop: Header=BB186_44 Depth=1
	s_or_b64 exec, exec, s[14:15]
	v_lshlrev_b32_e32 v2, 16, v29
	v_mul_f32_e32 v2, v52, v2
	v_and_b32_e32 v3, 0x7f800000, v2
	v_cmp_ne_u32_e64 s[2:3], s16, v3
                                        ; implicit-def: $vgpr88
	s_and_saveexec_b64 s[14:15], s[2:3]
	s_xor_b64 s[2:3], exec, s[14:15]
; %bb.277:                              ;   in Loop: Header=BB186_44 Depth=1
	v_bfe_u32 v3, v2, 16, 1
	v_add3_u32 v88, v2, v3, s17
                                        ; implicit-def: $vgpr2
; %bb.278:                              ;   in Loop: Header=BB186_44 Depth=1
	s_andn2_saveexec_b64 s[14:15], s[2:3]
; %bb.279:                              ;   in Loop: Header=BB186_44 Depth=1
	v_or_b32_e32 v3, 0x10000, v2
	v_cmp_eq_u32_sdwa s[2:3], v2, v21 src0_sel:WORD_0 src1_sel:DWORD
	s_nop 1
	v_cndmask_b32_e64 v88, v3, v2, s[2:3]
; %bb.280:                              ;   in Loop: Header=BB186_44 Depth=1
	s_or_b64 exec, exec, s[14:15]
	v_mov_b32_e32 v29, v21
	v_lshl_add_u64 v[2:3], v[6:7], 0, v[28:29]
	global_load_dwordx4 v[2:5], v[2:3], off
	s_waitcnt vmcnt(0)
	v_lshrrev_b32_e32 v89, 16, v2
	v_lshrrev_b32_e32 v91, 16, v3
	;; [unrolled: 1-line block ×4, first 2 shown]
	s_and_saveexec_b64 s[14:15], s[0:1]
	s_cbranch_execz .LBB186_282
; %bb.281:                              ;   in Loop: Header=BB186_44 Depth=1
	v_cmp_gt_i32_e64 s[2:3], s25, v44
	v_add_u32_e32 v29, -6, v35
	s_nop 0
	v_cndmask_b32_e64 v2, 0, v2, s[2:3]
	v_cmp_gt_i32_e64 s[2:3], s25, v29
	v_add_u32_e32 v29, -5, v35
	s_nop 0
	v_cndmask_b32_e64 v89, 0, v89, s[2:3]
	v_cmp_gt_i32_e64 s[2:3], s25, v29
	v_add_u32_e32 v29, -4, v35
	s_nop 0
	v_cndmask_b32_e64 v3, 0, v3, s[2:3]
	v_cmp_gt_i32_e64 s[2:3], s25, v29
	v_add_u32_e32 v29, -3, v35
	s_nop 0
	v_cndmask_b32_e64 v91, 0, v91, s[2:3]
	v_cmp_gt_i32_e64 s[2:3], s25, v29
	v_add_u32_e32 v29, -2, v35
	s_nop 0
	v_cndmask_b32_e64 v4, 0, v4, s[2:3]
	v_cmp_gt_i32_e64 s[2:3], s25, v29
	v_add_u32_e32 v29, -1, v35
	s_nop 0
	v_cndmask_b32_e64 v93, 0, v93, s[2:3]
	v_cmp_gt_i32_e64 s[2:3], s25, v29
	s_nop 1
	v_cndmask_b32_e64 v5, 0, v5, s[2:3]
	v_cmp_gt_i32_e64 s[2:3], s25, v35
	s_nop 1
	v_cndmask_b32_e64 v31, 0, v31, s[2:3]
.LBB186_282:                            ;   in Loop: Header=BB186_44 Depth=1
	s_or_b64 exec, exec, s[14:15]
	v_lshlrev_b32_e32 v2, 16, v2
	v_mul_f32_e32 v2, v45, v2
	v_and_b32_e32 v29, 0x7f800000, v2
	v_cmp_ne_u32_e64 s[2:3], s16, v29
                                        ; implicit-def: $vgpr29
	s_and_saveexec_b64 s[14:15], s[2:3]
	s_xor_b64 s[2:3], exec, s[14:15]
; %bb.283:                              ;   in Loop: Header=BB186_44 Depth=1
	v_bfe_u32 v29, v2, 16, 1
	v_add3_u32 v29, v2, v29, s17
                                        ; implicit-def: $vgpr2
; %bb.284:                              ;   in Loop: Header=BB186_44 Depth=1
	s_andn2_saveexec_b64 s[14:15], s[2:3]
; %bb.285:                              ;   in Loop: Header=BB186_44 Depth=1
	v_or_b32_e32 v29, 0x10000, v2
	v_cmp_eq_u32_sdwa s[2:3], v2, v21 src0_sel:WORD_0 src1_sel:DWORD
	s_nop 1
	v_cndmask_b32_e64 v29, v29, v2, s[2:3]
; %bb.286:                              ;   in Loop: Header=BB186_44 Depth=1
	s_or_b64 exec, exec, s[14:15]
	v_lshlrev_b32_e32 v2, 16, v89
	v_mul_f32_e32 v2, v46, v2
	v_and_b32_e32 v89, 0x7f800000, v2
	v_cmp_ne_u32_e64 s[2:3], s16, v89
                                        ; implicit-def: $vgpr89
	s_and_saveexec_b64 s[14:15], s[2:3]
	s_xor_b64 s[2:3], exec, s[14:15]
; %bb.287:                              ;   in Loop: Header=BB186_44 Depth=1
	v_bfe_u32 v89, v2, 16, 1
	v_add3_u32 v89, v2, v89, s17
                                        ; implicit-def: $vgpr2
; %bb.288:                              ;   in Loop: Header=BB186_44 Depth=1
	s_andn2_saveexec_b64 s[14:15], s[2:3]
; %bb.289:                              ;   in Loop: Header=BB186_44 Depth=1
	v_or_b32_e32 v89, 0x10000, v2
	v_cmp_eq_u32_sdwa s[2:3], v2, v21 src0_sel:WORD_0 src1_sel:DWORD
	s_nop 1
	v_cndmask_b32_e64 v89, v89, v2, s[2:3]
; %bb.290:                              ;   in Loop: Header=BB186_44 Depth=1
	s_or_b64 exec, exec, s[14:15]
	v_lshlrev_b32_e32 v2, 16, v3
	v_mul_f32_e32 v2, v47, v2
	v_and_b32_e32 v3, 0x7f800000, v2
	v_cmp_ne_u32_e64 s[2:3], s16, v3
                                        ; implicit-def: $vgpr90
	s_and_saveexec_b64 s[14:15], s[2:3]
	s_xor_b64 s[2:3], exec, s[14:15]
; %bb.291:                              ;   in Loop: Header=BB186_44 Depth=1
	v_bfe_u32 v3, v2, 16, 1
	v_add3_u32 v90, v2, v3, s17
                                        ; implicit-def: $vgpr2
; %bb.292:                              ;   in Loop: Header=BB186_44 Depth=1
	s_andn2_saveexec_b64 s[14:15], s[2:3]
; %bb.293:                              ;   in Loop: Header=BB186_44 Depth=1
	v_or_b32_e32 v3, 0x10000, v2
	v_cmp_eq_u32_sdwa s[2:3], v2, v21 src0_sel:WORD_0 src1_sel:DWORD
	s_nop 1
	v_cndmask_b32_e64 v90, v3, v2, s[2:3]
; %bb.294:                              ;   in Loop: Header=BB186_44 Depth=1
	s_or_b64 exec, exec, s[14:15]
	v_lshlrev_b32_e32 v2, 16, v91
	v_mul_f32_e32 v2, v48, v2
	v_and_b32_e32 v3, 0x7f800000, v2
	v_cmp_ne_u32_e64 s[2:3], s16, v3
                                        ; implicit-def: $vgpr91
	s_and_saveexec_b64 s[14:15], s[2:3]
	s_xor_b64 s[2:3], exec, s[14:15]
; %bb.295:                              ;   in Loop: Header=BB186_44 Depth=1
	v_bfe_u32 v3, v2, 16, 1
	v_add3_u32 v91, v2, v3, s17
                                        ; implicit-def: $vgpr2
; %bb.296:                              ;   in Loop: Header=BB186_44 Depth=1
	s_andn2_saveexec_b64 s[14:15], s[2:3]
; %bb.297:                              ;   in Loop: Header=BB186_44 Depth=1
	v_or_b32_e32 v3, 0x10000, v2
	v_cmp_eq_u32_sdwa s[2:3], v2, v21 src0_sel:WORD_0 src1_sel:DWORD
	s_nop 1
	v_cndmask_b32_e64 v91, v3, v2, s[2:3]
; %bb.298:                              ;   in Loop: Header=BB186_44 Depth=1
	s_or_b64 exec, exec, s[14:15]
	v_lshlrev_b32_e32 v2, 16, v4
	v_mul_f32_e32 v2, v49, v2
	v_and_b32_e32 v3, 0x7f800000, v2
	v_cmp_ne_u32_e64 s[2:3], s16, v3
                                        ; implicit-def: $vgpr92
	s_and_saveexec_b64 s[14:15], s[2:3]
	s_xor_b64 s[2:3], exec, s[14:15]
; %bb.299:                              ;   in Loop: Header=BB186_44 Depth=1
	v_bfe_u32 v3, v2, 16, 1
	v_add3_u32 v92, v2, v3, s17
                                        ; implicit-def: $vgpr2
; %bb.300:                              ;   in Loop: Header=BB186_44 Depth=1
	s_andn2_saveexec_b64 s[14:15], s[2:3]
; %bb.301:                              ;   in Loop: Header=BB186_44 Depth=1
	v_or_b32_e32 v3, 0x10000, v2
	v_cmp_eq_u32_sdwa s[2:3], v2, v21 src0_sel:WORD_0 src1_sel:DWORD
	s_nop 1
	v_cndmask_b32_e64 v92, v3, v2, s[2:3]
; %bb.302:                              ;   in Loop: Header=BB186_44 Depth=1
	s_or_b64 exec, exec, s[14:15]
	v_lshlrev_b32_e32 v2, 16, v93
	v_mul_f32_e32 v2, v50, v2
	v_and_b32_e32 v3, 0x7f800000, v2
	v_cmp_ne_u32_e64 s[2:3], s16, v3
                                        ; implicit-def: $vgpr93
	s_and_saveexec_b64 s[14:15], s[2:3]
	s_xor_b64 s[2:3], exec, s[14:15]
; %bb.303:                              ;   in Loop: Header=BB186_44 Depth=1
	v_bfe_u32 v3, v2, 16, 1
	v_add3_u32 v93, v2, v3, s17
                                        ; implicit-def: $vgpr2
; %bb.304:                              ;   in Loop: Header=BB186_44 Depth=1
	s_andn2_saveexec_b64 s[14:15], s[2:3]
; %bb.305:                              ;   in Loop: Header=BB186_44 Depth=1
	v_or_b32_e32 v3, 0x10000, v2
	v_cmp_eq_u32_sdwa s[2:3], v2, v21 src0_sel:WORD_0 src1_sel:DWORD
	s_nop 1
	v_cndmask_b32_e64 v93, v3, v2, s[2:3]
; %bb.306:                              ;   in Loop: Header=BB186_44 Depth=1
	s_or_b64 exec, exec, s[14:15]
	v_lshlrev_b32_e32 v2, 16, v5
	v_mul_f32_e32 v2, v51, v2
	v_and_b32_e32 v3, 0x7f800000, v2
	v_cmp_ne_u32_e64 s[2:3], s16, v3
                                        ; implicit-def: $vgpr94
	s_and_saveexec_b64 s[14:15], s[2:3]
	s_xor_b64 s[2:3], exec, s[14:15]
; %bb.307:                              ;   in Loop: Header=BB186_44 Depth=1
	v_bfe_u32 v3, v2, 16, 1
	v_add3_u32 v94, v2, v3, s17
                                        ; implicit-def: $vgpr2
; %bb.308:                              ;   in Loop: Header=BB186_44 Depth=1
	s_andn2_saveexec_b64 s[14:15], s[2:3]
; %bb.309:                              ;   in Loop: Header=BB186_44 Depth=1
	v_or_b32_e32 v3, 0x10000, v2
	v_cmp_eq_u32_sdwa s[2:3], v2, v21 src0_sel:WORD_0 src1_sel:DWORD
	s_nop 1
	v_cndmask_b32_e64 v94, v3, v2, s[2:3]
; %bb.310:                              ;   in Loop: Header=BB186_44 Depth=1
	s_or_b64 exec, exec, s[14:15]
	v_lshlrev_b32_e32 v2, 16, v31
	v_mul_f32_e32 v2, v52, v2
	v_and_b32_e32 v3, 0x7f800000, v2
	v_cmp_ne_u32_e64 s[2:3], s16, v3
                                        ; implicit-def: $vgpr95
	s_and_saveexec_b64 s[14:15], s[2:3]
	s_xor_b64 s[2:3], exec, s[14:15]
	s_cbranch_execnz .LBB186_313
; %bb.311:                              ;   in Loop: Header=BB186_44 Depth=1
	s_andn2_saveexec_b64 s[14:15], s[2:3]
	s_cbranch_execnz .LBB186_314
.LBB186_312:                            ;   in Loop: Header=BB186_44 Depth=1
	s_or_b64 exec, exec, s[14:15]
	s_and_saveexec_b64 s[2:3], vcc
	s_cbranch_execz .LBB186_43
	s_branch .LBB186_315
.LBB186_313:                            ;   in Loop: Header=BB186_44 Depth=1
	v_bfe_u32 v3, v2, 16, 1
	v_add3_u32 v95, v2, v3, s17
                                        ; implicit-def: $vgpr2
	s_andn2_saveexec_b64 s[14:15], s[2:3]
	s_cbranch_execz .LBB186_312
.LBB186_314:                            ;   in Loop: Header=BB186_44 Depth=1
	v_or_b32_e32 v3, 0x10000, v2
	v_cmp_eq_u32_sdwa s[2:3], v2, v21 src0_sel:WORD_0 src1_sel:DWORD
	s_nop 1
	v_cndmask_b32_e64 v95, v3, v2, s[2:3]
	s_or_b64 exec, exec, s[14:15]
	s_and_saveexec_b64 s[2:3], vcc
	s_cbranch_execz .LBB186_43
.LBB186_315:                            ;   in Loop: Header=BB186_44 Depth=1
	v_mov_b32_e32 v31, v21
	v_lshl_add_u64 v[2:3], v[6:7], 0, v[30:31]
	global_load_dwordx4 v[2:5], v[2:3], off
	s_waitcnt vmcnt(0)
	v_lshrrev_b32_e32 v7, 16, v2
	v_lshrrev_b32_e32 v96, 16, v3
	;; [unrolled: 1-line block ×4, first 2 shown]
	s_and_saveexec_b64 s[14:15], s[0:1]
	s_cbranch_execz .LBB186_317
; %bb.316:                              ;   in Loop: Header=BB186_44 Depth=1
	v_cmp_gt_i32_e64 s[0:1], s25, v44
	v_add_u32_e32 v44, -6, v35
	s_nop 0
	v_cndmask_b32_e64 v2, 0, v2, s[0:1]
	v_cmp_gt_i32_e64 s[0:1], s25, v44
	v_add_u32_e32 v44, -5, v35
	s_nop 0
	v_cndmask_b32_e64 v7, 0, v7, s[0:1]
	;; [unrolled: 4-line block ×6, first 2 shown]
	v_cmp_gt_i32_e64 s[0:1], s25, v44
	s_nop 1
	v_cndmask_b32_e64 v5, 0, v5, s[0:1]
	v_cmp_gt_i32_e64 s[0:1], s25, v35
	s_nop 1
	v_cndmask_b32_e64 v6, 0, v6, s[0:1]
.LBB186_317:                            ;   in Loop: Header=BB186_44 Depth=1
	s_or_b64 exec, exec, s[14:15]
	v_lshlrev_b32_e32 v2, 16, v2
	v_mul_f32_e32 v44, v45, v2
	v_and_b32_e32 v2, 0x7f800000, v44
	v_cmp_ne_u32_e64 s[0:1], s16, v2
                                        ; implicit-def: $vgpr2
	s_and_saveexec_b64 s[14:15], s[0:1]
	s_xor_b64 s[0:1], exec, s[14:15]
; %bb.318:                              ;   in Loop: Header=BB186_44 Depth=1
	v_bfe_u32 v2, v44, 16, 1
	v_add3_u32 v2, v44, v2, s17
                                        ; implicit-def: $vgpr44
; %bb.319:                              ;   in Loop: Header=BB186_44 Depth=1
	s_andn2_saveexec_b64 s[14:15], s[0:1]
; %bb.320:                              ;   in Loop: Header=BB186_44 Depth=1
	v_or_b32_e32 v2, 0x10000, v44
	v_cmp_eq_u32_sdwa s[0:1], v44, v21 src0_sel:WORD_0 src1_sel:DWORD
	s_nop 1
	v_cndmask_b32_e64 v2, v2, v44, s[0:1]
; %bb.321:                              ;   in Loop: Header=BB186_44 Depth=1
	s_or_b64 exec, exec, s[14:15]
	v_lshlrev_b32_e32 v7, 16, v7
	v_mul_f32_e32 v44, v46, v7
	v_and_b32_e32 v7, 0x7f800000, v44
	v_cmp_ne_u32_e64 s[0:1], s16, v7
                                        ; implicit-def: $vgpr7
	s_and_saveexec_b64 s[14:15], s[0:1]
	s_xor_b64 s[0:1], exec, s[14:15]
; %bb.322:                              ;   in Loop: Header=BB186_44 Depth=1
	v_bfe_u32 v7, v44, 16, 1
	v_add3_u32 v7, v44, v7, s17
                                        ; implicit-def: $vgpr44
; %bb.323:                              ;   in Loop: Header=BB186_44 Depth=1
	s_andn2_saveexec_b64 s[14:15], s[0:1]
; %bb.324:                              ;   in Loop: Header=BB186_44 Depth=1
	v_or_b32_e32 v7, 0x10000, v44
	v_cmp_eq_u32_sdwa s[0:1], v44, v21 src0_sel:WORD_0 src1_sel:DWORD
	s_nop 1
	v_cndmask_b32_e64 v7, v7, v44, s[0:1]
; %bb.325:                              ;   in Loop: Header=BB186_44 Depth=1
	s_or_b64 exec, exec, s[14:15]
	v_lshlrev_b32_e32 v3, 16, v3
	v_mul_f32_e32 v44, v47, v3
	v_and_b32_e32 v3, 0x7f800000, v44
	v_cmp_ne_u32_e64 s[0:1], s16, v3
                                        ; implicit-def: $vgpr3
	s_and_saveexec_b64 s[14:15], s[0:1]
	s_xor_b64 s[0:1], exec, s[14:15]
; %bb.326:                              ;   in Loop: Header=BB186_44 Depth=1
	v_bfe_u32 v3, v44, 16, 1
	v_add3_u32 v3, v44, v3, s17
                                        ; implicit-def: $vgpr44
; %bb.327:                              ;   in Loop: Header=BB186_44 Depth=1
	s_andn2_saveexec_b64 s[14:15], s[0:1]
; %bb.328:                              ;   in Loop: Header=BB186_44 Depth=1
	v_or_b32_e32 v3, 0x10000, v44
	v_cmp_eq_u32_sdwa s[0:1], v44, v21 src0_sel:WORD_0 src1_sel:DWORD
	s_nop 1
	v_cndmask_b32_e64 v3, v3, v44, s[0:1]
; %bb.329:                              ;   in Loop: Header=BB186_44 Depth=1
	s_or_b64 exec, exec, s[14:15]
	v_lshlrev_b32_e32 v44, 16, v96
	v_mul_f32_e32 v45, v48, v44
	v_and_b32_e32 v44, 0x7f800000, v45
	v_cmp_ne_u32_e64 s[0:1], s16, v44
                                        ; implicit-def: $vgpr44
	s_and_saveexec_b64 s[14:15], s[0:1]
	s_xor_b64 s[0:1], exec, s[14:15]
; %bb.330:                              ;   in Loop: Header=BB186_44 Depth=1
	v_bfe_u32 v44, v45, 16, 1
	v_add3_u32 v44, v45, v44, s17
                                        ; implicit-def: $vgpr45
; %bb.331:                              ;   in Loop: Header=BB186_44 Depth=1
	s_andn2_saveexec_b64 s[14:15], s[0:1]
; %bb.332:                              ;   in Loop: Header=BB186_44 Depth=1
	v_or_b32_e32 v44, 0x10000, v45
	v_cmp_eq_u32_sdwa s[0:1], v45, v21 src0_sel:WORD_0 src1_sel:DWORD
	s_nop 1
	v_cndmask_b32_e64 v44, v44, v45, s[0:1]
; %bb.333:                              ;   in Loop: Header=BB186_44 Depth=1
	s_or_b64 exec, exec, s[14:15]
	v_lshlrev_b32_e32 v4, 16, v4
	v_mul_f32_e32 v45, v49, v4
	v_and_b32_e32 v4, 0x7f800000, v45
	v_cmp_ne_u32_e64 s[0:1], s16, v4
                                        ; implicit-def: $vgpr4
	s_and_saveexec_b64 s[14:15], s[0:1]
	s_xor_b64 s[0:1], exec, s[14:15]
; %bb.334:                              ;   in Loop: Header=BB186_44 Depth=1
	v_bfe_u32 v4, v45, 16, 1
	v_add3_u32 v4, v45, v4, s17
                                        ; implicit-def: $vgpr45
; %bb.335:                              ;   in Loop: Header=BB186_44 Depth=1
	s_andn2_saveexec_b64 s[14:15], s[0:1]
; %bb.336:                              ;   in Loop: Header=BB186_44 Depth=1
	v_or_b32_e32 v4, 0x10000, v45
	v_cmp_eq_u32_sdwa s[0:1], v45, v21 src0_sel:WORD_0 src1_sel:DWORD
	s_nop 1
	v_cndmask_b32_e64 v4, v4, v45, s[0:1]
; %bb.337:                              ;   in Loop: Header=BB186_44 Depth=1
	s_or_b64 exec, exec, s[14:15]
	v_lshlrev_b32_e32 v31, 16, v31
	v_mul_f32_e32 v45, v50, v31
	v_and_b32_e32 v31, 0x7f800000, v45
	v_cmp_ne_u32_e64 s[0:1], s16, v31
                                        ; implicit-def: $vgpr31
	s_and_saveexec_b64 s[14:15], s[0:1]
	s_xor_b64 s[0:1], exec, s[14:15]
; %bb.338:                              ;   in Loop: Header=BB186_44 Depth=1
	v_bfe_u32 v31, v45, 16, 1
	v_add3_u32 v31, v45, v31, s17
                                        ; implicit-def: $vgpr45
; %bb.339:                              ;   in Loop: Header=BB186_44 Depth=1
	s_andn2_saveexec_b64 s[14:15], s[0:1]
; %bb.340:                              ;   in Loop: Header=BB186_44 Depth=1
	v_or_b32_e32 v31, 0x10000, v45
	v_cmp_eq_u32_sdwa s[0:1], v45, v21 src0_sel:WORD_0 src1_sel:DWORD
	s_nop 1
	v_cndmask_b32_e64 v31, v31, v45, s[0:1]
; %bb.341:                              ;   in Loop: Header=BB186_44 Depth=1
	s_or_b64 exec, exec, s[14:15]
	v_lshlrev_b32_e32 v5, 16, v5
	v_mul_f32_e32 v45, v51, v5
	v_and_b32_e32 v5, 0x7f800000, v45
	v_cmp_ne_u32_e64 s[0:1], s16, v5
                                        ; implicit-def: $vgpr5
	s_and_saveexec_b64 s[14:15], s[0:1]
	s_xor_b64 s[0:1], exec, s[14:15]
; %bb.342:                              ;   in Loop: Header=BB186_44 Depth=1
	v_bfe_u32 v5, v45, 16, 1
	v_add3_u32 v5, v45, v5, s17
                                        ; implicit-def: $vgpr45
; %bb.343:                              ;   in Loop: Header=BB186_44 Depth=1
	s_andn2_saveexec_b64 s[14:15], s[0:1]
; %bb.344:                              ;   in Loop: Header=BB186_44 Depth=1
	v_or_b32_e32 v5, 0x10000, v45
	v_cmp_eq_u32_sdwa s[0:1], v45, v21 src0_sel:WORD_0 src1_sel:DWORD
	s_nop 1
	v_cndmask_b32_e64 v5, v5, v45, s[0:1]
; %bb.345:                              ;   in Loop: Header=BB186_44 Depth=1
	s_or_b64 exec, exec, s[14:15]
	v_lshlrev_b32_e32 v6, 16, v6
	v_mul_f32_e32 v6, v52, v6
	v_and_b32_e32 v45, 0x7f800000, v6
	v_cmp_ne_u32_e64 s[0:1], s16, v45
                                        ; implicit-def: $vgpr45
	s_and_saveexec_b64 s[14:15], s[0:1]
	s_xor_b64 s[0:1], exec, s[14:15]
; %bb.346:                              ;   in Loop: Header=BB186_44 Depth=1
	v_bfe_u32 v45, v6, 16, 1
	v_add3_u32 v45, v6, v45, s17
                                        ; implicit-def: $vgpr6
; %bb.347:                              ;   in Loop: Header=BB186_44 Depth=1
	s_andn2_saveexec_b64 s[14:15], s[0:1]
	s_cbranch_execz .LBB186_42
; %bb.348:                              ;   in Loop: Header=BB186_44 Depth=1
	v_or_b32_e32 v45, 0x10000, v6
	v_cmp_eq_u32_sdwa s[0:1], v6, v21 src0_sel:WORD_0 src1_sel:DWORD
	s_nop 1
	v_cndmask_b32_e64 v45, v45, v6, s[0:1]
	s_branch .LBB186_42
.LBB186_349:
	s_or_b64 exec, exec, s[12:13]
.LBB186_350:
	s_or_b64 exec, exec, s[10:11]
	ds_bpermute_b32 v4, v1, v16
	ds_bpermute_b32 v5, v1, v17
	;; [unrolled: 1-line block ×6, first 2 shown]
	s_waitcnt lgkmcnt(4)
	v_pk_add_f32 v[4:5], v[16:17], v[4:5]
	ds_bpermute_b32 v16, v1, v12
	ds_bpermute_b32 v17, v1, v13
	s_waitcnt lgkmcnt(4)
	v_pk_add_f32 v[2:3], v[18:19], v[2:3]
	s_waitcnt lgkmcnt(2)
	v_pk_add_f32 v[14:15], v[14:15], v[8:9]
	ds_bpermute_b32 v6, v32, v2
	ds_bpermute_b32 v7, v32, v3
	s_waitcnt lgkmcnt(2)
	v_pk_add_f32 v[12:13], v[12:13], v[16:17]
	ds_bpermute_b32 v10, v32, v4
	ds_bpermute_b32 v11, v32, v5
	;; [unrolled: 1-line block ×6, first 2 shown]
	v_and_b32_e32 v1, 0x3c0, v0
	s_waitcnt lgkmcnt(6)
	v_pk_add_f32 v[8:9], v[2:3], v[6:7]
	s_waitcnt lgkmcnt(4)
	v_pk_add_f32 v[4:5], v[4:5], v[10:11]
	;; [unrolled: 2-line block ×4, first 2 shown]
	v_cmp_eq_u32_e32 vcc, 64, v1
	s_barrier
	s_and_saveexec_b64 s[2:3], vcc
	s_cbranch_execz .LBB186_355
; %bb.351:
	v_cmp_eq_u32_e32 vcc, 0, v33
	s_and_saveexec_b64 s[0:1], vcc
	s_cbranch_execz .LBB186_353
; %bb.352:
	v_mov_b32_e32 v1, 0x100
	v_lshl_add_u32 v1, v34, 2, v1
	ds_write2_b32 v1, v8, v9 offset1:16
	ds_write2_b32 v1, v4, v5 offset0:32 offset1:48
	ds_write2_b32 v1, v2, v3 offset0:64 offset1:80
	ds_write_b32 v1, v6 offset:384
.LBB186_353:
	s_or_b64 exec, exec, s[0:1]
	v_or_b32_e32 v1, 0x70, v34
	s_movk_i32 s0, 0x78
	v_cmp_gt_u32_e64 s[0:1], s0, v1
	s_and_b64 s[0:1], vcc, s[0:1]
	s_and_b64 exec, exec, s[0:1]
	s_cbranch_execz .LBB186_355
; %bb.354:
	v_mov_b32_e32 v1, 0x100
	v_lshl_add_u32 v1, v34, 2, v1
	ds_write_b32 v1, v7 offset:448
.LBB186_355:
	s_or_b64 exec, exec, s[2:3]
	v_cmp_gt_u32_e32 vcc, 64, v0
	v_lshrrev_b32_e32 v10, 2, v0
	s_waitcnt lgkmcnt(0)
	s_barrier
	s_and_saveexec_b64 s[8:9], vcc
	s_cbranch_execz .LBB186_367
; %bb.356:
	v_cmp_eq_u32_e64 s[0:1], 0, v33
	s_and_saveexec_b64 s[2:3], s[0:1]
	s_cbranch_execnz .LBB186_405
; %bb.357:
	s_or_b64 exec, exec, s[2:3]
	s_and_saveexec_b64 s[2:3], s[0:1]
	s_cbranch_execnz .LBB186_406
.LBB186_358:
	s_or_b64 exec, exec, s[2:3]
	s_and_saveexec_b64 s[2:3], s[0:1]
	s_cbranch_execnz .LBB186_407
.LBB186_359:
	s_or_b64 exec, exec, s[2:3]
	s_and_saveexec_b64 s[2:3], s[0:1]
	s_cbranch_execnz .LBB186_408
.LBB186_360:
	s_or_b64 exec, exec, s[2:3]
	s_and_saveexec_b64 s[2:3], s[0:1]
	s_cbranch_execnz .LBB186_409
.LBB186_361:
	s_or_b64 exec, exec, s[2:3]
	s_and_saveexec_b64 s[2:3], s[0:1]
	s_cbranch_execnz .LBB186_410
.LBB186_362:
	s_or_b64 exec, exec, s[2:3]
	s_and_saveexec_b64 s[2:3], s[0:1]
	s_cbranch_execz .LBB186_364
.LBB186_363:
	v_mov_b32_e32 v0, 0x100
	v_lshl_add_u32 v0, v10, 2, v0
	ds_read_b32 v0, v0 offset:384
	s_waitcnt lgkmcnt(0)
	v_add_f32_e32 v6, v6, v0
.LBB186_364:
	s_or_b64 exec, exec, s[2:3]
	v_or_b32_e32 v0, 0x70, v10
	s_movk_i32 s2, 0x78
	v_cmp_gt_u32_e64 s[2:3], s2, v0
	s_and_b64 s[2:3], s[0:1], s[2:3]
	s_and_saveexec_b64 s[0:1], s[2:3]
	s_cbranch_execz .LBB186_366
; %bb.365:
	v_mov_b32_e32 v0, 0x100
	v_lshl_add_u32 v0, v10, 2, v0
	ds_read_b32 v0, v0 offset:448
	s_waitcnt lgkmcnt(0)
	v_add_f32_e32 v7, v7, v0
.LBB186_366:
	s_or_b64 exec, exec, s[0:1]
.LBB186_367:
	s_or_b64 exec, exec, s[8:9]
	s_barrier
	s_and_saveexec_b64 s[0:1], vcc
	s_cbranch_execz .LBB186_404
; %bb.368:
	s_mul_i32 s0, s6, 0x78
	s_ashr_i32 s1, s0, 31
	s_lshl_b64 s[0:1], s[0:1], 1
	s_add_u32 s2, s22, s0
	s_mul_i32 s0, s21, s20
	s_addc_u32 s3, s23, s1
	s_ashr_i32 s1, s0, 31
	s_lshl_b64 s[0:1], s[0:1], 1
	s_add_u32 s2, s2, s0
	s_mul_i32 s0, s4, 0x78
	s_addc_u32 s3, s3, s1
	s_ashr_i32 s1, s0, 31
	s_lshl_b64 s[0:1], s[0:1], 1
	s_add_u32 s2, s2, s0
	s_addc_u32 s3, s3, s1
	v_cmp_eq_u32_e32 vcc, 0, v33
	s_and_saveexec_b64 s[4:5], vcc
	s_cbranch_execz .LBB186_398
; %bb.369:
	s_mov_b32 s0, 0x7f800000
	v_and_b32_e32 v0, 0x7f800000, v8
	v_cmp_ne_u32_e64 s[0:1], s0, v0
                                        ; implicit-def: $vgpr11
	s_and_saveexec_b64 s[6:7], s[0:1]
	s_xor_b64 s[0:1], exec, s[6:7]
; %bb.370:
	v_bfe_u32 v0, v8, 16, 1
	s_movk_i32 s6, 0x7fff
	v_add3_u32 v11, v8, v0, s6
; %bb.371:
	s_andn2_saveexec_b64 s[6:7], s[0:1]
; %bb.372:
	v_mov_b32_e32 v0, 0
	v_or_b32_e32 v1, 0x10000, v8
	v_cmp_eq_u32_sdwa s[0:1], v8, v0 src0_sel:WORD_0 src1_sel:DWORD
	s_nop 1
	v_cndmask_b32_e64 v11, v1, v8, s[0:1]
; %bb.373:
	s_or_b64 exec, exec, s[6:7]
	s_mov_b32 s0, 0x7f800000
	v_and_b32_e32 v8, 0x7f800000, v9
	v_lshlrev_b32_e32 v0, 1, v10
	v_mov_b32_e32 v1, 0
	v_cmp_ne_u32_e64 s[0:1], s0, v8
	global_store_short_d16_hi v0, v11, s[2:3]
                                        ; implicit-def: $vgpr8
	s_and_saveexec_b64 s[6:7], s[0:1]
	s_xor_b64 s[0:1], exec, s[6:7]
; %bb.374:
	v_bfe_u32 v8, v9, 16, 1
	s_movk_i32 s6, 0x7fff
	v_add3_u32 v8, v9, v8, s6
; %bb.375:
	s_or_saveexec_b64 s[6:7], s[0:1]
	v_lshl_add_u64 v[0:1], s[2:3], 0, v[0:1]
	s_xor_b64 exec, exec, s[6:7]
; %bb.376:
	v_mov_b32_e32 v8, 0
	v_or_b32_e32 v11, 0x10000, v9
	v_cmp_eq_u32_sdwa s[0:1], v9, v8 src0_sel:WORD_0 src1_sel:DWORD
	s_nop 1
	v_cndmask_b32_e64 v8, v11, v9, s[0:1]
; %bb.377:
	s_or_b64 exec, exec, s[6:7]
	global_store_short_d16_hi v[0:1], v8, off offset:32
	s_mov_b32 s0, 0x7f800000
	v_and_b32_e32 v8, 0x7f800000, v4
	v_cmp_ne_u32_e64 s[0:1], s0, v8
                                        ; implicit-def: $vgpr8
	s_and_saveexec_b64 s[6:7], s[0:1]
	s_xor_b64 s[0:1], exec, s[6:7]
; %bb.378:
	v_bfe_u32 v8, v4, 16, 1
	s_movk_i32 s6, 0x7fff
	v_add3_u32 v8, v4, v8, s6
; %bb.379:
	s_andn2_saveexec_b64 s[6:7], s[0:1]
; %bb.380:
	v_mov_b32_e32 v8, 0
	v_or_b32_e32 v9, 0x10000, v4
	v_cmp_eq_u32_sdwa s[0:1], v4, v8 src0_sel:WORD_0 src1_sel:DWORD
	s_nop 1
	v_cndmask_b32_e64 v8, v9, v4, s[0:1]
; %bb.381:
	s_or_b64 exec, exec, s[6:7]
	s_mov_b32 s0, 0x7f800000
	v_and_b32_e32 v4, 0x7f800000, v5
	v_cmp_ne_u32_e64 s[0:1], s0, v4
	global_store_short_d16_hi v[0:1], v8, off offset:64
                                        ; implicit-def: $vgpr4
	s_and_saveexec_b64 s[6:7], s[0:1]
	s_xor_b64 s[0:1], exec, s[6:7]
; %bb.382:
	v_bfe_u32 v4, v5, 16, 1
	s_movk_i32 s6, 0x7fff
	v_add3_u32 v4, v5, v4, s6
; %bb.383:
	s_andn2_saveexec_b64 s[6:7], s[0:1]
; %bb.384:
	v_mov_b32_e32 v4, 0
	v_or_b32_e32 v8, 0x10000, v5
	v_cmp_eq_u32_sdwa s[0:1], v5, v4 src0_sel:WORD_0 src1_sel:DWORD
	s_nop 1
	v_cndmask_b32_e64 v4, v8, v5, s[0:1]
; %bb.385:
	s_or_b64 exec, exec, s[6:7]
	global_store_short_d16_hi v[0:1], v4, off offset:96
	s_mov_b32 s0, 0x7f800000
	v_and_b32_e32 v4, 0x7f800000, v2
	v_cmp_ne_u32_e64 s[0:1], s0, v4
                                        ; implicit-def: $vgpr4
	s_and_saveexec_b64 s[6:7], s[0:1]
	s_xor_b64 s[0:1], exec, s[6:7]
; %bb.386:
	v_bfe_u32 v4, v2, 16, 1
	s_movk_i32 s6, 0x7fff
	v_add3_u32 v4, v2, v4, s6
; %bb.387:
	s_andn2_saveexec_b64 s[6:7], s[0:1]
; %bb.388:
	v_mov_b32_e32 v4, 0
	v_or_b32_e32 v5, 0x10000, v2
	v_cmp_eq_u32_sdwa s[0:1], v2, v4 src0_sel:WORD_0 src1_sel:DWORD
	s_nop 1
	v_cndmask_b32_e64 v4, v5, v2, s[0:1]
; %bb.389:
	s_or_b64 exec, exec, s[6:7]
	s_mov_b32 s0, 0x7f800000
	v_and_b32_e32 v2, 0x7f800000, v3
	v_cmp_ne_u32_e64 s[0:1], s0, v2
	global_store_short_d16_hi v[0:1], v4, off offset:128
                                        ; implicit-def: $vgpr2
	s_and_saveexec_b64 s[6:7], s[0:1]
	s_xor_b64 s[0:1], exec, s[6:7]
; %bb.390:
	v_bfe_u32 v2, v3, 16, 1
	s_movk_i32 s6, 0x7fff
	v_add3_u32 v2, v3, v2, s6
; %bb.391:
	s_andn2_saveexec_b64 s[6:7], s[0:1]
; %bb.392:
	v_mov_b32_e32 v2, 0
	v_or_b32_e32 v4, 0x10000, v3
	v_cmp_eq_u32_sdwa s[0:1], v3, v2 src0_sel:WORD_0 src1_sel:DWORD
	s_nop 1
	v_cndmask_b32_e64 v2, v4, v3, s[0:1]
; %bb.393:
	s_or_b64 exec, exec, s[6:7]
	global_store_short_d16_hi v[0:1], v2, off offset:160
	s_mov_b32 s0, 0x7f800000
	v_and_b32_e32 v2, 0x7f800000, v6
	v_cmp_ne_u32_e64 s[0:1], s0, v2
                                        ; implicit-def: $vgpr2
	s_and_saveexec_b64 s[6:7], s[0:1]
	s_xor_b64 s[0:1], exec, s[6:7]
; %bb.394:
	v_bfe_u32 v2, v6, 16, 1
	s_movk_i32 s6, 0x7fff
	v_add3_u32 v2, v6, v2, s6
; %bb.395:
	s_andn2_saveexec_b64 s[6:7], s[0:1]
; %bb.396:
	v_mov_b32_e32 v2, 0
	v_or_b32_e32 v3, 0x10000, v6
	v_cmp_eq_u32_sdwa s[0:1], v6, v2 src0_sel:WORD_0 src1_sel:DWORD
	s_nop 1
	v_cndmask_b32_e64 v2, v3, v6, s[0:1]
; %bb.397:
	s_or_b64 exec, exec, s[6:7]
	global_store_short_d16_hi v[0:1], v2, off offset:192
.LBB186_398:
	s_or_b64 exec, exec, s[4:5]
	v_or_b32_e32 v0, 0x70, v10
	s_movk_i32 s0, 0x78
	v_cmp_gt_u32_e64 s[0:1], s0, v0
	s_and_b64 s[0:1], vcc, s[0:1]
	s_and_b64 exec, exec, s[0:1]
	s_cbranch_execz .LBB186_404
; %bb.399:
	s_mov_b32 s0, 0x7f800000
	v_and_b32_e32 v0, 0x7f800000, v7
	v_cmp_ne_u32_e32 vcc, s0, v0
                                        ; implicit-def: $vgpr8
	s_and_saveexec_b64 s[0:1], vcc
	s_xor_b64 s[0:1], exec, s[0:1]
; %bb.400:
	v_bfe_u32 v0, v7, 16, 1
	s_movk_i32 s4, 0x7fff
	v_add3_u32 v8, v7, v0, s4
                                        ; implicit-def: $vgpr0_vgpr1_vgpr2_vgpr3_vgpr4_vgpr5_vgpr6_vgpr7
; %bb.401:
	s_andn2_saveexec_b64 s[0:1], s[0:1]
; %bb.402:
	v_mov_b32_e32 v0, 0
	v_or_b32_e32 v1, 0x10000, v7
	v_cmp_eq_u32_sdwa vcc, v7, v0 src0_sel:WORD_0 src1_sel:DWORD
	s_nop 1
	v_cndmask_b32_e32 v8, v1, v7, vcc
; %bb.403:
	s_or_b64 exec, exec, s[0:1]
	v_lshlrev_b32_e32 v0, 1, v10
	global_store_short_d16_hi v0, v8, s[2:3] offset:224
.LBB186_404:
	s_endpgm
.LBB186_405:
	v_mov_b32_e32 v0, 0x100
	v_lshl_add_u32 v0, v10, 2, v0
	ds_read_b32 v0, v0
	s_waitcnt lgkmcnt(0)
	v_add_f32_e32 v8, v8, v0
	s_or_b64 exec, exec, s[2:3]
	s_and_saveexec_b64 s[2:3], s[0:1]
	s_cbranch_execz .LBB186_358
.LBB186_406:
	v_mov_b32_e32 v0, 0x100
	v_lshl_add_u32 v0, v10, 2, v0
	ds_read_b32 v0, v0 offset:64
	s_waitcnt lgkmcnt(0)
	v_add_f32_e32 v9, v9, v0
	s_or_b64 exec, exec, s[2:3]
	s_and_saveexec_b64 s[2:3], s[0:1]
	s_cbranch_execz .LBB186_359
.LBB186_407:
	v_mov_b32_e32 v0, 0x100
	v_lshl_add_u32 v0, v10, 2, v0
	ds_read_b32 v0, v0 offset:128
	s_waitcnt lgkmcnt(0)
	v_add_f32_e32 v4, v4, v0
	s_or_b64 exec, exec, s[2:3]
	s_and_saveexec_b64 s[2:3], s[0:1]
	s_cbranch_execz .LBB186_360
.LBB186_408:
	v_mov_b32_e32 v0, 0x100
	v_lshl_add_u32 v0, v10, 2, v0
	ds_read_b32 v0, v0 offset:192
	s_waitcnt lgkmcnt(0)
	v_add_f32_e32 v5, v5, v0
	s_or_b64 exec, exec, s[2:3]
	s_and_saveexec_b64 s[2:3], s[0:1]
	s_cbranch_execz .LBB186_361
.LBB186_409:
	v_mov_b32_e32 v0, 0x100
	v_lshl_add_u32 v0, v10, 2, v0
	ds_read_b32 v0, v0 offset:256
	s_waitcnt lgkmcnt(0)
	v_add_f32_e32 v2, v2, v0
	s_or_b64 exec, exec, s[2:3]
	s_and_saveexec_b64 s[2:3], s[0:1]
	s_cbranch_execz .LBB186_362
.LBB186_410:
	v_mov_b32_e32 v0, 0x100
	v_lshl_add_u32 v0, v10, 2, v0
	ds_read_b32 v0, v0 offset:320
	s_waitcnt lgkmcnt(0)
	v_add_f32_e32 v3, v3, v0
	s_or_b64 exec, exec, s[2:3]
	s_and_saveexec_b64 s[2:3], s[0:1]
	s_cbranch_execnz .LBB186_363
	s_branch .LBB186_364
	.section	.rodata,"a",@progbits
	.p2align	6, 0x0
	.amdhsa_kernel _ZN4vllm25paged_attention_v2_kernelI14__hip_bfloat16S1_Li120ELi32ELi128ELNS_18Fp8KVCacheDataTypeE0ELb0ELi512EEEvPfS3_PT_PKS4_PKT0_SA_ifPKiSC_iPKfiiiSE_SE_iiiii
		.amdhsa_group_segment_fixed_size 256
		.amdhsa_private_segment_fixed_size 0
		.amdhsa_kernarg_size 400
		.amdhsa_user_sgpr_count 2
		.amdhsa_user_sgpr_dispatch_ptr 0
		.amdhsa_user_sgpr_queue_ptr 0
		.amdhsa_user_sgpr_kernarg_segment_ptr 1
		.amdhsa_user_sgpr_dispatch_id 0
		.amdhsa_user_sgpr_kernarg_preload_length 0
		.amdhsa_user_sgpr_kernarg_preload_offset 0
		.amdhsa_user_sgpr_private_segment_size 0
		.amdhsa_uses_dynamic_stack 0
		.amdhsa_enable_private_segment 0
		.amdhsa_system_sgpr_workgroup_id_x 1
		.amdhsa_system_sgpr_workgroup_id_y 1
		.amdhsa_system_sgpr_workgroup_id_z 1
		.amdhsa_system_sgpr_workgroup_info 0
		.amdhsa_system_vgpr_workitem_id 0
		.amdhsa_next_free_vgpr 110
		.amdhsa_next_free_sgpr 43
		.amdhsa_accum_offset 112
		.amdhsa_reserve_vcc 1
		.amdhsa_float_round_mode_32 0
		.amdhsa_float_round_mode_16_64 0
		.amdhsa_float_denorm_mode_32 3
		.amdhsa_float_denorm_mode_16_64 3
		.amdhsa_dx10_clamp 1
		.amdhsa_ieee_mode 1
		.amdhsa_fp16_overflow 0
		.amdhsa_tg_split 0
		.amdhsa_exception_fp_ieee_invalid_op 0
		.amdhsa_exception_fp_denorm_src 0
		.amdhsa_exception_fp_ieee_div_zero 0
		.amdhsa_exception_fp_ieee_overflow 0
		.amdhsa_exception_fp_ieee_underflow 0
		.amdhsa_exception_fp_ieee_inexact 0
		.amdhsa_exception_int_div_zero 0
	.end_amdhsa_kernel
	.section	.text._ZN4vllm25paged_attention_v2_kernelI14__hip_bfloat16S1_Li120ELi32ELi128ELNS_18Fp8KVCacheDataTypeE0ELb0ELi512EEEvPfS3_PT_PKS4_PKT0_SA_ifPKiSC_iPKfiiiSE_SE_iiiii,"axG",@progbits,_ZN4vllm25paged_attention_v2_kernelI14__hip_bfloat16S1_Li120ELi32ELi128ELNS_18Fp8KVCacheDataTypeE0ELb0ELi512EEEvPfS3_PT_PKS4_PKT0_SA_ifPKiSC_iPKfiiiSE_SE_iiiii,comdat
.Lfunc_end186:
	.size	_ZN4vllm25paged_attention_v2_kernelI14__hip_bfloat16S1_Li120ELi32ELi128ELNS_18Fp8KVCacheDataTypeE0ELb0ELi512EEEvPfS3_PT_PKS4_PKT0_SA_ifPKiSC_iPKfiiiSE_SE_iiiii, .Lfunc_end186-_ZN4vllm25paged_attention_v2_kernelI14__hip_bfloat16S1_Li120ELi32ELi128ELNS_18Fp8KVCacheDataTypeE0ELb0ELi512EEEvPfS3_PT_PKS4_PKT0_SA_ifPKiSC_iPKfiiiSE_SE_iiiii
                                        ; -- End function
	.section	.AMDGPU.csdata,"",@progbits
; Kernel info:
; codeLenInByte = 14704
; NumSgprs: 49
; NumVgprs: 110
; NumAgprs: 0
; TotalNumVgprs: 110
; ScratchSize: 0
; MemoryBound: 0
; FloatMode: 240
; IeeeMode: 1
; LDSByteSize: 256 bytes/workgroup (compile time only)
; SGPRBlocks: 6
; VGPRBlocks: 13
; NumSGPRsForWavesPerEU: 49
; NumVGPRsForWavesPerEU: 110
; AccumOffset: 112
; Occupancy: 4
; WaveLimiterHint : 1
; COMPUTE_PGM_RSRC2:SCRATCH_EN: 0
; COMPUTE_PGM_RSRC2:USER_SGPR: 2
; COMPUTE_PGM_RSRC2:TRAP_HANDLER: 0
; COMPUTE_PGM_RSRC2:TGID_X_EN: 1
; COMPUTE_PGM_RSRC2:TGID_Y_EN: 1
; COMPUTE_PGM_RSRC2:TGID_Z_EN: 1
; COMPUTE_PGM_RSRC2:TIDIG_COMP_CNT: 0
; COMPUTE_PGM_RSRC3_GFX90A:ACCUM_OFFSET: 27
; COMPUTE_PGM_RSRC3_GFX90A:TG_SPLIT: 0
	.section	.text._ZN4vllm25paged_attention_v2_kernelI14__hip_bfloat16S1_Li128ELi32ELi128ELNS_18Fp8KVCacheDataTypeE0ELb0ELi512EEEvPfS3_PT_PKS4_PKT0_SA_ifPKiSC_iPKfiiiSE_SE_iiiii,"axG",@progbits,_ZN4vllm25paged_attention_v2_kernelI14__hip_bfloat16S1_Li128ELi32ELi128ELNS_18Fp8KVCacheDataTypeE0ELb0ELi512EEEvPfS3_PT_PKS4_PKT0_SA_ifPKiSC_iPKfiiiSE_SE_iiiii,comdat
	.protected	_ZN4vllm25paged_attention_v2_kernelI14__hip_bfloat16S1_Li128ELi32ELi128ELNS_18Fp8KVCacheDataTypeE0ELb0ELi512EEEvPfS3_PT_PKS4_PKT0_SA_ifPKiSC_iPKfiiiSE_SE_iiiii ; -- Begin function _ZN4vllm25paged_attention_v2_kernelI14__hip_bfloat16S1_Li128ELi32ELi128ELNS_18Fp8KVCacheDataTypeE0ELb0ELi512EEEvPfS3_PT_PKS4_PKT0_SA_ifPKiSC_iPKfiiiSE_SE_iiiii
	.globl	_ZN4vllm25paged_attention_v2_kernelI14__hip_bfloat16S1_Li128ELi32ELi128ELNS_18Fp8KVCacheDataTypeE0ELb0ELi512EEEvPfS3_PT_PKS4_PKT0_SA_ifPKiSC_iPKfiiiSE_SE_iiiii
	.p2align	8
	.type	_ZN4vllm25paged_attention_v2_kernelI14__hip_bfloat16S1_Li128ELi32ELi128ELNS_18Fp8KVCacheDataTypeE0ELb0ELi512EEEvPfS3_PT_PKS4_PKT0_SA_ifPKiSC_iPKfiiiSE_SE_iiiii,@function
_ZN4vllm25paged_attention_v2_kernelI14__hip_bfloat16S1_Li128ELi32ELi128ELNS_18Fp8KVCacheDataTypeE0ELb0ELi512EEEvPfS3_PT_PKS4_PKT0_SA_ifPKiSC_iPKfiiiSE_SE_iiiii: ; @_ZN4vllm25paged_attention_v2_kernelI14__hip_bfloat16S1_Li128ELi32ELi128ELNS_18Fp8KVCacheDataTypeE0ELb0ELi512EEEvPfS3_PT_PKS4_PKT0_SA_ifPKiSC_iPKfiiiSE_SE_iiiii
; %bb.0:
	s_load_dwordx2 s[6:7], s[0:1], 0x40
	s_mov_b32 s20, s3
	s_ashr_i32 s21, s3, 31
	s_lshl_b64 s[8:9], s[20:21], 2
	s_waitcnt lgkmcnt(0)
	s_add_u32 s6, s6, s8
	s_addc_u32 s7, s7, s9
	s_load_dword s33, s[6:7], 0x0
	s_lshl_b32 s40, s4, 9
	s_waitcnt lgkmcnt(0)
	s_cmp_ge_i32 s40, s33
	s_cbranch_scc1 .LBB187_396
; %bb.1:
	s_load_dword s21, s[0:1], 0x90
	s_load_dwordx2 s[10:11], s[0:1], 0x30
	s_waitcnt lgkmcnt(0)
	s_abs_i32 s6, s21
	s_abs_i32 s3, s10
	v_cvt_f32_u32_e32 v1, s3
	s_sub_i32 s7, 0, s3
	s_xor_b32 s5, s21, s10
	s_ashr_i32 s5, s5, 31
	v_rcp_iflag_f32_e32 v1, v1
	s_nop 0
	v_mul_f32_e32 v1, 0x4f7ffffe, v1
	v_cvt_u32_f32_e32 v1, v1
	s_nop 0
	v_readfirstlane_b32 s8, v1
	s_mul_i32 s7, s7, s8
	s_mul_hi_u32 s7, s8, s7
	s_add_i32 s8, s8, s7
	s_mul_hi_u32 s7, s6, s8
	s_mul_i32 s8, s7, s3
	s_sub_i32 s6, s6, s8
	s_add_i32 s9, s7, 1
	s_sub_i32 s8, s6, s3
	s_cmp_ge_u32 s6, s3
	s_cselect_b32 s7, s9, s7
	s_cselect_b32 s6, s8, s6
	s_add_i32 s8, s7, 1
	s_cmp_ge_u32 s6, s3
	s_cselect_b32 s3, s8, s7
	s_xor_b32 s3, s3, s5
	s_sub_i32 s12, s3, s5
	s_abs_i32 s8, s12
	v_cvt_f32_u32_e32 v1, s8
	s_load_dwordx2 s[6:7], s[0:1], 0x50
	s_sub_i32 s3, 0, s8
	s_abs_i32 s9, s2
	v_rcp_iflag_f32_e32 v1, v1
	s_mov_b32 s5, 0
	v_mul_f32_e32 v1, 0x4f7ffffe, v1
	v_cvt_u32_f32_e32 v1, v1
	s_nop 0
	v_readfirstlane_b32 s10, v1
	s_mul_i32 s3, s3, s10
	s_mul_hi_u32 s3, s10, s3
	s_add_i32 s10, s10, s3
	s_waitcnt lgkmcnt(0)
	s_cmp_eq_u64 s[6:7], 0
	s_mul_hi_u32 s10, s9, s10
	s_cbranch_scc1 .LBB187_3
; %bb.2:
	s_ashr_i32 s3, s2, 31
	s_lshl_b64 s[14:15], s[2:3], 2
	s_add_u32 s6, s6, s14
	s_addc_u32 s7, s7, s15
	s_load_dword s5, s[6:7], 0x0
.LBB187_3:
	s_ashr_i32 s17, s12, 31
	s_load_dwordx4 s[12:15], s[0:1], 0x58
	s_ashr_i32 s16, s2, 31
	v_and_b32_e32 v4, 1, v0
	s_lshl_b32 s22, s2, 7
	v_cmp_gt_u32_e32 vcc, 32, v0
	v_lshlrev_b32_e32 v35, 3, v0
	s_and_saveexec_b64 s[6:7], vcc
	s_cbranch_execz .LBB187_5
; %bb.4:
	s_load_dwordx2 s[18:19], s[0:1], 0x18
	s_waitcnt lgkmcnt(0)
	s_mul_i32 s24, s20, s12
	s_ashr_i32 s25, s24, 31
	s_lshl_b64 s[24:25], s[24:25], 1
	v_lshlrev_b32_e32 v1, 2, v0
	s_add_u32 s3, s18, s24
	s_addc_u32 s12, s19, s25
	s_ashr_i32 s23, s22, 31
	s_lshl_b64 s[18:19], s[22:23], 1
	s_add_u32 s18, s3, s18
	s_addc_u32 s19, s12, s19
	global_load_dwordx2 v[2:3], v35, s[18:19]
	v_and_b32_e32 v1, 0xff8, v1
	v_lshl_add_u32 v1, v4, 7, v1
	s_waitcnt vmcnt(0)
	ds_write_b64 v1, v[2:3]
.LBB187_5:
	s_or_b64 exec, exec, s[6:7]
	s_add_i32 s3, s33, 31
	s_ashr_i32 s6, s3, 31
	s_lshr_b32 s6, s6, 27
	s_add_i32 s3, s3, s6
	s_ashr_i32 s41, s3, 5
	s_lshl_b32 s3, s4, 4
	s_mul_i32 s7, s10, s8
	s_add_i32 s6, s3, 16
	s_sub_i32 s7, s9, s7
	s_min_i32 s23, s6, s41
	s_xor_b32 s6, s16, s17
	s_add_i32 s9, s10, 1
	s_waitcnt lgkmcnt(0)
	s_sub_i32 s12, s7, s8
	s_cmp_ge_u32 s7, s8
	s_cselect_b32 s9, s9, s10
	s_cselect_b32 s7, s12, s7
	s_add_i32 s10, s9, 1
	s_cmp_ge_u32 s7, s8
	s_load_dwordx2 s[26:27], s[0:1], 0x38
	s_load_dword s8, s[0:1], 0x48
	v_lshrrev_b32_e32 v36, 6, v0
	s_cselect_b32 s7, s10, s9
	s_xor_b32 s7, s7, s6
	v_or_b32_e32 v10, s3, v36
	s_waitcnt lgkmcnt(0)
	s_mul_i32 s28, s20, s8
	s_sub_i32 s10, s7, s6
	s_ashr_i32 s29, s28, 31
	v_cmp_gt_i32_e64 s[8:9], s23, v10
	v_cmp_le_i32_e32 vcc, s23, v10
	v_mbcnt_lo_u32_b32 v5, -1, 0
	s_barrier
	s_waitcnt lgkmcnt(0)
                                        ; implicit-def: $sgpr15
                                        ; implicit-def: $vgpr34
                                        ; implicit-def: $vgpr37
	s_and_saveexec_b64 s[6:7], vcc
	s_xor_b64 s[6:7], exec, s[6:7]
; %bb.6:
	v_mbcnt_hi_u32_b32 v34, -1, v5
	v_and_b32_e32 v1, 64, v34
	v_add_u32_e32 v37, 64, v1
	s_mov_b32 s15, 0xff7fffff
                                        ; implicit-def: $vgpr4
                                        ; implicit-def: $vgpr5
; %bb.7:
	s_or_saveexec_b64 s[34:35], s[6:7]
	s_load_dwordx4 s[16:19], s[0:1], 0x0
	s_load_dwordx2 s[24:25], s[0:1], 0x10
	s_load_dwordx2 s[30:31], s[0:1], 0x28
	s_load_dword s12, s[0:1], 0x98
	v_mov_b32_e32 v101, s15
	s_mul_i32 s14, s10, s14
	v_ashrrev_i32_e32 v11, 31, v10
	s_xor_b64 exec, exec, s[34:35]
	s_cbranch_execz .LBB187_13
; %bb.8:
	v_lshlrev_b32_e32 v2, 7, v4
	ds_read_b128 v[6:9], v2
	ds_read_b128 v[12:15], v2 offset:16
	ds_read_b128 v[16:19], v2 offset:32
	;; [unrolled: 1-line block ×3, first 2 shown]
	s_load_dwordx2 s[0:1], s[0:1], 0x20
	s_waitcnt lgkmcnt(0)
	v_lshlrev_b32_e32 v1, 16, v6
	v_and_b32_e32 v38, 0xffff0000, v6
	v_lshlrev_b32_e32 v39, 16, v7
	v_and_b32_e32 v40, 0xffff0000, v7
	;; [unrolled: 2-line block ×4, first 2 shown]
	ds_read_b128 v[6:9], v2 offset:64
	v_lshlrev_b32_e32 v45, 16, v12
	v_and_b32_e32 v46, 0xffff0000, v12
	v_lshlrev_b32_e32 v47, 16, v13
	v_and_b32_e32 v48, 0xffff0000, v13
	;; [unrolled: 2-line block ×4, first 2 shown]
	ds_read_b128 v[12:15], v2 offset:80
	s_waitcnt lgkmcnt(1)
	v_lshlrev_b32_e32 v69, 16, v6
	v_and_b32_e32 v70, 0xffff0000, v6
	v_lshlrev_b32_e32 v71, 16, v7
	v_and_b32_e32 v72, 0xffff0000, v7
	;; [unrolled: 2-line block ×4, first 2 shown]
	ds_read_b128 v[6:9], v2 offset:96
	s_ashr_i32 s15, s14, 31
	s_lshl_b64 s[6:7], s[14:15], 1
	v_mbcnt_hi_u32_b32 v34, -1, v5
	s_waitcnt lgkmcnt(1)
	v_lshlrev_b32_e32 v77, 16, v12
	v_and_b32_e32 v78, 0xffff0000, v12
	v_lshlrev_b32_e32 v79, 16, v13
	v_and_b32_e32 v80, 0xffff0000, v13
	;; [unrolled: 2-line block ×4, first 2 shown]
	ds_read_b128 v[12:15], v2 offset:112
	s_waitcnt lgkmcnt(1)
	v_lshlrev_b32_e32 v89, 16, v8
	v_and_b32_e32 v90, 0xffff0000, v8
	s_add_u32 s0, s0, s6
	v_bfe_u32 v8, v0, 1, 5
	v_cmp_eq_u32_e32 vcc, 0, v4
	v_and_b32_e32 v4, 64, v34
	s_addc_u32 s1, s1, s7
	v_lshlrev_b32_e32 v2, 4, v8
	v_mov_b32_e32 v3, 0
	v_add_u32_e32 v37, 64, v4
	v_xor_b32_e32 v4, 1, v34
	v_lshlrev_b32_e32 v85, 16, v6
	v_and_b32_e32 v86, 0xffff0000, v6
	v_lshlrev_b32_e32 v87, 16, v7
	v_and_b32_e32 v88, 0xffff0000, v7
	v_lshl_add_u64 v[6:7], s[0:1], 0, v[2:3]
	v_cmp_lt_i32_e64 s[0:1], v4, v37
	s_sub_i32 s15, 1, s33
	v_and_b32_e32 v2, 8, v35
	v_cndmask_b32_e64 v4, v34, v4, s[0:1]
	v_lshlrev_b32_e32 v102, 2, v4
	v_lshlrev_b32_e32 v4, 5, v36
	s_lshl_b64 s[0:1], s[28:29], 2
	v_add3_u32 v103, s40, v4, v8
	v_lshlrev_b32_e32 v4, 2, v8
	s_add_u32 s0, s26, s0
	v_lshl_or_b32 v4, v36, 7, v4
	s_addc_u32 s1, s27, s1
	v_lshlrev_b32_e32 v53, 16, v16
	v_and_b32_e32 v54, 0xffff0000, v16
	v_lshlrev_b32_e32 v55, 16, v17
	v_and_b32_e32 v56, 0xffff0000, v17
	;; [unrolled: 2-line block ×9, first 2 shown]
	s_waitcnt lgkmcnt(0)
	v_lshlrev_b32_e32 v93, 16, v12
	v_and_b32_e32 v94, 0xffff0000, v12
	v_lshlrev_b32_e32 v95, 16, v13
	v_and_b32_e32 v96, 0xffff0000, v13
	;; [unrolled: 2-line block ×4, first 2 shown]
	v_lshl_add_u64 v[2:3], v[6:7], 0, v[2:3]
	s_mov_b32 s10, s13
	v_cmp_neq_f32_e64 s[6:7], s5, 0
	v_add_u32_e32 v104, 0x110, v4
	s_mov_b64 s[36:37], 0
	s_movk_i32 s42, 0x1000
	v_mov_b32_e32 v101, 0xff7fffff
	v_mov_b32_e32 v105, v10
	v_lshl_add_u64 v[4:5], v[10:11], 2, s[0:1]
	s_branch .LBB187_10
.LBB187_9:                              ;   in Loop: Header=BB187_10 Depth=1
	s_or_b64 exec, exec, s[38:39]
	v_add_u32_e32 v105, 2, v105
	v_cmp_le_i32_e64 s[0:1], s23, v105
	v_add_u32_e32 v103, 64, v103
	v_add_u32_e32 v104, 0x100, v104
	s_or_b64 s[36:37], s[0:1], s[36:37]
	v_lshl_add_u64 v[4:5], v[4:5], 0, 8
	s_andn2_b64 exec, exec, s[36:37]
	s_cbranch_execz .LBB187_12
.LBB187_10:                             ; =>This Inner Loop Header: Depth=1
	global_load_dword v6, v[4:5], off
	s_waitcnt vmcnt(0) lgkmcnt(0)
	v_mad_i64_i32 v[6:7], s[0:1], v6, s10, 0
	v_lshl_add_u64 v[6:7], v[6:7], 1, v[2:3]
	global_load_dwordx2 v[106:107], v[6:7], off
	global_load_dwordx2 v[108:109], v[6:7], off offset:512
	global_load_dwordx2 v[110:111], v[6:7], off offset:1024
	;; [unrolled: 1-line block ×7, first 2 shown]
	v_add_co_u32_e64 v6, s[0:1], s42, v6
	s_waitcnt vmcnt(7)
	v_lshlrev_b32_e32 v112, 16, v106
	v_addc_co_u32_e64 v7, s[0:1], 0, v7, s[0:1]
	global_load_dwordx2 v[22:23], v[6:7], off
	global_load_dwordx2 v[20:21], v[6:7], off offset:512
	global_load_dwordx2 v[18:19], v[6:7], off offset:1024
	;; [unrolled: 1-line block ×6, first 2 shown]
	s_nop 0
	global_load_dwordx2 v[6:7], v[6:7], off offset:3584
	v_and_b32_e32 v113, 0xffff0000, v106
	v_lshlrev_b32_e32 v114, 16, v107
	v_and_b32_e32 v115, 0xffff0000, v107
	s_waitcnt vmcnt(14)
	v_lshlrev_b32_e32 v106, 16, v108
	v_and_b32_e32 v107, 0xffff0000, v108
	v_mul_f32_e32 v106, v41, v106
	v_mul_f32_e32 v107, v42, v107
	v_lshlrev_b32_e32 v108, 16, v109
	v_fmac_f32_e32 v106, v1, v112
	v_fmac_f32_e32 v107, v38, v113
	v_mul_f32_e32 v108, v43, v108
	s_waitcnt vmcnt(13)
	v_lshlrev_b32_e32 v112, 16, v110
	v_and_b32_e32 v110, 0xffff0000, v110
	v_fmac_f32_e32 v108, v39, v114
	v_fmac_f32_e32 v107, v46, v110
	v_lshlrev_b32_e32 v110, 16, v111
	v_fmac_f32_e32 v108, v47, v110
	s_waitcnt vmcnt(12)
	v_lshlrev_b32_e32 v110, 16, v32
	v_and_b32_e32 v32, 0xffff0000, v32
	v_fmac_f32_e32 v107, v50, v32
	v_lshlrev_b32_e32 v32, 16, v33
	v_fmac_f32_e32 v108, v51, v32
	s_waitcnt vmcnt(11)
	v_lshlrev_b32_e32 v32, 16, v30
	v_and_b32_e32 v30, 0xffff0000, v30
	;; [unrolled: 6-line block ×5, first 2 shown]
	v_fmac_f32_e32 v107, v66, v24
	v_lshlrev_b32_e32 v24, 16, v25
	v_fmac_f32_e32 v108, v67, v24
	v_and_b32_e32 v109, 0xffff0000, v109
	v_mul_f32_e32 v109, v44, v109
	v_fmac_f32_e32 v106, v45, v112
	v_fmac_f32_e32 v109, v40, v115
	v_and_b32_e32 v111, 0xffff0000, v111
	v_fmac_f32_e32 v106, v49, v110
	v_fmac_f32_e32 v109, v48, v111
	v_and_b32_e32 v33, 0xffff0000, v33
	;; [unrolled: 3-line block ×6, first 2 shown]
	v_fmac_f32_e32 v109, v68, v25
	s_waitcnt vmcnt(7)
	v_lshlrev_b32_e32 v24, 16, v22
	v_and_b32_e32 v22, 0xffff0000, v22
	v_fmac_f32_e32 v107, v70, v22
	v_lshlrev_b32_e32 v22, 16, v23
	v_fmac_f32_e32 v108, v71, v22
	s_waitcnt vmcnt(6)
	v_lshlrev_b32_e32 v22, 16, v20
	v_and_b32_e32 v20, 0xffff0000, v20
	v_fmac_f32_e32 v107, v74, v20
	v_lshlrev_b32_e32 v20, 16, v21
	;; [unrolled: 6-line block ×4, first 2 shown]
	v_fmac_f32_e32 v106, v69, v24
	v_fmac_f32_e32 v108, v83, v16
	s_waitcnt vmcnt(3)
	v_lshlrev_b32_e32 v16, 16, v14
	v_and_b32_e32 v14, 0xffff0000, v14
	v_and_b32_e32 v23, 0xffff0000, v23
	v_fmac_f32_e32 v106, v73, v22
	v_fmac_f32_e32 v107, v86, v14
	v_lshlrev_b32_e32 v14, 16, v15
	v_fmac_f32_e32 v109, v72, v23
	v_and_b32_e32 v21, 0xffff0000, v21
	v_fmac_f32_e32 v106, v77, v20
	v_fmac_f32_e32 v108, v87, v14
	s_waitcnt vmcnt(2)
	v_lshlrev_b32_e32 v14, 16, v12
	v_and_b32_e32 v12, 0xffff0000, v12
	v_fmac_f32_e32 v109, v76, v21
	v_and_b32_e32 v19, 0xffff0000, v19
	v_fmac_f32_e32 v106, v81, v18
	v_fmac_f32_e32 v107, v90, v12
	v_lshlrev_b32_e32 v12, 16, v13
	v_fmac_f32_e32 v109, v80, v19
	v_and_b32_e32 v17, 0xffff0000, v17
	v_fmac_f32_e32 v106, v85, v16
	v_fmac_f32_e32 v108, v91, v12
	s_waitcnt vmcnt(1)
	v_lshlrev_b32_e32 v12, 16, v8
	v_and_b32_e32 v8, 0xffff0000, v8
	v_fmac_f32_e32 v109, v84, v17
	v_and_b32_e32 v15, 0xffff0000, v15
	v_fmac_f32_e32 v106, v89, v14
	v_fmac_f32_e32 v107, v94, v8
	v_lshlrev_b32_e32 v8, 16, v9
	v_fmac_f32_e32 v109, v88, v15
	v_and_b32_e32 v13, 0xffff0000, v13
	v_fmac_f32_e32 v106, v93, v12
	v_fmac_f32_e32 v108, v95, v8
	s_waitcnt vmcnt(0)
	v_lshlrev_b32_e32 v8, 16, v6
	v_and_b32_e32 v6, 0xffff0000, v6
	v_fmac_f32_e32 v109, v92, v13
	v_and_b32_e32 v9, 0xffff0000, v9
	v_fmac_f32_e32 v106, v97, v8
	v_fmac_f32_e32 v107, v98, v6
	v_lshlrev_b32_e32 v6, 16, v7
	v_fmac_f32_e32 v109, v96, v9
	v_and_b32_e32 v7, 0xffff0000, v7
	v_fmac_f32_e32 v108, v99, v6
	v_add_f32_e32 v6, v106, v107
	v_fmac_f32_e32 v109, v100, v7
	v_add_f32_e32 v6, v6, v108
	v_add_f32_e32 v6, v109, v6
	ds_bpermute_b32 v7, v102, v6
	s_and_saveexec_b64 s[38:39], vcc
	s_cbranch_execz .LBB187_9
; %bb.11:                               ;   in Loop: Header=BB187_10 Depth=1
	v_add_u32_e32 v8, s15, v103
	v_cvt_f32_i32_e32 v8, v8
	s_waitcnt lgkmcnt(0)
	v_add_f32_e32 v6, v6, v7
	v_cmp_gt_i32_e64 s[0:1], s33, v103
	v_max_f32_e32 v7, v101, v101
	v_mul_f32_e32 v8, s5, v8
	v_cndmask_b32_e64 v8, 0, v8, s[6:7]
	v_fmac_f32_e32 v8, s11, v6
	v_cndmask_b32_e64 v6, 0, v8, s[0:1]
	ds_write_b32 v104, v6
	v_max_f32_e32 v6, v7, v8
	v_cndmask_b32_e64 v101, v101, v6, s[0:1]
	s_branch .LBB187_9
.LBB187_12:
	s_or_b64 exec, exec, s[36:37]
.LBB187_13:
	s_or_b64 exec, exec, s[34:35]
	v_xor_b32_e32 v1, 32, v34
	v_cmp_lt_i32_e32 vcc, v1, v37
	v_xor_b32_e32 v4, 16, v34
	v_max_f32_e32 v3, v101, v101
	v_cndmask_b32_e32 v1, v34, v1, vcc
	v_lshlrev_b32_e32 v2, 2, v1
	ds_bpermute_b32 v1, v2, v101
	v_cmp_lt_i32_e32 vcc, v4, v37
	v_xor_b32_e32 v5, 8, v34
	v_xor_b32_e32 v6, 4, v34
	s_waitcnt lgkmcnt(0)
	v_xor_b32_e32 v7, 2, v34
	v_max_f32_e32 v1, v1, v1
	v_max_f32_e32 v1, v3, v1
	v_cndmask_b32_e32 v3, v34, v4, vcc
	v_lshlrev_b32_e32 v3, 2, v3
	ds_bpermute_b32 v4, v3, v1
	v_cmp_lt_i32_e32 vcc, v5, v37
	s_waitcnt lgkmcnt(0)
	v_max_f32_e32 v4, v4, v4
	v_max_f32_e32 v1, v1, v4
	v_cndmask_b32_e32 v4, v34, v5, vcc
	v_lshlrev_b32_e32 v5, 2, v4
	ds_bpermute_b32 v4, v5, v1
	v_cmp_lt_i32_e32 vcc, v6, v37
	s_waitcnt lgkmcnt(0)
	;; [unrolled: 7-line block ×3, first 2 shown]
	v_max_f32_e32 v4, v4, v4
	v_max_f32_e32 v4, v1, v4
	v_cndmask_b32_e32 v1, v34, v7, vcc
	v_lshlrev_b32_e32 v32, 2, v1
	ds_bpermute_b32 v8, v32, v4
	v_and_b32_e32 v1, 63, v0
	v_cmp_eq_u32_e32 vcc, 0, v1
	v_lshlrev_b32_e32 v7, 2, v36
	s_and_saveexec_b64 s[0:1], vcc
	s_cbranch_execz .LBB187_15
; %bb.14:
	s_waitcnt lgkmcnt(0)
	v_max_f32_e32 v8, v8, v8
	v_max_f32_e32 v4, v4, v4
	;; [unrolled: 1-line block ×3, first 2 shown]
	ds_write_b32 v7, v4 offset:256
.LBB187_15:
	s_or_b64 exec, exec, s[0:1]
	v_cmp_gt_u32_e64 s[0:1], 2, v1
	v_mov_b32_e32 v4, 0xff7fffff
	s_waitcnt lgkmcnt(0)
	v_lshlrev_b32_e32 v8, 2, v1
	s_barrier
	s_and_saveexec_b64 s[6:7], s[0:1]
	s_cbranch_execz .LBB187_17
; %bb.16:
	ds_read_b32 v4, v8 offset:256
.LBB187_17:
	s_or_b64 exec, exec, s[6:7]
	v_xor_b32_e32 v9, 1, v34
	v_cmp_lt_i32_e64 s[6:7], v9, v37
	s_sub_i32 s3, s23, s3
	s_lshl_b32 s3, s3, 5
	v_cndmask_b32_e64 v9, v34, v9, s[6:7]
	v_lshlrev_b32_e32 v33, 2, v9
	s_waitcnt lgkmcnt(0)
	ds_bpermute_b32 v9, v33, v4
	v_max_f32_e32 v4, v4, v4
	s_add_i32 s3, s3, s40
	s_min_i32 s5, s3, s33
	s_sub_i32 s3, s5, s40
	s_waitcnt lgkmcnt(0)
	v_max_f32_e32 v9, v9, v9
	v_max_f32_e32 v4, v4, v9
	v_lshlrev_b32_e32 v9, 2, v34
	v_and_b32_e32 v9, 0xffffff00, v9
	ds_bpermute_b32 v4, v9, v4
	v_cmp_gt_i32_e64 s[6:7], s3, v0
	v_mov_b32_e32 v12, 0
	s_and_saveexec_b64 s[34:35], s[6:7]
	s_cbranch_execz .LBB187_21
; %bb.18:
	v_mov_b32_e32 v12, 0x110
	v_lshl_add_u32 v13, v0, 2, v12
	s_mov_b64 s[36:37], 0
	v_mov_b32_e32 v12, 0
	v_mov_b32_e32 v14, v0
.LBB187_19:                             ; =>This Inner Loop Header: Depth=1
	ds_read_b32 v15, v13
	v_add_u32_e32 v14, 0x80, v14
	v_cmp_le_i32_e64 s[10:11], s3, v14
	s_or_b64 s[36:37], s[10:11], s[36:37]
	s_waitcnt lgkmcnt(0)
	v_sub_f32_e32 v15, v15, v4
	v_mul_f32_e32 v15, 0x3fb8aa3b, v15
	v_exp_f32_e32 v15, v15
	ds_write_b32 v13, v15
	v_add_f32_e32 v12, v12, v15
	v_add_u32_e32 v13, 0x200, v13
	s_andn2_b64 exec, exec, s[36:37]
	s_cbranch_execnz .LBB187_19
; %bb.20:
	s_or_b64 exec, exec, s[36:37]
.LBB187_21:
	s_or_b64 exec, exec, s[34:35]
	ds_bpermute_b32 v2, v2, v12
	s_waitcnt lgkmcnt(0)
	v_add_f32_e32 v2, v12, v2
	ds_bpermute_b32 v3, v3, v2
	s_waitcnt lgkmcnt(0)
	v_add_f32_e32 v2, v2, v3
	;; [unrolled: 3-line block ×6, first 2 shown]
	s_and_saveexec_b64 s[10:11], vcc
	s_cbranch_execz .LBB187_23
; %bb.22:
	ds_write_b32 v7, v2 offset:264
.LBB187_23:
	s_or_b64 exec, exec, s[10:11]
	s_waitcnt lgkmcnt(0)
	s_barrier
	s_and_saveexec_b64 s[10:11], s[0:1]
	s_cbranch_execz .LBB187_25
; %bb.24:
	ds_read_b32 v2, v8 offset:264
.LBB187_25:
	s_or_b64 exec, exec, s[10:11]
	s_waitcnt lgkmcnt(0)
	ds_bpermute_b32 v3, v33, v2
	s_waitcnt lgkmcnt(0)
	v_add_f32_e32 v2, v2, v3
	ds_bpermute_b32 v5, v9, v2
	s_and_saveexec_b64 s[0:1], s[6:7]
	s_cbranch_execz .LBB187_38
; %bb.26:
	s_waitcnt lgkmcnt(0)
	v_add_f32_e32 v2, 0x358637bd, v5
	v_div_scale_f32 v3, s[6:7], v2, v2, 1.0
	v_rcp_f32_e32 v6, v3
	v_div_scale_f32 v7, vcc, 1.0, v2, 1.0
	s_mov_b64 s[10:11], -1
	v_fma_f32 v8, -v3, v6, 1.0
	v_fmac_f32_e32 v6, v8, v6
	v_mul_f32_e32 v8, v7, v6
	v_fma_f32 v9, -v3, v8, v7
	v_fmac_f32_e32 v8, v9, v6
	v_fma_f32 v3, -v3, v8, v7
	v_div_fmas_f32 v3, v3, v6, v8
	v_div_fixup_f32 v2, v3, v2, 1.0
	v_xad_u32 v3, v0, -1, s5
	v_subrev_u32_e32 v6, s40, v3
	s_movk_i32 s5, 0x7f
	v_cmp_lt_u32_e32 vcc, s5, v6
	v_mov_b32_e32 v3, v0
	s_and_saveexec_b64 s[6:7], vcc
	s_cbranch_execz .LBB187_35
; %bb.27:
	v_lshrrev_b32_e32 v6, 7, v6
	v_add_u32_e32 v8, -1, v6
	v_lshrrev_b32_e32 v7, 1, v8
	v_mov_b32_e32 v3, v2
	v_add_u32_e32 v7, 1, v7
	v_cmp_lt_u32_e32 vcc, 13, v8
	v_mov_b32_e32 v12, 0
	s_and_saveexec_b64 s[10:11], vcc
	s_cbranch_execz .LBB187_31
; %bb.28:
	v_mov_b32_e32 v9, 0x110
	v_and_b32_e32 v8, -8, v7
	v_lshl_add_u32 v9, v0, 2, v9
	s_mov_b32 s5, 0
	s_mov_b64 s[34:35], 0
.LBB187_29:                             ; =>This Inner Loop Header: Depth=1
	ds_read2st64_b32 v[12:13], v9 offset1:2
	ds_read2st64_b32 v[14:15], v9 offset0:4 offset1:6
	ds_read2st64_b32 v[16:17], v9 offset0:8 offset1:10
	;; [unrolled: 1-line block ×3, first 2 shown]
	v_add_u32_e32 v8, -8, v8
	s_waitcnt lgkmcnt(3)
	v_pk_mul_f32 v[12:13], v[2:3], v[12:13]
	s_waitcnt lgkmcnt(2)
	v_pk_mul_f32 v[14:15], v[2:3], v[14:15]
	ds_write2st64_b32 v9, v12, v13 offset1:2
	ds_write2st64_b32 v9, v14, v15 offset0:4 offset1:6
	ds_read2st64_b32 v[14:15], v9 offset0:16 offset1:18
	s_waitcnt lgkmcnt(4)
	v_pk_mul_f32 v[12:13], v[2:3], v[16:17]
	ds_write2st64_b32 v9, v12, v13 offset0:8 offset1:10
	s_waitcnt lgkmcnt(4)
	v_pk_mul_f32 v[12:13], v[2:3], v[18:19]
	ds_write2st64_b32 v9, v12, v13 offset0:12 offset1:14
	ds_read2st64_b32 v[12:13], v9 offset0:20 offset1:22
	s_waitcnt lgkmcnt(3)
	v_pk_mul_f32 v[14:15], v[2:3], v[14:15]
	ds_read2st64_b32 v[16:17], v9 offset0:24 offset1:26
	ds_write2st64_b32 v9, v14, v15 offset0:16 offset1:18
	ds_read2st64_b32 v[14:15], v9 offset0:28 offset1:30
	s_waitcnt lgkmcnt(3)
	v_pk_mul_f32 v[12:13], v[2:3], v[12:13]
	ds_write2st64_b32 v9, v12, v13 offset0:20 offset1:22
	s_waitcnt lgkmcnt(3)
	v_pk_mul_f32 v[12:13], v[2:3], v[16:17]
	ds_write2st64_b32 v9, v12, v13 offset0:24 offset1:26
	s_waitcnt lgkmcnt(2)
	v_pk_mul_f32 v[12:13], v[2:3], v[14:15]
	s_add_i32 s5, s5, 16
	v_cmp_eq_u32_e32 vcc, 0, v8
	ds_write2st64_b32 v9, v12, v13 offset0:28 offset1:30
	v_add_u32_e32 v9, 0x2000, v9
	s_or_b64 s[34:35], vcc, s[34:35]
	v_mov_b32_e32 v12, s5
	s_andn2_b64 exec, exec, s[34:35]
	s_cbranch_execnz .LBB187_29
; %bb.30:
	s_or_b64 exec, exec, s[34:35]
.LBB187_31:
	s_or_b64 exec, exec, s[10:11]
	v_and_b32_e32 v7, 7, v7
	v_cmp_ne_u32_e32 vcc, 0, v7
	s_and_saveexec_b64 s[10:11], vcc
	s_cbranch_execz .LBB187_34
; %bb.32:
	v_lshlrev_b32_e32 v8, 9, v12
	v_lshlrev_b32_e32 v9, 2, v0
	s_movk_i32 s5, 0x110
	v_add3_u32 v8, v8, v9, s5
	s_mov_b64 s[34:35], 0
.LBB187_33:                             ; =>This Inner Loop Header: Depth=1
	ds_read2st64_b32 v[12:13], v8 offset1:2
	v_add_u32_e32 v7, -1, v7
	v_cmp_eq_u32_e32 vcc, 0, v7
	s_or_b64 s[34:35], vcc, s[34:35]
	s_waitcnt lgkmcnt(0)
	v_pk_mul_f32 v[12:13], v[2:3], v[12:13]
	ds_write2st64_b32 v8, v12, v13 offset1:2
	v_add_u32_e32 v8, 0x400, v8
	s_andn2_b64 exec, exec, s[34:35]
	s_cbranch_execnz .LBB187_33
.LBB187_34:
	s_or_b64 exec, exec, s[10:11]
	v_add_u32_e32 v6, 1, v6
	v_and_b32_e32 v7, 0x3fffffe, v6
	v_cmp_ne_u32_e32 vcc, v6, v7
	v_lshl_add_u32 v3, v7, 7, v0
	s_orn2_b64 s[10:11], vcc, exec
.LBB187_35:
	s_or_b64 exec, exec, s[6:7]
	s_and_b64 exec, exec, s[10:11]
	s_cbranch_execz .LBB187_38
; %bb.36:
	v_mov_b32_e32 v6, 0x110
	v_lshl_add_u32 v6, v3, 2, v6
	s_mov_b64 s[6:7], 0
.LBB187_37:                             ; =>This Inner Loop Header: Depth=1
	ds_read_b32 v7, v6
	v_add_u32_e32 v3, 0x80, v3
	v_cmp_le_i32_e32 vcc, s3, v3
	s_or_b64 s[6:7], vcc, s[6:7]
	s_waitcnt lgkmcnt(0)
	v_mul_f32_e32 v7, v2, v7
	ds_write_b32 v6, v7
	v_add_u32_e32 v6, 0x200, v6
	s_andn2_b64 exec, exec, s[6:7]
	s_cbranch_execnz .LBB187_37
.LBB187_38:
	s_or_b64 exec, exec, s[0:1]
	v_cmp_eq_u32_e32 vcc, 0, v0
	s_waitcnt lgkmcnt(0)
	s_barrier
	s_and_saveexec_b64 s[0:1], vcc
	s_cbranch_execz .LBB187_40
; %bb.39:
	s_mul_i32 s3, s12, s20
	s_mul_i32 s6, s3, s21
	s_ashr_i32 s7, s6, 31
	s_lshl_b64 s[6:7], s[6:7], 2
	s_add_u32 s5, s18, s6
	s_mul_i32 s2, s12, s2
	s_addc_u32 s10, s19, s7
	s_ashr_i32 s3, s2, 31
	s_lshl_b64 s[2:3], s[2:3], 2
	s_add_u32 s15, s5, s2
	s_addc_u32 s19, s10, s3
	s_ashr_i32 s5, s4, 31
	s_lshl_b64 s[10:11], s[4:5], 2
	s_add_u32 s18, s15, s10
	s_addc_u32 s19, s19, s11
	s_add_u32 s5, s16, s6
	s_addc_u32 s6, s17, s7
	;; [unrolled: 2-line block ×3, first 2 shown]
	s_add_u32 s2, s2, s10
	v_mov_b32_e32 v2, 0
	s_addc_u32 s3, s3, s11
	global_store_dword v2, v4, s[18:19]
	global_store_dword v2, v5, s[2:3]
.LBB187_40:
	s_or_b64 exec, exec, s[0:1]
	v_mov_b32_e32 v13, 0
	v_and_b32_e32 v34, 3, v0
	v_mov_b32_e32 v12, 0
	v_mov_b32_e32 v15, 0
	;; [unrolled: 1-line block ×7, first 2 shown]
	s_and_saveexec_b64 s[2:3], s[8:9]
	s_cbranch_execz .LBB187_348
; %bb.41:
	s_ashr_i32 s15, s14, 31
	s_lshl_b64 s[0:1], s[14:15], 1
	s_add_u32 s6, s30, s0
	v_and_b32_e32 v3, 24, v35
	s_mov_b32 s5, s13
	s_addc_u32 s7, s31, s1
	s_add_i32 s13, s41, -1
	v_lshl_add_u32 v5, v36, 5, s40
	s_lshl_b64 s[0:1], s[28:29], 2
	v_and_b32_e32 v2, 0x1f8, v35
	v_add3_u32 v35, v5, v3, 7
	v_lshlrev_b32_e32 v3, 5, v34
	s_add_u32 s0, s26, s0
	v_mov_b32_e32 v21, 0
	v_or_b32_e32 v4, 0x800, v2
	v_or_b32_e32 v6, 0xa00, v2
	;; [unrolled: 1-line block ×4, first 2 shown]
	v_lshl_or_b32 v3, v36, 7, v3
	s_addc_u32 s1, s27, s1
	v_add_u32_e32 v36, 0x110, v3
	v_lshl_add_u64 v[22:23], v[10:11], 2, s[0:1]
	s_mov_b64 s[8:9], 0
	s_mov_b32 s14, 0x7f800000
	s_movk_i32 s15, 0x7fff
	v_lshlrev_b32_e32 v20, 1, v2
	v_lshlrev_b32_e32 v24, 1, v4
	;; [unrolled: 1-line block ×5, first 2 shown]
	v_mov_b32_e32 v18, v21
	v_mov_b32_e32 v19, v21
	;; [unrolled: 1-line block ×8, first 2 shown]
	s_branch .LBB187_43
.LBB187_42:                             ;   in Loop: Header=BB187_43 Depth=1
	s_or_b64 exec, exec, s[0:1]
	v_and_b32_e32 v47, 0xffff0000, v39
	v_and_b32_e32 v46, 0xffff0000, v37
	;; [unrolled: 1-line block ×8, first 2 shown]
	v_pk_add_f32 v[38:39], v[38:39], v[46:47]
	v_pk_add_f32 v[40:41], v[40:41], v[44:45]
	v_add_f32_e32 v11, v38, v39
	v_add_f32_e32 v11, v11, v40
	v_and_b32_e32 v45, 0xffff0000, v62
	v_and_b32_e32 v44, 0xffff0000, v60
	;; [unrolled: 1-line block ×4, first 2 shown]
	v_add_f32_e32 v11, v11, v41
	v_and_b32_e32 v39, 0xffff0000, v66
	v_and_b32_e32 v38, 0xffff0000, v64
	;; [unrolled: 1-line block ×4, first 2 shown]
	v_pk_add_f32 v[44:45], v[46:47], v[44:45]
	v_add_f32_e32 v18, v18, v11
	v_pk_add_f32 v[38:39], v[40:41], v[38:39]
	v_add_f32_e32 v11, v44, v45
	v_add_f32_e32 v11, v11, v38
	v_and_b32_e32 v45, 0xffff0000, v70
	v_and_b32_e32 v44, 0xffff0000, v68
	;; [unrolled: 1-line block ×4, first 2 shown]
	v_add_f32_e32 v11, v11, v39
	v_and_b32_e32 v39, 0xffff0000, v74
	v_and_b32_e32 v38, 0xffff0000, v72
	;; [unrolled: 1-line block ×4, first 2 shown]
	v_pk_add_f32 v[44:45], v[46:47], v[44:45]
	v_add_f32_e32 v19, v19, v11
	v_pk_add_f32 v[38:39], v[40:41], v[38:39]
	v_add_f32_e32 v11, v44, v45
	v_add_f32_e32 v11, v11, v38
	v_and_b32_e32 v45, 0xffff0000, v76
	v_and_b32_e32 v44, 0xffff0000, v9
	;; [unrolled: 1-line block ×4, first 2 shown]
	v_add_f32_e32 v11, v11, v39
	v_and_b32_e32 v39, 0xffff0000, v80
	v_and_b32_e32 v38, 0xffff0000, v78
	;; [unrolled: 1-line block ×4, first 2 shown]
	v_pk_add_f32 v[8:9], v[8:9], v[44:45]
	v_pk_add_f32 v[38:39], v[40:41], v[38:39]
	v_add_f32_e32 v8, v8, v9
	v_add_f32_e32 v8, v8, v38
	;; [unrolled: 1-line block ×3, first 2 shown]
	v_and_b32_e32 v41, 0xffff0000, v83
	v_and_b32_e32 v40, 0xffff0000, v81
	;; [unrolled: 1-line block ×4, first 2 shown]
	v_add_f32_e32 v17, v17, v8
	v_and_b32_e32 v9, 0xffff0000, v87
	v_and_b32_e32 v8, 0xffff0000, v85
	v_and_b32_e32 v39, 0xffff0000, v86
	v_and_b32_e32 v38, 0xffff0000, v84
	v_pk_add_f32 v[40:41], v[44:45], v[40:41]
	v_add_f32_e32 v16, v16, v11
	v_pk_add_f32 v[8:9], v[38:39], v[8:9]
	v_add_f32_e32 v11, v40, v41
	v_add_f32_e32 v8, v11, v8
	v_add_f32_e32 v8, v8, v9
	v_and_b32_e32 v41, 0xffff0000, v90
	v_and_b32_e32 v40, 0xffff0000, v88
	v_and_b32_e32 v45, 0xffff0000, v89
	v_and_b32_e32 v44, 0xffff0000, v27
	v_add_f32_e32 v14, v14, v8
	v_and_b32_e32 v9, 0xffff0000, v94
	v_and_b32_e32 v8, 0xffff0000, v92
	v_and_b32_e32 v39, 0xffff0000, v93
	v_and_b32_e32 v38, 0xffff0000, v91
	v_pk_add_f32 v[40:41], v[44:45], v[40:41]
	v_pk_add_f32 v[8:9], v[38:39], v[8:9]
	v_add_f32_e32 v11, v40, v41
	v_add_f32_e32 v8, v11, v8
	v_add_f32_e32 v8, v8, v9
	v_and_b32_e32 v41, 0xffff0000, v97
	v_and_b32_e32 v40, 0xffff0000, v95
	v_and_b32_e32 v45, 0xffff0000, v96
	v_and_b32_e32 v44, 0xffff0000, v29
	v_add_f32_e32 v15, v15, v8
	v_and_b32_e32 v9, 0xffff0000, v101
	v_and_b32_e32 v8, 0xffff0000, v99
	v_and_b32_e32 v39, 0xffff0000, v100
	v_and_b32_e32 v38, 0xffff0000, v98
	v_pk_add_f32 v[40:41], v[44:45], v[40:41]
	;; [unrolled: 14-line block ×3, first 2 shown]
	v_pk_add_f32 v[4:5], v[4:5], v[8:9]
	v_add_f32_e32 v2, v2, v3
	v_add_f32_e32 v2, v2, v4
	v_add_u32_e32 v10, 2, v10
	v_add_f32_e32 v2, v2, v5
	v_cmp_le_i32_e32 vcc, s23, v10
	v_add_f32_e32 v13, v13, v2
	v_add_u32_e32 v35, 64, v35
	v_add_u32_e32 v36, 0x100, v36
	s_or_b64 s[8:9], vcc, s[8:9]
	v_lshl_add_u64 v[22:23], v[22:23], 0, 8
	s_andn2_b64 exec, exec, s[8:9]
	s_cbranch_execz .LBB187_347
.LBB187_43:                             ; =>This Inner Loop Header: Depth=1
	global_load_dword v40, v[22:23], off
	ds_read2_b64 v[6:9], v36 offset1:1
	ds_read2_b64 v[2:5], v36 offset0:2 offset1:3
	s_waitcnt lgkmcnt(1)
	v_and_b32_e32 v11, 0x7f800000, v6
	v_cmp_ne_u32_e32 vcc, s14, v11
                                        ; implicit-def: $vgpr11
	s_and_saveexec_b64 s[0:1], vcc
	s_xor_b64 s[0:1], exec, s[0:1]
; %bb.44:                               ;   in Loop: Header=BB187_43 Depth=1
	v_bfe_u32 v11, v6, 16, 1
	v_add3_u32 v11, v6, v11, s15
; %bb.45:                               ;   in Loop: Header=BB187_43 Depth=1
	s_andn2_saveexec_b64 s[0:1], s[0:1]
; %bb.46:                               ;   in Loop: Header=BB187_43 Depth=1
	v_or_b32_e32 v11, 0x10000, v6
	v_cmp_eq_u32_sdwa vcc, v6, v21 src0_sel:WORD_0 src1_sel:DWORD
	s_nop 1
	v_cndmask_b32_e32 v11, v11, v6, vcc
; %bb.47:                               ;   in Loop: Header=BB187_43 Depth=1
	s_or_b64 exec, exec, s[0:1]
	v_and_b32_e32 v6, 0x7f800000, v7
	v_cmp_ne_u32_e32 vcc, s14, v6
                                        ; implicit-def: $vgpr37
	s_and_saveexec_b64 s[0:1], vcc
	s_xor_b64 s[0:1], exec, s[0:1]
; %bb.48:                               ;   in Loop: Header=BB187_43 Depth=1
	v_bfe_u32 v6, v7, 16, 1
	v_add3_u32 v37, v7, v6, s15
; %bb.49:                               ;   in Loop: Header=BB187_43 Depth=1
	s_andn2_saveexec_b64 s[0:1], s[0:1]
; %bb.50:                               ;   in Loop: Header=BB187_43 Depth=1
	v_or_b32_e32 v6, 0x10000, v7
	v_cmp_eq_u32_sdwa vcc, v7, v21 src0_sel:WORD_0 src1_sel:DWORD
	s_nop 1
	v_cndmask_b32_e32 v37, v6, v7, vcc
; %bb.51:                               ;   in Loop: Header=BB187_43 Depth=1
	s_or_b64 exec, exec, s[0:1]
	v_and_b32_e32 v6, 0x7f800000, v8
	v_cmp_ne_u32_e32 vcc, s14, v6
                                        ; implicit-def: $vgpr38
	s_and_saveexec_b64 s[0:1], vcc
	s_xor_b64 s[0:1], exec, s[0:1]
; %bb.52:                               ;   in Loop: Header=BB187_43 Depth=1
	v_bfe_u32 v6, v8, 16, 1
	v_add3_u32 v38, v8, v6, s15
; %bb.53:                               ;   in Loop: Header=BB187_43 Depth=1
	s_andn2_saveexec_b64 s[0:1], s[0:1]
; %bb.54:                               ;   in Loop: Header=BB187_43 Depth=1
	v_or_b32_e32 v6, 0x10000, v8
	v_cmp_eq_u32_sdwa vcc, v8, v21 src0_sel:WORD_0 src1_sel:DWORD
	s_nop 1
	v_cndmask_b32_e32 v38, v6, v8, vcc
; %bb.55:                               ;   in Loop: Header=BB187_43 Depth=1
	s_or_b64 exec, exec, s[0:1]
	v_and_b32_e32 v6, 0x7f800000, v9
	v_cmp_ne_u32_e32 vcc, s14, v6
                                        ; implicit-def: $vgpr39
	s_and_saveexec_b64 s[0:1], vcc
	s_xor_b64 s[0:1], exec, s[0:1]
; %bb.56:                               ;   in Loop: Header=BB187_43 Depth=1
	v_bfe_u32 v6, v9, 16, 1
	v_add3_u32 v39, v9, v6, s15
                                        ; implicit-def: $vgpr6_vgpr7_vgpr8_vgpr9
; %bb.57:                               ;   in Loop: Header=BB187_43 Depth=1
	s_andn2_saveexec_b64 s[0:1], s[0:1]
; %bb.58:                               ;   in Loop: Header=BB187_43 Depth=1
	v_or_b32_e32 v6, 0x10000, v9
	v_cmp_eq_u32_sdwa vcc, v9, v21 src0_sel:WORD_0 src1_sel:DWORD
	s_nop 1
	v_cndmask_b32_e32 v39, v6, v9, vcc
; %bb.59:                               ;   in Loop: Header=BB187_43 Depth=1
	s_or_b64 exec, exec, s[0:1]
	s_waitcnt lgkmcnt(0)
	v_and_b32_e32 v6, 0x7f800000, v2
	v_cmp_ne_u32_e32 vcc, s14, v6
                                        ; implicit-def: $vgpr31
	s_and_saveexec_b64 s[0:1], vcc
	s_xor_b64 s[0:1], exec, s[0:1]
; %bb.60:                               ;   in Loop: Header=BB187_43 Depth=1
	v_bfe_u32 v6, v2, 16, 1
	v_add3_u32 v31, v2, v6, s15
; %bb.61:                               ;   in Loop: Header=BB187_43 Depth=1
	s_andn2_saveexec_b64 s[0:1], s[0:1]
; %bb.62:                               ;   in Loop: Header=BB187_43 Depth=1
	v_or_b32_e32 v6, 0x10000, v2
	v_cmp_eq_u32_sdwa vcc, v2, v21 src0_sel:WORD_0 src1_sel:DWORD
	s_nop 1
	v_cndmask_b32_e32 v31, v6, v2, vcc
; %bb.63:                               ;   in Loop: Header=BB187_43 Depth=1
	s_or_b64 exec, exec, s[0:1]
	v_and_b32_e32 v2, 0x7f800000, v3
	v_cmp_ne_u32_e32 vcc, s14, v2
                                        ; implicit-def: $vgpr29
	s_and_saveexec_b64 s[0:1], vcc
	s_xor_b64 s[0:1], exec, s[0:1]
; %bb.64:                               ;   in Loop: Header=BB187_43 Depth=1
	v_bfe_u32 v2, v3, 16, 1
	v_add3_u32 v29, v3, v2, s15
; %bb.65:                               ;   in Loop: Header=BB187_43 Depth=1
	s_andn2_saveexec_b64 s[0:1], s[0:1]
; %bb.66:                               ;   in Loop: Header=BB187_43 Depth=1
	v_or_b32_e32 v2, 0x10000, v3
	v_cmp_eq_u32_sdwa vcc, v3, v21 src0_sel:WORD_0 src1_sel:DWORD
	s_nop 1
	v_cndmask_b32_e32 v29, v2, v3, vcc
; %bb.67:                               ;   in Loop: Header=BB187_43 Depth=1
	s_or_b64 exec, exec, s[0:1]
	v_and_b32_e32 v2, 0x7f800000, v4
	v_cmp_ne_u32_e32 vcc, s14, v2
                                        ; implicit-def: $vgpr27
	s_and_saveexec_b64 s[0:1], vcc
	s_xor_b64 s[0:1], exec, s[0:1]
; %bb.68:                               ;   in Loop: Header=BB187_43 Depth=1
	v_bfe_u32 v2, v4, 16, 1
	v_add3_u32 v27, v4, v2, s15
; %bb.69:                               ;   in Loop: Header=BB187_43 Depth=1
	s_andn2_saveexec_b64 s[0:1], s[0:1]
; %bb.70:                               ;   in Loop: Header=BB187_43 Depth=1
	v_or_b32_e32 v2, 0x10000, v4
	v_cmp_eq_u32_sdwa vcc, v4, v21 src0_sel:WORD_0 src1_sel:DWORD
	s_nop 1
	v_cndmask_b32_e32 v27, v2, v4, vcc
; %bb.71:                               ;   in Loop: Header=BB187_43 Depth=1
	s_or_b64 exec, exec, s[0:1]
	v_and_b32_e32 v2, 0x7f800000, v5
	v_cmp_ne_u32_e32 vcc, s14, v2
                                        ; implicit-def: $vgpr25
	s_and_saveexec_b64 s[0:1], vcc
	s_xor_b64 s[0:1], exec, s[0:1]
; %bb.72:                               ;   in Loop: Header=BB187_43 Depth=1
	v_bfe_u32 v2, v5, 16, 1
	v_add3_u32 v25, v5, v2, s15
                                        ; implicit-def: $vgpr2_vgpr3_vgpr4_vgpr5
; %bb.73:                               ;   in Loop: Header=BB187_43 Depth=1
	s_andn2_saveexec_b64 s[0:1], s[0:1]
; %bb.74:                               ;   in Loop: Header=BB187_43 Depth=1
	v_or_b32_e32 v2, 0x10000, v5
	v_cmp_eq_u32_sdwa vcc, v5, v21 src0_sel:WORD_0 src1_sel:DWORD
	s_nop 1
	v_cndmask_b32_e32 v25, v2, v5, vcc
; %bb.75:                               ;   in Loop: Header=BB187_43 Depth=1
	s_or_b64 exec, exec, s[0:1]
	s_waitcnt vmcnt(0)
	v_mad_i64_i32 v[2:3], s[0:1], v40, s5, 0
	v_lshl_add_u64 v[6:7], v[2:3], 1, s[6:7]
	v_lshl_add_u64 v[8:9], v[6:7], 0, v[20:21]
	global_load_dwordx4 v[2:5], v[8:9], off
	v_add_u32_e32 v43, -7, v35
	v_cmp_eq_u32_e32 vcc, s13, v10
	v_add_u32_e32 v49, -6, v35
	v_add_u32_e32 v47, -5, v35
	;; [unrolled: 1-line block ×6, first 2 shown]
	s_waitcnt vmcnt(0)
	v_lshrrev_b32_e32 v42, 16, v2
	v_lshrrev_b32_e32 v40, 16, v3
	v_lshrrev_b32_e32 v41, 16, v4
	v_lshrrev_b32_e32 v50, 16, v5
	s_and_saveexec_b64 s[10:11], vcc
	s_cbranch_execz .LBB187_77
; %bb.76:                               ;   in Loop: Header=BB187_43 Depth=1
	v_cmp_gt_i32_e64 s[0:1], s33, v43
	s_nop 1
	v_cndmask_b32_e64 v2, 0, v2, s[0:1]
	v_cmp_gt_i32_e64 s[0:1], s33, v49
	s_nop 1
	v_cndmask_b32_e64 v42, 0, v42, s[0:1]
	;; [unrolled: 3-line block ×8, first 2 shown]
.LBB187_77:                             ;   in Loop: Header=BB187_43 Depth=1
	s_or_b64 exec, exec, s[10:11]
	v_and_b32_e32 v51, 0xffff0000, v11
	v_lshlrev_b32_e32 v2, 16, v2
	v_mul_f32_e32 v2, v51, v2
	v_and_b32_e32 v11, 0x7f800000, v2
	v_cmp_ne_u32_e64 s[0:1], s14, v11
                                        ; implicit-def: $vgpr11
	s_and_saveexec_b64 s[10:11], s[0:1]
	s_xor_b64 s[0:1], exec, s[10:11]
; %bb.78:                               ;   in Loop: Header=BB187_43 Depth=1
	v_bfe_u32 v11, v2, 16, 1
	v_add3_u32 v11, v2, v11, s15
                                        ; implicit-def: $vgpr2
; %bb.79:                               ;   in Loop: Header=BB187_43 Depth=1
	s_andn2_saveexec_b64 s[10:11], s[0:1]
; %bb.80:                               ;   in Loop: Header=BB187_43 Depth=1
	v_or_b32_e32 v11, 0x10000, v2
	v_cmp_eq_u32_sdwa s[0:1], v2, v21 src0_sel:WORD_0 src1_sel:DWORD
	s_nop 1
	v_cndmask_b32_e64 v11, v11, v2, s[0:1]
; %bb.81:                               ;   in Loop: Header=BB187_43 Depth=1
	s_or_b64 exec, exec, s[10:11]
	v_and_b32_e32 v52, 0xffff0000, v37
	v_lshlrev_b32_e32 v2, 16, v42
	v_mul_f32_e32 v2, v52, v2
	v_and_b32_e32 v37, 0x7f800000, v2
	v_cmp_ne_u32_e64 s[0:1], s14, v37
                                        ; implicit-def: $vgpr37
	s_and_saveexec_b64 s[10:11], s[0:1]
	s_xor_b64 s[0:1], exec, s[10:11]
; %bb.82:                               ;   in Loop: Header=BB187_43 Depth=1
	v_bfe_u32 v37, v2, 16, 1
	v_add3_u32 v37, v2, v37, s15
                                        ; implicit-def: $vgpr2
; %bb.83:                               ;   in Loop: Header=BB187_43 Depth=1
	s_andn2_saveexec_b64 s[10:11], s[0:1]
; %bb.84:                               ;   in Loop: Header=BB187_43 Depth=1
	v_or_b32_e32 v37, 0x10000, v2
	v_cmp_eq_u32_sdwa s[0:1], v2, v21 src0_sel:WORD_0 src1_sel:DWORD
	s_nop 1
	v_cndmask_b32_e64 v37, v37, v2, s[0:1]
; %bb.85:                               ;   in Loop: Header=BB187_43 Depth=1
	s_or_b64 exec, exec, s[10:11]
	v_and_b32_e32 v53, 0xffff0000, v38
	v_lshlrev_b32_e32 v2, 16, v3
	v_mul_f32_e32 v2, v53, v2
	v_and_b32_e32 v3, 0x7f800000, v2
	v_cmp_ne_u32_e64 s[0:1], s14, v3
                                        ; implicit-def: $vgpr38
	s_and_saveexec_b64 s[10:11], s[0:1]
	s_xor_b64 s[0:1], exec, s[10:11]
; %bb.86:                               ;   in Loop: Header=BB187_43 Depth=1
	v_bfe_u32 v3, v2, 16, 1
	v_add3_u32 v38, v2, v3, s15
                                        ; implicit-def: $vgpr2
; %bb.87:                               ;   in Loop: Header=BB187_43 Depth=1
	s_andn2_saveexec_b64 s[10:11], s[0:1]
; %bb.88:                               ;   in Loop: Header=BB187_43 Depth=1
	v_or_b32_e32 v3, 0x10000, v2
	v_cmp_eq_u32_sdwa s[0:1], v2, v21 src0_sel:WORD_0 src1_sel:DWORD
	s_nop 1
	v_cndmask_b32_e64 v38, v3, v2, s[0:1]
; %bb.89:                               ;   in Loop: Header=BB187_43 Depth=1
	s_or_b64 exec, exec, s[10:11]
	v_and_b32_e32 v54, 0xffff0000, v39
	v_lshlrev_b32_e32 v2, 16, v40
	v_mul_f32_e32 v2, v54, v2
	v_and_b32_e32 v3, 0x7f800000, v2
	v_cmp_ne_u32_e64 s[0:1], s14, v3
                                        ; implicit-def: $vgpr39
	s_and_saveexec_b64 s[10:11], s[0:1]
	s_xor_b64 s[0:1], exec, s[10:11]
; %bb.90:                               ;   in Loop: Header=BB187_43 Depth=1
	v_bfe_u32 v3, v2, 16, 1
	v_add3_u32 v39, v2, v3, s15
                                        ; implicit-def: $vgpr2
; %bb.91:                               ;   in Loop: Header=BB187_43 Depth=1
	s_andn2_saveexec_b64 s[10:11], s[0:1]
; %bb.92:                               ;   in Loop: Header=BB187_43 Depth=1
	v_or_b32_e32 v3, 0x10000, v2
	v_cmp_eq_u32_sdwa s[0:1], v2, v21 src0_sel:WORD_0 src1_sel:DWORD
	s_nop 1
	v_cndmask_b32_e64 v39, v3, v2, s[0:1]
; %bb.93:                               ;   in Loop: Header=BB187_43 Depth=1
	s_or_b64 exec, exec, s[10:11]
	v_and_b32_e32 v55, 0xffff0000, v31
	v_lshlrev_b32_e32 v2, 16, v4
	v_mul_f32_e32 v2, v55, v2
	v_and_b32_e32 v3, 0x7f800000, v2
	v_cmp_ne_u32_e64 s[0:1], s14, v3
                                        ; implicit-def: $vgpr40
	s_and_saveexec_b64 s[10:11], s[0:1]
	s_xor_b64 s[0:1], exec, s[10:11]
; %bb.94:                               ;   in Loop: Header=BB187_43 Depth=1
	v_bfe_u32 v3, v2, 16, 1
	v_add3_u32 v40, v2, v3, s15
                                        ; implicit-def: $vgpr2
; %bb.95:                               ;   in Loop: Header=BB187_43 Depth=1
	s_andn2_saveexec_b64 s[10:11], s[0:1]
; %bb.96:                               ;   in Loop: Header=BB187_43 Depth=1
	v_or_b32_e32 v3, 0x10000, v2
	v_cmp_eq_u32_sdwa s[0:1], v2, v21 src0_sel:WORD_0 src1_sel:DWORD
	s_nop 1
	v_cndmask_b32_e64 v40, v3, v2, s[0:1]
; %bb.97:                               ;   in Loop: Header=BB187_43 Depth=1
	s_or_b64 exec, exec, s[10:11]
	v_and_b32_e32 v56, 0xffff0000, v29
	v_lshlrev_b32_e32 v2, 16, v41
	v_mul_f32_e32 v2, v56, v2
	v_and_b32_e32 v3, 0x7f800000, v2
	v_cmp_ne_u32_e64 s[0:1], s14, v3
                                        ; implicit-def: $vgpr41
	s_and_saveexec_b64 s[10:11], s[0:1]
	s_xor_b64 s[0:1], exec, s[10:11]
; %bb.98:                               ;   in Loop: Header=BB187_43 Depth=1
	v_bfe_u32 v3, v2, 16, 1
	v_add3_u32 v41, v2, v3, s15
                                        ; implicit-def: $vgpr2
; %bb.99:                               ;   in Loop: Header=BB187_43 Depth=1
	s_andn2_saveexec_b64 s[10:11], s[0:1]
; %bb.100:                              ;   in Loop: Header=BB187_43 Depth=1
	v_or_b32_e32 v3, 0x10000, v2
	v_cmp_eq_u32_sdwa s[0:1], v2, v21 src0_sel:WORD_0 src1_sel:DWORD
	s_nop 1
	v_cndmask_b32_e64 v41, v3, v2, s[0:1]
; %bb.101:                              ;   in Loop: Header=BB187_43 Depth=1
	s_or_b64 exec, exec, s[10:11]
	v_and_b32_e32 v57, 0xffff0000, v27
	v_lshlrev_b32_e32 v2, 16, v5
	v_mul_f32_e32 v2, v57, v2
	v_and_b32_e32 v3, 0x7f800000, v2
	v_cmp_ne_u32_e64 s[0:1], s14, v3
                                        ; implicit-def: $vgpr42
	s_and_saveexec_b64 s[10:11], s[0:1]
	s_xor_b64 s[0:1], exec, s[10:11]
; %bb.102:                              ;   in Loop: Header=BB187_43 Depth=1
	v_bfe_u32 v3, v2, 16, 1
	v_add3_u32 v42, v2, v3, s15
                                        ; implicit-def: $vgpr2
; %bb.103:                              ;   in Loop: Header=BB187_43 Depth=1
	s_andn2_saveexec_b64 s[10:11], s[0:1]
; %bb.104:                              ;   in Loop: Header=BB187_43 Depth=1
	v_or_b32_e32 v3, 0x10000, v2
	v_cmp_eq_u32_sdwa s[0:1], v2, v21 src0_sel:WORD_0 src1_sel:DWORD
	s_nop 1
	v_cndmask_b32_e64 v42, v3, v2, s[0:1]
; %bb.105:                              ;   in Loop: Header=BB187_43 Depth=1
	s_or_b64 exec, exec, s[10:11]
	v_and_b32_e32 v58, 0xffff0000, v25
	v_lshlrev_b32_e32 v2, 16, v50
	v_mul_f32_e32 v2, v58, v2
	v_and_b32_e32 v3, 0x7f800000, v2
	v_cmp_ne_u32_e64 s[0:1], s14, v3
                                        ; implicit-def: $vgpr50
	s_and_saveexec_b64 s[10:11], s[0:1]
	s_xor_b64 s[0:1], exec, s[10:11]
; %bb.106:                              ;   in Loop: Header=BB187_43 Depth=1
	v_bfe_u32 v3, v2, 16, 1
	v_add3_u32 v50, v2, v3, s15
                                        ; implicit-def: $vgpr2
; %bb.107:                              ;   in Loop: Header=BB187_43 Depth=1
	s_andn2_saveexec_b64 s[10:11], s[0:1]
; %bb.108:                              ;   in Loop: Header=BB187_43 Depth=1
	v_or_b32_e32 v3, 0x10000, v2
	v_cmp_eq_u32_sdwa s[0:1], v2, v21 src0_sel:WORD_0 src1_sel:DWORD
	s_nop 1
	v_cndmask_b32_e64 v50, v3, v2, s[0:1]
; %bb.109:                              ;   in Loop: Header=BB187_43 Depth=1
	s_or_b64 exec, exec, s[10:11]
	global_load_dwordx4 v[2:5], v[8:9], off offset:1024
	s_waitcnt vmcnt(0)
	v_lshrrev_b32_e32 v31, 16, v2
	v_lshrrev_b32_e32 v29, 16, v3
	;; [unrolled: 1-line block ×4, first 2 shown]
	s_and_saveexec_b64 s[10:11], vcc
	s_cbranch_execz .LBB187_111
; %bb.110:                              ;   in Loop: Header=BB187_43 Depth=1
	v_cmp_gt_i32_e64 s[0:1], s33, v43
	s_nop 1
	v_cndmask_b32_e64 v2, 0, v2, s[0:1]
	v_cmp_gt_i32_e64 s[0:1], s33, v49
	s_nop 1
	v_cndmask_b32_e64 v31, 0, v31, s[0:1]
	;; [unrolled: 3-line block ×8, first 2 shown]
.LBB187_111:                            ;   in Loop: Header=BB187_43 Depth=1
	s_or_b64 exec, exec, s[10:11]
	v_lshlrev_b32_e32 v2, 16, v2
	v_mul_f32_e32 v2, v51, v2
	v_and_b32_e32 v59, 0x7f800000, v2
	v_cmp_ne_u32_e64 s[0:1], s14, v59
                                        ; implicit-def: $vgpr59
	s_and_saveexec_b64 s[10:11], s[0:1]
	s_xor_b64 s[0:1], exec, s[10:11]
; %bb.112:                              ;   in Loop: Header=BB187_43 Depth=1
	v_bfe_u32 v59, v2, 16, 1
	v_add3_u32 v59, v2, v59, s15
                                        ; implicit-def: $vgpr2
; %bb.113:                              ;   in Loop: Header=BB187_43 Depth=1
	s_andn2_saveexec_b64 s[10:11], s[0:1]
; %bb.114:                              ;   in Loop: Header=BB187_43 Depth=1
	v_or_b32_e32 v59, 0x10000, v2
	v_cmp_eq_u32_sdwa s[0:1], v2, v21 src0_sel:WORD_0 src1_sel:DWORD
	s_nop 1
	v_cndmask_b32_e64 v59, v59, v2, s[0:1]
; %bb.115:                              ;   in Loop: Header=BB187_43 Depth=1
	s_or_b64 exec, exec, s[10:11]
	v_lshlrev_b32_e32 v2, 16, v31
	v_mul_f32_e32 v2, v52, v2
	v_and_b32_e32 v31, 0x7f800000, v2
	v_cmp_ne_u32_e64 s[0:1], s14, v31
                                        ; implicit-def: $vgpr60
	s_and_saveexec_b64 s[10:11], s[0:1]
	s_xor_b64 s[0:1], exec, s[10:11]
; %bb.116:                              ;   in Loop: Header=BB187_43 Depth=1
	v_bfe_u32 v31, v2, 16, 1
	v_add3_u32 v60, v2, v31, s15
                                        ; implicit-def: $vgpr2
; %bb.117:                              ;   in Loop: Header=BB187_43 Depth=1
	s_andn2_saveexec_b64 s[10:11], s[0:1]
; %bb.118:                              ;   in Loop: Header=BB187_43 Depth=1
	v_or_b32_e32 v31, 0x10000, v2
	v_cmp_eq_u32_sdwa s[0:1], v2, v21 src0_sel:WORD_0 src1_sel:DWORD
	s_nop 1
	v_cndmask_b32_e64 v60, v31, v2, s[0:1]
; %bb.119:                              ;   in Loop: Header=BB187_43 Depth=1
	s_or_b64 exec, exec, s[10:11]
	v_lshlrev_b32_e32 v2, 16, v3
	v_mul_f32_e32 v2, v53, v2
	v_and_b32_e32 v3, 0x7f800000, v2
	v_cmp_ne_u32_e64 s[0:1], s14, v3
                                        ; implicit-def: $vgpr61
	s_and_saveexec_b64 s[10:11], s[0:1]
	s_xor_b64 s[0:1], exec, s[10:11]
; %bb.120:                              ;   in Loop: Header=BB187_43 Depth=1
	v_bfe_u32 v3, v2, 16, 1
	v_add3_u32 v61, v2, v3, s15
                                        ; implicit-def: $vgpr2
; %bb.121:                              ;   in Loop: Header=BB187_43 Depth=1
	s_andn2_saveexec_b64 s[10:11], s[0:1]
; %bb.122:                              ;   in Loop: Header=BB187_43 Depth=1
	v_or_b32_e32 v3, 0x10000, v2
	v_cmp_eq_u32_sdwa s[0:1], v2, v21 src0_sel:WORD_0 src1_sel:DWORD
	s_nop 1
	v_cndmask_b32_e64 v61, v3, v2, s[0:1]
; %bb.123:                              ;   in Loop: Header=BB187_43 Depth=1
	s_or_b64 exec, exec, s[10:11]
	v_lshlrev_b32_e32 v2, 16, v29
	v_mul_f32_e32 v2, v54, v2
	v_and_b32_e32 v3, 0x7f800000, v2
	v_cmp_ne_u32_e64 s[0:1], s14, v3
                                        ; implicit-def: $vgpr62
	s_and_saveexec_b64 s[10:11], s[0:1]
	s_xor_b64 s[0:1], exec, s[10:11]
; %bb.124:                              ;   in Loop: Header=BB187_43 Depth=1
	v_bfe_u32 v3, v2, 16, 1
	v_add3_u32 v62, v2, v3, s15
                                        ; implicit-def: $vgpr2
; %bb.125:                              ;   in Loop: Header=BB187_43 Depth=1
	s_andn2_saveexec_b64 s[10:11], s[0:1]
; %bb.126:                              ;   in Loop: Header=BB187_43 Depth=1
	v_or_b32_e32 v3, 0x10000, v2
	v_cmp_eq_u32_sdwa s[0:1], v2, v21 src0_sel:WORD_0 src1_sel:DWORD
	s_nop 1
	v_cndmask_b32_e64 v62, v3, v2, s[0:1]
; %bb.127:                              ;   in Loop: Header=BB187_43 Depth=1
	s_or_b64 exec, exec, s[10:11]
	v_lshlrev_b32_e32 v2, 16, v4
	v_mul_f32_e32 v2, v55, v2
	v_and_b32_e32 v3, 0x7f800000, v2
	v_cmp_ne_u32_e64 s[0:1], s14, v3
                                        ; implicit-def: $vgpr63
	s_and_saveexec_b64 s[10:11], s[0:1]
	s_xor_b64 s[0:1], exec, s[10:11]
; %bb.128:                              ;   in Loop: Header=BB187_43 Depth=1
	v_bfe_u32 v3, v2, 16, 1
	v_add3_u32 v63, v2, v3, s15
                                        ; implicit-def: $vgpr2
; %bb.129:                              ;   in Loop: Header=BB187_43 Depth=1
	s_andn2_saveexec_b64 s[10:11], s[0:1]
; %bb.130:                              ;   in Loop: Header=BB187_43 Depth=1
	v_or_b32_e32 v3, 0x10000, v2
	v_cmp_eq_u32_sdwa s[0:1], v2, v21 src0_sel:WORD_0 src1_sel:DWORD
	s_nop 1
	v_cndmask_b32_e64 v63, v3, v2, s[0:1]
; %bb.131:                              ;   in Loop: Header=BB187_43 Depth=1
	s_or_b64 exec, exec, s[10:11]
	v_lshlrev_b32_e32 v2, 16, v27
	v_mul_f32_e32 v2, v56, v2
	v_and_b32_e32 v3, 0x7f800000, v2
	v_cmp_ne_u32_e64 s[0:1], s14, v3
                                        ; implicit-def: $vgpr64
	s_and_saveexec_b64 s[10:11], s[0:1]
	s_xor_b64 s[0:1], exec, s[10:11]
; %bb.132:                              ;   in Loop: Header=BB187_43 Depth=1
	v_bfe_u32 v3, v2, 16, 1
	v_add3_u32 v64, v2, v3, s15
                                        ; implicit-def: $vgpr2
; %bb.133:                              ;   in Loop: Header=BB187_43 Depth=1
	s_andn2_saveexec_b64 s[10:11], s[0:1]
; %bb.134:                              ;   in Loop: Header=BB187_43 Depth=1
	v_or_b32_e32 v3, 0x10000, v2
	v_cmp_eq_u32_sdwa s[0:1], v2, v21 src0_sel:WORD_0 src1_sel:DWORD
	s_nop 1
	v_cndmask_b32_e64 v64, v3, v2, s[0:1]
; %bb.135:                              ;   in Loop: Header=BB187_43 Depth=1
	s_or_b64 exec, exec, s[10:11]
	v_lshlrev_b32_e32 v2, 16, v5
	v_mul_f32_e32 v2, v57, v2
	v_and_b32_e32 v3, 0x7f800000, v2
	v_cmp_ne_u32_e64 s[0:1], s14, v3
                                        ; implicit-def: $vgpr65
	s_and_saveexec_b64 s[10:11], s[0:1]
	s_xor_b64 s[0:1], exec, s[10:11]
; %bb.136:                              ;   in Loop: Header=BB187_43 Depth=1
	v_bfe_u32 v3, v2, 16, 1
	v_add3_u32 v65, v2, v3, s15
                                        ; implicit-def: $vgpr2
; %bb.137:                              ;   in Loop: Header=BB187_43 Depth=1
	s_andn2_saveexec_b64 s[10:11], s[0:1]
; %bb.138:                              ;   in Loop: Header=BB187_43 Depth=1
	v_or_b32_e32 v3, 0x10000, v2
	v_cmp_eq_u32_sdwa s[0:1], v2, v21 src0_sel:WORD_0 src1_sel:DWORD
	s_nop 1
	v_cndmask_b32_e64 v65, v3, v2, s[0:1]
; %bb.139:                              ;   in Loop: Header=BB187_43 Depth=1
	s_or_b64 exec, exec, s[10:11]
	v_lshlrev_b32_e32 v2, 16, v25
	v_mul_f32_e32 v2, v58, v2
	v_and_b32_e32 v3, 0x7f800000, v2
	v_cmp_ne_u32_e64 s[0:1], s14, v3
                                        ; implicit-def: $vgpr66
	s_and_saveexec_b64 s[10:11], s[0:1]
	s_xor_b64 s[0:1], exec, s[10:11]
; %bb.140:                              ;   in Loop: Header=BB187_43 Depth=1
	v_bfe_u32 v3, v2, 16, 1
	v_add3_u32 v66, v2, v3, s15
                                        ; implicit-def: $vgpr2
; %bb.141:                              ;   in Loop: Header=BB187_43 Depth=1
	s_andn2_saveexec_b64 s[10:11], s[0:1]
; %bb.142:                              ;   in Loop: Header=BB187_43 Depth=1
	v_or_b32_e32 v3, 0x10000, v2
	v_cmp_eq_u32_sdwa s[0:1], v2, v21 src0_sel:WORD_0 src1_sel:DWORD
	s_nop 1
	v_cndmask_b32_e64 v66, v3, v2, s[0:1]
; %bb.143:                              ;   in Loop: Header=BB187_43 Depth=1
	s_or_b64 exec, exec, s[10:11]
	global_load_dwordx4 v[2:5], v[8:9], off offset:2048
	s_waitcnt vmcnt(0)
	v_lshrrev_b32_e32 v31, 16, v2
	v_lshrrev_b32_e32 v29, 16, v3
	;; [unrolled: 1-line block ×4, first 2 shown]
	s_and_saveexec_b64 s[10:11], vcc
	s_cbranch_execz .LBB187_145
; %bb.144:                              ;   in Loop: Header=BB187_43 Depth=1
	v_cmp_gt_i32_e64 s[0:1], s33, v43
	s_nop 1
	v_cndmask_b32_e64 v2, 0, v2, s[0:1]
	v_cmp_gt_i32_e64 s[0:1], s33, v49
	s_nop 1
	v_cndmask_b32_e64 v31, 0, v31, s[0:1]
	;; [unrolled: 3-line block ×8, first 2 shown]
.LBB187_145:                            ;   in Loop: Header=BB187_43 Depth=1
	s_or_b64 exec, exec, s[10:11]
	v_lshlrev_b32_e32 v2, 16, v2
	v_mul_f32_e32 v2, v51, v2
	v_and_b32_e32 v67, 0x7f800000, v2
	v_cmp_ne_u32_e64 s[0:1], s14, v67
                                        ; implicit-def: $vgpr67
	s_and_saveexec_b64 s[10:11], s[0:1]
	s_xor_b64 s[0:1], exec, s[10:11]
; %bb.146:                              ;   in Loop: Header=BB187_43 Depth=1
	v_bfe_u32 v67, v2, 16, 1
	v_add3_u32 v67, v2, v67, s15
                                        ; implicit-def: $vgpr2
; %bb.147:                              ;   in Loop: Header=BB187_43 Depth=1
	s_andn2_saveexec_b64 s[10:11], s[0:1]
; %bb.148:                              ;   in Loop: Header=BB187_43 Depth=1
	v_or_b32_e32 v67, 0x10000, v2
	v_cmp_eq_u32_sdwa s[0:1], v2, v21 src0_sel:WORD_0 src1_sel:DWORD
	s_nop 1
	v_cndmask_b32_e64 v67, v67, v2, s[0:1]
; %bb.149:                              ;   in Loop: Header=BB187_43 Depth=1
	s_or_b64 exec, exec, s[10:11]
	v_lshlrev_b32_e32 v2, 16, v31
	v_mul_f32_e32 v2, v52, v2
	v_and_b32_e32 v31, 0x7f800000, v2
	v_cmp_ne_u32_e64 s[0:1], s14, v31
                                        ; implicit-def: $vgpr68
	s_and_saveexec_b64 s[10:11], s[0:1]
	s_xor_b64 s[0:1], exec, s[10:11]
; %bb.150:                              ;   in Loop: Header=BB187_43 Depth=1
	v_bfe_u32 v31, v2, 16, 1
	v_add3_u32 v68, v2, v31, s15
                                        ; implicit-def: $vgpr2
; %bb.151:                              ;   in Loop: Header=BB187_43 Depth=1
	s_andn2_saveexec_b64 s[10:11], s[0:1]
; %bb.152:                              ;   in Loop: Header=BB187_43 Depth=1
	v_or_b32_e32 v31, 0x10000, v2
	v_cmp_eq_u32_sdwa s[0:1], v2, v21 src0_sel:WORD_0 src1_sel:DWORD
	s_nop 1
	v_cndmask_b32_e64 v68, v31, v2, s[0:1]
; %bb.153:                              ;   in Loop: Header=BB187_43 Depth=1
	s_or_b64 exec, exec, s[10:11]
	v_lshlrev_b32_e32 v2, 16, v3
	v_mul_f32_e32 v2, v53, v2
	v_and_b32_e32 v3, 0x7f800000, v2
	v_cmp_ne_u32_e64 s[0:1], s14, v3
                                        ; implicit-def: $vgpr69
	s_and_saveexec_b64 s[10:11], s[0:1]
	s_xor_b64 s[0:1], exec, s[10:11]
; %bb.154:                              ;   in Loop: Header=BB187_43 Depth=1
	v_bfe_u32 v3, v2, 16, 1
	v_add3_u32 v69, v2, v3, s15
                                        ; implicit-def: $vgpr2
; %bb.155:                              ;   in Loop: Header=BB187_43 Depth=1
	s_andn2_saveexec_b64 s[10:11], s[0:1]
; %bb.156:                              ;   in Loop: Header=BB187_43 Depth=1
	v_or_b32_e32 v3, 0x10000, v2
	v_cmp_eq_u32_sdwa s[0:1], v2, v21 src0_sel:WORD_0 src1_sel:DWORD
	s_nop 1
	v_cndmask_b32_e64 v69, v3, v2, s[0:1]
; %bb.157:                              ;   in Loop: Header=BB187_43 Depth=1
	s_or_b64 exec, exec, s[10:11]
	v_lshlrev_b32_e32 v2, 16, v29
	v_mul_f32_e32 v2, v54, v2
	v_and_b32_e32 v3, 0x7f800000, v2
	v_cmp_ne_u32_e64 s[0:1], s14, v3
                                        ; implicit-def: $vgpr70
	s_and_saveexec_b64 s[10:11], s[0:1]
	s_xor_b64 s[0:1], exec, s[10:11]
; %bb.158:                              ;   in Loop: Header=BB187_43 Depth=1
	v_bfe_u32 v3, v2, 16, 1
	v_add3_u32 v70, v2, v3, s15
                                        ; implicit-def: $vgpr2
; %bb.159:                              ;   in Loop: Header=BB187_43 Depth=1
	s_andn2_saveexec_b64 s[10:11], s[0:1]
; %bb.160:                              ;   in Loop: Header=BB187_43 Depth=1
	v_or_b32_e32 v3, 0x10000, v2
	v_cmp_eq_u32_sdwa s[0:1], v2, v21 src0_sel:WORD_0 src1_sel:DWORD
	s_nop 1
	v_cndmask_b32_e64 v70, v3, v2, s[0:1]
; %bb.161:                              ;   in Loop: Header=BB187_43 Depth=1
	s_or_b64 exec, exec, s[10:11]
	v_lshlrev_b32_e32 v2, 16, v4
	v_mul_f32_e32 v2, v55, v2
	v_and_b32_e32 v3, 0x7f800000, v2
	v_cmp_ne_u32_e64 s[0:1], s14, v3
                                        ; implicit-def: $vgpr71
	s_and_saveexec_b64 s[10:11], s[0:1]
	s_xor_b64 s[0:1], exec, s[10:11]
; %bb.162:                              ;   in Loop: Header=BB187_43 Depth=1
	v_bfe_u32 v3, v2, 16, 1
	v_add3_u32 v71, v2, v3, s15
                                        ; implicit-def: $vgpr2
; %bb.163:                              ;   in Loop: Header=BB187_43 Depth=1
	s_andn2_saveexec_b64 s[10:11], s[0:1]
; %bb.164:                              ;   in Loop: Header=BB187_43 Depth=1
	v_or_b32_e32 v3, 0x10000, v2
	v_cmp_eq_u32_sdwa s[0:1], v2, v21 src0_sel:WORD_0 src1_sel:DWORD
	s_nop 1
	v_cndmask_b32_e64 v71, v3, v2, s[0:1]
; %bb.165:                              ;   in Loop: Header=BB187_43 Depth=1
	s_or_b64 exec, exec, s[10:11]
	v_lshlrev_b32_e32 v2, 16, v27
	v_mul_f32_e32 v2, v56, v2
	v_and_b32_e32 v3, 0x7f800000, v2
	v_cmp_ne_u32_e64 s[0:1], s14, v3
                                        ; implicit-def: $vgpr72
	s_and_saveexec_b64 s[10:11], s[0:1]
	s_xor_b64 s[0:1], exec, s[10:11]
; %bb.166:                              ;   in Loop: Header=BB187_43 Depth=1
	v_bfe_u32 v3, v2, 16, 1
	v_add3_u32 v72, v2, v3, s15
                                        ; implicit-def: $vgpr2
; %bb.167:                              ;   in Loop: Header=BB187_43 Depth=1
	s_andn2_saveexec_b64 s[10:11], s[0:1]
; %bb.168:                              ;   in Loop: Header=BB187_43 Depth=1
	v_or_b32_e32 v3, 0x10000, v2
	v_cmp_eq_u32_sdwa s[0:1], v2, v21 src0_sel:WORD_0 src1_sel:DWORD
	s_nop 1
	v_cndmask_b32_e64 v72, v3, v2, s[0:1]
; %bb.169:                              ;   in Loop: Header=BB187_43 Depth=1
	s_or_b64 exec, exec, s[10:11]
	v_lshlrev_b32_e32 v2, 16, v5
	v_mul_f32_e32 v2, v57, v2
	v_and_b32_e32 v3, 0x7f800000, v2
	v_cmp_ne_u32_e64 s[0:1], s14, v3
                                        ; implicit-def: $vgpr73
	s_and_saveexec_b64 s[10:11], s[0:1]
	s_xor_b64 s[0:1], exec, s[10:11]
; %bb.170:                              ;   in Loop: Header=BB187_43 Depth=1
	v_bfe_u32 v3, v2, 16, 1
	v_add3_u32 v73, v2, v3, s15
                                        ; implicit-def: $vgpr2
; %bb.171:                              ;   in Loop: Header=BB187_43 Depth=1
	s_andn2_saveexec_b64 s[10:11], s[0:1]
; %bb.172:                              ;   in Loop: Header=BB187_43 Depth=1
	v_or_b32_e32 v3, 0x10000, v2
	v_cmp_eq_u32_sdwa s[0:1], v2, v21 src0_sel:WORD_0 src1_sel:DWORD
	s_nop 1
	v_cndmask_b32_e64 v73, v3, v2, s[0:1]
; %bb.173:                              ;   in Loop: Header=BB187_43 Depth=1
	s_or_b64 exec, exec, s[10:11]
	v_lshlrev_b32_e32 v2, 16, v25
	v_mul_f32_e32 v2, v58, v2
	v_and_b32_e32 v3, 0x7f800000, v2
	v_cmp_ne_u32_e64 s[0:1], s14, v3
                                        ; implicit-def: $vgpr74
	s_and_saveexec_b64 s[10:11], s[0:1]
	s_xor_b64 s[0:1], exec, s[10:11]
; %bb.174:                              ;   in Loop: Header=BB187_43 Depth=1
	v_bfe_u32 v3, v2, 16, 1
	v_add3_u32 v74, v2, v3, s15
                                        ; implicit-def: $vgpr2
; %bb.175:                              ;   in Loop: Header=BB187_43 Depth=1
	s_andn2_saveexec_b64 s[10:11], s[0:1]
; %bb.176:                              ;   in Loop: Header=BB187_43 Depth=1
	v_or_b32_e32 v3, 0x10000, v2
	v_cmp_eq_u32_sdwa s[0:1], v2, v21 src0_sel:WORD_0 src1_sel:DWORD
	s_nop 1
	v_cndmask_b32_e64 v74, v3, v2, s[0:1]
; %bb.177:                              ;   in Loop: Header=BB187_43 Depth=1
	s_or_b64 exec, exec, s[10:11]
	global_load_dwordx4 v[2:5], v[8:9], off offset:3072
	s_waitcnt vmcnt(0)
	v_lshrrev_b32_e32 v9, 16, v2
	v_lshrrev_b32_e32 v29, 16, v3
	;; [unrolled: 1-line block ×4, first 2 shown]
	s_and_saveexec_b64 s[10:11], vcc
	s_cbranch_execz .LBB187_179
; %bb.178:                              ;   in Loop: Header=BB187_43 Depth=1
	v_cmp_gt_i32_e64 s[0:1], s33, v43
	s_nop 1
	v_cndmask_b32_e64 v2, 0, v2, s[0:1]
	v_cmp_gt_i32_e64 s[0:1], s33, v49
	s_nop 1
	v_cndmask_b32_e64 v9, 0, v9, s[0:1]
	;; [unrolled: 3-line block ×8, first 2 shown]
.LBB187_179:                            ;   in Loop: Header=BB187_43 Depth=1
	s_or_b64 exec, exec, s[10:11]
	v_lshlrev_b32_e32 v2, 16, v2
	v_mul_f32_e32 v2, v51, v2
	v_and_b32_e32 v8, 0x7f800000, v2
	v_cmp_ne_u32_e64 s[0:1], s14, v8
                                        ; implicit-def: $vgpr8
	s_and_saveexec_b64 s[10:11], s[0:1]
	s_xor_b64 s[0:1], exec, s[10:11]
; %bb.180:                              ;   in Loop: Header=BB187_43 Depth=1
	v_bfe_u32 v8, v2, 16, 1
	v_add3_u32 v8, v2, v8, s15
                                        ; implicit-def: $vgpr2
; %bb.181:                              ;   in Loop: Header=BB187_43 Depth=1
	s_andn2_saveexec_b64 s[10:11], s[0:1]
; %bb.182:                              ;   in Loop: Header=BB187_43 Depth=1
	v_or_b32_e32 v8, 0x10000, v2
	v_cmp_eq_u32_sdwa s[0:1], v2, v21 src0_sel:WORD_0 src1_sel:DWORD
	s_nop 1
	v_cndmask_b32_e64 v8, v8, v2, s[0:1]
; %bb.183:                              ;   in Loop: Header=BB187_43 Depth=1
	s_or_b64 exec, exec, s[10:11]
	v_lshlrev_b32_e32 v2, 16, v9
	v_mul_f32_e32 v2, v52, v2
	v_and_b32_e32 v9, 0x7f800000, v2
	v_cmp_ne_u32_e64 s[0:1], s14, v9
                                        ; implicit-def: $vgpr9
	s_and_saveexec_b64 s[10:11], s[0:1]
	s_xor_b64 s[0:1], exec, s[10:11]
; %bb.184:                              ;   in Loop: Header=BB187_43 Depth=1
	v_bfe_u32 v9, v2, 16, 1
	v_add3_u32 v9, v2, v9, s15
                                        ; implicit-def: $vgpr2
; %bb.185:                              ;   in Loop: Header=BB187_43 Depth=1
	s_andn2_saveexec_b64 s[10:11], s[0:1]
; %bb.186:                              ;   in Loop: Header=BB187_43 Depth=1
	v_or_b32_e32 v9, 0x10000, v2
	v_cmp_eq_u32_sdwa s[0:1], v2, v21 src0_sel:WORD_0 src1_sel:DWORD
	s_nop 1
	v_cndmask_b32_e64 v9, v9, v2, s[0:1]
; %bb.187:                              ;   in Loop: Header=BB187_43 Depth=1
	s_or_b64 exec, exec, s[10:11]
	v_lshlrev_b32_e32 v2, 16, v3
	v_mul_f32_e32 v2, v53, v2
	v_and_b32_e32 v3, 0x7f800000, v2
	v_cmp_ne_u32_e64 s[0:1], s14, v3
                                        ; implicit-def: $vgpr75
	s_and_saveexec_b64 s[10:11], s[0:1]
	s_xor_b64 s[0:1], exec, s[10:11]
; %bb.188:                              ;   in Loop: Header=BB187_43 Depth=1
	v_bfe_u32 v3, v2, 16, 1
	v_add3_u32 v75, v2, v3, s15
                                        ; implicit-def: $vgpr2
; %bb.189:                              ;   in Loop: Header=BB187_43 Depth=1
	s_andn2_saveexec_b64 s[10:11], s[0:1]
; %bb.190:                              ;   in Loop: Header=BB187_43 Depth=1
	v_or_b32_e32 v3, 0x10000, v2
	v_cmp_eq_u32_sdwa s[0:1], v2, v21 src0_sel:WORD_0 src1_sel:DWORD
	s_nop 1
	v_cndmask_b32_e64 v75, v3, v2, s[0:1]
; %bb.191:                              ;   in Loop: Header=BB187_43 Depth=1
	s_or_b64 exec, exec, s[10:11]
	v_lshlrev_b32_e32 v2, 16, v29
	v_mul_f32_e32 v2, v54, v2
	v_and_b32_e32 v3, 0x7f800000, v2
	v_cmp_ne_u32_e64 s[0:1], s14, v3
                                        ; implicit-def: $vgpr76
	s_and_saveexec_b64 s[10:11], s[0:1]
	s_xor_b64 s[0:1], exec, s[10:11]
; %bb.192:                              ;   in Loop: Header=BB187_43 Depth=1
	v_bfe_u32 v3, v2, 16, 1
	v_add3_u32 v76, v2, v3, s15
                                        ; implicit-def: $vgpr2
; %bb.193:                              ;   in Loop: Header=BB187_43 Depth=1
	s_andn2_saveexec_b64 s[10:11], s[0:1]
; %bb.194:                              ;   in Loop: Header=BB187_43 Depth=1
	v_or_b32_e32 v3, 0x10000, v2
	v_cmp_eq_u32_sdwa s[0:1], v2, v21 src0_sel:WORD_0 src1_sel:DWORD
	s_nop 1
	v_cndmask_b32_e64 v76, v3, v2, s[0:1]
; %bb.195:                              ;   in Loop: Header=BB187_43 Depth=1
	s_or_b64 exec, exec, s[10:11]
	v_lshlrev_b32_e32 v2, 16, v4
	v_mul_f32_e32 v2, v55, v2
	v_and_b32_e32 v3, 0x7f800000, v2
	v_cmp_ne_u32_e64 s[0:1], s14, v3
                                        ; implicit-def: $vgpr77
	s_and_saveexec_b64 s[10:11], s[0:1]
	s_xor_b64 s[0:1], exec, s[10:11]
; %bb.196:                              ;   in Loop: Header=BB187_43 Depth=1
	v_bfe_u32 v3, v2, 16, 1
	v_add3_u32 v77, v2, v3, s15
                                        ; implicit-def: $vgpr2
; %bb.197:                              ;   in Loop: Header=BB187_43 Depth=1
	s_andn2_saveexec_b64 s[10:11], s[0:1]
; %bb.198:                              ;   in Loop: Header=BB187_43 Depth=1
	v_or_b32_e32 v3, 0x10000, v2
	v_cmp_eq_u32_sdwa s[0:1], v2, v21 src0_sel:WORD_0 src1_sel:DWORD
	s_nop 1
	v_cndmask_b32_e64 v77, v3, v2, s[0:1]
; %bb.199:                              ;   in Loop: Header=BB187_43 Depth=1
	s_or_b64 exec, exec, s[10:11]
	v_lshlrev_b32_e32 v2, 16, v27
	v_mul_f32_e32 v2, v56, v2
	v_and_b32_e32 v3, 0x7f800000, v2
	v_cmp_ne_u32_e64 s[0:1], s14, v3
                                        ; implicit-def: $vgpr78
	s_and_saveexec_b64 s[10:11], s[0:1]
	s_xor_b64 s[0:1], exec, s[10:11]
; %bb.200:                              ;   in Loop: Header=BB187_43 Depth=1
	v_bfe_u32 v3, v2, 16, 1
	v_add3_u32 v78, v2, v3, s15
                                        ; implicit-def: $vgpr2
; %bb.201:                              ;   in Loop: Header=BB187_43 Depth=1
	s_andn2_saveexec_b64 s[10:11], s[0:1]
; %bb.202:                              ;   in Loop: Header=BB187_43 Depth=1
	v_or_b32_e32 v3, 0x10000, v2
	v_cmp_eq_u32_sdwa s[0:1], v2, v21 src0_sel:WORD_0 src1_sel:DWORD
	s_nop 1
	v_cndmask_b32_e64 v78, v3, v2, s[0:1]
; %bb.203:                              ;   in Loop: Header=BB187_43 Depth=1
	s_or_b64 exec, exec, s[10:11]
	v_lshlrev_b32_e32 v2, 16, v5
	v_mul_f32_e32 v2, v57, v2
	v_and_b32_e32 v3, 0x7f800000, v2
	v_cmp_ne_u32_e64 s[0:1], s14, v3
                                        ; implicit-def: $vgpr79
	s_and_saveexec_b64 s[10:11], s[0:1]
	s_xor_b64 s[0:1], exec, s[10:11]
; %bb.204:                              ;   in Loop: Header=BB187_43 Depth=1
	v_bfe_u32 v3, v2, 16, 1
	v_add3_u32 v79, v2, v3, s15
                                        ; implicit-def: $vgpr2
; %bb.205:                              ;   in Loop: Header=BB187_43 Depth=1
	s_andn2_saveexec_b64 s[10:11], s[0:1]
; %bb.206:                              ;   in Loop: Header=BB187_43 Depth=1
	v_or_b32_e32 v3, 0x10000, v2
	v_cmp_eq_u32_sdwa s[0:1], v2, v21 src0_sel:WORD_0 src1_sel:DWORD
	s_nop 1
	v_cndmask_b32_e64 v79, v3, v2, s[0:1]
; %bb.207:                              ;   in Loop: Header=BB187_43 Depth=1
	s_or_b64 exec, exec, s[10:11]
	v_lshlrev_b32_e32 v2, 16, v25
	v_mul_f32_e32 v2, v58, v2
	v_and_b32_e32 v3, 0x7f800000, v2
	v_cmp_ne_u32_e64 s[0:1], s14, v3
                                        ; implicit-def: $vgpr80
	s_and_saveexec_b64 s[10:11], s[0:1]
	s_xor_b64 s[0:1], exec, s[10:11]
; %bb.208:                              ;   in Loop: Header=BB187_43 Depth=1
	v_bfe_u32 v3, v2, 16, 1
	v_add3_u32 v80, v2, v3, s15
                                        ; implicit-def: $vgpr2
; %bb.209:                              ;   in Loop: Header=BB187_43 Depth=1
	s_andn2_saveexec_b64 s[10:11], s[0:1]
; %bb.210:                              ;   in Loop: Header=BB187_43 Depth=1
	v_or_b32_e32 v3, 0x10000, v2
	v_cmp_eq_u32_sdwa s[0:1], v2, v21 src0_sel:WORD_0 src1_sel:DWORD
	s_nop 1
	v_cndmask_b32_e64 v80, v3, v2, s[0:1]
; %bb.211:                              ;   in Loop: Header=BB187_43 Depth=1
	s_or_b64 exec, exec, s[10:11]
	v_mov_b32_e32 v25, v21
	v_lshl_add_u64 v[2:3], v[6:7], 0, v[24:25]
	global_load_dwordx4 v[2:5], v[2:3], off
	s_waitcnt vmcnt(0)
	v_lshrrev_b32_e32 v81, 16, v2
	v_lshrrev_b32_e32 v31, 16, v3
	;; [unrolled: 1-line block ×4, first 2 shown]
	s_and_saveexec_b64 s[10:11], vcc
	s_cbranch_execz .LBB187_213
; %bb.212:                              ;   in Loop: Header=BB187_43 Depth=1
	v_cmp_gt_i32_e64 s[0:1], s33, v43
	s_nop 1
	v_cndmask_b32_e64 v2, 0, v2, s[0:1]
	v_cmp_gt_i32_e64 s[0:1], s33, v49
	s_nop 1
	v_cndmask_b32_e64 v81, 0, v81, s[0:1]
	;; [unrolled: 3-line block ×8, first 2 shown]
.LBB187_213:                            ;   in Loop: Header=BB187_43 Depth=1
	s_or_b64 exec, exec, s[10:11]
	v_lshlrev_b32_e32 v2, 16, v2
	v_mul_f32_e32 v2, v51, v2
	v_and_b32_e32 v25, 0x7f800000, v2
	v_cmp_ne_u32_e64 s[0:1], s14, v25
                                        ; implicit-def: $vgpr25
	s_and_saveexec_b64 s[10:11], s[0:1]
	s_xor_b64 s[0:1], exec, s[10:11]
; %bb.214:                              ;   in Loop: Header=BB187_43 Depth=1
	v_bfe_u32 v25, v2, 16, 1
	v_add3_u32 v25, v2, v25, s15
                                        ; implicit-def: $vgpr2
; %bb.215:                              ;   in Loop: Header=BB187_43 Depth=1
	s_andn2_saveexec_b64 s[10:11], s[0:1]
; %bb.216:                              ;   in Loop: Header=BB187_43 Depth=1
	v_or_b32_e32 v25, 0x10000, v2
	v_cmp_eq_u32_sdwa s[0:1], v2, v21 src0_sel:WORD_0 src1_sel:DWORD
	s_nop 1
	v_cndmask_b32_e64 v25, v25, v2, s[0:1]
; %bb.217:                              ;   in Loop: Header=BB187_43 Depth=1
	s_or_b64 exec, exec, s[10:11]
	v_lshlrev_b32_e32 v2, 16, v81
	v_mul_f32_e32 v2, v52, v2
	v_and_b32_e32 v81, 0x7f800000, v2
	v_cmp_ne_u32_e64 s[0:1], s14, v81
                                        ; implicit-def: $vgpr81
	s_and_saveexec_b64 s[10:11], s[0:1]
	s_xor_b64 s[0:1], exec, s[10:11]
; %bb.218:                              ;   in Loop: Header=BB187_43 Depth=1
	v_bfe_u32 v81, v2, 16, 1
	v_add3_u32 v81, v2, v81, s15
                                        ; implicit-def: $vgpr2
; %bb.219:                              ;   in Loop: Header=BB187_43 Depth=1
	s_andn2_saveexec_b64 s[10:11], s[0:1]
; %bb.220:                              ;   in Loop: Header=BB187_43 Depth=1
	v_or_b32_e32 v81, 0x10000, v2
	v_cmp_eq_u32_sdwa s[0:1], v2, v21 src0_sel:WORD_0 src1_sel:DWORD
	s_nop 1
	v_cndmask_b32_e64 v81, v81, v2, s[0:1]
; %bb.221:                              ;   in Loop: Header=BB187_43 Depth=1
	s_or_b64 exec, exec, s[10:11]
	v_lshlrev_b32_e32 v2, 16, v3
	v_mul_f32_e32 v2, v53, v2
	v_and_b32_e32 v3, 0x7f800000, v2
	v_cmp_ne_u32_e64 s[0:1], s14, v3
                                        ; implicit-def: $vgpr82
	s_and_saveexec_b64 s[10:11], s[0:1]
	s_xor_b64 s[0:1], exec, s[10:11]
; %bb.222:                              ;   in Loop: Header=BB187_43 Depth=1
	v_bfe_u32 v3, v2, 16, 1
	v_add3_u32 v82, v2, v3, s15
                                        ; implicit-def: $vgpr2
; %bb.223:                              ;   in Loop: Header=BB187_43 Depth=1
	s_andn2_saveexec_b64 s[10:11], s[0:1]
; %bb.224:                              ;   in Loop: Header=BB187_43 Depth=1
	v_or_b32_e32 v3, 0x10000, v2
	v_cmp_eq_u32_sdwa s[0:1], v2, v21 src0_sel:WORD_0 src1_sel:DWORD
	s_nop 1
	v_cndmask_b32_e64 v82, v3, v2, s[0:1]
; %bb.225:                              ;   in Loop: Header=BB187_43 Depth=1
	s_or_b64 exec, exec, s[10:11]
	v_lshlrev_b32_e32 v2, 16, v31
	v_mul_f32_e32 v2, v54, v2
	v_and_b32_e32 v3, 0x7f800000, v2
	v_cmp_ne_u32_e64 s[0:1], s14, v3
                                        ; implicit-def: $vgpr83
	s_and_saveexec_b64 s[10:11], s[0:1]
	s_xor_b64 s[0:1], exec, s[10:11]
; %bb.226:                              ;   in Loop: Header=BB187_43 Depth=1
	v_bfe_u32 v3, v2, 16, 1
	v_add3_u32 v83, v2, v3, s15
                                        ; implicit-def: $vgpr2
; %bb.227:                              ;   in Loop: Header=BB187_43 Depth=1
	s_andn2_saveexec_b64 s[10:11], s[0:1]
; %bb.228:                              ;   in Loop: Header=BB187_43 Depth=1
	v_or_b32_e32 v3, 0x10000, v2
	v_cmp_eq_u32_sdwa s[0:1], v2, v21 src0_sel:WORD_0 src1_sel:DWORD
	s_nop 1
	v_cndmask_b32_e64 v83, v3, v2, s[0:1]
; %bb.229:                              ;   in Loop: Header=BB187_43 Depth=1
	s_or_b64 exec, exec, s[10:11]
	v_lshlrev_b32_e32 v2, 16, v4
	v_mul_f32_e32 v2, v55, v2
	v_and_b32_e32 v3, 0x7f800000, v2
	v_cmp_ne_u32_e64 s[0:1], s14, v3
                                        ; implicit-def: $vgpr84
	s_and_saveexec_b64 s[10:11], s[0:1]
	s_xor_b64 s[0:1], exec, s[10:11]
; %bb.230:                              ;   in Loop: Header=BB187_43 Depth=1
	v_bfe_u32 v3, v2, 16, 1
	v_add3_u32 v84, v2, v3, s15
                                        ; implicit-def: $vgpr2
; %bb.231:                              ;   in Loop: Header=BB187_43 Depth=1
	s_andn2_saveexec_b64 s[10:11], s[0:1]
; %bb.232:                              ;   in Loop: Header=BB187_43 Depth=1
	v_or_b32_e32 v3, 0x10000, v2
	v_cmp_eq_u32_sdwa s[0:1], v2, v21 src0_sel:WORD_0 src1_sel:DWORD
	s_nop 1
	v_cndmask_b32_e64 v84, v3, v2, s[0:1]
; %bb.233:                              ;   in Loop: Header=BB187_43 Depth=1
	s_or_b64 exec, exec, s[10:11]
	v_lshlrev_b32_e32 v2, 16, v29
	v_mul_f32_e32 v2, v56, v2
	v_and_b32_e32 v3, 0x7f800000, v2
	v_cmp_ne_u32_e64 s[0:1], s14, v3
                                        ; implicit-def: $vgpr85
	s_and_saveexec_b64 s[10:11], s[0:1]
	s_xor_b64 s[0:1], exec, s[10:11]
; %bb.234:                              ;   in Loop: Header=BB187_43 Depth=1
	v_bfe_u32 v3, v2, 16, 1
	v_add3_u32 v85, v2, v3, s15
                                        ; implicit-def: $vgpr2
; %bb.235:                              ;   in Loop: Header=BB187_43 Depth=1
	s_andn2_saveexec_b64 s[10:11], s[0:1]
; %bb.236:                              ;   in Loop: Header=BB187_43 Depth=1
	v_or_b32_e32 v3, 0x10000, v2
	v_cmp_eq_u32_sdwa s[0:1], v2, v21 src0_sel:WORD_0 src1_sel:DWORD
	s_nop 1
	v_cndmask_b32_e64 v85, v3, v2, s[0:1]
; %bb.237:                              ;   in Loop: Header=BB187_43 Depth=1
	s_or_b64 exec, exec, s[10:11]
	v_lshlrev_b32_e32 v2, 16, v5
	v_mul_f32_e32 v2, v57, v2
	v_and_b32_e32 v3, 0x7f800000, v2
	v_cmp_ne_u32_e64 s[0:1], s14, v3
                                        ; implicit-def: $vgpr86
	s_and_saveexec_b64 s[10:11], s[0:1]
	s_xor_b64 s[0:1], exec, s[10:11]
; %bb.238:                              ;   in Loop: Header=BB187_43 Depth=1
	v_bfe_u32 v3, v2, 16, 1
	v_add3_u32 v86, v2, v3, s15
                                        ; implicit-def: $vgpr2
; %bb.239:                              ;   in Loop: Header=BB187_43 Depth=1
	s_andn2_saveexec_b64 s[10:11], s[0:1]
; %bb.240:                              ;   in Loop: Header=BB187_43 Depth=1
	v_or_b32_e32 v3, 0x10000, v2
	v_cmp_eq_u32_sdwa s[0:1], v2, v21 src0_sel:WORD_0 src1_sel:DWORD
	s_nop 1
	v_cndmask_b32_e64 v86, v3, v2, s[0:1]
; %bb.241:                              ;   in Loop: Header=BB187_43 Depth=1
	s_or_b64 exec, exec, s[10:11]
	v_lshlrev_b32_e32 v2, 16, v27
	v_mul_f32_e32 v2, v58, v2
	v_and_b32_e32 v3, 0x7f800000, v2
	v_cmp_ne_u32_e64 s[0:1], s14, v3
                                        ; implicit-def: $vgpr87
	s_and_saveexec_b64 s[10:11], s[0:1]
	s_xor_b64 s[0:1], exec, s[10:11]
; %bb.242:                              ;   in Loop: Header=BB187_43 Depth=1
	v_bfe_u32 v3, v2, 16, 1
	v_add3_u32 v87, v2, v3, s15
                                        ; implicit-def: $vgpr2
; %bb.243:                              ;   in Loop: Header=BB187_43 Depth=1
	s_andn2_saveexec_b64 s[10:11], s[0:1]
; %bb.244:                              ;   in Loop: Header=BB187_43 Depth=1
	v_or_b32_e32 v3, 0x10000, v2
	v_cmp_eq_u32_sdwa s[0:1], v2, v21 src0_sel:WORD_0 src1_sel:DWORD
	s_nop 1
	v_cndmask_b32_e64 v87, v3, v2, s[0:1]
; %bb.245:                              ;   in Loop: Header=BB187_43 Depth=1
	s_or_b64 exec, exec, s[10:11]
	v_mov_b32_e32 v27, v21
	v_lshl_add_u64 v[2:3], v[6:7], 0, v[26:27]
	global_load_dwordx4 v[2:5], v[2:3], off
	s_waitcnt vmcnt(0)
	v_lshrrev_b32_e32 v88, 16, v2
	v_lshrrev_b32_e32 v90, 16, v3
	;; [unrolled: 1-line block ×4, first 2 shown]
	s_and_saveexec_b64 s[10:11], vcc
	s_cbranch_execz .LBB187_247
; %bb.246:                              ;   in Loop: Header=BB187_43 Depth=1
	v_cmp_gt_i32_e64 s[0:1], s33, v43
	s_nop 1
	v_cndmask_b32_e64 v2, 0, v2, s[0:1]
	v_cmp_gt_i32_e64 s[0:1], s33, v49
	s_nop 1
	v_cndmask_b32_e64 v88, 0, v88, s[0:1]
	;; [unrolled: 3-line block ×8, first 2 shown]
.LBB187_247:                            ;   in Loop: Header=BB187_43 Depth=1
	s_or_b64 exec, exec, s[10:11]
	v_lshlrev_b32_e32 v2, 16, v2
	v_mul_f32_e32 v2, v51, v2
	v_and_b32_e32 v27, 0x7f800000, v2
	v_cmp_ne_u32_e64 s[0:1], s14, v27
                                        ; implicit-def: $vgpr27
	s_and_saveexec_b64 s[10:11], s[0:1]
	s_xor_b64 s[0:1], exec, s[10:11]
; %bb.248:                              ;   in Loop: Header=BB187_43 Depth=1
	v_bfe_u32 v27, v2, 16, 1
	v_add3_u32 v27, v2, v27, s15
                                        ; implicit-def: $vgpr2
; %bb.249:                              ;   in Loop: Header=BB187_43 Depth=1
	s_andn2_saveexec_b64 s[10:11], s[0:1]
; %bb.250:                              ;   in Loop: Header=BB187_43 Depth=1
	v_or_b32_e32 v27, 0x10000, v2
	v_cmp_eq_u32_sdwa s[0:1], v2, v21 src0_sel:WORD_0 src1_sel:DWORD
	s_nop 1
	v_cndmask_b32_e64 v27, v27, v2, s[0:1]
; %bb.251:                              ;   in Loop: Header=BB187_43 Depth=1
	s_or_b64 exec, exec, s[10:11]
	v_lshlrev_b32_e32 v2, 16, v88
	v_mul_f32_e32 v2, v52, v2
	v_and_b32_e32 v88, 0x7f800000, v2
	v_cmp_ne_u32_e64 s[0:1], s14, v88
                                        ; implicit-def: $vgpr88
	s_and_saveexec_b64 s[10:11], s[0:1]
	s_xor_b64 s[0:1], exec, s[10:11]
; %bb.252:                              ;   in Loop: Header=BB187_43 Depth=1
	v_bfe_u32 v88, v2, 16, 1
	v_add3_u32 v88, v2, v88, s15
                                        ; implicit-def: $vgpr2
; %bb.253:                              ;   in Loop: Header=BB187_43 Depth=1
	s_andn2_saveexec_b64 s[10:11], s[0:1]
; %bb.254:                              ;   in Loop: Header=BB187_43 Depth=1
	v_or_b32_e32 v88, 0x10000, v2
	v_cmp_eq_u32_sdwa s[0:1], v2, v21 src0_sel:WORD_0 src1_sel:DWORD
	s_nop 1
	v_cndmask_b32_e64 v88, v88, v2, s[0:1]
; %bb.255:                              ;   in Loop: Header=BB187_43 Depth=1
	s_or_b64 exec, exec, s[10:11]
	v_lshlrev_b32_e32 v2, 16, v3
	v_mul_f32_e32 v2, v53, v2
	v_and_b32_e32 v3, 0x7f800000, v2
	v_cmp_ne_u32_e64 s[0:1], s14, v3
                                        ; implicit-def: $vgpr89
	s_and_saveexec_b64 s[10:11], s[0:1]
	s_xor_b64 s[0:1], exec, s[10:11]
; %bb.256:                              ;   in Loop: Header=BB187_43 Depth=1
	v_bfe_u32 v3, v2, 16, 1
	v_add3_u32 v89, v2, v3, s15
                                        ; implicit-def: $vgpr2
; %bb.257:                              ;   in Loop: Header=BB187_43 Depth=1
	s_andn2_saveexec_b64 s[10:11], s[0:1]
; %bb.258:                              ;   in Loop: Header=BB187_43 Depth=1
	v_or_b32_e32 v3, 0x10000, v2
	v_cmp_eq_u32_sdwa s[0:1], v2, v21 src0_sel:WORD_0 src1_sel:DWORD
	s_nop 1
	v_cndmask_b32_e64 v89, v3, v2, s[0:1]
; %bb.259:                              ;   in Loop: Header=BB187_43 Depth=1
	s_or_b64 exec, exec, s[10:11]
	v_lshlrev_b32_e32 v2, 16, v90
	v_mul_f32_e32 v2, v54, v2
	v_and_b32_e32 v3, 0x7f800000, v2
	v_cmp_ne_u32_e64 s[0:1], s14, v3
                                        ; implicit-def: $vgpr90
	s_and_saveexec_b64 s[10:11], s[0:1]
	s_xor_b64 s[0:1], exec, s[10:11]
; %bb.260:                              ;   in Loop: Header=BB187_43 Depth=1
	v_bfe_u32 v3, v2, 16, 1
	v_add3_u32 v90, v2, v3, s15
                                        ; implicit-def: $vgpr2
; %bb.261:                              ;   in Loop: Header=BB187_43 Depth=1
	s_andn2_saveexec_b64 s[10:11], s[0:1]
; %bb.262:                              ;   in Loop: Header=BB187_43 Depth=1
	v_or_b32_e32 v3, 0x10000, v2
	v_cmp_eq_u32_sdwa s[0:1], v2, v21 src0_sel:WORD_0 src1_sel:DWORD
	s_nop 1
	v_cndmask_b32_e64 v90, v3, v2, s[0:1]
; %bb.263:                              ;   in Loop: Header=BB187_43 Depth=1
	s_or_b64 exec, exec, s[10:11]
	v_lshlrev_b32_e32 v2, 16, v4
	v_mul_f32_e32 v2, v55, v2
	v_and_b32_e32 v3, 0x7f800000, v2
	v_cmp_ne_u32_e64 s[0:1], s14, v3
                                        ; implicit-def: $vgpr91
	s_and_saveexec_b64 s[10:11], s[0:1]
	s_xor_b64 s[0:1], exec, s[10:11]
; %bb.264:                              ;   in Loop: Header=BB187_43 Depth=1
	v_bfe_u32 v3, v2, 16, 1
	v_add3_u32 v91, v2, v3, s15
                                        ; implicit-def: $vgpr2
; %bb.265:                              ;   in Loop: Header=BB187_43 Depth=1
	s_andn2_saveexec_b64 s[10:11], s[0:1]
; %bb.266:                              ;   in Loop: Header=BB187_43 Depth=1
	v_or_b32_e32 v3, 0x10000, v2
	v_cmp_eq_u32_sdwa s[0:1], v2, v21 src0_sel:WORD_0 src1_sel:DWORD
	s_nop 1
	v_cndmask_b32_e64 v91, v3, v2, s[0:1]
; %bb.267:                              ;   in Loop: Header=BB187_43 Depth=1
	s_or_b64 exec, exec, s[10:11]
	v_lshlrev_b32_e32 v2, 16, v31
	v_mul_f32_e32 v2, v56, v2
	v_and_b32_e32 v3, 0x7f800000, v2
	v_cmp_ne_u32_e64 s[0:1], s14, v3
                                        ; implicit-def: $vgpr92
	s_and_saveexec_b64 s[10:11], s[0:1]
	s_xor_b64 s[0:1], exec, s[10:11]
; %bb.268:                              ;   in Loop: Header=BB187_43 Depth=1
	v_bfe_u32 v3, v2, 16, 1
	v_add3_u32 v92, v2, v3, s15
                                        ; implicit-def: $vgpr2
; %bb.269:                              ;   in Loop: Header=BB187_43 Depth=1
	s_andn2_saveexec_b64 s[10:11], s[0:1]
; %bb.270:                              ;   in Loop: Header=BB187_43 Depth=1
	v_or_b32_e32 v3, 0x10000, v2
	v_cmp_eq_u32_sdwa s[0:1], v2, v21 src0_sel:WORD_0 src1_sel:DWORD
	s_nop 1
	v_cndmask_b32_e64 v92, v3, v2, s[0:1]
; %bb.271:                              ;   in Loop: Header=BB187_43 Depth=1
	s_or_b64 exec, exec, s[10:11]
	v_lshlrev_b32_e32 v2, 16, v5
	v_mul_f32_e32 v2, v57, v2
	v_and_b32_e32 v3, 0x7f800000, v2
	v_cmp_ne_u32_e64 s[0:1], s14, v3
                                        ; implicit-def: $vgpr93
	s_and_saveexec_b64 s[10:11], s[0:1]
	s_xor_b64 s[0:1], exec, s[10:11]
; %bb.272:                              ;   in Loop: Header=BB187_43 Depth=1
	v_bfe_u32 v3, v2, 16, 1
	v_add3_u32 v93, v2, v3, s15
                                        ; implicit-def: $vgpr2
; %bb.273:                              ;   in Loop: Header=BB187_43 Depth=1
	s_andn2_saveexec_b64 s[10:11], s[0:1]
; %bb.274:                              ;   in Loop: Header=BB187_43 Depth=1
	v_or_b32_e32 v3, 0x10000, v2
	v_cmp_eq_u32_sdwa s[0:1], v2, v21 src0_sel:WORD_0 src1_sel:DWORD
	s_nop 1
	v_cndmask_b32_e64 v93, v3, v2, s[0:1]
; %bb.275:                              ;   in Loop: Header=BB187_43 Depth=1
	s_or_b64 exec, exec, s[10:11]
	v_lshlrev_b32_e32 v2, 16, v29
	v_mul_f32_e32 v2, v58, v2
	v_and_b32_e32 v3, 0x7f800000, v2
	v_cmp_ne_u32_e64 s[0:1], s14, v3
                                        ; implicit-def: $vgpr94
	s_and_saveexec_b64 s[10:11], s[0:1]
	s_xor_b64 s[0:1], exec, s[10:11]
; %bb.276:                              ;   in Loop: Header=BB187_43 Depth=1
	v_bfe_u32 v3, v2, 16, 1
	v_add3_u32 v94, v2, v3, s15
                                        ; implicit-def: $vgpr2
; %bb.277:                              ;   in Loop: Header=BB187_43 Depth=1
	s_andn2_saveexec_b64 s[10:11], s[0:1]
; %bb.278:                              ;   in Loop: Header=BB187_43 Depth=1
	v_or_b32_e32 v3, 0x10000, v2
	v_cmp_eq_u32_sdwa s[0:1], v2, v21 src0_sel:WORD_0 src1_sel:DWORD
	s_nop 1
	v_cndmask_b32_e64 v94, v3, v2, s[0:1]
; %bb.279:                              ;   in Loop: Header=BB187_43 Depth=1
	s_or_b64 exec, exec, s[10:11]
	v_mov_b32_e32 v29, v21
	v_lshl_add_u64 v[2:3], v[6:7], 0, v[28:29]
	global_load_dwordx4 v[2:5], v[2:3], off
	s_waitcnt vmcnt(0)
	v_lshrrev_b32_e32 v95, 16, v2
	v_lshrrev_b32_e32 v97, 16, v3
	;; [unrolled: 1-line block ×4, first 2 shown]
	s_and_saveexec_b64 s[10:11], vcc
	s_cbranch_execz .LBB187_281
; %bb.280:                              ;   in Loop: Header=BB187_43 Depth=1
	v_cmp_gt_i32_e64 s[0:1], s33, v43
	s_nop 1
	v_cndmask_b32_e64 v2, 0, v2, s[0:1]
	v_cmp_gt_i32_e64 s[0:1], s33, v49
	s_nop 1
	v_cndmask_b32_e64 v95, 0, v95, s[0:1]
	;; [unrolled: 3-line block ×8, first 2 shown]
.LBB187_281:                            ;   in Loop: Header=BB187_43 Depth=1
	s_or_b64 exec, exec, s[10:11]
	v_lshlrev_b32_e32 v2, 16, v2
	v_mul_f32_e32 v2, v51, v2
	v_and_b32_e32 v29, 0x7f800000, v2
	v_cmp_ne_u32_e64 s[0:1], s14, v29
                                        ; implicit-def: $vgpr29
	s_and_saveexec_b64 s[10:11], s[0:1]
	s_xor_b64 s[0:1], exec, s[10:11]
; %bb.282:                              ;   in Loop: Header=BB187_43 Depth=1
	v_bfe_u32 v29, v2, 16, 1
	v_add3_u32 v29, v2, v29, s15
                                        ; implicit-def: $vgpr2
; %bb.283:                              ;   in Loop: Header=BB187_43 Depth=1
	s_andn2_saveexec_b64 s[10:11], s[0:1]
; %bb.284:                              ;   in Loop: Header=BB187_43 Depth=1
	v_or_b32_e32 v29, 0x10000, v2
	v_cmp_eq_u32_sdwa s[0:1], v2, v21 src0_sel:WORD_0 src1_sel:DWORD
	s_nop 1
	v_cndmask_b32_e64 v29, v29, v2, s[0:1]
; %bb.285:                              ;   in Loop: Header=BB187_43 Depth=1
	s_or_b64 exec, exec, s[10:11]
	v_lshlrev_b32_e32 v2, 16, v95
	v_mul_f32_e32 v2, v52, v2
	v_and_b32_e32 v95, 0x7f800000, v2
	v_cmp_ne_u32_e64 s[0:1], s14, v95
                                        ; implicit-def: $vgpr95
	s_and_saveexec_b64 s[10:11], s[0:1]
	s_xor_b64 s[0:1], exec, s[10:11]
; %bb.286:                              ;   in Loop: Header=BB187_43 Depth=1
	v_bfe_u32 v95, v2, 16, 1
	v_add3_u32 v95, v2, v95, s15
                                        ; implicit-def: $vgpr2
; %bb.287:                              ;   in Loop: Header=BB187_43 Depth=1
	s_andn2_saveexec_b64 s[10:11], s[0:1]
; %bb.288:                              ;   in Loop: Header=BB187_43 Depth=1
	v_or_b32_e32 v95, 0x10000, v2
	v_cmp_eq_u32_sdwa s[0:1], v2, v21 src0_sel:WORD_0 src1_sel:DWORD
	s_nop 1
	v_cndmask_b32_e64 v95, v95, v2, s[0:1]
; %bb.289:                              ;   in Loop: Header=BB187_43 Depth=1
	s_or_b64 exec, exec, s[10:11]
	v_lshlrev_b32_e32 v2, 16, v3
	v_mul_f32_e32 v2, v53, v2
	v_and_b32_e32 v3, 0x7f800000, v2
	v_cmp_ne_u32_e64 s[0:1], s14, v3
                                        ; implicit-def: $vgpr96
	s_and_saveexec_b64 s[10:11], s[0:1]
	s_xor_b64 s[0:1], exec, s[10:11]
; %bb.290:                              ;   in Loop: Header=BB187_43 Depth=1
	v_bfe_u32 v3, v2, 16, 1
	v_add3_u32 v96, v2, v3, s15
                                        ; implicit-def: $vgpr2
; %bb.291:                              ;   in Loop: Header=BB187_43 Depth=1
	s_andn2_saveexec_b64 s[10:11], s[0:1]
; %bb.292:                              ;   in Loop: Header=BB187_43 Depth=1
	v_or_b32_e32 v3, 0x10000, v2
	v_cmp_eq_u32_sdwa s[0:1], v2, v21 src0_sel:WORD_0 src1_sel:DWORD
	s_nop 1
	v_cndmask_b32_e64 v96, v3, v2, s[0:1]
; %bb.293:                              ;   in Loop: Header=BB187_43 Depth=1
	s_or_b64 exec, exec, s[10:11]
	v_lshlrev_b32_e32 v2, 16, v97
	v_mul_f32_e32 v2, v54, v2
	v_and_b32_e32 v3, 0x7f800000, v2
	v_cmp_ne_u32_e64 s[0:1], s14, v3
                                        ; implicit-def: $vgpr97
	s_and_saveexec_b64 s[10:11], s[0:1]
	s_xor_b64 s[0:1], exec, s[10:11]
; %bb.294:                              ;   in Loop: Header=BB187_43 Depth=1
	v_bfe_u32 v3, v2, 16, 1
	v_add3_u32 v97, v2, v3, s15
                                        ; implicit-def: $vgpr2
; %bb.295:                              ;   in Loop: Header=BB187_43 Depth=1
	s_andn2_saveexec_b64 s[10:11], s[0:1]
; %bb.296:                              ;   in Loop: Header=BB187_43 Depth=1
	v_or_b32_e32 v3, 0x10000, v2
	v_cmp_eq_u32_sdwa s[0:1], v2, v21 src0_sel:WORD_0 src1_sel:DWORD
	s_nop 1
	v_cndmask_b32_e64 v97, v3, v2, s[0:1]
; %bb.297:                              ;   in Loop: Header=BB187_43 Depth=1
	s_or_b64 exec, exec, s[10:11]
	v_lshlrev_b32_e32 v2, 16, v4
	v_mul_f32_e32 v2, v55, v2
	v_and_b32_e32 v3, 0x7f800000, v2
	v_cmp_ne_u32_e64 s[0:1], s14, v3
                                        ; implicit-def: $vgpr98
	s_and_saveexec_b64 s[10:11], s[0:1]
	s_xor_b64 s[0:1], exec, s[10:11]
; %bb.298:                              ;   in Loop: Header=BB187_43 Depth=1
	v_bfe_u32 v3, v2, 16, 1
	v_add3_u32 v98, v2, v3, s15
                                        ; implicit-def: $vgpr2
; %bb.299:                              ;   in Loop: Header=BB187_43 Depth=1
	s_andn2_saveexec_b64 s[10:11], s[0:1]
; %bb.300:                              ;   in Loop: Header=BB187_43 Depth=1
	v_or_b32_e32 v3, 0x10000, v2
	v_cmp_eq_u32_sdwa s[0:1], v2, v21 src0_sel:WORD_0 src1_sel:DWORD
	s_nop 1
	v_cndmask_b32_e64 v98, v3, v2, s[0:1]
; %bb.301:                              ;   in Loop: Header=BB187_43 Depth=1
	s_or_b64 exec, exec, s[10:11]
	v_lshlrev_b32_e32 v2, 16, v99
	v_mul_f32_e32 v2, v56, v2
	v_and_b32_e32 v3, 0x7f800000, v2
	v_cmp_ne_u32_e64 s[0:1], s14, v3
                                        ; implicit-def: $vgpr99
	s_and_saveexec_b64 s[10:11], s[0:1]
	s_xor_b64 s[0:1], exec, s[10:11]
; %bb.302:                              ;   in Loop: Header=BB187_43 Depth=1
	v_bfe_u32 v3, v2, 16, 1
	v_add3_u32 v99, v2, v3, s15
                                        ; implicit-def: $vgpr2
; %bb.303:                              ;   in Loop: Header=BB187_43 Depth=1
	s_andn2_saveexec_b64 s[10:11], s[0:1]
; %bb.304:                              ;   in Loop: Header=BB187_43 Depth=1
	v_or_b32_e32 v3, 0x10000, v2
	v_cmp_eq_u32_sdwa s[0:1], v2, v21 src0_sel:WORD_0 src1_sel:DWORD
	s_nop 1
	v_cndmask_b32_e64 v99, v3, v2, s[0:1]
; %bb.305:                              ;   in Loop: Header=BB187_43 Depth=1
	s_or_b64 exec, exec, s[10:11]
	v_lshlrev_b32_e32 v2, 16, v5
	v_mul_f32_e32 v2, v57, v2
	v_and_b32_e32 v3, 0x7f800000, v2
	v_cmp_ne_u32_e64 s[0:1], s14, v3
                                        ; implicit-def: $vgpr100
	s_and_saveexec_b64 s[10:11], s[0:1]
	s_xor_b64 s[0:1], exec, s[10:11]
; %bb.306:                              ;   in Loop: Header=BB187_43 Depth=1
	v_bfe_u32 v3, v2, 16, 1
	v_add3_u32 v100, v2, v3, s15
                                        ; implicit-def: $vgpr2
; %bb.307:                              ;   in Loop: Header=BB187_43 Depth=1
	s_andn2_saveexec_b64 s[10:11], s[0:1]
; %bb.308:                              ;   in Loop: Header=BB187_43 Depth=1
	v_or_b32_e32 v3, 0x10000, v2
	v_cmp_eq_u32_sdwa s[0:1], v2, v21 src0_sel:WORD_0 src1_sel:DWORD
	s_nop 1
	v_cndmask_b32_e64 v100, v3, v2, s[0:1]
; %bb.309:                              ;   in Loop: Header=BB187_43 Depth=1
	s_or_b64 exec, exec, s[10:11]
	v_lshlrev_b32_e32 v2, 16, v31
	v_mul_f32_e32 v2, v58, v2
	v_and_b32_e32 v3, 0x7f800000, v2
	v_cmp_ne_u32_e64 s[0:1], s14, v3
                                        ; implicit-def: $vgpr101
	s_and_saveexec_b64 s[10:11], s[0:1]
	s_xor_b64 s[0:1], exec, s[10:11]
; %bb.310:                              ;   in Loop: Header=BB187_43 Depth=1
	v_bfe_u32 v3, v2, 16, 1
	v_add3_u32 v101, v2, v3, s15
                                        ; implicit-def: $vgpr2
; %bb.311:                              ;   in Loop: Header=BB187_43 Depth=1
	s_andn2_saveexec_b64 s[10:11], s[0:1]
; %bb.312:                              ;   in Loop: Header=BB187_43 Depth=1
	v_or_b32_e32 v3, 0x10000, v2
	v_cmp_eq_u32_sdwa s[0:1], v2, v21 src0_sel:WORD_0 src1_sel:DWORD
	s_nop 1
	v_cndmask_b32_e64 v101, v3, v2, s[0:1]
; %bb.313:                              ;   in Loop: Header=BB187_43 Depth=1
	s_or_b64 exec, exec, s[10:11]
	v_mov_b32_e32 v31, v21
	v_lshl_add_u64 v[2:3], v[6:7], 0, v[30:31]
	global_load_dwordx4 v[2:5], v[2:3], off
	s_waitcnt vmcnt(0)
	v_lshrrev_b32_e32 v6, 16, v2
	v_lshrrev_b32_e32 v7, 16, v3
	;; [unrolled: 1-line block ×4, first 2 shown]
	s_and_saveexec_b64 s[0:1], vcc
	s_cbranch_execz .LBB187_315
; %bb.314:                              ;   in Loop: Header=BB187_43 Depth=1
	v_cmp_gt_i32_e32 vcc, s33, v43
	s_nop 1
	v_cndmask_b32_e32 v2, 0, v2, vcc
	v_cmp_gt_i32_e32 vcc, s33, v49
	s_nop 1
	v_cndmask_b32_e32 v6, 0, v6, vcc
	;; [unrolled: 3-line block ×8, first 2 shown]
.LBB187_315:                            ;   in Loop: Header=BB187_43 Depth=1
	s_or_b64 exec, exec, s[0:1]
	v_lshlrev_b32_e32 v2, 16, v2
	v_mul_f32_e32 v43, v51, v2
	v_and_b32_e32 v2, 0x7f800000, v43
	v_cmp_ne_u32_e32 vcc, s14, v2
                                        ; implicit-def: $vgpr2
	s_and_saveexec_b64 s[0:1], vcc
	s_xor_b64 s[0:1], exec, s[0:1]
; %bb.316:                              ;   in Loop: Header=BB187_43 Depth=1
	v_bfe_u32 v2, v43, 16, 1
	v_add3_u32 v2, v43, v2, s15
                                        ; implicit-def: $vgpr43
; %bb.317:                              ;   in Loop: Header=BB187_43 Depth=1
	s_andn2_saveexec_b64 s[0:1], s[0:1]
; %bb.318:                              ;   in Loop: Header=BB187_43 Depth=1
	v_or_b32_e32 v2, 0x10000, v43
	v_cmp_eq_u32_sdwa vcc, v43, v21 src0_sel:WORD_0 src1_sel:DWORD
	s_nop 1
	v_cndmask_b32_e32 v2, v2, v43, vcc
; %bb.319:                              ;   in Loop: Header=BB187_43 Depth=1
	s_or_b64 exec, exec, s[0:1]
	v_lshlrev_b32_e32 v6, 16, v6
	v_mul_f32_e32 v43, v52, v6
	v_and_b32_e32 v6, 0x7f800000, v43
	v_cmp_ne_u32_e32 vcc, s14, v6
                                        ; implicit-def: $vgpr6
	s_and_saveexec_b64 s[0:1], vcc
	s_xor_b64 s[0:1], exec, s[0:1]
; %bb.320:                              ;   in Loop: Header=BB187_43 Depth=1
	v_bfe_u32 v6, v43, 16, 1
	v_add3_u32 v6, v43, v6, s15
                                        ; implicit-def: $vgpr43
; %bb.321:                              ;   in Loop: Header=BB187_43 Depth=1
	s_andn2_saveexec_b64 s[0:1], s[0:1]
; %bb.322:                              ;   in Loop: Header=BB187_43 Depth=1
	v_or_b32_e32 v6, 0x10000, v43
	v_cmp_eq_u32_sdwa vcc, v43, v21 src0_sel:WORD_0 src1_sel:DWORD
	s_nop 1
	v_cndmask_b32_e32 v6, v6, v43, vcc
; %bb.323:                              ;   in Loop: Header=BB187_43 Depth=1
	s_or_b64 exec, exec, s[0:1]
	v_lshlrev_b32_e32 v3, 16, v3
	v_mul_f32_e32 v43, v53, v3
	v_and_b32_e32 v3, 0x7f800000, v43
	v_cmp_ne_u32_e32 vcc, s14, v3
                                        ; implicit-def: $vgpr3
	s_and_saveexec_b64 s[0:1], vcc
	s_xor_b64 s[0:1], exec, s[0:1]
; %bb.324:                              ;   in Loop: Header=BB187_43 Depth=1
	v_bfe_u32 v3, v43, 16, 1
	v_add3_u32 v3, v43, v3, s15
                                        ; implicit-def: $vgpr43
; %bb.325:                              ;   in Loop: Header=BB187_43 Depth=1
	s_andn2_saveexec_b64 s[0:1], s[0:1]
; %bb.326:                              ;   in Loop: Header=BB187_43 Depth=1
	v_or_b32_e32 v3, 0x10000, v43
	v_cmp_eq_u32_sdwa vcc, v43, v21 src0_sel:WORD_0 src1_sel:DWORD
	s_nop 1
	v_cndmask_b32_e32 v3, v3, v43, vcc
; %bb.327:                              ;   in Loop: Header=BB187_43 Depth=1
	s_or_b64 exec, exec, s[0:1]
	v_lshlrev_b32_e32 v7, 16, v7
	v_mul_f32_e32 v43, v54, v7
	v_and_b32_e32 v7, 0x7f800000, v43
	v_cmp_ne_u32_e32 vcc, s14, v7
                                        ; implicit-def: $vgpr7
	s_and_saveexec_b64 s[0:1], vcc
	s_xor_b64 s[0:1], exec, s[0:1]
; %bb.328:                              ;   in Loop: Header=BB187_43 Depth=1
	v_bfe_u32 v7, v43, 16, 1
	v_add3_u32 v7, v43, v7, s15
                                        ; implicit-def: $vgpr43
; %bb.329:                              ;   in Loop: Header=BB187_43 Depth=1
	s_andn2_saveexec_b64 s[0:1], s[0:1]
; %bb.330:                              ;   in Loop: Header=BB187_43 Depth=1
	v_or_b32_e32 v7, 0x10000, v43
	v_cmp_eq_u32_sdwa vcc, v43, v21 src0_sel:WORD_0 src1_sel:DWORD
	s_nop 1
	v_cndmask_b32_e32 v7, v7, v43, vcc
; %bb.331:                              ;   in Loop: Header=BB187_43 Depth=1
	s_or_b64 exec, exec, s[0:1]
	v_lshlrev_b32_e32 v4, 16, v4
	v_mul_f32_e32 v43, v55, v4
	v_and_b32_e32 v4, 0x7f800000, v43
	v_cmp_ne_u32_e32 vcc, s14, v4
                                        ; implicit-def: $vgpr4
	s_and_saveexec_b64 s[0:1], vcc
	s_xor_b64 s[0:1], exec, s[0:1]
; %bb.332:                              ;   in Loop: Header=BB187_43 Depth=1
	v_bfe_u32 v4, v43, 16, 1
	v_add3_u32 v4, v43, v4, s15
                                        ; implicit-def: $vgpr43
; %bb.333:                              ;   in Loop: Header=BB187_43 Depth=1
	s_andn2_saveexec_b64 s[0:1], s[0:1]
; %bb.334:                              ;   in Loop: Header=BB187_43 Depth=1
	v_or_b32_e32 v4, 0x10000, v43
	v_cmp_eq_u32_sdwa vcc, v43, v21 src0_sel:WORD_0 src1_sel:DWORD
	s_nop 1
	v_cndmask_b32_e32 v4, v4, v43, vcc
; %bb.335:                              ;   in Loop: Header=BB187_43 Depth=1
	s_or_b64 exec, exec, s[0:1]
	v_lshlrev_b32_e32 v43, 16, v102
	v_mul_f32_e32 v44, v56, v43
	v_and_b32_e32 v43, 0x7f800000, v44
	v_cmp_ne_u32_e32 vcc, s14, v43
                                        ; implicit-def: $vgpr43
	s_and_saveexec_b64 s[0:1], vcc
	s_xor_b64 s[0:1], exec, s[0:1]
; %bb.336:                              ;   in Loop: Header=BB187_43 Depth=1
	v_bfe_u32 v43, v44, 16, 1
	v_add3_u32 v43, v44, v43, s15
                                        ; implicit-def: $vgpr44
; %bb.337:                              ;   in Loop: Header=BB187_43 Depth=1
	s_andn2_saveexec_b64 s[0:1], s[0:1]
; %bb.338:                              ;   in Loop: Header=BB187_43 Depth=1
	v_or_b32_e32 v43, 0x10000, v44
	v_cmp_eq_u32_sdwa vcc, v44, v21 src0_sel:WORD_0 src1_sel:DWORD
	s_nop 1
	v_cndmask_b32_e32 v43, v43, v44, vcc
; %bb.339:                              ;   in Loop: Header=BB187_43 Depth=1
	s_or_b64 exec, exec, s[0:1]
	v_lshlrev_b32_e32 v5, 16, v5
	v_mul_f32_e32 v44, v57, v5
	v_and_b32_e32 v5, 0x7f800000, v44
	v_cmp_ne_u32_e32 vcc, s14, v5
                                        ; implicit-def: $vgpr5
	s_and_saveexec_b64 s[0:1], vcc
	s_xor_b64 s[0:1], exec, s[0:1]
; %bb.340:                              ;   in Loop: Header=BB187_43 Depth=1
	v_bfe_u32 v5, v44, 16, 1
	v_add3_u32 v5, v44, v5, s15
                                        ; implicit-def: $vgpr44
; %bb.341:                              ;   in Loop: Header=BB187_43 Depth=1
	s_andn2_saveexec_b64 s[0:1], s[0:1]
; %bb.342:                              ;   in Loop: Header=BB187_43 Depth=1
	v_or_b32_e32 v5, 0x10000, v44
	v_cmp_eq_u32_sdwa vcc, v44, v21 src0_sel:WORD_0 src1_sel:DWORD
	s_nop 1
	v_cndmask_b32_e32 v5, v5, v44, vcc
; %bb.343:                              ;   in Loop: Header=BB187_43 Depth=1
	s_or_b64 exec, exec, s[0:1]
	v_lshlrev_b32_e32 v31, 16, v31
	v_mul_f32_e32 v44, v58, v31
	v_and_b32_e32 v31, 0x7f800000, v44
	v_cmp_ne_u32_e32 vcc, s14, v31
                                        ; implicit-def: $vgpr31
	s_and_saveexec_b64 s[0:1], vcc
	s_xor_b64 s[0:1], exec, s[0:1]
; %bb.344:                              ;   in Loop: Header=BB187_43 Depth=1
	v_bfe_u32 v31, v44, 16, 1
	v_add3_u32 v31, v44, v31, s15
                                        ; implicit-def: $vgpr44
; %bb.345:                              ;   in Loop: Header=BB187_43 Depth=1
	s_andn2_saveexec_b64 s[0:1], s[0:1]
	s_cbranch_execz .LBB187_42
; %bb.346:                              ;   in Loop: Header=BB187_43 Depth=1
	v_or_b32_e32 v31, 0x10000, v44
	v_cmp_eq_u32_sdwa vcc, v44, v21 src0_sel:WORD_0 src1_sel:DWORD
	s_nop 1
	v_cndmask_b32_e32 v31, v31, v44, vcc
	s_branch .LBB187_42
.LBB187_347:
	s_or_b64 exec, exec, s[8:9]
.LBB187_348:
	s_or_b64 exec, exec, s[2:3]
	ds_bpermute_b32 v4, v32, v16
	ds_bpermute_b32 v5, v32, v17
	ds_bpermute_b32 v2, v32, v18
	ds_bpermute_b32 v3, v32, v19
	ds_bpermute_b32 v8, v32, v14
	ds_bpermute_b32 v9, v32, v15
	s_waitcnt lgkmcnt(4)
	v_pk_add_f32 v[4:5], v[16:17], v[4:5]
	ds_bpermute_b32 v16, v32, v12
	ds_bpermute_b32 v17, v32, v13
	s_waitcnt lgkmcnt(4)
	v_pk_add_f32 v[2:3], v[18:19], v[2:3]
	ds_bpermute_b32 v10, v33, v4
	ds_bpermute_b32 v11, v33, v5
	s_waitcnt lgkmcnt(4)
	v_pk_add_f32 v[14:15], v[14:15], v[8:9]
	s_waitcnt lgkmcnt(2)
	v_pk_add_f32 v[12:13], v[12:13], v[16:17]
	ds_bpermute_b32 v6, v33, v2
	ds_bpermute_b32 v7, v33, v3
	;; [unrolled: 1-line block ×6, first 2 shown]
	s_waitcnt lgkmcnt(6)
	v_pk_add_f32 v[4:5], v[4:5], v[10:11]
	v_and_b32_e32 v10, 0x3c3, v0
	s_waitcnt lgkmcnt(4)
	v_pk_add_f32 v[8:9], v[2:3], v[6:7]
	s_waitcnt lgkmcnt(2)
	v_pk_add_f32 v[2:3], v[14:15], v[18:19]
	;; [unrolled: 2-line block ×3, first 2 shown]
	v_cmp_eq_u32_e32 vcc, 64, v10
	s_barrier
	s_and_saveexec_b64 s[0:1], vcc
	s_cbranch_execz .LBB187_350
; %bb.349:
	v_add_u32_e32 v1, 0x110, v1
	ds_write2_b32 v1, v8, v9 offset1:16
	ds_write2_b32 v1, v4, v5 offset0:32 offset1:48
	ds_write2_b32 v1, v2, v3 offset0:64 offset1:80
	;; [unrolled: 1-line block ×3, first 2 shown]
.LBB187_350:
	s_or_b64 exec, exec, s[0:1]
	v_cmp_gt_u32_e32 vcc, 64, v0
	s_waitcnt lgkmcnt(0)
	s_barrier
	s_and_saveexec_b64 s[2:3], vcc
	s_cbranch_execz .LBB187_361
; %bb.351:
	v_cmp_eq_u32_e64 s[0:1], 0, v34
	v_lshrrev_b32_e32 v1, 2, v0
	s_and_saveexec_b64 s[6:7], s[0:1]
	s_cbranch_execnz .LBB187_397
; %bb.352:
	s_or_b64 exec, exec, s[6:7]
	s_and_saveexec_b64 s[6:7], s[0:1]
	s_cbranch_execnz .LBB187_398
.LBB187_353:
	s_or_b64 exec, exec, s[6:7]
	s_and_saveexec_b64 s[6:7], s[0:1]
	s_cbranch_execnz .LBB187_399
.LBB187_354:
	s_or_b64 exec, exec, s[6:7]
	s_and_saveexec_b64 s[6:7], s[0:1]
	s_cbranch_execnz .LBB187_400
.LBB187_355:
	s_or_b64 exec, exec, s[6:7]
	s_and_saveexec_b64 s[6:7], s[0:1]
	s_cbranch_execnz .LBB187_401
.LBB187_356:
	s_or_b64 exec, exec, s[6:7]
	s_and_saveexec_b64 s[6:7], s[0:1]
	s_cbranch_execnz .LBB187_402
.LBB187_357:
	s_or_b64 exec, exec, s[6:7]
	s_and_saveexec_b64 s[6:7], s[0:1]
	s_cbranch_execnz .LBB187_403
.LBB187_358:
	s_or_b64 exec, exec, s[6:7]
	s_and_saveexec_b64 s[6:7], s[0:1]
	s_cbranch_execz .LBB187_360
.LBB187_359:
	v_mov_b32_e32 v10, 0x110
	v_lshl_add_u32 v1, v1, 2, v10
	ds_read_b32 v1, v1 offset:448
	s_waitcnt lgkmcnt(0)
	v_add_f32_e32 v7, v7, v1
.LBB187_360:
	s_or_b64 exec, exec, s[6:7]
.LBB187_361:
	s_or_b64 exec, exec, s[2:3]
	s_barrier
	s_and_saveexec_b64 s[0:1], vcc
	s_cbranch_execz .LBB187_396
; %bb.362:
	v_cmp_eq_u32_e32 vcc, 0, v34
	s_and_b64 exec, exec, vcc
	s_cbranch_execz .LBB187_396
; %bb.363:
	s_mov_b32 s0, 0x7f800000
	v_and_b32_e32 v1, 0x7f800000, v8
	v_cmp_ne_u32_e32 vcc, s0, v1
                                        ; implicit-def: $vgpr10
	s_and_saveexec_b64 s[0:1], vcc
	s_xor_b64 s[0:1], exec, s[0:1]
; %bb.364:
	v_bfe_u32 v1, v8, 16, 1
	s_movk_i32 s2, 0x7fff
	v_add3_u32 v10, v8, v1, s2
; %bb.365:
	s_andn2_saveexec_b64 s[0:1], s[0:1]
; %bb.366:
	v_mov_b32_e32 v1, 0
	v_or_b32_e32 v10, 0x10000, v8
	v_cmp_eq_u32_sdwa vcc, v8, v1 src0_sel:WORD_0 src1_sel:DWORD
	s_nop 1
	v_cndmask_b32_e32 v10, v10, v8, vcc
; %bb.367:
	s_or_b64 exec, exec, s[0:1]
	s_mul_i32 s0, s12, s20
	s_mul_i32 s0, s0, s21
	s_lshl_b32 s0, s0, 7
	s_ashr_i32 s1, s0, 31
	s_lshl_b64 s[0:1], s[0:1], 1
	s_add_u32 s2, s24, s0
	s_mul_i32 s0, s12, s22
	s_addc_u32 s3, s25, s1
	s_ashr_i32 s1, s0, 31
	s_lshl_b64 s[0:1], s[0:1], 1
	s_add_u32 s2, s2, s0
	s_addc_u32 s3, s3, s1
	s_lshl_b32 s0, s4, 7
	s_ashr_i32 s1, s0, 31
	s_lshl_b64 s[0:1], s[0:1], 1
	s_add_u32 s0, s2, s0
	v_lshrrev_b32_e32 v0, 1, v0
	s_mov_b32 s2, 0x7f800000
	v_and_b32_e32 v8, 0x7f800000, v9
	s_addc_u32 s1, s3, s1
	v_and_b32_e32 v0, 0x1fe, v0
	v_mov_b32_e32 v1, 0
	v_cmp_ne_u32_e32 vcc, s2, v8
	global_store_short_d16_hi v0, v10, s[0:1]
                                        ; implicit-def: $vgpr8
	s_and_saveexec_b64 s[2:3], vcc
	s_xor_b64 s[2:3], exec, s[2:3]
; %bb.368:
	v_bfe_u32 v8, v9, 16, 1
	s_movk_i32 s4, 0x7fff
	v_add3_u32 v8, v9, v8, s4
; %bb.369:
	s_or_saveexec_b64 s[2:3], s[2:3]
	v_lshl_add_u64 v[10:11], s[0:1], 0, v[0:1]
	s_xor_b64 exec, exec, s[2:3]
; %bb.370:
	v_mov_b32_e32 v0, 0
	v_or_b32_e32 v1, 0x10000, v9
	v_cmp_eq_u32_sdwa vcc, v9, v0 src0_sel:WORD_0 src1_sel:DWORD
	s_nop 1
	v_cndmask_b32_e32 v8, v1, v9, vcc
; %bb.371:
	s_or_b64 exec, exec, s[2:3]
	s_mov_b32 s0, 0x7f800000
	v_and_b32_e32 v0, 0x7f800000, v4
	v_cmp_ne_u32_e32 vcc, s0, v0
	global_store_short_d16_hi v[10:11], v8, off offset:32
                                        ; implicit-def: $vgpr0
	s_and_saveexec_b64 s[0:1], vcc
	s_xor_b64 s[0:1], exec, s[0:1]
; %bb.372:
	v_bfe_u32 v0, v4, 16, 1
	s_movk_i32 s2, 0x7fff
	v_add3_u32 v0, v4, v0, s2
; %bb.373:
	s_andn2_saveexec_b64 s[0:1], s[0:1]
; %bb.374:
	v_mov_b32_e32 v0, 0
	v_or_b32_e32 v1, 0x10000, v4
	v_cmp_eq_u32_sdwa vcc, v4, v0 src0_sel:WORD_0 src1_sel:DWORD
	s_nop 1
	v_cndmask_b32_e32 v0, v1, v4, vcc
; %bb.375:
	s_or_b64 exec, exec, s[0:1]
	global_store_short_d16_hi v[10:11], v0, off offset:64
	s_mov_b32 s0, 0x7f800000
	v_and_b32_e32 v0, 0x7f800000, v5
	v_cmp_ne_u32_e32 vcc, s0, v0
                                        ; implicit-def: $vgpr0
	s_and_saveexec_b64 s[0:1], vcc
	s_xor_b64 s[0:1], exec, s[0:1]
; %bb.376:
	v_bfe_u32 v0, v5, 16, 1
	s_movk_i32 s2, 0x7fff
	v_add3_u32 v0, v5, v0, s2
; %bb.377:
	s_andn2_saveexec_b64 s[0:1], s[0:1]
; %bb.378:
	v_mov_b32_e32 v0, 0
	v_or_b32_e32 v1, 0x10000, v5
	v_cmp_eq_u32_sdwa vcc, v5, v0 src0_sel:WORD_0 src1_sel:DWORD
	s_nop 1
	v_cndmask_b32_e32 v0, v1, v5, vcc
; %bb.379:
	s_or_b64 exec, exec, s[0:1]
	global_store_short_d16_hi v[10:11], v0, off offset:96
	s_mov_b32 s0, 0x7f800000
	v_and_b32_e32 v0, 0x7f800000, v2
	v_cmp_ne_u32_e32 vcc, s0, v0
	;; [unrolled: 21-line block ×5, first 2 shown]
                                        ; implicit-def: $vgpr8
	s_and_saveexec_b64 s[0:1], vcc
	s_xor_b64 s[0:1], exec, s[0:1]
; %bb.392:
	v_bfe_u32 v0, v7, 16, 1
	s_movk_i32 s2, 0x7fff
	v_add3_u32 v8, v7, v0, s2
                                        ; implicit-def: $vgpr0_vgpr1_vgpr2_vgpr3_vgpr4_vgpr5_vgpr6_vgpr7
; %bb.393:
	s_andn2_saveexec_b64 s[0:1], s[0:1]
; %bb.394:
	v_mov_b32_e32 v0, 0
	v_or_b32_e32 v1, 0x10000, v7
	v_cmp_eq_u32_sdwa vcc, v7, v0 src0_sel:WORD_0 src1_sel:DWORD
	s_nop 1
	v_cndmask_b32_e32 v8, v1, v7, vcc
; %bb.395:
	s_or_b64 exec, exec, s[0:1]
	global_store_short_d16_hi v[10:11], v8, off offset:224
.LBB187_396:
	s_endpgm
.LBB187_397:
	v_mov_b32_e32 v10, 0x110
	v_lshl_add_u32 v10, v1, 2, v10
	ds_read_b32 v10, v10
	s_waitcnt lgkmcnt(0)
	v_add_f32_e32 v8, v8, v10
	s_or_b64 exec, exec, s[6:7]
	s_and_saveexec_b64 s[6:7], s[0:1]
	s_cbranch_execz .LBB187_353
.LBB187_398:
	v_mov_b32_e32 v10, 0x110
	v_lshl_add_u32 v10, v1, 2, v10
	ds_read_b32 v10, v10 offset:64
	s_waitcnt lgkmcnt(0)
	v_add_f32_e32 v9, v9, v10
	s_or_b64 exec, exec, s[6:7]
	s_and_saveexec_b64 s[6:7], s[0:1]
	s_cbranch_execz .LBB187_354
.LBB187_399:
	v_mov_b32_e32 v10, 0x110
	v_lshl_add_u32 v10, v1, 2, v10
	ds_read_b32 v10, v10 offset:128
	s_waitcnt lgkmcnt(0)
	v_add_f32_e32 v4, v4, v10
	s_or_b64 exec, exec, s[6:7]
	s_and_saveexec_b64 s[6:7], s[0:1]
	s_cbranch_execz .LBB187_355
.LBB187_400:
	v_mov_b32_e32 v10, 0x110
	v_lshl_add_u32 v10, v1, 2, v10
	ds_read_b32 v10, v10 offset:192
	s_waitcnt lgkmcnt(0)
	v_add_f32_e32 v5, v5, v10
	s_or_b64 exec, exec, s[6:7]
	s_and_saveexec_b64 s[6:7], s[0:1]
	s_cbranch_execz .LBB187_356
.LBB187_401:
	v_mov_b32_e32 v10, 0x110
	v_lshl_add_u32 v10, v1, 2, v10
	ds_read_b32 v10, v10 offset:256
	s_waitcnt lgkmcnt(0)
	v_add_f32_e32 v2, v2, v10
	s_or_b64 exec, exec, s[6:7]
	s_and_saveexec_b64 s[6:7], s[0:1]
	s_cbranch_execz .LBB187_357
.LBB187_402:
	v_mov_b32_e32 v10, 0x110
	v_lshl_add_u32 v10, v1, 2, v10
	ds_read_b32 v10, v10 offset:320
	s_waitcnt lgkmcnt(0)
	v_add_f32_e32 v3, v3, v10
	s_or_b64 exec, exec, s[6:7]
	s_and_saveexec_b64 s[6:7], s[0:1]
	s_cbranch_execz .LBB187_358
.LBB187_403:
	v_mov_b32_e32 v10, 0x110
	v_lshl_add_u32 v10, v1, 2, v10
	ds_read_b32 v10, v10 offset:384
	s_waitcnt lgkmcnt(0)
	v_add_f32_e32 v6, v6, v10
	s_or_b64 exec, exec, s[6:7]
	s_and_saveexec_b64 s[6:7], s[0:1]
	s_cbranch_execnz .LBB187_359
	s_branch .LBB187_360
	.section	.rodata,"a",@progbits
	.p2align	6, 0x0
	.amdhsa_kernel _ZN4vllm25paged_attention_v2_kernelI14__hip_bfloat16S1_Li128ELi32ELi128ELNS_18Fp8KVCacheDataTypeE0ELb0ELi512EEEvPfS3_PT_PKS4_PKT0_SA_ifPKiSC_iPKfiiiSE_SE_iiiii
		.amdhsa_group_segment_fixed_size 272
		.amdhsa_private_segment_fixed_size 0
		.amdhsa_kernarg_size 400
		.amdhsa_user_sgpr_count 2
		.amdhsa_user_sgpr_dispatch_ptr 0
		.amdhsa_user_sgpr_queue_ptr 0
		.amdhsa_user_sgpr_kernarg_segment_ptr 1
		.amdhsa_user_sgpr_dispatch_id 0
		.amdhsa_user_sgpr_kernarg_preload_length 0
		.amdhsa_user_sgpr_kernarg_preload_offset 0
		.amdhsa_user_sgpr_private_segment_size 0
		.amdhsa_uses_dynamic_stack 0
		.amdhsa_enable_private_segment 0
		.amdhsa_system_sgpr_workgroup_id_x 1
		.amdhsa_system_sgpr_workgroup_id_y 1
		.amdhsa_system_sgpr_workgroup_id_z 1
		.amdhsa_system_sgpr_workgroup_info 0
		.amdhsa_system_vgpr_workitem_id 0
		.amdhsa_next_free_vgpr 116
		.amdhsa_next_free_sgpr 43
		.amdhsa_accum_offset 116
		.amdhsa_reserve_vcc 1
		.amdhsa_float_round_mode_32 0
		.amdhsa_float_round_mode_16_64 0
		.amdhsa_float_denorm_mode_32 3
		.amdhsa_float_denorm_mode_16_64 3
		.amdhsa_dx10_clamp 1
		.amdhsa_ieee_mode 1
		.amdhsa_fp16_overflow 0
		.amdhsa_tg_split 0
		.amdhsa_exception_fp_ieee_invalid_op 0
		.amdhsa_exception_fp_denorm_src 0
		.amdhsa_exception_fp_ieee_div_zero 0
		.amdhsa_exception_fp_ieee_overflow 0
		.amdhsa_exception_fp_ieee_underflow 0
		.amdhsa_exception_fp_ieee_inexact 0
		.amdhsa_exception_int_div_zero 0
	.end_amdhsa_kernel
	.section	.text._ZN4vllm25paged_attention_v2_kernelI14__hip_bfloat16S1_Li128ELi32ELi128ELNS_18Fp8KVCacheDataTypeE0ELb0ELi512EEEvPfS3_PT_PKS4_PKT0_SA_ifPKiSC_iPKfiiiSE_SE_iiiii,"axG",@progbits,_ZN4vllm25paged_attention_v2_kernelI14__hip_bfloat16S1_Li128ELi32ELi128ELNS_18Fp8KVCacheDataTypeE0ELb0ELi512EEEvPfS3_PT_PKS4_PKT0_SA_ifPKiSC_iPKfiiiSE_SE_iiiii,comdat
.Lfunc_end187:
	.size	_ZN4vllm25paged_attention_v2_kernelI14__hip_bfloat16S1_Li128ELi32ELi128ELNS_18Fp8KVCacheDataTypeE0ELb0ELi512EEEvPfS3_PT_PKS4_PKT0_SA_ifPKiSC_iPKfiiiSE_SE_iiiii, .Lfunc_end187-_ZN4vllm25paged_attention_v2_kernelI14__hip_bfloat16S1_Li128ELi32ELi128ELNS_18Fp8KVCacheDataTypeE0ELb0ELi512EEEvPfS3_PT_PKS4_PKT0_SA_ifPKiSC_iPKfiiiSE_SE_iiiii
                                        ; -- End function
	.section	.AMDGPU.csdata,"",@progbits
; Kernel info:
; codeLenInByte = 14140
; NumSgprs: 49
; NumVgprs: 116
; NumAgprs: 0
; TotalNumVgprs: 116
; ScratchSize: 0
; MemoryBound: 0
; FloatMode: 240
; IeeeMode: 1
; LDSByteSize: 272 bytes/workgroup (compile time only)
; SGPRBlocks: 6
; VGPRBlocks: 14
; NumSGPRsForWavesPerEU: 49
; NumVGPRsForWavesPerEU: 116
; AccumOffset: 116
; Occupancy: 4
; WaveLimiterHint : 1
; COMPUTE_PGM_RSRC2:SCRATCH_EN: 0
; COMPUTE_PGM_RSRC2:USER_SGPR: 2
; COMPUTE_PGM_RSRC2:TRAP_HANDLER: 0
; COMPUTE_PGM_RSRC2:TGID_X_EN: 1
; COMPUTE_PGM_RSRC2:TGID_Y_EN: 1
; COMPUTE_PGM_RSRC2:TGID_Z_EN: 1
; COMPUTE_PGM_RSRC2:TIDIG_COMP_CNT: 0
; COMPUTE_PGM_RSRC3_GFX90A:ACCUM_OFFSET: 28
; COMPUTE_PGM_RSRC3_GFX90A:TG_SPLIT: 0
	.section	.text._ZN4vllm25paged_attention_v2_kernelI14__hip_bfloat16S1_Li192ELi32ELi128ELNS_18Fp8KVCacheDataTypeE0ELb0ELi512EEEvPfS3_PT_PKS4_PKT0_SA_ifPKiSC_iPKfiiiSE_SE_iiiii,"axG",@progbits,_ZN4vllm25paged_attention_v2_kernelI14__hip_bfloat16S1_Li192ELi32ELi128ELNS_18Fp8KVCacheDataTypeE0ELb0ELi512EEEvPfS3_PT_PKS4_PKT0_SA_ifPKiSC_iPKfiiiSE_SE_iiiii,comdat
	.protected	_ZN4vllm25paged_attention_v2_kernelI14__hip_bfloat16S1_Li192ELi32ELi128ELNS_18Fp8KVCacheDataTypeE0ELb0ELi512EEEvPfS3_PT_PKS4_PKT0_SA_ifPKiSC_iPKfiiiSE_SE_iiiii ; -- Begin function _ZN4vllm25paged_attention_v2_kernelI14__hip_bfloat16S1_Li192ELi32ELi128ELNS_18Fp8KVCacheDataTypeE0ELb0ELi512EEEvPfS3_PT_PKS4_PKT0_SA_ifPKiSC_iPKfiiiSE_SE_iiiii
	.globl	_ZN4vllm25paged_attention_v2_kernelI14__hip_bfloat16S1_Li192ELi32ELi128ELNS_18Fp8KVCacheDataTypeE0ELb0ELi512EEEvPfS3_PT_PKS4_PKT0_SA_ifPKiSC_iPKfiiiSE_SE_iiiii
	.p2align	8
	.type	_ZN4vllm25paged_attention_v2_kernelI14__hip_bfloat16S1_Li192ELi32ELi128ELNS_18Fp8KVCacheDataTypeE0ELb0ELi512EEEvPfS3_PT_PKS4_PKT0_SA_ifPKiSC_iPKfiiiSE_SE_iiiii,@function
_ZN4vllm25paged_attention_v2_kernelI14__hip_bfloat16S1_Li192ELi32ELi128ELNS_18Fp8KVCacheDataTypeE0ELb0ELi512EEEvPfS3_PT_PKS4_PKT0_SA_ifPKiSC_iPKfiiiSE_SE_iiiii: ; @_ZN4vllm25paged_attention_v2_kernelI14__hip_bfloat16S1_Li192ELi32ELi128ELNS_18Fp8KVCacheDataTypeE0ELb0ELi512EEEvPfS3_PT_PKS4_PKT0_SA_ifPKiSC_iPKfiiiSE_SE_iiiii
; %bb.0:
	s_load_dwordx2 s[6:7], s[0:1], 0x40
	s_mov_b32 s20, s3
	s_ashr_i32 s21, s3, 31
	s_lshl_b64 s[8:9], s[20:21], 2
	s_waitcnt lgkmcnt(0)
	s_add_u32 s6, s6, s8
	s_addc_u32 s7, s7, s9
	s_load_dword s33, s[6:7], 0x0
	s_lshl_b32 s40, s4, 9
	s_waitcnt lgkmcnt(0)
	s_cmp_ge_i32 s40, s33
	s_cbranch_scc1 .LBB188_554
; %bb.1:
	s_load_dword s21, s[0:1], 0x90
	s_load_dwordx2 s[10:11], s[0:1], 0x30
	v_mov_b32_e32 v24, v0
	s_waitcnt lgkmcnt(0)
	s_abs_i32 s6, s21
	s_abs_i32 s3, s10
	v_cvt_f32_u32_e32 v0, s3
	s_sub_i32 s7, 0, s3
	s_xor_b32 s5, s21, s10
	s_ashr_i32 s5, s5, 31
	v_rcp_iflag_f32_e32 v0, v0
	s_nop 0
	v_mul_f32_e32 v0, 0x4f7ffffe, v0
	v_cvt_u32_f32_e32 v0, v0
	s_nop 0
	v_readfirstlane_b32 s8, v0
	s_mul_i32 s7, s7, s8
	s_mul_hi_u32 s7, s8, s7
	s_add_i32 s8, s8, s7
	s_mul_hi_u32 s7, s6, s8
	s_mul_i32 s8, s7, s3
	s_sub_i32 s6, s6, s8
	s_add_i32 s9, s7, 1
	s_sub_i32 s8, s6, s3
	s_cmp_ge_u32 s6, s3
	s_cselect_b32 s7, s9, s7
	s_cselect_b32 s6, s8, s6
	s_add_i32 s8, s7, 1
	s_cmp_ge_u32 s6, s3
	s_cselect_b32 s3, s8, s7
	s_xor_b32 s3, s3, s5
	s_sub_i32 s12, s3, s5
	s_abs_i32 s8, s12
	v_cvt_f32_u32_e32 v0, s8
	s_load_dwordx2 s[6:7], s[0:1], 0x50
	s_sub_i32 s3, 0, s8
	s_abs_i32 s9, s2
	v_rcp_iflag_f32_e32 v0, v0
	s_mov_b32 s5, 0
	v_mul_f32_e32 v0, 0x4f7ffffe, v0
	v_cvt_u32_f32_e32 v0, v0
	s_nop 0
	v_readfirstlane_b32 s10, v0
	s_mul_i32 s3, s3, s10
	s_mul_hi_u32 s3, s10, s3
	s_add_i32 s10, s10, s3
	s_waitcnt lgkmcnt(0)
	s_cmp_eq_u64 s[6:7], 0
	s_mul_hi_u32 s10, s9, s10
	s_cbranch_scc1 .LBB188_3
; %bb.2:
	s_ashr_i32 s3, s2, 31
	s_lshl_b64 s[14:15], s[2:3], 2
	s_add_u32 s6, s6, s14
	s_addc_u32 s7, s7, s15
	s_load_dword s5, s[6:7], 0x0
.LBB188_3:
	s_ashr_i32 s17, s12, 31
	s_load_dwordx4 s[12:15], s[0:1], 0x58
	s_ashr_i32 s16, s2, 31
	v_and_b32_e32 v4, 1, v24
	s_movk_i32 s3, 0xc0
	s_mul_i32 s22, s2, 0xc0
	v_cmp_gt_u32_e32 vcc, 48, v24
	v_lshlrev_b32_e32 v29, 3, v24
	s_and_saveexec_b64 s[6:7], vcc
	s_cbranch_execz .LBB188_5
; %bb.4:
	s_load_dwordx2 s[18:19], s[0:1], 0x18
	s_waitcnt lgkmcnt(0)
	s_mul_i32 s24, s20, s12
	s_ashr_i32 s25, s24, 31
	s_lshl_b64 s[24:25], s[24:25], 1
	v_lshlrev_b32_e32 v2, 2, v24
	s_add_u32 s12, s18, s24
	s_addc_u32 s15, s19, s25
	s_ashr_i32 s23, s22, 31
	s_lshl_b64 s[18:19], s[22:23], 1
	s_add_u32 s18, s12, s18
	s_addc_u32 s19, s15, s19
	global_load_dwordx2 v[0:1], v29, s[18:19]
	v_and_b32_e32 v2, 0xff8, v2
	v_mad_u32_u24 v2, v4, s3, v2
	s_waitcnt vmcnt(0)
	ds_write_b64 v2, v[0:1]
.LBB188_5:
	s_or_b64 exec, exec, s[6:7]
	s_add_i32 s3, s33, 31
	s_ashr_i32 s6, s3, 31
	s_lshr_b32 s6, s6, 27
	s_add_i32 s3, s3, s6
	s_ashr_i32 s41, s3, 5
	s_lshl_b32 s3, s4, 4
	s_mul_i32 s7, s10, s8
	s_add_i32 s6, s3, 16
	s_sub_i32 s7, s9, s7
	s_min_i32 s23, s6, s41
	s_xor_b32 s6, s16, s17
	s_add_i32 s9, s10, 1
	s_waitcnt lgkmcnt(0)
	s_sub_i32 s12, s7, s8
	s_cmp_ge_u32 s7, s8
	s_cselect_b32 s9, s9, s10
	s_cselect_b32 s7, s12, s7
	s_add_i32 s10, s9, 1
	s_cmp_ge_u32 s7, s8
	s_load_dwordx2 s[26:27], s[0:1], 0x38
	s_load_dword s8, s[0:1], 0x48
	v_lshrrev_b32_e32 v30, 6, v24
	s_cselect_b32 s7, s10, s9
	s_xor_b32 s7, s7, s6
	v_or_b32_e32 v10, s3, v30
	s_waitcnt lgkmcnt(0)
	s_mul_i32 s28, s20, s8
	s_sub_i32 s10, s7, s6
	s_ashr_i32 s29, s28, 31
	v_cmp_gt_i32_e64 s[8:9], s23, v10
	v_cmp_le_i32_e32 vcc, s23, v10
	v_mbcnt_lo_u32_b32 v5, -1, 0
	s_barrier
	s_waitcnt lgkmcnt(0)
                                        ; implicit-def: $sgpr15
                                        ; implicit-def: $vgpr73
                                        ; implicit-def: $vgpr8
	s_and_saveexec_b64 s[6:7], vcc
	s_xor_b64 s[6:7], exec, s[6:7]
; %bb.6:
	v_mbcnt_hi_u32_b32 v73, -1, v5
	v_and_b32_e32 v0, 64, v73
	v_add_u32_e32 v8, 64, v0
	s_mov_b32 s15, 0xff7fffff
                                        ; implicit-def: $vgpr4
                                        ; implicit-def: $vgpr5
; %bb.7:
	s_or_saveexec_b64 s[34:35], s[6:7]
	s_load_dwordx4 s[16:19], s[0:1], 0x0
	s_load_dwordx2 s[24:25], s[0:1], 0x10
	s_load_dwordx2 s[30:31], s[0:1], 0x28
	s_load_dword s12, s[0:1], 0x98
	v_mov_b32_e32 v72, s15
	s_mul_i32 s14, s10, s14
	v_ashrrev_i32_e32 v11, 31, v10
	scratch_store_dword off, v24, off offset:128 ; 4-byte Folded Spill
	s_xor_b64 exec, exec, s[34:35]
	s_cbranch_execz .LBB188_13
; %bb.8:
	v_mul_u32_u24_e32 v20, 0xc0, v4
	ds_read_b128 v[0:3], v20
	ds_read_b128 v[6:9], v20 offset:16
	ds_read_b128 v[12:15], v20 offset:32
	ds_read_b128 v[16:19], v20 offset:48
	s_load_dwordx2 s[0:1], s[0:1], 0x20
	s_waitcnt lgkmcnt(0)
	v_lshlrev_b32_e32 v21, 16, v0
	v_and_b32_e32 v0, 0xffff0000, v0
	scratch_store_dword off, v0, off offset:4 ; 4-byte Folded Spill
	v_lshlrev_b32_e32 v0, 16, v1
	scratch_store_dword off, v0, off offset:8 ; 4-byte Folded Spill
	v_and_b32_e32 v0, 0xffff0000, v1
	scratch_store_dword off, v0, off offset:12 ; 4-byte Folded Spill
	v_lshlrev_b32_e32 v0, 16, v2
	scratch_store_dword off, v0, off offset:16 ; 4-byte Folded Spill
	;; [unrolled: 4-line block ×12, first 2 shown]
	v_and_b32_e32 v0, 0xffff0000, v16
	scratch_store_dword off, v0, off offset:100 ; 4-byte Folded Spill
	v_lshlrev_b32_e32 v0, 16, v17
	v_and_b32_e32 v6, 0xffff0000, v18
	scratch_store_dword off, v0, off offset:104 ; 4-byte Folded Spill
	v_and_b32_e32 v0, 0xffff0000, v17
	scratch_store_dword off, v6, off offset:116 ; 4-byte Folded Spill
	v_lshlrev_b32_e32 v6, 16, v19
	scratch_store_dword off, v0, off offset:108 ; 4-byte Folded Spill
	v_lshlrev_b32_e32 v0, 16, v18
	scratch_store_dword off, v6, off offset:120 ; 4-byte Folded Spill
	v_and_b32_e32 v6, 0xffff0000, v19
	scratch_store_dword off, v0, off offset:112 ; 4-byte Folded Spill
	ds_read_b128 v[0:3], v20 offset:64
	scratch_store_dword off, v6, off offset:124 ; 4-byte Folded Spill
	ds_read_b128 v[6:9], v20 offset:80
	ds_read_b128 v[12:15], v20 offset:160
	s_ashr_i32 s15, s14, 31
	s_waitcnt lgkmcnt(2)
	v_lshlrev_b32_e32 v88, 16, v0
	v_and_b32_e32 v87, 0xffff0000, v0
	v_lshlrev_b32_e32 v89, 16, v1
	v_and_b32_e32 v90, 0xffff0000, v1
	v_lshlrev_b32_e32 v91, 16, v2
	v_and_b32_e32 v92, 0xffff0000, v2
	v_lshlrev_b32_e32 v93, 16, v3
	v_and_b32_e32 v94, 0xffff0000, v3
	s_waitcnt lgkmcnt(1)
	v_lshlrev_b32_e32 v95, 16, v6
	v_and_b32_e32 v96, 0xffff0000, v6
	v_lshlrev_b32_e32 v97, 16, v7
	v_and_b32_e32 v98, 0xffff0000, v7
	v_lshlrev_b32_e32 v99, 16, v8
	ds_read_b128 v[0:3], v20 offset:96
	v_and_b32_e32 v100, 0xffff0000, v8
	v_lshlrev_b32_e32 v101, 16, v9
	v_and_b32_e32 v102, 0xffff0000, v9
	ds_read_b128 v[6:9], v20 offset:112
	s_waitcnt lgkmcnt(1)
	v_lshlrev_b32_e32 v103, 16, v0
	v_and_b32_e32 v104, 0xffff0000, v0
	v_lshlrev_b32_e32 v105, 16, v1
	v_and_b32_e32 v106, 0xffff0000, v1
	;; [unrolled: 2-line block ×4, first 2 shown]
	s_waitcnt lgkmcnt(0)
	v_lshlrev_b32_e32 v111, 16, v6
	v_and_b32_e32 v112, 0xffff0000, v6
	v_lshlrev_b32_e32 v113, 16, v7
	v_and_b32_e32 v114, 0xffff0000, v7
	v_lshlrev_b32_e32 v115, 16, v8
	ds_read_b128 v[0:3], v20 offset:128
	v_and_b32_e32 v116, 0xffff0000, v8
	v_lshlrev_b32_e32 v117, 16, v9
	v_and_b32_e32 v118, 0xffff0000, v9
	ds_read_b128 v[6:9], v20 offset:144
	s_waitcnt lgkmcnt(1)
	v_lshlrev_b32_e32 v119, 16, v0
	v_and_b32_e32 v120, 0xffff0000, v0
	v_lshlrev_b32_e32 v121, 16, v1
	v_and_b32_e32 v122, 0xffff0000, v1
	s_waitcnt lgkmcnt(0)
	v_lshlrev_b32_e32 v127, 16, v6
	v_and_b32_e32 v52, 0xffff0000, v6
	v_lshlrev_b32_e32 v53, 16, v7
	v_and_b32_e32 v85, 0xffff0000, v7
	;; [unrolled: 2-line block ×4, first 2 shown]
	ds_read_b128 v[6:9], v20 offset:176
	s_lshl_b64 s[6:7], s[14:15], 1
	v_mbcnt_hi_u32_b32 v73, -1, v5
	s_add_u32 s0, s0, s6
	v_cmp_eq_u32_e32 vcc, 0, v4
	s_waitcnt lgkmcnt(0)
	v_lshlrev_b32_e32 v68, 16, v8
	v_and_b32_e32 v69, 0xffff0000, v8
	v_bfe_u32 v8, v24, 1, 5
	v_and_b32_e32 v4, 64, v73
	v_lshlrev_b32_e32 v123, 16, v2
	v_and_b32_e32 v124, 0xffff0000, v2
	v_lshlrev_b32_e32 v125, 16, v3
	v_and_b32_e32 v126, 0xffff0000, v3
	s_addc_u32 s1, s1, s7
	v_lshlrev_b32_e32 v2, 4, v8
	v_mov_b32_e32 v3, 0
	v_add_u32_e32 v5, 64, v4
	v_xor_b32_e32 v4, 1, v73
	v_lshlrev_b32_e32 v64, 16, v6
	v_and_b32_e32 v65, 0xffff0000, v6
	v_lshlrev_b32_e32 v66, 16, v7
	v_and_b32_e32 v67, 0xffff0000, v7
	v_lshl_add_u64 v[6:7], s[0:1], 0, v[2:3]
	v_cmp_lt_i32_e64 s[0:1], v4, v5
	s_sub_i32 s15, 1, s33
	v_and_b32_e32 v2, 8, v29
	v_cndmask_b32_e64 v4, v73, v4, s[0:1]
	v_lshlrev_b32_e32 v74, 2, v4
	v_lshlrev_b32_e32 v4, 5, v30
	s_lshl_b64 s[0:1], s[28:29], 2
	v_add3_u32 v75, s40, v4, v8
	v_lshlrev_b32_e32 v4, 2, v8
	s_add_u32 s0, s26, s0
	v_lshl_or_b32 v4, v30, 7, v4
	s_addc_u32 s1, s27, s1
	v_lshlrev_b32_e32 v56, 16, v12
	v_and_b32_e32 v57, 0xffff0000, v12
	v_lshlrev_b32_e32 v58, 16, v13
	v_and_b32_e32 v59, 0xffff0000, v13
	;; [unrolled: 2-line block ×5, first 2 shown]
	v_lshl_add_u64 v[2:3], v[6:7], 0, v[2:3]
	s_mov_b32 s10, s13
	scratch_store_dword off, v5, off offset:140 ; 4-byte Folded Spill
	v_cmp_neq_f32_e64 s[6:7], s5, 0
	v_add_u32_e32 v76, 0x190, v4
	s_mov_b64 s[36:37], 0
	s_movk_i32 s42, 0x1000
	s_movk_i32 s43, 0x2000
	v_mov_b32_e32 v72, 0xff7fffff
	v_mov_b32_e32 v77, v10
	v_lshl_add_u64 v[4:5], v[10:11], 2, s[0:1]
	scratch_store_dword off, v21, off       ; 4-byte Folded Spill
	scratch_store_dword off, v29, off offset:132 ; 4-byte Folded Spill
	scratch_store_dword off, v30, off offset:136 ; 4-byte Folded Spill
	s_branch .LBB188_10
.LBB188_9:                              ;   in Loop: Header=BB188_10 Depth=1
	s_or_b64 exec, exec, s[38:39]
	v_add_u32_e32 v77, 2, v77
	v_cmp_le_i32_e64 s[0:1], s23, v77
	v_add_u32_e32 v75, 64, v75
	v_add_u32_e32 v76, 0x100, v76
	s_or_b64 s[36:37], s[0:1], s[36:37]
	v_lshl_add_u64 v[4:5], v[4:5], 0, 8
	s_andn2_b64 exec, exec, s[36:37]
	s_cbranch_execz .LBB188_12
.LBB188_10:                             ; =>This Inner Loop Header: Depth=1
	global_load_dword v6, v[4:5], off
	s_waitcnt vmcnt(0) lgkmcnt(0)
	v_mad_i64_i32 v[6:7], s[0:1], v6, s10, 0
	v_lshl_add_u64 v[6:7], v[6:7], 1, v[2:3]
	global_load_dwordx2 v[78:79], v[6:7], off
	global_load_dwordx2 v[80:81], v[6:7], off offset:512
	global_load_dwordx2 v[50:51], v[6:7], off offset:1024
	global_load_dwordx2 v[48:49], v[6:7], off offset:1536
	global_load_dwordx2 v[46:47], v[6:7], off offset:2048
	global_load_dwordx2 v[44:45], v[6:7], off offset:2560
	global_load_dwordx2 v[42:43], v[6:7], off offset:3072
	global_load_dwordx2 v[40:41], v[6:7], off offset:3584
	v_add_co_u32_e64 v8, s[0:1], s42, v6
	s_waitcnt vmcnt(7)
	v_lshlrev_b32_e32 v82, 16, v78
	v_addc_co_u32_e64 v9, s[0:1], 0, v7, s[0:1]
	v_add_co_u32_e64 v6, s[0:1], s43, v6
	v_and_b32_e32 v83, 0xffff0000, v78
	s_nop 0
	v_addc_co_u32_e64 v7, s[0:1], 0, v7, s[0:1]
	global_load_dwordx2 v[38:39], v[6:7], off offset:-4096
	global_load_dwordx2 v[36:37], v[8:9], off offset:512
	global_load_dwordx2 v[34:35], v[8:9], off offset:1024
	;; [unrolled: 1-line block ×7, first 2 shown]
	global_load_dwordx2 v[22:23], v[6:7], off
	global_load_dwordx2 v[20:21], v[6:7], off offset:512
	global_load_dwordx2 v[18:19], v[6:7], off offset:1024
	;; [unrolled: 1-line block ×6, first 2 shown]
	s_nop 0
	global_load_dwordx2 v[6:7], v[6:7], off offset:3584
	v_lshlrev_b32_e32 v84, 16, v79
	v_and_b32_e32 v86, 0xffff0000, v79
	s_waitcnt vmcnt(22)
	v_lshlrev_b32_e32 v78, 16, v80
	v_and_b32_e32 v79, 0xffff0000, v80
	scratch_load_dword v80, off, off offset:16 ; 4-byte Folded Reload
	s_waitcnt vmcnt(0)
	v_mul_f32_e32 v78, v80, v78
	scratch_load_dword v80, off, off        ; 4-byte Folded Reload
	s_waitcnt vmcnt(0)
	v_fmac_f32_e32 v78, v80, v82
	scratch_load_dword v80, off, off offset:20 ; 4-byte Folded Reload
	scratch_load_dword v82, off, off offset:24 ; 4-byte Folded Reload
	s_waitcnt vmcnt(1)
	v_mul_f32_e32 v79, v80, v79
	scratch_load_dword v80, off, off offset:4 ; 4-byte Folded Reload
	s_waitcnt vmcnt(0)
	v_fmac_f32_e32 v79, v80, v83
	v_lshlrev_b32_e32 v80, 16, v81
	v_mul_f32_e32 v80, v82, v80
	scratch_load_dword v82, off, off offset:8 ; 4-byte Folded Reload
	scratch_load_dword v83, off, off offset:32 ; 4-byte Folded Reload
	v_and_b32_e32 v81, 0xffff0000, v81
	s_waitcnt vmcnt(1)
	v_fmac_f32_e32 v80, v82, v84
	scratch_load_dword v82, off, off offset:28 ; 4-byte Folded Reload
	s_waitcnt vmcnt(0)
	v_mul_f32_e32 v81, v82, v81
	scratch_load_dword v82, off, off offset:12 ; 4-byte Folded Reload
	s_waitcnt vmcnt(0)
	v_fmac_f32_e32 v81, v82, v86
	v_lshlrev_b32_e32 v82, 16, v50
	v_fmac_f32_e32 v78, v83, v82
	scratch_load_dword v82, off, off offset:36 ; 4-byte Folded Reload
	v_and_b32_e32 v50, 0xffff0000, v50
	s_waitcnt vmcnt(0)
	v_fmac_f32_e32 v79, v82, v50
	scratch_load_dword v82, off, off offset:40 ; 4-byte Folded Reload
	v_lshlrev_b32_e32 v50, 16, v51
	v_and_b32_e32 v51, 0xffff0000, v51
	s_waitcnt vmcnt(0)
	v_fmac_f32_e32 v80, v82, v50
	scratch_load_dword v50, off, off offset:44 ; 4-byte Folded Reload
	s_waitcnt vmcnt(0)
	v_fmac_f32_e32 v81, v50, v51
	scratch_load_dword v51, off, off offset:48 ; 4-byte Folded Reload
	v_lshlrev_b32_e32 v50, 16, v48
	v_and_b32_e32 v48, 0xffff0000, v48
	s_waitcnt vmcnt(0)
	v_fmac_f32_e32 v78, v51, v50
	scratch_load_dword v50, off, off offset:52 ; 4-byte Folded Reload
	;; [unrolled: 8-line block ×11, first 2 shown]
	s_waitcnt vmcnt(0)
	v_fmac_f32_e32 v81, v40, v41
	v_lshlrev_b32_e32 v40, 16, v38
	v_mov_b32_e32 v41, v88
	v_and_b32_e32 v38, 0xffff0000, v38
	v_fmac_f32_e32 v78, v41, v40
	v_mov_b32_e32 v40, v87
	v_fmac_f32_e32 v79, v40, v38
	v_lshlrev_b32_e32 v38, 16, v39
	v_fmac_f32_e32 v80, v89, v38
	v_lshlrev_b32_e32 v38, 16, v36
	v_and_b32_e32 v36, 0xffff0000, v36
	v_fmac_f32_e32 v79, v92, v36
	v_lshlrev_b32_e32 v36, 16, v37
	v_fmac_f32_e32 v80, v93, v36
	v_lshlrev_b32_e32 v36, 16, v34
	v_and_b32_e32 v34, 0xffff0000, v34
	;; [unrolled: 5-line block ×8, first 2 shown]
	v_and_b32_e32 v39, 0xffff0000, v39
	v_fmac_f32_e32 v78, v91, v38
	v_fmac_f32_e32 v79, v120, v22
	v_lshlrev_b32_e32 v22, 16, v23
	v_fmac_f32_e32 v81, v90, v39
	v_and_b32_e32 v37, 0xffff0000, v37
	v_fmac_f32_e32 v78, v95, v36
	v_fmac_f32_e32 v80, v121, v22
	v_lshlrev_b32_e32 v22, 16, v20
	v_and_b32_e32 v20, 0xffff0000, v20
	v_fmac_f32_e32 v81, v94, v37
	v_and_b32_e32 v35, 0xffff0000, v35
	v_fmac_f32_e32 v78, v99, v34
	v_fmac_f32_e32 v79, v124, v20
	v_lshlrev_b32_e32 v20, 16, v21
	v_fmac_f32_e32 v81, v98, v35
	v_and_b32_e32 v33, 0xffff0000, v33
	v_fmac_f32_e32 v78, v103, v32
	v_fmac_f32_e32 v80, v125, v20
	v_lshlrev_b32_e32 v20, 16, v18
	v_and_b32_e32 v18, 0xffff0000, v18
	v_fmac_f32_e32 v81, v102, v33
	;; [unrolled: 11-line block ×7, first 2 shown]
	v_and_b32_e32 v9, 0xffff0000, v9
	v_fmac_f32_e32 v78, v68, v8
	v_fmac_f32_e32 v79, v69, v6
	v_lshlrev_b32_e32 v6, 16, v7
	v_fmac_f32_e32 v81, v67, v9
	v_and_b32_e32 v7, 0xffff0000, v7
	v_fmac_f32_e32 v80, v70, v6
	v_add_f32_e32 v6, v78, v79
	v_fmac_f32_e32 v81, v71, v7
	v_add_f32_e32 v6, v6, v80
	v_add_f32_e32 v6, v81, v6
	ds_bpermute_b32 v7, v74, v6
	s_and_saveexec_b64 s[38:39], vcc
	s_cbranch_execz .LBB188_9
; %bb.11:                               ;   in Loop: Header=BB188_10 Depth=1
	v_add_u32_e32 v8, s15, v75
	v_cvt_f32_i32_e32 v8, v8
	s_waitcnt lgkmcnt(0)
	v_add_f32_e32 v6, v6, v7
	v_cmp_gt_i32_e64 s[0:1], s33, v75
	v_max_f32_e32 v7, v72, v72
	v_mul_f32_e32 v8, s5, v8
	v_cndmask_b32_e64 v8, 0, v8, s[6:7]
	v_fmac_f32_e32 v8, s11, v6
	v_cndmask_b32_e64 v6, 0, v8, s[0:1]
	ds_write_b32 v76, v6
	v_max_f32_e32 v6, v7, v8
	v_cndmask_b32_e64 v72, v72, v6, s[0:1]
	s_branch .LBB188_9
.LBB188_12:
	s_or_b64 exec, exec, s[36:37]
	scratch_load_dword v24, off, off offset:128 ; 4-byte Folded Reload
	scratch_load_dword v29, off, off offset:132 ; 4-byte Folded Reload
	;; [unrolled: 1-line block ×4, first 2 shown]
.LBB188_13:
	s_or_b64 exec, exec, s[34:35]
	v_xor_b32_e32 v0, 32, v73
	s_waitcnt vmcnt(0)
	v_cmp_lt_i32_e32 vcc, v0, v8
	v_xor_b32_e32 v3, 16, v73
	v_max_f32_e32 v2, v72, v72
	v_cndmask_b32_e32 v0, v73, v0, vcc
	v_lshlrev_b32_e32 v1, 2, v0
	ds_bpermute_b32 v0, v1, v72
	v_cmp_lt_i32_e32 vcc, v3, v8
	v_xor_b32_e32 v4, 8, v73
	v_xor_b32_e32 v5, 4, v73
	;; [unrolled: 1-line block ×3, first 2 shown]
	s_waitcnt lgkmcnt(0)
	v_max_f32_e32 v0, v0, v0
	v_max_f32_e32 v0, v2, v0
	v_cndmask_b32_e32 v2, v73, v3, vcc
	v_lshlrev_b32_e32 v2, 2, v2
	ds_bpermute_b32 v3, v2, v0
	v_cmp_lt_i32_e32 vcc, v4, v8
	v_and_b32_e32 v25, 63, v24
	s_waitcnt lgkmcnt(0)
	v_max_f32_e32 v3, v3, v3
	v_max_f32_e32 v0, v0, v3
	v_cndmask_b32_e32 v3, v73, v4, vcc
	v_lshlrev_b32_e32 v3, 2, v3
	ds_bpermute_b32 v4, v3, v0
	v_cmp_lt_i32_e32 vcc, v5, v8
	s_waitcnt lgkmcnt(0)
	v_max_f32_e32 v4, v4, v4
	v_max_f32_e32 v0, v0, v4
	v_cndmask_b32_e32 v4, v73, v5, vcc
	v_lshlrev_b32_e32 v4, 2, v4
	ds_bpermute_b32 v5, v4, v0
	v_cmp_lt_i32_e32 vcc, v6, v8
	s_waitcnt lgkmcnt(0)
	v_max_f32_e32 v5, v5, v5
	v_max_f32_e32 v0, v0, v5
	v_cndmask_b32_e32 v5, v73, v6, vcc
	v_lshlrev_b32_e32 v27, 2, v5
	ds_bpermute_b32 v6, v27, v0
	v_cmp_eq_u32_e32 vcc, 0, v25
	v_lshlrev_b32_e32 v5, 2, v30
	s_and_saveexec_b64 s[0:1], vcc
	s_cbranch_execz .LBB188_15
; %bb.14:
	s_waitcnt lgkmcnt(0)
	v_max_f32_e32 v6, v6, v6
	v_max_f32_e32 v0, v0, v0
	v_max_f32_e32 v0, v0, v6
	ds_write_b32 v5, v0 offset:384
.LBB188_15:
	s_or_b64 exec, exec, s[0:1]
	v_cmp_gt_u32_e64 s[0:1], 2, v25
	v_mov_b32_e32 v0, 0xff7fffff
	s_waitcnt lgkmcnt(0)
	v_lshlrev_b32_e32 v6, 2, v25
	s_barrier
	s_and_saveexec_b64 s[6:7], s[0:1]
	s_cbranch_execz .LBB188_17
; %bb.16:
	ds_read_b32 v0, v6 offset:384
.LBB188_17:
	s_or_b64 exec, exec, s[6:7]
	v_xor_b32_e32 v7, 1, v73
	v_cmp_lt_i32_e64 s[6:7], v7, v8
	s_sub_i32 s3, s23, s3
	s_lshl_b32 s3, s3, 5
	v_cndmask_b32_e64 v7, v73, v7, s[6:7]
	v_lshlrev_b32_e32 v28, 2, v7
	s_waitcnt lgkmcnt(0)
	ds_bpermute_b32 v7, v28, v0
	v_max_f32_e32 v0, v0, v0
	s_add_i32 s3, s3, s40
	s_min_i32 s5, s3, s33
	s_sub_i32 s3, s5, s40
	s_waitcnt lgkmcnt(0)
	v_max_f32_e32 v7, v7, v7
	v_max_f32_e32 v0, v0, v7
	v_lshlrev_b32_e32 v7, 2, v73
	v_and_b32_e32 v7, 0xffffff00, v7
	ds_bpermute_b32 v0, v7, v0
	v_cmp_gt_i32_e64 s[6:7], s3, v24
	v_mov_b32_e32 v8, 0
	s_and_saveexec_b64 s[34:35], s[6:7]
	s_cbranch_execz .LBB188_21
; %bb.18:
	v_mov_b32_e32 v8, 0x190
	v_lshl_add_u32 v9, v24, 2, v8
	s_mov_b64 s[36:37], 0
	v_mov_b32_e32 v8, 0
	v_mov_b32_e32 v12, v24
.LBB188_19:                             ; =>This Inner Loop Header: Depth=1
	ds_read_b32 v13, v9
	v_add_u32_e32 v12, 0x80, v12
	v_cmp_le_i32_e64 s[10:11], s3, v12
	s_or_b64 s[36:37], s[10:11], s[36:37]
	s_waitcnt lgkmcnt(0)
	v_sub_f32_e32 v13, v13, v0
	v_mul_f32_e32 v13, 0x3fb8aa3b, v13
	v_exp_f32_e32 v13, v13
	ds_write_b32 v9, v13
	v_add_f32_e32 v8, v8, v13
	v_add_u32_e32 v9, 0x200, v9
	s_andn2_b64 exec, exec, s[36:37]
	s_cbranch_execnz .LBB188_19
; %bb.20:
	s_or_b64 exec, exec, s[36:37]
.LBB188_21:
	s_or_b64 exec, exec, s[34:35]
	ds_bpermute_b32 v1, v1, v8
	s_waitcnt lgkmcnt(0)
	v_add_f32_e32 v1, v8, v1
	ds_bpermute_b32 v2, v2, v1
	s_waitcnt lgkmcnt(0)
	v_add_f32_e32 v1, v1, v2
	;; [unrolled: 3-line block ×6, first 2 shown]
	s_and_saveexec_b64 s[10:11], vcc
	s_cbranch_execz .LBB188_23
; %bb.22:
	ds_write_b32 v5, v1 offset:392
.LBB188_23:
	s_or_b64 exec, exec, s[10:11]
	s_waitcnt lgkmcnt(0)
	s_barrier
	s_and_saveexec_b64 s[10:11], s[0:1]
	s_cbranch_execz .LBB188_25
; %bb.24:
	ds_read_b32 v1, v6 offset:392
.LBB188_25:
	s_or_b64 exec, exec, s[10:11]
	s_waitcnt lgkmcnt(0)
	ds_bpermute_b32 v2, v28, v1
	s_waitcnt lgkmcnt(0)
	v_add_f32_e32 v1, v1, v2
	ds_bpermute_b32 v1, v7, v1
	s_and_saveexec_b64 s[0:1], s[6:7]
	s_cbranch_execz .LBB188_38
; %bb.26:
	s_waitcnt lgkmcnt(0)
	v_add_f32_e32 v2, 0x358637bd, v1
	v_div_scale_f32 v3, s[6:7], v2, v2, 1.0
	v_rcp_f32_e32 v4, v3
	v_div_scale_f32 v5, vcc, 1.0, v2, 1.0
	s_mov_b64 s[10:11], -1
	v_fma_f32 v6, -v3, v4, 1.0
	v_fmac_f32_e32 v4, v6, v4
	v_mul_f32_e32 v6, v5, v4
	v_fma_f32 v7, -v3, v6, v5
	v_fmac_f32_e32 v6, v7, v4
	v_fma_f32 v3, -v3, v6, v5
	v_div_fmas_f32 v3, v3, v4, v6
	v_div_fixup_f32 v2, v3, v2, 1.0
	v_xad_u32 v3, v24, -1, s5
	v_subrev_u32_e32 v4, s40, v3
	s_movk_i32 s5, 0x7f
	v_cmp_lt_u32_e32 vcc, s5, v4
	v_mov_b32_e32 v3, v24
	s_and_saveexec_b64 s[6:7], vcc
	s_cbranch_execz .LBB188_35
; %bb.27:
	v_lshrrev_b32_e32 v4, 7, v4
	v_add_u32_e32 v6, -1, v4
	v_lshrrev_b32_e32 v5, 1, v6
	v_mov_b32_e32 v3, v2
	v_add_u32_e32 v5, 1, v5
	v_cmp_lt_u32_e32 vcc, 13, v6
	v_mov_b32_e32 v8, 0
	s_and_saveexec_b64 s[10:11], vcc
	s_cbranch_execz .LBB188_31
; %bb.28:
	v_mov_b32_e32 v7, 0x190
	v_and_b32_e32 v6, -8, v5
	v_lshl_add_u32 v7, v24, 2, v7
	s_mov_b32 s5, 0
	s_mov_b64 s[34:35], 0
.LBB188_29:                             ; =>This Inner Loop Header: Depth=1
	ds_read2st64_b32 v[8:9], v7 offset1:2
	ds_read2st64_b32 v[12:13], v7 offset0:4 offset1:6
	ds_read2st64_b32 v[14:15], v7 offset0:8 offset1:10
	;; [unrolled: 1-line block ×3, first 2 shown]
	v_add_u32_e32 v6, -8, v6
	s_waitcnt lgkmcnt(3)
	v_pk_mul_f32 v[8:9], v[2:3], v[8:9]
	s_waitcnt lgkmcnt(2)
	v_pk_mul_f32 v[12:13], v[2:3], v[12:13]
	ds_write2st64_b32 v7, v8, v9 offset1:2
	ds_write2st64_b32 v7, v12, v13 offset0:4 offset1:6
	ds_read2st64_b32 v[12:13], v7 offset0:16 offset1:18
	s_waitcnt lgkmcnt(4)
	v_pk_mul_f32 v[8:9], v[2:3], v[14:15]
	ds_write2st64_b32 v7, v8, v9 offset0:8 offset1:10
	s_waitcnt lgkmcnt(4)
	v_pk_mul_f32 v[8:9], v[2:3], v[16:17]
	ds_write2st64_b32 v7, v8, v9 offset0:12 offset1:14
	ds_read2st64_b32 v[8:9], v7 offset0:20 offset1:22
	s_waitcnt lgkmcnt(3)
	v_pk_mul_f32 v[12:13], v[2:3], v[12:13]
	ds_read2st64_b32 v[14:15], v7 offset0:24 offset1:26
	ds_write2st64_b32 v7, v12, v13 offset0:16 offset1:18
	ds_read2st64_b32 v[12:13], v7 offset0:28 offset1:30
	s_waitcnt lgkmcnt(3)
	v_pk_mul_f32 v[8:9], v[2:3], v[8:9]
	ds_write2st64_b32 v7, v8, v9 offset0:20 offset1:22
	s_waitcnt lgkmcnt(3)
	v_pk_mul_f32 v[8:9], v[2:3], v[14:15]
	ds_write2st64_b32 v7, v8, v9 offset0:24 offset1:26
	s_waitcnt lgkmcnt(2)
	v_pk_mul_f32 v[8:9], v[2:3], v[12:13]
	s_add_i32 s5, s5, 16
	v_cmp_eq_u32_e32 vcc, 0, v6
	ds_write2st64_b32 v7, v8, v9 offset0:28 offset1:30
	v_add_u32_e32 v7, 0x2000, v7
	s_or_b64 s[34:35], vcc, s[34:35]
	v_mov_b32_e32 v8, s5
	s_andn2_b64 exec, exec, s[34:35]
	s_cbranch_execnz .LBB188_29
; %bb.30:
	s_or_b64 exec, exec, s[34:35]
.LBB188_31:
	s_or_b64 exec, exec, s[10:11]
	v_and_b32_e32 v5, 7, v5
	v_cmp_ne_u32_e32 vcc, 0, v5
	s_and_saveexec_b64 s[10:11], vcc
	s_cbranch_execz .LBB188_34
; %bb.32:
	v_lshlrev_b32_e32 v6, 9, v8
	v_lshlrev_b32_e32 v7, 2, v24
	s_movk_i32 s5, 0x190
	v_add3_u32 v6, v6, v7, s5
	s_mov_b64 s[34:35], 0
.LBB188_33:                             ; =>This Inner Loop Header: Depth=1
	ds_read2st64_b32 v[8:9], v6 offset1:2
	v_add_u32_e32 v5, -1, v5
	v_cmp_eq_u32_e32 vcc, 0, v5
	s_or_b64 s[34:35], vcc, s[34:35]
	s_waitcnt lgkmcnt(0)
	v_pk_mul_f32 v[8:9], v[2:3], v[8:9]
	ds_write2st64_b32 v6, v8, v9 offset1:2
	v_add_u32_e32 v6, 0x400, v6
	s_andn2_b64 exec, exec, s[34:35]
	s_cbranch_execnz .LBB188_33
.LBB188_34:
	s_or_b64 exec, exec, s[10:11]
	v_add_u32_e32 v4, 1, v4
	v_and_b32_e32 v5, 0x3fffffe, v4
	v_cmp_ne_u32_e32 vcc, v4, v5
	v_lshl_add_u32 v3, v5, 7, v24
	s_orn2_b64 s[10:11], vcc, exec
.LBB188_35:
	s_or_b64 exec, exec, s[6:7]
	s_and_b64 exec, exec, s[10:11]
	s_cbranch_execz .LBB188_38
; %bb.36:
	v_mov_b32_e32 v4, 0x190
	v_lshl_add_u32 v4, v3, 2, v4
	s_mov_b64 s[6:7], 0
.LBB188_37:                             ; =>This Inner Loop Header: Depth=1
	ds_read_b32 v5, v4
	v_add_u32_e32 v3, 0x80, v3
	v_cmp_le_i32_e32 vcc, s3, v3
	s_or_b64 s[6:7], vcc, s[6:7]
	s_waitcnt lgkmcnt(0)
	v_mul_f32_e32 v5, v2, v5
	ds_write_b32 v4, v5
	v_add_u32_e32 v4, 0x200, v4
	s_andn2_b64 exec, exec, s[6:7]
	s_cbranch_execnz .LBB188_37
.LBB188_38:
	s_or_b64 exec, exec, s[0:1]
	v_cmp_eq_u32_e32 vcc, 0, v24
	s_waitcnt lgkmcnt(0)
	s_barrier
	s_and_saveexec_b64 s[0:1], vcc
	s_cbranch_execz .LBB188_40
; %bb.39:
	s_mul_i32 s3, s12, s20
	s_mul_i32 s6, s3, s21
	s_ashr_i32 s7, s6, 31
	s_lshl_b64 s[6:7], s[6:7], 2
	s_add_u32 s5, s18, s6
	s_mul_i32 s2, s12, s2
	s_addc_u32 s10, s19, s7
	s_ashr_i32 s3, s2, 31
	s_lshl_b64 s[2:3], s[2:3], 2
	s_add_u32 s15, s5, s2
	s_addc_u32 s19, s10, s3
	s_ashr_i32 s5, s4, 31
	s_lshl_b64 s[10:11], s[4:5], 2
	s_add_u32 s18, s15, s10
	s_addc_u32 s19, s19, s11
	s_add_u32 s5, s16, s6
	s_addc_u32 s6, s17, s7
	;; [unrolled: 2-line block ×3, first 2 shown]
	s_add_u32 s2, s2, s10
	v_mov_b32_e32 v2, 0
	s_addc_u32 s3, s3, s11
	global_store_dword v2, v0, s[18:19]
	global_store_dword v2, v1, s[2:3]
.LBB188_40:
	s_or_b64 exec, exec, s[0:1]
	v_mov_b32_e32 v22, 0
	v_and_b32_e32 v26, 3, v24
	v_mov_b32_e32 v23, 0
	v_mov_b32_e32 v20, 0
	;; [unrolled: 1-line block ×11, first 2 shown]
	s_and_saveexec_b64 s[2:3], s[8:9]
	s_cbranch_execz .LBB188_484
; %bb.41:
	s_ashr_i32 s15, s14, 31
	s_lshl_b64 s[0:1], s[14:15], 1
	s_add_u32 s6, s30, s0
	v_and_b32_e32 v1, 24, v29
	s_mov_b32 s5, s13
	s_addc_u32 s7, s31, s1
	s_add_i32 s13, s41, -1
	v_lshl_add_u32 v3, v30, 5, s40
	s_lshl_b64 s[0:1], s[28:29], 2
	v_and_b32_e32 v0, 0x1f8, v29
	v_add3_u32 v47, v3, v1, 7
	v_lshlrev_b32_e32 v1, 5, v26
	s_add_u32 s0, s26, s0
	scratch_store_dword off, v28, off offset:52 ; 4-byte Folded Spill
	scratch_store_dword off, v27, off offset:48 ; 4-byte Folded Spill
	;; [unrolled: 1-line block ×3, first 2 shown]
	v_mov_b32_e32 v25, 0
	v_or_b32_e32 v2, 0x800, v0
	v_or_b32_e32 v4, 0xa00, v0
	;; [unrolled: 1-line block ×8, first 2 shown]
	v_lshl_or_b32 v1, v30, 7, v1
	s_addc_u32 s1, s27, s1
	scratch_store_dword off, v26, off offset:44 ; 4-byte Folded Spill
	v_add_u32_e32 v48, 0x190, v1
	v_lshl_add_u64 v[26:27], v[10:11], 2, s[0:1]
	s_mov_b64 s[8:9], 0
	s_mov_b32 s14, 0x7f800000
	s_movk_i32 s15, 0x7fff
	v_lshlrev_b32_e32 v24, 1, v0
	v_lshlrev_b32_e32 v28, 1, v2
	;; [unrolled: 1-line block ×9, first 2 shown]
	v_mov_b32_e32 v13, v25
	v_mov_b32_e32 v12, v25
	;; [unrolled: 1-line block ×12, first 2 shown]
	s_branch .LBB188_43
.LBB188_42:                             ;   in Loop: Header=BB188_43 Depth=1
	s_or_b64 exec, exec, s[0:1]
	v_and_b32_e32 v52, 0xffff0000, v52
	v_and_b32_e32 v51, 0xffff0000, v51
	;; [unrolled: 1-line block ×6, first 2 shown]
	v_add_f32_e32 v41, v41, v50
	v_add_f32_e32 v50, v51, v52
	v_and_b32_e32 v55, 0xffff0000, v55
	v_and_b32_e32 v56, 0xffff0000, v56
	v_add_f32_e32 v41, v41, v50
	v_add_f32_e32 v50, v53, v54
	v_add_f32_e32 v41, v41, v50
	v_add_f32_e32 v50, v55, v56
	v_add_f32_e32 v41, v41, v50
	v_and_b32_e32 v1, 0xffff0000, v1
	v_and_b32_e32 v44, 0xffff0000, v44
	v_and_b32_e32 v39, 0xffff0000, v39
	v_and_b32_e32 v0, 0xffff0000, v0
	v_add_f32_e32 v12, v12, v41
	v_and_b32_e32 v41, 0xffff0000, v46
	v_and_b32_e32 v45, 0xffff0000, v45
	v_add_f32_e32 v0, v0, v39
	v_add_f32_e32 v1, v44, v1
	v_and_b32_e32 v11, 0xffff0000, v11
	v_and_b32_e32 v46, 0xffff0000, v49
	v_add_f32_e32 v0, v0, v1
	v_add_f32_e32 v1, v45, v41
	v_add_f32_e32 v0, v0, v1
	v_add_f32_e32 v1, v11, v46
	v_add_f32_e32 v0, v0, v1
	v_and_b32_e32 v11, 0xffff0000, v123
	v_and_b32_e32 v39, 0xffff0000, v122
	v_and_b32_e32 v41, 0xffff0000, v121
	v_and_b32_e32 v37, 0xffff0000, v37
	v_add_f32_e32 v15, v15, v0
	v_and_b32_e32 v0, 0xffff0000, v125
	v_and_b32_e32 v1, 0xffff0000, v124
	v_add_f32_e32 v37, v37, v41
	v_add_f32_e32 v11, v39, v11
	v_and_b32_e32 v44, 0xffff0000, v126
	v_and_b32_e32 v45, 0xffff0000, v127
	v_add_f32_e32 v11, v37, v11
	v_add_f32_e32 v0, v1, v0
	v_add_f32_e32 v0, v11, v0
	v_add_f32_e32 v1, v44, v45
	v_add_f32_e32 v0, v0, v1
	v_and_b32_e32 v11, 0xffff0000, v116
	v_and_b32_e32 v37, 0xffff0000, v115
	v_and_b32_e32 v39, 0xffff0000, v114
	v_and_b32_e32 v35, 0xffff0000, v35
	v_add_f32_e32 v14, v14, v0
	v_and_b32_e32 v0, 0xffff0000, v118
	v_and_b32_e32 v1, 0xffff0000, v117
	v_add_f32_e32 v35, v35, v39
	v_add_f32_e32 v11, v37, v11
	v_and_b32_e32 v41, 0xffff0000, v119
	v_and_b32_e32 v44, 0xffff0000, v120
	v_add_f32_e32 v11, v35, v11
	v_add_f32_e32 v0, v1, v0
	v_add_f32_e32 v0, v11, v0
	v_add_f32_e32 v1, v41, v44
	v_add_f32_e32 v0, v0, v1
	v_and_b32_e32 v11, 0xffff0000, v109
	v_and_b32_e32 v35, 0xffff0000, v108
	v_and_b32_e32 v37, 0xffff0000, v107
	v_and_b32_e32 v33, 0xffff0000, v33
	v_add_f32_e32 v17, v17, v0
	v_and_b32_e32 v0, 0xffff0000, v111
	v_and_b32_e32 v1, 0xffff0000, v110
	v_add_f32_e32 v33, v33, v37
	v_add_f32_e32 v11, v35, v11
	v_and_b32_e32 v39, 0xffff0000, v112
	v_and_b32_e32 v41, 0xffff0000, v113
	v_add_f32_e32 v11, v33, v11
	v_add_f32_e32 v0, v1, v0
	v_add_f32_e32 v0, v11, v0
	v_add_f32_e32 v1, v39, v41
	v_add_f32_e32 v0, v0, v1
	v_and_b32_e32 v11, 0xffff0000, v102
	v_and_b32_e32 v33, 0xffff0000, v101
	v_and_b32_e32 v35, 0xffff0000, v100
	v_and_b32_e32 v31, 0xffff0000, v31
	v_add_f32_e32 v16, v16, v0
	v_and_b32_e32 v0, 0xffff0000, v104
	v_and_b32_e32 v1, 0xffff0000, v103
	v_add_f32_e32 v31, v31, v35
	v_add_f32_e32 v11, v33, v11
	v_and_b32_e32 v37, 0xffff0000, v105
	v_and_b32_e32 v39, 0xffff0000, v106
	v_add_f32_e32 v11, v31, v11
	v_add_f32_e32 v0, v1, v0
	v_add_f32_e32 v0, v11, v0
	v_add_f32_e32 v1, v37, v39
	v_add_f32_e32 v0, v0, v1
	v_and_b32_e32 v11, 0xffff0000, v95
	v_and_b32_e32 v31, 0xffff0000, v94
	v_and_b32_e32 v33, 0xffff0000, v93
	v_and_b32_e32 v29, 0xffff0000, v29
	v_add_f32_e32 v19, v19, v0
	v_and_b32_e32 v0, 0xffff0000, v97
	v_and_b32_e32 v1, 0xffff0000, v96
	v_add_f32_e32 v29, v29, v33
	v_add_f32_e32 v11, v31, v11
	v_and_b32_e32 v35, 0xffff0000, v98
	v_and_b32_e32 v37, 0xffff0000, v99
	v_add_f32_e32 v11, v29, v11
	v_add_f32_e32 v0, v1, v0
	v_add_f32_e32 v0, v11, v0
	v_add_f32_e32 v1, v35, v37
	v_add_f32_e32 v0, v0, v1
	v_and_b32_e32 v11, 0xffff0000, v88
	v_and_b32_e32 v29, 0xffff0000, v87
	v_and_b32_e32 v9, 0xffff0000, v9
	v_and_b32_e32 v8, 0xffff0000, v8
	v_add_f32_e32 v18, v18, v0
	v_and_b32_e32 v0, 0xffff0000, v90
	v_and_b32_e32 v1, 0xffff0000, v89
	v_add_f32_e32 v8, v8, v9
	v_add_f32_e32 v9, v29, v11
	;; [unrolled: 1-line block ×5, first 2 shown]
	v_and_b32_e32 v8, 0xffff0000, v82
	v_and_b32_e32 v9, 0xffff0000, v81
	;; [unrolled: 1-line block ×4, first 2 shown]
	v_add_f32_e32 v11, v29, v11
	v_add_f32_e32 v8, v9, v8
	v_add_f32_e32 v8, v11, v8
	scratch_load_dword v11, off, off offset:36 ; 4-byte Folded Reload
	scratch_load_dword v29, off, off offset:32 ; 4-byte Folded Reload
	v_and_b32_e32 v31, 0xffff0000, v91
	v_and_b32_e32 v33, 0xffff0000, v92
	v_add_f32_e32 v1, v31, v33
	v_add_f32_e32 v0, v0, v1
	;; [unrolled: 1-line block ×3, first 2 shown]
	v_and_b32_e32 v0, 0xffff0000, v84
	v_and_b32_e32 v1, 0xffff0000, v83
	;; [unrolled: 1-line block ×4, first 2 shown]
	v_add_f32_e32 v0, v1, v0
	v_add_f32_e32 v0, v8, v0
	;; [unrolled: 1-line block ×4, first 2 shown]
	v_and_b32_e32 v8, 0xffff0000, v69
	v_and_b32_e32 v9, 0xffff0000, v74
	v_add_f32_e32 v20, v20, v0
	v_and_b32_e32 v0, 0xffff0000, v76
	v_and_b32_e32 v1, 0xffff0000, v75
	v_add_f32_e32 v8, v9, v8
	v_and_b32_e32 v31, 0xffff0000, v77
	v_and_b32_e32 v33, 0xffff0000, v78
	v_add_f32_e32 v0, v1, v0
	v_add_f32_e32 v1, v31, v33
	scratch_load_dword v9, off, off offset:8 ; 4-byte Folded Reload
	scratch_load_dword v31, off, off offset:24 ; 4-byte Folded Reload
	;; [unrolled: 1-line block ×3, first 2 shown]
	v_and_b32_e32 v7, 0xffff0000, v7
	v_and_b32_e32 v6, 0xffff0000, v6
	;; [unrolled: 1-line block ×6, first 2 shown]
	v_pk_add_f32 v[2:3], v[2:3], v[6:7]
	v_add_u32_e32 v10, 2, v10
	v_add_f32_e32 v2, v2, v3
	v_cmp_le_i32_e32 vcc, s23, v10
	v_add_u32_e32 v47, 64, v47
	v_add_u32_e32 v48, 0x100, v48
	s_or_b64 s[8:9], vcc, s[8:9]
	v_lshl_add_u64 v[26:27], v[26:27], 0, 8
	s_waitcnt vmcnt(4)
	v_and_b32_e32 v11, 0xffff0000, v11
	s_waitcnt vmcnt(3)
	v_and_b32_e32 v29, 0xffff0000, v29
	v_add_f32_e32 v11, v29, v11
	v_add_f32_e32 v8, v11, v8
	;; [unrolled: 1-line block ×5, first 2 shown]
	scratch_load_dword v0, off, off offset:20 ; 4-byte Folded Reload
	scratch_load_dword v1, off, off offset:16 ; 4-byte Folded Reload
	;; [unrolled: 1-line block ×4, first 2 shown]
	scratch_load_dword v29, off, off        ; 4-byte Folded Reload
	s_waitcnt vmcnt(7)
	v_and_b32_e32 v9, 0xffff0000, v9
	s_waitcnt vmcnt(6)
	v_and_b32_e32 v31, 0xffff0000, v31
	;; [unrolled: 2-line block ×8, first 2 shown]
	v_add_f32_e32 v11, v29, v11
	v_add_f32_e32 v8, v9, v8
	;; [unrolled: 1-line block ×8, first 2 shown]
	v_and_b32_e32 v1, 0xffff0000, v43
	v_and_b32_e32 v0, 0xffff0000, v57
	v_pk_add_f32 v[0:1], v[4:5], v[0:1]
	s_nop 0
	v_add_f32_e32 v0, v2, v0
	v_add_f32_e32 v0, v0, v1
	v_add_f32_e32 v13, v13, v0
	s_andn2_b64 exec, exec, s[8:9]
	s_cbranch_execz .LBB188_483
.LBB188_43:                             ; =>This Inner Loop Header: Depth=1
	global_load_dword v39, v[26:27], off
	ds_read2_b64 v[6:9], v48 offset1:1
	ds_read2_b64 v[2:5], v48 offset0:2 offset1:3
                                        ; implicit-def: $vgpr37
	s_waitcnt lgkmcnt(1)
	v_and_b32_e32 v0, 0x7f800000, v6
	v_cmp_ne_u32_e32 vcc, s14, v0
	s_and_saveexec_b64 s[0:1], vcc
	s_xor_b64 s[0:1], exec, s[0:1]
; %bb.44:                               ;   in Loop: Header=BB188_43 Depth=1
	v_bfe_u32 v0, v6, 16, 1
	v_add3_u32 v37, v6, v0, s15
; %bb.45:                               ;   in Loop: Header=BB188_43 Depth=1
	s_andn2_saveexec_b64 s[0:1], s[0:1]
; %bb.46:                               ;   in Loop: Header=BB188_43 Depth=1
	v_or_b32_e32 v0, 0x10000, v6
	v_cmp_eq_u32_sdwa vcc, v6, v25 src0_sel:WORD_0 src1_sel:DWORD
	s_nop 1
	v_cndmask_b32_e32 v37, v0, v6, vcc
; %bb.47:                               ;   in Loop: Header=BB188_43 Depth=1
	s_or_b64 exec, exec, s[0:1]
	v_and_b32_e32 v0, 0x7f800000, v7
	v_cmp_ne_u32_e32 vcc, s14, v0
                                        ; implicit-def: $vgpr35
	s_and_saveexec_b64 s[0:1], vcc
	s_xor_b64 s[0:1], exec, s[0:1]
; %bb.48:                               ;   in Loop: Header=BB188_43 Depth=1
	v_bfe_u32 v0, v7, 16, 1
	v_add3_u32 v35, v7, v0, s15
; %bb.49:                               ;   in Loop: Header=BB188_43 Depth=1
	s_andn2_saveexec_b64 s[0:1], s[0:1]
; %bb.50:                               ;   in Loop: Header=BB188_43 Depth=1
	v_or_b32_e32 v0, 0x10000, v7
	v_cmp_eq_u32_sdwa vcc, v7, v25 src0_sel:WORD_0 src1_sel:DWORD
	s_nop 1
	v_cndmask_b32_e32 v35, v0, v7, vcc
; %bb.51:                               ;   in Loop: Header=BB188_43 Depth=1
	s_or_b64 exec, exec, s[0:1]
	v_and_b32_e32 v0, 0x7f800000, v8
	v_cmp_ne_u32_e32 vcc, s14, v0
                                        ; implicit-def: $vgpr33
	s_and_saveexec_b64 s[0:1], vcc
	s_xor_b64 s[0:1], exec, s[0:1]
; %bb.52:                               ;   in Loop: Header=BB188_43 Depth=1
	v_bfe_u32 v0, v8, 16, 1
	v_add3_u32 v33, v8, v0, s15
; %bb.53:                               ;   in Loop: Header=BB188_43 Depth=1
	s_andn2_saveexec_b64 s[0:1], s[0:1]
; %bb.54:                               ;   in Loop: Header=BB188_43 Depth=1
	v_or_b32_e32 v0, 0x10000, v8
	v_cmp_eq_u32_sdwa vcc, v8, v25 src0_sel:WORD_0 src1_sel:DWORD
	s_nop 1
	v_cndmask_b32_e32 v33, v0, v8, vcc
; %bb.55:                               ;   in Loop: Header=BB188_43 Depth=1
	s_or_b64 exec, exec, s[0:1]
	v_and_b32_e32 v0, 0x7f800000, v9
	v_cmp_ne_u32_e32 vcc, s14, v0
                                        ; implicit-def: $vgpr31
	s_and_saveexec_b64 s[0:1], vcc
	s_xor_b64 s[0:1], exec, s[0:1]
; %bb.56:                               ;   in Loop: Header=BB188_43 Depth=1
	v_bfe_u32 v0, v9, 16, 1
	v_add3_u32 v31, v9, v0, s15
                                        ; implicit-def: $vgpr6_vgpr7_vgpr8_vgpr9
; %bb.57:                               ;   in Loop: Header=BB188_43 Depth=1
	s_andn2_saveexec_b64 s[0:1], s[0:1]
; %bb.58:                               ;   in Loop: Header=BB188_43 Depth=1
	v_or_b32_e32 v0, 0x10000, v9
	v_cmp_eq_u32_sdwa vcc, v9, v25 src0_sel:WORD_0 src1_sel:DWORD
	s_nop 1
	v_cndmask_b32_e32 v31, v0, v9, vcc
; %bb.59:                               ;   in Loop: Header=BB188_43 Depth=1
	s_or_b64 exec, exec, s[0:1]
	s_waitcnt lgkmcnt(0)
	v_and_b32_e32 v0, 0x7f800000, v2
	v_cmp_ne_u32_e32 vcc, s14, v0
                                        ; implicit-def: $vgpr29
	s_and_saveexec_b64 s[0:1], vcc
	s_xor_b64 s[0:1], exec, s[0:1]
; %bb.60:                               ;   in Loop: Header=BB188_43 Depth=1
	v_bfe_u32 v0, v2, 16, 1
	v_add3_u32 v29, v2, v0, s15
; %bb.61:                               ;   in Loop: Header=BB188_43 Depth=1
	s_andn2_saveexec_b64 s[0:1], s[0:1]
; %bb.62:                               ;   in Loop: Header=BB188_43 Depth=1
	v_or_b32_e32 v0, 0x10000, v2
	v_cmp_eq_u32_sdwa vcc, v2, v25 src0_sel:WORD_0 src1_sel:DWORD
	s_nop 1
	v_cndmask_b32_e32 v29, v0, v2, vcc
; %bb.63:                               ;   in Loop: Header=BB188_43 Depth=1
	s_or_b64 exec, exec, s[0:1]
	v_and_b32_e32 v0, 0x7f800000, v3
	v_cmp_ne_u32_e32 vcc, s14, v0
                                        ; implicit-def: $vgpr11
	s_and_saveexec_b64 s[0:1], vcc
	s_xor_b64 s[0:1], exec, s[0:1]
; %bb.64:                               ;   in Loop: Header=BB188_43 Depth=1
	v_bfe_u32 v0, v3, 16, 1
	v_add3_u32 v11, v3, v0, s15
; %bb.65:                               ;   in Loop: Header=BB188_43 Depth=1
	s_andn2_saveexec_b64 s[0:1], s[0:1]
; %bb.66:                               ;   in Loop: Header=BB188_43 Depth=1
	v_or_b32_e32 v0, 0x10000, v3
	v_cmp_eq_u32_sdwa vcc, v3, v25 src0_sel:WORD_0 src1_sel:DWORD
	s_nop 1
	v_cndmask_b32_e32 v11, v0, v3, vcc
; %bb.67:                               ;   in Loop: Header=BB188_43 Depth=1
	s_or_b64 exec, exec, s[0:1]
	v_and_b32_e32 v0, 0x7f800000, v4
	v_cmp_ne_u32_e32 vcc, s14, v0
                                        ; implicit-def: $vgpr1
	s_and_saveexec_b64 s[0:1], vcc
	s_xor_b64 s[0:1], exec, s[0:1]
; %bb.68:                               ;   in Loop: Header=BB188_43 Depth=1
	v_bfe_u32 v0, v4, 16, 1
	v_add3_u32 v1, v4, v0, s15
; %bb.69:                               ;   in Loop: Header=BB188_43 Depth=1
	s_andn2_saveexec_b64 s[0:1], s[0:1]
; %bb.70:                               ;   in Loop: Header=BB188_43 Depth=1
	v_or_b32_e32 v0, 0x10000, v4
	v_cmp_eq_u32_sdwa vcc, v4, v25 src0_sel:WORD_0 src1_sel:DWORD
	s_nop 1
	v_cndmask_b32_e32 v1, v0, v4, vcc
; %bb.71:                               ;   in Loop: Header=BB188_43 Depth=1
	s_or_b64 exec, exec, s[0:1]
	v_and_b32_e32 v0, 0x7f800000, v5
	v_cmp_ne_u32_e32 vcc, s14, v0
                                        ; implicit-def: $vgpr0
	s_and_saveexec_b64 s[0:1], vcc
	s_xor_b64 s[0:1], exec, s[0:1]
; %bb.72:                               ;   in Loop: Header=BB188_43 Depth=1
	v_bfe_u32 v0, v5, 16, 1
	v_add3_u32 v0, v5, v0, s15
                                        ; implicit-def: $vgpr2_vgpr3_vgpr4_vgpr5
; %bb.73:                               ;   in Loop: Header=BB188_43 Depth=1
	s_andn2_saveexec_b64 s[0:1], s[0:1]
; %bb.74:                               ;   in Loop: Header=BB188_43 Depth=1
	v_or_b32_e32 v0, 0x10000, v5
	v_cmp_eq_u32_sdwa vcc, v5, v25 src0_sel:WORD_0 src1_sel:DWORD
	s_nop 1
	v_cndmask_b32_e32 v0, v0, v5, vcc
; %bb.75:                               ;   in Loop: Header=BB188_43 Depth=1
	s_or_b64 exec, exec, s[0:1]
	s_waitcnt vmcnt(0)
	v_mad_i64_i32 v[2:3], s[0:1], v39, s5, 0
	v_lshl_add_u64 v[6:7], v[2:3], 1, s[6:7]
	v_lshl_add_u64 v[8:9], v[6:7], 0, v[24:25]
	global_load_dwordx4 v[2:5], v[8:9], off
	v_add_u32_e32 v57, -7, v47
	v_cmp_eq_u32_e32 vcc, s13, v10
	v_add_u32_e32 v64, -6, v47
	v_add_u32_e32 v62, -5, v47
	;; [unrolled: 1-line block ×6, first 2 shown]
	s_waitcnt vmcnt(0)
	v_lshrrev_b32_e32 v44, 16, v2
	v_lshrrev_b32_e32 v43, 16, v3
	;; [unrolled: 1-line block ×4, first 2 shown]
	s_and_saveexec_b64 s[10:11], vcc
	s_cbranch_execz .LBB188_77
; %bb.76:                               ;   in Loop: Header=BB188_43 Depth=1
	v_cmp_gt_i32_e64 s[0:1], s33, v57
	s_nop 1
	v_cndmask_b32_e64 v2, 0, v2, s[0:1]
	v_cmp_gt_i32_e64 s[0:1], s33, v64
	s_nop 1
	v_cndmask_b32_e64 v44, 0, v44, s[0:1]
	;; [unrolled: 3-line block ×8, first 2 shown]
.LBB188_77:                             ;   in Loop: Header=BB188_43 Depth=1
	s_or_b64 exec, exec, s[10:11]
	v_and_b32_e32 v65, 0xffff0000, v37
	v_lshlrev_b32_e32 v2, 16, v2
	v_mul_f32_e32 v2, v65, v2
	v_and_b32_e32 v37, 0x7f800000, v2
	v_cmp_ne_u32_e64 s[0:1], s14, v37
                                        ; implicit-def: $vgpr37
                                        ; kill: killed $vgpr37
	s_and_saveexec_b64 s[10:11], s[0:1]
	s_xor_b64 s[0:1], exec, s[10:11]
	s_cbranch_execz .LBB188_79
; %bb.78:                               ;   in Loop: Header=BB188_43 Depth=1
	v_bfe_u32 v37, v2, 16, 1
	v_add3_u32 v2, v2, v37, s15
	scratch_store_dword off, v2, off        ; 4-byte Folded Spill
                                        ; implicit-def: $vgpr2
.LBB188_79:                             ;   in Loop: Header=BB188_43 Depth=1
	s_andn2_saveexec_b64 s[10:11], s[0:1]
	s_cbranch_execz .LBB188_81
; %bb.80:                               ;   in Loop: Header=BB188_43 Depth=1
	v_or_b32_e32 v37, 0x10000, v2
	v_cmp_eq_u32_sdwa s[0:1], v2, v25 src0_sel:WORD_0 src1_sel:DWORD
	s_nop 1
	v_cndmask_b32_e64 v2, v37, v2, s[0:1]
	scratch_store_dword off, v2, off        ; 4-byte Folded Spill
.LBB188_81:                             ;   in Loop: Header=BB188_43 Depth=1
	s_or_b64 exec, exec, s[10:11]
	v_and_b32_e32 v66, 0xffff0000, v35
	v_lshlrev_b32_e32 v2, 16, v44
	v_mul_f32_e32 v2, v66, v2
	v_and_b32_e32 v35, 0x7f800000, v2
	v_cmp_ne_u32_e64 s[0:1], s14, v35
                                        ; implicit-def: $vgpr35
                                        ; kill: killed $vgpr35
	s_and_saveexec_b64 s[10:11], s[0:1]
	s_xor_b64 s[0:1], exec, s[10:11]
	s_cbranch_execz .LBB188_83
; %bb.82:                               ;   in Loop: Header=BB188_43 Depth=1
	v_bfe_u32 v35, v2, 16, 1
	v_add3_u32 v2, v2, v35, s15
	scratch_store_dword off, v2, off offset:4 ; 4-byte Folded Spill
                                        ; implicit-def: $vgpr2
.LBB188_83:                             ;   in Loop: Header=BB188_43 Depth=1
	s_andn2_saveexec_b64 s[10:11], s[0:1]
	s_cbranch_execz .LBB188_85
; %bb.84:                               ;   in Loop: Header=BB188_43 Depth=1
	v_or_b32_e32 v35, 0x10000, v2
	v_cmp_eq_u32_sdwa s[0:1], v2, v25 src0_sel:WORD_0 src1_sel:DWORD
	s_nop 1
	v_cndmask_b32_e64 v2, v35, v2, s[0:1]
	scratch_store_dword off, v2, off offset:4 ; 4-byte Folded Spill
.LBB188_85:                             ;   in Loop: Header=BB188_43 Depth=1
	s_or_b64 exec, exec, s[10:11]
	v_and_b32_e32 v67, 0xffff0000, v33
	v_lshlrev_b32_e32 v2, 16, v3
	v_mul_f32_e32 v2, v67, v2
	v_and_b32_e32 v3, 0x7f800000, v2
	v_cmp_ne_u32_e64 s[0:1], s14, v3
                                        ; implicit-def: $vgpr3
                                        ; kill: killed $vgpr3
	s_and_saveexec_b64 s[10:11], s[0:1]
	s_xor_b64 s[0:1], exec, s[10:11]
	s_cbranch_execz .LBB188_87
; %bb.86:                               ;   in Loop: Header=BB188_43 Depth=1
	v_bfe_u32 v3, v2, 16, 1
	v_add3_u32 v2, v2, v3, s15
	scratch_store_dword off, v2, off offset:8 ; 4-byte Folded Spill
                                        ; implicit-def: $vgpr2
.LBB188_87:                             ;   in Loop: Header=BB188_43 Depth=1
	s_andn2_saveexec_b64 s[10:11], s[0:1]
	s_cbranch_execz .LBB188_89
; %bb.88:                               ;   in Loop: Header=BB188_43 Depth=1
	v_or_b32_e32 v3, 0x10000, v2
	v_cmp_eq_u32_sdwa s[0:1], v2, v25 src0_sel:WORD_0 src1_sel:DWORD
	s_nop 1
	v_cndmask_b32_e64 v2, v3, v2, s[0:1]
	scratch_store_dword off, v2, off offset:8 ; 4-byte Folded Spill
.LBB188_89:                             ;   in Loop: Header=BB188_43 Depth=1
	s_or_b64 exec, exec, s[10:11]
	v_and_b32_e32 v68, 0xffff0000, v31
	v_lshlrev_b32_e32 v2, 16, v43
	v_mul_f32_e32 v2, v68, v2
	v_and_b32_e32 v3, 0x7f800000, v2
	v_cmp_ne_u32_e64 s[0:1], s14, v3
                                        ; implicit-def: $vgpr3
                                        ; kill: killed $vgpr3
	s_and_saveexec_b64 s[10:11], s[0:1]
	s_xor_b64 s[0:1], exec, s[10:11]
	s_cbranch_execz .LBB188_91
; %bb.90:                               ;   in Loop: Header=BB188_43 Depth=1
	v_bfe_u32 v3, v2, 16, 1
	v_add3_u32 v2, v2, v3, s15
	scratch_store_dword off, v2, off offset:12 ; 4-byte Folded Spill
                                        ; implicit-def: $vgpr2
.LBB188_91:                             ;   in Loop: Header=BB188_43 Depth=1
	s_andn2_saveexec_b64 s[10:11], s[0:1]
	s_cbranch_execz .LBB188_93
; %bb.92:                               ;   in Loop: Header=BB188_43 Depth=1
	v_or_b32_e32 v3, 0x10000, v2
	v_cmp_eq_u32_sdwa s[0:1], v2, v25 src0_sel:WORD_0 src1_sel:DWORD
	s_nop 1
	v_cndmask_b32_e64 v2, v3, v2, s[0:1]
	scratch_store_dword off, v2, off offset:12 ; 4-byte Folded Spill
.LBB188_93:                             ;   in Loop: Header=BB188_43 Depth=1
	s_or_b64 exec, exec, s[10:11]
	v_and_b32_e32 v70, 0xffff0000, v29
	v_lshlrev_b32_e32 v2, 16, v4
	v_mul_f32_e32 v2, v70, v2
	v_and_b32_e32 v3, 0x7f800000, v2
	v_cmp_ne_u32_e64 s[0:1], s14, v3
                                        ; implicit-def: $vgpr3
                                        ; kill: killed $vgpr3
	s_and_saveexec_b64 s[10:11], s[0:1]
	s_xor_b64 s[0:1], exec, s[10:11]
	s_cbranch_execz .LBB188_95
; %bb.94:                               ;   in Loop: Header=BB188_43 Depth=1
	v_bfe_u32 v3, v2, 16, 1
	v_add3_u32 v2, v2, v3, s15
	scratch_store_dword off, v2, off offset:16 ; 4-byte Folded Spill
                                        ; implicit-def: $vgpr2
.LBB188_95:                             ;   in Loop: Header=BB188_43 Depth=1
	s_andn2_saveexec_b64 s[10:11], s[0:1]
	s_cbranch_execz .LBB188_97
; %bb.96:                               ;   in Loop: Header=BB188_43 Depth=1
	v_or_b32_e32 v3, 0x10000, v2
	v_cmp_eq_u32_sdwa s[0:1], v2, v25 src0_sel:WORD_0 src1_sel:DWORD
	s_nop 1
	v_cndmask_b32_e64 v2, v3, v2, s[0:1]
	scratch_store_dword off, v2, off offset:16 ; 4-byte Folded Spill
.LBB188_97:                             ;   in Loop: Header=BB188_43 Depth=1
	s_or_b64 exec, exec, s[10:11]
	v_and_b32_e32 v71, 0xffff0000, v11
	v_lshlrev_b32_e32 v2, 16, v41
	v_mul_f32_e32 v2, v71, v2
	v_and_b32_e32 v3, 0x7f800000, v2
	v_cmp_ne_u32_e64 s[0:1], s14, v3
                                        ; implicit-def: $vgpr3
                                        ; kill: killed $vgpr3
	s_and_saveexec_b64 s[10:11], s[0:1]
	s_xor_b64 s[0:1], exec, s[10:11]
	s_cbranch_execz .LBB188_99
; %bb.98:                               ;   in Loop: Header=BB188_43 Depth=1
	v_bfe_u32 v3, v2, 16, 1
	v_add3_u32 v2, v2, v3, s15
	scratch_store_dword off, v2, off offset:20 ; 4-byte Folded Spill
                                        ; implicit-def: $vgpr2
.LBB188_99:                             ;   in Loop: Header=BB188_43 Depth=1
	s_andn2_saveexec_b64 s[10:11], s[0:1]
	s_cbranch_execz .LBB188_101
; %bb.100:                              ;   in Loop: Header=BB188_43 Depth=1
	v_or_b32_e32 v3, 0x10000, v2
	v_cmp_eq_u32_sdwa s[0:1], v2, v25 src0_sel:WORD_0 src1_sel:DWORD
	s_nop 1
	v_cndmask_b32_e64 v2, v3, v2, s[0:1]
	scratch_store_dword off, v2, off offset:20 ; 4-byte Folded Spill
.LBB188_101:                            ;   in Loop: Header=BB188_43 Depth=1
	s_or_b64 exec, exec, s[10:11]
	v_and_b32_e32 v72, 0xffff0000, v1
	v_lshlrev_b32_e32 v1, 16, v5
	v_mul_f32_e32 v1, v72, v1
	v_and_b32_e32 v2, 0x7f800000, v1
	v_cmp_ne_u32_e64 s[0:1], s14, v2
                                        ; implicit-def: $vgpr2
                                        ; kill: killed $vgpr2
	s_and_saveexec_b64 s[10:11], s[0:1]
	s_xor_b64 s[0:1], exec, s[10:11]
	s_cbranch_execz .LBB188_103
; %bb.102:                              ;   in Loop: Header=BB188_43 Depth=1
	v_bfe_u32 v2, v1, 16, 1
	v_add3_u32 v1, v1, v2, s15
	scratch_store_dword off, v1, off offset:24 ; 4-byte Folded Spill
                                        ; implicit-def: $vgpr1
.LBB188_103:                            ;   in Loop: Header=BB188_43 Depth=1
	s_andn2_saveexec_b64 s[10:11], s[0:1]
	s_cbranch_execz .LBB188_105
; %bb.104:                              ;   in Loop: Header=BB188_43 Depth=1
	v_or_b32_e32 v2, 0x10000, v1
	v_cmp_eq_u32_sdwa s[0:1], v1, v25 src0_sel:WORD_0 src1_sel:DWORD
	s_nop 1
	v_cndmask_b32_e64 v1, v2, v1, s[0:1]
	scratch_store_dword off, v1, off offset:24 ; 4-byte Folded Spill
.LBB188_105:                            ;   in Loop: Header=BB188_43 Depth=1
	s_or_b64 exec, exec, s[10:11]
	v_and_b32_e32 v73, 0xffff0000, v0
	v_lshlrev_b32_e32 v0, 16, v39
	v_mul_f32_e32 v0, v73, v0
	v_and_b32_e32 v1, 0x7f800000, v0
	v_cmp_ne_u32_e64 s[0:1], s14, v1
                                        ; implicit-def: $vgpr1
                                        ; kill: killed $vgpr1
	s_and_saveexec_b64 s[10:11], s[0:1]
	s_xor_b64 s[0:1], exec, s[10:11]
	s_cbranch_execz .LBB188_107
; %bb.106:                              ;   in Loop: Header=BB188_43 Depth=1
	v_bfe_u32 v1, v0, 16, 1
	v_add3_u32 v0, v0, v1, s15
	scratch_store_dword off, v0, off offset:28 ; 4-byte Folded Spill
                                        ; implicit-def: $vgpr0
.LBB188_107:                            ;   in Loop: Header=BB188_43 Depth=1
	s_andn2_saveexec_b64 s[10:11], s[0:1]
	s_cbranch_execz .LBB188_109
; %bb.108:                              ;   in Loop: Header=BB188_43 Depth=1
	v_or_b32_e32 v1, 0x10000, v0
	v_cmp_eq_u32_sdwa s[0:1], v0, v25 src0_sel:WORD_0 src1_sel:DWORD
	s_nop 1
	v_cndmask_b32_e64 v0, v1, v0, s[0:1]
	scratch_store_dword off, v0, off offset:28 ; 4-byte Folded Spill
.LBB188_109:                            ;   in Loop: Header=BB188_43 Depth=1
	s_or_b64 exec, exec, s[10:11]
	global_load_dwordx4 v[2:5], v[8:9], off offset:1024
	s_waitcnt vmcnt(0)
	v_lshrrev_b32_e32 v29, 16, v2
	v_lshrrev_b32_e32 v11, 16, v3
	;; [unrolled: 1-line block ×4, first 2 shown]
	s_and_saveexec_b64 s[10:11], vcc
	s_cbranch_execz .LBB188_111
; %bb.110:                              ;   in Loop: Header=BB188_43 Depth=1
	v_cmp_gt_i32_e64 s[0:1], s33, v57
	s_nop 1
	v_cndmask_b32_e64 v2, 0, v2, s[0:1]
	v_cmp_gt_i32_e64 s[0:1], s33, v64
	s_nop 1
	v_cndmask_b32_e64 v29, 0, v29, s[0:1]
	v_cmp_gt_i32_e64 s[0:1], s33, v62
	s_nop 1
	v_cndmask_b32_e64 v3, 0, v3, s[0:1]
	v_cmp_gt_i32_e64 s[0:1], s33, v61
	s_nop 1
	v_cndmask_b32_e64 v11, 0, v11, s[0:1]
	v_cmp_gt_i32_e64 s[0:1], s33, v60
	s_nop 1
	v_cndmask_b32_e64 v4, 0, v4, s[0:1]
	v_cmp_gt_i32_e64 s[0:1], s33, v59
	s_nop 1
	v_cndmask_b32_e64 v1, 0, v1, s[0:1]
	v_cmp_gt_i32_e64 s[0:1], s33, v63
	s_nop 1
	v_cndmask_b32_e64 v5, 0, v5, s[0:1]
	v_cmp_gt_i32_e64 s[0:1], s33, v47
	s_nop 1
	v_cndmask_b32_e64 v0, 0, v0, s[0:1]
.LBB188_111:                            ;   in Loop: Header=BB188_43 Depth=1
	s_or_b64 exec, exec, s[10:11]
	v_lshlrev_b32_e32 v2, 16, v2
	v_mul_f32_e32 v2, v65, v2
	v_and_b32_e32 v31, 0x7f800000, v2
	v_cmp_ne_u32_e64 s[0:1], s14, v31
                                        ; implicit-def: $vgpr31
                                        ; kill: killed $vgpr31
	s_and_saveexec_b64 s[10:11], s[0:1]
	s_xor_b64 s[0:1], exec, s[10:11]
	s_cbranch_execz .LBB188_113
; %bb.112:                              ;   in Loop: Header=BB188_43 Depth=1
	v_bfe_u32 v31, v2, 16, 1
	v_add3_u32 v2, v2, v31, s15
	scratch_store_dword off, v2, off offset:32 ; 4-byte Folded Spill
                                        ; implicit-def: $vgpr2
.LBB188_113:                            ;   in Loop: Header=BB188_43 Depth=1
	s_andn2_saveexec_b64 s[10:11], s[0:1]
	s_cbranch_execz .LBB188_115
; %bb.114:                              ;   in Loop: Header=BB188_43 Depth=1
	v_or_b32_e32 v31, 0x10000, v2
	v_cmp_eq_u32_sdwa s[0:1], v2, v25 src0_sel:WORD_0 src1_sel:DWORD
	s_nop 1
	v_cndmask_b32_e64 v2, v31, v2, s[0:1]
	scratch_store_dword off, v2, off offset:32 ; 4-byte Folded Spill
.LBB188_115:                            ;   in Loop: Header=BB188_43 Depth=1
	s_or_b64 exec, exec, s[10:11]
	v_lshlrev_b32_e32 v2, 16, v29
	v_mul_f32_e32 v2, v66, v2
	v_and_b32_e32 v29, 0x7f800000, v2
	v_cmp_ne_u32_e64 s[0:1], s14, v29
                                        ; implicit-def: $vgpr29
                                        ; kill: killed $vgpr29
	s_and_saveexec_b64 s[10:11], s[0:1]
	s_xor_b64 s[0:1], exec, s[10:11]
	s_cbranch_execz .LBB188_117
; %bb.116:                              ;   in Loop: Header=BB188_43 Depth=1
	v_bfe_u32 v29, v2, 16, 1
	v_add3_u32 v2, v2, v29, s15
	scratch_store_dword off, v2, off offset:36 ; 4-byte Folded Spill
                                        ; implicit-def: $vgpr2
.LBB188_117:                            ;   in Loop: Header=BB188_43 Depth=1
	s_andn2_saveexec_b64 s[10:11], s[0:1]
	s_cbranch_execz .LBB188_119
; %bb.118:                              ;   in Loop: Header=BB188_43 Depth=1
	v_or_b32_e32 v29, 0x10000, v2
	v_cmp_eq_u32_sdwa s[0:1], v2, v25 src0_sel:WORD_0 src1_sel:DWORD
	s_nop 1
	v_cndmask_b32_e64 v2, v29, v2, s[0:1]
	scratch_store_dword off, v2, off offset:36 ; 4-byte Folded Spill
.LBB188_119:                            ;   in Loop: Header=BB188_43 Depth=1
	s_or_b64 exec, exec, s[10:11]
	v_lshlrev_b32_e32 v2, 16, v3
	v_mul_f32_e32 v2, v67, v2
	v_and_b32_e32 v3, 0x7f800000, v2
	v_cmp_ne_u32_e64 s[0:1], s14, v3
                                        ; implicit-def: $vgpr74
	s_and_saveexec_b64 s[10:11], s[0:1]
	s_xor_b64 s[0:1], exec, s[10:11]
; %bb.120:                              ;   in Loop: Header=BB188_43 Depth=1
	v_bfe_u32 v3, v2, 16, 1
	v_add3_u32 v74, v2, v3, s15
                                        ; implicit-def: $vgpr2
; %bb.121:                              ;   in Loop: Header=BB188_43 Depth=1
	s_andn2_saveexec_b64 s[10:11], s[0:1]
; %bb.122:                              ;   in Loop: Header=BB188_43 Depth=1
	v_or_b32_e32 v3, 0x10000, v2
	v_cmp_eq_u32_sdwa s[0:1], v2, v25 src0_sel:WORD_0 src1_sel:DWORD
	s_nop 1
	v_cndmask_b32_e64 v74, v3, v2, s[0:1]
; %bb.123:                              ;   in Loop: Header=BB188_43 Depth=1
	s_or_b64 exec, exec, s[10:11]
	v_lshlrev_b32_e32 v2, 16, v11
	v_mul_f32_e32 v2, v68, v2
	v_and_b32_e32 v3, 0x7f800000, v2
	v_cmp_ne_u32_e64 s[0:1], s14, v3
                                        ; implicit-def: $vgpr69
	s_and_saveexec_b64 s[10:11], s[0:1]
	s_xor_b64 s[0:1], exec, s[10:11]
; %bb.124:                              ;   in Loop: Header=BB188_43 Depth=1
	v_bfe_u32 v3, v2, 16, 1
	v_add3_u32 v69, v2, v3, s15
                                        ; implicit-def: $vgpr2
; %bb.125:                              ;   in Loop: Header=BB188_43 Depth=1
	s_andn2_saveexec_b64 s[10:11], s[0:1]
; %bb.126:                              ;   in Loop: Header=BB188_43 Depth=1
	v_or_b32_e32 v3, 0x10000, v2
	v_cmp_eq_u32_sdwa s[0:1], v2, v25 src0_sel:WORD_0 src1_sel:DWORD
	s_nop 1
	v_cndmask_b32_e64 v69, v3, v2, s[0:1]
; %bb.127:                              ;   in Loop: Header=BB188_43 Depth=1
	s_or_b64 exec, exec, s[10:11]
	v_lshlrev_b32_e32 v2, 16, v4
	v_mul_f32_e32 v2, v70, v2
	v_and_b32_e32 v3, 0x7f800000, v2
	v_cmp_ne_u32_e64 s[0:1], s14, v3
                                        ; implicit-def: $vgpr75
	s_and_saveexec_b64 s[10:11], s[0:1]
	s_xor_b64 s[0:1], exec, s[10:11]
; %bb.128:                              ;   in Loop: Header=BB188_43 Depth=1
	v_bfe_u32 v3, v2, 16, 1
	v_add3_u32 v75, v2, v3, s15
                                        ; implicit-def: $vgpr2
; %bb.129:                              ;   in Loop: Header=BB188_43 Depth=1
	s_andn2_saveexec_b64 s[10:11], s[0:1]
; %bb.130:                              ;   in Loop: Header=BB188_43 Depth=1
	v_or_b32_e32 v3, 0x10000, v2
	v_cmp_eq_u32_sdwa s[0:1], v2, v25 src0_sel:WORD_0 src1_sel:DWORD
	s_nop 1
	v_cndmask_b32_e64 v75, v3, v2, s[0:1]
; %bb.131:                              ;   in Loop: Header=BB188_43 Depth=1
	s_or_b64 exec, exec, s[10:11]
	v_lshlrev_b32_e32 v1, 16, v1
	v_mul_f32_e32 v1, v71, v1
	v_and_b32_e32 v2, 0x7f800000, v1
	v_cmp_ne_u32_e64 s[0:1], s14, v2
                                        ; implicit-def: $vgpr76
	s_and_saveexec_b64 s[10:11], s[0:1]
	s_xor_b64 s[0:1], exec, s[10:11]
; %bb.132:                              ;   in Loop: Header=BB188_43 Depth=1
	v_bfe_u32 v2, v1, 16, 1
	v_add3_u32 v76, v1, v2, s15
                                        ; implicit-def: $vgpr1
; %bb.133:                              ;   in Loop: Header=BB188_43 Depth=1
	s_andn2_saveexec_b64 s[10:11], s[0:1]
; %bb.134:                              ;   in Loop: Header=BB188_43 Depth=1
	v_or_b32_e32 v2, 0x10000, v1
	v_cmp_eq_u32_sdwa s[0:1], v1, v25 src0_sel:WORD_0 src1_sel:DWORD
	s_nop 1
	v_cndmask_b32_e64 v76, v2, v1, s[0:1]
; %bb.135:                              ;   in Loop: Header=BB188_43 Depth=1
	s_or_b64 exec, exec, s[10:11]
	v_lshlrev_b32_e32 v1, 16, v5
	v_mul_f32_e32 v1, v72, v1
	v_and_b32_e32 v2, 0x7f800000, v1
	v_cmp_ne_u32_e64 s[0:1], s14, v2
                                        ; implicit-def: $vgpr77
	s_and_saveexec_b64 s[10:11], s[0:1]
	s_xor_b64 s[0:1], exec, s[10:11]
; %bb.136:                              ;   in Loop: Header=BB188_43 Depth=1
	v_bfe_u32 v2, v1, 16, 1
	v_add3_u32 v77, v1, v2, s15
                                        ; implicit-def: $vgpr1
; %bb.137:                              ;   in Loop: Header=BB188_43 Depth=1
	s_andn2_saveexec_b64 s[10:11], s[0:1]
; %bb.138:                              ;   in Loop: Header=BB188_43 Depth=1
	v_or_b32_e32 v2, 0x10000, v1
	v_cmp_eq_u32_sdwa s[0:1], v1, v25 src0_sel:WORD_0 src1_sel:DWORD
	s_nop 1
	v_cndmask_b32_e64 v77, v2, v1, s[0:1]
; %bb.139:                              ;   in Loop: Header=BB188_43 Depth=1
	s_or_b64 exec, exec, s[10:11]
	v_lshlrev_b32_e32 v0, 16, v0
	v_mul_f32_e32 v0, v73, v0
	v_and_b32_e32 v1, 0x7f800000, v0
	v_cmp_ne_u32_e64 s[0:1], s14, v1
                                        ; implicit-def: $vgpr78
	s_and_saveexec_b64 s[10:11], s[0:1]
	s_xor_b64 s[0:1], exec, s[10:11]
; %bb.140:                              ;   in Loop: Header=BB188_43 Depth=1
	v_bfe_u32 v1, v0, 16, 1
	v_add3_u32 v78, v0, v1, s15
                                        ; implicit-def: $vgpr0
; %bb.141:                              ;   in Loop: Header=BB188_43 Depth=1
	s_andn2_saveexec_b64 s[10:11], s[0:1]
; %bb.142:                              ;   in Loop: Header=BB188_43 Depth=1
	v_or_b32_e32 v1, 0x10000, v0
	v_cmp_eq_u32_sdwa s[0:1], v0, v25 src0_sel:WORD_0 src1_sel:DWORD
	s_nop 1
	v_cndmask_b32_e64 v78, v1, v0, s[0:1]
; %bb.143:                              ;   in Loop: Header=BB188_43 Depth=1
	s_or_b64 exec, exec, s[10:11]
	global_load_dwordx4 v[2:5], v[8:9], off offset:2048
	s_waitcnt vmcnt(0)
	v_lshrrev_b32_e32 v29, 16, v2
	v_lshrrev_b32_e32 v11, 16, v3
	;; [unrolled: 1-line block ×4, first 2 shown]
	s_and_saveexec_b64 s[10:11], vcc
	s_cbranch_execz .LBB188_145
; %bb.144:                              ;   in Loop: Header=BB188_43 Depth=1
	v_cmp_gt_i32_e64 s[0:1], s33, v57
	s_nop 1
	v_cndmask_b32_e64 v2, 0, v2, s[0:1]
	v_cmp_gt_i32_e64 s[0:1], s33, v64
	s_nop 1
	v_cndmask_b32_e64 v29, 0, v29, s[0:1]
	;; [unrolled: 3-line block ×8, first 2 shown]
.LBB188_145:                            ;   in Loop: Header=BB188_43 Depth=1
	s_or_b64 exec, exec, s[10:11]
	v_lshlrev_b32_e32 v2, 16, v2
	v_mul_f32_e32 v2, v65, v2
	v_and_b32_e32 v31, 0x7f800000, v2
	v_cmp_ne_u32_e64 s[0:1], s14, v31
                                        ; implicit-def: $vgpr79
	s_and_saveexec_b64 s[10:11], s[0:1]
	s_xor_b64 s[0:1], exec, s[10:11]
; %bb.146:                              ;   in Loop: Header=BB188_43 Depth=1
	v_bfe_u32 v31, v2, 16, 1
	v_add3_u32 v79, v2, v31, s15
                                        ; implicit-def: $vgpr2
; %bb.147:                              ;   in Loop: Header=BB188_43 Depth=1
	s_andn2_saveexec_b64 s[10:11], s[0:1]
; %bb.148:                              ;   in Loop: Header=BB188_43 Depth=1
	v_or_b32_e32 v31, 0x10000, v2
	v_cmp_eq_u32_sdwa s[0:1], v2, v25 src0_sel:WORD_0 src1_sel:DWORD
	s_nop 1
	v_cndmask_b32_e64 v79, v31, v2, s[0:1]
; %bb.149:                              ;   in Loop: Header=BB188_43 Depth=1
	s_or_b64 exec, exec, s[10:11]
	v_lshlrev_b32_e32 v2, 16, v29
	v_mul_f32_e32 v2, v66, v2
	v_and_b32_e32 v29, 0x7f800000, v2
	v_cmp_ne_u32_e64 s[0:1], s14, v29
                                        ; implicit-def: $vgpr80
	s_and_saveexec_b64 s[10:11], s[0:1]
	s_xor_b64 s[0:1], exec, s[10:11]
; %bb.150:                              ;   in Loop: Header=BB188_43 Depth=1
	v_bfe_u32 v29, v2, 16, 1
	v_add3_u32 v80, v2, v29, s15
                                        ; implicit-def: $vgpr2
; %bb.151:                              ;   in Loop: Header=BB188_43 Depth=1
	s_andn2_saveexec_b64 s[10:11], s[0:1]
; %bb.152:                              ;   in Loop: Header=BB188_43 Depth=1
	v_or_b32_e32 v29, 0x10000, v2
	v_cmp_eq_u32_sdwa s[0:1], v2, v25 src0_sel:WORD_0 src1_sel:DWORD
	s_nop 1
	v_cndmask_b32_e64 v80, v29, v2, s[0:1]
; %bb.153:                              ;   in Loop: Header=BB188_43 Depth=1
	s_or_b64 exec, exec, s[10:11]
	v_lshlrev_b32_e32 v2, 16, v3
	v_mul_f32_e32 v2, v67, v2
	v_and_b32_e32 v3, 0x7f800000, v2
	v_cmp_ne_u32_e64 s[0:1], s14, v3
                                        ; implicit-def: $vgpr81
	s_and_saveexec_b64 s[10:11], s[0:1]
	s_xor_b64 s[0:1], exec, s[10:11]
; %bb.154:                              ;   in Loop: Header=BB188_43 Depth=1
	v_bfe_u32 v3, v2, 16, 1
	v_add3_u32 v81, v2, v3, s15
                                        ; implicit-def: $vgpr2
; %bb.155:                              ;   in Loop: Header=BB188_43 Depth=1
	s_andn2_saveexec_b64 s[10:11], s[0:1]
; %bb.156:                              ;   in Loop: Header=BB188_43 Depth=1
	v_or_b32_e32 v3, 0x10000, v2
	v_cmp_eq_u32_sdwa s[0:1], v2, v25 src0_sel:WORD_0 src1_sel:DWORD
	s_nop 1
	v_cndmask_b32_e64 v81, v3, v2, s[0:1]
; %bb.157:                              ;   in Loop: Header=BB188_43 Depth=1
	s_or_b64 exec, exec, s[10:11]
	v_lshlrev_b32_e32 v2, 16, v11
	v_mul_f32_e32 v2, v68, v2
	v_and_b32_e32 v3, 0x7f800000, v2
	v_cmp_ne_u32_e64 s[0:1], s14, v3
                                        ; implicit-def: $vgpr82
	s_and_saveexec_b64 s[10:11], s[0:1]
	s_xor_b64 s[0:1], exec, s[10:11]
; %bb.158:                              ;   in Loop: Header=BB188_43 Depth=1
	v_bfe_u32 v3, v2, 16, 1
	v_add3_u32 v82, v2, v3, s15
                                        ; implicit-def: $vgpr2
; %bb.159:                              ;   in Loop: Header=BB188_43 Depth=1
	s_andn2_saveexec_b64 s[10:11], s[0:1]
; %bb.160:                              ;   in Loop: Header=BB188_43 Depth=1
	v_or_b32_e32 v3, 0x10000, v2
	v_cmp_eq_u32_sdwa s[0:1], v2, v25 src0_sel:WORD_0 src1_sel:DWORD
	s_nop 1
	v_cndmask_b32_e64 v82, v3, v2, s[0:1]
; %bb.161:                              ;   in Loop: Header=BB188_43 Depth=1
	s_or_b64 exec, exec, s[10:11]
	v_lshlrev_b32_e32 v2, 16, v4
	v_mul_f32_e32 v2, v70, v2
	v_and_b32_e32 v3, 0x7f800000, v2
	v_cmp_ne_u32_e64 s[0:1], s14, v3
                                        ; implicit-def: $vgpr83
	s_and_saveexec_b64 s[10:11], s[0:1]
	s_xor_b64 s[0:1], exec, s[10:11]
; %bb.162:                              ;   in Loop: Header=BB188_43 Depth=1
	v_bfe_u32 v3, v2, 16, 1
	v_add3_u32 v83, v2, v3, s15
                                        ; implicit-def: $vgpr2
; %bb.163:                              ;   in Loop: Header=BB188_43 Depth=1
	s_andn2_saveexec_b64 s[10:11], s[0:1]
; %bb.164:                              ;   in Loop: Header=BB188_43 Depth=1
	v_or_b32_e32 v3, 0x10000, v2
	v_cmp_eq_u32_sdwa s[0:1], v2, v25 src0_sel:WORD_0 src1_sel:DWORD
	s_nop 1
	v_cndmask_b32_e64 v83, v3, v2, s[0:1]
; %bb.165:                              ;   in Loop: Header=BB188_43 Depth=1
	s_or_b64 exec, exec, s[10:11]
	v_lshlrev_b32_e32 v1, 16, v1
	v_mul_f32_e32 v1, v71, v1
	v_and_b32_e32 v2, 0x7f800000, v1
	v_cmp_ne_u32_e64 s[0:1], s14, v2
                                        ; implicit-def: $vgpr84
	s_and_saveexec_b64 s[10:11], s[0:1]
	s_xor_b64 s[0:1], exec, s[10:11]
; %bb.166:                              ;   in Loop: Header=BB188_43 Depth=1
	v_bfe_u32 v2, v1, 16, 1
	v_add3_u32 v84, v1, v2, s15
                                        ; implicit-def: $vgpr1
; %bb.167:                              ;   in Loop: Header=BB188_43 Depth=1
	s_andn2_saveexec_b64 s[10:11], s[0:1]
; %bb.168:                              ;   in Loop: Header=BB188_43 Depth=1
	v_or_b32_e32 v2, 0x10000, v1
	v_cmp_eq_u32_sdwa s[0:1], v1, v25 src0_sel:WORD_0 src1_sel:DWORD
	s_nop 1
	v_cndmask_b32_e64 v84, v2, v1, s[0:1]
; %bb.169:                              ;   in Loop: Header=BB188_43 Depth=1
	s_or_b64 exec, exec, s[10:11]
	v_lshlrev_b32_e32 v1, 16, v5
	v_mul_f32_e32 v1, v72, v1
	v_and_b32_e32 v2, 0x7f800000, v1
	v_cmp_ne_u32_e64 s[0:1], s14, v2
                                        ; implicit-def: $vgpr85
	s_and_saveexec_b64 s[10:11], s[0:1]
	s_xor_b64 s[0:1], exec, s[10:11]
; %bb.170:                              ;   in Loop: Header=BB188_43 Depth=1
	v_bfe_u32 v2, v1, 16, 1
	v_add3_u32 v85, v1, v2, s15
                                        ; implicit-def: $vgpr1
; %bb.171:                              ;   in Loop: Header=BB188_43 Depth=1
	s_andn2_saveexec_b64 s[10:11], s[0:1]
; %bb.172:                              ;   in Loop: Header=BB188_43 Depth=1
	v_or_b32_e32 v2, 0x10000, v1
	v_cmp_eq_u32_sdwa s[0:1], v1, v25 src0_sel:WORD_0 src1_sel:DWORD
	s_nop 1
	v_cndmask_b32_e64 v85, v2, v1, s[0:1]
; %bb.173:                              ;   in Loop: Header=BB188_43 Depth=1
	s_or_b64 exec, exec, s[10:11]
	v_lshlrev_b32_e32 v0, 16, v0
	v_mul_f32_e32 v0, v73, v0
	v_and_b32_e32 v1, 0x7f800000, v0
	v_cmp_ne_u32_e64 s[0:1], s14, v1
                                        ; implicit-def: $vgpr86
	s_and_saveexec_b64 s[10:11], s[0:1]
	s_xor_b64 s[0:1], exec, s[10:11]
; %bb.174:                              ;   in Loop: Header=BB188_43 Depth=1
	v_bfe_u32 v1, v0, 16, 1
	v_add3_u32 v86, v0, v1, s15
                                        ; implicit-def: $vgpr0
; %bb.175:                              ;   in Loop: Header=BB188_43 Depth=1
	s_andn2_saveexec_b64 s[10:11], s[0:1]
; %bb.176:                              ;   in Loop: Header=BB188_43 Depth=1
	v_or_b32_e32 v1, 0x10000, v0
	v_cmp_eq_u32_sdwa s[0:1], v0, v25 src0_sel:WORD_0 src1_sel:DWORD
	s_nop 1
	v_cndmask_b32_e64 v86, v1, v0, s[0:1]
; %bb.177:                              ;   in Loop: Header=BB188_43 Depth=1
	s_or_b64 exec, exec, s[10:11]
	global_load_dwordx4 v[2:5], v[8:9], off offset:3072
	s_waitcnt vmcnt(0)
	v_lshrrev_b32_e32 v9, 16, v2
	v_lshrrev_b32_e32 v11, 16, v3
	;; [unrolled: 1-line block ×4, first 2 shown]
	s_and_saveexec_b64 s[10:11], vcc
	s_cbranch_execz .LBB188_179
; %bb.178:                              ;   in Loop: Header=BB188_43 Depth=1
	v_cmp_gt_i32_e64 s[0:1], s33, v57
	s_nop 1
	v_cndmask_b32_e64 v2, 0, v2, s[0:1]
	v_cmp_gt_i32_e64 s[0:1], s33, v64
	s_nop 1
	v_cndmask_b32_e64 v9, 0, v9, s[0:1]
	v_cmp_gt_i32_e64 s[0:1], s33, v62
	s_nop 1
	v_cndmask_b32_e64 v3, 0, v3, s[0:1]
	v_cmp_gt_i32_e64 s[0:1], s33, v61
	s_nop 1
	v_cndmask_b32_e64 v11, 0, v11, s[0:1]
	v_cmp_gt_i32_e64 s[0:1], s33, v60
	s_nop 1
	v_cndmask_b32_e64 v4, 0, v4, s[0:1]
	v_cmp_gt_i32_e64 s[0:1], s33, v59
	s_nop 1
	v_cndmask_b32_e64 v1, 0, v1, s[0:1]
	v_cmp_gt_i32_e64 s[0:1], s33, v63
	s_nop 1
	v_cndmask_b32_e64 v5, 0, v5, s[0:1]
	v_cmp_gt_i32_e64 s[0:1], s33, v47
	s_nop 1
	v_cndmask_b32_e64 v0, 0, v0, s[0:1]
.LBB188_179:                            ;   in Loop: Header=BB188_43 Depth=1
	s_or_b64 exec, exec, s[10:11]
	v_lshlrev_b32_e32 v2, 16, v2
	v_mul_f32_e32 v2, v65, v2
	v_and_b32_e32 v8, 0x7f800000, v2
	v_cmp_ne_u32_e64 s[0:1], s14, v8
                                        ; implicit-def: $vgpr8
	s_and_saveexec_b64 s[10:11], s[0:1]
	s_xor_b64 s[0:1], exec, s[10:11]
; %bb.180:                              ;   in Loop: Header=BB188_43 Depth=1
	v_bfe_u32 v8, v2, 16, 1
	v_add3_u32 v8, v2, v8, s15
                                        ; implicit-def: $vgpr2
; %bb.181:                              ;   in Loop: Header=BB188_43 Depth=1
	s_andn2_saveexec_b64 s[10:11], s[0:1]
; %bb.182:                              ;   in Loop: Header=BB188_43 Depth=1
	v_or_b32_e32 v8, 0x10000, v2
	v_cmp_eq_u32_sdwa s[0:1], v2, v25 src0_sel:WORD_0 src1_sel:DWORD
	s_nop 1
	v_cndmask_b32_e64 v8, v8, v2, s[0:1]
; %bb.183:                              ;   in Loop: Header=BB188_43 Depth=1
	s_or_b64 exec, exec, s[10:11]
	v_lshlrev_b32_e32 v2, 16, v9
	v_mul_f32_e32 v2, v66, v2
	v_and_b32_e32 v9, 0x7f800000, v2
	v_cmp_ne_u32_e64 s[0:1], s14, v9
                                        ; implicit-def: $vgpr9
	s_and_saveexec_b64 s[10:11], s[0:1]
	s_xor_b64 s[0:1], exec, s[10:11]
; %bb.184:                              ;   in Loop: Header=BB188_43 Depth=1
	v_bfe_u32 v9, v2, 16, 1
	v_add3_u32 v9, v2, v9, s15
                                        ; implicit-def: $vgpr2
; %bb.185:                              ;   in Loop: Header=BB188_43 Depth=1
	s_andn2_saveexec_b64 s[10:11], s[0:1]
; %bb.186:                              ;   in Loop: Header=BB188_43 Depth=1
	v_or_b32_e32 v9, 0x10000, v2
	v_cmp_eq_u32_sdwa s[0:1], v2, v25 src0_sel:WORD_0 src1_sel:DWORD
	s_nop 1
	v_cndmask_b32_e64 v9, v9, v2, s[0:1]
; %bb.187:                              ;   in Loop: Header=BB188_43 Depth=1
	s_or_b64 exec, exec, s[10:11]
	v_lshlrev_b32_e32 v2, 16, v3
	v_mul_f32_e32 v2, v67, v2
	v_and_b32_e32 v3, 0x7f800000, v2
	v_cmp_ne_u32_e64 s[0:1], s14, v3
                                        ; implicit-def: $vgpr87
	s_and_saveexec_b64 s[10:11], s[0:1]
	s_xor_b64 s[0:1], exec, s[10:11]
; %bb.188:                              ;   in Loop: Header=BB188_43 Depth=1
	v_bfe_u32 v3, v2, 16, 1
	v_add3_u32 v87, v2, v3, s15
                                        ; implicit-def: $vgpr2
; %bb.189:                              ;   in Loop: Header=BB188_43 Depth=1
	s_andn2_saveexec_b64 s[10:11], s[0:1]
; %bb.190:                              ;   in Loop: Header=BB188_43 Depth=1
	v_or_b32_e32 v3, 0x10000, v2
	v_cmp_eq_u32_sdwa s[0:1], v2, v25 src0_sel:WORD_0 src1_sel:DWORD
	s_nop 1
	v_cndmask_b32_e64 v87, v3, v2, s[0:1]
; %bb.191:                              ;   in Loop: Header=BB188_43 Depth=1
	s_or_b64 exec, exec, s[10:11]
	v_lshlrev_b32_e32 v2, 16, v11
	v_mul_f32_e32 v2, v68, v2
	v_and_b32_e32 v3, 0x7f800000, v2
	v_cmp_ne_u32_e64 s[0:1], s14, v3
                                        ; implicit-def: $vgpr88
	s_and_saveexec_b64 s[10:11], s[0:1]
	s_xor_b64 s[0:1], exec, s[10:11]
; %bb.192:                              ;   in Loop: Header=BB188_43 Depth=1
	v_bfe_u32 v3, v2, 16, 1
	v_add3_u32 v88, v2, v3, s15
                                        ; implicit-def: $vgpr2
; %bb.193:                              ;   in Loop: Header=BB188_43 Depth=1
	s_andn2_saveexec_b64 s[10:11], s[0:1]
; %bb.194:                              ;   in Loop: Header=BB188_43 Depth=1
	v_or_b32_e32 v3, 0x10000, v2
	v_cmp_eq_u32_sdwa s[0:1], v2, v25 src0_sel:WORD_0 src1_sel:DWORD
	s_nop 1
	v_cndmask_b32_e64 v88, v3, v2, s[0:1]
; %bb.195:                              ;   in Loop: Header=BB188_43 Depth=1
	s_or_b64 exec, exec, s[10:11]
	v_lshlrev_b32_e32 v2, 16, v4
	v_mul_f32_e32 v2, v70, v2
	v_and_b32_e32 v3, 0x7f800000, v2
	v_cmp_ne_u32_e64 s[0:1], s14, v3
                                        ; implicit-def: $vgpr89
	s_and_saveexec_b64 s[10:11], s[0:1]
	s_xor_b64 s[0:1], exec, s[10:11]
; %bb.196:                              ;   in Loop: Header=BB188_43 Depth=1
	v_bfe_u32 v3, v2, 16, 1
	v_add3_u32 v89, v2, v3, s15
                                        ; implicit-def: $vgpr2
; %bb.197:                              ;   in Loop: Header=BB188_43 Depth=1
	s_andn2_saveexec_b64 s[10:11], s[0:1]
; %bb.198:                              ;   in Loop: Header=BB188_43 Depth=1
	v_or_b32_e32 v3, 0x10000, v2
	v_cmp_eq_u32_sdwa s[0:1], v2, v25 src0_sel:WORD_0 src1_sel:DWORD
	s_nop 1
	v_cndmask_b32_e64 v89, v3, v2, s[0:1]
; %bb.199:                              ;   in Loop: Header=BB188_43 Depth=1
	s_or_b64 exec, exec, s[10:11]
	v_lshlrev_b32_e32 v1, 16, v1
	v_mul_f32_e32 v1, v71, v1
	v_and_b32_e32 v2, 0x7f800000, v1
	v_cmp_ne_u32_e64 s[0:1], s14, v2
                                        ; implicit-def: $vgpr90
	s_and_saveexec_b64 s[10:11], s[0:1]
	s_xor_b64 s[0:1], exec, s[10:11]
; %bb.200:                              ;   in Loop: Header=BB188_43 Depth=1
	v_bfe_u32 v2, v1, 16, 1
	v_add3_u32 v90, v1, v2, s15
                                        ; implicit-def: $vgpr1
; %bb.201:                              ;   in Loop: Header=BB188_43 Depth=1
	s_andn2_saveexec_b64 s[10:11], s[0:1]
; %bb.202:                              ;   in Loop: Header=BB188_43 Depth=1
	v_or_b32_e32 v2, 0x10000, v1
	v_cmp_eq_u32_sdwa s[0:1], v1, v25 src0_sel:WORD_0 src1_sel:DWORD
	s_nop 1
	v_cndmask_b32_e64 v90, v2, v1, s[0:1]
; %bb.203:                              ;   in Loop: Header=BB188_43 Depth=1
	s_or_b64 exec, exec, s[10:11]
	v_lshlrev_b32_e32 v1, 16, v5
	v_mul_f32_e32 v1, v72, v1
	v_and_b32_e32 v2, 0x7f800000, v1
	v_cmp_ne_u32_e64 s[0:1], s14, v2
                                        ; implicit-def: $vgpr91
	s_and_saveexec_b64 s[10:11], s[0:1]
	s_xor_b64 s[0:1], exec, s[10:11]
; %bb.204:                              ;   in Loop: Header=BB188_43 Depth=1
	v_bfe_u32 v2, v1, 16, 1
	v_add3_u32 v91, v1, v2, s15
                                        ; implicit-def: $vgpr1
; %bb.205:                              ;   in Loop: Header=BB188_43 Depth=1
	s_andn2_saveexec_b64 s[10:11], s[0:1]
; %bb.206:                              ;   in Loop: Header=BB188_43 Depth=1
	v_or_b32_e32 v2, 0x10000, v1
	v_cmp_eq_u32_sdwa s[0:1], v1, v25 src0_sel:WORD_0 src1_sel:DWORD
	s_nop 1
	v_cndmask_b32_e64 v91, v2, v1, s[0:1]
; %bb.207:                              ;   in Loop: Header=BB188_43 Depth=1
	s_or_b64 exec, exec, s[10:11]
	v_lshlrev_b32_e32 v0, 16, v0
	v_mul_f32_e32 v0, v73, v0
	v_and_b32_e32 v1, 0x7f800000, v0
	v_cmp_ne_u32_e64 s[0:1], s14, v1
                                        ; implicit-def: $vgpr92
	s_and_saveexec_b64 s[10:11], s[0:1]
	s_xor_b64 s[0:1], exec, s[10:11]
; %bb.208:                              ;   in Loop: Header=BB188_43 Depth=1
	v_bfe_u32 v1, v0, 16, 1
	v_add3_u32 v92, v0, v1, s15
                                        ; implicit-def: $vgpr0
; %bb.209:                              ;   in Loop: Header=BB188_43 Depth=1
	s_andn2_saveexec_b64 s[10:11], s[0:1]
; %bb.210:                              ;   in Loop: Header=BB188_43 Depth=1
	v_or_b32_e32 v1, 0x10000, v0
	v_cmp_eq_u32_sdwa s[0:1], v0, v25 src0_sel:WORD_0 src1_sel:DWORD
	s_nop 1
	v_cndmask_b32_e64 v92, v1, v0, s[0:1]
; %bb.211:                              ;   in Loop: Header=BB188_43 Depth=1
	s_or_b64 exec, exec, s[10:11]
	v_mov_b32_e32 v29, v25
	v_lshl_add_u64 v[0:1], v[6:7], 0, v[28:29]
	global_load_dwordx4 v[2:5], v[0:1], off
	s_waitcnt vmcnt(0)
	v_lshrrev_b32_e32 v31, 16, v2
	v_lshrrev_b32_e32 v11, 16, v3
	;; [unrolled: 1-line block ×4, first 2 shown]
	s_and_saveexec_b64 s[10:11], vcc
	s_cbranch_execz .LBB188_213
; %bb.212:                              ;   in Loop: Header=BB188_43 Depth=1
	v_cmp_gt_i32_e64 s[0:1], s33, v57
	s_nop 1
	v_cndmask_b32_e64 v2, 0, v2, s[0:1]
	v_cmp_gt_i32_e64 s[0:1], s33, v64
	s_nop 1
	v_cndmask_b32_e64 v31, 0, v31, s[0:1]
	;; [unrolled: 3-line block ×8, first 2 shown]
.LBB188_213:                            ;   in Loop: Header=BB188_43 Depth=1
	s_or_b64 exec, exec, s[10:11]
	v_lshlrev_b32_e32 v2, 16, v2
	v_mul_f32_e32 v2, v65, v2
	v_and_b32_e32 v29, 0x7f800000, v2
	v_cmp_ne_u32_e64 s[0:1], s14, v29
                                        ; implicit-def: $vgpr29
	s_and_saveexec_b64 s[10:11], s[0:1]
	s_xor_b64 s[0:1], exec, s[10:11]
; %bb.214:                              ;   in Loop: Header=BB188_43 Depth=1
	v_bfe_u32 v29, v2, 16, 1
	v_add3_u32 v29, v2, v29, s15
                                        ; implicit-def: $vgpr2
; %bb.215:                              ;   in Loop: Header=BB188_43 Depth=1
	s_andn2_saveexec_b64 s[10:11], s[0:1]
; %bb.216:                              ;   in Loop: Header=BB188_43 Depth=1
	v_or_b32_e32 v29, 0x10000, v2
	v_cmp_eq_u32_sdwa s[0:1], v2, v25 src0_sel:WORD_0 src1_sel:DWORD
	s_nop 1
	v_cndmask_b32_e64 v29, v29, v2, s[0:1]
; %bb.217:                              ;   in Loop: Header=BB188_43 Depth=1
	s_or_b64 exec, exec, s[10:11]
	v_lshlrev_b32_e32 v2, 16, v31
	v_mul_f32_e32 v2, v66, v2
	v_and_b32_e32 v31, 0x7f800000, v2
	v_cmp_ne_u32_e64 s[0:1], s14, v31
                                        ; implicit-def: $vgpr93
	s_and_saveexec_b64 s[10:11], s[0:1]
	s_xor_b64 s[0:1], exec, s[10:11]
; %bb.218:                              ;   in Loop: Header=BB188_43 Depth=1
	v_bfe_u32 v31, v2, 16, 1
	v_add3_u32 v93, v2, v31, s15
                                        ; implicit-def: $vgpr2
; %bb.219:                              ;   in Loop: Header=BB188_43 Depth=1
	s_andn2_saveexec_b64 s[10:11], s[0:1]
; %bb.220:                              ;   in Loop: Header=BB188_43 Depth=1
	v_or_b32_e32 v31, 0x10000, v2
	v_cmp_eq_u32_sdwa s[0:1], v2, v25 src0_sel:WORD_0 src1_sel:DWORD
	s_nop 1
	v_cndmask_b32_e64 v93, v31, v2, s[0:1]
; %bb.221:                              ;   in Loop: Header=BB188_43 Depth=1
	s_or_b64 exec, exec, s[10:11]
	v_lshlrev_b32_e32 v2, 16, v3
	v_mul_f32_e32 v2, v67, v2
	v_and_b32_e32 v3, 0x7f800000, v2
	v_cmp_ne_u32_e64 s[0:1], s14, v3
                                        ; implicit-def: $vgpr94
	s_and_saveexec_b64 s[10:11], s[0:1]
	s_xor_b64 s[0:1], exec, s[10:11]
; %bb.222:                              ;   in Loop: Header=BB188_43 Depth=1
	v_bfe_u32 v3, v2, 16, 1
	v_add3_u32 v94, v2, v3, s15
                                        ; implicit-def: $vgpr2
; %bb.223:                              ;   in Loop: Header=BB188_43 Depth=1
	s_andn2_saveexec_b64 s[10:11], s[0:1]
; %bb.224:                              ;   in Loop: Header=BB188_43 Depth=1
	v_or_b32_e32 v3, 0x10000, v2
	v_cmp_eq_u32_sdwa s[0:1], v2, v25 src0_sel:WORD_0 src1_sel:DWORD
	s_nop 1
	v_cndmask_b32_e64 v94, v3, v2, s[0:1]
; %bb.225:                              ;   in Loop: Header=BB188_43 Depth=1
	s_or_b64 exec, exec, s[10:11]
	v_lshlrev_b32_e32 v2, 16, v11
	v_mul_f32_e32 v2, v68, v2
	v_and_b32_e32 v3, 0x7f800000, v2
	v_cmp_ne_u32_e64 s[0:1], s14, v3
                                        ; implicit-def: $vgpr95
	s_and_saveexec_b64 s[10:11], s[0:1]
	s_xor_b64 s[0:1], exec, s[10:11]
; %bb.226:                              ;   in Loop: Header=BB188_43 Depth=1
	v_bfe_u32 v3, v2, 16, 1
	v_add3_u32 v95, v2, v3, s15
                                        ; implicit-def: $vgpr2
; %bb.227:                              ;   in Loop: Header=BB188_43 Depth=1
	s_andn2_saveexec_b64 s[10:11], s[0:1]
; %bb.228:                              ;   in Loop: Header=BB188_43 Depth=1
	v_or_b32_e32 v3, 0x10000, v2
	v_cmp_eq_u32_sdwa s[0:1], v2, v25 src0_sel:WORD_0 src1_sel:DWORD
	s_nop 1
	v_cndmask_b32_e64 v95, v3, v2, s[0:1]
; %bb.229:                              ;   in Loop: Header=BB188_43 Depth=1
	s_or_b64 exec, exec, s[10:11]
	v_lshlrev_b32_e32 v2, 16, v4
	v_mul_f32_e32 v2, v70, v2
	v_and_b32_e32 v3, 0x7f800000, v2
	v_cmp_ne_u32_e64 s[0:1], s14, v3
                                        ; implicit-def: $vgpr96
	s_and_saveexec_b64 s[10:11], s[0:1]
	s_xor_b64 s[0:1], exec, s[10:11]
; %bb.230:                              ;   in Loop: Header=BB188_43 Depth=1
	v_bfe_u32 v3, v2, 16, 1
	v_add3_u32 v96, v2, v3, s15
                                        ; implicit-def: $vgpr2
; %bb.231:                              ;   in Loop: Header=BB188_43 Depth=1
	s_andn2_saveexec_b64 s[10:11], s[0:1]
; %bb.232:                              ;   in Loop: Header=BB188_43 Depth=1
	v_or_b32_e32 v3, 0x10000, v2
	v_cmp_eq_u32_sdwa s[0:1], v2, v25 src0_sel:WORD_0 src1_sel:DWORD
	s_nop 1
	v_cndmask_b32_e64 v96, v3, v2, s[0:1]
; %bb.233:                              ;   in Loop: Header=BB188_43 Depth=1
	s_or_b64 exec, exec, s[10:11]
	v_lshlrev_b32_e32 v1, 16, v1
	v_mul_f32_e32 v1, v71, v1
	v_and_b32_e32 v2, 0x7f800000, v1
	v_cmp_ne_u32_e64 s[0:1], s14, v2
                                        ; implicit-def: $vgpr97
	s_and_saveexec_b64 s[10:11], s[0:1]
	s_xor_b64 s[0:1], exec, s[10:11]
; %bb.234:                              ;   in Loop: Header=BB188_43 Depth=1
	v_bfe_u32 v2, v1, 16, 1
	v_add3_u32 v97, v1, v2, s15
                                        ; implicit-def: $vgpr1
; %bb.235:                              ;   in Loop: Header=BB188_43 Depth=1
	s_andn2_saveexec_b64 s[10:11], s[0:1]
; %bb.236:                              ;   in Loop: Header=BB188_43 Depth=1
	v_or_b32_e32 v2, 0x10000, v1
	v_cmp_eq_u32_sdwa s[0:1], v1, v25 src0_sel:WORD_0 src1_sel:DWORD
	s_nop 1
	v_cndmask_b32_e64 v97, v2, v1, s[0:1]
; %bb.237:                              ;   in Loop: Header=BB188_43 Depth=1
	s_or_b64 exec, exec, s[10:11]
	v_lshlrev_b32_e32 v1, 16, v5
	v_mul_f32_e32 v1, v72, v1
	v_and_b32_e32 v2, 0x7f800000, v1
	v_cmp_ne_u32_e64 s[0:1], s14, v2
                                        ; implicit-def: $vgpr98
	s_and_saveexec_b64 s[10:11], s[0:1]
	s_xor_b64 s[0:1], exec, s[10:11]
; %bb.238:                              ;   in Loop: Header=BB188_43 Depth=1
	v_bfe_u32 v2, v1, 16, 1
	v_add3_u32 v98, v1, v2, s15
                                        ; implicit-def: $vgpr1
; %bb.239:                              ;   in Loop: Header=BB188_43 Depth=1
	s_andn2_saveexec_b64 s[10:11], s[0:1]
; %bb.240:                              ;   in Loop: Header=BB188_43 Depth=1
	v_or_b32_e32 v2, 0x10000, v1
	v_cmp_eq_u32_sdwa s[0:1], v1, v25 src0_sel:WORD_0 src1_sel:DWORD
	s_nop 1
	v_cndmask_b32_e64 v98, v2, v1, s[0:1]
; %bb.241:                              ;   in Loop: Header=BB188_43 Depth=1
	s_or_b64 exec, exec, s[10:11]
	v_lshlrev_b32_e32 v0, 16, v0
	v_mul_f32_e32 v0, v73, v0
	v_and_b32_e32 v1, 0x7f800000, v0
	v_cmp_ne_u32_e64 s[0:1], s14, v1
                                        ; implicit-def: $vgpr99
	s_and_saveexec_b64 s[10:11], s[0:1]
	s_xor_b64 s[0:1], exec, s[10:11]
; %bb.242:                              ;   in Loop: Header=BB188_43 Depth=1
	v_bfe_u32 v1, v0, 16, 1
	v_add3_u32 v99, v0, v1, s15
                                        ; implicit-def: $vgpr0
; %bb.243:                              ;   in Loop: Header=BB188_43 Depth=1
	s_andn2_saveexec_b64 s[10:11], s[0:1]
; %bb.244:                              ;   in Loop: Header=BB188_43 Depth=1
	v_or_b32_e32 v1, 0x10000, v0
	v_cmp_eq_u32_sdwa s[0:1], v0, v25 src0_sel:WORD_0 src1_sel:DWORD
	s_nop 1
	v_cndmask_b32_e64 v99, v1, v0, s[0:1]
; %bb.245:                              ;   in Loop: Header=BB188_43 Depth=1
	s_or_b64 exec, exec, s[10:11]
	v_mov_b32_e32 v31, v25
	v_lshl_add_u64 v[0:1], v[6:7], 0, v[30:31]
	global_load_dwordx4 v[2:5], v[0:1], off
	s_waitcnt vmcnt(0)
	v_lshrrev_b32_e32 v33, 16, v2
	v_lshrrev_b32_e32 v11, 16, v3
	;; [unrolled: 1-line block ×4, first 2 shown]
	s_and_saveexec_b64 s[10:11], vcc
	s_cbranch_execz .LBB188_247
; %bb.246:                              ;   in Loop: Header=BB188_43 Depth=1
	v_cmp_gt_i32_e64 s[0:1], s33, v57
	s_nop 1
	v_cndmask_b32_e64 v2, 0, v2, s[0:1]
	v_cmp_gt_i32_e64 s[0:1], s33, v64
	s_nop 1
	v_cndmask_b32_e64 v33, 0, v33, s[0:1]
	;; [unrolled: 3-line block ×8, first 2 shown]
.LBB188_247:                            ;   in Loop: Header=BB188_43 Depth=1
	s_or_b64 exec, exec, s[10:11]
	v_lshlrev_b32_e32 v2, 16, v2
	v_mul_f32_e32 v2, v65, v2
	v_and_b32_e32 v31, 0x7f800000, v2
	v_cmp_ne_u32_e64 s[0:1], s14, v31
                                        ; implicit-def: $vgpr31
	s_and_saveexec_b64 s[10:11], s[0:1]
	s_xor_b64 s[0:1], exec, s[10:11]
; %bb.248:                              ;   in Loop: Header=BB188_43 Depth=1
	v_bfe_u32 v31, v2, 16, 1
	v_add3_u32 v31, v2, v31, s15
                                        ; implicit-def: $vgpr2
; %bb.249:                              ;   in Loop: Header=BB188_43 Depth=1
	s_andn2_saveexec_b64 s[10:11], s[0:1]
; %bb.250:                              ;   in Loop: Header=BB188_43 Depth=1
	v_or_b32_e32 v31, 0x10000, v2
	v_cmp_eq_u32_sdwa s[0:1], v2, v25 src0_sel:WORD_0 src1_sel:DWORD
	s_nop 1
	v_cndmask_b32_e64 v31, v31, v2, s[0:1]
; %bb.251:                              ;   in Loop: Header=BB188_43 Depth=1
	s_or_b64 exec, exec, s[10:11]
	v_lshlrev_b32_e32 v2, 16, v33
	v_mul_f32_e32 v2, v66, v2
	v_and_b32_e32 v33, 0x7f800000, v2
	v_cmp_ne_u32_e64 s[0:1], s14, v33
                                        ; implicit-def: $vgpr100
	s_and_saveexec_b64 s[10:11], s[0:1]
	s_xor_b64 s[0:1], exec, s[10:11]
; %bb.252:                              ;   in Loop: Header=BB188_43 Depth=1
	v_bfe_u32 v33, v2, 16, 1
	v_add3_u32 v100, v2, v33, s15
                                        ; implicit-def: $vgpr2
; %bb.253:                              ;   in Loop: Header=BB188_43 Depth=1
	s_andn2_saveexec_b64 s[10:11], s[0:1]
; %bb.254:                              ;   in Loop: Header=BB188_43 Depth=1
	v_or_b32_e32 v33, 0x10000, v2
	v_cmp_eq_u32_sdwa s[0:1], v2, v25 src0_sel:WORD_0 src1_sel:DWORD
	s_nop 1
	v_cndmask_b32_e64 v100, v33, v2, s[0:1]
; %bb.255:                              ;   in Loop: Header=BB188_43 Depth=1
	s_or_b64 exec, exec, s[10:11]
	v_lshlrev_b32_e32 v2, 16, v3
	v_mul_f32_e32 v2, v67, v2
	v_and_b32_e32 v3, 0x7f800000, v2
	v_cmp_ne_u32_e64 s[0:1], s14, v3
                                        ; implicit-def: $vgpr101
	s_and_saveexec_b64 s[10:11], s[0:1]
	s_xor_b64 s[0:1], exec, s[10:11]
; %bb.256:                              ;   in Loop: Header=BB188_43 Depth=1
	v_bfe_u32 v3, v2, 16, 1
	v_add3_u32 v101, v2, v3, s15
                                        ; implicit-def: $vgpr2
; %bb.257:                              ;   in Loop: Header=BB188_43 Depth=1
	s_andn2_saveexec_b64 s[10:11], s[0:1]
; %bb.258:                              ;   in Loop: Header=BB188_43 Depth=1
	v_or_b32_e32 v3, 0x10000, v2
	v_cmp_eq_u32_sdwa s[0:1], v2, v25 src0_sel:WORD_0 src1_sel:DWORD
	s_nop 1
	v_cndmask_b32_e64 v101, v3, v2, s[0:1]
; %bb.259:                              ;   in Loop: Header=BB188_43 Depth=1
	s_or_b64 exec, exec, s[10:11]
	v_lshlrev_b32_e32 v2, 16, v11
	v_mul_f32_e32 v2, v68, v2
	v_and_b32_e32 v3, 0x7f800000, v2
	v_cmp_ne_u32_e64 s[0:1], s14, v3
                                        ; implicit-def: $vgpr102
	s_and_saveexec_b64 s[10:11], s[0:1]
	s_xor_b64 s[0:1], exec, s[10:11]
; %bb.260:                              ;   in Loop: Header=BB188_43 Depth=1
	v_bfe_u32 v3, v2, 16, 1
	v_add3_u32 v102, v2, v3, s15
                                        ; implicit-def: $vgpr2
; %bb.261:                              ;   in Loop: Header=BB188_43 Depth=1
	s_andn2_saveexec_b64 s[10:11], s[0:1]
; %bb.262:                              ;   in Loop: Header=BB188_43 Depth=1
	v_or_b32_e32 v3, 0x10000, v2
	v_cmp_eq_u32_sdwa s[0:1], v2, v25 src0_sel:WORD_0 src1_sel:DWORD
	s_nop 1
	v_cndmask_b32_e64 v102, v3, v2, s[0:1]
; %bb.263:                              ;   in Loop: Header=BB188_43 Depth=1
	s_or_b64 exec, exec, s[10:11]
	v_lshlrev_b32_e32 v2, 16, v4
	v_mul_f32_e32 v2, v70, v2
	v_and_b32_e32 v3, 0x7f800000, v2
	v_cmp_ne_u32_e64 s[0:1], s14, v3
                                        ; implicit-def: $vgpr103
	s_and_saveexec_b64 s[10:11], s[0:1]
	s_xor_b64 s[0:1], exec, s[10:11]
; %bb.264:                              ;   in Loop: Header=BB188_43 Depth=1
	v_bfe_u32 v3, v2, 16, 1
	v_add3_u32 v103, v2, v3, s15
                                        ; implicit-def: $vgpr2
; %bb.265:                              ;   in Loop: Header=BB188_43 Depth=1
	s_andn2_saveexec_b64 s[10:11], s[0:1]
; %bb.266:                              ;   in Loop: Header=BB188_43 Depth=1
	v_or_b32_e32 v3, 0x10000, v2
	v_cmp_eq_u32_sdwa s[0:1], v2, v25 src0_sel:WORD_0 src1_sel:DWORD
	s_nop 1
	v_cndmask_b32_e64 v103, v3, v2, s[0:1]
; %bb.267:                              ;   in Loop: Header=BB188_43 Depth=1
	s_or_b64 exec, exec, s[10:11]
	v_lshlrev_b32_e32 v1, 16, v1
	v_mul_f32_e32 v1, v71, v1
	v_and_b32_e32 v2, 0x7f800000, v1
	v_cmp_ne_u32_e64 s[0:1], s14, v2
                                        ; implicit-def: $vgpr104
	s_and_saveexec_b64 s[10:11], s[0:1]
	s_xor_b64 s[0:1], exec, s[10:11]
; %bb.268:                              ;   in Loop: Header=BB188_43 Depth=1
	v_bfe_u32 v2, v1, 16, 1
	v_add3_u32 v104, v1, v2, s15
                                        ; implicit-def: $vgpr1
; %bb.269:                              ;   in Loop: Header=BB188_43 Depth=1
	s_andn2_saveexec_b64 s[10:11], s[0:1]
; %bb.270:                              ;   in Loop: Header=BB188_43 Depth=1
	v_or_b32_e32 v2, 0x10000, v1
	v_cmp_eq_u32_sdwa s[0:1], v1, v25 src0_sel:WORD_0 src1_sel:DWORD
	s_nop 1
	v_cndmask_b32_e64 v104, v2, v1, s[0:1]
; %bb.271:                              ;   in Loop: Header=BB188_43 Depth=1
	s_or_b64 exec, exec, s[10:11]
	v_lshlrev_b32_e32 v1, 16, v5
	v_mul_f32_e32 v1, v72, v1
	v_and_b32_e32 v2, 0x7f800000, v1
	v_cmp_ne_u32_e64 s[0:1], s14, v2
                                        ; implicit-def: $vgpr105
	s_and_saveexec_b64 s[10:11], s[0:1]
	s_xor_b64 s[0:1], exec, s[10:11]
; %bb.272:                              ;   in Loop: Header=BB188_43 Depth=1
	v_bfe_u32 v2, v1, 16, 1
	v_add3_u32 v105, v1, v2, s15
                                        ; implicit-def: $vgpr1
; %bb.273:                              ;   in Loop: Header=BB188_43 Depth=1
	s_andn2_saveexec_b64 s[10:11], s[0:1]
; %bb.274:                              ;   in Loop: Header=BB188_43 Depth=1
	v_or_b32_e32 v2, 0x10000, v1
	v_cmp_eq_u32_sdwa s[0:1], v1, v25 src0_sel:WORD_0 src1_sel:DWORD
	s_nop 1
	v_cndmask_b32_e64 v105, v2, v1, s[0:1]
; %bb.275:                              ;   in Loop: Header=BB188_43 Depth=1
	s_or_b64 exec, exec, s[10:11]
	v_lshlrev_b32_e32 v0, 16, v0
	v_mul_f32_e32 v0, v73, v0
	v_and_b32_e32 v1, 0x7f800000, v0
	v_cmp_ne_u32_e64 s[0:1], s14, v1
                                        ; implicit-def: $vgpr106
	s_and_saveexec_b64 s[10:11], s[0:1]
	s_xor_b64 s[0:1], exec, s[10:11]
; %bb.276:                              ;   in Loop: Header=BB188_43 Depth=1
	v_bfe_u32 v1, v0, 16, 1
	v_add3_u32 v106, v0, v1, s15
                                        ; implicit-def: $vgpr0
; %bb.277:                              ;   in Loop: Header=BB188_43 Depth=1
	s_andn2_saveexec_b64 s[10:11], s[0:1]
; %bb.278:                              ;   in Loop: Header=BB188_43 Depth=1
	v_or_b32_e32 v1, 0x10000, v0
	v_cmp_eq_u32_sdwa s[0:1], v0, v25 src0_sel:WORD_0 src1_sel:DWORD
	s_nop 1
	v_cndmask_b32_e64 v106, v1, v0, s[0:1]
; %bb.279:                              ;   in Loop: Header=BB188_43 Depth=1
	s_or_b64 exec, exec, s[10:11]
	v_mov_b32_e32 v33, v25
	v_lshl_add_u64 v[0:1], v[6:7], 0, v[32:33]
	global_load_dwordx4 v[2:5], v[0:1], off
	s_waitcnt vmcnt(0)
	v_lshrrev_b32_e32 v35, 16, v2
	v_lshrrev_b32_e32 v11, 16, v3
	;; [unrolled: 1-line block ×4, first 2 shown]
	s_and_saveexec_b64 s[10:11], vcc
	s_cbranch_execz .LBB188_281
; %bb.280:                              ;   in Loop: Header=BB188_43 Depth=1
	v_cmp_gt_i32_e64 s[0:1], s33, v57
	s_nop 1
	v_cndmask_b32_e64 v2, 0, v2, s[0:1]
	v_cmp_gt_i32_e64 s[0:1], s33, v64
	s_nop 1
	v_cndmask_b32_e64 v35, 0, v35, s[0:1]
	;; [unrolled: 3-line block ×8, first 2 shown]
.LBB188_281:                            ;   in Loop: Header=BB188_43 Depth=1
	s_or_b64 exec, exec, s[10:11]
	v_lshlrev_b32_e32 v2, 16, v2
	v_mul_f32_e32 v2, v65, v2
	v_and_b32_e32 v33, 0x7f800000, v2
	v_cmp_ne_u32_e64 s[0:1], s14, v33
                                        ; implicit-def: $vgpr33
	s_and_saveexec_b64 s[10:11], s[0:1]
	s_xor_b64 s[0:1], exec, s[10:11]
; %bb.282:                              ;   in Loop: Header=BB188_43 Depth=1
	v_bfe_u32 v33, v2, 16, 1
	v_add3_u32 v33, v2, v33, s15
                                        ; implicit-def: $vgpr2
; %bb.283:                              ;   in Loop: Header=BB188_43 Depth=1
	s_andn2_saveexec_b64 s[10:11], s[0:1]
; %bb.284:                              ;   in Loop: Header=BB188_43 Depth=1
	v_or_b32_e32 v33, 0x10000, v2
	v_cmp_eq_u32_sdwa s[0:1], v2, v25 src0_sel:WORD_0 src1_sel:DWORD
	s_nop 1
	v_cndmask_b32_e64 v33, v33, v2, s[0:1]
; %bb.285:                              ;   in Loop: Header=BB188_43 Depth=1
	s_or_b64 exec, exec, s[10:11]
	v_lshlrev_b32_e32 v2, 16, v35
	v_mul_f32_e32 v2, v66, v2
	v_and_b32_e32 v35, 0x7f800000, v2
	v_cmp_ne_u32_e64 s[0:1], s14, v35
                                        ; implicit-def: $vgpr107
	s_and_saveexec_b64 s[10:11], s[0:1]
	s_xor_b64 s[0:1], exec, s[10:11]
; %bb.286:                              ;   in Loop: Header=BB188_43 Depth=1
	v_bfe_u32 v35, v2, 16, 1
	v_add3_u32 v107, v2, v35, s15
                                        ; implicit-def: $vgpr2
; %bb.287:                              ;   in Loop: Header=BB188_43 Depth=1
	s_andn2_saveexec_b64 s[10:11], s[0:1]
; %bb.288:                              ;   in Loop: Header=BB188_43 Depth=1
	v_or_b32_e32 v35, 0x10000, v2
	v_cmp_eq_u32_sdwa s[0:1], v2, v25 src0_sel:WORD_0 src1_sel:DWORD
	s_nop 1
	v_cndmask_b32_e64 v107, v35, v2, s[0:1]
; %bb.289:                              ;   in Loop: Header=BB188_43 Depth=1
	s_or_b64 exec, exec, s[10:11]
	v_lshlrev_b32_e32 v2, 16, v3
	v_mul_f32_e32 v2, v67, v2
	v_and_b32_e32 v3, 0x7f800000, v2
	v_cmp_ne_u32_e64 s[0:1], s14, v3
                                        ; implicit-def: $vgpr108
	s_and_saveexec_b64 s[10:11], s[0:1]
	s_xor_b64 s[0:1], exec, s[10:11]
; %bb.290:                              ;   in Loop: Header=BB188_43 Depth=1
	v_bfe_u32 v3, v2, 16, 1
	v_add3_u32 v108, v2, v3, s15
                                        ; implicit-def: $vgpr2
; %bb.291:                              ;   in Loop: Header=BB188_43 Depth=1
	s_andn2_saveexec_b64 s[10:11], s[0:1]
; %bb.292:                              ;   in Loop: Header=BB188_43 Depth=1
	v_or_b32_e32 v3, 0x10000, v2
	v_cmp_eq_u32_sdwa s[0:1], v2, v25 src0_sel:WORD_0 src1_sel:DWORD
	s_nop 1
	v_cndmask_b32_e64 v108, v3, v2, s[0:1]
; %bb.293:                              ;   in Loop: Header=BB188_43 Depth=1
	s_or_b64 exec, exec, s[10:11]
	v_lshlrev_b32_e32 v2, 16, v11
	v_mul_f32_e32 v2, v68, v2
	v_and_b32_e32 v3, 0x7f800000, v2
	v_cmp_ne_u32_e64 s[0:1], s14, v3
                                        ; implicit-def: $vgpr109
	s_and_saveexec_b64 s[10:11], s[0:1]
	s_xor_b64 s[0:1], exec, s[10:11]
; %bb.294:                              ;   in Loop: Header=BB188_43 Depth=1
	v_bfe_u32 v3, v2, 16, 1
	v_add3_u32 v109, v2, v3, s15
                                        ; implicit-def: $vgpr2
; %bb.295:                              ;   in Loop: Header=BB188_43 Depth=1
	s_andn2_saveexec_b64 s[10:11], s[0:1]
; %bb.296:                              ;   in Loop: Header=BB188_43 Depth=1
	v_or_b32_e32 v3, 0x10000, v2
	v_cmp_eq_u32_sdwa s[0:1], v2, v25 src0_sel:WORD_0 src1_sel:DWORD
	s_nop 1
	v_cndmask_b32_e64 v109, v3, v2, s[0:1]
; %bb.297:                              ;   in Loop: Header=BB188_43 Depth=1
	s_or_b64 exec, exec, s[10:11]
	v_lshlrev_b32_e32 v2, 16, v4
	v_mul_f32_e32 v2, v70, v2
	v_and_b32_e32 v3, 0x7f800000, v2
	v_cmp_ne_u32_e64 s[0:1], s14, v3
                                        ; implicit-def: $vgpr110
	s_and_saveexec_b64 s[10:11], s[0:1]
	s_xor_b64 s[0:1], exec, s[10:11]
; %bb.298:                              ;   in Loop: Header=BB188_43 Depth=1
	v_bfe_u32 v3, v2, 16, 1
	v_add3_u32 v110, v2, v3, s15
                                        ; implicit-def: $vgpr2
; %bb.299:                              ;   in Loop: Header=BB188_43 Depth=1
	s_andn2_saveexec_b64 s[10:11], s[0:1]
; %bb.300:                              ;   in Loop: Header=BB188_43 Depth=1
	v_or_b32_e32 v3, 0x10000, v2
	v_cmp_eq_u32_sdwa s[0:1], v2, v25 src0_sel:WORD_0 src1_sel:DWORD
	s_nop 1
	v_cndmask_b32_e64 v110, v3, v2, s[0:1]
; %bb.301:                              ;   in Loop: Header=BB188_43 Depth=1
	s_or_b64 exec, exec, s[10:11]
	v_lshlrev_b32_e32 v1, 16, v1
	v_mul_f32_e32 v1, v71, v1
	v_and_b32_e32 v2, 0x7f800000, v1
	v_cmp_ne_u32_e64 s[0:1], s14, v2
                                        ; implicit-def: $vgpr111
	s_and_saveexec_b64 s[10:11], s[0:1]
	s_xor_b64 s[0:1], exec, s[10:11]
; %bb.302:                              ;   in Loop: Header=BB188_43 Depth=1
	v_bfe_u32 v2, v1, 16, 1
	v_add3_u32 v111, v1, v2, s15
                                        ; implicit-def: $vgpr1
; %bb.303:                              ;   in Loop: Header=BB188_43 Depth=1
	s_andn2_saveexec_b64 s[10:11], s[0:1]
; %bb.304:                              ;   in Loop: Header=BB188_43 Depth=1
	v_or_b32_e32 v2, 0x10000, v1
	v_cmp_eq_u32_sdwa s[0:1], v1, v25 src0_sel:WORD_0 src1_sel:DWORD
	s_nop 1
	v_cndmask_b32_e64 v111, v2, v1, s[0:1]
; %bb.305:                              ;   in Loop: Header=BB188_43 Depth=1
	s_or_b64 exec, exec, s[10:11]
	v_lshlrev_b32_e32 v1, 16, v5
	v_mul_f32_e32 v1, v72, v1
	v_and_b32_e32 v2, 0x7f800000, v1
	v_cmp_ne_u32_e64 s[0:1], s14, v2
                                        ; implicit-def: $vgpr112
	s_and_saveexec_b64 s[10:11], s[0:1]
	s_xor_b64 s[0:1], exec, s[10:11]
; %bb.306:                              ;   in Loop: Header=BB188_43 Depth=1
	v_bfe_u32 v2, v1, 16, 1
	v_add3_u32 v112, v1, v2, s15
                                        ; implicit-def: $vgpr1
; %bb.307:                              ;   in Loop: Header=BB188_43 Depth=1
	s_andn2_saveexec_b64 s[10:11], s[0:1]
; %bb.308:                              ;   in Loop: Header=BB188_43 Depth=1
	v_or_b32_e32 v2, 0x10000, v1
	v_cmp_eq_u32_sdwa s[0:1], v1, v25 src0_sel:WORD_0 src1_sel:DWORD
	s_nop 1
	v_cndmask_b32_e64 v112, v2, v1, s[0:1]
; %bb.309:                              ;   in Loop: Header=BB188_43 Depth=1
	s_or_b64 exec, exec, s[10:11]
	v_lshlrev_b32_e32 v0, 16, v0
	v_mul_f32_e32 v0, v73, v0
	v_and_b32_e32 v1, 0x7f800000, v0
	v_cmp_ne_u32_e64 s[0:1], s14, v1
                                        ; implicit-def: $vgpr113
	s_and_saveexec_b64 s[10:11], s[0:1]
	s_xor_b64 s[0:1], exec, s[10:11]
; %bb.310:                              ;   in Loop: Header=BB188_43 Depth=1
	v_bfe_u32 v1, v0, 16, 1
	v_add3_u32 v113, v0, v1, s15
                                        ; implicit-def: $vgpr0
; %bb.311:                              ;   in Loop: Header=BB188_43 Depth=1
	s_andn2_saveexec_b64 s[10:11], s[0:1]
; %bb.312:                              ;   in Loop: Header=BB188_43 Depth=1
	v_or_b32_e32 v1, 0x10000, v0
	v_cmp_eq_u32_sdwa s[0:1], v0, v25 src0_sel:WORD_0 src1_sel:DWORD
	s_nop 1
	v_cndmask_b32_e64 v113, v1, v0, s[0:1]
; %bb.313:                              ;   in Loop: Header=BB188_43 Depth=1
	s_or_b64 exec, exec, s[10:11]
	v_mov_b32_e32 v35, v25
	v_lshl_add_u64 v[0:1], v[6:7], 0, v[34:35]
	global_load_dwordx4 v[2:5], v[0:1], off
	s_waitcnt vmcnt(0)
	v_lshrrev_b32_e32 v37, 16, v2
	v_lshrrev_b32_e32 v11, 16, v3
	;; [unrolled: 1-line block ×4, first 2 shown]
	s_and_saveexec_b64 s[10:11], vcc
	s_cbranch_execz .LBB188_315
; %bb.314:                              ;   in Loop: Header=BB188_43 Depth=1
	v_cmp_gt_i32_e64 s[0:1], s33, v57
	s_nop 1
	v_cndmask_b32_e64 v2, 0, v2, s[0:1]
	v_cmp_gt_i32_e64 s[0:1], s33, v64
	s_nop 1
	v_cndmask_b32_e64 v37, 0, v37, s[0:1]
	;; [unrolled: 3-line block ×8, first 2 shown]
.LBB188_315:                            ;   in Loop: Header=BB188_43 Depth=1
	s_or_b64 exec, exec, s[10:11]
	v_lshlrev_b32_e32 v2, 16, v2
	v_mul_f32_e32 v2, v65, v2
	v_and_b32_e32 v35, 0x7f800000, v2
	v_cmp_ne_u32_e64 s[0:1], s14, v35
                                        ; implicit-def: $vgpr35
	s_and_saveexec_b64 s[10:11], s[0:1]
	s_xor_b64 s[0:1], exec, s[10:11]
; %bb.316:                              ;   in Loop: Header=BB188_43 Depth=1
	v_bfe_u32 v35, v2, 16, 1
	v_add3_u32 v35, v2, v35, s15
                                        ; implicit-def: $vgpr2
; %bb.317:                              ;   in Loop: Header=BB188_43 Depth=1
	s_andn2_saveexec_b64 s[10:11], s[0:1]
; %bb.318:                              ;   in Loop: Header=BB188_43 Depth=1
	v_or_b32_e32 v35, 0x10000, v2
	v_cmp_eq_u32_sdwa s[0:1], v2, v25 src0_sel:WORD_0 src1_sel:DWORD
	s_nop 1
	v_cndmask_b32_e64 v35, v35, v2, s[0:1]
; %bb.319:                              ;   in Loop: Header=BB188_43 Depth=1
	s_or_b64 exec, exec, s[10:11]
	v_lshlrev_b32_e32 v2, 16, v37
	v_mul_f32_e32 v2, v66, v2
	v_and_b32_e32 v37, 0x7f800000, v2
	v_cmp_ne_u32_e64 s[0:1], s14, v37
                                        ; implicit-def: $vgpr114
	s_and_saveexec_b64 s[10:11], s[0:1]
	s_xor_b64 s[0:1], exec, s[10:11]
; %bb.320:                              ;   in Loop: Header=BB188_43 Depth=1
	v_bfe_u32 v37, v2, 16, 1
	v_add3_u32 v114, v2, v37, s15
                                        ; implicit-def: $vgpr2
; %bb.321:                              ;   in Loop: Header=BB188_43 Depth=1
	s_andn2_saveexec_b64 s[10:11], s[0:1]
; %bb.322:                              ;   in Loop: Header=BB188_43 Depth=1
	v_or_b32_e32 v37, 0x10000, v2
	v_cmp_eq_u32_sdwa s[0:1], v2, v25 src0_sel:WORD_0 src1_sel:DWORD
	s_nop 1
	v_cndmask_b32_e64 v114, v37, v2, s[0:1]
; %bb.323:                              ;   in Loop: Header=BB188_43 Depth=1
	s_or_b64 exec, exec, s[10:11]
	v_lshlrev_b32_e32 v2, 16, v3
	v_mul_f32_e32 v2, v67, v2
	v_and_b32_e32 v3, 0x7f800000, v2
	v_cmp_ne_u32_e64 s[0:1], s14, v3
                                        ; implicit-def: $vgpr115
	s_and_saveexec_b64 s[10:11], s[0:1]
	s_xor_b64 s[0:1], exec, s[10:11]
; %bb.324:                              ;   in Loop: Header=BB188_43 Depth=1
	v_bfe_u32 v3, v2, 16, 1
	v_add3_u32 v115, v2, v3, s15
                                        ; implicit-def: $vgpr2
; %bb.325:                              ;   in Loop: Header=BB188_43 Depth=1
	s_andn2_saveexec_b64 s[10:11], s[0:1]
; %bb.326:                              ;   in Loop: Header=BB188_43 Depth=1
	v_or_b32_e32 v3, 0x10000, v2
	v_cmp_eq_u32_sdwa s[0:1], v2, v25 src0_sel:WORD_0 src1_sel:DWORD
	s_nop 1
	v_cndmask_b32_e64 v115, v3, v2, s[0:1]
; %bb.327:                              ;   in Loop: Header=BB188_43 Depth=1
	s_or_b64 exec, exec, s[10:11]
	v_lshlrev_b32_e32 v2, 16, v11
	v_mul_f32_e32 v2, v68, v2
	v_and_b32_e32 v3, 0x7f800000, v2
	v_cmp_ne_u32_e64 s[0:1], s14, v3
                                        ; implicit-def: $vgpr116
	s_and_saveexec_b64 s[10:11], s[0:1]
	s_xor_b64 s[0:1], exec, s[10:11]
; %bb.328:                              ;   in Loop: Header=BB188_43 Depth=1
	v_bfe_u32 v3, v2, 16, 1
	v_add3_u32 v116, v2, v3, s15
                                        ; implicit-def: $vgpr2
; %bb.329:                              ;   in Loop: Header=BB188_43 Depth=1
	s_andn2_saveexec_b64 s[10:11], s[0:1]
; %bb.330:                              ;   in Loop: Header=BB188_43 Depth=1
	v_or_b32_e32 v3, 0x10000, v2
	v_cmp_eq_u32_sdwa s[0:1], v2, v25 src0_sel:WORD_0 src1_sel:DWORD
	s_nop 1
	v_cndmask_b32_e64 v116, v3, v2, s[0:1]
; %bb.331:                              ;   in Loop: Header=BB188_43 Depth=1
	s_or_b64 exec, exec, s[10:11]
	v_lshlrev_b32_e32 v2, 16, v4
	v_mul_f32_e32 v2, v70, v2
	v_and_b32_e32 v3, 0x7f800000, v2
	v_cmp_ne_u32_e64 s[0:1], s14, v3
                                        ; implicit-def: $vgpr117
	s_and_saveexec_b64 s[10:11], s[0:1]
	s_xor_b64 s[0:1], exec, s[10:11]
; %bb.332:                              ;   in Loop: Header=BB188_43 Depth=1
	v_bfe_u32 v3, v2, 16, 1
	v_add3_u32 v117, v2, v3, s15
                                        ; implicit-def: $vgpr2
; %bb.333:                              ;   in Loop: Header=BB188_43 Depth=1
	s_andn2_saveexec_b64 s[10:11], s[0:1]
; %bb.334:                              ;   in Loop: Header=BB188_43 Depth=1
	v_or_b32_e32 v3, 0x10000, v2
	v_cmp_eq_u32_sdwa s[0:1], v2, v25 src0_sel:WORD_0 src1_sel:DWORD
	s_nop 1
	v_cndmask_b32_e64 v117, v3, v2, s[0:1]
; %bb.335:                              ;   in Loop: Header=BB188_43 Depth=1
	s_or_b64 exec, exec, s[10:11]
	v_lshlrev_b32_e32 v1, 16, v1
	v_mul_f32_e32 v1, v71, v1
	v_and_b32_e32 v2, 0x7f800000, v1
	v_cmp_ne_u32_e64 s[0:1], s14, v2
                                        ; implicit-def: $vgpr118
	s_and_saveexec_b64 s[10:11], s[0:1]
	s_xor_b64 s[0:1], exec, s[10:11]
; %bb.336:                              ;   in Loop: Header=BB188_43 Depth=1
	v_bfe_u32 v2, v1, 16, 1
	v_add3_u32 v118, v1, v2, s15
                                        ; implicit-def: $vgpr1
; %bb.337:                              ;   in Loop: Header=BB188_43 Depth=1
	s_andn2_saveexec_b64 s[10:11], s[0:1]
; %bb.338:                              ;   in Loop: Header=BB188_43 Depth=1
	v_or_b32_e32 v2, 0x10000, v1
	v_cmp_eq_u32_sdwa s[0:1], v1, v25 src0_sel:WORD_0 src1_sel:DWORD
	s_nop 1
	v_cndmask_b32_e64 v118, v2, v1, s[0:1]
; %bb.339:                              ;   in Loop: Header=BB188_43 Depth=1
	s_or_b64 exec, exec, s[10:11]
	v_lshlrev_b32_e32 v1, 16, v5
	v_mul_f32_e32 v1, v72, v1
	v_and_b32_e32 v2, 0x7f800000, v1
	v_cmp_ne_u32_e64 s[0:1], s14, v2
                                        ; implicit-def: $vgpr119
	s_and_saveexec_b64 s[10:11], s[0:1]
	s_xor_b64 s[0:1], exec, s[10:11]
; %bb.340:                              ;   in Loop: Header=BB188_43 Depth=1
	v_bfe_u32 v2, v1, 16, 1
	v_add3_u32 v119, v1, v2, s15
                                        ; implicit-def: $vgpr1
; %bb.341:                              ;   in Loop: Header=BB188_43 Depth=1
	s_andn2_saveexec_b64 s[10:11], s[0:1]
; %bb.342:                              ;   in Loop: Header=BB188_43 Depth=1
	v_or_b32_e32 v2, 0x10000, v1
	v_cmp_eq_u32_sdwa s[0:1], v1, v25 src0_sel:WORD_0 src1_sel:DWORD
	s_nop 1
	v_cndmask_b32_e64 v119, v2, v1, s[0:1]
; %bb.343:                              ;   in Loop: Header=BB188_43 Depth=1
	s_or_b64 exec, exec, s[10:11]
	v_lshlrev_b32_e32 v0, 16, v0
	v_mul_f32_e32 v0, v73, v0
	v_and_b32_e32 v1, 0x7f800000, v0
	v_cmp_ne_u32_e64 s[0:1], s14, v1
                                        ; implicit-def: $vgpr120
	s_and_saveexec_b64 s[10:11], s[0:1]
	s_xor_b64 s[0:1], exec, s[10:11]
; %bb.344:                              ;   in Loop: Header=BB188_43 Depth=1
	v_bfe_u32 v1, v0, 16, 1
	v_add3_u32 v120, v0, v1, s15
                                        ; implicit-def: $vgpr0
; %bb.345:                              ;   in Loop: Header=BB188_43 Depth=1
	s_andn2_saveexec_b64 s[10:11], s[0:1]
; %bb.346:                              ;   in Loop: Header=BB188_43 Depth=1
	v_or_b32_e32 v1, 0x10000, v0
	v_cmp_eq_u32_sdwa s[0:1], v0, v25 src0_sel:WORD_0 src1_sel:DWORD
	s_nop 1
	v_cndmask_b32_e64 v120, v1, v0, s[0:1]
; %bb.347:                              ;   in Loop: Header=BB188_43 Depth=1
	s_or_b64 exec, exec, s[10:11]
	v_mov_b32_e32 v37, v25
	v_lshl_add_u64 v[0:1], v[6:7], 0, v[36:37]
	global_load_dwordx4 v[2:5], v[0:1], off
	s_waitcnt vmcnt(0)
	v_lshrrev_b32_e32 v39, 16, v2
	v_lshrrev_b32_e32 v11, 16, v3
	;; [unrolled: 1-line block ×4, first 2 shown]
	s_and_saveexec_b64 s[10:11], vcc
	s_cbranch_execz .LBB188_349
; %bb.348:                              ;   in Loop: Header=BB188_43 Depth=1
	v_cmp_gt_i32_e64 s[0:1], s33, v57
	s_nop 1
	v_cndmask_b32_e64 v2, 0, v2, s[0:1]
	v_cmp_gt_i32_e64 s[0:1], s33, v64
	s_nop 1
	v_cndmask_b32_e64 v39, 0, v39, s[0:1]
	v_cmp_gt_i32_e64 s[0:1], s33, v62
	s_nop 1
	v_cndmask_b32_e64 v3, 0, v3, s[0:1]
	v_cmp_gt_i32_e64 s[0:1], s33, v61
	s_nop 1
	v_cndmask_b32_e64 v11, 0, v11, s[0:1]
	v_cmp_gt_i32_e64 s[0:1], s33, v60
	s_nop 1
	v_cndmask_b32_e64 v4, 0, v4, s[0:1]
	v_cmp_gt_i32_e64 s[0:1], s33, v59
	s_nop 1
	v_cndmask_b32_e64 v1, 0, v1, s[0:1]
	v_cmp_gt_i32_e64 s[0:1], s33, v63
	s_nop 1
	v_cndmask_b32_e64 v5, 0, v5, s[0:1]
	v_cmp_gt_i32_e64 s[0:1], s33, v47
	s_nop 1
	v_cndmask_b32_e64 v0, 0, v0, s[0:1]
.LBB188_349:                            ;   in Loop: Header=BB188_43 Depth=1
	s_or_b64 exec, exec, s[10:11]
	v_lshlrev_b32_e32 v2, 16, v2
	v_mul_f32_e32 v2, v65, v2
	v_and_b32_e32 v37, 0x7f800000, v2
	v_cmp_ne_u32_e64 s[0:1], s14, v37
                                        ; implicit-def: $vgpr37
	s_and_saveexec_b64 s[10:11], s[0:1]
	s_xor_b64 s[0:1], exec, s[10:11]
; %bb.350:                              ;   in Loop: Header=BB188_43 Depth=1
	v_bfe_u32 v37, v2, 16, 1
	v_add3_u32 v37, v2, v37, s15
                                        ; implicit-def: $vgpr2
; %bb.351:                              ;   in Loop: Header=BB188_43 Depth=1
	s_andn2_saveexec_b64 s[10:11], s[0:1]
; %bb.352:                              ;   in Loop: Header=BB188_43 Depth=1
	v_or_b32_e32 v37, 0x10000, v2
	v_cmp_eq_u32_sdwa s[0:1], v2, v25 src0_sel:WORD_0 src1_sel:DWORD
	s_nop 1
	v_cndmask_b32_e64 v37, v37, v2, s[0:1]
; %bb.353:                              ;   in Loop: Header=BB188_43 Depth=1
	s_or_b64 exec, exec, s[10:11]
	v_lshlrev_b32_e32 v2, 16, v39
	v_mul_f32_e32 v2, v66, v2
	v_and_b32_e32 v39, 0x7f800000, v2
	v_cmp_ne_u32_e64 s[0:1], s14, v39
                                        ; implicit-def: $vgpr121
	s_and_saveexec_b64 s[10:11], s[0:1]
	s_xor_b64 s[0:1], exec, s[10:11]
; %bb.354:                              ;   in Loop: Header=BB188_43 Depth=1
	v_bfe_u32 v39, v2, 16, 1
	v_add3_u32 v121, v2, v39, s15
                                        ; implicit-def: $vgpr2
; %bb.355:                              ;   in Loop: Header=BB188_43 Depth=1
	s_andn2_saveexec_b64 s[10:11], s[0:1]
; %bb.356:                              ;   in Loop: Header=BB188_43 Depth=1
	v_or_b32_e32 v39, 0x10000, v2
	v_cmp_eq_u32_sdwa s[0:1], v2, v25 src0_sel:WORD_0 src1_sel:DWORD
	s_nop 1
	v_cndmask_b32_e64 v121, v39, v2, s[0:1]
; %bb.357:                              ;   in Loop: Header=BB188_43 Depth=1
	s_or_b64 exec, exec, s[10:11]
	v_lshlrev_b32_e32 v2, 16, v3
	v_mul_f32_e32 v2, v67, v2
	v_and_b32_e32 v3, 0x7f800000, v2
	v_cmp_ne_u32_e64 s[0:1], s14, v3
                                        ; implicit-def: $vgpr122
	s_and_saveexec_b64 s[10:11], s[0:1]
	s_xor_b64 s[0:1], exec, s[10:11]
; %bb.358:                              ;   in Loop: Header=BB188_43 Depth=1
	v_bfe_u32 v3, v2, 16, 1
	v_add3_u32 v122, v2, v3, s15
                                        ; implicit-def: $vgpr2
; %bb.359:                              ;   in Loop: Header=BB188_43 Depth=1
	s_andn2_saveexec_b64 s[10:11], s[0:1]
; %bb.360:                              ;   in Loop: Header=BB188_43 Depth=1
	v_or_b32_e32 v3, 0x10000, v2
	v_cmp_eq_u32_sdwa s[0:1], v2, v25 src0_sel:WORD_0 src1_sel:DWORD
	s_nop 1
	v_cndmask_b32_e64 v122, v3, v2, s[0:1]
; %bb.361:                              ;   in Loop: Header=BB188_43 Depth=1
	s_or_b64 exec, exec, s[10:11]
	v_lshlrev_b32_e32 v2, 16, v11
	v_mul_f32_e32 v2, v68, v2
	v_and_b32_e32 v3, 0x7f800000, v2
	v_cmp_ne_u32_e64 s[0:1], s14, v3
                                        ; implicit-def: $vgpr123
	s_and_saveexec_b64 s[10:11], s[0:1]
	s_xor_b64 s[0:1], exec, s[10:11]
; %bb.362:                              ;   in Loop: Header=BB188_43 Depth=1
	v_bfe_u32 v3, v2, 16, 1
	v_add3_u32 v123, v2, v3, s15
                                        ; implicit-def: $vgpr2
; %bb.363:                              ;   in Loop: Header=BB188_43 Depth=1
	s_andn2_saveexec_b64 s[10:11], s[0:1]
; %bb.364:                              ;   in Loop: Header=BB188_43 Depth=1
	v_or_b32_e32 v3, 0x10000, v2
	v_cmp_eq_u32_sdwa s[0:1], v2, v25 src0_sel:WORD_0 src1_sel:DWORD
	s_nop 1
	v_cndmask_b32_e64 v123, v3, v2, s[0:1]
; %bb.365:                              ;   in Loop: Header=BB188_43 Depth=1
	s_or_b64 exec, exec, s[10:11]
	v_lshlrev_b32_e32 v2, 16, v4
	v_mul_f32_e32 v2, v70, v2
	v_and_b32_e32 v3, 0x7f800000, v2
	v_cmp_ne_u32_e64 s[0:1], s14, v3
                                        ; implicit-def: $vgpr124
	s_and_saveexec_b64 s[10:11], s[0:1]
	s_xor_b64 s[0:1], exec, s[10:11]
; %bb.366:                              ;   in Loop: Header=BB188_43 Depth=1
	v_bfe_u32 v3, v2, 16, 1
	v_add3_u32 v124, v2, v3, s15
                                        ; implicit-def: $vgpr2
; %bb.367:                              ;   in Loop: Header=BB188_43 Depth=1
	s_andn2_saveexec_b64 s[10:11], s[0:1]
; %bb.368:                              ;   in Loop: Header=BB188_43 Depth=1
	v_or_b32_e32 v3, 0x10000, v2
	v_cmp_eq_u32_sdwa s[0:1], v2, v25 src0_sel:WORD_0 src1_sel:DWORD
	s_nop 1
	v_cndmask_b32_e64 v124, v3, v2, s[0:1]
; %bb.369:                              ;   in Loop: Header=BB188_43 Depth=1
	s_or_b64 exec, exec, s[10:11]
	v_lshlrev_b32_e32 v1, 16, v1
	v_mul_f32_e32 v1, v71, v1
	v_and_b32_e32 v2, 0x7f800000, v1
	v_cmp_ne_u32_e64 s[0:1], s14, v2
                                        ; implicit-def: $vgpr125
	s_and_saveexec_b64 s[10:11], s[0:1]
	s_xor_b64 s[0:1], exec, s[10:11]
; %bb.370:                              ;   in Loop: Header=BB188_43 Depth=1
	v_bfe_u32 v2, v1, 16, 1
	v_add3_u32 v125, v1, v2, s15
                                        ; implicit-def: $vgpr1
; %bb.371:                              ;   in Loop: Header=BB188_43 Depth=1
	s_andn2_saveexec_b64 s[10:11], s[0:1]
; %bb.372:                              ;   in Loop: Header=BB188_43 Depth=1
	v_or_b32_e32 v2, 0x10000, v1
	v_cmp_eq_u32_sdwa s[0:1], v1, v25 src0_sel:WORD_0 src1_sel:DWORD
	s_nop 1
	v_cndmask_b32_e64 v125, v2, v1, s[0:1]
; %bb.373:                              ;   in Loop: Header=BB188_43 Depth=1
	s_or_b64 exec, exec, s[10:11]
	v_lshlrev_b32_e32 v1, 16, v5
	v_mul_f32_e32 v1, v72, v1
	v_and_b32_e32 v2, 0x7f800000, v1
	v_cmp_ne_u32_e64 s[0:1], s14, v2
                                        ; implicit-def: $vgpr126
	s_and_saveexec_b64 s[10:11], s[0:1]
	s_xor_b64 s[0:1], exec, s[10:11]
; %bb.374:                              ;   in Loop: Header=BB188_43 Depth=1
	v_bfe_u32 v2, v1, 16, 1
	v_add3_u32 v126, v1, v2, s15
                                        ; implicit-def: $vgpr1
; %bb.375:                              ;   in Loop: Header=BB188_43 Depth=1
	s_andn2_saveexec_b64 s[10:11], s[0:1]
; %bb.376:                              ;   in Loop: Header=BB188_43 Depth=1
	v_or_b32_e32 v2, 0x10000, v1
	v_cmp_eq_u32_sdwa s[0:1], v1, v25 src0_sel:WORD_0 src1_sel:DWORD
	s_nop 1
	v_cndmask_b32_e64 v126, v2, v1, s[0:1]
; %bb.377:                              ;   in Loop: Header=BB188_43 Depth=1
	s_or_b64 exec, exec, s[10:11]
	v_lshlrev_b32_e32 v0, 16, v0
	v_mul_f32_e32 v0, v73, v0
	v_and_b32_e32 v1, 0x7f800000, v0
	v_cmp_ne_u32_e64 s[0:1], s14, v1
                                        ; implicit-def: $vgpr127
	s_and_saveexec_b64 s[10:11], s[0:1]
	s_xor_b64 s[0:1], exec, s[10:11]
; %bb.378:                              ;   in Loop: Header=BB188_43 Depth=1
	v_bfe_u32 v1, v0, 16, 1
	v_add3_u32 v127, v0, v1, s15
                                        ; implicit-def: $vgpr0
; %bb.379:                              ;   in Loop: Header=BB188_43 Depth=1
	s_andn2_saveexec_b64 s[10:11], s[0:1]
; %bb.380:                              ;   in Loop: Header=BB188_43 Depth=1
	v_or_b32_e32 v1, 0x10000, v0
	v_cmp_eq_u32_sdwa s[0:1], v0, v25 src0_sel:WORD_0 src1_sel:DWORD
	s_nop 1
	v_cndmask_b32_e64 v127, v1, v0, s[0:1]
; %bb.381:                              ;   in Loop: Header=BB188_43 Depth=1
	s_or_b64 exec, exec, s[10:11]
	v_mov_b32_e32 v39, v25
	v_lshl_add_u64 v[0:1], v[6:7], 0, v[38:39]
	global_load_dwordx4 v[2:5], v[0:1], off
	s_waitcnt vmcnt(0)
	v_lshrrev_b32_e32 v39, 16, v2
	v_lshrrev_b32_e32 v1, 16, v3
	;; [unrolled: 1-line block ×4, first 2 shown]
	s_and_saveexec_b64 s[10:11], vcc
	s_cbranch_execz .LBB188_383
; %bb.382:                              ;   in Loop: Header=BB188_43 Depth=1
	v_cmp_gt_i32_e64 s[0:1], s33, v57
	s_nop 1
	v_cndmask_b32_e64 v2, 0, v2, s[0:1]
	v_cmp_gt_i32_e64 s[0:1], s33, v64
	s_nop 1
	v_cndmask_b32_e64 v39, 0, v39, s[0:1]
	;; [unrolled: 3-line block ×8, first 2 shown]
.LBB188_383:                            ;   in Loop: Header=BB188_43 Depth=1
	s_or_b64 exec, exec, s[10:11]
	v_lshlrev_b32_e32 v0, 16, v2
	v_mul_f32_e32 v2, v65, v0
	v_and_b32_e32 v0, 0x7f800000, v2
	v_cmp_ne_u32_e64 s[0:1], s14, v0
                                        ; implicit-def: $vgpr0
	s_and_saveexec_b64 s[10:11], s[0:1]
	s_xor_b64 s[0:1], exec, s[10:11]
; %bb.384:                              ;   in Loop: Header=BB188_43 Depth=1
	v_bfe_u32 v0, v2, 16, 1
	v_add3_u32 v0, v2, v0, s15
                                        ; implicit-def: $vgpr2
; %bb.385:                              ;   in Loop: Header=BB188_43 Depth=1
	s_andn2_saveexec_b64 s[10:11], s[0:1]
; %bb.386:                              ;   in Loop: Header=BB188_43 Depth=1
	v_or_b32_e32 v0, 0x10000, v2
	v_cmp_eq_u32_sdwa s[0:1], v2, v25 src0_sel:WORD_0 src1_sel:DWORD
	s_nop 1
	v_cndmask_b32_e64 v0, v0, v2, s[0:1]
; %bb.387:                              ;   in Loop: Header=BB188_43 Depth=1
	s_or_b64 exec, exec, s[10:11]
	v_lshlrev_b32_e32 v2, 16, v39
	v_mul_f32_e32 v2, v66, v2
	v_and_b32_e32 v39, 0x7f800000, v2
	v_cmp_ne_u32_e64 s[0:1], s14, v39
                                        ; implicit-def: $vgpr39
	s_and_saveexec_b64 s[10:11], s[0:1]
	s_xor_b64 s[0:1], exec, s[10:11]
; %bb.388:                              ;   in Loop: Header=BB188_43 Depth=1
	v_bfe_u32 v39, v2, 16, 1
	v_add3_u32 v39, v2, v39, s15
                                        ; implicit-def: $vgpr2
; %bb.389:                              ;   in Loop: Header=BB188_43 Depth=1
	s_andn2_saveexec_b64 s[10:11], s[0:1]
; %bb.390:                              ;   in Loop: Header=BB188_43 Depth=1
	v_or_b32_e32 v39, 0x10000, v2
	v_cmp_eq_u32_sdwa s[0:1], v2, v25 src0_sel:WORD_0 src1_sel:DWORD
	s_nop 1
	v_cndmask_b32_e64 v39, v39, v2, s[0:1]
; %bb.391:                              ;   in Loop: Header=BB188_43 Depth=1
	s_or_b64 exec, exec, s[10:11]
	v_lshlrev_b32_e32 v2, 16, v3
	v_mul_f32_e32 v2, v67, v2
	v_and_b32_e32 v3, 0x7f800000, v2
	v_cmp_ne_u32_e64 s[0:1], s14, v3
                                        ; implicit-def: $vgpr44
	s_and_saveexec_b64 s[10:11], s[0:1]
	s_xor_b64 s[0:1], exec, s[10:11]
; %bb.392:                              ;   in Loop: Header=BB188_43 Depth=1
	v_bfe_u32 v3, v2, 16, 1
	v_add3_u32 v44, v2, v3, s15
                                        ; implicit-def: $vgpr2
; %bb.393:                              ;   in Loop: Header=BB188_43 Depth=1
	s_andn2_saveexec_b64 s[10:11], s[0:1]
; %bb.394:                              ;   in Loop: Header=BB188_43 Depth=1
	v_or_b32_e32 v3, 0x10000, v2
	v_cmp_eq_u32_sdwa s[0:1], v2, v25 src0_sel:WORD_0 src1_sel:DWORD
	s_nop 1
	v_cndmask_b32_e64 v44, v3, v2, s[0:1]
; %bb.395:                              ;   in Loop: Header=BB188_43 Depth=1
	s_or_b64 exec, exec, s[10:11]
	v_lshlrev_b32_e32 v1, 16, v1
	v_mul_f32_e32 v2, v68, v1
	v_and_b32_e32 v1, 0x7f800000, v2
	v_cmp_ne_u32_e64 s[0:1], s14, v1
                                        ; implicit-def: $vgpr1
	s_and_saveexec_b64 s[10:11], s[0:1]
	s_xor_b64 s[0:1], exec, s[10:11]
; %bb.396:                              ;   in Loop: Header=BB188_43 Depth=1
	v_bfe_u32 v1, v2, 16, 1
	v_add3_u32 v1, v2, v1, s15
                                        ; implicit-def: $vgpr2
; %bb.397:                              ;   in Loop: Header=BB188_43 Depth=1
	s_andn2_saveexec_b64 s[10:11], s[0:1]
; %bb.398:                              ;   in Loop: Header=BB188_43 Depth=1
	v_or_b32_e32 v1, 0x10000, v2
	v_cmp_eq_u32_sdwa s[0:1], v2, v25 src0_sel:WORD_0 src1_sel:DWORD
	s_nop 1
	v_cndmask_b32_e64 v1, v1, v2, s[0:1]
; %bb.399:                              ;   in Loop: Header=BB188_43 Depth=1
	s_or_b64 exec, exec, s[10:11]
	v_lshlrev_b32_e32 v2, 16, v4
	v_mul_f32_e32 v2, v70, v2
	v_and_b32_e32 v3, 0x7f800000, v2
	v_cmp_ne_u32_e64 s[0:1], s14, v3
                                        ; implicit-def: $vgpr45
	s_and_saveexec_b64 s[10:11], s[0:1]
	s_xor_b64 s[0:1], exec, s[10:11]
; %bb.400:                              ;   in Loop: Header=BB188_43 Depth=1
	v_bfe_u32 v3, v2, 16, 1
	v_add3_u32 v45, v2, v3, s15
                                        ; implicit-def: $vgpr2
; %bb.401:                              ;   in Loop: Header=BB188_43 Depth=1
	s_andn2_saveexec_b64 s[10:11], s[0:1]
; %bb.402:                              ;   in Loop: Header=BB188_43 Depth=1
	v_or_b32_e32 v3, 0x10000, v2
	v_cmp_eq_u32_sdwa s[0:1], v2, v25 src0_sel:WORD_0 src1_sel:DWORD
	s_nop 1
	v_cndmask_b32_e64 v45, v3, v2, s[0:1]
; %bb.403:                              ;   in Loop: Header=BB188_43 Depth=1
	s_or_b64 exec, exec, s[10:11]
	v_lshlrev_b32_e32 v2, 16, v11
	v_mul_f32_e32 v2, v71, v2
	v_and_b32_e32 v3, 0x7f800000, v2
	v_cmp_ne_u32_e64 s[0:1], s14, v3
                                        ; implicit-def: $vgpr46
	s_and_saveexec_b64 s[10:11], s[0:1]
	s_xor_b64 s[0:1], exec, s[10:11]
; %bb.404:                              ;   in Loop: Header=BB188_43 Depth=1
	v_bfe_u32 v3, v2, 16, 1
	v_add3_u32 v46, v2, v3, s15
                                        ; implicit-def: $vgpr2
; %bb.405:                              ;   in Loop: Header=BB188_43 Depth=1
	s_andn2_saveexec_b64 s[10:11], s[0:1]
; %bb.406:                              ;   in Loop: Header=BB188_43 Depth=1
	v_or_b32_e32 v3, 0x10000, v2
	v_cmp_eq_u32_sdwa s[0:1], v2, v25 src0_sel:WORD_0 src1_sel:DWORD
	s_nop 1
	v_cndmask_b32_e64 v46, v3, v2, s[0:1]
; %bb.407:                              ;   in Loop: Header=BB188_43 Depth=1
	s_or_b64 exec, exec, s[10:11]
	v_lshlrev_b32_e32 v2, 16, v5
	v_mul_f32_e32 v2, v72, v2
	v_and_b32_e32 v3, 0x7f800000, v2
	v_cmp_ne_u32_e64 s[0:1], s14, v3
                                        ; implicit-def: $vgpr11
	s_and_saveexec_b64 s[10:11], s[0:1]
	s_xor_b64 s[0:1], exec, s[10:11]
; %bb.408:                              ;   in Loop: Header=BB188_43 Depth=1
	v_bfe_u32 v3, v2, 16, 1
	v_add3_u32 v11, v2, v3, s15
                                        ; implicit-def: $vgpr2
; %bb.409:                              ;   in Loop: Header=BB188_43 Depth=1
	s_andn2_saveexec_b64 s[10:11], s[0:1]
; %bb.410:                              ;   in Loop: Header=BB188_43 Depth=1
	v_or_b32_e32 v3, 0x10000, v2
	v_cmp_eq_u32_sdwa s[0:1], v2, v25 src0_sel:WORD_0 src1_sel:DWORD
	s_nop 1
	v_cndmask_b32_e64 v11, v3, v2, s[0:1]
; %bb.411:                              ;   in Loop: Header=BB188_43 Depth=1
	s_or_b64 exec, exec, s[10:11]
	v_lshlrev_b32_e32 v2, 16, v41
	v_mul_f32_e32 v2, v73, v2
	v_and_b32_e32 v3, 0x7f800000, v2
	v_cmp_ne_u32_e64 s[0:1], s14, v3
                                        ; implicit-def: $vgpr49
	s_and_saveexec_b64 s[10:11], s[0:1]
	s_xor_b64 s[0:1], exec, s[10:11]
; %bb.412:                              ;   in Loop: Header=BB188_43 Depth=1
	v_bfe_u32 v3, v2, 16, 1
	v_add3_u32 v49, v2, v3, s15
                                        ; implicit-def: $vgpr2
; %bb.413:                              ;   in Loop: Header=BB188_43 Depth=1
	s_andn2_saveexec_b64 s[10:11], s[0:1]
; %bb.414:                              ;   in Loop: Header=BB188_43 Depth=1
	v_or_b32_e32 v3, 0x10000, v2
	v_cmp_eq_u32_sdwa s[0:1], v2, v25 src0_sel:WORD_0 src1_sel:DWORD
	s_nop 1
	v_cndmask_b32_e64 v49, v3, v2, s[0:1]
; %bb.415:                              ;   in Loop: Header=BB188_43 Depth=1
	s_or_b64 exec, exec, s[10:11]
	v_mov_b32_e32 v41, v25
	v_lshl_add_u64 v[2:3], v[6:7], 0, v[40:41]
	global_load_dwordx4 v[2:5], v[2:3], off
	s_waitcnt vmcnt(0)
	v_lshrrev_b32_e32 v50, 16, v2
	v_lshrrev_b32_e32 v52, 16, v3
	v_lshrrev_b32_e32 v54, 16, v4
	v_lshrrev_b32_e32 v43, 16, v5
	s_and_saveexec_b64 s[10:11], vcc
	s_cbranch_execz .LBB188_417
; %bb.416:                              ;   in Loop: Header=BB188_43 Depth=1
	v_cmp_gt_i32_e64 s[0:1], s33, v57
	s_nop 1
	v_cndmask_b32_e64 v2, 0, v2, s[0:1]
	v_cmp_gt_i32_e64 s[0:1], s33, v64
	s_nop 1
	v_cndmask_b32_e64 v50, 0, v50, s[0:1]
	;; [unrolled: 3-line block ×8, first 2 shown]
.LBB188_417:                            ;   in Loop: Header=BB188_43 Depth=1
	s_or_b64 exec, exec, s[10:11]
	v_lshlrev_b32_e32 v2, 16, v2
	v_mul_f32_e32 v2, v65, v2
	v_and_b32_e32 v41, 0x7f800000, v2
	v_cmp_ne_u32_e64 s[0:1], s14, v41
                                        ; implicit-def: $vgpr41
	s_and_saveexec_b64 s[10:11], s[0:1]
	s_xor_b64 s[0:1], exec, s[10:11]
; %bb.418:                              ;   in Loop: Header=BB188_43 Depth=1
	v_bfe_u32 v41, v2, 16, 1
	v_add3_u32 v41, v2, v41, s15
                                        ; implicit-def: $vgpr2
; %bb.419:                              ;   in Loop: Header=BB188_43 Depth=1
	s_andn2_saveexec_b64 s[10:11], s[0:1]
; %bb.420:                              ;   in Loop: Header=BB188_43 Depth=1
	v_or_b32_e32 v41, 0x10000, v2
	v_cmp_eq_u32_sdwa s[0:1], v2, v25 src0_sel:WORD_0 src1_sel:DWORD
	s_nop 1
	v_cndmask_b32_e64 v41, v41, v2, s[0:1]
; %bb.421:                              ;   in Loop: Header=BB188_43 Depth=1
	s_or_b64 exec, exec, s[10:11]
	v_lshlrev_b32_e32 v2, 16, v50
	v_mul_f32_e32 v2, v66, v2
	v_and_b32_e32 v50, 0x7f800000, v2
	v_cmp_ne_u32_e64 s[0:1], s14, v50
                                        ; implicit-def: $vgpr50
	s_and_saveexec_b64 s[10:11], s[0:1]
	s_xor_b64 s[0:1], exec, s[10:11]
; %bb.422:                              ;   in Loop: Header=BB188_43 Depth=1
	v_bfe_u32 v50, v2, 16, 1
	v_add3_u32 v50, v2, v50, s15
                                        ; implicit-def: $vgpr2
; %bb.423:                              ;   in Loop: Header=BB188_43 Depth=1
	s_andn2_saveexec_b64 s[10:11], s[0:1]
; %bb.424:                              ;   in Loop: Header=BB188_43 Depth=1
	v_or_b32_e32 v50, 0x10000, v2
	v_cmp_eq_u32_sdwa s[0:1], v2, v25 src0_sel:WORD_0 src1_sel:DWORD
	s_nop 1
	v_cndmask_b32_e64 v50, v50, v2, s[0:1]
; %bb.425:                              ;   in Loop: Header=BB188_43 Depth=1
	s_or_b64 exec, exec, s[10:11]
	v_lshlrev_b32_e32 v2, 16, v3
	v_mul_f32_e32 v2, v67, v2
	v_and_b32_e32 v3, 0x7f800000, v2
	v_cmp_ne_u32_e64 s[0:1], s14, v3
                                        ; implicit-def: $vgpr51
	s_and_saveexec_b64 s[10:11], s[0:1]
	s_xor_b64 s[0:1], exec, s[10:11]
; %bb.426:                              ;   in Loop: Header=BB188_43 Depth=1
	v_bfe_u32 v3, v2, 16, 1
	v_add3_u32 v51, v2, v3, s15
                                        ; implicit-def: $vgpr2
; %bb.427:                              ;   in Loop: Header=BB188_43 Depth=1
	s_andn2_saveexec_b64 s[10:11], s[0:1]
; %bb.428:                              ;   in Loop: Header=BB188_43 Depth=1
	v_or_b32_e32 v3, 0x10000, v2
	v_cmp_eq_u32_sdwa s[0:1], v2, v25 src0_sel:WORD_0 src1_sel:DWORD
	s_nop 1
	v_cndmask_b32_e64 v51, v3, v2, s[0:1]
; %bb.429:                              ;   in Loop: Header=BB188_43 Depth=1
	s_or_b64 exec, exec, s[10:11]
	v_lshlrev_b32_e32 v2, 16, v52
	v_mul_f32_e32 v2, v68, v2
	v_and_b32_e32 v3, 0x7f800000, v2
	v_cmp_ne_u32_e64 s[0:1], s14, v3
                                        ; implicit-def: $vgpr52
	s_and_saveexec_b64 s[10:11], s[0:1]
	s_xor_b64 s[0:1], exec, s[10:11]
; %bb.430:                              ;   in Loop: Header=BB188_43 Depth=1
	v_bfe_u32 v3, v2, 16, 1
	v_add3_u32 v52, v2, v3, s15
                                        ; implicit-def: $vgpr2
; %bb.431:                              ;   in Loop: Header=BB188_43 Depth=1
	s_andn2_saveexec_b64 s[10:11], s[0:1]
; %bb.432:                              ;   in Loop: Header=BB188_43 Depth=1
	v_or_b32_e32 v3, 0x10000, v2
	v_cmp_eq_u32_sdwa s[0:1], v2, v25 src0_sel:WORD_0 src1_sel:DWORD
	s_nop 1
	v_cndmask_b32_e64 v52, v3, v2, s[0:1]
; %bb.433:                              ;   in Loop: Header=BB188_43 Depth=1
	s_or_b64 exec, exec, s[10:11]
	v_lshlrev_b32_e32 v2, 16, v4
	v_mul_f32_e32 v2, v70, v2
	v_and_b32_e32 v3, 0x7f800000, v2
	v_cmp_ne_u32_e64 s[0:1], s14, v3
                                        ; implicit-def: $vgpr53
	s_and_saveexec_b64 s[10:11], s[0:1]
	s_xor_b64 s[0:1], exec, s[10:11]
; %bb.434:                              ;   in Loop: Header=BB188_43 Depth=1
	v_bfe_u32 v3, v2, 16, 1
	v_add3_u32 v53, v2, v3, s15
                                        ; implicit-def: $vgpr2
; %bb.435:                              ;   in Loop: Header=BB188_43 Depth=1
	s_andn2_saveexec_b64 s[10:11], s[0:1]
; %bb.436:                              ;   in Loop: Header=BB188_43 Depth=1
	v_or_b32_e32 v3, 0x10000, v2
	v_cmp_eq_u32_sdwa s[0:1], v2, v25 src0_sel:WORD_0 src1_sel:DWORD
	s_nop 1
	v_cndmask_b32_e64 v53, v3, v2, s[0:1]
; %bb.437:                              ;   in Loop: Header=BB188_43 Depth=1
	s_or_b64 exec, exec, s[10:11]
	v_lshlrev_b32_e32 v2, 16, v54
	v_mul_f32_e32 v2, v71, v2
	v_and_b32_e32 v3, 0x7f800000, v2
	v_cmp_ne_u32_e64 s[0:1], s14, v3
                                        ; implicit-def: $vgpr54
	s_and_saveexec_b64 s[10:11], s[0:1]
	s_xor_b64 s[0:1], exec, s[10:11]
; %bb.438:                              ;   in Loop: Header=BB188_43 Depth=1
	v_bfe_u32 v3, v2, 16, 1
	v_add3_u32 v54, v2, v3, s15
                                        ; implicit-def: $vgpr2
; %bb.439:                              ;   in Loop: Header=BB188_43 Depth=1
	s_andn2_saveexec_b64 s[10:11], s[0:1]
; %bb.440:                              ;   in Loop: Header=BB188_43 Depth=1
	v_or_b32_e32 v3, 0x10000, v2
	v_cmp_eq_u32_sdwa s[0:1], v2, v25 src0_sel:WORD_0 src1_sel:DWORD
	s_nop 1
	v_cndmask_b32_e64 v54, v3, v2, s[0:1]
; %bb.441:                              ;   in Loop: Header=BB188_43 Depth=1
	s_or_b64 exec, exec, s[10:11]
	v_lshlrev_b32_e32 v2, 16, v5
	v_mul_f32_e32 v2, v72, v2
	v_and_b32_e32 v3, 0x7f800000, v2
	v_cmp_ne_u32_e64 s[0:1], s14, v3
                                        ; implicit-def: $vgpr55
	s_and_saveexec_b64 s[10:11], s[0:1]
	s_xor_b64 s[0:1], exec, s[10:11]
; %bb.442:                              ;   in Loop: Header=BB188_43 Depth=1
	v_bfe_u32 v3, v2, 16, 1
	v_add3_u32 v55, v2, v3, s15
                                        ; implicit-def: $vgpr2
; %bb.443:                              ;   in Loop: Header=BB188_43 Depth=1
	s_andn2_saveexec_b64 s[10:11], s[0:1]
; %bb.444:                              ;   in Loop: Header=BB188_43 Depth=1
	v_or_b32_e32 v3, 0x10000, v2
	v_cmp_eq_u32_sdwa s[0:1], v2, v25 src0_sel:WORD_0 src1_sel:DWORD
	s_nop 1
	v_cndmask_b32_e64 v55, v3, v2, s[0:1]
; %bb.445:                              ;   in Loop: Header=BB188_43 Depth=1
	s_or_b64 exec, exec, s[10:11]
	v_lshlrev_b32_e32 v2, 16, v43
	v_mul_f32_e32 v2, v73, v2
	v_and_b32_e32 v3, 0x7f800000, v2
	v_cmp_ne_u32_e64 s[0:1], s14, v3
                                        ; implicit-def: $vgpr56
	s_and_saveexec_b64 s[10:11], s[0:1]
	s_xor_b64 s[0:1], exec, s[10:11]
; %bb.446:                              ;   in Loop: Header=BB188_43 Depth=1
	v_bfe_u32 v3, v2, 16, 1
	v_add3_u32 v56, v2, v3, s15
                                        ; implicit-def: $vgpr2
; %bb.447:                              ;   in Loop: Header=BB188_43 Depth=1
	s_andn2_saveexec_b64 s[10:11], s[0:1]
; %bb.448:                              ;   in Loop: Header=BB188_43 Depth=1
	v_or_b32_e32 v3, 0x10000, v2
	v_cmp_eq_u32_sdwa s[0:1], v2, v25 src0_sel:WORD_0 src1_sel:DWORD
	s_nop 1
	v_cndmask_b32_e64 v56, v3, v2, s[0:1]
; %bb.449:                              ;   in Loop: Header=BB188_43 Depth=1
	s_or_b64 exec, exec, s[10:11]
	v_mov_b32_e32 v43, v25
	v_lshl_add_u64 v[2:3], v[6:7], 0, v[42:43]
	global_load_dwordx4 v[2:5], v[2:3], off
	s_waitcnt vmcnt(0)
	v_lshrrev_b32_e32 v6, 16, v2
	v_lshrrev_b32_e32 v7, 16, v3
	;; [unrolled: 1-line block ×4, first 2 shown]
	s_and_saveexec_b64 s[0:1], vcc
	s_cbranch_execz .LBB188_451
; %bb.450:                              ;   in Loop: Header=BB188_43 Depth=1
	v_cmp_gt_i32_e32 vcc, s33, v57
	s_nop 1
	v_cndmask_b32_e32 v2, 0, v2, vcc
	v_cmp_gt_i32_e32 vcc, s33, v64
	s_nop 1
	v_cndmask_b32_e32 v6, 0, v6, vcc
	;; [unrolled: 3-line block ×8, first 2 shown]
.LBB188_451:                            ;   in Loop: Header=BB188_43 Depth=1
	s_or_b64 exec, exec, s[0:1]
	v_lshlrev_b32_e32 v2, 16, v2
	v_mul_f32_e32 v57, v65, v2
	v_and_b32_e32 v2, 0x7f800000, v57
	v_cmp_ne_u32_e32 vcc, s14, v2
                                        ; implicit-def: $vgpr2
	s_and_saveexec_b64 s[0:1], vcc
	s_xor_b64 s[0:1], exec, s[0:1]
; %bb.452:                              ;   in Loop: Header=BB188_43 Depth=1
	v_bfe_u32 v2, v57, 16, 1
	v_add3_u32 v2, v57, v2, s15
                                        ; implicit-def: $vgpr57
; %bb.453:                              ;   in Loop: Header=BB188_43 Depth=1
	s_andn2_saveexec_b64 s[0:1], s[0:1]
; %bb.454:                              ;   in Loop: Header=BB188_43 Depth=1
	v_or_b32_e32 v2, 0x10000, v57
	v_cmp_eq_u32_sdwa vcc, v57, v25 src0_sel:WORD_0 src1_sel:DWORD
	s_nop 1
	v_cndmask_b32_e32 v2, v2, v57, vcc
; %bb.455:                              ;   in Loop: Header=BB188_43 Depth=1
	s_or_b64 exec, exec, s[0:1]
	v_lshlrev_b32_e32 v6, 16, v6
	v_mul_f32_e32 v57, v66, v6
	v_and_b32_e32 v6, 0x7f800000, v57
	v_cmp_ne_u32_e32 vcc, s14, v6
                                        ; implicit-def: $vgpr6
	s_and_saveexec_b64 s[0:1], vcc
	s_xor_b64 s[0:1], exec, s[0:1]
; %bb.456:                              ;   in Loop: Header=BB188_43 Depth=1
	v_bfe_u32 v6, v57, 16, 1
	v_add3_u32 v6, v57, v6, s15
                                        ; implicit-def: $vgpr57
; %bb.457:                              ;   in Loop: Header=BB188_43 Depth=1
	s_andn2_saveexec_b64 s[0:1], s[0:1]
; %bb.458:                              ;   in Loop: Header=BB188_43 Depth=1
	v_or_b32_e32 v6, 0x10000, v57
	v_cmp_eq_u32_sdwa vcc, v57, v25 src0_sel:WORD_0 src1_sel:DWORD
	s_nop 1
	v_cndmask_b32_e32 v6, v6, v57, vcc
; %bb.459:                              ;   in Loop: Header=BB188_43 Depth=1
	s_or_b64 exec, exec, s[0:1]
	v_lshlrev_b32_e32 v3, 16, v3
	v_mul_f32_e32 v57, v67, v3
	v_and_b32_e32 v3, 0x7f800000, v57
	v_cmp_ne_u32_e32 vcc, s14, v3
                                        ; implicit-def: $vgpr3
	s_and_saveexec_b64 s[0:1], vcc
	s_xor_b64 s[0:1], exec, s[0:1]
; %bb.460:                              ;   in Loop: Header=BB188_43 Depth=1
	v_bfe_u32 v3, v57, 16, 1
	v_add3_u32 v3, v57, v3, s15
                                        ; implicit-def: $vgpr57
; %bb.461:                              ;   in Loop: Header=BB188_43 Depth=1
	s_andn2_saveexec_b64 s[0:1], s[0:1]
; %bb.462:                              ;   in Loop: Header=BB188_43 Depth=1
	v_or_b32_e32 v3, 0x10000, v57
	v_cmp_eq_u32_sdwa vcc, v57, v25 src0_sel:WORD_0 src1_sel:DWORD
	s_nop 1
	v_cndmask_b32_e32 v3, v3, v57, vcc
; %bb.463:                              ;   in Loop: Header=BB188_43 Depth=1
	s_or_b64 exec, exec, s[0:1]
	v_lshlrev_b32_e32 v7, 16, v7
	v_mul_f32_e32 v57, v68, v7
	v_and_b32_e32 v7, 0x7f800000, v57
	v_cmp_ne_u32_e32 vcc, s14, v7
                                        ; implicit-def: $vgpr7
	s_and_saveexec_b64 s[0:1], vcc
	s_xor_b64 s[0:1], exec, s[0:1]
; %bb.464:                              ;   in Loop: Header=BB188_43 Depth=1
	v_bfe_u32 v7, v57, 16, 1
	v_add3_u32 v7, v57, v7, s15
                                        ; implicit-def: $vgpr57
; %bb.465:                              ;   in Loop: Header=BB188_43 Depth=1
	s_andn2_saveexec_b64 s[0:1], s[0:1]
; %bb.466:                              ;   in Loop: Header=BB188_43 Depth=1
	v_or_b32_e32 v7, 0x10000, v57
	v_cmp_eq_u32_sdwa vcc, v57, v25 src0_sel:WORD_0 src1_sel:DWORD
	s_nop 1
	v_cndmask_b32_e32 v7, v7, v57, vcc
; %bb.467:                              ;   in Loop: Header=BB188_43 Depth=1
	s_or_b64 exec, exec, s[0:1]
	v_lshlrev_b32_e32 v4, 16, v4
	v_mul_f32_e32 v57, v70, v4
	v_and_b32_e32 v4, 0x7f800000, v57
	v_cmp_ne_u32_e32 vcc, s14, v4
                                        ; implicit-def: $vgpr4
	s_and_saveexec_b64 s[0:1], vcc
	s_xor_b64 s[0:1], exec, s[0:1]
; %bb.468:                              ;   in Loop: Header=BB188_43 Depth=1
	v_bfe_u32 v4, v57, 16, 1
	v_add3_u32 v4, v57, v4, s15
                                        ; implicit-def: $vgpr57
; %bb.469:                              ;   in Loop: Header=BB188_43 Depth=1
	s_andn2_saveexec_b64 s[0:1], s[0:1]
; %bb.470:                              ;   in Loop: Header=BB188_43 Depth=1
	v_or_b32_e32 v4, 0x10000, v57
	v_cmp_eq_u32_sdwa vcc, v57, v25 src0_sel:WORD_0 src1_sel:DWORD
	s_nop 1
	v_cndmask_b32_e32 v4, v4, v57, vcc
; %bb.471:                              ;   in Loop: Header=BB188_43 Depth=1
	s_or_b64 exec, exec, s[0:1]
	v_lshlrev_b32_e32 v57, 16, v58
	v_mul_f32_e32 v58, v71, v57
	v_and_b32_e32 v57, 0x7f800000, v58
	v_cmp_ne_u32_e32 vcc, s14, v57
                                        ; implicit-def: $vgpr57
	s_and_saveexec_b64 s[0:1], vcc
	s_xor_b64 s[0:1], exec, s[0:1]
; %bb.472:                              ;   in Loop: Header=BB188_43 Depth=1
	v_bfe_u32 v57, v58, 16, 1
	v_add3_u32 v57, v58, v57, s15
                                        ; implicit-def: $vgpr58
; %bb.473:                              ;   in Loop: Header=BB188_43 Depth=1
	s_andn2_saveexec_b64 s[0:1], s[0:1]
; %bb.474:                              ;   in Loop: Header=BB188_43 Depth=1
	v_or_b32_e32 v57, 0x10000, v58
	v_cmp_eq_u32_sdwa vcc, v58, v25 src0_sel:WORD_0 src1_sel:DWORD
	s_nop 1
	v_cndmask_b32_e32 v57, v57, v58, vcc
; %bb.475:                              ;   in Loop: Header=BB188_43 Depth=1
	s_or_b64 exec, exec, s[0:1]
	v_lshlrev_b32_e32 v5, 16, v5
	v_mul_f32_e32 v58, v72, v5
	v_and_b32_e32 v5, 0x7f800000, v58
	v_cmp_ne_u32_e32 vcc, s14, v5
                                        ; implicit-def: $vgpr5
	s_and_saveexec_b64 s[0:1], vcc
	s_xor_b64 s[0:1], exec, s[0:1]
; %bb.476:                              ;   in Loop: Header=BB188_43 Depth=1
	v_bfe_u32 v5, v58, 16, 1
	v_add3_u32 v5, v58, v5, s15
                                        ; implicit-def: $vgpr58
; %bb.477:                              ;   in Loop: Header=BB188_43 Depth=1
	s_andn2_saveexec_b64 s[0:1], s[0:1]
; %bb.478:                              ;   in Loop: Header=BB188_43 Depth=1
	v_or_b32_e32 v5, 0x10000, v58
	v_cmp_eq_u32_sdwa vcc, v58, v25 src0_sel:WORD_0 src1_sel:DWORD
	s_nop 1
	v_cndmask_b32_e32 v5, v5, v58, vcc
; %bb.479:                              ;   in Loop: Header=BB188_43 Depth=1
	s_or_b64 exec, exec, s[0:1]
	v_lshlrev_b32_e32 v43, 16, v43
	v_mul_f32_e32 v58, v73, v43
	v_and_b32_e32 v43, 0x7f800000, v58
	v_cmp_ne_u32_e32 vcc, s14, v43
                                        ; implicit-def: $vgpr43
	s_and_saveexec_b64 s[0:1], vcc
	s_xor_b64 s[0:1], exec, s[0:1]
; %bb.480:                              ;   in Loop: Header=BB188_43 Depth=1
	v_bfe_u32 v43, v58, 16, 1
	v_add3_u32 v43, v58, v43, s15
                                        ; implicit-def: $vgpr58
; %bb.481:                              ;   in Loop: Header=BB188_43 Depth=1
	s_andn2_saveexec_b64 s[0:1], s[0:1]
	s_cbranch_execz .LBB188_42
; %bb.482:                              ;   in Loop: Header=BB188_43 Depth=1
	v_or_b32_e32 v43, 0x10000, v58
	v_cmp_eq_u32_sdwa vcc, v58, v25 src0_sel:WORD_0 src1_sel:DWORD
	s_nop 1
	v_cndmask_b32_e32 v43, v43, v58, vcc
	s_branch .LBB188_42
.LBB188_483:
	s_or_b64 exec, exec, s[8:9]
	scratch_load_dword v24, off, off offset:128 ; 4-byte Folded Reload
	scratch_load_dword v25, off, off offset:40 ; 4-byte Folded Reload
	;; [unrolled: 1-line block ×5, first 2 shown]
.LBB188_484:
	s_or_b64 exec, exec, s[2:3]
	s_waitcnt vmcnt(1)
	ds_bpermute_b32 v0, v27, v22
	ds_bpermute_b32 v1, v27, v23
	ds_bpermute_b32 v2, v27, v20
	ds_bpermute_b32 v3, v27, v21
	ds_bpermute_b32 v6, v27, v18
	ds_bpermute_b32 v7, v27, v19
	s_waitcnt lgkmcnt(4)
	v_pk_add_f32 v[0:1], v[22:23], v[0:1]
	s_waitcnt vmcnt(0)
	ds_bpermute_b32 v4, v28, v0
	ds_bpermute_b32 v5, v28, v1
	s_waitcnt lgkmcnt(4)
	v_pk_add_f32 v[2:3], v[20:21], v[2:3]
	ds_bpermute_b32 v10, v27, v14
	ds_bpermute_b32 v11, v27, v15
	;; [unrolled: 1-line block ×3, first 2 shown]
	s_waitcnt lgkmcnt(3)
	v_pk_add_f32 v[20:21], v[0:1], v[4:5]
	ds_bpermute_b32 v4, v27, v16
	ds_bpermute_b32 v5, v27, v17
	v_pk_add_f32 v[0:1], v[18:19], v[6:7]
	ds_bpermute_b32 v9, v28, v3
	ds_bpermute_b32 v6, v28, v0
	ds_bpermute_b32 v7, v28, v1
	s_waitcnt lgkmcnt(3)
	v_pk_add_f32 v[4:5], v[16:17], v[4:5]
	ds_bpermute_b32 v16, v28, v4
	ds_bpermute_b32 v17, v28, v5
	;; [unrolled: 1-line block ×4, first 2 shown]
	v_pk_add_f32 v[14:15], v[14:15], v[10:11]
	ds_bpermute_b32 v18, v28, v14
	ds_bpermute_b32 v19, v28, v15
	s_waitcnt lgkmcnt(8)
	v_pk_add_f32 v[10:11], v[2:3], v[8:9]
	s_waitcnt lgkmcnt(6)
	v_pk_add_f32 v[8:9], v[0:1], v[6:7]
	;; [unrolled: 2-line block ×4, first 2 shown]
	ds_bpermute_b32 v12, v28, v4
	ds_bpermute_b32 v13, v28, v5
	v_and_b32_e32 v0, 0x3c3, v24
	s_waitcnt lgkmcnt(2)
	v_pk_add_f32 v[2:3], v[14:15], v[18:19]
	v_cmp_ne_u32_e32 vcc, 64, v0
	s_waitcnt lgkmcnt(0)
	s_barrier
	s_and_saveexec_b64 s[0:1], vcc
	s_xor_b64 s[0:1], exec, s[0:1]
; %bb.485:
                                        ; implicit-def: $vgpr25
; %bb.486:
	s_or_saveexec_b64 s[0:1], s[0:1]
	v_pk_add_f32 v[4:5], v[4:5], v[12:13]
	s_xor_b64 exec, exec, s[0:1]
	s_cbranch_execz .LBB188_488
; %bb.487:
	v_add_u32_e32 v0, 0x190, v25
	ds_write2_b32 v0, v20, v21 offset1:16
	ds_write2_b32 v0, v10, v11 offset0:32 offset1:48
	ds_write2_b32 v0, v8, v9 offset0:64 offset1:80
	;; [unrolled: 1-line block ×5, first 2 shown]
.LBB188_488:
	s_or_b64 exec, exec, s[0:1]
	v_cmp_gt_u32_e32 vcc, 64, v24
	v_cmp_lt_u32_e64 s[0:1], 63, v24
	s_waitcnt lgkmcnt(0)
	s_barrier
	s_and_saveexec_b64 s[2:3], s[0:1]
	s_xor_b64 s[0:1], exec, s[2:3]
	s_andn2_saveexec_b64 s[2:3], s[0:1]
	s_cbranch_execz .LBB188_503
; %bb.489:
	v_cmp_eq_u32_e64 s[0:1], 0, v26
	v_lshrrev_b32_e32 v0, 2, v24
	s_and_saveexec_b64 s[6:7], s[0:1]
	s_cbranch_execnz .LBB188_555
; %bb.490:
	s_or_b64 exec, exec, s[6:7]
	s_and_saveexec_b64 s[6:7], s[0:1]
	s_cbranch_execnz .LBB188_556
.LBB188_491:
	s_or_b64 exec, exec, s[6:7]
	s_and_saveexec_b64 s[6:7], s[0:1]
	s_cbranch_execnz .LBB188_557
.LBB188_492:
	s_or_b64 exec, exec, s[6:7]
	s_and_saveexec_b64 s[6:7], s[0:1]
	s_cbranch_execnz .LBB188_558
.LBB188_493:
	s_or_b64 exec, exec, s[6:7]
	s_and_saveexec_b64 s[6:7], s[0:1]
	s_cbranch_execnz .LBB188_559
.LBB188_494:
	s_or_b64 exec, exec, s[6:7]
	s_and_saveexec_b64 s[6:7], s[0:1]
	s_cbranch_execnz .LBB188_560
.LBB188_495:
	s_or_b64 exec, exec, s[6:7]
	s_and_saveexec_b64 s[6:7], s[0:1]
	s_cbranch_execnz .LBB188_561
.LBB188_496:
	s_or_b64 exec, exec, s[6:7]
	s_and_saveexec_b64 s[6:7], s[0:1]
	s_cbranch_execnz .LBB188_562
.LBB188_497:
	s_or_b64 exec, exec, s[6:7]
	s_and_saveexec_b64 s[6:7], s[0:1]
	s_cbranch_execnz .LBB188_563
.LBB188_498:
	s_or_b64 exec, exec, s[6:7]
	s_and_saveexec_b64 s[6:7], s[0:1]
	s_cbranch_execnz .LBB188_564
.LBB188_499:
	s_or_b64 exec, exec, s[6:7]
	s_and_saveexec_b64 s[6:7], s[0:1]
	s_cbranch_execnz .LBB188_565
.LBB188_500:
	s_or_b64 exec, exec, s[6:7]
	s_and_saveexec_b64 s[6:7], s[0:1]
	s_cbranch_execz .LBB188_502
.LBB188_501:
	v_mov_b32_e32 v1, 0x190
	v_lshl_add_u32 v0, v0, 2, v1
	ds_read_b32 v0, v0 offset:704
	s_waitcnt lgkmcnt(0)
	v_add_f32_e32 v5, v5, v0
.LBB188_502:
	s_or_b64 exec, exec, s[6:7]
.LBB188_503:
	s_or_b64 exec, exec, s[2:3]
	s_barrier
	s_and_saveexec_b64 s[0:1], vcc
	s_cbranch_execz .LBB188_554
; %bb.504:
	v_cmp_eq_u32_e32 vcc, 0, v26
	s_and_b64 exec, exec, vcc
	s_cbranch_execz .LBB188_554
; %bb.505:
	s_mov_b32 s0, 0x7f800000
	v_and_b32_e32 v0, 0x7f800000, v20
	v_cmp_ne_u32_e32 vcc, s0, v0
                                        ; implicit-def: $vgpr12
	s_and_saveexec_b64 s[0:1], vcc
	s_xor_b64 s[0:1], exec, s[0:1]
; %bb.506:
	v_bfe_u32 v0, v20, 16, 1
	s_movk_i32 s2, 0x7fff
	v_add3_u32 v12, v20, v0, s2
; %bb.507:
	s_andn2_saveexec_b64 s[0:1], s[0:1]
; %bb.508:
	v_mov_b32_e32 v0, 0
	v_or_b32_e32 v1, 0x10000, v20
	v_cmp_eq_u32_sdwa vcc, v20, v0 src0_sel:WORD_0 src1_sel:DWORD
	s_nop 1
	v_cndmask_b32_e32 v12, v1, v20, vcc
; %bb.509:
	s_or_b64 exec, exec, s[0:1]
	s_mul_i32 s0, s12, s20
	s_mul_i32 s0, s0, s21
	s_mulk_i32 s0, 0xc0
	s_ashr_i32 s1, s0, 31
	s_lshl_b64 s[0:1], s[0:1], 1
	s_add_u32 s2, s24, s0
	s_mul_i32 s0, s12, s22
	s_addc_u32 s3, s25, s1
	s_ashr_i32 s1, s0, 31
	s_lshl_b64 s[0:1], s[0:1], 1
	s_add_u32 s2, s2, s0
	s_mul_i32 s0, s4, 0xc0
	s_addc_u32 s3, s3, s1
	s_ashr_i32 s1, s0, 31
	s_lshl_b64 s[0:1], s[0:1], 1
	s_add_u32 s0, s2, s0
	v_lshrrev_b32_e32 v0, 1, v24
	s_addc_u32 s1, s3, s1
	v_and_b32_e32 v0, 0x1fe, v0
	global_store_short_d16_hi v0, v12, s[0:1]
	s_mov_b32 s2, 0x7f800000
	v_and_b32_e32 v12, 0x7f800000, v21
	v_mov_b32_e32 v1, 0
	v_cmp_ne_u32_e32 vcc, s2, v12
                                        ; implicit-def: $vgpr12
	s_and_saveexec_b64 s[2:3], vcc
	s_xor_b64 s[2:3], exec, s[2:3]
; %bb.510:
	v_bfe_u32 v12, v21, 16, 1
	s_movk_i32 s4, 0x7fff
	v_add3_u32 v12, v21, v12, s4
                                        ; implicit-def: $vgpr20_vgpr21
; %bb.511:
	s_or_saveexec_b64 s[2:3], s[2:3]
	v_lshl_add_u64 v[0:1], s[0:1], 0, v[0:1]
	s_xor_b64 exec, exec, s[2:3]
; %bb.512:
	v_mov_b32_e32 v12, 0
	v_or_b32_e32 v13, 0x10000, v21
	v_cmp_eq_u32_sdwa vcc, v21, v12 src0_sel:WORD_0 src1_sel:DWORD
	s_nop 1
	v_cndmask_b32_e32 v12, v13, v21, vcc
; %bb.513:
	s_or_b64 exec, exec, s[2:3]
	global_store_short_d16_hi v[0:1], v12, off offset:32
	s_mov_b32 s0, 0x7f800000
	v_and_b32_e32 v12, 0x7f800000, v10
	v_cmp_ne_u32_e32 vcc, s0, v12
                                        ; implicit-def: $vgpr12
	s_and_saveexec_b64 s[0:1], vcc
	s_xor_b64 s[0:1], exec, s[0:1]
; %bb.514:
	v_bfe_u32 v12, v10, 16, 1
	s_movk_i32 s2, 0x7fff
	v_add3_u32 v12, v10, v12, s2
; %bb.515:
	s_andn2_saveexec_b64 s[0:1], s[0:1]
; %bb.516:
	v_mov_b32_e32 v12, 0
	v_or_b32_e32 v13, 0x10000, v10
	v_cmp_eq_u32_sdwa vcc, v10, v12 src0_sel:WORD_0 src1_sel:DWORD
	s_nop 1
	v_cndmask_b32_e32 v12, v13, v10, vcc
; %bb.517:
	s_or_b64 exec, exec, s[0:1]
	s_mov_b32 s0, 0x7f800000
	v_and_b32_e32 v10, 0x7f800000, v11
	v_cmp_ne_u32_e32 vcc, s0, v10
	global_store_short_d16_hi v[0:1], v12, off offset:64
                                        ; implicit-def: $vgpr12
	s_and_saveexec_b64 s[0:1], vcc
	s_xor_b64 s[0:1], exec, s[0:1]
; %bb.518:
	v_bfe_u32 v10, v11, 16, 1
	s_movk_i32 s2, 0x7fff
	v_add3_u32 v12, v11, v10, s2
                                        ; implicit-def: $vgpr10_vgpr11
; %bb.519:
	s_andn2_saveexec_b64 s[0:1], s[0:1]
; %bb.520:
	v_mov_b32_e32 v10, 0
	v_or_b32_e32 v12, 0x10000, v11
	v_cmp_eq_u32_sdwa vcc, v11, v10 src0_sel:WORD_0 src1_sel:DWORD
	s_nop 1
	v_cndmask_b32_e32 v12, v12, v11, vcc
; %bb.521:
	s_or_b64 exec, exec, s[0:1]
	s_mov_b32 s0, 0x7f800000
	v_and_b32_e32 v10, 0x7f800000, v8
	v_cmp_ne_u32_e32 vcc, s0, v10
	global_store_short_d16_hi v[0:1], v12, off offset:96
                                        ; implicit-def: $vgpr10
	s_and_saveexec_b64 s[0:1], vcc
	s_xor_b64 s[0:1], exec, s[0:1]
; %bb.522:
	v_bfe_u32 v10, v8, 16, 1
	s_movk_i32 s2, 0x7fff
	v_add3_u32 v10, v8, v10, s2
; %bb.523:
	s_andn2_saveexec_b64 s[0:1], s[0:1]
; %bb.524:
	v_mov_b32_e32 v10, 0
	v_or_b32_e32 v11, 0x10000, v8
	v_cmp_eq_u32_sdwa vcc, v8, v10 src0_sel:WORD_0 src1_sel:DWORD
	s_nop 1
	v_cndmask_b32_e32 v10, v11, v8, vcc
; %bb.525:
	s_or_b64 exec, exec, s[0:1]
	s_mov_b32 s0, 0x7f800000
	v_and_b32_e32 v8, 0x7f800000, v9
	v_cmp_ne_u32_e32 vcc, s0, v8
	global_store_short_d16_hi v[0:1], v10, off offset:128
                                        ; implicit-def: $vgpr10
	s_and_saveexec_b64 s[0:1], vcc
	s_xor_b64 s[0:1], exec, s[0:1]
; %bb.526:
	v_bfe_u32 v8, v9, 16, 1
	s_movk_i32 s2, 0x7fff
	v_add3_u32 v10, v9, v8, s2
                                        ; implicit-def: $vgpr8_vgpr9
; %bb.527:
	s_andn2_saveexec_b64 s[0:1], s[0:1]
; %bb.528:
	v_mov_b32_e32 v8, 0
	v_or_b32_e32 v10, 0x10000, v9
	v_cmp_eq_u32_sdwa vcc, v9, v8 src0_sel:WORD_0 src1_sel:DWORD
	s_nop 1
	v_cndmask_b32_e32 v10, v10, v9, vcc
; %bb.529:
	s_or_b64 exec, exec, s[0:1]
	s_mov_b32 s0, 0x7f800000
	v_and_b32_e32 v8, 0x7f800000, v6
	v_cmp_ne_u32_e32 vcc, s0, v8
	global_store_short_d16_hi v[0:1], v10, off offset:160
                                        ; implicit-def: $vgpr8
	s_and_saveexec_b64 s[0:1], vcc
	s_xor_b64 s[0:1], exec, s[0:1]
; %bb.530:
	v_bfe_u32 v8, v6, 16, 1
	s_movk_i32 s2, 0x7fff
	v_add3_u32 v8, v6, v8, s2
; %bb.531:
	s_andn2_saveexec_b64 s[0:1], s[0:1]
; %bb.532:
	v_mov_b32_e32 v8, 0
	v_or_b32_e32 v9, 0x10000, v6
	v_cmp_eq_u32_sdwa vcc, v6, v8 src0_sel:WORD_0 src1_sel:DWORD
	s_nop 1
	v_cndmask_b32_e32 v8, v9, v6, vcc
; %bb.533:
	s_or_b64 exec, exec, s[0:1]
	s_mov_b32 s0, 0x7f800000
	v_and_b32_e32 v6, 0x7f800000, v7
	v_cmp_ne_u32_e32 vcc, s0, v6
	global_store_short_d16_hi v[0:1], v8, off offset:192
                                        ; implicit-def: $vgpr8
	s_and_saveexec_b64 s[0:1], vcc
	s_xor_b64 s[0:1], exec, s[0:1]
; %bb.534:
	v_bfe_u32 v6, v7, 16, 1
	s_movk_i32 s2, 0x7fff
	v_add3_u32 v8, v7, v6, s2
                                        ; implicit-def: $vgpr6_vgpr7
; %bb.535:
	s_andn2_saveexec_b64 s[0:1], s[0:1]
; %bb.536:
	v_mov_b32_e32 v6, 0
	v_or_b32_e32 v8, 0x10000, v7
	v_cmp_eq_u32_sdwa vcc, v7, v6 src0_sel:WORD_0 src1_sel:DWORD
	s_nop 1
	v_cndmask_b32_e32 v8, v8, v7, vcc
; %bb.537:
	s_or_b64 exec, exec, s[0:1]
	s_mov_b32 s0, 0x7f800000
	v_and_b32_e32 v6, 0x7f800000, v2
	v_cmp_ne_u32_e32 vcc, s0, v6
	global_store_short_d16_hi v[0:1], v8, off offset:224
                                        ; implicit-def: $vgpr6
	s_and_saveexec_b64 s[0:1], vcc
	s_xor_b64 s[0:1], exec, s[0:1]
; %bb.538:
	v_bfe_u32 v6, v2, 16, 1
	s_movk_i32 s2, 0x7fff
	v_add3_u32 v6, v2, v6, s2
; %bb.539:
	s_andn2_saveexec_b64 s[0:1], s[0:1]
; %bb.540:
	v_mov_b32_e32 v6, 0
	v_or_b32_e32 v7, 0x10000, v2
	v_cmp_eq_u32_sdwa vcc, v2, v6 src0_sel:WORD_0 src1_sel:DWORD
	s_nop 1
	v_cndmask_b32_e32 v6, v7, v2, vcc
; %bb.541:
	s_or_b64 exec, exec, s[0:1]
	s_mov_b32 s0, 0x7f800000
	v_and_b32_e32 v2, 0x7f800000, v3
	v_cmp_ne_u32_e32 vcc, s0, v2
	global_store_short_d16_hi v[0:1], v6, off offset:256
                                        ; implicit-def: $vgpr6
	s_and_saveexec_b64 s[0:1], vcc
	s_xor_b64 s[0:1], exec, s[0:1]
; %bb.542:
	v_bfe_u32 v2, v3, 16, 1
	s_movk_i32 s2, 0x7fff
	v_add3_u32 v6, v3, v2, s2
                                        ; implicit-def: $vgpr2_vgpr3
; %bb.543:
	s_andn2_saveexec_b64 s[0:1], s[0:1]
; %bb.544:
	v_mov_b32_e32 v2, 0
	v_or_b32_e32 v6, 0x10000, v3
	v_cmp_eq_u32_sdwa vcc, v3, v2 src0_sel:WORD_0 src1_sel:DWORD
	s_nop 1
	v_cndmask_b32_e32 v6, v6, v3, vcc
; %bb.545:
	s_or_b64 exec, exec, s[0:1]
	s_mov_b32 s0, 0x7f800000
	v_and_b32_e32 v2, 0x7f800000, v4
	v_cmp_ne_u32_e32 vcc, s0, v2
	global_store_short_d16_hi v[0:1], v6, off offset:288
                                        ; implicit-def: $vgpr2
	s_and_saveexec_b64 s[0:1], vcc
	s_xor_b64 s[0:1], exec, s[0:1]
; %bb.546:
	v_bfe_u32 v2, v4, 16, 1
	s_movk_i32 s2, 0x7fff
	v_add3_u32 v2, v4, v2, s2
; %bb.547:
	s_andn2_saveexec_b64 s[0:1], s[0:1]
; %bb.548:
	v_mov_b32_e32 v2, 0
	v_or_b32_e32 v3, 0x10000, v4
	v_cmp_eq_u32_sdwa vcc, v4, v2 src0_sel:WORD_0 src1_sel:DWORD
	s_nop 1
	v_cndmask_b32_e32 v2, v3, v4, vcc
; %bb.549:
	s_or_b64 exec, exec, s[0:1]
	global_store_short_d16_hi v[0:1], v2, off offset:320
	s_mov_b32 s0, 0x7f800000
	v_and_b32_e32 v2, 0x7f800000, v5
	v_cmp_ne_u32_e32 vcc, s0, v2
                                        ; implicit-def: $vgpr2
	s_and_saveexec_b64 s[0:1], vcc
	s_xor_b64 s[0:1], exec, s[0:1]
; %bb.550:
	v_bfe_u32 v2, v5, 16, 1
	s_movk_i32 s2, 0x7fff
	v_add3_u32 v2, v5, v2, s2
                                        ; implicit-def: $vgpr4_vgpr5
; %bb.551:
	s_andn2_saveexec_b64 s[0:1], s[0:1]
; %bb.552:
	v_mov_b32_e32 v2, 0
	v_or_b32_e32 v3, 0x10000, v5
	v_cmp_eq_u32_sdwa vcc, v5, v2 src0_sel:WORD_0 src1_sel:DWORD
	s_nop 1
	v_cndmask_b32_e32 v2, v3, v5, vcc
; %bb.553:
	s_or_b64 exec, exec, s[0:1]
	global_store_short_d16_hi v[0:1], v2, off offset:352
.LBB188_554:
	s_endpgm
.LBB188_555:
	v_mov_b32_e32 v1, 0x190
	v_lshl_add_u32 v1, v0, 2, v1
	ds_read_b32 v1, v1
	s_waitcnt lgkmcnt(0)
	v_add_f32_e32 v20, v20, v1
	s_or_b64 exec, exec, s[6:7]
	s_and_saveexec_b64 s[6:7], s[0:1]
	s_cbranch_execz .LBB188_491
.LBB188_556:
	v_mov_b32_e32 v1, 0x190
	v_lshl_add_u32 v1, v0, 2, v1
	ds_read_b32 v1, v1 offset:64
	s_waitcnt lgkmcnt(0)
	v_add_f32_e32 v21, v21, v1
	s_or_b64 exec, exec, s[6:7]
	s_and_saveexec_b64 s[6:7], s[0:1]
	s_cbranch_execz .LBB188_492
.LBB188_557:
	v_mov_b32_e32 v1, 0x190
	v_lshl_add_u32 v1, v0, 2, v1
	ds_read_b32 v1, v1 offset:128
	s_waitcnt lgkmcnt(0)
	v_add_f32_e32 v10, v10, v1
	s_or_b64 exec, exec, s[6:7]
	s_and_saveexec_b64 s[6:7], s[0:1]
	s_cbranch_execz .LBB188_493
.LBB188_558:
	v_mov_b32_e32 v1, 0x190
	v_lshl_add_u32 v1, v0, 2, v1
	ds_read_b32 v1, v1 offset:192
	s_waitcnt lgkmcnt(0)
	v_add_f32_e32 v11, v11, v1
	s_or_b64 exec, exec, s[6:7]
	s_and_saveexec_b64 s[6:7], s[0:1]
	s_cbranch_execz .LBB188_494
.LBB188_559:
	v_mov_b32_e32 v1, 0x190
	v_lshl_add_u32 v1, v0, 2, v1
	ds_read_b32 v1, v1 offset:256
	s_waitcnt lgkmcnt(0)
	v_add_f32_e32 v8, v8, v1
	s_or_b64 exec, exec, s[6:7]
	s_and_saveexec_b64 s[6:7], s[0:1]
	s_cbranch_execz .LBB188_495
.LBB188_560:
	v_mov_b32_e32 v1, 0x190
	v_lshl_add_u32 v1, v0, 2, v1
	ds_read_b32 v1, v1 offset:320
	s_waitcnt lgkmcnt(0)
	v_add_f32_e32 v9, v9, v1
	s_or_b64 exec, exec, s[6:7]
	s_and_saveexec_b64 s[6:7], s[0:1]
	s_cbranch_execz .LBB188_496
.LBB188_561:
	v_mov_b32_e32 v1, 0x190
	v_lshl_add_u32 v1, v0, 2, v1
	ds_read_b32 v1, v1 offset:384
	s_waitcnt lgkmcnt(0)
	v_add_f32_e32 v6, v6, v1
	s_or_b64 exec, exec, s[6:7]
	s_and_saveexec_b64 s[6:7], s[0:1]
	s_cbranch_execz .LBB188_497
.LBB188_562:
	v_mov_b32_e32 v1, 0x190
	v_lshl_add_u32 v1, v0, 2, v1
	ds_read_b32 v1, v1 offset:448
	s_waitcnt lgkmcnt(0)
	v_add_f32_e32 v7, v7, v1
	s_or_b64 exec, exec, s[6:7]
	s_and_saveexec_b64 s[6:7], s[0:1]
	s_cbranch_execz .LBB188_498
.LBB188_563:
	v_mov_b32_e32 v1, 0x190
	v_lshl_add_u32 v1, v0, 2, v1
	ds_read_b32 v1, v1 offset:512
	s_waitcnt lgkmcnt(0)
	v_add_f32_e32 v2, v2, v1
	s_or_b64 exec, exec, s[6:7]
	s_and_saveexec_b64 s[6:7], s[0:1]
	s_cbranch_execz .LBB188_499
.LBB188_564:
	v_mov_b32_e32 v1, 0x190
	v_lshl_add_u32 v1, v0, 2, v1
	ds_read_b32 v1, v1 offset:576
	s_waitcnt lgkmcnt(0)
	v_add_f32_e32 v3, v3, v1
	s_or_b64 exec, exec, s[6:7]
	s_and_saveexec_b64 s[6:7], s[0:1]
	s_cbranch_execz .LBB188_500
.LBB188_565:
	v_mov_b32_e32 v1, 0x190
	v_lshl_add_u32 v1, v0, 2, v1
	ds_read_b32 v1, v1 offset:640
	s_waitcnt lgkmcnt(0)
	v_add_f32_e32 v4, v4, v1
	s_or_b64 exec, exec, s[6:7]
	s_and_saveexec_b64 s[6:7], s[0:1]
	s_cbranch_execnz .LBB188_501
	s_branch .LBB188_502
	.section	.rodata,"a",@progbits
	.p2align	6, 0x0
	.amdhsa_kernel _ZN4vllm25paged_attention_v2_kernelI14__hip_bfloat16S1_Li192ELi32ELi128ELNS_18Fp8KVCacheDataTypeE0ELb0ELi512EEEvPfS3_PT_PKS4_PKT0_SA_ifPKiSC_iPKfiiiSE_SE_iiiii
		.amdhsa_group_segment_fixed_size 400
		.amdhsa_private_segment_fixed_size 148
		.amdhsa_kernarg_size 400
		.amdhsa_user_sgpr_count 2
		.amdhsa_user_sgpr_dispatch_ptr 0
		.amdhsa_user_sgpr_queue_ptr 0
		.amdhsa_user_sgpr_kernarg_segment_ptr 1
		.amdhsa_user_sgpr_dispatch_id 0
		.amdhsa_user_sgpr_kernarg_preload_length 0
		.amdhsa_user_sgpr_kernarg_preload_offset 0
		.amdhsa_user_sgpr_private_segment_size 0
		.amdhsa_uses_dynamic_stack 0
		.amdhsa_enable_private_segment 1
		.amdhsa_system_sgpr_workgroup_id_x 1
		.amdhsa_system_sgpr_workgroup_id_y 1
		.amdhsa_system_sgpr_workgroup_id_z 1
		.amdhsa_system_sgpr_workgroup_info 0
		.amdhsa_system_vgpr_workitem_id 0
		.amdhsa_next_free_vgpr 128
		.amdhsa_next_free_sgpr 44
		.amdhsa_accum_offset 128
		.amdhsa_reserve_vcc 1
		.amdhsa_float_round_mode_32 0
		.amdhsa_float_round_mode_16_64 0
		.amdhsa_float_denorm_mode_32 3
		.amdhsa_float_denorm_mode_16_64 3
		.amdhsa_dx10_clamp 1
		.amdhsa_ieee_mode 1
		.amdhsa_fp16_overflow 0
		.amdhsa_tg_split 0
		.amdhsa_exception_fp_ieee_invalid_op 0
		.amdhsa_exception_fp_denorm_src 0
		.amdhsa_exception_fp_ieee_div_zero 0
		.amdhsa_exception_fp_ieee_overflow 0
		.amdhsa_exception_fp_ieee_underflow 0
		.amdhsa_exception_fp_ieee_inexact 0
		.amdhsa_exception_int_div_zero 0
	.end_amdhsa_kernel
	.section	.text._ZN4vllm25paged_attention_v2_kernelI14__hip_bfloat16S1_Li192ELi32ELi128ELNS_18Fp8KVCacheDataTypeE0ELb0ELi512EEEvPfS3_PT_PKS4_PKT0_SA_ifPKiSC_iPKfiiiSE_SE_iiiii,"axG",@progbits,_ZN4vllm25paged_attention_v2_kernelI14__hip_bfloat16S1_Li192ELi32ELi128ELNS_18Fp8KVCacheDataTypeE0ELb0ELi512EEEvPfS3_PT_PKS4_PKT0_SA_ifPKiSC_iPKfiiiSE_SE_iiiii,comdat
.Lfunc_end188:
	.size	_ZN4vllm25paged_attention_v2_kernelI14__hip_bfloat16S1_Li192ELi32ELi128ELNS_18Fp8KVCacheDataTypeE0ELb0ELi512EEEvPfS3_PT_PKS4_PKT0_SA_ifPKiSC_iPKfiiiSE_SE_iiiii, .Lfunc_end188-_ZN4vllm25paged_attention_v2_kernelI14__hip_bfloat16S1_Li192ELi32ELi128ELNS_18Fp8KVCacheDataTypeE0ELb0ELi512EEEvPfS3_PT_PKS4_PKT0_SA_ifPKiSC_iPKfiiiSE_SE_iiiii
                                        ; -- End function
	.section	.AMDGPU.csdata,"",@progbits
; Kernel info:
; codeLenInByte = 20640
; NumSgprs: 50
; NumVgprs: 128
; NumAgprs: 0
; TotalNumVgprs: 128
; ScratchSize: 148
; MemoryBound: 0
; FloatMode: 240
; IeeeMode: 1
; LDSByteSize: 400 bytes/workgroup (compile time only)
; SGPRBlocks: 6
; VGPRBlocks: 15
; NumSGPRsForWavesPerEU: 50
; NumVGPRsForWavesPerEU: 128
; AccumOffset: 128
; Occupancy: 4
; WaveLimiterHint : 1
; COMPUTE_PGM_RSRC2:SCRATCH_EN: 1
; COMPUTE_PGM_RSRC2:USER_SGPR: 2
; COMPUTE_PGM_RSRC2:TRAP_HANDLER: 0
; COMPUTE_PGM_RSRC2:TGID_X_EN: 1
; COMPUTE_PGM_RSRC2:TGID_Y_EN: 1
; COMPUTE_PGM_RSRC2:TGID_Z_EN: 1
; COMPUTE_PGM_RSRC2:TIDIG_COMP_CNT: 0
; COMPUTE_PGM_RSRC3_GFX90A:ACCUM_OFFSET: 31
; COMPUTE_PGM_RSRC3_GFX90A:TG_SPLIT: 0
	.text
	.p2align	2                               ; -- Begin function _ZN4vllm22paged_attention_kernelI14__hip_bfloat16S1_Li256ELi32ELi128ELNS_18Fp8KVCacheDataTypeE0ELb0ELi512EEEvPfS3_PT_PKS4_PKT0_SA_ifPKiSC_iPKfiiiSE_SE_iiiii
	.type	_ZN4vllm22paged_attention_kernelI14__hip_bfloat16S1_Li256ELi32ELi128ELNS_18Fp8KVCacheDataTypeE0ELb0ELi512EEEvPfS3_PT_PKS4_PKT0_SA_ifPKiSC_iPKfiiiSE_SE_iiiii,@function
_ZN4vllm22paged_attention_kernelI14__hip_bfloat16S1_Li256ELi32ELi128ELNS_18Fp8KVCacheDataTypeE0ELb0ELi512EEEvPfS3_PT_PKS4_PKT0_SA_ifPKiSC_iPKfiiiSE_SE_iiiii: ; @_ZN4vllm22paged_attention_kernelI14__hip_bfloat16S1_Li256ELi32ELi128ELNS_18Fp8KVCacheDataTypeE0ELb0ELi512EEEvPfS3_PT_PKS4_PKT0_SA_ifPKiSC_iPKfiiiSE_SE_iiiii
; %bb.0:
	s_waitcnt vmcnt(0) expcnt(0) lgkmcnt(0)
	s_or_saveexec_b64 s[0:1], -1
	scratch_store_dword off, v63, s32 offset:672 ; 4-byte Folded Spill
	s_mov_b64 exec, s[0:1]
	scratch_store_dword off, v40, s32 offset:184 ; 4-byte Folded Spill
	scratch_store_dword off, v41, s32 offset:180 ; 4-byte Folded Spill
	;; [unrolled: 1-line block ×46, first 2 shown]
	scratch_store_dword off, a63, s32       ; 4-byte Folded Spill
	v_writelane_b32 v63, s34, 0
	v_writelane_b32 v63, s30, 1
	s_nop 1
	v_writelane_b32 v63, s31, 2
	s_mov_b32 s18, s13
	s_ashr_i32 s19, s13, 31
	v_mov_b32_e32 v27, v1
	v_mov_b32_e32 v26, v0
	v_lshl_add_u64 v[0:1], s[18:19], 2, v[16:17]
	flat_load_dword v62, v[0:1]
	s_lshl_b32 s30, s14, 9
	v_mov_b32_e32 v25, v20
	v_mov_b32_e32 v24, v19
	;; [unrolled: 1-line block ×6, first 2 shown]
	scratch_store_dwordx2 off, v[22:23], s32 offset:192 ; 8-byte Folded Spill
	scratch_store_dword off, v13, s32 offset:580 ; 4-byte Folded Spill
	s_waitcnt vmcnt(0) lgkmcnt(0)
	v_cmp_lt_i32_e32 vcc, s30, v62
	s_and_saveexec_b64 s[16:17], vcc
	s_cbranch_execz .LBB189_710
; %bb.1:
	v_sub_u32_e32 v0, 0, v12
	v_max_i32_e32 v0, v12, v0
	v_cvt_f32_u32_e32 v1, v0
	s_load_dword s0, s[8:9], 0x10
	s_load_dword s2, s[8:9], 0x0
	v_sub_u32_e32 v3, 0, v0
	s_mov_b32 s22, s15
	v_rcp_iflag_f32_e32 v1, v1
	s_waitcnt lgkmcnt(0)
	s_lshr_b32 s0, s0, 16
	s_cmp_lg_u32 s0, 0
	s_cselect_b64 s[0:1], -1, 0
	v_mul_f32_e32 v1, 0x4f7ffffe, v1
	v_cvt_u32_f32_e32 v1, v1
	s_cmp_lg_u64 s[0:1], 0
	s_addc_u32 s19, s2, 0
	s_abs_i32 s0, s19
	v_mul_lo_u32 v3, v3, v1
	v_mul_hi_u32 v3, v1, v3
	v_add_u32_e32 v1, v1, v3
	v_mul_hi_u32 v1, s0, v1
	v_mul_lo_u32 v3, v1, v0
	v_sub_u32_e32 v3, s0, v3
	v_add_u32_e32 v4, 1, v1
	v_cmp_ge_u32_e32 vcc, v3, v0
	v_xor_b32_e32 v2, s19, v12
	v_ashrrev_i32_e32 v2, 31, v2
	v_cndmask_b32_e32 v1, v1, v4, vcc
	v_sub_u32_e32 v4, v3, v0
	v_cndmask_b32_e32 v3, v3, v4, vcc
	v_add_u32_e32 v4, 1, v1
	v_cmp_ge_u32_e32 vcc, v3, v0
	s_abs_i32 s6, s12
	s_nop 0
	v_cndmask_b32_e32 v0, v1, v4, vcc
	v_xor_b32_e32 v0, v0, v2
	v_sub_u32_e32 v3, v0, v2
	v_sub_u32_e32 v0, 0, v3
	v_max_i32_e32 v2, v3, v0
	v_cvt_f32_u32_e32 v0, v2
	v_sub_u32_e32 v1, 0, v2
	v_cmp_ne_u64_e32 vcc, 0, v[24:25]
	v_rcp_iflag_f32_e32 v0, v0
	s_nop 0
	v_mul_f32_e32 v0, 0x4f7ffffe, v0
	v_cvt_u32_f32_e32 v0, v0
	v_mul_lo_u32 v1, v1, v0
	v_mul_hi_u32 v1, v0, v1
	v_add_u32_e32 v0, v0, v1
	v_mad_u64_u32 v[0:1], s[0:1], s6, v0, 0
	v_mov_b32_e32 v0, 0
	scratch_store_dword off, v0, s32 offset:584 ; 4-byte Folded Spill
	s_and_saveexec_b64 s[0:1], vcc
	s_cbranch_execz .LBB189_3
; %bb.2:
	s_ashr_i32 s13, s12, 31
	v_lshl_add_u64 v[4:5], s[12:13], 2, v[24:25]
	flat_load_dword v0, v[4:5]
	s_waitcnt vmcnt(0) lgkmcnt(0)
	scratch_store_dword off, v0, s32 offset:584 ; 4-byte Folded Spill
.LBB189_3:
	s_or_b64 exec, exec, s[0:1]
	v_and_b32_e32 v22, 0x3ff, v31
	s_ashr_i32 s7, s12, 31
	v_ashrrev_i32_e32 v3, 31, v3
	v_and_b32_e32 v0, 1, v22
	s_lshl_b32 s20, s12, 8
	v_cmp_lt_u32_e64 s[2:3], 63, v22
	v_cmp_gt_u32_e64 s[0:1], 64, v22
	v_lshlrev_b32_e32 v38, 3, v22
	s_and_saveexec_b64 s[4:5], s[0:1]
	s_cbranch_execz .LBB189_5
; %bb.4:
	v_mul_lo_u32 v4, s18, v21
	v_ashrrev_i32_e32 v5, 31, v4
	v_lshl_add_u64 v[4:5], v[4:5], 1, v[6:7]
	s_ashr_i32 s21, s20, 31
	v_lshl_add_u64 v[4:5], s[20:21], 1, v[4:5]
	v_mov_b32_e32 v39, 0
	v_lshl_add_u64 v[4:5], v[4:5], 0, v[38:39]
	flat_load_dwordx2 v[4:5], v[4:5]
	v_lshlrev_b32_e32 v6, 2, v22
	v_and_b32_e32 v6, 0xff8, v6
	v_lshl_add_u32 v6, v0, 8, v6
	s_waitcnt vmcnt(0) lgkmcnt(0)
	ds_write_b64 v6, v[4:5]
.LBB189_5:
	s_or_b64 exec, exec, s[4:5]
	v_add_u32_e32 v4, 31, v62
	v_ashrrev_i32_e32 v5, 31, v4
	v_lshrrev_b32_e32 v5, 27, v5
	v_add_u32_e32 v4, v4, v5
	v_ashrrev_i32_e32 v37, 5, v4
	v_mul_lo_u32 v4, v1, v2
	v_sub_u32_e32 v4, s6, v4
	v_add_u32_e32 v5, 1, v1
	v_cmp_ge_u32_e32 vcc, v4, v2
	s_lshl_b32 s15, s14, 4
	s_add_i32 s4, s15, 16
	v_cndmask_b32_e32 v1, v1, v5, vcc
	v_sub_u32_e32 v5, v4, v2
	v_cndmask_b32_e32 v4, v4, v5, vcc
	v_add_u32_e32 v5, 1, v1
	v_cmp_ge_u32_e32 vcc, v4, v2
	v_lshrrev_b32_e32 v48, 6, v22
	v_xor_b32_e32 v3, s7, v3
	v_cndmask_b32_e32 v1, v1, v5, vcc
	v_min_i32_e32 v6, s4, v37
	v_xor_b32_e32 v1, v1, v3
	v_mul_lo_u32 v52, s18, v18
	v_or_b32_e32 v50, s15, v48
	v_sub_u32_e32 v2, v1, v3
	v_ashrrev_i32_e32 v53, 31, v52
	v_cmp_lt_i32_e64 s[4:5], v50, v6
	v_cmp_ge_i32_e32 vcc, v50, v6
	v_mbcnt_lo_u32_b32 v1, -1, 0
	s_waitcnt lgkmcnt(0)
	s_barrier
	scratch_store_dword off, v6, s32 offset:188 ; 4-byte Folded Spill
                                        ; implicit-def: $sgpr23
                                        ; implicit-def: $vgpr12
                                        ; implicit-def: $vgpr16
	s_and_saveexec_b64 s[6:7], vcc
	s_xor_b64 s[6:7], exec, s[6:7]
; %bb.6:
	v_mbcnt_hi_u32_b32 v12, -1, v1
	v_and_b32_e32 v0, 64, v12
	v_add_u32_e32 v16, 64, v0
                                        ; implicit-def: $vgpr0
	s_mov_b32 s23, 0xff7fffff
                                        ; kill: killed $vgpr0
                                        ; implicit-def: $vgpr0
                                        ; kill: killed $vgpr0
                                        ; implicit-def: $vgpr8
                                        ; implicit-def: $vgpr0
                                        ; implicit-def: $vgpr1
; %bb.7:
	s_or_saveexec_b64 s[10:11], s[6:7]
	s_load_dword s21, s[8:9], 0x14
	s_load_dword s13, s[8:9], 0x8
	v_mul_lo_u32 v54, v2, v23
	v_mov_b32_e32 v13, s23
	v_ashrrev_i32_e32 v51, 31, v50
	v_ashrrev_i32_e32 v55, 31, v54
	scratch_store_dword off, v22, s32 offset:588 ; 4-byte Folded Spill
	scratch_store_dwordx2 off, v[34:35], s32 offset:592 ; 8-byte Folded Spill
	s_xor_b64 exec, exec, s[10:11]
	s_cbranch_execz .LBB189_13
; %bb.8:
	scratch_store_dword off, v37, s32 offset:600 ; 4-byte Folded Spill
	scratch_store_dwordx2 off, v[28:29], s32 offset:632 ; 8-byte Folded Spill
	scratch_store_dwordx2 off, v[26:27], s32 offset:648 ; 8-byte Folded Spill
	;; [unrolled: 1-line block ×3, first 2 shown]
	v_lshlrev_b32_e32 v2, 8, v0
	ds_read_b128 v[4:7], v2
	ds_read_b128 v[28:31], v2 offset:16
	ds_read_b128 v[24:27], v2 offset:32
	;; [unrolled: 1-line block ×3, first 2 shown]
	v_mbcnt_hi_u32_b32 v1, -1, v1
	s_waitcnt lgkmcnt(0)
	v_lshlrev_b32_e32 v3, 16, v4
	scratch_store_dword off, v3, s32 offset:208 ; 4-byte Folded Spill
	v_and_b32_e32 v3, 0xffff0000, v4
	scratch_store_dword off, v3, s32 offset:216 ; 4-byte Folded Spill
	v_lshlrev_b32_e32 v3, 16, v5
	scratch_store_dword off, v3, s32 offset:224 ; 4-byte Folded Spill
	v_and_b32_e32 v3, 0xffff0000, v5
	scratch_store_dword off, v3, s32 offset:232 ; 4-byte Folded Spill
	;; [unrolled: 4-line block ×13, first 2 shown]
	v_lshlrev_b32_e32 v3, 16, v19
	scratch_store_dword off, v3, s32 offset:364 ; 4-byte Folded Spill
	v_and_b32_e32 v3, 0xffff0000, v19
	ds_read_b128 v[4:7], v2 offset:64
	ds_read_b128 v[16:19], v2 offset:80
	scratch_store_dword off, v3, s32 offset:368 ; 4-byte Folded Spill
	v_lshlrev_b32_e32 v3, 16, v20
	scratch_store_dword off, v3, s32 offset:372 ; 4-byte Folded Spill
	v_and_b32_e32 v3, 0xffff0000, v20
	scratch_store_dword off, v3, s32 offset:376 ; 4-byte Folded Spill
	v_lshlrev_b32_e32 v3, 16, v21
	scratch_store_dword off, v3, s32 offset:380 ; 4-byte Folded Spill
	v_and_b32_e32 v3, 0xffff0000, v21
	scratch_store_dword off, v3, s32 offset:384 ; 4-byte Folded Spill
	s_waitcnt lgkmcnt(1)
	v_lshlrev_b32_e32 v3, 16, v4
	scratch_store_dword off, v3, s32 offset:388 ; 4-byte Folded Spill
	v_and_b32_e32 v3, 0xffff0000, v4
	scratch_store_dword off, v3, s32 offset:392 ; 4-byte Folded Spill
	v_lshlrev_b32_e32 v3, 16, v5
	scratch_store_dword off, v3, s32 offset:396 ; 4-byte Folded Spill
	v_and_b32_e32 v3, 0xffff0000, v5
	scratch_store_dword off, v3, s32 offset:400 ; 4-byte Folded Spill
	;; [unrolled: 4-line block ×4, first 2 shown]
	s_waitcnt lgkmcnt(0)
	v_lshlrev_b32_e32 v3, 16, v16
	scratch_store_dword off, v3, s32 offset:420 ; 4-byte Folded Spill
	v_and_b32_e32 v3, 0xffff0000, v16
	scratch_store_dword off, v3, s32 offset:424 ; 4-byte Folded Spill
	v_lshlrev_b32_e32 v3, 16, v17
	scratch_store_dword off, v3, s32 offset:428 ; 4-byte Folded Spill
	v_and_b32_e32 v3, 0xffff0000, v17
	scratch_store_dword off, v3, s32 offset:432 ; 4-byte Folded Spill
	;; [unrolled: 4-line block ×4, first 2 shown]
	ds_read_b128 v[4:7], v2 offset:96
	ds_read_b128 v[16:19], v2 offset:112
	v_cmp_eq_u32_e32 vcc, 0, v0
	v_and_b32_e32 v0, 64, v1
	s_ashr_i32 s23, s22, 31
	s_waitcnt lgkmcnt(1)
	v_lshlrev_b32_e32 v3, 16, v4
	scratch_store_dword off, v3, s32 offset:452 ; 4-byte Folded Spill
	v_and_b32_e32 v3, 0xffff0000, v4
	scratch_store_dword off, v3, s32 offset:456 ; 4-byte Folded Spill
	v_lshlrev_b32_e32 v3, 16, v5
	scratch_store_dword off, v3, s32 offset:460 ; 4-byte Folded Spill
	v_and_b32_e32 v3, 0xffff0000, v5
	scratch_store_dword off, v3, s32 offset:464 ; 4-byte Folded Spill
	v_lshlrev_b32_e32 v3, 16, v6
	scratch_store_dword off, v3, s32 offset:468 ; 4-byte Folded Spill
	v_and_b32_e32 v3, 0xffff0000, v6
	scratch_store_dword off, v3, s32 offset:476 ; 4-byte Folded Spill
	v_lshlrev_b32_e32 v3, 16, v7
	scratch_store_dword off, v3, s32 offset:480 ; 4-byte Folded Spill
	v_and_b32_e32 v3, 0xffff0000, v7
	scratch_store_dword off, v3, s32 offset:484 ; 4-byte Folded Spill
	s_waitcnt lgkmcnt(0)
	v_lshlrev_b32_e32 v3, 16, v16
	scratch_store_dword off, v3, s32 offset:488 ; 4-byte Folded Spill
	v_and_b32_e32 v3, 0xffff0000, v16
	scratch_store_dword off, v3, s32 offset:492 ; 4-byte Folded Spill
	v_lshlrev_b32_e32 v3, 16, v17
	scratch_store_dword off, v3, s32 offset:496 ; 4-byte Folded Spill
	v_and_b32_e32 v3, 0xffff0000, v17
	scratch_store_dword off, v3, s32 offset:500 ; 4-byte Folded Spill
	;; [unrolled: 4-line block ×4, first 2 shown]
	ds_read_b128 v[4:7], v2 offset:128
	ds_read_b128 v[16:19], v2 offset:144
	s_lshl_b64 s[8:9], s[22:23], 2
	s_getpc_b64 s[24:25]
	s_add_u32 s24, s24, llvm.amdgcn.dynlds.offset.table@rel32@lo+4
	s_addc_u32 s25, s25, llvm.amdgcn.dynlds.offset.table@rel32@hi+12
	s_add_u32 s24, s8, s24
	s_waitcnt lgkmcnt(1)
	v_lshlrev_b32_e32 v3, 16, v4
	scratch_store_dword off, v3, s32 offset:520 ; 4-byte Folded Spill
	v_and_b32_e32 v3, 0xffff0000, v4
	scratch_store_dword off, v3, s32 offset:528 ; 4-byte Folded Spill
	v_lshlrev_b32_e32 v3, 16, v5
	scratch_store_dword off, v3, s32 offset:524 ; 4-byte Folded Spill
	v_and_b32_e32 v3, 0xffff0000, v5
	scratch_store_dword off, v3, s32 offset:532 ; 4-byte Folded Spill
	;; [unrolled: 4-line block ×4, first 2 shown]
	s_waitcnt lgkmcnt(0)
	v_lshlrev_b32_e32 v3, 16, v16
	scratch_store_dword off, v3, s32 offset:552 ; 4-byte Folded Spill
	v_and_b32_e32 v3, 0xffff0000, v16
	scratch_store_dword off, v3, s32 offset:556 ; 4-byte Folded Spill
	v_lshlrev_b32_e32 v3, 16, v17
	scratch_store_dword off, v3, s32 offset:560 ; 4-byte Folded Spill
	v_and_b32_e32 v3, 0xffff0000, v17
	scratch_store_dword off, v3, s32 offset:564 ; 4-byte Folded Spill
	;; [unrolled: 4-line block ×3, first 2 shown]
	v_lshlrev_b32_e32 v3, 16, v19
	scratch_store_dword off, v3, s32 offset:576 ; 4-byte Folded Spill
	v_and_b32_e32 v3, 0xffff0000, v19
	ds_read_b128 v[4:7], v2 offset:160
	ds_read_b128 v[16:19], v2 offset:176
	v_accvgpr_write_b32 a36, v3
	s_addc_u32 s25, s9, s25
	s_mov_b64 s[26:27], 0
	s_waitcnt lgkmcnt(1)
	v_lshlrev_b32_e32 v3, 16, v4
	v_accvgpr_write_b32 a37, v3
	v_and_b32_e32 v3, 0xffff0000, v4
	v_accvgpr_write_b32 a38, v3
	v_lshlrev_b32_e32 v3, 16, v5
	v_accvgpr_write_b32 a39, v3
	v_and_b32_e32 v3, 0xffff0000, v5
	v_accvgpr_write_b32 a40, v3
	;; [unrolled: 4-line block ×4, first 2 shown]
	s_waitcnt lgkmcnt(0)
	v_lshlrev_b32_e32 v3, 16, v16
	v_accvgpr_write_b32 a45, v3
	v_and_b32_e32 v3, 0xffff0000, v16
	v_accvgpr_write_b32 a46, v3
	v_lshlrev_b32_e32 v3, 16, v17
	v_accvgpr_write_b32 a47, v3
	v_and_b32_e32 v3, 0xffff0000, v17
	v_accvgpr_write_b32 a48, v3
	;; [unrolled: 4-line block ×3, first 2 shown]
	v_lshlrev_b32_e32 v3, 16, v19
	v_accvgpr_write_b32 a51, v3
	v_and_b32_e32 v3, 0xffff0000, v19
	ds_read_b128 v[4:7], v2 offset:192
	ds_read_b128 v[16:19], v2 offset:208
	v_accvgpr_write_b32 a52, v3
	s_movk_i32 s23, 0x1000
	s_movk_i32 s31, 0x2000
	s_waitcnt lgkmcnt(1)
	v_lshlrev_b32_e32 v3, 16, v4
	v_accvgpr_write_b32 a19, v3
	v_and_b32_e32 v3, 0xffff0000, v4
	v_accvgpr_write_b32 a53, v3
	v_lshlrev_b32_e32 v3, 16, v5
	v_accvgpr_write_b32 a54, v3
	v_and_b32_e32 v3, 0xffff0000, v5
	v_accvgpr_write_b32 a55, v3
	;; [unrolled: 4-line block ×4, first 2 shown]
	s_waitcnt lgkmcnt(0)
	v_lshlrev_b32_e32 v3, 16, v16
	v_accvgpr_write_b32 a61, v3
	v_and_b32_e32 v3, 0xffff0000, v16
	v_accvgpr_write_b32 a62, v3
	v_lshlrev_b32_e32 v3, 16, v17
	v_accvgpr_write_b32 a63, v3
	v_and_b32_e32 v3, 0xffff0000, v17
	v_accvgpr_write_b32 a13, v3
	;; [unrolled: 4-line block ×3, first 2 shown]
	v_lshlrev_b32_e32 v3, 16, v19
	v_accvgpr_write_b32 a56, v3
	v_and_b32_e32 v3, 0xffff0000, v19
	ds_read_b128 v[4:7], v2 offset:224
	ds_read_b128 v[16:19], v2 offset:240
	v_accvgpr_write_b32 a14, v3
	scratch_store_dword off, v1, s32 offset:612 ; 4-byte Folded Spill
	s_movk_i32 s34, 0x3000
	s_waitcnt lgkmcnt(1)
	v_lshlrev_b32_e32 v2, 16, v4
	v_accvgpr_write_b32 a15, v2
	v_and_b32_e32 v2, 0xffff0000, v4
	v_accvgpr_write_b32 a18, v2
	v_lshlrev_b32_e32 v2, 16, v5
	v_accvgpr_write_b32 a6, v2
	v_and_b32_e32 v2, 0xffff0000, v5
	v_accvgpr_write_b32 a7, v2
	;; [unrolled: 4-line block ×4, first 2 shown]
	s_waitcnt lgkmcnt(0)
	v_lshlrev_b32_e32 v2, 16, v16
	v_accvgpr_write_b32 a8, v2
	v_and_b32_e32 v2, 0xffff0000, v16
	v_accvgpr_write_b32 a9, v2
	v_lshlrev_b32_e32 v2, 16, v17
	v_accvgpr_write_b32 a0, v2
	v_and_b32_e32 v2, 0xffff0000, v17
	v_accvgpr_write_b32 a1, v2
	;; [unrolled: 4-line block ×3, first 2 shown]
	v_lshlrev_b32_e32 v2, 16, v19
	v_accvgpr_write_b32 a3, v2
	v_and_b32_e32 v2, 0xffff0000, v19
	v_bfe_u32 v6, v22, 1, 5
	v_accvgpr_write_b32 a20, v2
	v_lshl_add_u64 v[2:3], v[54:55], 1, v[8:9]
	v_lshlrev_b32_e32 v4, 4, v6
	v_mov_b32_e32 v5, 0
	v_lshl_add_u64 v[2:3], v[2:3], 0, v[4:5]
	v_mov_b32_e32 v4, v38
	scratch_store_dwordx2 off, v[4:5], s32 offset:656 ; 8-byte Folded Spill
	v_and_b32_e32 v4, 8, v38
	v_lshl_add_u64 v[2:3], v[2:3], 0, v[4:5]
	v_accvgpr_write_b32 a23, v3
	v_accvgpr_write_b32 a22, v2
	v_add_u32_e32 v2, 64, v0
	v_xor_b32_e32 v0, 1, v1
	v_cmp_lt_i32_e64 s[6:7], v0, v2
	v_mov_b32_e32 v13, 0xff7fffff
	v_mov_b32_e32 v28, v50
	v_cndmask_b32_e64 v0, v1, v0, s[6:7]
	v_lshlrev_b32_e32 v0, 2, v0
	v_accvgpr_write_b32 a21, v0
	scratch_load_dword v0, off, s32 offset:584 ; 4-byte Folded Reload
	s_waitcnt vmcnt(0)
	v_cmp_neq_f32_e64 s[6:7], 0, v0
	v_lshlrev_b64 v[0:1], 2, v[50:51]
	v_lshl_add_u64 v[0:1], v[52:53], 2, v[0:1]
	v_lshl_add_u64 v[38:39], v[14:15], 0, v[0:1]
	v_lshlrev_b32_e32 v0, 5, v48
	v_add3_u32 v26, s30, v0, v6
	v_lshlrev_b32_e32 v0, 2, v6
	v_lshl_or_b32 v12, v48, 7, v0
	scratch_store_dwordx2 off, v[54:55], s32 offset:604 ; 8-byte Folded Spill
	scratch_store_dword off, v2, s32 offset:624 ; 4-byte Folded Spill
	scratch_store_dwordx2 off, v[52:53], s32 offset:616 ; 8-byte Folded Spill
	scratch_store_dwordx2 off, v[14:15], s32 offset:664 ; 8-byte Folded Spill
	scratch_store_dword off, v48, s32 offset:628 ; 4-byte Folded Spill
	scratch_store_dwordx2 off, v[50:51], s32 offset:200 ; 8-byte Folded Spill
	s_branch .LBB189_10
.LBB189_9:                              ;   in Loop: Header=BB189_10 Depth=1
	s_or_b64 exec, exec, s[28:29]
	scratch_load_dword v0, off, s32 offset:188 ; 4-byte Folded Reload
	v_add_u32_e32 v28, 2, v28
	v_lshl_add_u64 v[38:39], v[38:39], 0, 8
	v_add_u32_e32 v26, 64, v26
	v_add_u32_e32 v12, 0x100, v12
	s_waitcnt vmcnt(0)
	v_cmp_ge_i32_e64 s[8:9], v28, v0
	s_or_b64 s[26:27], s[8:9], s[26:27]
	s_andn2_b64 exec, exec, s[26:27]
	s_cbranch_execz .LBB189_12
.LBB189_10:                             ; =>This Inner Loop Header: Depth=1
	flat_load_dword v0, v[38:39]
	scratch_load_dwordx2 v[2:3], off, s32 offset:192 ; 8-byte Folded Reload
	s_waitcnt vmcnt(0) lgkmcnt(0)
	v_mad_i64_i32 v[0:1], s[8:9], v0, v2, 0
	v_accvgpr_read_b32 v2, a22
	v_accvgpr_read_b32 v3, a23
	v_lshl_add_u64 v[30:31], v[0:1], 1, v[2:3]
	flat_load_dwordx2 v[20:21], v[30:31]
	flat_load_dwordx2 v[18:19], v[30:31] offset:512
	flat_load_dwordx2 v[16:17], v[30:31] offset:1024
	flat_load_dwordx2 v[14:15], v[30:31] offset:1536
	flat_load_dwordx2 v[2:3], v[30:31] offset:2048
	flat_load_dwordx2 v[0:1], v[30:31] offset:2560
	flat_load_dwordx2 v[10:11], v[30:31] offset:3072
	flat_load_dwordx2 v[48:49], v[30:31] offset:3584
	v_add_co_u32_e64 v32, s[8:9], s23, v30
	s_waitcnt vmcnt(0) lgkmcnt(0)
	v_lshlrev_b32_e32 v29, 16, v21
	v_addc_co_u32_e64 v33, s[8:9], 0, v31, s[8:9]
	flat_load_dwordx2 v[22:23], v[32:33]
	flat_load_dwordx2 v[8:9], v[32:33] offset:512
	flat_load_dwordx2 v[34:35], v[32:33] offset:1024
	;; [unrolled: 1-line block ×7, first 2 shown]
	v_add_co_u32_e64 v32, s[8:9], s31, v30
	v_and_b32_e32 v27, 0xffff0000, v21
	s_nop 0
	v_addc_co_u32_e64 v33, s[8:9], 0, v31, s[8:9]
	v_add_co_u32_e64 v24, s[8:9], s34, v30
	flat_load_dwordx2 v[56:57], v[32:33]
	flat_load_dwordx2 v[46:47], v[32:33] offset:512
	flat_load_dwordx2 v[44:45], v[32:33] offset:1024
	;; [unrolled: 1-line block ×7, first 2 shown]
	v_addc_co_u32_e64 v25, s[8:9], 0, v31, s[8:9]
	flat_load_dwordx2 v[30:31], v[24:25]
	flat_load_dwordx2 v[32:33], v[24:25] offset:512
	flat_load_dwordx2 a[34:35], v[24:25] offset:1024
	;; [unrolled: 1-line block ×7, first 2 shown]
	v_lshlrev_b32_e32 v24, 16, v20
	v_and_b32_e32 v25, 0xffff0000, v20
	v_lshlrev_b32_e32 v20, 16, v18
	v_and_b32_e32 v21, 0xffff0000, v18
	scratch_load_dword v18, off, s32 offset:240 ; 4-byte Folded Reload
	s_waitcnt vmcnt(0)
	v_mul_f32_e32 v18, v18, v20
	scratch_load_dword v20, off, s32 offset:208 ; 4-byte Folded Reload
	s_waitcnt vmcnt(0)
	v_fmac_f32_e32 v18, v20, v24
	scratch_load_dword v20, off, s32 offset:248 ; 4-byte Folded Reload
	v_and_b32_e32 v24, 0xffff0000, v19
	s_waitcnt vmcnt(0)
	v_mul_f32_e32 v20, v20, v21
	scratch_load_dword v21, off, s32 offset:216 ; 4-byte Folded Reload
	s_waitcnt vmcnt(0)
	v_fmac_f32_e32 v20, v21, v25
	v_lshlrev_b32_e32 v21, 16, v19
	scratch_load_dword v19, off, s32 offset:256 ; 4-byte Folded Reload
	scratch_load_dword v25, off, s32 offset:272 ; 4-byte Folded Reload
	s_waitcnt vmcnt(0)
	v_mul_f32_e32 v19, v19, v21
	scratch_load_dword v21, off, s32 offset:224 ; 4-byte Folded Reload
	s_waitcnt vmcnt(0)
	v_fmac_f32_e32 v19, v21, v29
	scratch_load_dword v21, off, s32 offset:264 ; 4-byte Folded Reload
	s_waitcnt vmcnt(0)
	v_mul_f32_e32 v21, v21, v24
	scratch_load_dword v24, off, s32 offset:232 ; 4-byte Folded Reload
	s_waitcnt vmcnt(0)
	v_fmac_f32_e32 v21, v24, v27
	v_lshlrev_b32_e32 v24, 16, v16
	v_fmac_f32_e32 v18, v25, v24
	scratch_load_dword v24, off, s32 offset:280 ; 4-byte Folded Reload
	v_and_b32_e32 v16, 0xffff0000, v16
	s_waitcnt vmcnt(0)
	v_fmac_f32_e32 v20, v24, v16
	scratch_load_dword v24, off, s32 offset:288 ; 4-byte Folded Reload
	v_lshlrev_b32_e32 v16, 16, v17
	v_and_b32_e32 v17, 0xffff0000, v17
	s_waitcnt vmcnt(0)
	v_fmac_f32_e32 v19, v24, v16
	scratch_load_dword v16, off, s32 offset:296 ; 4-byte Folded Reload
	s_waitcnt vmcnt(0)
	v_fmac_f32_e32 v21, v16, v17
	scratch_load_dword v17, off, s32 offset:304 ; 4-byte Folded Reload
	v_lshlrev_b32_e32 v16, 16, v14
	v_and_b32_e32 v14, 0xffff0000, v14
	s_waitcnt vmcnt(0)
	v_fmac_f32_e32 v18, v17, v16
	scratch_load_dword v16, off, s32 offset:312 ; 4-byte Folded Reload
	;; [unrolled: 8-line block ×7, first 2 shown]
	scratch_load_dword v2, off, s32 offset:356 ; 4-byte Folded Reload
	s_waitcnt vmcnt(0)
	v_fmac_f32_e32 v21, v0, v1
	v_lshlrev_b32_e32 v0, 16, v10
	v_fmac_f32_e32 v18, v2, v0
	scratch_load_dword v0, off, s32 offset:360 ; 4-byte Folded Reload
	scratch_load_dword v2, off, s32 offset:364 ; 4-byte Folded Reload
	v_and_b32_e32 v1, 0xffff0000, v10
	s_waitcnt vmcnt(0)
	v_fmac_f32_e32 v20, v0, v1
	v_lshlrev_b32_e32 v0, 16, v11
	v_fmac_f32_e32 v19, v2, v0
	scratch_load_dword v0, off, s32 offset:368 ; 4-byte Folded Reload
	scratch_load_dword v2, off, s32 offset:372 ; 4-byte Folded Reload
	v_and_b32_e32 v1, 0xffff0000, v11
	;; [unrolled: 7-line block ×4, first 2 shown]
	s_waitcnt vmcnt(0)
	v_fmac_f32_e32 v21, v0, v1
	s_waitcnt lgkmcnt(0)
	v_lshlrev_b32_e32 v0, 16, v22
	v_fmac_f32_e32 v18, v2, v0
	scratch_load_dword v0, off, s32 offset:392 ; 4-byte Folded Reload
	scratch_load_dword v2, off, s32 offset:396 ; 4-byte Folded Reload
	v_and_b32_e32 v1, 0xffff0000, v22
	s_waitcnt vmcnt(1)
	v_fmac_f32_e32 v20, v0, v1
	v_lshlrev_b32_e32 v0, 16, v23
	s_waitcnt vmcnt(0)
	v_fmac_f32_e32 v19, v2, v0
	scratch_load_dword v0, off, s32 offset:400 ; 4-byte Folded Reload
	scratch_load_dword v2, off, s32 offset:404 ; 4-byte Folded Reload
	v_and_b32_e32 v1, 0xffff0000, v23
	s_waitcnt vmcnt(1)
	v_fmac_f32_e32 v21, v0, v1
	v_lshlrev_b32_e32 v0, 16, v8
	s_waitcnt vmcnt(0)
	;; [unrolled: 8-line block ×22, first 2 shown]
	v_fmac_f32_e32 v18, v2, v0
	scratch_load_dword v0, off, s32 offset:572 ; 4-byte Folded Reload
	scratch_load_dword v2, off, s32 offset:576 ; 4-byte Folded Reload
	v_and_b32_e32 v1, 0xffff0000, v42
	s_waitcnt vmcnt(1)
	v_fmac_f32_e32 v20, v0, v1
	v_lshlrev_b32_e32 v0, 16, v43
	v_and_b32_e32 v1, 0xffff0000, v43
	s_waitcnt vmcnt(0)
	v_fmac_f32_e32 v19, v2, v0
	v_accvgpr_read_b32 v0, a36
	v_fmac_f32_e32 v21, v0, v1
	v_lshlrev_b32_e32 v0, 16, v40
	v_accvgpr_read_b32 v2, a37
	v_and_b32_e32 v1, 0xffff0000, v40
	v_fmac_f32_e32 v18, v2, v0
	v_accvgpr_read_b32 v0, a38
	v_fmac_f32_e32 v20, v0, v1
	v_lshlrev_b32_e32 v0, 16, v41
	v_accvgpr_read_b32 v2, a39
	v_and_b32_e32 v1, 0xffff0000, v41
	;; [unrolled: 6-line block ×12, first 2 shown]
	v_fmac_f32_e32 v19, v2, v0
	v_accvgpr_read_b32 v0, a60
	v_accvgpr_read_b32 v2, a34
	v_fmac_f32_e32 v21, v0, v1
	v_lshlrev_b32_e32 v0, 16, v2
	v_and_b32_e32 v1, 0xffff0000, v2
	v_accvgpr_read_b32 v2, a61
	v_accvgpr_read_b32 v3, a35
	v_fmac_f32_e32 v18, v2, v0
	v_accvgpr_read_b32 v0, a62
	v_fmac_f32_e32 v20, v0, v1
	v_lshlrev_b32_e32 v0, 16, v3
	v_accvgpr_read_b32 v2, a63
	v_and_b32_e32 v1, 0xffff0000, v3
	v_fmac_f32_e32 v19, v2, v0
	v_accvgpr_read_b32 v0, a13
	v_accvgpr_read_b32 v2, a32
	v_fmac_f32_e32 v21, v0, v1
	v_lshlrev_b32_e32 v0, 16, v2
	v_and_b32_e32 v1, 0xffff0000, v2
	v_accvgpr_read_b32 v2, a16
	v_accvgpr_read_b32 v3, a33
	v_fmac_f32_e32 v18, v2, v0
	v_accvgpr_read_b32 v0, a17
	v_fmac_f32_e32 v20, v0, v1
	v_lshlrev_b32_e32 v0, 16, v3
	v_accvgpr_read_b32 v2, a56
	v_and_b32_e32 v1, 0xffff0000, v3
	;; [unrolled: 14-line block ×6, first 2 shown]
	v_fmac_f32_e32 v19, v2, v0
	v_accvgpr_read_b32 v0, a20
	v_fmac_f32_e32 v21, v0, v1
	v_add_f32_e32 v0, v18, v20
	v_add_f32_e32 v0, v0, v19
	;; [unrolled: 1-line block ×3, first 2 shown]
	v_accvgpr_read_b32 v1, a21
	ds_bpermute_b32 v1, v1, v0
	s_and_saveexec_b64 s[28:29], vcc
	s_cbranch_execz .LBB189_9
; %bb.11:                               ;   in Loop: Header=BB189_10 Depth=1
	scratch_load_dword v3, off, s32 offset:584 ; 4-byte Folded Reload
	v_sub_u32_e32 v2, 1, v62
	v_add_u32_e32 v2, v2, v26
	v_cvt_f32_i32_e32 v2, v2
	s_load_dword s8, s[24:25], 0x0
	s_waitcnt lgkmcnt(0)
	v_add_f32_e32 v0, v0, v1
	v_add_u32_e32 v1, s8, v12
	v_cmp_lt_i32_e64 s[8:9], v26, v62
	s_waitcnt vmcnt(0)
	v_mul_f32_e32 v2, v3, v2
	scratch_load_dword v3, off, s32 offset:580 ; 4-byte Folded Reload
	v_cndmask_b32_e64 v2, 0, v2, s[6:7]
	s_waitcnt vmcnt(0)
	v_fmac_f32_e32 v2, v0, v3
	v_cndmask_b32_e64 v0, 0, v2, s[8:9]
	ds_write_b32 v1, v0
	v_max_f32_e32 v0, v13, v13
	v_max_f32_e32 v0, v0, v2
	v_cndmask_b32_e64 v13, v13, v0, s[8:9]
	s_branch .LBB189_9
.LBB189_12:
	s_or_b64 exec, exec, s[26:27]
	scratch_load_dwordx2 v[34:35], off, s32 offset:592 ; 8-byte Folded Reload
	scratch_load_dword v22, off, s32 offset:588 ; 4-byte Folded Reload
	scratch_load_dwordx2 v[50:51], off, s32 offset:200 ; 8-byte Folded Reload
	scratch_load_dwordx2 v[14:15], off, s32 offset:664 ; 8-byte Folded Reload
	;; [unrolled: 1-line block ×7, first 2 shown]
	scratch_load_dword v37, off, s32 offset:600 ; 4-byte Folded Reload
	scratch_load_dwordx2 v[54:55], off, s32 offset:604 ; 8-byte Folded Reload
	scratch_load_dword v48, off, s32 offset:628 ; 4-byte Folded Reload
	scratch_load_dword v12, off, s32 offset:612 ; 4-byte Folded Reload
	;; [unrolled: 1-line block ×3, first 2 shown]
.LBB189_13:
	s_or_b64 exec, exec, s[10:11]
	s_waitcnt vmcnt(1)
	v_xor_b32_e32 v0, 32, v12
	s_waitcnt vmcnt(0)
	v_cmp_lt_i32_e32 vcc, v0, v16
	v_xor_b32_e32 v3, 16, v12
	v_max_f32_e32 v2, v13, v13
	v_cndmask_b32_e32 v0, v12, v0, vcc
	v_lshlrev_b32_e32 v0, 2, v0
	s_waitcnt lgkmcnt(0)
	ds_bpermute_b32 v1, v0, v13
	v_cmp_lt_i32_e32 vcc, v3, v16
	v_xor_b32_e32 v4, 8, v12
	v_xor_b32_e32 v5, 4, v12
	;; [unrolled: 1-line block ×3, first 2 shown]
	s_waitcnt lgkmcnt(0)
	v_max_f32_e32 v1, v1, v1
	v_max_f32_e32 v2, v2, v1
	v_cndmask_b32_e32 v1, v12, v3, vcc
	v_lshlrev_b32_e32 v1, 2, v1
	ds_bpermute_b32 v3, v1, v2
	v_cmp_lt_i32_e32 vcc, v4, v16
	v_and_b32_e32 v7, 63, v22
	s_lshr_b32 s21, s21, 16
	s_waitcnt lgkmcnt(0)
	v_max_f32_e32 v3, v3, v3
	v_max_f32_e32 v2, v2, v3
	v_cndmask_b32_e32 v3, v12, v4, vcc
	v_lshlrev_b32_e32 v4, 2, v3
	ds_bpermute_b32 v3, v4, v2
	v_cmp_lt_i32_e32 vcc, v5, v16
	s_waitcnt lgkmcnt(0)
	v_max_f32_e32 v3, v3, v3
	v_max_f32_e32 v2, v2, v3
	v_cndmask_b32_e32 v3, v12, v5, vcc
	v_lshlrev_b32_e32 v5, 2, v3
	ds_bpermute_b32 v3, v5, v2
	v_cmp_lt_i32_e32 vcc, v6, v16
	s_waitcnt lgkmcnt(0)
	v_max_f32_e32 v3, v3, v3
	v_max_f32_e32 v2, v2, v3
	v_cndmask_b32_e32 v3, v12, v6, vcc
	v_lshlrev_b32_e32 v23, 2, v3
	ds_bpermute_b32 v3, v23, v2
	v_cmp_eq_u32_e32 vcc, 0, v7
	v_lshlrev_b32_e32 v6, 2, v48
	s_and_saveexec_b64 s[6:7], vcc
	s_cbranch_execz .LBB189_15
; %bb.14:
	s_waitcnt lgkmcnt(0)
	v_max_f32_e32 v3, v3, v3
	v_max_f32_e32 v2, v2, v2
	;; [unrolled: 1-line block ×3, first 2 shown]
	ds_write_b32 v6, v2 offset:512
.LBB189_15:
	s_or_b64 exec, exec, s[6:7]
	s_waitcnt lgkmcnt(0)
	s_barrier
	v_cmp_gt_u32_e64 s[6:7], 2, v7
	v_mov_b32_e32 v2, 0xff7fffff
	scratch_store_dword off, v7, s32 offset:480 ; 4-byte Folded Spill
	v_lshlrev_b32_e32 v7, 2, v7
	s_and_saveexec_b64 s[8:9], s[6:7]
	s_cbranch_execz .LBB189_17
; %bb.16:
	ds_read_b32 v2, v7 offset:512
.LBB189_17:
	s_or_b64 exec, exec, s[8:9]
	scratch_load_dword v8, off, s32 offset:188 ; 4-byte Folded Reload
	v_xor_b32_e32 v3, 1, v12
	v_cmp_lt_i32_e64 s[8:9], v3, v16
	v_mov_b32_e32 v16, 0
	s_waitcnt vmcnt(0)
	v_subrev_u32_e32 v8, s15, v8
	v_cndmask_b32_e64 v3, v12, v3, s[8:9]
	v_lshlrev_b32_e32 v36, 2, v3
	s_waitcnt lgkmcnt(0)
	ds_bpermute_b32 v3, v36, v2
	v_max_f32_e32 v2, v2, v2
	v_lshl_add_u32 v8, v8, 5, s30
	v_min_i32_e32 v8, v8, v62
	s_waitcnt lgkmcnt(0)
	v_max_f32_e32 v3, v3, v3
	v_max_f32_e32 v2, v2, v3
	v_lshlrev_b32_e32 v3, 2, v12
	v_and_b32_e32 v9, 0xffffff00, v3
	ds_bpermute_b32 v2, v9, v2
	v_subrev_u32_e32 v3, s30, v8
	v_cmp_lt_i32_e64 s[8:9], v22, v3
	s_and_saveexec_b64 s[24:25], s[8:9]
	s_cbranch_execz .LBB189_21
; %bb.18:
	s_ashr_i32 s23, s22, 31
	s_lshl_b64 s[10:11], s[22:23], 2
	s_getpc_b64 s[26:27]
	s_add_u32 s26, s26, llvm.amdgcn.dynlds.offset.table@rel32@lo+4
	s_addc_u32 s27, s27, llvm.amdgcn.dynlds.offset.table@rel32@hi+12
	s_add_u32 s10, s10, s26
	s_addc_u32 s11, s11, s27
	s_load_dword s10, s[10:11], 0x0
	s_mov_b64 s[26:27], 0
	v_mov_b32_e32 v16, 0
	v_mov_b32_e32 v12, v22
	s_waitcnt lgkmcnt(0)
	v_lshl_add_u32 v17, v22, 2, s10
.LBB189_19:                             ; =>This Inner Loop Header: Depth=1
	ds_read_b32 v13, v17
	v_add_u32_e32 v12, 0x80, v12
	v_cmp_ge_i32_e64 s[10:11], v12, v3
	s_or_b64 s[26:27], s[10:11], s[26:27]
	s_waitcnt lgkmcnt(0)
	v_sub_f32_e32 v13, v13, v2
	v_mul_f32_e32 v13, 0x3fb8aa3b, v13
	v_exp_f32_e32 v13, v13
	ds_write_b32 v17, v13
	v_add_f32_e32 v16, v16, v13
	v_add_u32_e32 v17, 0x200, v17
	s_andn2_b64 exec, exec, s[26:27]
	s_cbranch_execnz .LBB189_19
; %bb.20:
	s_or_b64 exec, exec, s[26:27]
.LBB189_21:
	s_or_b64 exec, exec, s[24:25]
	ds_bpermute_b32 v0, v0, v16
	s_waitcnt lgkmcnt(0)
	v_add_f32_e32 v0, v16, v0
	ds_bpermute_b32 v1, v1, v0
	s_waitcnt lgkmcnt(0)
	v_add_f32_e32 v0, v0, v1
	;; [unrolled: 3-line block ×6, first 2 shown]
	s_and_saveexec_b64 s[10:11], vcc
	s_cbranch_execz .LBB189_23
; %bb.22:
	ds_write_b32 v6, v0 offset:520
.LBB189_23:
	s_or_b64 exec, exec, s[10:11]
	s_waitcnt lgkmcnt(0)
	s_barrier
	s_and_saveexec_b64 s[10:11], s[6:7]
	s_cbranch_execz .LBB189_25
; %bb.24:
	ds_read_b32 v0, v7 offset:520
.LBB189_25:
	s_or_b64 exec, exec, s[10:11]
	s_waitcnt lgkmcnt(0)
	ds_bpermute_b32 v1, v36, v0
	s_waitcnt lgkmcnt(0)
	v_add_f32_e32 v0, v0, v1
	ds_bpermute_b32 v4, v9, v0
	s_and_saveexec_b64 s[6:7], s[8:9]
	s_cbranch_execz .LBB189_38
; %bb.26:
	s_waitcnt lgkmcnt(0)
	v_add_f32_e32 v0, 0x358637bd, v4
	v_div_scale_f32 v1, s[8:9], v0, v0, 1.0
	v_rcp_f32_e32 v5, v1
	v_div_scale_f32 v6, vcc, 1.0, v0, 1.0
	s_movk_i32 s8, 0x7f
	v_fma_f32 v7, -v1, v5, 1.0
	v_fmac_f32_e32 v5, v7, v5
	v_mul_f32_e32 v7, v6, v5
	v_fma_f32 v9, -v1, v7, v6
	v_fmac_f32_e32 v7, v9, v5
	v_fma_f32 v1, -v1, v7, v6
	v_div_fmas_f32 v1, v1, v5, v7
	v_div_fixup_f32 v0, v1, v0, 1.0
	v_xad_u32 v1, v22, -1, v8
	v_subrev_u32_e32 v5, s30, v1
	v_cmp_lt_u32_e32 vcc, s8, v5
	s_mov_b64 s[10:11], -1
	v_mov_b32_e32 v1, v22
	s_and_saveexec_b64 s[8:9], vcc
	s_cbranch_execz .LBB189_35
; %bb.27:
	v_lshrrev_b32_e32 v5, 7, v5
	v_add_u32_e32 v7, -1, v5
	v_lshrrev_b32_e32 v6, 1, v7
	v_mov_b32_e32 v1, v0
	v_add_u32_e32 v6, 1, v6
	v_cmp_lt_u32_e32 vcc, 13, v7
	v_mov_b32_e32 v9, 0
	s_and_saveexec_b64 s[10:11], vcc
	s_cbranch_execz .LBB189_31
; %bb.28:
	s_ashr_i32 s23, s22, 31
	s_lshl_b64 s[24:25], s[22:23], 2
	s_getpc_b64 s[26:27]
	s_add_u32 s26, s26, llvm.amdgcn.dynlds.offset.table@rel32@lo+4
	s_addc_u32 s27, s27, llvm.amdgcn.dynlds.offset.table@rel32@hi+12
	s_add_u32 s24, s24, s26
	s_addc_u32 s25, s25, s27
	s_load_dword s23, s[24:25], 0x0
	v_mov_b32_e32 v18, v36
	v_and_b32_e32 v7, -8, v6
	s_mov_b32 s15, 0
	s_mov_b64 s[24:25], 0
	s_waitcnt lgkmcnt(0)
	v_lshl_add_u32 v8, v22, 2, s23
.LBB189_29:                             ; =>This Inner Loop Header: Depth=1
	ds_read2st64_b32 v[24:25], v8 offset1:2
	ds_read2st64_b32 v[12:13], v8 offset0:4 offset1:6
	ds_read2st64_b32 v[20:21], v8 offset0:8 offset1:10
	;; [unrolled: 1-line block ×3, first 2 shown]
	v_add_u32_e32 v7, -8, v7
	s_waitcnt lgkmcnt(3)
	v_pk_mul_f32 v[24:25], v[0:1], v[24:25]
	s_waitcnt lgkmcnt(2)
	v_pk_mul_f32 v[12:13], v[0:1], v[12:13]
	ds_write2st64_b32 v8, v24, v25 offset1:2
	ds_write2st64_b32 v8, v12, v13 offset0:4 offset1:6
	ds_read2st64_b32 v[12:13], v8 offset0:16 offset1:18
	s_waitcnt lgkmcnt(4)
	v_pk_mul_f32 v[20:21], v[0:1], v[20:21]
	s_waitcnt lgkmcnt(3)
	v_pk_mul_f32 v[16:17], v[0:1], v[16:17]
	ds_write2st64_b32 v8, v20, v21 offset0:8 offset1:10
	ds_write2st64_b32 v8, v16, v17 offset0:12 offset1:14
	s_waitcnt lgkmcnt(2)
	v_pk_mul_f32 v[12:13], v[0:1], v[12:13]
	ds_read2st64_b32 v[20:21], v8 offset0:20 offset1:22
	ds_read2st64_b32 v[16:17], v8 offset0:24 offset1:26
	ds_write2st64_b32 v8, v12, v13 offset0:16 offset1:18
	ds_read2st64_b32 v[12:13], v8 offset0:28 offset1:30
	s_add_i32 s15, s15, 16
	s_waitcnt lgkmcnt(3)
	v_pk_mul_f32 v[20:21], v[0:1], v[20:21]
	s_waitcnt lgkmcnt(2)
	v_pk_mul_f32 v[16:17], v[0:1], v[16:17]
	v_cmp_eq_u32_e32 vcc, 0, v7
	s_waitcnt lgkmcnt(0)
	v_pk_mul_f32 v[12:13], v[0:1], v[12:13]
	ds_write2st64_b32 v8, v20, v21 offset0:20 offset1:22
	ds_write2st64_b32 v8, v16, v17 offset0:24 offset1:26
	;; [unrolled: 1-line block ×3, first 2 shown]
	v_add_u32_e32 v8, 0x2000, v8
	s_or_b64 s[24:25], vcc, s[24:25]
	v_mov_b32_e32 v9, s15
	s_andn2_b64 exec, exec, s[24:25]
	s_cbranch_execnz .LBB189_29
; %bb.30:
	s_or_b64 exec, exec, s[24:25]
	v_mov_b32_e32 v36, v18
.LBB189_31:
	s_or_b64 exec, exec, s[10:11]
	v_and_b32_e32 v6, 7, v6
	v_cmp_ne_u32_e32 vcc, 0, v6
	s_and_saveexec_b64 s[10:11], vcc
	s_cbranch_execz .LBB189_34
; %bb.32:
	s_ashr_i32 s23, s22, 31
	s_lshl_b64 s[24:25], s[22:23], 2
	s_getpc_b64 s[26:27]
	s_add_u32 s26, s26, llvm.amdgcn.dynlds.offset.table@rel32@lo+4
	s_addc_u32 s27, s27, llvm.amdgcn.dynlds.offset.table@rel32@hi+12
	s_add_u32 s24, s24, s26
	s_addc_u32 s25, s25, s27
	s_load_dword s15, s[24:25], 0x0
	v_lshlrev_b32_e32 v7, 9, v9
	v_lshlrev_b32_e32 v8, 2, v22
	s_mov_b64 s[24:25], 0
	s_waitcnt lgkmcnt(0)
	v_add3_u32 v7, v7, v8, s15
.LBB189_33:                             ; =>This Inner Loop Header: Depth=1
	ds_read2st64_b32 v[8:9], v7 offset1:2
	v_add_u32_e32 v6, -1, v6
	v_cmp_eq_u32_e32 vcc, 0, v6
	s_or_b64 s[24:25], vcc, s[24:25]
	s_waitcnt lgkmcnt(0)
	v_pk_mul_f32 v[8:9], v[0:1], v[8:9]
	ds_write2st64_b32 v7, v8, v9 offset1:2
	v_add_u32_e32 v7, 0x400, v7
	s_andn2_b64 exec, exec, s[24:25]
	s_cbranch_execnz .LBB189_33
.LBB189_34:
	s_or_b64 exec, exec, s[10:11]
	v_add_u32_e32 v5, 1, v5
	v_and_b32_e32 v6, 0x3fffffe, v5
	v_cmp_ne_u32_e32 vcc, v5, v6
	v_lshl_add_u32 v1, v6, 7, v22
	s_orn2_b64 s[10:11], vcc, exec
.LBB189_35:
	s_or_b64 exec, exec, s[8:9]
	s_and_b64 exec, exec, s[10:11]
	s_cbranch_execz .LBB189_38
; %bb.36:
	s_ashr_i32 s23, s22, 31
	s_lshl_b64 s[8:9], s[22:23], 2
	s_getpc_b64 s[10:11]
	s_add_u32 s10, s10, llvm.amdgcn.dynlds.offset.table@rel32@lo+4
	s_addc_u32 s11, s11, llvm.amdgcn.dynlds.offset.table@rel32@hi+12
	s_add_u32 s8, s8, s10
	s_addc_u32 s9, s9, s11
	s_load_dword s8, s[8:9], 0x0
	s_waitcnt lgkmcnt(0)
	v_lshl_add_u32 v5, v1, 2, s8
	s_mov_b64 s[8:9], 0
.LBB189_37:                             ; =>This Inner Loop Header: Depth=1
	ds_read_b32 v6, v5
	v_add_u32_e32 v1, 0x80, v1
	v_cmp_ge_i32_e32 vcc, v1, v3
	s_or_b64 s[8:9], vcc, s[8:9]
	s_waitcnt lgkmcnt(0)
	v_mul_f32_e32 v6, v0, v6
	ds_write_b32 v5, v6
	v_add_u32_e32 v5, 0x200, v5
	s_andn2_b64 exec, exec, s[8:9]
	s_cbranch_execnz .LBB189_37
.LBB189_38:
	s_or_b64 exec, exec, s[6:7]
	v_cmp_ne_u16_e64 s[6:7], s21, 0
	s_cmp_lg_u64 s[6:7], 0
	s_addc_u32 s13, s13, 0
	v_cmp_eq_u32_e32 vcc, 0, v22
	s_waitcnt lgkmcnt(0)
	s_barrier
	s_and_saveexec_b64 s[6:7], vcc
	s_cbranch_execz .LBB189_40
; %bb.39:
	s_mul_i32 s8, s13, s18
	s_mul_i32 s8, s8, s19
	;; [unrolled: 1-line block ×3, first 2 shown]
	s_ashr_i32 s9, s8, 31
	s_ashr_i32 s11, s10, 31
	;; [unrolled: 1-line block ×3, first 2 shown]
	s_lshl_b64 s[8:9], s[8:9], 2
	s_lshl_b64 s[10:11], s[10:11], 2
	;; [unrolled: 1-line block ×3, first 2 shown]
	s_add_u32 s10, s24, s10
	s_addc_u32 s11, s25, s11
	s_add_u32 s8, s10, s8
	s_addc_u32 s9, s11, s9
	v_lshl_add_u64 v[0:1], s[8:9], 0, v[28:29]
	flat_store_dword v[0:1], v2
	v_lshl_add_u64 v[0:1], s[8:9], 0, v[26:27]
	flat_store_dword v[0:1], v4
.LBB189_40:
	s_or_b64 exec, exec, s[6:7]
	v_mov_b32_e32 v32, 0
	v_and_b32_e32 v0, 3, v22
	v_mov_b32_e32 v33, 0
	v_mov_b32_e32 v30, 0
	v_mov_b32_e32 v31, 0
	v_mov_b32_e32 v28, 0
	v_mov_b32_e32 v29, 0
	v_mov_b32_e32 v26, 0
	v_mov_b32_e32 v27, 0
	v_mov_b32_e32 v24, 0
	v_mov_b32_e32 v25, 0
	v_mov_b32_e32 v20, 0
	v_mov_b32_e32 v21, 0
	v_mov_b32_e32 v18, 0
	v_mov_b32_e32 v19, 0
	v_mov_b32_e32 v12, 0
	v_mov_b32_e32 v13, 0
	scratch_store_dword off, v0, s32 offset:476 ; 4-byte Folded Spill
	s_and_saveexec_b64 s[6:7], s[4:5]
	s_cbranch_execz .LBB189_620
; %bb.41:
	v_lshl_add_u64 v[2:3], v[54:55], 1, v[10:11]
	scratch_store_dword off, v36, s32 offset:488 ; 4-byte Folded Spill
	scratch_store_dword off, v23, s32 offset:484 ; 4-byte Folded Spill
	v_and_b32_e32 v1, 24, v38
	scratch_store_dwordx2 off, v[2:3], s32 offset:468 ; 8-byte Folded Spill
	v_lshl_add_u32 v3, v48, 5, s30
	v_add3_u32 v17, v3, v1, 7
	scratch_load_dword v1, off, s32 offset:476 ; 4-byte Folded Reload
	v_add_u32_e32 v0, -1, v37
	scratch_store_dword off, v0, s32 offset:464 ; 4-byte Folded Spill
	v_and_b32_e32 v0, 0x1f8, v38
	v_or_b32_e32 v2, 0x800, v0
	v_or_b32_e32 v4, 0xa00, v0
	;; [unrolled: 1-line block ×11, first 2 shown]
	v_lshlrev_b32_e32 v34, 1, v0
	v_lshlrev_b32_e32 v0, 1, v2
	s_ashr_i32 s23, s22, 31
	s_lshl_b64 s[4:5], s[22:23], 2
	s_getpc_b64 s[8:9]
	s_add_u32 s8, s8, llvm.amdgcn.dynlds.offset.table@rel32@lo+4
	s_addc_u32 s9, s9, llvm.amdgcn.dynlds.offset.table@rel32@hi+12
	s_add_u32 s4, s4, s8
	s_addc_u32 s5, s5, s9
	s_load_dword s4, s[4:5], 0x0
	v_lshlrev_b64 v[22:23], 2, v[50:51]
	v_mov_b32_e32 v35, 0
	v_or_b32_e32 v26, 0x1e00, v38
	v_lshl_add_u64 v[22:23], v[52:53], 2, v[22:23]
	v_lshl_add_u64 v[36:37], v[14:15], 0, v[22:23]
	s_mov_b64 s[8:9], 0
	s_mov_b32 s12, 0x7f800000
	s_movk_i32 s15, 0x7fff
	v_mov_b32_e32 v13, v35
	v_mov_b32_e32 v19, v35
	;; [unrolled: 1-line block ×10, first 2 shown]
	s_waitcnt vmcnt(0)
	v_lshlrev_b32_e32 v1, 5, v1
	v_lshl_or_b32 v1, v48, 7, v1
	scratch_store_dwordx2 off, v[0:1], s32 offset:208 ; 8-byte Folded Spill
	v_lshlrev_b32_e32 v0, 1, v4
	scratch_store_dwordx2 off, v[0:1], s32 offset:216 ; 8-byte Folded Spill
	v_lshlrev_b32_e32 v0, 1, v6
	;; [unrolled: 2-line block ×10, first 2 shown]
	s_waitcnt lgkmcnt(0)
	v_add_u32_e32 v22, s4, v1
	scratch_store_dwordx2 off, v[0:1], s32 offset:288 ; 8-byte Folded Spill
	v_lshlrev_b32_e32 v0, 1, v26
	v_mov_b32_e32 v12, v35
	v_mov_b32_e32 v18, v35
	;; [unrolled: 1-line block ×6, first 2 shown]
	scratch_store_dwordx2 off, v[0:1], s32 offset:296 ; 8-byte Folded Spill
	s_branch .LBB189_43
.LBB189_42:                             ;   in Loop: Header=BB189_43 Depth=1
	s_or_b64 exec, exec, s[4:5]
	v_and_b32_e32 v37, 0xffff0000, v42
	v_and_b32_e32 v38, 0xffff0000, v41
	;; [unrolled: 1-line block ×4, first 2 shown]
	v_add_f32_e32 v37, v38, v37
	v_add_f32_e32 v14, v14, v15
	;; [unrolled: 1-line block ×3, first 2 shown]
	v_and_b32_e32 v15, 0xffff0000, v44
	v_and_b32_e32 v37, 0xffff0000, v43
	v_add_f32_e32 v15, v37, v15
	v_add_f32_e32 v14, v14, v15
	v_and_b32_e32 v15, 0xffff0000, v45
	v_and_b32_e32 v37, 0xffff0000, v46
	v_add_f32_e32 v15, v15, v37
	v_add_f32_e32 v14, v14, v15
	;; [unrolled: 1-line block ×3, first 2 shown]
	v_and_b32_e32 v14, 0xffff0000, v51
	v_and_b32_e32 v9, 0xffff0000, v9
	v_add_f32_e32 v9, v9, v14
	v_and_b32_e32 v14, 0xffff0000, v52
	v_and_b32_e32 v8, 0xffff0000, v8
	v_add_f32_e32 v8, v8, v14
	v_add_f32_e32 v8, v9, v8
	v_and_b32_e32 v9, 0xffff0000, v54
	v_and_b32_e32 v14, 0xffff0000, v53
	v_add_f32_e32 v9, v14, v9
	;; [unrolled: 4-line block ×3, first 2 shown]
	v_add_f32_e32 v8, v8, v9
	v_add_f32_e32 v19, v19, v8
	v_and_b32_e32 v8, 0xffff0000, v11
	v_and_b32_e32 v9, 0xffff0000, v10
	v_add_f32_e32 v8, v9, v8
	v_and_b32_e32 v9, 0xffff0000, v60
	v_and_b32_e32 v10, 0xffff0000, v23
	v_add_f32_e32 v9, v10, v9
	v_add_f32_e32 v8, v8, v9
	v_and_b32_e32 v9, 0xffff0000, v61
	v_and_b32_e32 v10, 0xffff0000, v16
	v_add_f32_e32 v9, v10, v9
	;; [unrolled: 4-line block ×3, first 2 shown]
	v_add_f32_e32 v4, v8, v4
	v_add_f32_e32 v18, v18, v4
	v_accvgpr_read_b32 v4, a2
	v_accvgpr_read_b32 v8, a8
	v_and_b32_e32 v4, 0xffff0000, v4
	v_and_b32_e32 v8, 0xffff0000, v8
	v_add_f32_e32 v4, v8, v4
	v_accvgpr_read_b32 v8, a0
	v_accvgpr_read_b32 v9, a9
	v_and_b32_e32 v8, 0xffff0000, v8
	v_and_b32_e32 v9, 0xffff0000, v9
	v_add_f32_e32 v8, v9, v8
	v_add_f32_e32 v4, v4, v8
	v_accvgpr_read_b32 v8, a5
	v_accvgpr_read_b32 v9, a1
	v_and_b32_e32 v8, 0xffff0000, v8
	v_and_b32_e32 v9, 0xffff0000, v9
	v_add_f32_e32 v8, v9, v8
	v_add_f32_e32 v4, v4, v8
	v_accvgpr_read_b32 v8, a7
	v_accvgpr_read_b32 v9, a12
	v_and_b32_e32 v8, 0xffff0000, v8
	v_and_b32_e32 v9, 0xffff0000, v9
	v_add_f32_e32 v8, v8, v9
	v_add_f32_e32 v4, v4, v8
	v_add_f32_e32 v21, v21, v4
	v_accvgpr_read_b32 v4, a57
	v_accvgpr_read_b32 v8, a56
	v_and_b32_e32 v4, 0xffff0000, v4
	v_and_b32_e32 v8, 0xffff0000, v8
	v_add_f32_e32 v4, v8, v4
	v_accvgpr_read_b32 v8, a59
	v_accvgpr_read_b32 v9, a58
	v_and_b32_e32 v8, 0xffff0000, v8
	v_and_b32_e32 v9, 0xffff0000, v9
	v_add_f32_e32 v8, v9, v8
	v_add_f32_e32 v4, v4, v8
	v_accvgpr_read_b32 v8, a61
	v_accvgpr_read_b32 v9, a60
	v_and_b32_e32 v8, 0xffff0000, v8
	v_and_b32_e32 v9, 0xffff0000, v9
	v_add_f32_e32 v8, v9, v8
	v_add_f32_e32 v4, v4, v8
	v_accvgpr_read_b32 v8, a62
	v_accvgpr_read_b32 v9, a63
	v_and_b32_e32 v8, 0xffff0000, v8
	v_and_b32_e32 v9, 0xffff0000, v9
	v_add_f32_e32 v8, v8, v9
	;; [unrolled: 24-line block ×7, first 2 shown]
	v_add_f32_e32 v4, v4, v8
	v_add_f32_e32 v29, v29, v4
	scratch_load_dword v4, off, s32 offset:440 ; 4-byte Folded Reload
	scratch_load_dword v9, off, s32 offset:444 ; 4-byte Folded Reload
	;; [unrolled: 1-line block ×3, first 2 shown]
	scratch_load_dwordx2 v[50:51], off, s32 offset:200 ; 8-byte Folded Reload
	v_and_b32_e32 v1, 0xffff0000, v1
	v_and_b32_e32 v0, 0xffff0000, v0
	;; [unrolled: 1-line block ×4, first 2 shown]
	v_add_u32_e32 v17, 64, v17
	v_add_u32_e32 v22, 0x100, v22
	scratch_load_dword v10, off, s32 offset:428 ; 4-byte Folded Reload
	scratch_load_dword v11, off, s32 offset:432 ; 4-byte Folded Reload
	;; [unrolled: 1-line block ×5, first 2 shown]
	s_waitcnt vmcnt(8)
	v_and_b32_e32 v4, 0xffff0000, v4
	s_waitcnt vmcnt(7)
	v_and_b32_e32 v9, 0xffff0000, v9
	;; [unrolled: 2-line block ×3, first 2 shown]
	v_add_f32_e32 v4, v8, v4
	scratch_load_dword v8, off, s32 offset:448 ; 4-byte Folded Reload
	s_waitcnt vmcnt(5)
	v_and_b32_e32 v10, 0xffff0000, v10
	s_waitcnt vmcnt(4)
	v_and_b32_e32 v11, 0xffff0000, v11
	;; [unrolled: 2-line block ×6, first 2 shown]
	v_add_f32_e32 v8, v9, v8
	v_add_f32_e32 v4, v4, v8
	scratch_load_dword v8, off, s32 offset:456 ; 4-byte Folded Reload
	scratch_load_dword v9, off, s32 offset:452 ; 4-byte Folded Reload
	s_waitcnt vmcnt(1)
	v_and_b32_e32 v8, 0xffff0000, v8
	s_waitcnt vmcnt(0)
	v_and_b32_e32 v9, 0xffff0000, v9
	v_add_f32_e32 v8, v9, v8
	v_add_f32_e32 v4, v4, v8
	scratch_load_dword v8, off, s32 offset:460 ; 4-byte Folded Reload
	v_accvgpr_read_b32 v9, a3
	v_and_b32_e32 v9, 0xffff0000, v9
	s_waitcnt vmcnt(0)
	v_and_b32_e32 v8, 0xffff0000, v8
	v_add_f32_e32 v8, v8, v9
	v_add_f32_e32 v4, v4, v8
	;; [unrolled: 1-line block ×3, first 2 shown]
	scratch_load_dword v4, off, s32 offset:408 ; 4-byte Folded Reload
	scratch_load_dword v9, off, s32 offset:412 ; 4-byte Folded Reload
	scratch_load_dword v8, off, s32 offset:404 ; 4-byte Folded Reload
	s_waitcnt vmcnt(2)
	v_and_b32_e32 v4, 0xffff0000, v4
	s_waitcnt vmcnt(1)
	v_and_b32_e32 v9, 0xffff0000, v9
	;; [unrolled: 2-line block ×3, first 2 shown]
	v_add_f32_e32 v4, v8, v4
	scratch_load_dword v8, off, s32 offset:416 ; 4-byte Folded Reload
	s_waitcnt vmcnt(0)
	v_and_b32_e32 v8, 0xffff0000, v8
	v_add_f32_e32 v8, v9, v8
	v_add_f32_e32 v4, v4, v8
	scratch_load_dword v8, off, s32 offset:424 ; 4-byte Folded Reload
	scratch_load_dword v9, off, s32 offset:420 ; 4-byte Folded Reload
	s_waitcnt vmcnt(1)
	v_and_b32_e32 v8, 0xffff0000, v8
	s_waitcnt vmcnt(0)
	v_and_b32_e32 v9, 0xffff0000, v9
	v_add_f32_e32 v8, v9, v8
	v_add_f32_e32 v4, v4, v8
	;; [unrolled: 1-line block ×5, first 2 shown]
	scratch_load_dword v4, off, s32 offset:392 ; 4-byte Folded Reload
	scratch_load_dword v8, off, s32 offset:388 ; 4-byte Folded Reload
	;; [unrolled: 1-line block ×5, first 2 shown]
	s_waitcnt vmcnt(4)
	v_and_b32_e32 v4, 0xffff0000, v4
	s_waitcnt vmcnt(3)
	v_and_b32_e32 v8, 0xffff0000, v8
	;; [unrolled: 2-line block ×5, first 2 shown]
	v_add_f32_e32 v11, v14, v11
	v_add_f32_e32 v9, v10, v9
	;; [unrolled: 1-line block ×8, first 2 shown]
	scratch_load_dword v4, off, s32 offset:364 ; 4-byte Folded Reload
	scratch_load_dword v16, off, s32 offset:368 ; 4-byte Folded Reload
	;; [unrolled: 1-line block ×7, first 2 shown]
	v_and_b32_e32 v15, 0xffff0000, v57
	s_waitcnt vmcnt(6)
	v_and_b32_e32 v4, 0xffff0000, v4
	s_waitcnt vmcnt(5)
	;; [unrolled: 2-line block ×7, first 2 shown]
	v_and_b32_e32 v14, 0xffff0000, v14
	v_add_f32_e32 v11, v14, v11
	v_add_f32_e32 v9, v10, v9
	;; [unrolled: 1-line block ×8, first 2 shown]
	scratch_load_dword v4, off, s32 offset:332 ; 4-byte Folded Reload
	scratch_load_dword v16, off, s32 offset:340 ; 4-byte Folded Reload
	;; [unrolled: 1-line block ×8, first 2 shown]
	s_waitcnt vmcnt(7)
	v_and_b32_e32 v4, 0xffff0000, v4
	s_waitcnt vmcnt(6)
	v_and_b32_e32 v16, 0xffff0000, v16
	;; [unrolled: 2-line block ×7, first 2 shown]
	v_add_f32_e32 v11, v14, v11
	v_add_f32_e32 v9, v10, v9
	;; [unrolled: 1-line block ×5, first 2 shown]
	v_and_b32_e32 v9, 0xffff0000, v36
	scratch_load_dwordx2 v[36:37], off, s32 offset:304 ; 8-byte Folded Reload
	s_waitcnt vmcnt(1)
	v_and_b32_e32 v15, 0xffff0000, v15
	v_add_f32_e32 v8, v15, v16
	v_add_f32_e32 v4, v4, v8
	v_and_b32_e32 v8, 0xffff0000, v7
	v_and_b32_e32 v7, 0xffff0000, v6
	;; [unrolled: 1-line block ×3, first 2 shown]
	v_pk_add_f32 v[0:1], v[0:1], v[6:7]
	v_pk_add_f32 v[2:3], v[2:3], v[8:9]
	v_add_f32_e32 v0, v0, v1
	v_add_f32_e32 v0, v0, v2
	;; [unrolled: 1-line block ×4, first 2 shown]
	scratch_load_dword v0, off, s32 offset:188 ; 4-byte Folded Reload
	v_add_u32_e32 v50, 2, v50
	v_add_f32_e32 v32, v32, v4
	s_waitcnt vmcnt(1)
	v_lshl_add_u64 v[36:37], v[36:37], 0, 8
	s_waitcnt vmcnt(0)
	v_cmp_ge_i32_e32 vcc, v50, v0
	s_or_b64 s[8:9], vcc, s[8:9]
	s_andn2_b64 exec, exec, s[8:9]
	s_cbranch_execz .LBB189_619
.LBB189_43:                             ; =>This Inner Loop Header: Depth=1
	scratch_store_dwordx2 off, v[36:37], s32 offset:304 ; 8-byte Folded Spill
	flat_load_dword v36, v[36:37]
	ds_read2_b64 v[6:9], v22 offset1:1
	ds_read2_b64 v[0:3], v22 offset0:2 offset1:3
                                        ; implicit-def: $vgpr5
	s_waitcnt lgkmcnt(0)
	v_and_b32_e32 v4, 0x7f800000, v6
	v_cmp_ne_u32_e32 vcc, s12, v4
	s_and_saveexec_b64 s[4:5], vcc
	s_xor_b64 s[4:5], exec, s[4:5]
; %bb.44:                               ;   in Loop: Header=BB189_43 Depth=1
	v_bfe_u32 v4, v6, 16, 1
	v_add3_u32 v5, v6, v4, s15
; %bb.45:                               ;   in Loop: Header=BB189_43 Depth=1
	s_andn2_saveexec_b64 s[4:5], s[4:5]
; %bb.46:                               ;   in Loop: Header=BB189_43 Depth=1
	v_or_b32_e32 v4, 0x10000, v6
	v_cmp_eq_u32_sdwa vcc, v6, v35 src0_sel:WORD_0 src1_sel:DWORD
	s_nop 1
	v_cndmask_b32_e32 v5, v4, v6, vcc
; %bb.47:                               ;   in Loop: Header=BB189_43 Depth=1
	s_or_b64 exec, exec, s[4:5]
	v_and_b32_e32 v4, 0x7f800000, v7
	v_cmp_ne_u32_e32 vcc, s12, v4
                                        ; implicit-def: $vgpr23
	s_and_saveexec_b64 s[4:5], vcc
	s_xor_b64 s[4:5], exec, s[4:5]
; %bb.48:                               ;   in Loop: Header=BB189_43 Depth=1
	v_bfe_u32 v4, v7, 16, 1
	v_add3_u32 v23, v7, v4, s15
; %bb.49:                               ;   in Loop: Header=BB189_43 Depth=1
	s_andn2_saveexec_b64 s[4:5], s[4:5]
; %bb.50:                               ;   in Loop: Header=BB189_43 Depth=1
	v_or_b32_e32 v4, 0x10000, v7
	v_cmp_eq_u32_sdwa vcc, v7, v35 src0_sel:WORD_0 src1_sel:DWORD
	s_nop 1
	v_cndmask_b32_e32 v23, v4, v7, vcc
; %bb.51:                               ;   in Loop: Header=BB189_43 Depth=1
	s_or_b64 exec, exec, s[4:5]
	v_and_b32_e32 v4, 0x7f800000, v8
	v_cmp_ne_u32_e32 vcc, s12, v4
                                        ; implicit-def: $vgpr16
	s_and_saveexec_b64 s[4:5], vcc
	s_xor_b64 s[4:5], exec, s[4:5]
; %bb.52:                               ;   in Loop: Header=BB189_43 Depth=1
	v_bfe_u32 v4, v8, 16, 1
	v_add3_u32 v16, v8, v4, s15
; %bb.53:                               ;   in Loop: Header=BB189_43 Depth=1
	s_andn2_saveexec_b64 s[4:5], s[4:5]
; %bb.54:                               ;   in Loop: Header=BB189_43 Depth=1
	v_or_b32_e32 v4, 0x10000, v8
	v_cmp_eq_u32_sdwa vcc, v8, v35 src0_sel:WORD_0 src1_sel:DWORD
	s_nop 1
	v_cndmask_b32_e32 v16, v4, v8, vcc
; %bb.55:                               ;   in Loop: Header=BB189_43 Depth=1
	s_or_b64 exec, exec, s[4:5]
	v_and_b32_e32 v4, 0x7f800000, v9
	v_cmp_ne_u32_e32 vcc, s12, v4
                                        ; implicit-def: $vgpr15
	s_and_saveexec_b64 s[4:5], vcc
	s_xor_b64 s[4:5], exec, s[4:5]
; %bb.56:                               ;   in Loop: Header=BB189_43 Depth=1
	v_bfe_u32 v4, v9, 16, 1
	v_add3_u32 v15, v9, v4, s15
                                        ; implicit-def: $vgpr6_vgpr7_vgpr8_vgpr9
; %bb.57:                               ;   in Loop: Header=BB189_43 Depth=1
	s_andn2_saveexec_b64 s[4:5], s[4:5]
; %bb.58:                               ;   in Loop: Header=BB189_43 Depth=1
	v_or_b32_e32 v4, 0x10000, v9
	v_cmp_eq_u32_sdwa vcc, v9, v35 src0_sel:WORD_0 src1_sel:DWORD
	s_nop 1
	v_cndmask_b32_e32 v15, v4, v9, vcc
; %bb.59:                               ;   in Loop: Header=BB189_43 Depth=1
	s_or_b64 exec, exec, s[4:5]
	v_and_b32_e32 v4, 0x7f800000, v0
	v_cmp_ne_u32_e32 vcc, s12, v4
                                        ; implicit-def: $vgpr14
	s_and_saveexec_b64 s[4:5], vcc
	s_xor_b64 s[4:5], exec, s[4:5]
; %bb.60:                               ;   in Loop: Header=BB189_43 Depth=1
	v_bfe_u32 v4, v0, 16, 1
	v_add3_u32 v14, v0, v4, s15
; %bb.61:                               ;   in Loop: Header=BB189_43 Depth=1
	s_andn2_saveexec_b64 s[4:5], s[4:5]
; %bb.62:                               ;   in Loop: Header=BB189_43 Depth=1
	v_or_b32_e32 v4, 0x10000, v0
	v_cmp_eq_u32_sdwa vcc, v0, v35 src0_sel:WORD_0 src1_sel:DWORD
	s_nop 1
	v_cndmask_b32_e32 v14, v4, v0, vcc
; %bb.63:                               ;   in Loop: Header=BB189_43 Depth=1
	s_or_b64 exec, exec, s[4:5]
	v_and_b32_e32 v0, 0x7f800000, v1
	v_cmp_ne_u32_e32 vcc, s12, v0
                                        ; implicit-def: $vgpr11
	s_and_saveexec_b64 s[4:5], vcc
	s_xor_b64 s[4:5], exec, s[4:5]
; %bb.64:                               ;   in Loop: Header=BB189_43 Depth=1
	v_bfe_u32 v0, v1, 16, 1
	v_add3_u32 v11, v1, v0, s15
; %bb.65:                               ;   in Loop: Header=BB189_43 Depth=1
	s_andn2_saveexec_b64 s[4:5], s[4:5]
; %bb.66:                               ;   in Loop: Header=BB189_43 Depth=1
	v_or_b32_e32 v0, 0x10000, v1
	v_cmp_eq_u32_sdwa vcc, v1, v35 src0_sel:WORD_0 src1_sel:DWORD
	s_nop 1
	v_cndmask_b32_e32 v11, v0, v1, vcc
; %bb.67:                               ;   in Loop: Header=BB189_43 Depth=1
	s_or_b64 exec, exec, s[4:5]
	v_and_b32_e32 v0, 0x7f800000, v2
	v_cmp_ne_u32_e32 vcc, s12, v0
                                        ; implicit-def: $vgpr10
	s_and_saveexec_b64 s[4:5], vcc
	s_xor_b64 s[4:5], exec, s[4:5]
; %bb.68:                               ;   in Loop: Header=BB189_43 Depth=1
	v_bfe_u32 v0, v2, 16, 1
	v_add3_u32 v10, v2, v0, s15
; %bb.69:                               ;   in Loop: Header=BB189_43 Depth=1
	s_andn2_saveexec_b64 s[4:5], s[4:5]
; %bb.70:                               ;   in Loop: Header=BB189_43 Depth=1
	v_or_b32_e32 v0, 0x10000, v2
	v_cmp_eq_u32_sdwa vcc, v2, v35 src0_sel:WORD_0 src1_sel:DWORD
	s_nop 1
	v_cndmask_b32_e32 v10, v0, v2, vcc
; %bb.71:                               ;   in Loop: Header=BB189_43 Depth=1
	s_or_b64 exec, exec, s[4:5]
	v_and_b32_e32 v0, 0x7f800000, v3
	v_cmp_ne_u32_e32 vcc, s12, v0
                                        ; implicit-def: $vgpr4
	s_and_saveexec_b64 s[4:5], vcc
	s_xor_b64 s[4:5], exec, s[4:5]
; %bb.72:                               ;   in Loop: Header=BB189_43 Depth=1
	v_bfe_u32 v0, v3, 16, 1
	v_add3_u32 v4, v3, v0, s15
                                        ; implicit-def: $vgpr0_vgpr1_vgpr2_vgpr3
; %bb.73:                               ;   in Loop: Header=BB189_43 Depth=1
	s_andn2_saveexec_b64 s[4:5], s[4:5]
; %bb.74:                               ;   in Loop: Header=BB189_43 Depth=1
	v_or_b32_e32 v0, 0x10000, v3
	v_cmp_eq_u32_sdwa vcc, v3, v35 src0_sel:WORD_0 src1_sel:DWORD
	s_nop 1
	v_cndmask_b32_e32 v4, v0, v3, vcc
; %bb.75:                               ;   in Loop: Header=BB189_43 Depth=1
	s_or_b64 exec, exec, s[4:5]
	scratch_load_dwordx2 v[0:1], off, s32 offset:192 ; 8-byte Folded Reload
	scratch_load_dwordx2 v[2:3], off, s32 offset:468 ; 8-byte Folded Reload
	v_add_u32_e32 v58, -5, v17
	v_add_u32_e32 v41, -4, v17
	s_waitcnt vmcnt(0)
	v_mad_i64_i32 v[0:1], s[4:5], v36, v0, 0
	v_add_u32_e32 v36, -7, v17
	v_accvgpr_write_b32 a41, v36
	v_mov_b32_e32 v36, v50
	scratch_store_dwordx2 off, v[36:37], s32 offset:200 ; 8-byte Folded Spill
	scratch_load_dword v36, off, s32 offset:464 ; 4-byte Folded Reload
	v_lshl_add_u64 v[6:7], v[0:1], 1, v[2:3]
	v_lshl_add_u64 v[8:9], v[6:7], 0, v[34:35]
	flat_load_dwordx4 v[0:3], v[8:9]
	s_waitcnt vmcnt(0)
	v_cmp_eq_u32_e32 vcc, v36, v50
	v_add_u32_e32 v36, -6, v17
	v_accvgpr_write_b32 a46, v36
	v_add_u32_e32 v36, -3, v17
	v_accvgpr_write_b32 a47, v36
	;; [unrolled: 2-line block ×3, first 2 shown]
	v_add_u32_e32 v36, -1, v17
	s_waitcnt lgkmcnt(0)
	v_lshrrev_b32_e32 v37, 16, v0
	v_lshrrev_b32_e32 v39, 16, v1
	;; [unrolled: 1-line block ×4, first 2 shown]
	v_accvgpr_write_b32 a45, v36
	s_and_saveexec_b64 s[10:11], vcc
	s_cbranch_execz .LBB189_77
; %bb.76:                               ;   in Loop: Header=BB189_43 Depth=1
	v_accvgpr_read_b32 v36, a41
	v_cmp_lt_i32_e64 s[4:5], v36, v62
	v_accvgpr_read_b32 v36, a46
	s_nop 0
	v_cndmask_b32_e64 v0, 0, v0, s[4:5]
	v_cmp_lt_i32_e64 s[4:5], v36, v62
	v_accvgpr_read_b32 v36, a47
	s_nop 0
	v_cndmask_b32_e64 v37, 0, v37, s[4:5]
	v_cmp_lt_i32_e64 s[4:5], v58, v62
	s_nop 1
	v_cndmask_b32_e64 v1, 0, v1, s[4:5]
	v_cmp_lt_i32_e64 s[4:5], v41, v62
	;; [unrolled: 3-line block ×3, first 2 shown]
	v_accvgpr_read_b32 v36, a43
	s_nop 0
	v_cndmask_b32_e64 v2, 0, v2, s[4:5]
	v_cmp_lt_i32_e64 s[4:5], v36, v62
	v_accvgpr_read_b32 v36, a45
	s_nop 0
	v_cndmask_b32_e64 v49, 0, v49, s[4:5]
	v_cmp_lt_i32_e64 s[4:5], v36, v62
	s_nop 1
	v_cndmask_b32_e64 v3, 0, v3, s[4:5]
	v_cmp_lt_i32_e64 s[4:5], v17, v62
	s_nop 1
	v_cndmask_b32_e64 v51, 0, v51, s[4:5]
.LBB189_77:                             ;   in Loop: Header=BB189_43 Depth=1
	s_or_b64 exec, exec, s[10:11]
	v_and_b32_e32 v5, 0xffff0000, v5
	v_lshlrev_b32_e32 v0, 16, v0
	v_mul_f32_e32 v0, v5, v0
	v_and_b32_e32 v36, 0x7f800000, v0
	v_cmp_ne_u32_e64 s[4:5], s12, v36
                                        ; implicit-def: $vgpr36
                                        ; kill: killed $vgpr36
	s_and_saveexec_b64 s[10:11], s[4:5]
	s_xor_b64 s[4:5], exec, s[10:11]
	s_cbranch_execz .LBB189_79
; %bb.78:                               ;   in Loop: Header=BB189_43 Depth=1
	v_bfe_u32 v36, v0, 16, 1
	v_add3_u32 v0, v0, v36, s15
	scratch_store_dword off, v0, s32 offset:312 ; 4-byte Folded Spill
                                        ; implicit-def: $vgpr0
.LBB189_79:                             ;   in Loop: Header=BB189_43 Depth=1
	s_andn2_saveexec_b64 s[10:11], s[4:5]
	s_cbranch_execz .LBB189_81
; %bb.80:                               ;   in Loop: Header=BB189_43 Depth=1
	v_or_b32_e32 v36, 0x10000, v0
	v_cmp_eq_u32_sdwa s[4:5], v0, v35 src0_sel:WORD_0 src1_sel:DWORD
	s_nop 1
	v_cndmask_b32_e64 v0, v36, v0, s[4:5]
	scratch_store_dword off, v0, s32 offset:312 ; 4-byte Folded Spill
.LBB189_81:                             ;   in Loop: Header=BB189_43 Depth=1
	s_or_b64 exec, exec, s[10:11]
	v_and_b32_e32 v36, 0xffff0000, v23
	v_lshlrev_b32_e32 v0, 16, v37
	v_mul_f32_e32 v0, v36, v0
	v_and_b32_e32 v23, 0x7f800000, v0
	v_cmp_ne_u32_e64 s[4:5], s12, v23
                                        ; implicit-def: $vgpr23
                                        ; kill: killed $vgpr23
	s_and_saveexec_b64 s[10:11], s[4:5]
	s_xor_b64 s[4:5], exec, s[10:11]
	s_cbranch_execz .LBB189_83
; %bb.82:                               ;   in Loop: Header=BB189_43 Depth=1
	v_bfe_u32 v23, v0, 16, 1
	v_add3_u32 v0, v0, v23, s15
	scratch_store_dword off, v0, s32 offset:316 ; 4-byte Folded Spill
                                        ; implicit-def: $vgpr0
.LBB189_83:                             ;   in Loop: Header=BB189_43 Depth=1
	s_andn2_saveexec_b64 s[10:11], s[4:5]
	s_cbranch_execz .LBB189_85
; %bb.84:                               ;   in Loop: Header=BB189_43 Depth=1
	v_or_b32_e32 v23, 0x10000, v0
	v_cmp_eq_u32_sdwa s[4:5], v0, v35 src0_sel:WORD_0 src1_sel:DWORD
	s_nop 1
	v_cndmask_b32_e64 v0, v23, v0, s[4:5]
	scratch_store_dword off, v0, s32 offset:316 ; 4-byte Folded Spill
.LBB189_85:                             ;   in Loop: Header=BB189_43 Depth=1
	s_or_b64 exec, exec, s[10:11]
	v_and_b32_e32 v37, 0xffff0000, v16
	v_lshlrev_b32_e32 v0, 16, v1
	v_mul_f32_e32 v0, v37, v0
	v_and_b32_e32 v1, 0x7f800000, v0
	v_cmp_ne_u32_e64 s[4:5], s12, v1
                                        ; implicit-def: $vgpr1
                                        ; kill: killed $vgpr1
	s_and_saveexec_b64 s[10:11], s[4:5]
	s_xor_b64 s[4:5], exec, s[10:11]
	s_cbranch_execz .LBB189_87
; %bb.86:                               ;   in Loop: Header=BB189_43 Depth=1
	v_bfe_u32 v1, v0, 16, 1
	v_add3_u32 v0, v0, v1, s15
	scratch_store_dword off, v0, s32 offset:320 ; 4-byte Folded Spill
                                        ; implicit-def: $vgpr0
.LBB189_87:                             ;   in Loop: Header=BB189_43 Depth=1
	s_andn2_saveexec_b64 s[10:11], s[4:5]
	s_cbranch_execz .LBB189_89
; %bb.88:                               ;   in Loop: Header=BB189_43 Depth=1
	v_or_b32_e32 v1, 0x10000, v0
	v_cmp_eq_u32_sdwa s[4:5], v0, v35 src0_sel:WORD_0 src1_sel:DWORD
	s_nop 1
	v_cndmask_b32_e64 v0, v1, v0, s[4:5]
	scratch_store_dword off, v0, s32 offset:320 ; 4-byte Folded Spill
.LBB189_89:                             ;   in Loop: Header=BB189_43 Depth=1
	s_or_b64 exec, exec, s[10:11]
	v_and_b32_e32 v38, 0xffff0000, v15
	v_lshlrev_b32_e32 v0, 16, v39
	v_mul_f32_e32 v0, v38, v0
	v_and_b32_e32 v1, 0x7f800000, v0
	v_cmp_ne_u32_e64 s[4:5], s12, v1
                                        ; implicit-def: $vgpr1
                                        ; kill: killed $vgpr1
	;; [unrolled: 26-line block ×4, first 2 shown]
	s_and_saveexec_b64 s[10:11], s[4:5]
	s_xor_b64 s[4:5], exec, s[10:11]
	s_cbranch_execz .LBB189_99
; %bb.98:                               ;   in Loop: Header=BB189_43 Depth=1
	v_bfe_u32 v1, v0, 16, 1
	v_add3_u32 v0, v0, v1, s15
	scratch_store_dword off, v0, s32 offset:332 ; 4-byte Folded Spill
                                        ; implicit-def: $vgpr0
.LBB189_99:                             ;   in Loop: Header=BB189_43 Depth=1
	s_andn2_saveexec_b64 s[10:11], s[4:5]
	s_cbranch_execz .LBB189_101
; %bb.100:                              ;   in Loop: Header=BB189_43 Depth=1
	v_or_b32_e32 v1, 0x10000, v0
	v_cmp_eq_u32_sdwa s[4:5], v0, v35 src0_sel:WORD_0 src1_sel:DWORD
	s_nop 1
	v_cndmask_b32_e64 v0, v1, v0, s[4:5]
	scratch_store_dword off, v0, s32 offset:332 ; 4-byte Folded Spill
.LBB189_101:                            ;   in Loop: Header=BB189_43 Depth=1
	s_or_b64 exec, exec, s[10:11]
	v_and_b32_e32 v49, 0xffff0000, v10
	v_lshlrev_b32_e32 v0, 16, v3
	v_mul_f32_e32 v0, v49, v0
	v_and_b32_e32 v1, 0x7f800000, v0
	v_cmp_ne_u32_e64 s[4:5], s12, v1
                                        ; implicit-def: $vgpr1
                                        ; kill: killed $vgpr1
	s_and_saveexec_b64 s[10:11], s[4:5]
	s_xor_b64 s[4:5], exec, s[10:11]
	s_cbranch_execz .LBB189_103
; %bb.102:                              ;   in Loop: Header=BB189_43 Depth=1
	v_bfe_u32 v1, v0, 16, 1
	v_add3_u32 v0, v0, v1, s15
	scratch_store_dword off, v0, s32 offset:336 ; 4-byte Folded Spill
                                        ; implicit-def: $vgpr0
.LBB189_103:                            ;   in Loop: Header=BB189_43 Depth=1
	s_andn2_saveexec_b64 s[10:11], s[4:5]
	s_cbranch_execz .LBB189_105
; %bb.104:                              ;   in Loop: Header=BB189_43 Depth=1
	v_or_b32_e32 v1, 0x10000, v0
	v_cmp_eq_u32_sdwa s[4:5], v0, v35 src0_sel:WORD_0 src1_sel:DWORD
	s_nop 1
	v_cndmask_b32_e64 v0, v1, v0, s[4:5]
	scratch_store_dword off, v0, s32 offset:336 ; 4-byte Folded Spill
.LBB189_105:                            ;   in Loop: Header=BB189_43 Depth=1
	s_or_b64 exec, exec, s[10:11]
	v_and_b32_e32 v50, 0xffff0000, v4
	v_lshlrev_b32_e32 v0, 16, v51
	v_mul_f32_e32 v0, v50, v0
	v_and_b32_e32 v1, 0x7f800000, v0
	v_cmp_ne_u32_e64 s[4:5], s12, v1
                                        ; implicit-def: $vgpr1
                                        ; kill: killed $vgpr1
	s_and_saveexec_b64 s[10:11], s[4:5]
	s_xor_b64 s[4:5], exec, s[10:11]
	s_cbranch_execz .LBB189_107
; %bb.106:                              ;   in Loop: Header=BB189_43 Depth=1
	v_bfe_u32 v1, v0, 16, 1
	v_add3_u32 v0, v0, v1, s15
	scratch_store_dword off, v0, s32 offset:340 ; 4-byte Folded Spill
                                        ; implicit-def: $vgpr0
.LBB189_107:                            ;   in Loop: Header=BB189_43 Depth=1
	s_andn2_saveexec_b64 s[10:11], s[4:5]
	s_cbranch_execz .LBB189_109
; %bb.108:                              ;   in Loop: Header=BB189_43 Depth=1
	v_or_b32_e32 v1, 0x10000, v0
	v_cmp_eq_u32_sdwa s[4:5], v0, v35 src0_sel:WORD_0 src1_sel:DWORD
	s_nop 1
	v_cndmask_b32_e64 v0, v1, v0, s[4:5]
	scratch_store_dword off, v0, s32 offset:340 ; 4-byte Folded Spill
.LBB189_109:                            ;   in Loop: Header=BB189_43 Depth=1
	s_or_b64 exec, exec, s[10:11]
	flat_load_dwordx4 v[0:3], v[8:9] offset:1024
	s_waitcnt vmcnt(0) lgkmcnt(0)
	v_lshrrev_b32_e32 v14, 16, v0
	v_lshrrev_b32_e32 v11, 16, v1
	;; [unrolled: 1-line block ×4, first 2 shown]
	s_and_saveexec_b64 s[10:11], vcc
	s_cbranch_execz .LBB189_111
; %bb.110:                              ;   in Loop: Header=BB189_43 Depth=1
	v_accvgpr_read_b32 v15, a41
	v_cmp_lt_i32_e64 s[4:5], v15, v62
	v_accvgpr_read_b32 v15, a46
	s_nop 0
	v_cndmask_b32_e64 v0, 0, v0, s[4:5]
	v_cmp_lt_i32_e64 s[4:5], v15, v62
	v_accvgpr_read_b32 v15, a47
	s_nop 0
	v_cndmask_b32_e64 v14, 0, v14, s[4:5]
	v_cmp_lt_i32_e64 s[4:5], v58, v62
	s_nop 1
	v_cndmask_b32_e64 v1, 0, v1, s[4:5]
	v_cmp_lt_i32_e64 s[4:5], v41, v62
	;; [unrolled: 3-line block ×3, first 2 shown]
	v_accvgpr_read_b32 v15, a43
	s_nop 0
	v_cndmask_b32_e64 v2, 0, v2, s[4:5]
	v_cmp_lt_i32_e64 s[4:5], v15, v62
	v_accvgpr_read_b32 v15, a45
	s_nop 0
	v_cndmask_b32_e64 v10, 0, v10, s[4:5]
	v_cmp_lt_i32_e64 s[4:5], v15, v62
	s_nop 1
	v_cndmask_b32_e64 v3, 0, v3, s[4:5]
	v_cmp_lt_i32_e64 s[4:5], v17, v62
	s_nop 1
	v_cndmask_b32_e64 v4, 0, v4, s[4:5]
.LBB189_111:                            ;   in Loop: Header=BB189_43 Depth=1
	s_or_b64 exec, exec, s[10:11]
	v_lshlrev_b32_e32 v0, 16, v0
	v_mul_f32_e32 v0, v5, v0
	v_and_b32_e32 v15, 0x7f800000, v0
	v_cmp_ne_u32_e64 s[4:5], s12, v15
                                        ; implicit-def: $vgpr15
                                        ; kill: killed $vgpr15
	s_and_saveexec_b64 s[10:11], s[4:5]
	s_xor_b64 s[4:5], exec, s[10:11]
	s_cbranch_execz .LBB189_113
; %bb.112:                              ;   in Loop: Header=BB189_43 Depth=1
	v_bfe_u32 v15, v0, 16, 1
	v_add3_u32 v0, v0, v15, s15
	scratch_store_dword off, v0, s32 offset:344 ; 4-byte Folded Spill
                                        ; implicit-def: $vgpr0
.LBB189_113:                            ;   in Loop: Header=BB189_43 Depth=1
	s_andn2_saveexec_b64 s[10:11], s[4:5]
	s_cbranch_execz .LBB189_115
; %bb.114:                              ;   in Loop: Header=BB189_43 Depth=1
	v_or_b32_e32 v15, 0x10000, v0
	v_cmp_eq_u32_sdwa s[4:5], v0, v35 src0_sel:WORD_0 src1_sel:DWORD
	s_nop 1
	v_cndmask_b32_e64 v0, v15, v0, s[4:5]
	scratch_store_dword off, v0, s32 offset:344 ; 4-byte Folded Spill
.LBB189_115:                            ;   in Loop: Header=BB189_43 Depth=1
	s_or_b64 exec, exec, s[10:11]
	v_lshlrev_b32_e32 v0, 16, v14
	v_mul_f32_e32 v0, v36, v0
	v_and_b32_e32 v14, 0x7f800000, v0
	v_cmp_ne_u32_e64 s[4:5], s12, v14
                                        ; implicit-def: $vgpr14
                                        ; kill: killed $vgpr14
	s_and_saveexec_b64 s[10:11], s[4:5]
	s_xor_b64 s[4:5], exec, s[10:11]
	s_cbranch_execz .LBB189_117
; %bb.116:                              ;   in Loop: Header=BB189_43 Depth=1
	v_bfe_u32 v14, v0, 16, 1
	v_add3_u32 v0, v0, v14, s15
	scratch_store_dword off, v0, s32 offset:348 ; 4-byte Folded Spill
                                        ; implicit-def: $vgpr0
.LBB189_117:                            ;   in Loop: Header=BB189_43 Depth=1
	s_andn2_saveexec_b64 s[10:11], s[4:5]
	s_cbranch_execz .LBB189_119
; %bb.118:                              ;   in Loop: Header=BB189_43 Depth=1
	v_or_b32_e32 v14, 0x10000, v0
	v_cmp_eq_u32_sdwa s[4:5], v0, v35 src0_sel:WORD_0 src1_sel:DWORD
	s_nop 1
	v_cndmask_b32_e64 v0, v14, v0, s[4:5]
	scratch_store_dword off, v0, s32 offset:348 ; 4-byte Folded Spill
.LBB189_119:                            ;   in Loop: Header=BB189_43 Depth=1
	s_or_b64 exec, exec, s[10:11]
	v_lshlrev_b32_e32 v0, 16, v1
	v_mul_f32_e32 v0, v37, v0
	v_and_b32_e32 v1, 0x7f800000, v0
	v_cmp_ne_u32_e64 s[4:5], s12, v1
                                        ; implicit-def: $vgpr1
                                        ; kill: killed $vgpr1
	s_and_saveexec_b64 s[10:11], s[4:5]
	s_xor_b64 s[4:5], exec, s[10:11]
	s_cbranch_execz .LBB189_121
; %bb.120:                              ;   in Loop: Header=BB189_43 Depth=1
	v_bfe_u32 v1, v0, 16, 1
	v_add3_u32 v0, v0, v1, s15
	scratch_store_dword off, v0, s32 offset:352 ; 4-byte Folded Spill
                                        ; implicit-def: $vgpr0
.LBB189_121:                            ;   in Loop: Header=BB189_43 Depth=1
	s_andn2_saveexec_b64 s[10:11], s[4:5]
	s_cbranch_execz .LBB189_123
; %bb.122:                              ;   in Loop: Header=BB189_43 Depth=1
	v_or_b32_e32 v1, 0x10000, v0
	v_cmp_eq_u32_sdwa s[4:5], v0, v35 src0_sel:WORD_0 src1_sel:DWORD
	s_nop 1
	v_cndmask_b32_e64 v0, v1, v0, s[4:5]
	scratch_store_dword off, v0, s32 offset:352 ; 4-byte Folded Spill
.LBB189_123:                            ;   in Loop: Header=BB189_43 Depth=1
	s_or_b64 exec, exec, s[10:11]
	v_lshlrev_b32_e32 v0, 16, v11
	v_mul_f32_e32 v0, v38, v0
	v_and_b32_e32 v1, 0x7f800000, v0
	v_cmp_ne_u32_e64 s[4:5], s12, v1
                                        ; implicit-def: $vgpr1
                                        ; kill: killed $vgpr1
	s_and_saveexec_b64 s[10:11], s[4:5]
	s_xor_b64 s[4:5], exec, s[10:11]
	s_cbranch_execz .LBB189_125
; %bb.124:                              ;   in Loop: Header=BB189_43 Depth=1
	v_bfe_u32 v1, v0, 16, 1
	v_add3_u32 v0, v0, v1, s15
	scratch_store_dword off, v0, s32 offset:356 ; 4-byte Folded Spill
                                        ; implicit-def: $vgpr0
.LBB189_125:                            ;   in Loop: Header=BB189_43 Depth=1
	s_andn2_saveexec_b64 s[10:11], s[4:5]
	s_cbranch_execz .LBB189_127
; %bb.126:                              ;   in Loop: Header=BB189_43 Depth=1
	v_or_b32_e32 v1, 0x10000, v0
	v_cmp_eq_u32_sdwa s[4:5], v0, v35 src0_sel:WORD_0 src1_sel:DWORD
	s_nop 1
	v_cndmask_b32_e64 v0, v1, v0, s[4:5]
	scratch_store_dword off, v0, s32 offset:356 ; 4-byte Folded Spill
.LBB189_127:                            ;   in Loop: Header=BB189_43 Depth=1
	s_or_b64 exec, exec, s[10:11]
	v_lshlrev_b32_e32 v0, 16, v2
	v_mul_f32_e32 v0, v39, v0
	v_and_b32_e32 v1, 0x7f800000, v0
	v_cmp_ne_u32_e64 s[4:5], s12, v1
                                        ; implicit-def: $vgpr1
                                        ; kill: killed $vgpr1
	s_and_saveexec_b64 s[10:11], s[4:5]
	s_xor_b64 s[4:5], exec, s[10:11]
	s_cbranch_execz .LBB189_129
; %bb.128:                              ;   in Loop: Header=BB189_43 Depth=1
	v_bfe_u32 v1, v0, 16, 1
	v_add3_u32 v0, v0, v1, s15
	scratch_store_dword off, v0, s32 offset:360 ; 4-byte Folded Spill
                                        ; implicit-def: $vgpr0
.LBB189_129:                            ;   in Loop: Header=BB189_43 Depth=1
	s_andn2_saveexec_b64 s[10:11], s[4:5]
	s_cbranch_execz .LBB189_131
; %bb.130:                              ;   in Loop: Header=BB189_43 Depth=1
	v_or_b32_e32 v1, 0x10000, v0
	v_cmp_eq_u32_sdwa s[4:5], v0, v35 src0_sel:WORD_0 src1_sel:DWORD
	s_nop 1
	v_cndmask_b32_e64 v0, v1, v0, s[4:5]
	scratch_store_dword off, v0, s32 offset:360 ; 4-byte Folded Spill
.LBB189_131:                            ;   in Loop: Header=BB189_43 Depth=1
	s_or_b64 exec, exec, s[10:11]
	v_lshlrev_b32_e32 v0, 16, v10
	v_mul_f32_e32 v0, v48, v0
	v_and_b32_e32 v1, 0x7f800000, v0
	v_cmp_ne_u32_e64 s[4:5], s12, v1
                                        ; implicit-def: $vgpr1
                                        ; kill: killed $vgpr1
	s_and_saveexec_b64 s[10:11], s[4:5]
	s_xor_b64 s[4:5], exec, s[10:11]
	s_cbranch_execz .LBB189_133
; %bb.132:                              ;   in Loop: Header=BB189_43 Depth=1
	v_bfe_u32 v1, v0, 16, 1
	v_add3_u32 v0, v0, v1, s15
	scratch_store_dword off, v0, s32 offset:364 ; 4-byte Folded Spill
                                        ; implicit-def: $vgpr0
.LBB189_133:                            ;   in Loop: Header=BB189_43 Depth=1
	s_andn2_saveexec_b64 s[10:11], s[4:5]
	s_cbranch_execz .LBB189_135
; %bb.134:                              ;   in Loop: Header=BB189_43 Depth=1
	v_or_b32_e32 v1, 0x10000, v0
	v_cmp_eq_u32_sdwa s[4:5], v0, v35 src0_sel:WORD_0 src1_sel:DWORD
	s_nop 1
	v_cndmask_b32_e64 v0, v1, v0, s[4:5]
	scratch_store_dword off, v0, s32 offset:364 ; 4-byte Folded Spill
.LBB189_135:                            ;   in Loop: Header=BB189_43 Depth=1
	s_or_b64 exec, exec, s[10:11]
	v_lshlrev_b32_e32 v0, 16, v3
	v_mul_f32_e32 v0, v49, v0
	v_and_b32_e32 v1, 0x7f800000, v0
	v_cmp_ne_u32_e64 s[4:5], s12, v1
                                        ; implicit-def: $vgpr57
	s_and_saveexec_b64 s[10:11], s[4:5]
	s_xor_b64 s[4:5], exec, s[10:11]
; %bb.136:                              ;   in Loop: Header=BB189_43 Depth=1
	v_bfe_u32 v1, v0, 16, 1
	v_add3_u32 v57, v0, v1, s15
                                        ; implicit-def: $vgpr0
; %bb.137:                              ;   in Loop: Header=BB189_43 Depth=1
	s_andn2_saveexec_b64 s[10:11], s[4:5]
; %bb.138:                              ;   in Loop: Header=BB189_43 Depth=1
	v_or_b32_e32 v1, 0x10000, v0
	v_cmp_eq_u32_sdwa s[4:5], v0, v35 src0_sel:WORD_0 src1_sel:DWORD
	s_nop 1
	v_cndmask_b32_e64 v57, v1, v0, s[4:5]
; %bb.139:                              ;   in Loop: Header=BB189_43 Depth=1
	s_or_b64 exec, exec, s[10:11]
	v_lshlrev_b32_e32 v0, 16, v4
	v_mul_f32_e32 v0, v50, v0
	v_and_b32_e32 v1, 0x7f800000, v0
	v_cmp_ne_u32_e64 s[4:5], s12, v1
                                        ; implicit-def: $vgpr1
                                        ; kill: killed $vgpr1
	s_and_saveexec_b64 s[10:11], s[4:5]
	s_xor_b64 s[4:5], exec, s[10:11]
	s_cbranch_execz .LBB189_141
; %bb.140:                              ;   in Loop: Header=BB189_43 Depth=1
	v_bfe_u32 v1, v0, 16, 1
	v_add3_u32 v0, v0, v1, s15
	scratch_store_dword off, v0, s32 offset:368 ; 4-byte Folded Spill
                                        ; implicit-def: $vgpr0
.LBB189_141:                            ;   in Loop: Header=BB189_43 Depth=1
	s_andn2_saveexec_b64 s[10:11], s[4:5]
	s_cbranch_execz .LBB189_143
; %bb.142:                              ;   in Loop: Header=BB189_43 Depth=1
	v_or_b32_e32 v1, 0x10000, v0
	v_cmp_eq_u32_sdwa s[4:5], v0, v35 src0_sel:WORD_0 src1_sel:DWORD
	s_nop 1
	v_cndmask_b32_e64 v0, v1, v0, s[4:5]
	scratch_store_dword off, v0, s32 offset:368 ; 4-byte Folded Spill
.LBB189_143:                            ;   in Loop: Header=BB189_43 Depth=1
	s_or_b64 exec, exec, s[10:11]
	flat_load_dwordx4 v[0:3], v[8:9] offset:2048
	s_waitcnt vmcnt(0) lgkmcnt(0)
	v_lshrrev_b32_e32 v14, 16, v0
	v_lshrrev_b32_e32 v11, 16, v1
	;; [unrolled: 1-line block ×4, first 2 shown]
	s_and_saveexec_b64 s[10:11], vcc
	s_cbranch_execz .LBB189_145
; %bb.144:                              ;   in Loop: Header=BB189_43 Depth=1
	v_accvgpr_read_b32 v15, a41
	v_cmp_lt_i32_e64 s[4:5], v15, v62
	v_accvgpr_read_b32 v15, a46
	s_nop 0
	v_cndmask_b32_e64 v0, 0, v0, s[4:5]
	v_cmp_lt_i32_e64 s[4:5], v15, v62
	v_accvgpr_read_b32 v15, a47
	s_nop 0
	v_cndmask_b32_e64 v14, 0, v14, s[4:5]
	v_cmp_lt_i32_e64 s[4:5], v58, v62
	s_nop 1
	v_cndmask_b32_e64 v1, 0, v1, s[4:5]
	v_cmp_lt_i32_e64 s[4:5], v41, v62
	;; [unrolled: 3-line block ×3, first 2 shown]
	v_accvgpr_read_b32 v15, a43
	s_nop 0
	v_cndmask_b32_e64 v2, 0, v2, s[4:5]
	v_cmp_lt_i32_e64 s[4:5], v15, v62
	v_accvgpr_read_b32 v15, a45
	s_nop 0
	v_cndmask_b32_e64 v10, 0, v10, s[4:5]
	v_cmp_lt_i32_e64 s[4:5], v15, v62
	s_nop 1
	v_cndmask_b32_e64 v3, 0, v3, s[4:5]
	v_cmp_lt_i32_e64 s[4:5], v17, v62
	s_nop 1
	v_cndmask_b32_e64 v4, 0, v4, s[4:5]
.LBB189_145:                            ;   in Loop: Header=BB189_43 Depth=1
	s_or_b64 exec, exec, s[10:11]
	v_lshlrev_b32_e32 v0, 16, v0
	v_mul_f32_e32 v0, v5, v0
	v_and_b32_e32 v15, 0x7f800000, v0
	v_cmp_ne_u32_e64 s[4:5], s12, v15
                                        ; implicit-def: $vgpr15
                                        ; kill: killed $vgpr15
	s_and_saveexec_b64 s[10:11], s[4:5]
	s_xor_b64 s[4:5], exec, s[10:11]
	s_cbranch_execz .LBB189_147
; %bb.146:                              ;   in Loop: Header=BB189_43 Depth=1
	v_bfe_u32 v15, v0, 16, 1
	v_add3_u32 v0, v0, v15, s15
	scratch_store_dword off, v0, s32 offset:372 ; 4-byte Folded Spill
                                        ; implicit-def: $vgpr0
.LBB189_147:                            ;   in Loop: Header=BB189_43 Depth=1
	s_andn2_saveexec_b64 s[10:11], s[4:5]
	s_cbranch_execz .LBB189_149
; %bb.148:                              ;   in Loop: Header=BB189_43 Depth=1
	v_or_b32_e32 v15, 0x10000, v0
	v_cmp_eq_u32_sdwa s[4:5], v0, v35 src0_sel:WORD_0 src1_sel:DWORD
	s_nop 1
	v_cndmask_b32_e64 v0, v15, v0, s[4:5]
	scratch_store_dword off, v0, s32 offset:372 ; 4-byte Folded Spill
.LBB189_149:                            ;   in Loop: Header=BB189_43 Depth=1
	s_or_b64 exec, exec, s[10:11]
	v_lshlrev_b32_e32 v0, 16, v14
	v_mul_f32_e32 v0, v36, v0
	v_and_b32_e32 v14, 0x7f800000, v0
	v_cmp_ne_u32_e64 s[4:5], s12, v14
                                        ; implicit-def: $vgpr14
                                        ; kill: killed $vgpr14
	s_and_saveexec_b64 s[10:11], s[4:5]
	s_xor_b64 s[4:5], exec, s[10:11]
	s_cbranch_execz .LBB189_151
; %bb.150:                              ;   in Loop: Header=BB189_43 Depth=1
	v_bfe_u32 v14, v0, 16, 1
	v_add3_u32 v0, v0, v14, s15
	scratch_store_dword off, v0, s32 offset:376 ; 4-byte Folded Spill
                                        ; implicit-def: $vgpr0
.LBB189_151:                            ;   in Loop: Header=BB189_43 Depth=1
	s_andn2_saveexec_b64 s[10:11], s[4:5]
	s_cbranch_execz .LBB189_153
; %bb.152:                              ;   in Loop: Header=BB189_43 Depth=1
	v_or_b32_e32 v14, 0x10000, v0
	v_cmp_eq_u32_sdwa s[4:5], v0, v35 src0_sel:WORD_0 src1_sel:DWORD
	s_nop 1
	v_cndmask_b32_e64 v0, v14, v0, s[4:5]
	scratch_store_dword off, v0, s32 offset:376 ; 4-byte Folded Spill
.LBB189_153:                            ;   in Loop: Header=BB189_43 Depth=1
	s_or_b64 exec, exec, s[10:11]
	v_lshlrev_b32_e32 v0, 16, v1
	v_mul_f32_e32 v0, v37, v0
	v_and_b32_e32 v1, 0x7f800000, v0
	v_cmp_ne_u32_e64 s[4:5], s12, v1
                                        ; implicit-def: $vgpr1
                                        ; kill: killed $vgpr1
	s_and_saveexec_b64 s[10:11], s[4:5]
	s_xor_b64 s[4:5], exec, s[10:11]
	s_cbranch_execz .LBB189_155
; %bb.154:                              ;   in Loop: Header=BB189_43 Depth=1
	v_bfe_u32 v1, v0, 16, 1
	v_add3_u32 v0, v0, v1, s15
	scratch_store_dword off, v0, s32 offset:380 ; 4-byte Folded Spill
                                        ; implicit-def: $vgpr0
.LBB189_155:                            ;   in Loop: Header=BB189_43 Depth=1
	s_andn2_saveexec_b64 s[10:11], s[4:5]
	s_cbranch_execz .LBB189_157
; %bb.156:                              ;   in Loop: Header=BB189_43 Depth=1
	v_or_b32_e32 v1, 0x10000, v0
	v_cmp_eq_u32_sdwa s[4:5], v0, v35 src0_sel:WORD_0 src1_sel:DWORD
	s_nop 1
	v_cndmask_b32_e64 v0, v1, v0, s[4:5]
	scratch_store_dword off, v0, s32 offset:380 ; 4-byte Folded Spill
.LBB189_157:                            ;   in Loop: Header=BB189_43 Depth=1
	s_or_b64 exec, exec, s[10:11]
	v_lshlrev_b32_e32 v0, 16, v11
	v_mul_f32_e32 v0, v38, v0
	v_and_b32_e32 v1, 0x7f800000, v0
	v_cmp_ne_u32_e64 s[4:5], s12, v1
                                        ; implicit-def: $vgpr1
                                        ; kill: killed $vgpr1
	;; [unrolled: 25-line block ×6, first 2 shown]
	s_and_saveexec_b64 s[10:11], s[4:5]
	s_xor_b64 s[4:5], exec, s[10:11]
	s_cbranch_execz .LBB189_175
; %bb.174:                              ;   in Loop: Header=BB189_43 Depth=1
	v_bfe_u32 v1, v0, 16, 1
	v_add3_u32 v0, v0, v1, s15
	scratch_store_dword off, v0, s32 offset:400 ; 4-byte Folded Spill
                                        ; implicit-def: $vgpr0
.LBB189_175:                            ;   in Loop: Header=BB189_43 Depth=1
	s_andn2_saveexec_b64 s[10:11], s[4:5]
	s_cbranch_execz .LBB189_177
; %bb.176:                              ;   in Loop: Header=BB189_43 Depth=1
	v_or_b32_e32 v1, 0x10000, v0
	v_cmp_eq_u32_sdwa s[4:5], v0, v35 src0_sel:WORD_0 src1_sel:DWORD
	s_nop 1
	v_cndmask_b32_e64 v0, v1, v0, s[4:5]
	scratch_store_dword off, v0, s32 offset:400 ; 4-byte Folded Spill
.LBB189_177:                            ;   in Loop: Header=BB189_43 Depth=1
	s_or_b64 exec, exec, s[10:11]
	flat_load_dwordx4 v[0:3], v[8:9] offset:3072
	s_waitcnt vmcnt(0) lgkmcnt(0)
	v_lshrrev_b32_e32 v10, 16, v0
	v_lshrrev_b32_e32 v9, 16, v1
	;; [unrolled: 1-line block ×4, first 2 shown]
	s_and_saveexec_b64 s[10:11], vcc
	s_cbranch_execz .LBB189_179
; %bb.178:                              ;   in Loop: Header=BB189_43 Depth=1
	v_accvgpr_read_b32 v11, a41
	v_cmp_lt_i32_e64 s[4:5], v11, v62
	v_accvgpr_read_b32 v11, a46
	s_nop 0
	v_cndmask_b32_e64 v0, 0, v0, s[4:5]
	v_cmp_lt_i32_e64 s[4:5], v11, v62
	v_accvgpr_read_b32 v11, a47
	s_nop 0
	v_cndmask_b32_e64 v10, 0, v10, s[4:5]
	v_cmp_lt_i32_e64 s[4:5], v58, v62
	s_nop 1
	v_cndmask_b32_e64 v1, 0, v1, s[4:5]
	v_cmp_lt_i32_e64 s[4:5], v41, v62
	;; [unrolled: 3-line block ×3, first 2 shown]
	v_accvgpr_read_b32 v11, a43
	s_nop 0
	v_cndmask_b32_e64 v2, 0, v2, s[4:5]
	v_cmp_lt_i32_e64 s[4:5], v11, v62
	v_accvgpr_read_b32 v11, a45
	s_nop 0
	v_cndmask_b32_e64 v8, 0, v8, s[4:5]
	v_cmp_lt_i32_e64 s[4:5], v11, v62
	s_nop 1
	v_cndmask_b32_e64 v3, 0, v3, s[4:5]
	v_cmp_lt_i32_e64 s[4:5], v17, v62
	s_nop 1
	v_cndmask_b32_e64 v4, 0, v4, s[4:5]
.LBB189_179:                            ;   in Loop: Header=BB189_43 Depth=1
	s_or_b64 exec, exec, s[10:11]
	v_lshlrev_b32_e32 v0, 16, v0
	v_mul_f32_e32 v0, v5, v0
	v_and_b32_e32 v11, 0x7f800000, v0
	v_cmp_ne_u32_e64 s[4:5], s12, v11
                                        ; implicit-def: $vgpr11
                                        ; kill: killed $vgpr11
	s_and_saveexec_b64 s[10:11], s[4:5]
	s_xor_b64 s[4:5], exec, s[10:11]
	s_cbranch_execz .LBB189_181
; %bb.180:                              ;   in Loop: Header=BB189_43 Depth=1
	v_bfe_u32 v11, v0, 16, 1
	v_add3_u32 v0, v0, v11, s15
	scratch_store_dword off, v0, s32 offset:404 ; 4-byte Folded Spill
                                        ; implicit-def: $vgpr0
.LBB189_181:                            ;   in Loop: Header=BB189_43 Depth=1
	s_andn2_saveexec_b64 s[10:11], s[4:5]
	s_cbranch_execz .LBB189_183
; %bb.182:                              ;   in Loop: Header=BB189_43 Depth=1
	v_or_b32_e32 v11, 0x10000, v0
	v_cmp_eq_u32_sdwa s[4:5], v0, v35 src0_sel:WORD_0 src1_sel:DWORD
	s_nop 1
	v_cndmask_b32_e64 v0, v11, v0, s[4:5]
	scratch_store_dword off, v0, s32 offset:404 ; 4-byte Folded Spill
.LBB189_183:                            ;   in Loop: Header=BB189_43 Depth=1
	s_or_b64 exec, exec, s[10:11]
	v_lshlrev_b32_e32 v0, 16, v10
	v_mul_f32_e32 v0, v36, v0
	v_and_b32_e32 v10, 0x7f800000, v0
	v_cmp_ne_u32_e64 s[4:5], s12, v10
                                        ; implicit-def: $vgpr10
                                        ; kill: killed $vgpr10
	s_and_saveexec_b64 s[10:11], s[4:5]
	s_xor_b64 s[4:5], exec, s[10:11]
	s_cbranch_execz .LBB189_185
; %bb.184:                              ;   in Loop: Header=BB189_43 Depth=1
	v_bfe_u32 v10, v0, 16, 1
	v_add3_u32 v0, v0, v10, s15
	scratch_store_dword off, v0, s32 offset:408 ; 4-byte Folded Spill
                                        ; implicit-def: $vgpr0
.LBB189_185:                            ;   in Loop: Header=BB189_43 Depth=1
	s_andn2_saveexec_b64 s[10:11], s[4:5]
	s_cbranch_execz .LBB189_187
; %bb.186:                              ;   in Loop: Header=BB189_43 Depth=1
	v_or_b32_e32 v10, 0x10000, v0
	v_cmp_eq_u32_sdwa s[4:5], v0, v35 src0_sel:WORD_0 src1_sel:DWORD
	s_nop 1
	v_cndmask_b32_e64 v0, v10, v0, s[4:5]
	scratch_store_dword off, v0, s32 offset:408 ; 4-byte Folded Spill
.LBB189_187:                            ;   in Loop: Header=BB189_43 Depth=1
	s_or_b64 exec, exec, s[10:11]
	v_lshlrev_b32_e32 v0, 16, v1
	v_mul_f32_e32 v0, v37, v0
	v_and_b32_e32 v1, 0x7f800000, v0
	v_cmp_ne_u32_e64 s[4:5], s12, v1
                                        ; implicit-def: $vgpr1
                                        ; kill: killed $vgpr1
	s_and_saveexec_b64 s[10:11], s[4:5]
	s_xor_b64 s[4:5], exec, s[10:11]
	s_cbranch_execz .LBB189_189
; %bb.188:                              ;   in Loop: Header=BB189_43 Depth=1
	v_bfe_u32 v1, v0, 16, 1
	v_add3_u32 v0, v0, v1, s15
	scratch_store_dword off, v0, s32 offset:412 ; 4-byte Folded Spill
                                        ; implicit-def: $vgpr0
.LBB189_189:                            ;   in Loop: Header=BB189_43 Depth=1
	s_andn2_saveexec_b64 s[10:11], s[4:5]
	s_cbranch_execz .LBB189_191
; %bb.190:                              ;   in Loop: Header=BB189_43 Depth=1
	v_or_b32_e32 v1, 0x10000, v0
	v_cmp_eq_u32_sdwa s[4:5], v0, v35 src0_sel:WORD_0 src1_sel:DWORD
	s_nop 1
	v_cndmask_b32_e64 v0, v1, v0, s[4:5]
	scratch_store_dword off, v0, s32 offset:412 ; 4-byte Folded Spill
.LBB189_191:                            ;   in Loop: Header=BB189_43 Depth=1
	s_or_b64 exec, exec, s[10:11]
	v_lshlrev_b32_e32 v0, 16, v9
	v_mul_f32_e32 v0, v38, v0
	v_and_b32_e32 v1, 0x7f800000, v0
	v_cmp_ne_u32_e64 s[4:5], s12, v1
                                        ; implicit-def: $vgpr1
                                        ; kill: killed $vgpr1
	;; [unrolled: 25-line block ×6, first 2 shown]
	s_and_saveexec_b64 s[10:11], s[4:5]
	s_xor_b64 s[4:5], exec, s[10:11]
	s_cbranch_execz .LBB189_209
; %bb.208:                              ;   in Loop: Header=BB189_43 Depth=1
	v_bfe_u32 v1, v0, 16, 1
	v_add3_u32 v0, v0, v1, s15
	scratch_store_dword off, v0, s32 offset:432 ; 4-byte Folded Spill
                                        ; implicit-def: $vgpr0
.LBB189_209:                            ;   in Loop: Header=BB189_43 Depth=1
	s_andn2_saveexec_b64 s[10:11], s[4:5]
	s_cbranch_execz .LBB189_211
; %bb.210:                              ;   in Loop: Header=BB189_43 Depth=1
	v_or_b32_e32 v1, 0x10000, v0
	v_cmp_eq_u32_sdwa s[4:5], v0, v35 src0_sel:WORD_0 src1_sel:DWORD
	s_nop 1
	v_cndmask_b32_e64 v0, v1, v0, s[4:5]
	scratch_store_dword off, v0, s32 offset:432 ; 4-byte Folded Spill
.LBB189_211:                            ;   in Loop: Header=BB189_43 Depth=1
	s_or_b64 exec, exec, s[10:11]
	scratch_load_dwordx2 v[0:1], off, s32 offset:208 ; 8-byte Folded Reload
	s_waitcnt vmcnt(0)
	v_mov_b32_e32 v1, v35
	v_mov_b32_e32 v2, v0
	v_lshl_add_u64 v[0:1], v[6:7], 0, v[0:1]
	scratch_store_dwordx2 off, v[2:3], s32 offset:208 ; 8-byte Folded Spill
	flat_load_dwordx4 v[0:3], v[0:1]
	s_waitcnt vmcnt(0) lgkmcnt(0)
	v_lshrrev_b32_e32 v10, 16, v0
	v_lshrrev_b32_e32 v9, 16, v1
	;; [unrolled: 1-line block ×4, first 2 shown]
	s_and_saveexec_b64 s[10:11], vcc
	s_cbranch_execz .LBB189_213
; %bb.212:                              ;   in Loop: Header=BB189_43 Depth=1
	v_accvgpr_read_b32 v11, a41
	v_cmp_lt_i32_e64 s[4:5], v11, v62
	v_accvgpr_read_b32 v11, a46
	s_nop 0
	v_cndmask_b32_e64 v0, 0, v0, s[4:5]
	v_cmp_lt_i32_e64 s[4:5], v11, v62
	v_accvgpr_read_b32 v11, a47
	s_nop 0
	v_cndmask_b32_e64 v10, 0, v10, s[4:5]
	v_cmp_lt_i32_e64 s[4:5], v58, v62
	s_nop 1
	v_cndmask_b32_e64 v1, 0, v1, s[4:5]
	v_cmp_lt_i32_e64 s[4:5], v41, v62
	;; [unrolled: 3-line block ×3, first 2 shown]
	v_accvgpr_read_b32 v11, a43
	s_nop 0
	v_cndmask_b32_e64 v2, 0, v2, s[4:5]
	v_cmp_lt_i32_e64 s[4:5], v11, v62
	v_accvgpr_read_b32 v11, a45
	s_nop 0
	v_cndmask_b32_e64 v8, 0, v8, s[4:5]
	v_cmp_lt_i32_e64 s[4:5], v11, v62
	s_nop 1
	v_cndmask_b32_e64 v3, 0, v3, s[4:5]
	v_cmp_lt_i32_e64 s[4:5], v17, v62
	s_nop 1
	v_cndmask_b32_e64 v4, 0, v4, s[4:5]
.LBB189_213:                            ;   in Loop: Header=BB189_43 Depth=1
	s_or_b64 exec, exec, s[10:11]
	v_lshlrev_b32_e32 v0, 16, v0
	v_mul_f32_e32 v0, v5, v0
	v_and_b32_e32 v11, 0x7f800000, v0
	v_cmp_ne_u32_e64 s[4:5], s12, v11
                                        ; implicit-def: $vgpr11
                                        ; kill: killed $vgpr11
	s_and_saveexec_b64 s[10:11], s[4:5]
	s_xor_b64 s[4:5], exec, s[10:11]
	s_cbranch_execz .LBB189_215
; %bb.214:                              ;   in Loop: Header=BB189_43 Depth=1
	v_bfe_u32 v11, v0, 16, 1
	v_add3_u32 v0, v0, v11, s15
	scratch_store_dword off, v0, s32 offset:436 ; 4-byte Folded Spill
                                        ; implicit-def: $vgpr0
.LBB189_215:                            ;   in Loop: Header=BB189_43 Depth=1
	s_andn2_saveexec_b64 s[10:11], s[4:5]
	s_cbranch_execz .LBB189_217
; %bb.216:                              ;   in Loop: Header=BB189_43 Depth=1
	v_or_b32_e32 v11, 0x10000, v0
	v_cmp_eq_u32_sdwa s[4:5], v0, v35 src0_sel:WORD_0 src1_sel:DWORD
	s_nop 1
	v_cndmask_b32_e64 v0, v11, v0, s[4:5]
	scratch_store_dword off, v0, s32 offset:436 ; 4-byte Folded Spill
.LBB189_217:                            ;   in Loop: Header=BB189_43 Depth=1
	s_or_b64 exec, exec, s[10:11]
	v_lshlrev_b32_e32 v0, 16, v10
	v_mul_f32_e32 v0, v36, v0
	v_and_b32_e32 v10, 0x7f800000, v0
	v_cmp_ne_u32_e64 s[4:5], s12, v10
                                        ; implicit-def: $vgpr10
                                        ; kill: killed $vgpr10
	s_and_saveexec_b64 s[10:11], s[4:5]
	s_xor_b64 s[4:5], exec, s[10:11]
	s_cbranch_execz .LBB189_219
; %bb.218:                              ;   in Loop: Header=BB189_43 Depth=1
	v_bfe_u32 v10, v0, 16, 1
	v_add3_u32 v0, v0, v10, s15
	scratch_store_dword off, v0, s32 offset:440 ; 4-byte Folded Spill
                                        ; implicit-def: $vgpr0
.LBB189_219:                            ;   in Loop: Header=BB189_43 Depth=1
	s_andn2_saveexec_b64 s[10:11], s[4:5]
	s_cbranch_execz .LBB189_221
; %bb.220:                              ;   in Loop: Header=BB189_43 Depth=1
	v_or_b32_e32 v10, 0x10000, v0
	v_cmp_eq_u32_sdwa s[4:5], v0, v35 src0_sel:WORD_0 src1_sel:DWORD
	s_nop 1
	v_cndmask_b32_e64 v0, v10, v0, s[4:5]
	scratch_store_dword off, v0, s32 offset:440 ; 4-byte Folded Spill
.LBB189_221:                            ;   in Loop: Header=BB189_43 Depth=1
	s_or_b64 exec, exec, s[10:11]
	v_lshlrev_b32_e32 v0, 16, v1
	v_mul_f32_e32 v0, v37, v0
	v_and_b32_e32 v1, 0x7f800000, v0
	v_cmp_ne_u32_e64 s[4:5], s12, v1
                                        ; implicit-def: $vgpr1
                                        ; kill: killed $vgpr1
	s_and_saveexec_b64 s[10:11], s[4:5]
	s_xor_b64 s[4:5], exec, s[10:11]
	s_cbranch_execz .LBB189_223
; %bb.222:                              ;   in Loop: Header=BB189_43 Depth=1
	v_bfe_u32 v1, v0, 16, 1
	v_add3_u32 v0, v0, v1, s15
	scratch_store_dword off, v0, s32 offset:444 ; 4-byte Folded Spill
                                        ; implicit-def: $vgpr0
.LBB189_223:                            ;   in Loop: Header=BB189_43 Depth=1
	s_andn2_saveexec_b64 s[10:11], s[4:5]
	s_cbranch_execz .LBB189_225
; %bb.224:                              ;   in Loop: Header=BB189_43 Depth=1
	v_or_b32_e32 v1, 0x10000, v0
	v_cmp_eq_u32_sdwa s[4:5], v0, v35 src0_sel:WORD_0 src1_sel:DWORD
	s_nop 1
	v_cndmask_b32_e64 v0, v1, v0, s[4:5]
	scratch_store_dword off, v0, s32 offset:444 ; 4-byte Folded Spill
.LBB189_225:                            ;   in Loop: Header=BB189_43 Depth=1
	s_or_b64 exec, exec, s[10:11]
	v_lshlrev_b32_e32 v0, 16, v9
	v_mul_f32_e32 v0, v38, v0
	v_and_b32_e32 v1, 0x7f800000, v0
	v_cmp_ne_u32_e64 s[4:5], s12, v1
                                        ; implicit-def: $vgpr1
                                        ; kill: killed $vgpr1
	;; [unrolled: 25-line block ×5, first 2 shown]
	s_and_saveexec_b64 s[10:11], s[4:5]
	s_xor_b64 s[4:5], exec, s[10:11]
	s_cbranch_execz .LBB189_239
; %bb.238:                              ;   in Loop: Header=BB189_43 Depth=1
	v_bfe_u32 v1, v0, 16, 1
	v_add3_u32 v0, v0, v1, s15
	scratch_store_dword off, v0, s32 offset:460 ; 4-byte Folded Spill
                                        ; implicit-def: $vgpr0
.LBB189_239:                            ;   in Loop: Header=BB189_43 Depth=1
	s_andn2_saveexec_b64 s[10:11], s[4:5]
	s_cbranch_execz .LBB189_241
; %bb.240:                              ;   in Loop: Header=BB189_43 Depth=1
	v_or_b32_e32 v1, 0x10000, v0
	v_cmp_eq_u32_sdwa s[4:5], v0, v35 src0_sel:WORD_0 src1_sel:DWORD
	s_nop 1
	v_cndmask_b32_e64 v0, v1, v0, s[4:5]
	scratch_store_dword off, v0, s32 offset:460 ; 4-byte Folded Spill
.LBB189_241:                            ;   in Loop: Header=BB189_43 Depth=1
	s_or_b64 exec, exec, s[10:11]
	v_lshlrev_b32_e32 v0, 16, v4
	v_mul_f32_e32 v0, v50, v0
	v_and_b32_e32 v1, 0x7f800000, v0
	v_cmp_ne_u32_e64 s[4:5], s12, v1
                                        ; implicit-def: $agpr3
	s_and_saveexec_b64 s[10:11], s[4:5]
	s_xor_b64 s[4:5], exec, s[10:11]
; %bb.242:                              ;   in Loop: Header=BB189_43 Depth=1
	v_bfe_u32 v1, v0, 16, 1
	v_add3_u32 v0, v0, v1, s15
	v_accvgpr_write_b32 a3, v0
                                        ; implicit-def: $vgpr0
; %bb.243:                              ;   in Loop: Header=BB189_43 Depth=1
	s_andn2_saveexec_b64 s[10:11], s[4:5]
; %bb.244:                              ;   in Loop: Header=BB189_43 Depth=1
	v_or_b32_e32 v1, 0x10000, v0
	v_cmp_eq_u32_sdwa s[4:5], v0, v35 src0_sel:WORD_0 src1_sel:DWORD
	s_nop 1
	v_cndmask_b32_e64 v0, v1, v0, s[4:5]
	v_accvgpr_write_b32 a3, v0
; %bb.245:                              ;   in Loop: Header=BB189_43 Depth=1
	s_or_b64 exec, exec, s[10:11]
	scratch_load_dwordx2 v[0:1], off, s32 offset:216 ; 8-byte Folded Reload
	s_waitcnt vmcnt(0)
	v_mov_b32_e32 v1, v35
	v_mov_b32_e32 v2, v0
	v_lshl_add_u64 v[0:1], v[6:7], 0, v[0:1]
	scratch_store_dwordx2 off, v[2:3], s32 offset:216 ; 8-byte Folded Spill
	flat_load_dwordx4 v[0:3], v[0:1]
	s_waitcnt vmcnt(0) lgkmcnt(0)
	v_lshrrev_b32_e32 v10, 16, v0
	v_lshrrev_b32_e32 v9, 16, v1
	;; [unrolled: 1-line block ×4, first 2 shown]
	s_and_saveexec_b64 s[10:11], vcc
	s_cbranch_execz .LBB189_247
; %bb.246:                              ;   in Loop: Header=BB189_43 Depth=1
	v_accvgpr_read_b32 v11, a41
	v_cmp_lt_i32_e64 s[4:5], v11, v62
	v_accvgpr_read_b32 v11, a46
	s_nop 0
	v_cndmask_b32_e64 v0, 0, v0, s[4:5]
	v_cmp_lt_i32_e64 s[4:5], v11, v62
	v_accvgpr_read_b32 v11, a47
	s_nop 0
	v_cndmask_b32_e64 v10, 0, v10, s[4:5]
	v_cmp_lt_i32_e64 s[4:5], v58, v62
	s_nop 1
	v_cndmask_b32_e64 v1, 0, v1, s[4:5]
	v_cmp_lt_i32_e64 s[4:5], v41, v62
	;; [unrolled: 3-line block ×3, first 2 shown]
	v_accvgpr_read_b32 v11, a43
	s_nop 0
	v_cndmask_b32_e64 v2, 0, v2, s[4:5]
	v_cmp_lt_i32_e64 s[4:5], v11, v62
	v_accvgpr_read_b32 v11, a45
	s_nop 0
	v_cndmask_b32_e64 v8, 0, v8, s[4:5]
	v_cmp_lt_i32_e64 s[4:5], v11, v62
	s_nop 1
	v_cndmask_b32_e64 v3, 0, v3, s[4:5]
	v_cmp_lt_i32_e64 s[4:5], v17, v62
	s_nop 1
	v_cndmask_b32_e64 v4, 0, v4, s[4:5]
.LBB189_247:                            ;   in Loop: Header=BB189_43 Depth=1
	s_or_b64 exec, exec, s[10:11]
	v_lshlrev_b32_e32 v0, 16, v0
	v_mul_f32_e32 v0, v5, v0
	v_and_b32_e32 v11, 0x7f800000, v0
	v_cmp_ne_u32_e64 s[4:5], s12, v11
                                        ; implicit-def: $agpr10
	s_and_saveexec_b64 s[10:11], s[4:5]
	s_xor_b64 s[4:5], exec, s[10:11]
; %bb.248:                              ;   in Loop: Header=BB189_43 Depth=1
	v_bfe_u32 v11, v0, 16, 1
	v_add3_u32 v0, v0, v11, s15
	v_accvgpr_write_b32 a10, v0
                                        ; implicit-def: $vgpr0
; %bb.249:                              ;   in Loop: Header=BB189_43 Depth=1
	s_andn2_saveexec_b64 s[10:11], s[4:5]
; %bb.250:                              ;   in Loop: Header=BB189_43 Depth=1
	v_or_b32_e32 v11, 0x10000, v0
	v_cmp_eq_u32_sdwa s[4:5], v0, v35 src0_sel:WORD_0 src1_sel:DWORD
	s_nop 1
	v_cndmask_b32_e64 v0, v11, v0, s[4:5]
	v_accvgpr_write_b32 a10, v0
; %bb.251:                              ;   in Loop: Header=BB189_43 Depth=1
	s_or_b64 exec, exec, s[10:11]
	v_lshlrev_b32_e32 v0, 16, v10
	v_mul_f32_e32 v0, v36, v0
	v_and_b32_e32 v10, 0x7f800000, v0
	v_cmp_ne_u32_e64 s[4:5], s12, v10
                                        ; implicit-def: $agpr11
	s_and_saveexec_b64 s[10:11], s[4:5]
	s_xor_b64 s[4:5], exec, s[10:11]
; %bb.252:                              ;   in Loop: Header=BB189_43 Depth=1
	v_bfe_u32 v10, v0, 16, 1
	v_add3_u32 v0, v0, v10, s15
	v_accvgpr_write_b32 a11, v0
                                        ; implicit-def: $vgpr0
; %bb.253:                              ;   in Loop: Header=BB189_43 Depth=1
	s_andn2_saveexec_b64 s[10:11], s[4:5]
; %bb.254:                              ;   in Loop: Header=BB189_43 Depth=1
	v_or_b32_e32 v10, 0x10000, v0
	v_cmp_eq_u32_sdwa s[4:5], v0, v35 src0_sel:WORD_0 src1_sel:DWORD
	s_nop 1
	v_cndmask_b32_e64 v0, v10, v0, s[4:5]
	v_accvgpr_write_b32 a11, v0
; %bb.255:                              ;   in Loop: Header=BB189_43 Depth=1
	s_or_b64 exec, exec, s[10:11]
	v_lshlrev_b32_e32 v0, 16, v1
	v_mul_f32_e32 v0, v37, v0
	v_and_b32_e32 v1, 0x7f800000, v0
	v_cmp_ne_u32_e64 s[4:5], s12, v1
                                        ; implicit-def: $agpr4
	s_and_saveexec_b64 s[10:11], s[4:5]
	s_xor_b64 s[4:5], exec, s[10:11]
; %bb.256:                              ;   in Loop: Header=BB189_43 Depth=1
	v_bfe_u32 v1, v0, 16, 1
	v_add3_u32 v0, v0, v1, s15
	v_accvgpr_write_b32 a4, v0
                                        ; implicit-def: $vgpr0
; %bb.257:                              ;   in Loop: Header=BB189_43 Depth=1
	s_andn2_saveexec_b64 s[10:11], s[4:5]
; %bb.258:                              ;   in Loop: Header=BB189_43 Depth=1
	v_or_b32_e32 v1, 0x10000, v0
	v_cmp_eq_u32_sdwa s[4:5], v0, v35 src0_sel:WORD_0 src1_sel:DWORD
	s_nop 1
	v_cndmask_b32_e64 v0, v1, v0, s[4:5]
	v_accvgpr_write_b32 a4, v0
; %bb.259:                              ;   in Loop: Header=BB189_43 Depth=1
	s_or_b64 exec, exec, s[10:11]
	v_lshlrev_b32_e32 v0, 16, v9
	v_mul_f32_e32 v0, v38, v0
	v_and_b32_e32 v1, 0x7f800000, v0
	v_cmp_ne_u32_e64 s[4:5], s12, v1
                                        ; implicit-def: $agpr14
	s_and_saveexec_b64 s[10:11], s[4:5]
	s_xor_b64 s[4:5], exec, s[10:11]
; %bb.260:                              ;   in Loop: Header=BB189_43 Depth=1
	v_bfe_u32 v1, v0, 16, 1
	v_add3_u32 v0, v0, v1, s15
	v_accvgpr_write_b32 a14, v0
                                        ; implicit-def: $vgpr0
; %bb.261:                              ;   in Loop: Header=BB189_43 Depth=1
	s_andn2_saveexec_b64 s[10:11], s[4:5]
; %bb.262:                              ;   in Loop: Header=BB189_43 Depth=1
	v_or_b32_e32 v1, 0x10000, v0
	v_cmp_eq_u32_sdwa s[4:5], v0, v35 src0_sel:WORD_0 src1_sel:DWORD
	s_nop 1
	v_cndmask_b32_e64 v0, v1, v0, s[4:5]
	v_accvgpr_write_b32 a14, v0
; %bb.263:                              ;   in Loop: Header=BB189_43 Depth=1
	s_or_b64 exec, exec, s[10:11]
	v_lshlrev_b32_e32 v0, 16, v2
	v_mul_f32_e32 v0, v39, v0
	v_and_b32_e32 v1, 0x7f800000, v0
	v_cmp_ne_u32_e64 s[4:5], s12, v1
                                        ; implicit-def: $agpr15
	s_and_saveexec_b64 s[10:11], s[4:5]
	s_xor_b64 s[4:5], exec, s[10:11]
; %bb.264:                              ;   in Loop: Header=BB189_43 Depth=1
	v_bfe_u32 v1, v0, 16, 1
	v_add3_u32 v0, v0, v1, s15
	v_accvgpr_write_b32 a15, v0
                                        ; implicit-def: $vgpr0
; %bb.265:                              ;   in Loop: Header=BB189_43 Depth=1
	s_andn2_saveexec_b64 s[10:11], s[4:5]
; %bb.266:                              ;   in Loop: Header=BB189_43 Depth=1
	v_or_b32_e32 v1, 0x10000, v0
	v_cmp_eq_u32_sdwa s[4:5], v0, v35 src0_sel:WORD_0 src1_sel:DWORD
	s_nop 1
	v_cndmask_b32_e64 v0, v1, v0, s[4:5]
	v_accvgpr_write_b32 a15, v0
; %bb.267:                              ;   in Loop: Header=BB189_43 Depth=1
	s_or_b64 exec, exec, s[10:11]
	v_lshlrev_b32_e32 v0, 16, v8
	v_mul_f32_e32 v0, v48, v0
	v_and_b32_e32 v1, 0x7f800000, v0
	v_cmp_ne_u32_e64 s[4:5], s12, v1
                                        ; implicit-def: $agpr16
	s_and_saveexec_b64 s[10:11], s[4:5]
	s_xor_b64 s[4:5], exec, s[10:11]
; %bb.268:                              ;   in Loop: Header=BB189_43 Depth=1
	v_bfe_u32 v1, v0, 16, 1
	v_add3_u32 v0, v0, v1, s15
	v_accvgpr_write_b32 a16, v0
                                        ; implicit-def: $vgpr0
; %bb.269:                              ;   in Loop: Header=BB189_43 Depth=1
	s_andn2_saveexec_b64 s[10:11], s[4:5]
; %bb.270:                              ;   in Loop: Header=BB189_43 Depth=1
	v_or_b32_e32 v1, 0x10000, v0
	v_cmp_eq_u32_sdwa s[4:5], v0, v35 src0_sel:WORD_0 src1_sel:DWORD
	s_nop 1
	v_cndmask_b32_e64 v0, v1, v0, s[4:5]
	v_accvgpr_write_b32 a16, v0
; %bb.271:                              ;   in Loop: Header=BB189_43 Depth=1
	s_or_b64 exec, exec, s[10:11]
	v_lshlrev_b32_e32 v0, 16, v3
	v_mul_f32_e32 v0, v49, v0
	v_and_b32_e32 v1, 0x7f800000, v0
	v_cmp_ne_u32_e64 s[4:5], s12, v1
                                        ; implicit-def: $agpr18
	s_and_saveexec_b64 s[10:11], s[4:5]
	s_xor_b64 s[4:5], exec, s[10:11]
; %bb.272:                              ;   in Loop: Header=BB189_43 Depth=1
	v_bfe_u32 v1, v0, 16, 1
	v_add3_u32 v0, v0, v1, s15
	v_accvgpr_write_b32 a18, v0
                                        ; implicit-def: $vgpr0
; %bb.273:                              ;   in Loop: Header=BB189_43 Depth=1
	s_andn2_saveexec_b64 s[10:11], s[4:5]
; %bb.274:                              ;   in Loop: Header=BB189_43 Depth=1
	v_or_b32_e32 v1, 0x10000, v0
	v_cmp_eq_u32_sdwa s[4:5], v0, v35 src0_sel:WORD_0 src1_sel:DWORD
	s_nop 1
	v_cndmask_b32_e64 v0, v1, v0, s[4:5]
	v_accvgpr_write_b32 a18, v0
; %bb.275:                              ;   in Loop: Header=BB189_43 Depth=1
	s_or_b64 exec, exec, s[10:11]
	v_lshlrev_b32_e32 v0, 16, v4
	v_mul_f32_e32 v0, v50, v0
	v_and_b32_e32 v1, 0x7f800000, v0
	v_cmp_ne_u32_e64 s[4:5], s12, v1
                                        ; implicit-def: $agpr20
	s_and_saveexec_b64 s[10:11], s[4:5]
	s_xor_b64 s[4:5], exec, s[10:11]
; %bb.276:                              ;   in Loop: Header=BB189_43 Depth=1
	v_bfe_u32 v1, v0, 16, 1
	v_add3_u32 v0, v0, v1, s15
	v_accvgpr_write_b32 a20, v0
                                        ; implicit-def: $vgpr0
; %bb.277:                              ;   in Loop: Header=BB189_43 Depth=1
	s_andn2_saveexec_b64 s[10:11], s[4:5]
; %bb.278:                              ;   in Loop: Header=BB189_43 Depth=1
	v_or_b32_e32 v1, 0x10000, v0
	v_cmp_eq_u32_sdwa s[4:5], v0, v35 src0_sel:WORD_0 src1_sel:DWORD
	s_nop 1
	v_cndmask_b32_e64 v0, v1, v0, s[4:5]
	v_accvgpr_write_b32 a20, v0
; %bb.279:                              ;   in Loop: Header=BB189_43 Depth=1
	s_or_b64 exec, exec, s[10:11]
	scratch_load_dwordx2 v[0:1], off, s32 offset:224 ; 8-byte Folded Reload
	s_waitcnt vmcnt(0)
	v_mov_b32_e32 v1, v35
	v_mov_b32_e32 v2, v0
	v_lshl_add_u64 v[0:1], v[6:7], 0, v[0:1]
	scratch_store_dwordx2 off, v[2:3], s32 offset:224 ; 8-byte Folded Spill
	flat_load_dwordx4 v[0:3], v[0:1]
	s_waitcnt vmcnt(0) lgkmcnt(0)
	v_lshrrev_b32_e32 v10, 16, v0
	v_lshrrev_b32_e32 v9, 16, v1
	;; [unrolled: 1-line block ×4, first 2 shown]
	s_and_saveexec_b64 s[10:11], vcc
	s_cbranch_execz .LBB189_281
; %bb.280:                              ;   in Loop: Header=BB189_43 Depth=1
	v_accvgpr_read_b32 v11, a41
	v_cmp_lt_i32_e64 s[4:5], v11, v62
	v_accvgpr_read_b32 v11, a46
	s_nop 0
	v_cndmask_b32_e64 v0, 0, v0, s[4:5]
	v_cmp_lt_i32_e64 s[4:5], v11, v62
	v_accvgpr_read_b32 v11, a47
	s_nop 0
	v_cndmask_b32_e64 v10, 0, v10, s[4:5]
	v_cmp_lt_i32_e64 s[4:5], v58, v62
	s_nop 1
	v_cndmask_b32_e64 v1, 0, v1, s[4:5]
	v_cmp_lt_i32_e64 s[4:5], v41, v62
	;; [unrolled: 3-line block ×3, first 2 shown]
	v_accvgpr_read_b32 v11, a43
	s_nop 0
	v_cndmask_b32_e64 v2, 0, v2, s[4:5]
	v_cmp_lt_i32_e64 s[4:5], v11, v62
	v_accvgpr_read_b32 v11, a45
	s_nop 0
	v_cndmask_b32_e64 v8, 0, v8, s[4:5]
	v_cmp_lt_i32_e64 s[4:5], v11, v62
	s_nop 1
	v_cndmask_b32_e64 v3, 0, v3, s[4:5]
	v_cmp_lt_i32_e64 s[4:5], v17, v62
	s_nop 1
	v_cndmask_b32_e64 v4, 0, v4, s[4:5]
.LBB189_281:                            ;   in Loop: Header=BB189_43 Depth=1
	s_or_b64 exec, exec, s[10:11]
	v_lshlrev_b32_e32 v0, 16, v0
	v_mul_f32_e32 v0, v5, v0
	v_and_b32_e32 v11, 0x7f800000, v0
	v_cmp_ne_u32_e64 s[4:5], s12, v11
                                        ; implicit-def: $agpr22
	s_and_saveexec_b64 s[10:11], s[4:5]
	s_xor_b64 s[4:5], exec, s[10:11]
; %bb.282:                              ;   in Loop: Header=BB189_43 Depth=1
	v_bfe_u32 v11, v0, 16, 1
	v_add3_u32 v0, v0, v11, s15
	v_accvgpr_write_b32 a22, v0
                                        ; implicit-def: $vgpr0
; %bb.283:                              ;   in Loop: Header=BB189_43 Depth=1
	s_andn2_saveexec_b64 s[10:11], s[4:5]
; %bb.284:                              ;   in Loop: Header=BB189_43 Depth=1
	v_or_b32_e32 v11, 0x10000, v0
	v_cmp_eq_u32_sdwa s[4:5], v0, v35 src0_sel:WORD_0 src1_sel:DWORD
	s_nop 1
	v_cndmask_b32_e64 v0, v11, v0, s[4:5]
	v_accvgpr_write_b32 a22, v0
; %bb.285:                              ;   in Loop: Header=BB189_43 Depth=1
	s_or_b64 exec, exec, s[10:11]
	v_lshlrev_b32_e32 v0, 16, v10
	v_mul_f32_e32 v0, v36, v0
	v_and_b32_e32 v10, 0x7f800000, v0
	v_cmp_ne_u32_e64 s[4:5], s12, v10
                                        ; implicit-def: $agpr24
	s_and_saveexec_b64 s[10:11], s[4:5]
	s_xor_b64 s[4:5], exec, s[10:11]
; %bb.286:                              ;   in Loop: Header=BB189_43 Depth=1
	v_bfe_u32 v10, v0, 16, 1
	v_add3_u32 v0, v0, v10, s15
	v_accvgpr_write_b32 a24, v0
                                        ; implicit-def: $vgpr0
; %bb.287:                              ;   in Loop: Header=BB189_43 Depth=1
	s_andn2_saveexec_b64 s[10:11], s[4:5]
; %bb.288:                              ;   in Loop: Header=BB189_43 Depth=1
	v_or_b32_e32 v10, 0x10000, v0
	v_cmp_eq_u32_sdwa s[4:5], v0, v35 src0_sel:WORD_0 src1_sel:DWORD
	s_nop 1
	v_cndmask_b32_e64 v0, v10, v0, s[4:5]
	v_accvgpr_write_b32 a24, v0
; %bb.289:                              ;   in Loop: Header=BB189_43 Depth=1
	s_or_b64 exec, exec, s[10:11]
	v_lshlrev_b32_e32 v0, 16, v1
	v_mul_f32_e32 v0, v37, v0
	v_and_b32_e32 v1, 0x7f800000, v0
	v_cmp_ne_u32_e64 s[4:5], s12, v1
                                        ; implicit-def: $agpr26
	s_and_saveexec_b64 s[10:11], s[4:5]
	s_xor_b64 s[4:5], exec, s[10:11]
; %bb.290:                              ;   in Loop: Header=BB189_43 Depth=1
	v_bfe_u32 v1, v0, 16, 1
	v_add3_u32 v0, v0, v1, s15
	v_accvgpr_write_b32 a26, v0
                                        ; implicit-def: $vgpr0
; %bb.291:                              ;   in Loop: Header=BB189_43 Depth=1
	s_andn2_saveexec_b64 s[10:11], s[4:5]
; %bb.292:                              ;   in Loop: Header=BB189_43 Depth=1
	v_or_b32_e32 v1, 0x10000, v0
	v_cmp_eq_u32_sdwa s[4:5], v0, v35 src0_sel:WORD_0 src1_sel:DWORD
	s_nop 1
	v_cndmask_b32_e64 v0, v1, v0, s[4:5]
	v_accvgpr_write_b32 a26, v0
; %bb.293:                              ;   in Loop: Header=BB189_43 Depth=1
	s_or_b64 exec, exec, s[10:11]
	v_lshlrev_b32_e32 v0, 16, v9
	v_mul_f32_e32 v0, v38, v0
	v_and_b32_e32 v1, 0x7f800000, v0
	v_cmp_ne_u32_e64 s[4:5], s12, v1
                                        ; implicit-def: $agpr28
	s_and_saveexec_b64 s[10:11], s[4:5]
	s_xor_b64 s[4:5], exec, s[10:11]
; %bb.294:                              ;   in Loop: Header=BB189_43 Depth=1
	v_bfe_u32 v1, v0, 16, 1
	v_add3_u32 v0, v0, v1, s15
	v_accvgpr_write_b32 a28, v0
                                        ; implicit-def: $vgpr0
; %bb.295:                              ;   in Loop: Header=BB189_43 Depth=1
	s_andn2_saveexec_b64 s[10:11], s[4:5]
; %bb.296:                              ;   in Loop: Header=BB189_43 Depth=1
	v_or_b32_e32 v1, 0x10000, v0
	v_cmp_eq_u32_sdwa s[4:5], v0, v35 src0_sel:WORD_0 src1_sel:DWORD
	s_nop 1
	v_cndmask_b32_e64 v0, v1, v0, s[4:5]
	v_accvgpr_write_b32 a28, v0
; %bb.297:                              ;   in Loop: Header=BB189_43 Depth=1
	s_or_b64 exec, exec, s[10:11]
	v_lshlrev_b32_e32 v0, 16, v2
	v_mul_f32_e32 v0, v39, v0
	v_and_b32_e32 v1, 0x7f800000, v0
	v_cmp_ne_u32_e64 s[4:5], s12, v1
                                        ; implicit-def: $agpr30
	s_and_saveexec_b64 s[10:11], s[4:5]
	s_xor_b64 s[4:5], exec, s[10:11]
; %bb.298:                              ;   in Loop: Header=BB189_43 Depth=1
	v_bfe_u32 v1, v0, 16, 1
	v_add3_u32 v0, v0, v1, s15
	v_accvgpr_write_b32 a30, v0
                                        ; implicit-def: $vgpr0
; %bb.299:                              ;   in Loop: Header=BB189_43 Depth=1
	s_andn2_saveexec_b64 s[10:11], s[4:5]
; %bb.300:                              ;   in Loop: Header=BB189_43 Depth=1
	v_or_b32_e32 v1, 0x10000, v0
	v_cmp_eq_u32_sdwa s[4:5], v0, v35 src0_sel:WORD_0 src1_sel:DWORD
	s_nop 1
	v_cndmask_b32_e64 v0, v1, v0, s[4:5]
	v_accvgpr_write_b32 a30, v0
; %bb.301:                              ;   in Loop: Header=BB189_43 Depth=1
	s_or_b64 exec, exec, s[10:11]
	v_lshlrev_b32_e32 v0, 16, v8
	v_mul_f32_e32 v0, v48, v0
	v_and_b32_e32 v1, 0x7f800000, v0
	v_cmp_ne_u32_e64 s[4:5], s12, v1
                                        ; implicit-def: $agpr32
	s_and_saveexec_b64 s[10:11], s[4:5]
	s_xor_b64 s[4:5], exec, s[10:11]
; %bb.302:                              ;   in Loop: Header=BB189_43 Depth=1
	v_bfe_u32 v1, v0, 16, 1
	v_add3_u32 v0, v0, v1, s15
	v_accvgpr_write_b32 a32, v0
                                        ; implicit-def: $vgpr0
; %bb.303:                              ;   in Loop: Header=BB189_43 Depth=1
	s_andn2_saveexec_b64 s[10:11], s[4:5]
; %bb.304:                              ;   in Loop: Header=BB189_43 Depth=1
	v_or_b32_e32 v1, 0x10000, v0
	v_cmp_eq_u32_sdwa s[4:5], v0, v35 src0_sel:WORD_0 src1_sel:DWORD
	s_nop 1
	v_cndmask_b32_e64 v0, v1, v0, s[4:5]
	v_accvgpr_write_b32 a32, v0
; %bb.305:                              ;   in Loop: Header=BB189_43 Depth=1
	s_or_b64 exec, exec, s[10:11]
	v_lshlrev_b32_e32 v0, 16, v3
	v_mul_f32_e32 v0, v49, v0
	v_and_b32_e32 v1, 0x7f800000, v0
	v_cmp_ne_u32_e64 s[4:5], s12, v1
                                        ; implicit-def: $agpr34
	s_and_saveexec_b64 s[10:11], s[4:5]
	s_xor_b64 s[4:5], exec, s[10:11]
; %bb.306:                              ;   in Loop: Header=BB189_43 Depth=1
	v_bfe_u32 v1, v0, 16, 1
	v_add3_u32 v0, v0, v1, s15
	v_accvgpr_write_b32 a34, v0
                                        ; implicit-def: $vgpr0
; %bb.307:                              ;   in Loop: Header=BB189_43 Depth=1
	s_andn2_saveexec_b64 s[10:11], s[4:5]
; %bb.308:                              ;   in Loop: Header=BB189_43 Depth=1
	v_or_b32_e32 v1, 0x10000, v0
	v_cmp_eq_u32_sdwa s[4:5], v0, v35 src0_sel:WORD_0 src1_sel:DWORD
	s_nop 1
	v_cndmask_b32_e64 v0, v1, v0, s[4:5]
	v_accvgpr_write_b32 a34, v0
; %bb.309:                              ;   in Loop: Header=BB189_43 Depth=1
	s_or_b64 exec, exec, s[10:11]
	v_lshlrev_b32_e32 v0, 16, v4
	v_mul_f32_e32 v0, v50, v0
	v_and_b32_e32 v1, 0x7f800000, v0
	v_cmp_ne_u32_e64 s[4:5], s12, v1
                                        ; implicit-def: $agpr36
	s_and_saveexec_b64 s[10:11], s[4:5]
	s_xor_b64 s[4:5], exec, s[10:11]
; %bb.310:                              ;   in Loop: Header=BB189_43 Depth=1
	v_bfe_u32 v1, v0, 16, 1
	v_add3_u32 v0, v0, v1, s15
	v_accvgpr_write_b32 a36, v0
                                        ; implicit-def: $vgpr0
; %bb.311:                              ;   in Loop: Header=BB189_43 Depth=1
	s_andn2_saveexec_b64 s[10:11], s[4:5]
; %bb.312:                              ;   in Loop: Header=BB189_43 Depth=1
	v_or_b32_e32 v1, 0x10000, v0
	v_cmp_eq_u32_sdwa s[4:5], v0, v35 src0_sel:WORD_0 src1_sel:DWORD
	s_nop 1
	v_cndmask_b32_e64 v0, v1, v0, s[4:5]
	v_accvgpr_write_b32 a36, v0
; %bb.313:                              ;   in Loop: Header=BB189_43 Depth=1
	s_or_b64 exec, exec, s[10:11]
	scratch_load_dwordx2 v[0:1], off, s32 offset:232 ; 8-byte Folded Reload
	s_waitcnt vmcnt(0)
	v_mov_b32_e32 v1, v35
	v_mov_b32_e32 v2, v0
	v_lshl_add_u64 v[0:1], v[6:7], 0, v[0:1]
	scratch_store_dwordx2 off, v[2:3], s32 offset:232 ; 8-byte Folded Spill
	flat_load_dwordx4 v[0:3], v[0:1]
	s_waitcnt vmcnt(0) lgkmcnt(0)
	v_lshrrev_b32_e32 v10, 16, v0
	v_lshrrev_b32_e32 v9, 16, v1
	;; [unrolled: 1-line block ×4, first 2 shown]
	s_and_saveexec_b64 s[10:11], vcc
	s_cbranch_execz .LBB189_315
; %bb.314:                              ;   in Loop: Header=BB189_43 Depth=1
	v_accvgpr_read_b32 v11, a41
	v_cmp_lt_i32_e64 s[4:5], v11, v62
	v_accvgpr_read_b32 v11, a46
	s_nop 0
	v_cndmask_b32_e64 v0, 0, v0, s[4:5]
	v_cmp_lt_i32_e64 s[4:5], v11, v62
	v_accvgpr_read_b32 v11, a47
	s_nop 0
	v_cndmask_b32_e64 v10, 0, v10, s[4:5]
	v_cmp_lt_i32_e64 s[4:5], v58, v62
	s_nop 1
	v_cndmask_b32_e64 v1, 0, v1, s[4:5]
	v_cmp_lt_i32_e64 s[4:5], v41, v62
	;; [unrolled: 3-line block ×3, first 2 shown]
	v_accvgpr_read_b32 v11, a43
	s_nop 0
	v_cndmask_b32_e64 v2, 0, v2, s[4:5]
	v_cmp_lt_i32_e64 s[4:5], v11, v62
	v_accvgpr_read_b32 v11, a45
	s_nop 0
	v_cndmask_b32_e64 v8, 0, v8, s[4:5]
	v_cmp_lt_i32_e64 s[4:5], v11, v62
	s_nop 1
	v_cndmask_b32_e64 v3, 0, v3, s[4:5]
	v_cmp_lt_i32_e64 s[4:5], v17, v62
	s_nop 1
	v_cndmask_b32_e64 v4, 0, v4, s[4:5]
.LBB189_315:                            ;   in Loop: Header=BB189_43 Depth=1
	s_or_b64 exec, exec, s[10:11]
	v_lshlrev_b32_e32 v0, 16, v0
	v_mul_f32_e32 v0, v5, v0
	v_and_b32_e32 v11, 0x7f800000, v0
	v_cmp_ne_u32_e64 s[4:5], s12, v11
                                        ; implicit-def: $agpr38
	s_and_saveexec_b64 s[10:11], s[4:5]
	s_xor_b64 s[4:5], exec, s[10:11]
; %bb.316:                              ;   in Loop: Header=BB189_43 Depth=1
	v_bfe_u32 v11, v0, 16, 1
	v_add3_u32 v0, v0, v11, s15
	v_accvgpr_write_b32 a38, v0
                                        ; implicit-def: $vgpr0
; %bb.317:                              ;   in Loop: Header=BB189_43 Depth=1
	s_andn2_saveexec_b64 s[10:11], s[4:5]
; %bb.318:                              ;   in Loop: Header=BB189_43 Depth=1
	v_or_b32_e32 v11, 0x10000, v0
	v_cmp_eq_u32_sdwa s[4:5], v0, v35 src0_sel:WORD_0 src1_sel:DWORD
	s_nop 1
	v_cndmask_b32_e64 v0, v11, v0, s[4:5]
	v_accvgpr_write_b32 a38, v0
; %bb.319:                              ;   in Loop: Header=BB189_43 Depth=1
	s_or_b64 exec, exec, s[10:11]
	v_lshlrev_b32_e32 v0, 16, v10
	v_mul_f32_e32 v0, v36, v0
	v_and_b32_e32 v10, 0x7f800000, v0
	v_cmp_ne_u32_e64 s[4:5], s12, v10
                                        ; implicit-def: $agpr6
	s_and_saveexec_b64 s[10:11], s[4:5]
	s_xor_b64 s[4:5], exec, s[10:11]
; %bb.320:                              ;   in Loop: Header=BB189_43 Depth=1
	v_bfe_u32 v10, v0, 16, 1
	v_add3_u32 v0, v0, v10, s15
	v_accvgpr_write_b32 a6, v0
                                        ; implicit-def: $vgpr0
; %bb.321:                              ;   in Loop: Header=BB189_43 Depth=1
	s_andn2_saveexec_b64 s[10:11], s[4:5]
; %bb.322:                              ;   in Loop: Header=BB189_43 Depth=1
	v_or_b32_e32 v10, 0x10000, v0
	v_cmp_eq_u32_sdwa s[4:5], v0, v35 src0_sel:WORD_0 src1_sel:DWORD
	s_nop 1
	v_cndmask_b32_e64 v0, v10, v0, s[4:5]
	v_accvgpr_write_b32 a6, v0
; %bb.323:                              ;   in Loop: Header=BB189_43 Depth=1
	s_or_b64 exec, exec, s[10:11]
	v_lshlrev_b32_e32 v0, 16, v1
	v_mul_f32_e32 v0, v37, v0
	v_and_b32_e32 v1, 0x7f800000, v0
	v_cmp_ne_u32_e64 s[4:5], s12, v1
                                        ; implicit-def: $agpr13
	s_and_saveexec_b64 s[10:11], s[4:5]
	s_xor_b64 s[4:5], exec, s[10:11]
; %bb.324:                              ;   in Loop: Header=BB189_43 Depth=1
	v_bfe_u32 v1, v0, 16, 1
	v_add3_u32 v0, v0, v1, s15
	v_accvgpr_write_b32 a13, v0
                                        ; implicit-def: $vgpr0
; %bb.325:                              ;   in Loop: Header=BB189_43 Depth=1
	s_andn2_saveexec_b64 s[10:11], s[4:5]
; %bb.326:                              ;   in Loop: Header=BB189_43 Depth=1
	v_or_b32_e32 v1, 0x10000, v0
	v_cmp_eq_u32_sdwa s[4:5], v0, v35 src0_sel:WORD_0 src1_sel:DWORD
	s_nop 1
	v_cndmask_b32_e64 v0, v1, v0, s[4:5]
	v_accvgpr_write_b32 a13, v0
; %bb.327:                              ;   in Loop: Header=BB189_43 Depth=1
	s_or_b64 exec, exec, s[10:11]
	v_lshlrev_b32_e32 v0, 16, v9
	v_mul_f32_e32 v0, v38, v0
	v_and_b32_e32 v1, 0x7f800000, v0
	v_cmp_ne_u32_e64 s[4:5], s12, v1
                                        ; implicit-def: $agpr17
	s_and_saveexec_b64 s[10:11], s[4:5]
	s_xor_b64 s[4:5], exec, s[10:11]
; %bb.328:                              ;   in Loop: Header=BB189_43 Depth=1
	v_bfe_u32 v1, v0, 16, 1
	v_add3_u32 v0, v0, v1, s15
	v_accvgpr_write_b32 a17, v0
                                        ; implicit-def: $vgpr0
; %bb.329:                              ;   in Loop: Header=BB189_43 Depth=1
	s_andn2_saveexec_b64 s[10:11], s[4:5]
; %bb.330:                              ;   in Loop: Header=BB189_43 Depth=1
	v_or_b32_e32 v1, 0x10000, v0
	v_cmp_eq_u32_sdwa s[4:5], v0, v35 src0_sel:WORD_0 src1_sel:DWORD
	s_nop 1
	v_cndmask_b32_e64 v0, v1, v0, s[4:5]
	v_accvgpr_write_b32 a17, v0
; %bb.331:                              ;   in Loop: Header=BB189_43 Depth=1
	s_or_b64 exec, exec, s[10:11]
	v_lshlrev_b32_e32 v0, 16, v2
	v_mul_f32_e32 v0, v39, v0
	v_and_b32_e32 v1, 0x7f800000, v0
	v_cmp_ne_u32_e64 s[4:5], s12, v1
                                        ; implicit-def: $agpr19
	s_and_saveexec_b64 s[10:11], s[4:5]
	s_xor_b64 s[4:5], exec, s[10:11]
; %bb.332:                              ;   in Loop: Header=BB189_43 Depth=1
	v_bfe_u32 v1, v0, 16, 1
	v_add3_u32 v0, v0, v1, s15
	v_accvgpr_write_b32 a19, v0
                                        ; implicit-def: $vgpr0
; %bb.333:                              ;   in Loop: Header=BB189_43 Depth=1
	s_andn2_saveexec_b64 s[10:11], s[4:5]
; %bb.334:                              ;   in Loop: Header=BB189_43 Depth=1
	v_or_b32_e32 v1, 0x10000, v0
	v_cmp_eq_u32_sdwa s[4:5], v0, v35 src0_sel:WORD_0 src1_sel:DWORD
	s_nop 1
	v_cndmask_b32_e64 v0, v1, v0, s[4:5]
	v_accvgpr_write_b32 a19, v0
; %bb.335:                              ;   in Loop: Header=BB189_43 Depth=1
	s_or_b64 exec, exec, s[10:11]
	v_lshlrev_b32_e32 v0, 16, v8
	v_mul_f32_e32 v0, v48, v0
	v_and_b32_e32 v1, 0x7f800000, v0
	v_cmp_ne_u32_e64 s[4:5], s12, v1
                                        ; implicit-def: $agpr21
	s_and_saveexec_b64 s[10:11], s[4:5]
	s_xor_b64 s[4:5], exec, s[10:11]
; %bb.336:                              ;   in Loop: Header=BB189_43 Depth=1
	v_bfe_u32 v1, v0, 16, 1
	v_add3_u32 v0, v0, v1, s15
	v_accvgpr_write_b32 a21, v0
                                        ; implicit-def: $vgpr0
; %bb.337:                              ;   in Loop: Header=BB189_43 Depth=1
	s_andn2_saveexec_b64 s[10:11], s[4:5]
; %bb.338:                              ;   in Loop: Header=BB189_43 Depth=1
	v_or_b32_e32 v1, 0x10000, v0
	v_cmp_eq_u32_sdwa s[4:5], v0, v35 src0_sel:WORD_0 src1_sel:DWORD
	s_nop 1
	v_cndmask_b32_e64 v0, v1, v0, s[4:5]
	v_accvgpr_write_b32 a21, v0
; %bb.339:                              ;   in Loop: Header=BB189_43 Depth=1
	s_or_b64 exec, exec, s[10:11]
	v_lshlrev_b32_e32 v0, 16, v3
	v_mul_f32_e32 v0, v49, v0
	v_and_b32_e32 v1, 0x7f800000, v0
	v_cmp_ne_u32_e64 s[4:5], s12, v1
                                        ; implicit-def: $agpr23
	s_and_saveexec_b64 s[10:11], s[4:5]
	s_xor_b64 s[4:5], exec, s[10:11]
; %bb.340:                              ;   in Loop: Header=BB189_43 Depth=1
	v_bfe_u32 v1, v0, 16, 1
	v_add3_u32 v0, v0, v1, s15
	v_accvgpr_write_b32 a23, v0
                                        ; implicit-def: $vgpr0
; %bb.341:                              ;   in Loop: Header=BB189_43 Depth=1
	s_andn2_saveexec_b64 s[10:11], s[4:5]
; %bb.342:                              ;   in Loop: Header=BB189_43 Depth=1
	v_or_b32_e32 v1, 0x10000, v0
	v_cmp_eq_u32_sdwa s[4:5], v0, v35 src0_sel:WORD_0 src1_sel:DWORD
	s_nop 1
	v_cndmask_b32_e64 v0, v1, v0, s[4:5]
	v_accvgpr_write_b32 a23, v0
; %bb.343:                              ;   in Loop: Header=BB189_43 Depth=1
	s_or_b64 exec, exec, s[10:11]
	v_lshlrev_b32_e32 v0, 16, v4
	v_mul_f32_e32 v0, v50, v0
	v_and_b32_e32 v1, 0x7f800000, v0
	v_cmp_ne_u32_e64 s[4:5], s12, v1
                                        ; implicit-def: $agpr25
	s_and_saveexec_b64 s[10:11], s[4:5]
	s_xor_b64 s[4:5], exec, s[10:11]
; %bb.344:                              ;   in Loop: Header=BB189_43 Depth=1
	v_bfe_u32 v1, v0, 16, 1
	v_add3_u32 v0, v0, v1, s15
	v_accvgpr_write_b32 a25, v0
                                        ; implicit-def: $vgpr0
; %bb.345:                              ;   in Loop: Header=BB189_43 Depth=1
	s_andn2_saveexec_b64 s[10:11], s[4:5]
; %bb.346:                              ;   in Loop: Header=BB189_43 Depth=1
	v_or_b32_e32 v1, 0x10000, v0
	v_cmp_eq_u32_sdwa s[4:5], v0, v35 src0_sel:WORD_0 src1_sel:DWORD
	s_nop 1
	v_cndmask_b32_e64 v0, v1, v0, s[4:5]
	v_accvgpr_write_b32 a25, v0
; %bb.347:                              ;   in Loop: Header=BB189_43 Depth=1
	s_or_b64 exec, exec, s[10:11]
	scratch_load_dwordx2 v[0:1], off, s32 offset:240 ; 8-byte Folded Reload
	s_waitcnt vmcnt(0)
	v_mov_b32_e32 v1, v35
	v_mov_b32_e32 v2, v0
	v_lshl_add_u64 v[0:1], v[6:7], 0, v[0:1]
	scratch_store_dwordx2 off, v[2:3], s32 offset:240 ; 8-byte Folded Spill
	flat_load_dwordx4 v[0:3], v[0:1]
	s_waitcnt vmcnt(0) lgkmcnt(0)
	v_lshrrev_b32_e32 v10, 16, v0
	v_lshrrev_b32_e32 v9, 16, v1
	v_lshrrev_b32_e32 v8, 16, v2
	v_lshrrev_b32_e32 v4, 16, v3
	s_and_saveexec_b64 s[10:11], vcc
	s_cbranch_execz .LBB189_349
; %bb.348:                              ;   in Loop: Header=BB189_43 Depth=1
	v_accvgpr_read_b32 v11, a41
	v_cmp_lt_i32_e64 s[4:5], v11, v62
	v_accvgpr_read_b32 v11, a46
	s_nop 0
	v_cndmask_b32_e64 v0, 0, v0, s[4:5]
	v_cmp_lt_i32_e64 s[4:5], v11, v62
	v_accvgpr_read_b32 v11, a47
	s_nop 0
	v_cndmask_b32_e64 v10, 0, v10, s[4:5]
	v_cmp_lt_i32_e64 s[4:5], v58, v62
	s_nop 1
	v_cndmask_b32_e64 v1, 0, v1, s[4:5]
	v_cmp_lt_i32_e64 s[4:5], v41, v62
	;; [unrolled: 3-line block ×3, first 2 shown]
	v_accvgpr_read_b32 v11, a43
	s_nop 0
	v_cndmask_b32_e64 v2, 0, v2, s[4:5]
	v_cmp_lt_i32_e64 s[4:5], v11, v62
	v_accvgpr_read_b32 v11, a45
	s_nop 0
	v_cndmask_b32_e64 v8, 0, v8, s[4:5]
	v_cmp_lt_i32_e64 s[4:5], v11, v62
	s_nop 1
	v_cndmask_b32_e64 v3, 0, v3, s[4:5]
	v_cmp_lt_i32_e64 s[4:5], v17, v62
	s_nop 1
	v_cndmask_b32_e64 v4, 0, v4, s[4:5]
.LBB189_349:                            ;   in Loop: Header=BB189_43 Depth=1
	s_or_b64 exec, exec, s[10:11]
	v_lshlrev_b32_e32 v0, 16, v0
	v_mul_f32_e32 v0, v5, v0
	v_and_b32_e32 v11, 0x7f800000, v0
	v_cmp_ne_u32_e64 s[4:5], s12, v11
                                        ; implicit-def: $agpr27
	s_and_saveexec_b64 s[10:11], s[4:5]
	s_xor_b64 s[4:5], exec, s[10:11]
; %bb.350:                              ;   in Loop: Header=BB189_43 Depth=1
	v_bfe_u32 v11, v0, 16, 1
	v_add3_u32 v0, v0, v11, s15
	v_accvgpr_write_b32 a27, v0
                                        ; implicit-def: $vgpr0
; %bb.351:                              ;   in Loop: Header=BB189_43 Depth=1
	s_andn2_saveexec_b64 s[10:11], s[4:5]
; %bb.352:                              ;   in Loop: Header=BB189_43 Depth=1
	v_or_b32_e32 v11, 0x10000, v0
	v_cmp_eq_u32_sdwa s[4:5], v0, v35 src0_sel:WORD_0 src1_sel:DWORD
	s_nop 1
	v_cndmask_b32_e64 v0, v11, v0, s[4:5]
	v_accvgpr_write_b32 a27, v0
; %bb.353:                              ;   in Loop: Header=BB189_43 Depth=1
	s_or_b64 exec, exec, s[10:11]
	v_lshlrev_b32_e32 v0, 16, v10
	v_mul_f32_e32 v0, v36, v0
	v_and_b32_e32 v10, 0x7f800000, v0
	v_cmp_ne_u32_e64 s[4:5], s12, v10
                                        ; implicit-def: $agpr29
	s_and_saveexec_b64 s[10:11], s[4:5]
	s_xor_b64 s[4:5], exec, s[10:11]
; %bb.354:                              ;   in Loop: Header=BB189_43 Depth=1
	v_bfe_u32 v10, v0, 16, 1
	v_add3_u32 v0, v0, v10, s15
	v_accvgpr_write_b32 a29, v0
                                        ; implicit-def: $vgpr0
; %bb.355:                              ;   in Loop: Header=BB189_43 Depth=1
	s_andn2_saveexec_b64 s[10:11], s[4:5]
; %bb.356:                              ;   in Loop: Header=BB189_43 Depth=1
	v_or_b32_e32 v10, 0x10000, v0
	v_cmp_eq_u32_sdwa s[4:5], v0, v35 src0_sel:WORD_0 src1_sel:DWORD
	s_nop 1
	v_cndmask_b32_e64 v0, v10, v0, s[4:5]
	v_accvgpr_write_b32 a29, v0
; %bb.357:                              ;   in Loop: Header=BB189_43 Depth=1
	s_or_b64 exec, exec, s[10:11]
	v_lshlrev_b32_e32 v0, 16, v1
	v_mul_f32_e32 v0, v37, v0
	v_and_b32_e32 v1, 0x7f800000, v0
	v_cmp_ne_u32_e64 s[4:5], s12, v1
                                        ; implicit-def: $agpr31
	s_and_saveexec_b64 s[10:11], s[4:5]
	s_xor_b64 s[4:5], exec, s[10:11]
; %bb.358:                              ;   in Loop: Header=BB189_43 Depth=1
	v_bfe_u32 v1, v0, 16, 1
	v_add3_u32 v0, v0, v1, s15
	v_accvgpr_write_b32 a31, v0
                                        ; implicit-def: $vgpr0
; %bb.359:                              ;   in Loop: Header=BB189_43 Depth=1
	s_andn2_saveexec_b64 s[10:11], s[4:5]
; %bb.360:                              ;   in Loop: Header=BB189_43 Depth=1
	v_or_b32_e32 v1, 0x10000, v0
	v_cmp_eq_u32_sdwa s[4:5], v0, v35 src0_sel:WORD_0 src1_sel:DWORD
	s_nop 1
	v_cndmask_b32_e64 v0, v1, v0, s[4:5]
	v_accvgpr_write_b32 a31, v0
; %bb.361:                              ;   in Loop: Header=BB189_43 Depth=1
	s_or_b64 exec, exec, s[10:11]
	v_lshlrev_b32_e32 v0, 16, v9
	v_mul_f32_e32 v0, v38, v0
	v_and_b32_e32 v1, 0x7f800000, v0
	v_cmp_ne_u32_e64 s[4:5], s12, v1
                                        ; implicit-def: $agpr33
	s_and_saveexec_b64 s[10:11], s[4:5]
	s_xor_b64 s[4:5], exec, s[10:11]
; %bb.362:                              ;   in Loop: Header=BB189_43 Depth=1
	v_bfe_u32 v1, v0, 16, 1
	v_add3_u32 v0, v0, v1, s15
	v_accvgpr_write_b32 a33, v0
                                        ; implicit-def: $vgpr0
; %bb.363:                              ;   in Loop: Header=BB189_43 Depth=1
	s_andn2_saveexec_b64 s[10:11], s[4:5]
; %bb.364:                              ;   in Loop: Header=BB189_43 Depth=1
	v_or_b32_e32 v1, 0x10000, v0
	v_cmp_eq_u32_sdwa s[4:5], v0, v35 src0_sel:WORD_0 src1_sel:DWORD
	s_nop 1
	v_cndmask_b32_e64 v0, v1, v0, s[4:5]
	v_accvgpr_write_b32 a33, v0
; %bb.365:                              ;   in Loop: Header=BB189_43 Depth=1
	s_or_b64 exec, exec, s[10:11]
	v_lshlrev_b32_e32 v0, 16, v2
	v_mul_f32_e32 v0, v39, v0
	v_and_b32_e32 v1, 0x7f800000, v0
	v_cmp_ne_u32_e64 s[4:5], s12, v1
                                        ; implicit-def: $agpr35
	s_and_saveexec_b64 s[10:11], s[4:5]
	s_xor_b64 s[4:5], exec, s[10:11]
; %bb.366:                              ;   in Loop: Header=BB189_43 Depth=1
	v_bfe_u32 v1, v0, 16, 1
	v_add3_u32 v0, v0, v1, s15
	v_accvgpr_write_b32 a35, v0
                                        ; implicit-def: $vgpr0
; %bb.367:                              ;   in Loop: Header=BB189_43 Depth=1
	s_andn2_saveexec_b64 s[10:11], s[4:5]
; %bb.368:                              ;   in Loop: Header=BB189_43 Depth=1
	v_or_b32_e32 v1, 0x10000, v0
	v_cmp_eq_u32_sdwa s[4:5], v0, v35 src0_sel:WORD_0 src1_sel:DWORD
	s_nop 1
	v_cndmask_b32_e64 v0, v1, v0, s[4:5]
	v_accvgpr_write_b32 a35, v0
; %bb.369:                              ;   in Loop: Header=BB189_43 Depth=1
	s_or_b64 exec, exec, s[10:11]
	v_lshlrev_b32_e32 v0, 16, v8
	v_mul_f32_e32 v0, v48, v0
	v_and_b32_e32 v1, 0x7f800000, v0
	v_cmp_ne_u32_e64 s[4:5], s12, v1
                                        ; implicit-def: $agpr37
	s_and_saveexec_b64 s[10:11], s[4:5]
	s_xor_b64 s[4:5], exec, s[10:11]
; %bb.370:                              ;   in Loop: Header=BB189_43 Depth=1
	v_bfe_u32 v1, v0, 16, 1
	v_add3_u32 v0, v0, v1, s15
	v_accvgpr_write_b32 a37, v0
                                        ; implicit-def: $vgpr0
; %bb.371:                              ;   in Loop: Header=BB189_43 Depth=1
	s_andn2_saveexec_b64 s[10:11], s[4:5]
; %bb.372:                              ;   in Loop: Header=BB189_43 Depth=1
	v_or_b32_e32 v1, 0x10000, v0
	v_cmp_eq_u32_sdwa s[4:5], v0, v35 src0_sel:WORD_0 src1_sel:DWORD
	s_nop 1
	v_cndmask_b32_e64 v0, v1, v0, s[4:5]
	v_accvgpr_write_b32 a37, v0
; %bb.373:                              ;   in Loop: Header=BB189_43 Depth=1
	s_or_b64 exec, exec, s[10:11]
	v_lshlrev_b32_e32 v0, 16, v3
	v_mul_f32_e32 v0, v49, v0
	v_and_b32_e32 v1, 0x7f800000, v0
	v_cmp_ne_u32_e64 s[4:5], s12, v1
                                        ; implicit-def: $agpr39
	s_and_saveexec_b64 s[10:11], s[4:5]
	s_xor_b64 s[4:5], exec, s[10:11]
; %bb.374:                              ;   in Loop: Header=BB189_43 Depth=1
	v_bfe_u32 v1, v0, 16, 1
	v_add3_u32 v0, v0, v1, s15
	v_accvgpr_write_b32 a39, v0
                                        ; implicit-def: $vgpr0
; %bb.375:                              ;   in Loop: Header=BB189_43 Depth=1
	s_andn2_saveexec_b64 s[10:11], s[4:5]
; %bb.376:                              ;   in Loop: Header=BB189_43 Depth=1
	v_or_b32_e32 v1, 0x10000, v0
	v_cmp_eq_u32_sdwa s[4:5], v0, v35 src0_sel:WORD_0 src1_sel:DWORD
	s_nop 1
	v_cndmask_b32_e64 v0, v1, v0, s[4:5]
	v_accvgpr_write_b32 a39, v0
; %bb.377:                              ;   in Loop: Header=BB189_43 Depth=1
	s_or_b64 exec, exec, s[10:11]
	v_lshlrev_b32_e32 v0, 16, v4
	v_mul_f32_e32 v0, v50, v0
	v_and_b32_e32 v1, 0x7f800000, v0
	v_cmp_ne_u32_e64 s[4:5], s12, v1
                                        ; implicit-def: $agpr40
	s_and_saveexec_b64 s[10:11], s[4:5]
	s_xor_b64 s[4:5], exec, s[10:11]
; %bb.378:                              ;   in Loop: Header=BB189_43 Depth=1
	v_bfe_u32 v1, v0, 16, 1
	v_add3_u32 v0, v0, v1, s15
	v_accvgpr_write_b32 a40, v0
                                        ; implicit-def: $vgpr0
; %bb.379:                              ;   in Loop: Header=BB189_43 Depth=1
	s_andn2_saveexec_b64 s[10:11], s[4:5]
; %bb.380:                              ;   in Loop: Header=BB189_43 Depth=1
	v_or_b32_e32 v1, 0x10000, v0
	v_cmp_eq_u32_sdwa s[4:5], v0, v35 src0_sel:WORD_0 src1_sel:DWORD
	s_nop 1
	v_cndmask_b32_e64 v0, v1, v0, s[4:5]
	v_accvgpr_write_b32 a40, v0
; %bb.381:                              ;   in Loop: Header=BB189_43 Depth=1
	s_or_b64 exec, exec, s[10:11]
	scratch_load_dwordx2 v[0:1], off, s32 offset:248 ; 8-byte Folded Reload
	s_waitcnt vmcnt(0)
	v_mov_b32_e32 v1, v35
	v_mov_b32_e32 v2, v0
	v_lshl_add_u64 v[0:1], v[6:7], 0, v[0:1]
	scratch_store_dwordx2 off, v[2:3], s32 offset:248 ; 8-byte Folded Spill
	flat_load_dwordx4 v[0:3], v[0:1]
	s_waitcnt vmcnt(0) lgkmcnt(0)
	v_lshrrev_b32_e32 v10, 16, v0
	v_lshrrev_b32_e32 v9, 16, v1
	;; [unrolled: 1-line block ×4, first 2 shown]
	s_and_saveexec_b64 s[10:11], vcc
	s_cbranch_execz .LBB189_383
; %bb.382:                              ;   in Loop: Header=BB189_43 Depth=1
	v_accvgpr_read_b32 v11, a41
	v_cmp_lt_i32_e64 s[4:5], v11, v62
	v_accvgpr_read_b32 v11, a46
	s_nop 0
	v_cndmask_b32_e64 v0, 0, v0, s[4:5]
	v_cmp_lt_i32_e64 s[4:5], v11, v62
	v_accvgpr_read_b32 v11, a47
	s_nop 0
	v_cndmask_b32_e64 v10, 0, v10, s[4:5]
	v_cmp_lt_i32_e64 s[4:5], v58, v62
	s_nop 1
	v_cndmask_b32_e64 v1, 0, v1, s[4:5]
	v_cmp_lt_i32_e64 s[4:5], v41, v62
	;; [unrolled: 3-line block ×3, first 2 shown]
	v_accvgpr_read_b32 v11, a43
	s_nop 0
	v_cndmask_b32_e64 v2, 0, v2, s[4:5]
	v_cmp_lt_i32_e64 s[4:5], v11, v62
	v_accvgpr_read_b32 v11, a45
	s_nop 0
	v_cndmask_b32_e64 v8, 0, v8, s[4:5]
	v_cmp_lt_i32_e64 s[4:5], v11, v62
	s_nop 1
	v_cndmask_b32_e64 v3, 0, v3, s[4:5]
	v_cmp_lt_i32_e64 s[4:5], v17, v62
	s_nop 1
	v_cndmask_b32_e64 v4, 0, v4, s[4:5]
.LBB189_383:                            ;   in Loop: Header=BB189_43 Depth=1
	s_or_b64 exec, exec, s[10:11]
	v_lshlrev_b32_e32 v0, 16, v0
	v_mul_f32_e32 v0, v5, v0
	v_and_b32_e32 v11, 0x7f800000, v0
	v_cmp_ne_u32_e64 s[4:5], s12, v11
                                        ; implicit-def: $agpr48
	s_and_saveexec_b64 s[10:11], s[4:5]
	s_xor_b64 s[4:5], exec, s[10:11]
; %bb.384:                              ;   in Loop: Header=BB189_43 Depth=1
	v_bfe_u32 v11, v0, 16, 1
	v_add3_u32 v0, v0, v11, s15
	v_accvgpr_write_b32 a48, v0
                                        ; implicit-def: $vgpr0
; %bb.385:                              ;   in Loop: Header=BB189_43 Depth=1
	s_andn2_saveexec_b64 s[10:11], s[4:5]
; %bb.386:                              ;   in Loop: Header=BB189_43 Depth=1
	v_or_b32_e32 v11, 0x10000, v0
	v_cmp_eq_u32_sdwa s[4:5], v0, v35 src0_sel:WORD_0 src1_sel:DWORD
	s_nop 1
	v_cndmask_b32_e64 v0, v11, v0, s[4:5]
	v_accvgpr_write_b32 a48, v0
; %bb.387:                              ;   in Loop: Header=BB189_43 Depth=1
	s_or_b64 exec, exec, s[10:11]
	v_lshlrev_b32_e32 v0, 16, v10
	v_mul_f32_e32 v0, v36, v0
	v_and_b32_e32 v10, 0x7f800000, v0
	v_cmp_ne_u32_e64 s[4:5], s12, v10
                                        ; implicit-def: $agpr49
	s_and_saveexec_b64 s[10:11], s[4:5]
	s_xor_b64 s[4:5], exec, s[10:11]
; %bb.388:                              ;   in Loop: Header=BB189_43 Depth=1
	v_bfe_u32 v10, v0, 16, 1
	v_add3_u32 v0, v0, v10, s15
	v_accvgpr_write_b32 a49, v0
                                        ; implicit-def: $vgpr0
; %bb.389:                              ;   in Loop: Header=BB189_43 Depth=1
	s_andn2_saveexec_b64 s[10:11], s[4:5]
; %bb.390:                              ;   in Loop: Header=BB189_43 Depth=1
	v_or_b32_e32 v10, 0x10000, v0
	v_cmp_eq_u32_sdwa s[4:5], v0, v35 src0_sel:WORD_0 src1_sel:DWORD
	s_nop 1
	v_cndmask_b32_e64 v0, v10, v0, s[4:5]
	v_accvgpr_write_b32 a49, v0
; %bb.391:                              ;   in Loop: Header=BB189_43 Depth=1
	s_or_b64 exec, exec, s[10:11]
	v_lshlrev_b32_e32 v0, 16, v1
	v_mul_f32_e32 v0, v37, v0
	v_and_b32_e32 v1, 0x7f800000, v0
	v_cmp_ne_u32_e64 s[4:5], s12, v1
                                        ; implicit-def: $agpr50
	s_and_saveexec_b64 s[10:11], s[4:5]
	s_xor_b64 s[4:5], exec, s[10:11]
; %bb.392:                              ;   in Loop: Header=BB189_43 Depth=1
	v_bfe_u32 v1, v0, 16, 1
	v_add3_u32 v0, v0, v1, s15
	v_accvgpr_write_b32 a50, v0
                                        ; implicit-def: $vgpr0
; %bb.393:                              ;   in Loop: Header=BB189_43 Depth=1
	s_andn2_saveexec_b64 s[10:11], s[4:5]
; %bb.394:                              ;   in Loop: Header=BB189_43 Depth=1
	v_or_b32_e32 v1, 0x10000, v0
	v_cmp_eq_u32_sdwa s[4:5], v0, v35 src0_sel:WORD_0 src1_sel:DWORD
	s_nop 1
	v_cndmask_b32_e64 v0, v1, v0, s[4:5]
	v_accvgpr_write_b32 a50, v0
; %bb.395:                              ;   in Loop: Header=BB189_43 Depth=1
	s_or_b64 exec, exec, s[10:11]
	v_lshlrev_b32_e32 v0, 16, v9
	v_mul_f32_e32 v0, v38, v0
	v_and_b32_e32 v1, 0x7f800000, v0
	v_cmp_ne_u32_e64 s[4:5], s12, v1
                                        ; implicit-def: $agpr51
	s_and_saveexec_b64 s[10:11], s[4:5]
	s_xor_b64 s[4:5], exec, s[10:11]
; %bb.396:                              ;   in Loop: Header=BB189_43 Depth=1
	v_bfe_u32 v1, v0, 16, 1
	v_add3_u32 v0, v0, v1, s15
	v_accvgpr_write_b32 a51, v0
                                        ; implicit-def: $vgpr0
; %bb.397:                              ;   in Loop: Header=BB189_43 Depth=1
	s_andn2_saveexec_b64 s[10:11], s[4:5]
; %bb.398:                              ;   in Loop: Header=BB189_43 Depth=1
	v_or_b32_e32 v1, 0x10000, v0
	v_cmp_eq_u32_sdwa s[4:5], v0, v35 src0_sel:WORD_0 src1_sel:DWORD
	s_nop 1
	v_cndmask_b32_e64 v0, v1, v0, s[4:5]
	v_accvgpr_write_b32 a51, v0
; %bb.399:                              ;   in Loop: Header=BB189_43 Depth=1
	s_or_b64 exec, exec, s[10:11]
	v_lshlrev_b32_e32 v0, 16, v2
	v_mul_f32_e32 v0, v39, v0
	v_and_b32_e32 v1, 0x7f800000, v0
	v_cmp_ne_u32_e64 s[4:5], s12, v1
                                        ; implicit-def: $agpr52
	s_and_saveexec_b64 s[10:11], s[4:5]
	s_xor_b64 s[4:5], exec, s[10:11]
; %bb.400:                              ;   in Loop: Header=BB189_43 Depth=1
	v_bfe_u32 v1, v0, 16, 1
	v_add3_u32 v0, v0, v1, s15
	v_accvgpr_write_b32 a52, v0
                                        ; implicit-def: $vgpr0
; %bb.401:                              ;   in Loop: Header=BB189_43 Depth=1
	s_andn2_saveexec_b64 s[10:11], s[4:5]
; %bb.402:                              ;   in Loop: Header=BB189_43 Depth=1
	v_or_b32_e32 v1, 0x10000, v0
	v_cmp_eq_u32_sdwa s[4:5], v0, v35 src0_sel:WORD_0 src1_sel:DWORD
	s_nop 1
	v_cndmask_b32_e64 v0, v1, v0, s[4:5]
	v_accvgpr_write_b32 a52, v0
; %bb.403:                              ;   in Loop: Header=BB189_43 Depth=1
	s_or_b64 exec, exec, s[10:11]
	v_lshlrev_b32_e32 v0, 16, v8
	v_mul_f32_e32 v0, v48, v0
	v_and_b32_e32 v1, 0x7f800000, v0
	v_cmp_ne_u32_e64 s[4:5], s12, v1
                                        ; implicit-def: $agpr53
	s_and_saveexec_b64 s[10:11], s[4:5]
	s_xor_b64 s[4:5], exec, s[10:11]
; %bb.404:                              ;   in Loop: Header=BB189_43 Depth=1
	v_bfe_u32 v1, v0, 16, 1
	v_add3_u32 v0, v0, v1, s15
	v_accvgpr_write_b32 a53, v0
                                        ; implicit-def: $vgpr0
; %bb.405:                              ;   in Loop: Header=BB189_43 Depth=1
	s_andn2_saveexec_b64 s[10:11], s[4:5]
; %bb.406:                              ;   in Loop: Header=BB189_43 Depth=1
	v_or_b32_e32 v1, 0x10000, v0
	v_cmp_eq_u32_sdwa s[4:5], v0, v35 src0_sel:WORD_0 src1_sel:DWORD
	s_nop 1
	v_cndmask_b32_e64 v0, v1, v0, s[4:5]
	v_accvgpr_write_b32 a53, v0
; %bb.407:                              ;   in Loop: Header=BB189_43 Depth=1
	s_or_b64 exec, exec, s[10:11]
	v_lshlrev_b32_e32 v0, 16, v3
	v_mul_f32_e32 v0, v49, v0
	v_and_b32_e32 v1, 0x7f800000, v0
	v_cmp_ne_u32_e64 s[4:5], s12, v1
                                        ; implicit-def: $agpr54
	s_and_saveexec_b64 s[10:11], s[4:5]
	s_xor_b64 s[4:5], exec, s[10:11]
; %bb.408:                              ;   in Loop: Header=BB189_43 Depth=1
	v_bfe_u32 v1, v0, 16, 1
	v_add3_u32 v0, v0, v1, s15
	v_accvgpr_write_b32 a54, v0
                                        ; implicit-def: $vgpr0
; %bb.409:                              ;   in Loop: Header=BB189_43 Depth=1
	s_andn2_saveexec_b64 s[10:11], s[4:5]
; %bb.410:                              ;   in Loop: Header=BB189_43 Depth=1
	v_or_b32_e32 v1, 0x10000, v0
	v_cmp_eq_u32_sdwa s[4:5], v0, v35 src0_sel:WORD_0 src1_sel:DWORD
	s_nop 1
	v_cndmask_b32_e64 v0, v1, v0, s[4:5]
	v_accvgpr_write_b32 a54, v0
; %bb.411:                              ;   in Loop: Header=BB189_43 Depth=1
	s_or_b64 exec, exec, s[10:11]
	v_lshlrev_b32_e32 v0, 16, v4
	v_mul_f32_e32 v0, v50, v0
	v_and_b32_e32 v1, 0x7f800000, v0
	v_cmp_ne_u32_e64 s[4:5], s12, v1
                                        ; implicit-def: $agpr55
	s_and_saveexec_b64 s[10:11], s[4:5]
	s_xor_b64 s[4:5], exec, s[10:11]
; %bb.412:                              ;   in Loop: Header=BB189_43 Depth=1
	v_bfe_u32 v1, v0, 16, 1
	v_add3_u32 v0, v0, v1, s15
	v_accvgpr_write_b32 a55, v0
                                        ; implicit-def: $vgpr0
; %bb.413:                              ;   in Loop: Header=BB189_43 Depth=1
	s_andn2_saveexec_b64 s[10:11], s[4:5]
; %bb.414:                              ;   in Loop: Header=BB189_43 Depth=1
	v_or_b32_e32 v1, 0x10000, v0
	v_cmp_eq_u32_sdwa s[4:5], v0, v35 src0_sel:WORD_0 src1_sel:DWORD
	s_nop 1
	v_cndmask_b32_e64 v0, v1, v0, s[4:5]
	v_accvgpr_write_b32 a55, v0
; %bb.415:                              ;   in Loop: Header=BB189_43 Depth=1
	s_or_b64 exec, exec, s[10:11]
	scratch_load_dwordx2 v[0:1], off, s32 offset:256 ; 8-byte Folded Reload
	s_waitcnt vmcnt(0)
	v_mov_b32_e32 v1, v35
	v_mov_b32_e32 v2, v0
	v_lshl_add_u64 v[0:1], v[6:7], 0, v[0:1]
	scratch_store_dwordx2 off, v[2:3], s32 offset:256 ; 8-byte Folded Spill
	flat_load_dwordx4 v[0:3], v[0:1]
	s_waitcnt vmcnt(0) lgkmcnt(0)
	v_lshrrev_b32_e32 v10, 16, v0
	v_lshrrev_b32_e32 v9, 16, v1
	;; [unrolled: 1-line block ×4, first 2 shown]
	s_and_saveexec_b64 s[10:11], vcc
	s_cbranch_execz .LBB189_417
; %bb.416:                              ;   in Loop: Header=BB189_43 Depth=1
	v_accvgpr_read_b32 v11, a41
	v_cmp_lt_i32_e64 s[4:5], v11, v62
	v_accvgpr_read_b32 v11, a46
	s_nop 0
	v_cndmask_b32_e64 v0, 0, v0, s[4:5]
	v_cmp_lt_i32_e64 s[4:5], v11, v62
	v_accvgpr_read_b32 v11, a47
	s_nop 0
	v_cndmask_b32_e64 v10, 0, v10, s[4:5]
	v_cmp_lt_i32_e64 s[4:5], v58, v62
	s_nop 1
	v_cndmask_b32_e64 v1, 0, v1, s[4:5]
	v_cmp_lt_i32_e64 s[4:5], v41, v62
	;; [unrolled: 3-line block ×3, first 2 shown]
	v_accvgpr_read_b32 v11, a43
	s_nop 0
	v_cndmask_b32_e64 v2, 0, v2, s[4:5]
	v_cmp_lt_i32_e64 s[4:5], v11, v62
	v_accvgpr_read_b32 v11, a45
	s_nop 0
	v_cndmask_b32_e64 v8, 0, v8, s[4:5]
	v_cmp_lt_i32_e64 s[4:5], v11, v62
	s_nop 1
	v_cndmask_b32_e64 v3, 0, v3, s[4:5]
	v_cmp_lt_i32_e64 s[4:5], v17, v62
	s_nop 1
	v_cndmask_b32_e64 v4, 0, v4, s[4:5]
.LBB189_417:                            ;   in Loop: Header=BB189_43 Depth=1
	s_or_b64 exec, exec, s[10:11]
	v_lshlrev_b32_e32 v0, 16, v0
	v_mul_f32_e32 v0, v5, v0
	v_and_b32_e32 v11, 0x7f800000, v0
	v_cmp_ne_u32_e64 s[4:5], s12, v11
                                        ; implicit-def: $agpr56
	s_and_saveexec_b64 s[10:11], s[4:5]
	s_xor_b64 s[4:5], exec, s[10:11]
; %bb.418:                              ;   in Loop: Header=BB189_43 Depth=1
	v_bfe_u32 v11, v0, 16, 1
	v_add3_u32 v0, v0, v11, s15
	v_accvgpr_write_b32 a56, v0
                                        ; implicit-def: $vgpr0
; %bb.419:                              ;   in Loop: Header=BB189_43 Depth=1
	s_andn2_saveexec_b64 s[10:11], s[4:5]
; %bb.420:                              ;   in Loop: Header=BB189_43 Depth=1
	v_or_b32_e32 v11, 0x10000, v0
	v_cmp_eq_u32_sdwa s[4:5], v0, v35 src0_sel:WORD_0 src1_sel:DWORD
	s_nop 1
	v_cndmask_b32_e64 v0, v11, v0, s[4:5]
	v_accvgpr_write_b32 a56, v0
; %bb.421:                              ;   in Loop: Header=BB189_43 Depth=1
	s_or_b64 exec, exec, s[10:11]
	v_lshlrev_b32_e32 v0, 16, v10
	v_mul_f32_e32 v0, v36, v0
	v_and_b32_e32 v10, 0x7f800000, v0
	v_cmp_ne_u32_e64 s[4:5], s12, v10
                                        ; implicit-def: $agpr57
	s_and_saveexec_b64 s[10:11], s[4:5]
	s_xor_b64 s[4:5], exec, s[10:11]
; %bb.422:                              ;   in Loop: Header=BB189_43 Depth=1
	v_bfe_u32 v10, v0, 16, 1
	v_add3_u32 v0, v0, v10, s15
	v_accvgpr_write_b32 a57, v0
                                        ; implicit-def: $vgpr0
; %bb.423:                              ;   in Loop: Header=BB189_43 Depth=1
	s_andn2_saveexec_b64 s[10:11], s[4:5]
; %bb.424:                              ;   in Loop: Header=BB189_43 Depth=1
	v_or_b32_e32 v10, 0x10000, v0
	v_cmp_eq_u32_sdwa s[4:5], v0, v35 src0_sel:WORD_0 src1_sel:DWORD
	s_nop 1
	v_cndmask_b32_e64 v0, v10, v0, s[4:5]
	v_accvgpr_write_b32 a57, v0
; %bb.425:                              ;   in Loop: Header=BB189_43 Depth=1
	s_or_b64 exec, exec, s[10:11]
	v_lshlrev_b32_e32 v0, 16, v1
	v_mul_f32_e32 v0, v37, v0
	v_and_b32_e32 v1, 0x7f800000, v0
	v_cmp_ne_u32_e64 s[4:5], s12, v1
                                        ; implicit-def: $agpr58
	s_and_saveexec_b64 s[10:11], s[4:5]
	s_xor_b64 s[4:5], exec, s[10:11]
; %bb.426:                              ;   in Loop: Header=BB189_43 Depth=1
	v_bfe_u32 v1, v0, 16, 1
	v_add3_u32 v0, v0, v1, s15
	v_accvgpr_write_b32 a58, v0
                                        ; implicit-def: $vgpr0
; %bb.427:                              ;   in Loop: Header=BB189_43 Depth=1
	s_andn2_saveexec_b64 s[10:11], s[4:5]
; %bb.428:                              ;   in Loop: Header=BB189_43 Depth=1
	v_or_b32_e32 v1, 0x10000, v0
	v_cmp_eq_u32_sdwa s[4:5], v0, v35 src0_sel:WORD_0 src1_sel:DWORD
	s_nop 1
	v_cndmask_b32_e64 v0, v1, v0, s[4:5]
	v_accvgpr_write_b32 a58, v0
; %bb.429:                              ;   in Loop: Header=BB189_43 Depth=1
	s_or_b64 exec, exec, s[10:11]
	v_lshlrev_b32_e32 v0, 16, v9
	v_mul_f32_e32 v0, v38, v0
	v_and_b32_e32 v1, 0x7f800000, v0
	v_cmp_ne_u32_e64 s[4:5], s12, v1
                                        ; implicit-def: $agpr59
	s_and_saveexec_b64 s[10:11], s[4:5]
	s_xor_b64 s[4:5], exec, s[10:11]
; %bb.430:                              ;   in Loop: Header=BB189_43 Depth=1
	v_bfe_u32 v1, v0, 16, 1
	v_add3_u32 v0, v0, v1, s15
	v_accvgpr_write_b32 a59, v0
                                        ; implicit-def: $vgpr0
; %bb.431:                              ;   in Loop: Header=BB189_43 Depth=1
	s_andn2_saveexec_b64 s[10:11], s[4:5]
; %bb.432:                              ;   in Loop: Header=BB189_43 Depth=1
	v_or_b32_e32 v1, 0x10000, v0
	v_cmp_eq_u32_sdwa s[4:5], v0, v35 src0_sel:WORD_0 src1_sel:DWORD
	s_nop 1
	v_cndmask_b32_e64 v0, v1, v0, s[4:5]
	v_accvgpr_write_b32 a59, v0
; %bb.433:                              ;   in Loop: Header=BB189_43 Depth=1
	s_or_b64 exec, exec, s[10:11]
	v_lshlrev_b32_e32 v0, 16, v2
	v_mul_f32_e32 v0, v39, v0
	v_and_b32_e32 v1, 0x7f800000, v0
	v_cmp_ne_u32_e64 s[4:5], s12, v1
                                        ; implicit-def: $agpr60
	s_and_saveexec_b64 s[10:11], s[4:5]
	s_xor_b64 s[4:5], exec, s[10:11]
; %bb.434:                              ;   in Loop: Header=BB189_43 Depth=1
	v_bfe_u32 v1, v0, 16, 1
	v_add3_u32 v0, v0, v1, s15
	v_accvgpr_write_b32 a60, v0
                                        ; implicit-def: $vgpr0
; %bb.435:                              ;   in Loop: Header=BB189_43 Depth=1
	s_andn2_saveexec_b64 s[10:11], s[4:5]
; %bb.436:                              ;   in Loop: Header=BB189_43 Depth=1
	v_or_b32_e32 v1, 0x10000, v0
	v_cmp_eq_u32_sdwa s[4:5], v0, v35 src0_sel:WORD_0 src1_sel:DWORD
	s_nop 1
	v_cndmask_b32_e64 v0, v1, v0, s[4:5]
	v_accvgpr_write_b32 a60, v0
; %bb.437:                              ;   in Loop: Header=BB189_43 Depth=1
	s_or_b64 exec, exec, s[10:11]
	v_lshlrev_b32_e32 v0, 16, v8
	v_mul_f32_e32 v0, v48, v0
	v_and_b32_e32 v1, 0x7f800000, v0
	v_cmp_ne_u32_e64 s[4:5], s12, v1
                                        ; implicit-def: $agpr61
	s_and_saveexec_b64 s[10:11], s[4:5]
	s_xor_b64 s[4:5], exec, s[10:11]
; %bb.438:                              ;   in Loop: Header=BB189_43 Depth=1
	v_bfe_u32 v1, v0, 16, 1
	v_add3_u32 v0, v0, v1, s15
	v_accvgpr_write_b32 a61, v0
                                        ; implicit-def: $vgpr0
; %bb.439:                              ;   in Loop: Header=BB189_43 Depth=1
	s_andn2_saveexec_b64 s[10:11], s[4:5]
; %bb.440:                              ;   in Loop: Header=BB189_43 Depth=1
	v_or_b32_e32 v1, 0x10000, v0
	v_cmp_eq_u32_sdwa s[4:5], v0, v35 src0_sel:WORD_0 src1_sel:DWORD
	s_nop 1
	v_cndmask_b32_e64 v0, v1, v0, s[4:5]
	v_accvgpr_write_b32 a61, v0
; %bb.441:                              ;   in Loop: Header=BB189_43 Depth=1
	s_or_b64 exec, exec, s[10:11]
	v_lshlrev_b32_e32 v0, 16, v3
	v_mul_f32_e32 v0, v49, v0
	v_and_b32_e32 v1, 0x7f800000, v0
	v_cmp_ne_u32_e64 s[4:5], s12, v1
                                        ; implicit-def: $agpr62
	s_and_saveexec_b64 s[10:11], s[4:5]
	s_xor_b64 s[4:5], exec, s[10:11]
; %bb.442:                              ;   in Loop: Header=BB189_43 Depth=1
	v_bfe_u32 v1, v0, 16, 1
	v_add3_u32 v0, v0, v1, s15
	v_accvgpr_write_b32 a62, v0
                                        ; implicit-def: $vgpr0
; %bb.443:                              ;   in Loop: Header=BB189_43 Depth=1
	s_andn2_saveexec_b64 s[10:11], s[4:5]
; %bb.444:                              ;   in Loop: Header=BB189_43 Depth=1
	v_or_b32_e32 v1, 0x10000, v0
	v_cmp_eq_u32_sdwa s[4:5], v0, v35 src0_sel:WORD_0 src1_sel:DWORD
	s_nop 1
	v_cndmask_b32_e64 v0, v1, v0, s[4:5]
	v_accvgpr_write_b32 a62, v0
; %bb.445:                              ;   in Loop: Header=BB189_43 Depth=1
	s_or_b64 exec, exec, s[10:11]
	v_lshlrev_b32_e32 v0, 16, v4
	v_mul_f32_e32 v0, v50, v0
	v_and_b32_e32 v1, 0x7f800000, v0
	v_cmp_ne_u32_e64 s[4:5], s12, v1
                                        ; implicit-def: $agpr63
	s_and_saveexec_b64 s[10:11], s[4:5]
	s_xor_b64 s[4:5], exec, s[10:11]
; %bb.446:                              ;   in Loop: Header=BB189_43 Depth=1
	v_bfe_u32 v1, v0, 16, 1
	v_add3_u32 v0, v0, v1, s15
	v_accvgpr_write_b32 a63, v0
                                        ; implicit-def: $vgpr0
; %bb.447:                              ;   in Loop: Header=BB189_43 Depth=1
	s_andn2_saveexec_b64 s[10:11], s[4:5]
; %bb.448:                              ;   in Loop: Header=BB189_43 Depth=1
	v_or_b32_e32 v1, 0x10000, v0
	v_cmp_eq_u32_sdwa s[4:5], v0, v35 src0_sel:WORD_0 src1_sel:DWORD
	s_nop 1
	v_cndmask_b32_e64 v0, v1, v0, s[4:5]
	v_accvgpr_write_b32 a63, v0
; %bb.449:                              ;   in Loop: Header=BB189_43 Depth=1
	s_or_b64 exec, exec, s[10:11]
	scratch_load_dwordx2 v[0:1], off, s32 offset:264 ; 8-byte Folded Reload
	s_waitcnt vmcnt(0)
	v_mov_b32_e32 v1, v35
	v_mov_b32_e32 v2, v0
	v_lshl_add_u64 v[0:1], v[6:7], 0, v[0:1]
	scratch_store_dwordx2 off, v[2:3], s32 offset:264 ; 8-byte Folded Spill
	flat_load_dwordx4 v[0:3], v[0:1]
	s_waitcnt vmcnt(0) lgkmcnt(0)
	v_lshrrev_b32_e32 v10, 16, v0
	v_lshrrev_b32_e32 v9, 16, v1
	v_lshrrev_b32_e32 v8, 16, v2
	v_lshrrev_b32_e32 v4, 16, v3
	s_and_saveexec_b64 s[10:11], vcc
	s_cbranch_execz .LBB189_451
; %bb.450:                              ;   in Loop: Header=BB189_43 Depth=1
	v_accvgpr_read_b32 v11, a41
	v_cmp_lt_i32_e64 s[4:5], v11, v62
	v_accvgpr_read_b32 v11, a46
	s_nop 0
	v_cndmask_b32_e64 v0, 0, v0, s[4:5]
	v_cmp_lt_i32_e64 s[4:5], v11, v62
	v_accvgpr_read_b32 v11, a47
	s_nop 0
	v_cndmask_b32_e64 v10, 0, v10, s[4:5]
	v_cmp_lt_i32_e64 s[4:5], v58, v62
	s_nop 1
	v_cndmask_b32_e64 v1, 0, v1, s[4:5]
	v_cmp_lt_i32_e64 s[4:5], v41, v62
	;; [unrolled: 3-line block ×3, first 2 shown]
	v_accvgpr_read_b32 v11, a43
	s_nop 0
	v_cndmask_b32_e64 v2, 0, v2, s[4:5]
	v_cmp_lt_i32_e64 s[4:5], v11, v62
	v_accvgpr_read_b32 v11, a45
	s_nop 0
	v_cndmask_b32_e64 v8, 0, v8, s[4:5]
	v_cmp_lt_i32_e64 s[4:5], v11, v62
	s_nop 1
	v_cndmask_b32_e64 v3, 0, v3, s[4:5]
	v_cmp_lt_i32_e64 s[4:5], v17, v62
	s_nop 1
	v_cndmask_b32_e64 v4, 0, v4, s[4:5]
.LBB189_451:                            ;   in Loop: Header=BB189_43 Depth=1
	s_or_b64 exec, exec, s[10:11]
	v_lshlrev_b32_e32 v0, 16, v0
	v_mul_f32_e32 v0, v5, v0
	v_and_b32_e32 v11, 0x7f800000, v0
	v_cmp_ne_u32_e64 s[4:5], s12, v11
                                        ; implicit-def: $agpr8
	s_and_saveexec_b64 s[10:11], s[4:5]
	s_xor_b64 s[4:5], exec, s[10:11]
; %bb.452:                              ;   in Loop: Header=BB189_43 Depth=1
	v_bfe_u32 v11, v0, 16, 1
	v_add3_u32 v0, v0, v11, s15
	v_accvgpr_write_b32 a8, v0
                                        ; implicit-def: $vgpr0
; %bb.453:                              ;   in Loop: Header=BB189_43 Depth=1
	s_andn2_saveexec_b64 s[10:11], s[4:5]
; %bb.454:                              ;   in Loop: Header=BB189_43 Depth=1
	v_or_b32_e32 v11, 0x10000, v0
	v_cmp_eq_u32_sdwa s[4:5], v0, v35 src0_sel:WORD_0 src1_sel:DWORD
	s_nop 1
	v_cndmask_b32_e64 v0, v11, v0, s[4:5]
	v_accvgpr_write_b32 a8, v0
; %bb.455:                              ;   in Loop: Header=BB189_43 Depth=1
	s_or_b64 exec, exec, s[10:11]
	v_lshlrev_b32_e32 v0, 16, v10
	v_mul_f32_e32 v0, v36, v0
	v_and_b32_e32 v10, 0x7f800000, v0
	v_cmp_ne_u32_e64 s[4:5], s12, v10
                                        ; implicit-def: $agpr2
	s_and_saveexec_b64 s[10:11], s[4:5]
	s_xor_b64 s[4:5], exec, s[10:11]
; %bb.456:                              ;   in Loop: Header=BB189_43 Depth=1
	v_bfe_u32 v10, v0, 16, 1
	v_add3_u32 v0, v0, v10, s15
	v_accvgpr_write_b32 a2, v0
                                        ; implicit-def: $vgpr0
; %bb.457:                              ;   in Loop: Header=BB189_43 Depth=1
	s_andn2_saveexec_b64 s[10:11], s[4:5]
; %bb.458:                              ;   in Loop: Header=BB189_43 Depth=1
	v_or_b32_e32 v10, 0x10000, v0
	v_cmp_eq_u32_sdwa s[4:5], v0, v35 src0_sel:WORD_0 src1_sel:DWORD
	s_nop 1
	v_cndmask_b32_e64 v0, v10, v0, s[4:5]
	v_accvgpr_write_b32 a2, v0
; %bb.459:                              ;   in Loop: Header=BB189_43 Depth=1
	s_or_b64 exec, exec, s[10:11]
	v_lshlrev_b32_e32 v0, 16, v1
	v_mul_f32_e32 v0, v37, v0
	v_and_b32_e32 v1, 0x7f800000, v0
	v_cmp_ne_u32_e64 s[4:5], s12, v1
                                        ; implicit-def: $agpr9
	s_and_saveexec_b64 s[10:11], s[4:5]
	s_xor_b64 s[4:5], exec, s[10:11]
; %bb.460:                              ;   in Loop: Header=BB189_43 Depth=1
	v_bfe_u32 v1, v0, 16, 1
	v_add3_u32 v0, v0, v1, s15
	v_accvgpr_write_b32 a9, v0
                                        ; implicit-def: $vgpr0
; %bb.461:                              ;   in Loop: Header=BB189_43 Depth=1
	s_andn2_saveexec_b64 s[10:11], s[4:5]
; %bb.462:                              ;   in Loop: Header=BB189_43 Depth=1
	v_or_b32_e32 v1, 0x10000, v0
	v_cmp_eq_u32_sdwa s[4:5], v0, v35 src0_sel:WORD_0 src1_sel:DWORD
	s_nop 1
	v_cndmask_b32_e64 v0, v1, v0, s[4:5]
	v_accvgpr_write_b32 a9, v0
; %bb.463:                              ;   in Loop: Header=BB189_43 Depth=1
	s_or_b64 exec, exec, s[10:11]
	v_lshlrev_b32_e32 v0, 16, v9
	v_mul_f32_e32 v0, v38, v0
	v_and_b32_e32 v1, 0x7f800000, v0
	v_cmp_ne_u32_e64 s[4:5], s12, v1
                                        ; implicit-def: $agpr0
	s_and_saveexec_b64 s[10:11], s[4:5]
	s_xor_b64 s[4:5], exec, s[10:11]
; %bb.464:                              ;   in Loop: Header=BB189_43 Depth=1
	v_bfe_u32 v1, v0, 16, 1
	v_add3_u32 v0, v0, v1, s15
	v_accvgpr_write_b32 a0, v0
                                        ; implicit-def: $vgpr0
; %bb.465:                              ;   in Loop: Header=BB189_43 Depth=1
	s_andn2_saveexec_b64 s[10:11], s[4:5]
; %bb.466:                              ;   in Loop: Header=BB189_43 Depth=1
	v_or_b32_e32 v1, 0x10000, v0
	v_cmp_eq_u32_sdwa s[4:5], v0, v35 src0_sel:WORD_0 src1_sel:DWORD
	s_nop 1
	v_cndmask_b32_e64 v0, v1, v0, s[4:5]
	v_accvgpr_write_b32 a0, v0
; %bb.467:                              ;   in Loop: Header=BB189_43 Depth=1
	s_or_b64 exec, exec, s[10:11]
	v_lshlrev_b32_e32 v0, 16, v2
	v_mul_f32_e32 v0, v39, v0
	v_and_b32_e32 v1, 0x7f800000, v0
	v_cmp_ne_u32_e64 s[4:5], s12, v1
                                        ; implicit-def: $agpr1
	s_and_saveexec_b64 s[10:11], s[4:5]
	s_xor_b64 s[4:5], exec, s[10:11]
; %bb.468:                              ;   in Loop: Header=BB189_43 Depth=1
	v_bfe_u32 v1, v0, 16, 1
	v_add3_u32 v0, v0, v1, s15
	v_accvgpr_write_b32 a1, v0
                                        ; implicit-def: $vgpr0
; %bb.469:                              ;   in Loop: Header=BB189_43 Depth=1
	s_andn2_saveexec_b64 s[10:11], s[4:5]
; %bb.470:                              ;   in Loop: Header=BB189_43 Depth=1
	v_or_b32_e32 v1, 0x10000, v0
	v_cmp_eq_u32_sdwa s[4:5], v0, v35 src0_sel:WORD_0 src1_sel:DWORD
	s_nop 1
	v_cndmask_b32_e64 v0, v1, v0, s[4:5]
	v_accvgpr_write_b32 a1, v0
; %bb.471:                              ;   in Loop: Header=BB189_43 Depth=1
	s_or_b64 exec, exec, s[10:11]
	v_lshlrev_b32_e32 v0, 16, v8
	v_mul_f32_e32 v0, v48, v0
	v_and_b32_e32 v1, 0x7f800000, v0
	v_cmp_ne_u32_e64 s[4:5], s12, v1
                                        ; implicit-def: $agpr5
	s_and_saveexec_b64 s[10:11], s[4:5]
	s_xor_b64 s[4:5], exec, s[10:11]
; %bb.472:                              ;   in Loop: Header=BB189_43 Depth=1
	v_bfe_u32 v1, v0, 16, 1
	v_add3_u32 v0, v0, v1, s15
	v_accvgpr_write_b32 a5, v0
                                        ; implicit-def: $vgpr0
; %bb.473:                              ;   in Loop: Header=BB189_43 Depth=1
	s_andn2_saveexec_b64 s[10:11], s[4:5]
; %bb.474:                              ;   in Loop: Header=BB189_43 Depth=1
	v_or_b32_e32 v1, 0x10000, v0
	v_cmp_eq_u32_sdwa s[4:5], v0, v35 src0_sel:WORD_0 src1_sel:DWORD
	s_nop 1
	v_cndmask_b32_e64 v0, v1, v0, s[4:5]
	v_accvgpr_write_b32 a5, v0
; %bb.475:                              ;   in Loop: Header=BB189_43 Depth=1
	s_or_b64 exec, exec, s[10:11]
	v_lshlrev_b32_e32 v0, 16, v3
	v_mul_f32_e32 v0, v49, v0
	v_and_b32_e32 v1, 0x7f800000, v0
	v_cmp_ne_u32_e64 s[4:5], s12, v1
                                        ; implicit-def: $agpr7
	s_and_saveexec_b64 s[10:11], s[4:5]
	s_xor_b64 s[4:5], exec, s[10:11]
; %bb.476:                              ;   in Loop: Header=BB189_43 Depth=1
	v_bfe_u32 v1, v0, 16, 1
	v_add3_u32 v0, v0, v1, s15
	v_accvgpr_write_b32 a7, v0
                                        ; implicit-def: $vgpr0
; %bb.477:                              ;   in Loop: Header=BB189_43 Depth=1
	s_andn2_saveexec_b64 s[10:11], s[4:5]
; %bb.478:                              ;   in Loop: Header=BB189_43 Depth=1
	v_or_b32_e32 v1, 0x10000, v0
	v_cmp_eq_u32_sdwa s[4:5], v0, v35 src0_sel:WORD_0 src1_sel:DWORD
	s_nop 1
	v_cndmask_b32_e64 v0, v1, v0, s[4:5]
	v_accvgpr_write_b32 a7, v0
; %bb.479:                              ;   in Loop: Header=BB189_43 Depth=1
	s_or_b64 exec, exec, s[10:11]
	v_lshlrev_b32_e32 v0, 16, v4
	v_mul_f32_e32 v0, v50, v0
	v_and_b32_e32 v1, 0x7f800000, v0
	v_cmp_ne_u32_e64 s[4:5], s12, v1
                                        ; implicit-def: $agpr12
	s_and_saveexec_b64 s[10:11], s[4:5]
	s_xor_b64 s[4:5], exec, s[10:11]
; %bb.480:                              ;   in Loop: Header=BB189_43 Depth=1
	v_bfe_u32 v1, v0, 16, 1
	v_add3_u32 v0, v0, v1, s15
	v_accvgpr_write_b32 a12, v0
                                        ; implicit-def: $vgpr0
; %bb.481:                              ;   in Loop: Header=BB189_43 Depth=1
	s_andn2_saveexec_b64 s[10:11], s[4:5]
; %bb.482:                              ;   in Loop: Header=BB189_43 Depth=1
	v_or_b32_e32 v1, 0x10000, v0
	v_cmp_eq_u32_sdwa s[4:5], v0, v35 src0_sel:WORD_0 src1_sel:DWORD
	s_nop 1
	v_cndmask_b32_e64 v0, v1, v0, s[4:5]
	v_accvgpr_write_b32 a12, v0
; %bb.483:                              ;   in Loop: Header=BB189_43 Depth=1
	s_or_b64 exec, exec, s[10:11]
	scratch_load_dwordx2 v[0:1], off, s32 offset:272 ; 8-byte Folded Reload
	s_waitcnt vmcnt(0)
	v_mov_b32_e32 v1, v35
	v_mov_b32_e32 v2, v0
	v_lshl_add_u64 v[0:1], v[6:7], 0, v[0:1]
	scratch_store_dwordx2 off, v[2:3], s32 offset:272 ; 8-byte Folded Spill
	flat_load_dwordx4 v[0:3], v[0:1]
	s_waitcnt vmcnt(0) lgkmcnt(0)
	v_lshrrev_b32_e32 v11, 16, v0
	v_lshrrev_b32_e32 v9, 16, v1
	;; [unrolled: 1-line block ×4, first 2 shown]
	s_and_saveexec_b64 s[10:11], vcc
	s_cbranch_execz .LBB189_485
; %bb.484:                              ;   in Loop: Header=BB189_43 Depth=1
	v_accvgpr_read_b32 v10, a41
	v_cmp_lt_i32_e64 s[4:5], v10, v62
	v_accvgpr_read_b32 v10, a46
	s_nop 0
	v_cndmask_b32_e64 v0, 0, v0, s[4:5]
	v_cmp_lt_i32_e64 s[4:5], v10, v62
	v_accvgpr_read_b32 v10, a47
	s_nop 0
	v_cndmask_b32_e64 v11, 0, v11, s[4:5]
	v_cmp_lt_i32_e64 s[4:5], v58, v62
	s_nop 1
	v_cndmask_b32_e64 v1, 0, v1, s[4:5]
	v_cmp_lt_i32_e64 s[4:5], v41, v62
	;; [unrolled: 3-line block ×3, first 2 shown]
	v_accvgpr_read_b32 v10, a43
	s_nop 0
	v_cndmask_b32_e64 v2, 0, v2, s[4:5]
	v_cmp_lt_i32_e64 s[4:5], v10, v62
	v_accvgpr_read_b32 v10, a45
	s_nop 0
	v_cndmask_b32_e64 v4, 0, v4, s[4:5]
	v_cmp_lt_i32_e64 s[4:5], v10, v62
	s_nop 1
	v_cndmask_b32_e64 v3, 0, v3, s[4:5]
	v_cmp_lt_i32_e64 s[4:5], v17, v62
	s_nop 1
	v_cndmask_b32_e64 v8, 0, v8, s[4:5]
.LBB189_485:                            ;   in Loop: Header=BB189_43 Depth=1
	s_or_b64 exec, exec, s[10:11]
	v_lshlrev_b32_e32 v0, 16, v0
	v_mul_f32_e32 v0, v5, v0
	v_and_b32_e32 v10, 0x7f800000, v0
	v_cmp_ne_u32_e64 s[4:5], s12, v10
                                        ; implicit-def: $vgpr10
	s_and_saveexec_b64 s[10:11], s[4:5]
	s_xor_b64 s[4:5], exec, s[10:11]
; %bb.486:                              ;   in Loop: Header=BB189_43 Depth=1
	v_bfe_u32 v10, v0, 16, 1
	v_add3_u32 v10, v0, v10, s15
                                        ; implicit-def: $vgpr0
; %bb.487:                              ;   in Loop: Header=BB189_43 Depth=1
	s_andn2_saveexec_b64 s[10:11], s[4:5]
; %bb.488:                              ;   in Loop: Header=BB189_43 Depth=1
	v_or_b32_e32 v10, 0x10000, v0
	v_cmp_eq_u32_sdwa s[4:5], v0, v35 src0_sel:WORD_0 src1_sel:DWORD
	s_nop 1
	v_cndmask_b32_e64 v10, v10, v0, s[4:5]
; %bb.489:                              ;   in Loop: Header=BB189_43 Depth=1
	s_or_b64 exec, exec, s[10:11]
	v_lshlrev_b32_e32 v0, 16, v11
	v_mul_f32_e32 v0, v36, v0
	v_and_b32_e32 v11, 0x7f800000, v0
	v_cmp_ne_u32_e64 s[4:5], s12, v11
                                        ; implicit-def: $vgpr11
	s_and_saveexec_b64 s[10:11], s[4:5]
	s_xor_b64 s[4:5], exec, s[10:11]
; %bb.490:                              ;   in Loop: Header=BB189_43 Depth=1
	v_bfe_u32 v11, v0, 16, 1
	v_add3_u32 v11, v0, v11, s15
                                        ; implicit-def: $vgpr0
; %bb.491:                              ;   in Loop: Header=BB189_43 Depth=1
	s_andn2_saveexec_b64 s[10:11], s[4:5]
; %bb.492:                              ;   in Loop: Header=BB189_43 Depth=1
	v_or_b32_e32 v11, 0x10000, v0
	v_cmp_eq_u32_sdwa s[4:5], v0, v35 src0_sel:WORD_0 src1_sel:DWORD
	s_nop 1
	v_cndmask_b32_e64 v11, v11, v0, s[4:5]
; %bb.493:                              ;   in Loop: Header=BB189_43 Depth=1
	s_or_b64 exec, exec, s[10:11]
	v_lshlrev_b32_e32 v0, 16, v1
	v_mul_f32_e32 v0, v37, v0
	v_and_b32_e32 v1, 0x7f800000, v0
	v_cmp_ne_u32_e64 s[4:5], s12, v1
                                        ; implicit-def: $vgpr23
	s_and_saveexec_b64 s[10:11], s[4:5]
	s_xor_b64 s[4:5], exec, s[10:11]
; %bb.494:                              ;   in Loop: Header=BB189_43 Depth=1
	v_bfe_u32 v1, v0, 16, 1
	v_add3_u32 v23, v0, v1, s15
                                        ; implicit-def: $vgpr0
; %bb.495:                              ;   in Loop: Header=BB189_43 Depth=1
	s_andn2_saveexec_b64 s[10:11], s[4:5]
; %bb.496:                              ;   in Loop: Header=BB189_43 Depth=1
	v_or_b32_e32 v1, 0x10000, v0
	v_cmp_eq_u32_sdwa s[4:5], v0, v35 src0_sel:WORD_0 src1_sel:DWORD
	s_nop 1
	v_cndmask_b32_e64 v23, v1, v0, s[4:5]
; %bb.497:                              ;   in Loop: Header=BB189_43 Depth=1
	s_or_b64 exec, exec, s[10:11]
	v_lshlrev_b32_e32 v0, 16, v9
	v_mul_f32_e32 v0, v38, v0
	v_and_b32_e32 v1, 0x7f800000, v0
	v_cmp_ne_u32_e64 s[4:5], s12, v1
                                        ; implicit-def: $vgpr60
	s_and_saveexec_b64 s[10:11], s[4:5]
	s_xor_b64 s[4:5], exec, s[10:11]
; %bb.498:                              ;   in Loop: Header=BB189_43 Depth=1
	v_bfe_u32 v1, v0, 16, 1
	v_add3_u32 v60, v0, v1, s15
                                        ; implicit-def: $vgpr0
; %bb.499:                              ;   in Loop: Header=BB189_43 Depth=1
	s_andn2_saveexec_b64 s[10:11], s[4:5]
; %bb.500:                              ;   in Loop: Header=BB189_43 Depth=1
	v_or_b32_e32 v1, 0x10000, v0
	v_cmp_eq_u32_sdwa s[4:5], v0, v35 src0_sel:WORD_0 src1_sel:DWORD
	s_nop 1
	v_cndmask_b32_e64 v60, v1, v0, s[4:5]
; %bb.501:                              ;   in Loop: Header=BB189_43 Depth=1
	s_or_b64 exec, exec, s[10:11]
	v_lshlrev_b32_e32 v0, 16, v2
	v_mul_f32_e32 v0, v39, v0
	v_and_b32_e32 v1, 0x7f800000, v0
	v_cmp_ne_u32_e64 s[4:5], s12, v1
                                        ; implicit-def: $vgpr16
	s_and_saveexec_b64 s[10:11], s[4:5]
	s_xor_b64 s[4:5], exec, s[10:11]
; %bb.502:                              ;   in Loop: Header=BB189_43 Depth=1
	v_bfe_u32 v1, v0, 16, 1
	v_add3_u32 v16, v0, v1, s15
                                        ; implicit-def: $vgpr0
; %bb.503:                              ;   in Loop: Header=BB189_43 Depth=1
	s_andn2_saveexec_b64 s[10:11], s[4:5]
; %bb.504:                              ;   in Loop: Header=BB189_43 Depth=1
	v_or_b32_e32 v1, 0x10000, v0
	v_cmp_eq_u32_sdwa s[4:5], v0, v35 src0_sel:WORD_0 src1_sel:DWORD
	s_nop 1
	v_cndmask_b32_e64 v16, v1, v0, s[4:5]
; %bb.505:                              ;   in Loop: Header=BB189_43 Depth=1
	s_or_b64 exec, exec, s[10:11]
	v_lshlrev_b32_e32 v0, 16, v4
	v_mul_f32_e32 v0, v48, v0
	v_and_b32_e32 v1, 0x7f800000, v0
	v_cmp_ne_u32_e64 s[4:5], s12, v1
                                        ; implicit-def: $vgpr61
	s_and_saveexec_b64 s[10:11], s[4:5]
	s_xor_b64 s[4:5], exec, s[10:11]
; %bb.506:                              ;   in Loop: Header=BB189_43 Depth=1
	v_bfe_u32 v1, v0, 16, 1
	v_add3_u32 v61, v0, v1, s15
                                        ; implicit-def: $vgpr0
; %bb.507:                              ;   in Loop: Header=BB189_43 Depth=1
	s_andn2_saveexec_b64 s[10:11], s[4:5]
; %bb.508:                              ;   in Loop: Header=BB189_43 Depth=1
	v_or_b32_e32 v1, 0x10000, v0
	v_cmp_eq_u32_sdwa s[4:5], v0, v35 src0_sel:WORD_0 src1_sel:DWORD
	s_nop 1
	v_cndmask_b32_e64 v61, v1, v0, s[4:5]
; %bb.509:                              ;   in Loop: Header=BB189_43 Depth=1
	s_or_b64 exec, exec, s[10:11]
	v_lshlrev_b32_e32 v0, 16, v3
	v_mul_f32_e32 v0, v49, v0
	v_and_b32_e32 v1, 0x7f800000, v0
	v_cmp_ne_u32_e64 s[4:5], s12, v1
                                        ; implicit-def: $vgpr4
	s_and_saveexec_b64 s[10:11], s[4:5]
	s_xor_b64 s[4:5], exec, s[10:11]
; %bb.510:                              ;   in Loop: Header=BB189_43 Depth=1
	v_bfe_u32 v1, v0, 16, 1
	v_add3_u32 v4, v0, v1, s15
                                        ; implicit-def: $vgpr0
; %bb.511:                              ;   in Loop: Header=BB189_43 Depth=1
	s_andn2_saveexec_b64 s[10:11], s[4:5]
; %bb.512:                              ;   in Loop: Header=BB189_43 Depth=1
	v_or_b32_e32 v1, 0x10000, v0
	v_cmp_eq_u32_sdwa s[4:5], v0, v35 src0_sel:WORD_0 src1_sel:DWORD
	s_nop 1
	v_cndmask_b32_e64 v4, v1, v0, s[4:5]
; %bb.513:                              ;   in Loop: Header=BB189_43 Depth=1
	s_or_b64 exec, exec, s[10:11]
	v_lshlrev_b32_e32 v0, 16, v8
	v_mul_f32_e32 v0, v50, v0
	v_and_b32_e32 v1, 0x7f800000, v0
	v_cmp_ne_u32_e64 s[4:5], s12, v1
                                        ; implicit-def: $vgpr59
	s_and_saveexec_b64 s[10:11], s[4:5]
	s_xor_b64 s[4:5], exec, s[10:11]
; %bb.514:                              ;   in Loop: Header=BB189_43 Depth=1
	v_bfe_u32 v1, v0, 16, 1
	v_add3_u32 v59, v0, v1, s15
                                        ; implicit-def: $vgpr0
; %bb.515:                              ;   in Loop: Header=BB189_43 Depth=1
	s_andn2_saveexec_b64 s[10:11], s[4:5]
; %bb.516:                              ;   in Loop: Header=BB189_43 Depth=1
	v_or_b32_e32 v1, 0x10000, v0
	v_cmp_eq_u32_sdwa s[4:5], v0, v35 src0_sel:WORD_0 src1_sel:DWORD
	s_nop 1
	v_cndmask_b32_e64 v59, v1, v0, s[4:5]
; %bb.517:                              ;   in Loop: Header=BB189_43 Depth=1
	s_or_b64 exec, exec, s[10:11]
	scratch_load_dwordx2 v[0:1], off, s32 offset:280 ; 8-byte Folded Reload
	s_waitcnt vmcnt(0)
	v_mov_b32_e32 v1, v35
	v_mov_b32_e32 v2, v0
	v_lshl_add_u64 v[0:1], v[6:7], 0, v[0:1]
	scratch_store_dwordx2 off, v[2:3], s32 offset:280 ; 8-byte Folded Spill
	flat_load_dwordx4 v[0:3], v[0:1]
	s_waitcnt vmcnt(0) lgkmcnt(0)
	v_lshrrev_b32_e32 v8, 16, v0
	v_lshrrev_b32_e32 v52, 16, v1
	;; [unrolled: 1-line block ×4, first 2 shown]
	s_and_saveexec_b64 s[10:11], vcc
	s_cbranch_execz .LBB189_519
; %bb.518:                              ;   in Loop: Header=BB189_43 Depth=1
	v_accvgpr_read_b32 v9, a41
	v_cmp_lt_i32_e64 s[4:5], v9, v62
	v_accvgpr_read_b32 v9, a46
	s_nop 0
	v_cndmask_b32_e64 v0, 0, v0, s[4:5]
	v_cmp_lt_i32_e64 s[4:5], v9, v62
	v_accvgpr_read_b32 v9, a47
	s_nop 0
	v_cndmask_b32_e64 v8, 0, v8, s[4:5]
	v_cmp_lt_i32_e64 s[4:5], v58, v62
	s_nop 1
	v_cndmask_b32_e64 v1, 0, v1, s[4:5]
	v_cmp_lt_i32_e64 s[4:5], v41, v62
	;; [unrolled: 3-line block ×3, first 2 shown]
	v_accvgpr_read_b32 v9, a43
	s_nop 0
	v_cndmask_b32_e64 v2, 0, v2, s[4:5]
	v_cmp_lt_i32_e64 s[4:5], v9, v62
	v_accvgpr_read_b32 v9, a45
	s_nop 0
	v_cndmask_b32_e64 v15, 0, v15, s[4:5]
	v_cmp_lt_i32_e64 s[4:5], v9, v62
	s_nop 1
	v_cndmask_b32_e64 v3, 0, v3, s[4:5]
	v_cmp_lt_i32_e64 s[4:5], v17, v62
	s_nop 1
	v_cndmask_b32_e64 v14, 0, v14, s[4:5]
.LBB189_519:                            ;   in Loop: Header=BB189_43 Depth=1
	s_or_b64 exec, exec, s[10:11]
	v_lshlrev_b32_e32 v0, 16, v0
	v_mul_f32_e32 v0, v5, v0
	v_and_b32_e32 v9, 0x7f800000, v0
	v_cmp_ne_u32_e64 s[4:5], s12, v9
                                        ; implicit-def: $vgpr9
	s_and_saveexec_b64 s[10:11], s[4:5]
	s_xor_b64 s[4:5], exec, s[10:11]
; %bb.520:                              ;   in Loop: Header=BB189_43 Depth=1
	v_bfe_u32 v9, v0, 16, 1
	v_add3_u32 v9, v0, v9, s15
                                        ; implicit-def: $vgpr0
; %bb.521:                              ;   in Loop: Header=BB189_43 Depth=1
	s_andn2_saveexec_b64 s[10:11], s[4:5]
; %bb.522:                              ;   in Loop: Header=BB189_43 Depth=1
	v_or_b32_e32 v9, 0x10000, v0
	v_cmp_eq_u32_sdwa s[4:5], v0, v35 src0_sel:WORD_0 src1_sel:DWORD
	s_nop 1
	v_cndmask_b32_e64 v9, v9, v0, s[4:5]
; %bb.523:                              ;   in Loop: Header=BB189_43 Depth=1
	s_or_b64 exec, exec, s[10:11]
	v_lshlrev_b32_e32 v0, 16, v8
	v_mul_f32_e32 v0, v36, v0
	v_and_b32_e32 v8, 0x7f800000, v0
	v_cmp_ne_u32_e64 s[4:5], s12, v8
                                        ; implicit-def: $vgpr51
	s_and_saveexec_b64 s[10:11], s[4:5]
	s_xor_b64 s[4:5], exec, s[10:11]
; %bb.524:                              ;   in Loop: Header=BB189_43 Depth=1
	v_bfe_u32 v8, v0, 16, 1
	v_add3_u32 v51, v0, v8, s15
                                        ; implicit-def: $vgpr0
; %bb.525:                              ;   in Loop: Header=BB189_43 Depth=1
	s_andn2_saveexec_b64 s[10:11], s[4:5]
; %bb.526:                              ;   in Loop: Header=BB189_43 Depth=1
	v_or_b32_e32 v8, 0x10000, v0
	v_cmp_eq_u32_sdwa s[4:5], v0, v35 src0_sel:WORD_0 src1_sel:DWORD
	s_nop 1
	v_cndmask_b32_e64 v51, v8, v0, s[4:5]
; %bb.527:                              ;   in Loop: Header=BB189_43 Depth=1
	s_or_b64 exec, exec, s[10:11]
	v_lshlrev_b32_e32 v0, 16, v1
	v_mul_f32_e32 v0, v37, v0
	v_and_b32_e32 v1, 0x7f800000, v0
	v_cmp_ne_u32_e64 s[4:5], s12, v1
                                        ; implicit-def: $vgpr8
	s_and_saveexec_b64 s[10:11], s[4:5]
	s_xor_b64 s[4:5], exec, s[10:11]
; %bb.528:                              ;   in Loop: Header=BB189_43 Depth=1
	v_bfe_u32 v1, v0, 16, 1
	v_add3_u32 v8, v0, v1, s15
                                        ; implicit-def: $vgpr0
; %bb.529:                              ;   in Loop: Header=BB189_43 Depth=1
	s_andn2_saveexec_b64 s[10:11], s[4:5]
; %bb.530:                              ;   in Loop: Header=BB189_43 Depth=1
	v_or_b32_e32 v1, 0x10000, v0
	v_cmp_eq_u32_sdwa s[4:5], v0, v35 src0_sel:WORD_0 src1_sel:DWORD
	s_nop 1
	v_cndmask_b32_e64 v8, v1, v0, s[4:5]
; %bb.531:                              ;   in Loop: Header=BB189_43 Depth=1
	s_or_b64 exec, exec, s[10:11]
	v_lshlrev_b32_e32 v0, 16, v52
	v_mul_f32_e32 v0, v38, v0
	v_and_b32_e32 v1, 0x7f800000, v0
	v_cmp_ne_u32_e64 s[4:5], s12, v1
                                        ; implicit-def: $vgpr52
	s_and_saveexec_b64 s[10:11], s[4:5]
	s_xor_b64 s[4:5], exec, s[10:11]
; %bb.532:                              ;   in Loop: Header=BB189_43 Depth=1
	v_bfe_u32 v1, v0, 16, 1
	v_add3_u32 v52, v0, v1, s15
                                        ; implicit-def: $vgpr0
; %bb.533:                              ;   in Loop: Header=BB189_43 Depth=1
	s_andn2_saveexec_b64 s[10:11], s[4:5]
; %bb.534:                              ;   in Loop: Header=BB189_43 Depth=1
	v_or_b32_e32 v1, 0x10000, v0
	v_cmp_eq_u32_sdwa s[4:5], v0, v35 src0_sel:WORD_0 src1_sel:DWORD
	s_nop 1
	v_cndmask_b32_e64 v52, v1, v0, s[4:5]
; %bb.535:                              ;   in Loop: Header=BB189_43 Depth=1
	s_or_b64 exec, exec, s[10:11]
	v_lshlrev_b32_e32 v0, 16, v2
	v_mul_f32_e32 v0, v39, v0
	v_and_b32_e32 v1, 0x7f800000, v0
	v_cmp_ne_u32_e64 s[4:5], s12, v1
                                        ; implicit-def: $vgpr53
	s_and_saveexec_b64 s[10:11], s[4:5]
	s_xor_b64 s[4:5], exec, s[10:11]
; %bb.536:                              ;   in Loop: Header=BB189_43 Depth=1
	v_bfe_u32 v1, v0, 16, 1
	v_add3_u32 v53, v0, v1, s15
                                        ; implicit-def: $vgpr0
; %bb.537:                              ;   in Loop: Header=BB189_43 Depth=1
	s_andn2_saveexec_b64 s[10:11], s[4:5]
; %bb.538:                              ;   in Loop: Header=BB189_43 Depth=1
	v_or_b32_e32 v1, 0x10000, v0
	v_cmp_eq_u32_sdwa s[4:5], v0, v35 src0_sel:WORD_0 src1_sel:DWORD
	s_nop 1
	v_cndmask_b32_e64 v53, v1, v0, s[4:5]
; %bb.539:                              ;   in Loop: Header=BB189_43 Depth=1
	s_or_b64 exec, exec, s[10:11]
	v_lshlrev_b32_e32 v0, 16, v15
	v_mul_f32_e32 v0, v48, v0
	v_and_b32_e32 v1, 0x7f800000, v0
	v_cmp_ne_u32_e64 s[4:5], s12, v1
                                        ; implicit-def: $vgpr54
	s_and_saveexec_b64 s[10:11], s[4:5]
	s_xor_b64 s[4:5], exec, s[10:11]
; %bb.540:                              ;   in Loop: Header=BB189_43 Depth=1
	v_bfe_u32 v1, v0, 16, 1
	v_add3_u32 v54, v0, v1, s15
                                        ; implicit-def: $vgpr0
; %bb.541:                              ;   in Loop: Header=BB189_43 Depth=1
	s_andn2_saveexec_b64 s[10:11], s[4:5]
; %bb.542:                              ;   in Loop: Header=BB189_43 Depth=1
	v_or_b32_e32 v1, 0x10000, v0
	v_cmp_eq_u32_sdwa s[4:5], v0, v35 src0_sel:WORD_0 src1_sel:DWORD
	s_nop 1
	v_cndmask_b32_e64 v54, v1, v0, s[4:5]
; %bb.543:                              ;   in Loop: Header=BB189_43 Depth=1
	s_or_b64 exec, exec, s[10:11]
	v_lshlrev_b32_e32 v0, 16, v3
	v_mul_f32_e32 v0, v49, v0
	v_and_b32_e32 v1, 0x7f800000, v0
	v_cmp_ne_u32_e64 s[4:5], s12, v1
                                        ; implicit-def: $vgpr55
	s_and_saveexec_b64 s[10:11], s[4:5]
	s_xor_b64 s[4:5], exec, s[10:11]
; %bb.544:                              ;   in Loop: Header=BB189_43 Depth=1
	v_bfe_u32 v1, v0, 16, 1
	v_add3_u32 v55, v0, v1, s15
                                        ; implicit-def: $vgpr0
; %bb.545:                              ;   in Loop: Header=BB189_43 Depth=1
	s_andn2_saveexec_b64 s[10:11], s[4:5]
; %bb.546:                              ;   in Loop: Header=BB189_43 Depth=1
	v_or_b32_e32 v1, 0x10000, v0
	v_cmp_eq_u32_sdwa s[4:5], v0, v35 src0_sel:WORD_0 src1_sel:DWORD
	s_nop 1
	v_cndmask_b32_e64 v55, v1, v0, s[4:5]
; %bb.547:                              ;   in Loop: Header=BB189_43 Depth=1
	s_or_b64 exec, exec, s[10:11]
	v_lshlrev_b32_e32 v0, 16, v14
	v_mul_f32_e32 v0, v50, v0
	v_and_b32_e32 v1, 0x7f800000, v0
	v_cmp_ne_u32_e64 s[4:5], s12, v1
                                        ; implicit-def: $vgpr40
	s_and_saveexec_b64 s[10:11], s[4:5]
	s_xor_b64 s[4:5], exec, s[10:11]
; %bb.548:                              ;   in Loop: Header=BB189_43 Depth=1
	v_bfe_u32 v1, v0, 16, 1
	v_add3_u32 v40, v0, v1, s15
                                        ; implicit-def: $vgpr0
; %bb.549:                              ;   in Loop: Header=BB189_43 Depth=1
	s_andn2_saveexec_b64 s[10:11], s[4:5]
; %bb.550:                              ;   in Loop: Header=BB189_43 Depth=1
	v_or_b32_e32 v1, 0x10000, v0
	v_cmp_eq_u32_sdwa s[4:5], v0, v35 src0_sel:WORD_0 src1_sel:DWORD
	s_nop 1
	v_cndmask_b32_e64 v40, v1, v0, s[4:5]
; %bb.551:                              ;   in Loop: Header=BB189_43 Depth=1
	s_or_b64 exec, exec, s[10:11]
	scratch_load_dwordx2 v[0:1], off, s32 offset:288 ; 8-byte Folded Reload
	s_waitcnt vmcnt(0)
	v_mov_b32_e32 v1, v35
	v_accvgpr_write_b32 a44, v41
	v_mov_b32_e32 v2, v0
	v_lshl_add_u64 v[0:1], v[6:7], 0, v[0:1]
	scratch_store_dwordx2 off, v[2:3], s32 offset:288 ; 8-byte Folded Spill
	flat_load_dwordx4 v[0:3], v[0:1]
	s_waitcnt vmcnt(0) lgkmcnt(0)
	v_lshrrev_b32_e32 v14, 16, v0
	v_lshrrev_b32_e32 v15, 16, v1
	;; [unrolled: 1-line block ×4, first 2 shown]
	s_and_saveexec_b64 s[10:11], vcc
	s_cbranch_execz .LBB189_553
; %bb.552:                              ;   in Loop: Header=BB189_43 Depth=1
	v_accvgpr_read_b32 v41, a41
	v_cmp_lt_i32_e64 s[4:5], v41, v62
	v_accvgpr_read_b32 v41, a46
	s_nop 0
	v_cndmask_b32_e64 v0, 0, v0, s[4:5]
	v_cmp_lt_i32_e64 s[4:5], v41, v62
	v_accvgpr_read_b32 v41, a44
	s_nop 0
	v_cndmask_b32_e64 v14, 0, v14, s[4:5]
	v_cmp_lt_i32_e64 s[4:5], v58, v62
	s_nop 1
	v_cndmask_b32_e64 v1, 0, v1, s[4:5]
	v_cmp_lt_i32_e64 s[4:5], v41, v62
	v_accvgpr_read_b32 v41, a47
	s_nop 0
	v_cndmask_b32_e64 v15, 0, v15, s[4:5]
	v_cmp_lt_i32_e64 s[4:5], v41, v62
	v_accvgpr_read_b32 v41, a43
	;; [unrolled: 4-line block ×3, first 2 shown]
	s_nop 0
	v_cndmask_b32_e64 v44, 0, v44, s[4:5]
	v_cmp_lt_i32_e64 s[4:5], v41, v62
	s_nop 1
	v_cndmask_b32_e64 v3, 0, v3, s[4:5]
	v_cmp_lt_i32_e64 s[4:5], v17, v62
	s_nop 1
	v_cndmask_b32_e64 v46, 0, v46, s[4:5]
.LBB189_553:                            ;   in Loop: Header=BB189_43 Depth=1
	s_or_b64 exec, exec, s[10:11]
	v_lshlrev_b32_e32 v0, 16, v0
	v_mul_f32_e32 v0, v5, v0
	v_and_b32_e32 v41, 0x7f800000, v0
	v_cmp_ne_u32_e64 s[4:5], s12, v41
                                        ; implicit-def: $vgpr41
	s_and_saveexec_b64 s[10:11], s[4:5]
	s_xor_b64 s[4:5], exec, s[10:11]
; %bb.554:                              ;   in Loop: Header=BB189_43 Depth=1
	v_bfe_u32 v41, v0, 16, 1
	v_add3_u32 v41, v0, v41, s15
                                        ; implicit-def: $vgpr0
; %bb.555:                              ;   in Loop: Header=BB189_43 Depth=1
	s_andn2_saveexec_b64 s[10:11], s[4:5]
; %bb.556:                              ;   in Loop: Header=BB189_43 Depth=1
	v_or_b32_e32 v41, 0x10000, v0
	v_cmp_eq_u32_sdwa s[4:5], v0, v35 src0_sel:WORD_0 src1_sel:DWORD
	s_nop 1
	v_cndmask_b32_e64 v41, v41, v0, s[4:5]
; %bb.557:                              ;   in Loop: Header=BB189_43 Depth=1
	s_or_b64 exec, exec, s[10:11]
	v_lshlrev_b32_e32 v0, 16, v14
	v_mul_f32_e32 v0, v36, v0
	v_and_b32_e32 v14, 0x7f800000, v0
	v_cmp_ne_u32_e64 s[4:5], s12, v14
                                        ; implicit-def: $vgpr42
	s_and_saveexec_b64 s[10:11], s[4:5]
	s_xor_b64 s[4:5], exec, s[10:11]
; %bb.558:                              ;   in Loop: Header=BB189_43 Depth=1
	v_bfe_u32 v14, v0, 16, 1
	v_add3_u32 v42, v0, v14, s15
                                        ; implicit-def: $vgpr0
; %bb.559:                              ;   in Loop: Header=BB189_43 Depth=1
	s_andn2_saveexec_b64 s[10:11], s[4:5]
; %bb.560:                              ;   in Loop: Header=BB189_43 Depth=1
	v_or_b32_e32 v14, 0x10000, v0
	v_cmp_eq_u32_sdwa s[4:5], v0, v35 src0_sel:WORD_0 src1_sel:DWORD
	s_nop 1
	v_cndmask_b32_e64 v42, v14, v0, s[4:5]
; %bb.561:                              ;   in Loop: Header=BB189_43 Depth=1
	s_or_b64 exec, exec, s[10:11]
	v_lshlrev_b32_e32 v0, 16, v1
	v_mul_f32_e32 v0, v37, v0
	v_and_b32_e32 v1, 0x7f800000, v0
	v_cmp_ne_u32_e64 s[4:5], s12, v1
                                        ; implicit-def: $vgpr14
	s_and_saveexec_b64 s[10:11], s[4:5]
	s_xor_b64 s[4:5], exec, s[10:11]
; %bb.562:                              ;   in Loop: Header=BB189_43 Depth=1
	v_bfe_u32 v1, v0, 16, 1
	v_add3_u32 v14, v0, v1, s15
                                        ; implicit-def: $vgpr0
; %bb.563:                              ;   in Loop: Header=BB189_43 Depth=1
	s_andn2_saveexec_b64 s[10:11], s[4:5]
; %bb.564:                              ;   in Loop: Header=BB189_43 Depth=1
	v_or_b32_e32 v1, 0x10000, v0
	v_cmp_eq_u32_sdwa s[4:5], v0, v35 src0_sel:WORD_0 src1_sel:DWORD
	s_nop 1
	v_cndmask_b32_e64 v14, v1, v0, s[4:5]
; %bb.565:                              ;   in Loop: Header=BB189_43 Depth=1
	s_or_b64 exec, exec, s[10:11]
	v_lshlrev_b32_e32 v0, 16, v15
	v_mul_f32_e32 v0, v38, v0
	v_and_b32_e32 v1, 0x7f800000, v0
	v_cmp_ne_u32_e64 s[4:5], s12, v1
                                        ; implicit-def: $vgpr15
	s_and_saveexec_b64 s[10:11], s[4:5]
	s_xor_b64 s[4:5], exec, s[10:11]
; %bb.566:                              ;   in Loop: Header=BB189_43 Depth=1
	v_bfe_u32 v1, v0, 16, 1
	v_add3_u32 v15, v0, v1, s15
                                        ; implicit-def: $vgpr0
; %bb.567:                              ;   in Loop: Header=BB189_43 Depth=1
	s_andn2_saveexec_b64 s[10:11], s[4:5]
; %bb.568:                              ;   in Loop: Header=BB189_43 Depth=1
	v_or_b32_e32 v1, 0x10000, v0
	v_cmp_eq_u32_sdwa s[4:5], v0, v35 src0_sel:WORD_0 src1_sel:DWORD
	s_nop 1
	v_cndmask_b32_e64 v15, v1, v0, s[4:5]
; %bb.569:                              ;   in Loop: Header=BB189_43 Depth=1
	s_or_b64 exec, exec, s[10:11]
	v_lshlrev_b32_e32 v0, 16, v2
	v_mul_f32_e32 v0, v39, v0
	v_and_b32_e32 v1, 0x7f800000, v0
	v_cmp_ne_u32_e64 s[4:5], s12, v1
                                        ; implicit-def: $vgpr43
	s_and_saveexec_b64 s[10:11], s[4:5]
	s_xor_b64 s[4:5], exec, s[10:11]
; %bb.570:                              ;   in Loop: Header=BB189_43 Depth=1
	v_bfe_u32 v1, v0, 16, 1
	v_add3_u32 v43, v0, v1, s15
                                        ; implicit-def: $vgpr0
; %bb.571:                              ;   in Loop: Header=BB189_43 Depth=1
	s_andn2_saveexec_b64 s[10:11], s[4:5]
; %bb.572:                              ;   in Loop: Header=BB189_43 Depth=1
	v_or_b32_e32 v1, 0x10000, v0
	v_cmp_eq_u32_sdwa s[4:5], v0, v35 src0_sel:WORD_0 src1_sel:DWORD
	s_nop 1
	v_cndmask_b32_e64 v43, v1, v0, s[4:5]
; %bb.573:                              ;   in Loop: Header=BB189_43 Depth=1
	s_or_b64 exec, exec, s[10:11]
	v_lshlrev_b32_e32 v0, 16, v44
	v_mul_f32_e32 v0, v48, v0
	v_and_b32_e32 v1, 0x7f800000, v0
	v_cmp_ne_u32_e64 s[4:5], s12, v1
                                        ; implicit-def: $vgpr44
	s_and_saveexec_b64 s[10:11], s[4:5]
	s_xor_b64 s[4:5], exec, s[10:11]
; %bb.574:                              ;   in Loop: Header=BB189_43 Depth=1
	v_bfe_u32 v1, v0, 16, 1
	v_add3_u32 v44, v0, v1, s15
                                        ; implicit-def: $vgpr0
; %bb.575:                              ;   in Loop: Header=BB189_43 Depth=1
	s_andn2_saveexec_b64 s[10:11], s[4:5]
; %bb.576:                              ;   in Loop: Header=BB189_43 Depth=1
	v_or_b32_e32 v1, 0x10000, v0
	v_cmp_eq_u32_sdwa s[4:5], v0, v35 src0_sel:WORD_0 src1_sel:DWORD
	s_nop 1
	v_cndmask_b32_e64 v44, v1, v0, s[4:5]
; %bb.577:                              ;   in Loop: Header=BB189_43 Depth=1
	s_or_b64 exec, exec, s[10:11]
	v_lshlrev_b32_e32 v0, 16, v3
	v_mul_f32_e32 v0, v49, v0
	v_and_b32_e32 v1, 0x7f800000, v0
	v_cmp_ne_u32_e64 s[4:5], s12, v1
                                        ; implicit-def: $vgpr45
	s_and_saveexec_b64 s[10:11], s[4:5]
	s_xor_b64 s[4:5], exec, s[10:11]
; %bb.578:                              ;   in Loop: Header=BB189_43 Depth=1
	v_bfe_u32 v1, v0, 16, 1
	v_add3_u32 v45, v0, v1, s15
                                        ; implicit-def: $vgpr0
; %bb.579:                              ;   in Loop: Header=BB189_43 Depth=1
	s_andn2_saveexec_b64 s[10:11], s[4:5]
; %bb.580:                              ;   in Loop: Header=BB189_43 Depth=1
	v_or_b32_e32 v1, 0x10000, v0
	v_cmp_eq_u32_sdwa s[4:5], v0, v35 src0_sel:WORD_0 src1_sel:DWORD
	s_nop 1
	v_cndmask_b32_e64 v45, v1, v0, s[4:5]
; %bb.581:                              ;   in Loop: Header=BB189_43 Depth=1
	s_or_b64 exec, exec, s[10:11]
	v_lshlrev_b32_e32 v0, 16, v46
	v_mul_f32_e32 v0, v50, v0
	v_and_b32_e32 v1, 0x7f800000, v0
	v_cmp_ne_u32_e64 s[4:5], s12, v1
                                        ; implicit-def: $vgpr46
	s_and_saveexec_b64 s[10:11], s[4:5]
	s_xor_b64 s[4:5], exec, s[10:11]
; %bb.582:                              ;   in Loop: Header=BB189_43 Depth=1
	v_bfe_u32 v1, v0, 16, 1
	v_add3_u32 v46, v0, v1, s15
                                        ; implicit-def: $vgpr0
; %bb.583:                              ;   in Loop: Header=BB189_43 Depth=1
	s_andn2_saveexec_b64 s[10:11], s[4:5]
; %bb.584:                              ;   in Loop: Header=BB189_43 Depth=1
	v_or_b32_e32 v1, 0x10000, v0
	v_cmp_eq_u32_sdwa s[4:5], v0, v35 src0_sel:WORD_0 src1_sel:DWORD
	s_nop 1
	v_cndmask_b32_e64 v46, v1, v0, s[4:5]
; %bb.585:                              ;   in Loop: Header=BB189_43 Depth=1
	s_or_b64 exec, exec, s[10:11]
	scratch_load_dwordx2 v[0:1], off, s32 offset:296 ; 8-byte Folded Reload
	s_waitcnt vmcnt(0)
	v_mov_b32_e32 v1, v35
	v_mov_b32_e32 v2, v0
	v_lshl_add_u64 v[0:1], v[6:7], 0, v[0:1]
	scratch_store_dwordx2 off, v[2:3], s32 offset:296 ; 8-byte Folded Spill
	flat_load_dwordx4 v[0:3], v[0:1]
	s_waitcnt vmcnt(0) lgkmcnt(0)
	v_lshrrev_b32_e32 v56, 16, v0
	v_lshrrev_b32_e32 v6, 16, v1
	;; [unrolled: 1-line block ×4, first 2 shown]
	s_and_saveexec_b64 s[4:5], vcc
	s_cbranch_execz .LBB189_587
; %bb.586:                              ;   in Loop: Header=BB189_43 Depth=1
	v_accvgpr_write_b32 a42, v22
	v_accvgpr_read_b32 v22, a41
	v_cmp_lt_i32_e32 vcc, v22, v62
	v_accvgpr_write_b32 a41, v57
	v_mov_b32_e32 v57, v58
	v_accvgpr_read_b32 v58, a46
	v_cndmask_b32_e32 v0, 0, v0, vcc
	v_cmp_lt_i32_e32 vcc, v58, v62
	v_accvgpr_read_b32 v58, a47
	v_accvgpr_read_b32 v22, a42
	v_cndmask_b32_e32 v56, 0, v56, vcc
	v_cmp_lt_i32_e32 vcc, v57, v62
	v_accvgpr_read_b32 v57, a44
	s_nop 0
	v_cndmask_b32_e32 v1, 0, v1, vcc
	v_cmp_lt_i32_e32 vcc, v57, v62
	v_accvgpr_read_b32 v57, a43
	s_nop 0
	v_cndmask_b32_e32 v6, 0, v6, vcc
	v_cmp_lt_i32_e32 vcc, v58, v62
	s_nop 1
	v_cndmask_b32_e32 v2, 0, v2, vcc
	v_cmp_lt_i32_e32 vcc, v57, v62
	v_accvgpr_read_b32 v57, a45
	s_nop 0
	v_cndmask_b32_e32 v7, 0, v7, vcc
	v_cmp_lt_i32_e32 vcc, v57, v62
	v_accvgpr_read_b32 v57, a41
	s_nop 0
	v_cndmask_b32_e32 v3, 0, v3, vcc
	v_cmp_lt_i32_e32 vcc, v17, v62
	s_nop 1
	v_cndmask_b32_e32 v47, 0, v47, vcc
.LBB189_587:                            ;   in Loop: Header=BB189_43 Depth=1
	s_or_b64 exec, exec, s[4:5]
	v_lshlrev_b32_e32 v0, 16, v0
	v_mul_f32_e32 v5, v5, v0
	v_and_b32_e32 v0, 0x7f800000, v5
	v_cmp_ne_u32_e32 vcc, s12, v0
                                        ; implicit-def: $vgpr0
	s_and_saveexec_b64 s[4:5], vcc
	s_xor_b64 s[4:5], exec, s[4:5]
; %bb.588:                              ;   in Loop: Header=BB189_43 Depth=1
	v_bfe_u32 v0, v5, 16, 1
	v_add3_u32 v0, v5, v0, s15
                                        ; implicit-def: $vgpr5
; %bb.589:                              ;   in Loop: Header=BB189_43 Depth=1
	s_andn2_saveexec_b64 s[4:5], s[4:5]
; %bb.590:                              ;   in Loop: Header=BB189_43 Depth=1
	v_or_b32_e32 v0, 0x10000, v5
	v_cmp_eq_u32_sdwa vcc, v5, v35 src0_sel:WORD_0 src1_sel:DWORD
	s_nop 1
	v_cndmask_b32_e32 v0, v0, v5, vcc
; %bb.591:                              ;   in Loop: Header=BB189_43 Depth=1
	s_or_b64 exec, exec, s[4:5]
	v_lshlrev_b32_e32 v5, 16, v56
	v_mul_f32_e32 v36, v36, v5
	v_and_b32_e32 v5, 0x7f800000, v36
	v_cmp_ne_u32_e32 vcc, s12, v5
                                        ; implicit-def: $vgpr5
	s_and_saveexec_b64 s[4:5], vcc
	s_xor_b64 s[4:5], exec, s[4:5]
; %bb.592:                              ;   in Loop: Header=BB189_43 Depth=1
	v_bfe_u32 v5, v36, 16, 1
	v_add3_u32 v5, v36, v5, s15
                                        ; implicit-def: $vgpr36
; %bb.593:                              ;   in Loop: Header=BB189_43 Depth=1
	s_andn2_saveexec_b64 s[4:5], s[4:5]
; %bb.594:                              ;   in Loop: Header=BB189_43 Depth=1
	v_or_b32_e32 v5, 0x10000, v36
	v_cmp_eq_u32_sdwa vcc, v36, v35 src0_sel:WORD_0 src1_sel:DWORD
	s_nop 1
	v_cndmask_b32_e32 v5, v5, v36, vcc
; %bb.595:                              ;   in Loop: Header=BB189_43 Depth=1
	s_or_b64 exec, exec, s[4:5]
	v_lshlrev_b32_e32 v1, 16, v1
	v_mul_f32_e32 v36, v37, v1
	v_and_b32_e32 v1, 0x7f800000, v36
	v_cmp_ne_u32_e32 vcc, s12, v1
                                        ; implicit-def: $vgpr1
	s_and_saveexec_b64 s[4:5], vcc
	s_xor_b64 s[4:5], exec, s[4:5]
; %bb.596:                              ;   in Loop: Header=BB189_43 Depth=1
	v_bfe_u32 v1, v36, 16, 1
	v_add3_u32 v1, v36, v1, s15
                                        ; implicit-def: $vgpr36
; %bb.597:                              ;   in Loop: Header=BB189_43 Depth=1
	s_andn2_saveexec_b64 s[4:5], s[4:5]
; %bb.598:                              ;   in Loop: Header=BB189_43 Depth=1
	v_or_b32_e32 v1, 0x10000, v36
	v_cmp_eq_u32_sdwa vcc, v36, v35 src0_sel:WORD_0 src1_sel:DWORD
	s_nop 1
	v_cndmask_b32_e32 v1, v1, v36, vcc
; %bb.599:                              ;   in Loop: Header=BB189_43 Depth=1
	s_or_b64 exec, exec, s[4:5]
	v_lshlrev_b32_e32 v6, 16, v6
	v_mul_f32_e32 v36, v38, v6
	v_and_b32_e32 v6, 0x7f800000, v36
	v_cmp_ne_u32_e32 vcc, s12, v6
                                        ; implicit-def: $vgpr6
	s_and_saveexec_b64 s[4:5], vcc
	s_xor_b64 s[4:5], exec, s[4:5]
; %bb.600:                              ;   in Loop: Header=BB189_43 Depth=1
	v_bfe_u32 v6, v36, 16, 1
	v_add3_u32 v6, v36, v6, s15
                                        ; implicit-def: $vgpr36
; %bb.601:                              ;   in Loop: Header=BB189_43 Depth=1
	s_andn2_saveexec_b64 s[4:5], s[4:5]
; %bb.602:                              ;   in Loop: Header=BB189_43 Depth=1
	v_or_b32_e32 v6, 0x10000, v36
	v_cmp_eq_u32_sdwa vcc, v36, v35 src0_sel:WORD_0 src1_sel:DWORD
	s_nop 1
	v_cndmask_b32_e32 v6, v6, v36, vcc
; %bb.603:                              ;   in Loop: Header=BB189_43 Depth=1
	s_or_b64 exec, exec, s[4:5]
	v_lshlrev_b32_e32 v2, 16, v2
	v_mul_f32_e32 v36, v39, v2
	v_and_b32_e32 v2, 0x7f800000, v36
	v_cmp_ne_u32_e32 vcc, s12, v2
                                        ; implicit-def: $vgpr2
	s_and_saveexec_b64 s[4:5], vcc
	s_xor_b64 s[4:5], exec, s[4:5]
; %bb.604:                              ;   in Loop: Header=BB189_43 Depth=1
	v_bfe_u32 v2, v36, 16, 1
	v_add3_u32 v2, v36, v2, s15
                                        ; implicit-def: $vgpr36
; %bb.605:                              ;   in Loop: Header=BB189_43 Depth=1
	s_andn2_saveexec_b64 s[4:5], s[4:5]
; %bb.606:                              ;   in Loop: Header=BB189_43 Depth=1
	v_or_b32_e32 v2, 0x10000, v36
	v_cmp_eq_u32_sdwa vcc, v36, v35 src0_sel:WORD_0 src1_sel:DWORD
	s_nop 1
	v_cndmask_b32_e32 v2, v2, v36, vcc
; %bb.607:                              ;   in Loop: Header=BB189_43 Depth=1
	s_or_b64 exec, exec, s[4:5]
	v_lshlrev_b32_e32 v7, 16, v7
	v_mul_f32_e32 v36, v48, v7
	v_and_b32_e32 v7, 0x7f800000, v36
	v_cmp_ne_u32_e32 vcc, s12, v7
                                        ; implicit-def: $vgpr7
	s_and_saveexec_b64 s[4:5], vcc
	s_xor_b64 s[4:5], exec, s[4:5]
; %bb.608:                              ;   in Loop: Header=BB189_43 Depth=1
	v_bfe_u32 v7, v36, 16, 1
	v_add3_u32 v7, v36, v7, s15
                                        ; implicit-def: $vgpr36
; %bb.609:                              ;   in Loop: Header=BB189_43 Depth=1
	s_andn2_saveexec_b64 s[4:5], s[4:5]
; %bb.610:                              ;   in Loop: Header=BB189_43 Depth=1
	v_or_b32_e32 v7, 0x10000, v36
	v_cmp_eq_u32_sdwa vcc, v36, v35 src0_sel:WORD_0 src1_sel:DWORD
	s_nop 1
	v_cndmask_b32_e32 v7, v7, v36, vcc
; %bb.611:                              ;   in Loop: Header=BB189_43 Depth=1
	s_or_b64 exec, exec, s[4:5]
	v_lshlrev_b32_e32 v3, 16, v3
	v_mul_f32_e32 v36, v49, v3
	v_and_b32_e32 v3, 0x7f800000, v36
	v_cmp_ne_u32_e32 vcc, s12, v3
                                        ; implicit-def: $vgpr3
	s_and_saveexec_b64 s[4:5], vcc
	s_xor_b64 s[4:5], exec, s[4:5]
; %bb.612:                              ;   in Loop: Header=BB189_43 Depth=1
	v_bfe_u32 v3, v36, 16, 1
	v_add3_u32 v3, v36, v3, s15
                                        ; implicit-def: $vgpr36
; %bb.613:                              ;   in Loop: Header=BB189_43 Depth=1
	s_andn2_saveexec_b64 s[4:5], s[4:5]
; %bb.614:                              ;   in Loop: Header=BB189_43 Depth=1
	v_or_b32_e32 v3, 0x10000, v36
	v_cmp_eq_u32_sdwa vcc, v36, v35 src0_sel:WORD_0 src1_sel:DWORD
	s_nop 1
	v_cndmask_b32_e32 v3, v3, v36, vcc
; %bb.615:                              ;   in Loop: Header=BB189_43 Depth=1
	s_or_b64 exec, exec, s[4:5]
	v_lshlrev_b32_e32 v36, 16, v47
	v_mul_f32_e32 v37, v50, v36
	v_and_b32_e32 v36, 0x7f800000, v37
	v_cmp_ne_u32_e32 vcc, s12, v36
                                        ; implicit-def: $vgpr36
	s_and_saveexec_b64 s[4:5], vcc
	s_xor_b64 s[4:5], exec, s[4:5]
; %bb.616:                              ;   in Loop: Header=BB189_43 Depth=1
	v_bfe_u32 v36, v37, 16, 1
	v_add3_u32 v36, v37, v36, s15
                                        ; implicit-def: $vgpr37
; %bb.617:                              ;   in Loop: Header=BB189_43 Depth=1
	s_andn2_saveexec_b64 s[4:5], s[4:5]
	s_cbranch_execz .LBB189_42
; %bb.618:                              ;   in Loop: Header=BB189_43 Depth=1
	v_or_b32_e32 v36, 0x10000, v37
	v_cmp_eq_u32_sdwa vcc, v37, v35 src0_sel:WORD_0 src1_sel:DWORD
	s_nop 1
	v_cndmask_b32_e32 v36, v36, v37, vcc
	s_branch .LBB189_42
.LBB189_619:
	s_or_b64 exec, exec, s[8:9]
	scratch_load_dwordx2 v[34:35], off, s32 offset:592 ; 8-byte Folded Reload
	scratch_load_dword v23, off, s32 offset:484 ; 4-byte Folded Reload
	scratch_load_dword v36, off, s32 offset:488 ; 4-byte Folded Reload
.LBB189_620:
	s_or_b64 exec, exec, s[6:7]
	s_waitcnt vmcnt(0)
	ds_bpermute_b32 v0, v23, v32
	ds_bpermute_b32 v1, v23, v33
	;; [unrolled: 1-line block ×6, first 2 shown]
	s_waitcnt lgkmcnt(0)
	v_pk_add_f32 v[0:1], v[32:33], v[0:1]
	ds_bpermute_b32 v4, v36, v0
	v_pk_add_f32 v[2:3], v[30:31], v[2:3]
	ds_bpermute_b32 v5, v36, v1
	ds_bpermute_b32 v8, v36, v2
	;; [unrolled: 1-line block ×3, first 2 shown]
	v_mov_b32_e32 v30, v23
	s_waitcnt lgkmcnt(0)
	v_pk_add_f32 v[22:23], v[0:1], v[4:5]
	v_pk_add_f32 v[0:1], v[28:29], v[6:7]
	v_pk_add_f32 v[16:17], v[2:3], v[8:9]
	ds_bpermute_b32 v2, v30, v24
	ds_bpermute_b32 v3, v30, v25
	;; [unrolled: 1-line block ×6, first 2 shown]
	s_waitcnt lgkmcnt(4)
	v_pk_add_f32 v[2:3], v[24:25], v[2:3]
	ds_bpermute_b32 v8, v36, v2
	s_waitcnt lgkmcnt(3)
	v_pk_add_f32 v[14:15], v[0:1], v[4:5]
	ds_bpermute_b32 v9, v36, v3
	;; [unrolled: 3-line block ×3, first 2 shown]
	ds_bpermute_b32 v27, v30, v13
	s_barrier
	s_waitcnt lgkmcnt(2)
	v_pk_add_f32 v[8:9], v[2:3], v[8:9]
	s_waitcnt lgkmcnt(0)
	ds_bpermute_b32 v6, v30, v20
	v_pk_add_f32 v[2:3], v[12:13], v[26:27]
	scratch_load_dword v13, off, s32 offset:588 ; 4-byte Folded Reload
	ds_bpermute_b32 v7, v30, v21
	ds_bpermute_b32 v10, v30, v18
	;; [unrolled: 1-line block ×5, first 2 shown]
	s_waitcnt lgkmcnt(4)
	v_pk_add_f32 v[6:7], v[20:21], v[6:7]
	ds_bpermute_b32 v20, v36, v6
	s_waitcnt lgkmcnt(3)
	v_pk_add_f32 v[18:19], v[18:19], v[10:11]
	ds_bpermute_b32 v21, v36, v7
	ds_bpermute_b32 v24, v36, v18
	;; [unrolled: 1-line block ×3, first 2 shown]
	s_waitcnt lgkmcnt(4)
	v_pk_add_f32 v[10:11], v[0:1], v[4:5]
	ds_bpermute_b32 v4, v36, v2
	ds_bpermute_b32 v5, v36, v3
	s_waitcnt lgkmcnt(4)
	v_pk_add_f32 v[6:7], v[6:7], v[20:21]
	s_waitcnt lgkmcnt(2)
	v_pk_add_f32 v[0:1], v[18:19], v[24:25]
	s_waitcnt vmcnt(0)
	v_and_b32_e32 v12, 0x3c3, v13
	v_cmp_ne_u32_e32 vcc, 64, v12
	s_and_saveexec_b64 s[4:5], vcc
	s_xor_b64 s[4:5], exec, s[4:5]
; %bb.621:
                                        ; implicit-def: $vgpr12
                                        ; kill: killed $vgpr12
; %bb.622:
	s_or_saveexec_b64 s[4:5], s[4:5]
	s_waitcnt lgkmcnt(0)
	v_pk_add_f32 v[2:3], v[2:3], v[4:5]
	s_xor_b64 exec, exec, s[4:5]
	s_cbranch_execz .LBB189_624
; %bb.623:
	scratch_load_dword v4, off, s32 offset:480 ; 4-byte Folded Reload
	s_ashr_i32 s23, s22, 31
	s_lshl_b64 s[6:7], s[22:23], 2
	s_getpc_b64 s[8:9]
	s_add_u32 s8, s8, llvm.amdgcn.dynlds.offset.table@rel32@lo+4
	s_addc_u32 s9, s9, llvm.amdgcn.dynlds.offset.table@rel32@hi+12
	s_add_u32 s6, s6, s8
	s_addc_u32 s7, s7, s9
	s_load_dword s6, s[6:7], 0x0
	s_waitcnt vmcnt(0) lgkmcnt(0)
	v_add_u32_e32 v4, s6, v4
	ds_write2_b32 v4, v22, v23 offset1:16
	ds_write2_b32 v4, v16, v17 offset0:32 offset1:48
	ds_write2_b32 v4, v14, v15 offset0:64 offset1:80
	;; [unrolled: 1-line block ×7, first 2 shown]
.LBB189_624:
	s_or_b64 exec, exec, s[4:5]
	s_waitcnt lgkmcnt(0)
	s_barrier
	s_and_saveexec_b64 s[4:5], s[2:3]
	s_xor_b64 s[2:3], exec, s[4:5]
	s_andn2_saveexec_b64 s[2:3], s[2:3]
	s_cbranch_execz .LBB189_643
; %bb.625:
	scratch_load_dword v4, off, s32 offset:476 ; 4-byte Folded Reload
	s_waitcnt vmcnt(0)
	v_cmp_eq_u32_e32 vcc, 0, v4
	v_lshrrev_b32_e32 v4, 2, v13
	s_and_saveexec_b64 s[4:5], vcc
	s_cbranch_execnz .LBB189_711
; %bb.626:
	s_or_b64 exec, exec, s[4:5]
	s_and_saveexec_b64 s[4:5], vcc
	s_cbranch_execnz .LBB189_712
.LBB189_627:
	s_or_b64 exec, exec, s[4:5]
	s_and_saveexec_b64 s[4:5], vcc
	s_cbranch_execnz .LBB189_713
.LBB189_628:
	s_or_b64 exec, exec, s[4:5]
	s_and_saveexec_b64 s[4:5], vcc
	s_cbranch_execnz .LBB189_714
.LBB189_629:
	s_or_b64 exec, exec, s[4:5]
	s_and_saveexec_b64 s[4:5], vcc
	s_cbranch_execnz .LBB189_715
.LBB189_630:
	s_or_b64 exec, exec, s[4:5]
	s_and_saveexec_b64 s[4:5], vcc
	s_cbranch_execnz .LBB189_716
.LBB189_631:
	s_or_b64 exec, exec, s[4:5]
	s_and_saveexec_b64 s[4:5], vcc
	s_cbranch_execnz .LBB189_717
.LBB189_632:
	s_or_b64 exec, exec, s[4:5]
	s_and_saveexec_b64 s[4:5], vcc
	s_cbranch_execnz .LBB189_718
.LBB189_633:
	s_or_b64 exec, exec, s[4:5]
	s_and_saveexec_b64 s[4:5], vcc
	s_cbranch_execnz .LBB189_719
.LBB189_634:
	s_or_b64 exec, exec, s[4:5]
	s_and_saveexec_b64 s[4:5], vcc
	s_cbranch_execnz .LBB189_720
.LBB189_635:
	s_or_b64 exec, exec, s[4:5]
	s_and_saveexec_b64 s[4:5], vcc
	s_cbranch_execnz .LBB189_721
.LBB189_636:
	s_or_b64 exec, exec, s[4:5]
	s_and_saveexec_b64 s[4:5], vcc
	s_cbranch_execnz .LBB189_722
.LBB189_637:
	s_or_b64 exec, exec, s[4:5]
	s_and_saveexec_b64 s[4:5], vcc
	s_cbranch_execnz .LBB189_723
.LBB189_638:
	s_or_b64 exec, exec, s[4:5]
	s_and_saveexec_b64 s[4:5], vcc
	s_cbranch_execnz .LBB189_724
.LBB189_639:
	s_or_b64 exec, exec, s[4:5]
	s_and_saveexec_b64 s[4:5], vcc
	s_cbranch_execnz .LBB189_725
.LBB189_640:
	s_or_b64 exec, exec, s[4:5]
	s_and_saveexec_b64 s[4:5], vcc
	s_cbranch_execz .LBB189_642
.LBB189_641:
	s_ashr_i32 s23, s22, 31
	s_lshl_b64 s[6:7], s[22:23], 2
	s_getpc_b64 s[8:9]
	s_add_u32 s8, s8, llvm.amdgcn.dynlds.offset.table@rel32@lo+4
	s_addc_u32 s9, s9, llvm.amdgcn.dynlds.offset.table@rel32@hi+12
	s_add_u32 s6, s6, s8
	s_addc_u32 s7, s7, s9
	s_load_dword s6, s[6:7], 0x0
	s_waitcnt lgkmcnt(0)
	v_lshl_add_u32 v4, v4, 2, s6
	ds_read_b32 v4, v4 offset:960
	s_waitcnt lgkmcnt(0)
	v_add_f32_e32 v3, v4, v3
.LBB189_642:
	s_or_b64 exec, exec, s[4:5]
.LBB189_643:
	s_or_b64 exec, exec, s[2:3]
	s_barrier
	s_and_b64 exec, exec, s[0:1]
	s_cbranch_execz .LBB189_710
; %bb.644:
	scratch_load_dword v4, off, s32 offset:476 ; 4-byte Folded Reload
	s_waitcnt vmcnt(0)
	v_cmp_eq_u32_e32 vcc, 0, v4
	s_and_b64 exec, exec, vcc
	s_cbranch_execz .LBB189_710
; %bb.645:
	s_mov_b32 s0, 0x7f800000
	v_and_b32_e32 v4, 0x7f800000, v22
	v_cmp_ne_u32_e32 vcc, s0, v4
                                        ; implicit-def: $vgpr12
	s_and_saveexec_b64 s[0:1], vcc
	s_xor_b64 s[0:1], exec, s[0:1]
; %bb.646:
	v_bfe_u32 v4, v22, 16, 1
	s_movk_i32 s2, 0x7fff
	v_add3_u32 v12, v22, v4, s2
; %bb.647:
	s_andn2_saveexec_b64 s[0:1], s[0:1]
; %bb.648:
	v_mov_b32_e32 v4, 0
	v_or_b32_e32 v5, 0x10000, v22
	v_cmp_eq_u32_sdwa vcc, v22, v4 src0_sel:WORD_0 src1_sel:DWORD
	s_nop 1
	v_cndmask_b32_e32 v12, v5, v22, vcc
; %bb.649:
	s_or_b64 exec, exec, s[0:1]
	s_mul_i32 s0, s13, s18
	s_mul_i32 s0, s0, s19
	s_lshl_b32 s0, s0, 8
	s_mul_i32 s2, s20, s13
	s_lshl_b32 s4, s14, 8
	s_ashr_i32 s1, s0, 31
	s_ashr_i32 s3, s2, 31
	;; [unrolled: 1-line block ×3, first 2 shown]
	s_lshl_b64 s[0:1], s[0:1], 1
	s_lshl_b64 s[2:3], s[2:3], 1
	s_lshl_b64 s[4:5], s[4:5], 1
	s_add_u32 s2, s4, s2
	s_addc_u32 s3, s5, s3
	s_add_u32 s0, s2, s0
	s_addc_u32 s1, s3, s1
	v_lshrrev_b32_e32 v13, 1, v13
	v_lshl_add_u64 v[4:5], s[0:1], 0, v[34:35]
	v_and_b32_e32 v18, 0x1fe, v13
	v_mov_b32_e32 v19, 0
	v_lshl_add_u64 v[4:5], v[4:5], 0, v[18:19]
	flat_store_short_d16_hi v[4:5], v12
	s_mov_b32 s0, 0x7f800000
	v_and_b32_e32 v12, 0x7f800000, v23
	v_cmp_ne_u32_e32 vcc, s0, v12
                                        ; implicit-def: $vgpr12
	s_and_saveexec_b64 s[0:1], vcc
	s_xor_b64 s[0:1], exec, s[0:1]
; %bb.650:
	v_bfe_u32 v12, v23, 16, 1
	s_movk_i32 s2, 0x7fff
	v_add3_u32 v12, v23, v12, s2
                                        ; implicit-def: $vgpr22_vgpr23
; %bb.651:
	s_andn2_saveexec_b64 s[0:1], s[0:1]
; %bb.652:
	v_mov_b32_e32 v12, 0
	v_or_b32_e32 v13, 0x10000, v23
	v_cmp_eq_u32_sdwa vcc, v23, v12 src0_sel:WORD_0 src1_sel:DWORD
	s_nop 1
	v_cndmask_b32_e32 v12, v13, v23, vcc
; %bb.653:
	s_or_b64 exec, exec, s[0:1]
	flat_store_short_d16_hi v[4:5], v12 offset:32
	s_mov_b32 s0, 0x7f800000
	v_and_b32_e32 v12, 0x7f800000, v16
	v_cmp_ne_u32_e32 vcc, s0, v12
                                        ; implicit-def: $vgpr12
	s_and_saveexec_b64 s[0:1], vcc
	s_xor_b64 s[0:1], exec, s[0:1]
; %bb.654:
	v_bfe_u32 v12, v16, 16, 1
	s_movk_i32 s2, 0x7fff
	v_add3_u32 v12, v16, v12, s2
; %bb.655:
	s_andn2_saveexec_b64 s[0:1], s[0:1]
; %bb.656:
	v_mov_b32_e32 v12, 0
	v_or_b32_e32 v13, 0x10000, v16
	v_cmp_eq_u32_sdwa vcc, v16, v12 src0_sel:WORD_0 src1_sel:DWORD
	s_nop 1
	v_cndmask_b32_e32 v12, v13, v16, vcc
; %bb.657:
	s_or_b64 exec, exec, s[0:1]
	flat_store_short_d16_hi v[4:5], v12 offset:64
	s_mov_b32 s0, 0x7f800000
	v_and_b32_e32 v12, 0x7f800000, v17
	v_cmp_ne_u32_e32 vcc, s0, v12
                                        ; implicit-def: $vgpr12
	s_and_saveexec_b64 s[0:1], vcc
	s_xor_b64 s[0:1], exec, s[0:1]
; %bb.658:
	v_bfe_u32 v12, v17, 16, 1
	s_movk_i32 s2, 0x7fff
	v_add3_u32 v12, v17, v12, s2
                                        ; implicit-def: $vgpr16_vgpr17
; %bb.659:
	s_andn2_saveexec_b64 s[0:1], s[0:1]
; %bb.660:
	v_mov_b32_e32 v12, 0
	v_or_b32_e32 v13, 0x10000, v17
	v_cmp_eq_u32_sdwa vcc, v17, v12 src0_sel:WORD_0 src1_sel:DWORD
	s_nop 1
	v_cndmask_b32_e32 v12, v13, v17, vcc
; %bb.661:
	s_or_b64 exec, exec, s[0:1]
	flat_store_short_d16_hi v[4:5], v12 offset:96
	s_mov_b32 s0, 0x7f800000
	v_and_b32_e32 v12, 0x7f800000, v14
	v_cmp_ne_u32_e32 vcc, s0, v12
                                        ; implicit-def: $vgpr12
	s_and_saveexec_b64 s[0:1], vcc
	s_xor_b64 s[0:1], exec, s[0:1]
; %bb.662:
	v_bfe_u32 v12, v14, 16, 1
	s_movk_i32 s2, 0x7fff
	v_add3_u32 v12, v14, v12, s2
; %bb.663:
	s_andn2_saveexec_b64 s[0:1], s[0:1]
; %bb.664:
	v_mov_b32_e32 v12, 0
	v_or_b32_e32 v13, 0x10000, v14
	v_cmp_eq_u32_sdwa vcc, v14, v12 src0_sel:WORD_0 src1_sel:DWORD
	s_nop 1
	v_cndmask_b32_e32 v12, v13, v14, vcc
; %bb.665:
	s_or_b64 exec, exec, s[0:1]
	flat_store_short_d16_hi v[4:5], v12 offset:128
	s_mov_b32 s0, 0x7f800000
	v_and_b32_e32 v12, 0x7f800000, v15
	v_cmp_ne_u32_e32 vcc, s0, v12
                                        ; implicit-def: $vgpr12
	s_and_saveexec_b64 s[0:1], vcc
	s_xor_b64 s[0:1], exec, s[0:1]
; %bb.666:
	v_bfe_u32 v12, v15, 16, 1
	s_movk_i32 s2, 0x7fff
	v_add3_u32 v12, v15, v12, s2
                                        ; implicit-def: $vgpr14_vgpr15
; %bb.667:
	s_andn2_saveexec_b64 s[0:1], s[0:1]
; %bb.668:
	v_mov_b32_e32 v12, 0
	v_or_b32_e32 v13, 0x10000, v15
	v_cmp_eq_u32_sdwa vcc, v15, v12 src0_sel:WORD_0 src1_sel:DWORD
	s_nop 1
	v_cndmask_b32_e32 v12, v13, v15, vcc
; %bb.669:
	s_or_b64 exec, exec, s[0:1]
	flat_store_short_d16_hi v[4:5], v12 offset:160
	s_mov_b32 s0, 0x7f800000
	v_and_b32_e32 v12, 0x7f800000, v10
	v_cmp_ne_u32_e32 vcc, s0, v12
                                        ; implicit-def: $vgpr12
	s_and_saveexec_b64 s[0:1], vcc
	s_xor_b64 s[0:1], exec, s[0:1]
; %bb.670:
	v_bfe_u32 v12, v10, 16, 1
	s_movk_i32 s2, 0x7fff
	v_add3_u32 v12, v10, v12, s2
; %bb.671:
	s_andn2_saveexec_b64 s[0:1], s[0:1]
; %bb.672:
	v_mov_b32_e32 v12, 0
	v_or_b32_e32 v13, 0x10000, v10
	v_cmp_eq_u32_sdwa vcc, v10, v12 src0_sel:WORD_0 src1_sel:DWORD
	s_nop 1
	v_cndmask_b32_e32 v12, v13, v10, vcc
; %bb.673:
	s_or_b64 exec, exec, s[0:1]
	s_mov_b32 s0, 0x7f800000
	v_and_b32_e32 v10, 0x7f800000, v11
	v_cmp_ne_u32_e32 vcc, s0, v10
	flat_store_short_d16_hi v[4:5], v12 offset:192
                                        ; implicit-def: $vgpr12
	s_and_saveexec_b64 s[0:1], vcc
	s_xor_b64 s[0:1], exec, s[0:1]
; %bb.674:
	v_bfe_u32 v10, v11, 16, 1
	s_movk_i32 s2, 0x7fff
	v_add3_u32 v12, v11, v10, s2
                                        ; implicit-def: $vgpr10_vgpr11
; %bb.675:
	s_andn2_saveexec_b64 s[0:1], s[0:1]
; %bb.676:
	v_mov_b32_e32 v10, 0
	v_or_b32_e32 v12, 0x10000, v11
	v_cmp_eq_u32_sdwa vcc, v11, v10 src0_sel:WORD_0 src1_sel:DWORD
	s_nop 1
	v_cndmask_b32_e32 v12, v12, v11, vcc
; %bb.677:
	s_or_b64 exec, exec, s[0:1]
	s_mov_b32 s0, 0x7f800000
	v_and_b32_e32 v10, 0x7f800000, v8
	v_cmp_ne_u32_e32 vcc, s0, v10
	flat_store_short_d16_hi v[4:5], v12 offset:224
                                        ; implicit-def: $vgpr10
	s_and_saveexec_b64 s[0:1], vcc
	s_xor_b64 s[0:1], exec, s[0:1]
; %bb.678:
	v_bfe_u32 v10, v8, 16, 1
	s_movk_i32 s2, 0x7fff
	v_add3_u32 v10, v8, v10, s2
; %bb.679:
	s_andn2_saveexec_b64 s[0:1], s[0:1]
; %bb.680:
	v_mov_b32_e32 v10, 0
	v_or_b32_e32 v11, 0x10000, v8
	v_cmp_eq_u32_sdwa vcc, v8, v10 src0_sel:WORD_0 src1_sel:DWORD
	s_nop 1
	v_cndmask_b32_e32 v10, v11, v8, vcc
; %bb.681:
	s_or_b64 exec, exec, s[0:1]
	s_mov_b32 s0, 0x7f800000
	v_and_b32_e32 v8, 0x7f800000, v9
	v_cmp_ne_u32_e32 vcc, s0, v8
	flat_store_short_d16_hi v[4:5], v10 offset:256
                                        ; implicit-def: $vgpr10
	s_and_saveexec_b64 s[0:1], vcc
	s_xor_b64 s[0:1], exec, s[0:1]
; %bb.682:
	v_bfe_u32 v8, v9, 16, 1
	s_movk_i32 s2, 0x7fff
	v_add3_u32 v10, v9, v8, s2
                                        ; implicit-def: $vgpr8_vgpr9
; %bb.683:
	s_andn2_saveexec_b64 s[0:1], s[0:1]
; %bb.684:
	v_mov_b32_e32 v8, 0
	v_or_b32_e32 v10, 0x10000, v9
	v_cmp_eq_u32_sdwa vcc, v9, v8 src0_sel:WORD_0 src1_sel:DWORD
	s_nop 1
	v_cndmask_b32_e32 v10, v10, v9, vcc
; %bb.685:
	s_or_b64 exec, exec, s[0:1]
	s_mov_b32 s0, 0x7f800000
	v_and_b32_e32 v8, 0x7f800000, v6
	v_cmp_ne_u32_e32 vcc, s0, v8
	flat_store_short_d16_hi v[4:5], v10 offset:288
                                        ; implicit-def: $vgpr8
	s_and_saveexec_b64 s[0:1], vcc
	s_xor_b64 s[0:1], exec, s[0:1]
; %bb.686:
	v_bfe_u32 v8, v6, 16, 1
	s_movk_i32 s2, 0x7fff
	v_add3_u32 v8, v6, v8, s2
; %bb.687:
	s_andn2_saveexec_b64 s[0:1], s[0:1]
; %bb.688:
	v_mov_b32_e32 v8, 0
	v_or_b32_e32 v9, 0x10000, v6
	v_cmp_eq_u32_sdwa vcc, v6, v8 src0_sel:WORD_0 src1_sel:DWORD
	s_nop 1
	v_cndmask_b32_e32 v8, v9, v6, vcc
; %bb.689:
	s_or_b64 exec, exec, s[0:1]
	s_mov_b32 s0, 0x7f800000
	v_and_b32_e32 v6, 0x7f800000, v7
	v_cmp_ne_u32_e32 vcc, s0, v6
	flat_store_short_d16_hi v[4:5], v8 offset:320
                                        ; implicit-def: $vgpr8
	s_and_saveexec_b64 s[0:1], vcc
	s_xor_b64 s[0:1], exec, s[0:1]
; %bb.690:
	v_bfe_u32 v6, v7, 16, 1
	s_movk_i32 s2, 0x7fff
	v_add3_u32 v8, v7, v6, s2
                                        ; implicit-def: $vgpr6_vgpr7
; %bb.691:
	s_andn2_saveexec_b64 s[0:1], s[0:1]
; %bb.692:
	v_mov_b32_e32 v6, 0
	v_or_b32_e32 v8, 0x10000, v7
	v_cmp_eq_u32_sdwa vcc, v7, v6 src0_sel:WORD_0 src1_sel:DWORD
	s_nop 1
	v_cndmask_b32_e32 v8, v8, v7, vcc
; %bb.693:
	s_or_b64 exec, exec, s[0:1]
	s_mov_b32 s0, 0x7f800000
	v_and_b32_e32 v6, 0x7f800000, v0
	v_cmp_ne_u32_e32 vcc, s0, v6
	flat_store_short_d16_hi v[4:5], v8 offset:352
                                        ; implicit-def: $vgpr6
	s_and_saveexec_b64 s[0:1], vcc
	s_xor_b64 s[0:1], exec, s[0:1]
; %bb.694:
	v_bfe_u32 v6, v0, 16, 1
	s_movk_i32 s2, 0x7fff
	v_add3_u32 v6, v0, v6, s2
; %bb.695:
	s_andn2_saveexec_b64 s[0:1], s[0:1]
; %bb.696:
	v_mov_b32_e32 v6, 0
	v_or_b32_e32 v7, 0x10000, v0
	v_cmp_eq_u32_sdwa vcc, v0, v6 src0_sel:WORD_0 src1_sel:DWORD
	s_nop 1
	v_cndmask_b32_e32 v6, v7, v0, vcc
; %bb.697:
	s_or_b64 exec, exec, s[0:1]
	s_mov_b32 s0, 0x7f800000
	v_and_b32_e32 v0, 0x7f800000, v1
	v_cmp_ne_u32_e32 vcc, s0, v0
	flat_store_short_d16_hi v[4:5], v6 offset:384
                                        ; implicit-def: $vgpr6
	s_and_saveexec_b64 s[0:1], vcc
	s_xor_b64 s[0:1], exec, s[0:1]
; %bb.698:
	v_bfe_u32 v0, v1, 16, 1
	s_movk_i32 s2, 0x7fff
	v_add3_u32 v6, v1, v0, s2
                                        ; implicit-def: $vgpr0_vgpr1
; %bb.699:
	s_andn2_saveexec_b64 s[0:1], s[0:1]
; %bb.700:
	v_mov_b32_e32 v0, 0
	v_or_b32_e32 v6, 0x10000, v1
	v_cmp_eq_u32_sdwa vcc, v1, v0 src0_sel:WORD_0 src1_sel:DWORD
	s_nop 1
	v_cndmask_b32_e32 v6, v6, v1, vcc
; %bb.701:
	s_or_b64 exec, exec, s[0:1]
	s_mov_b32 s0, 0x7f800000
	v_and_b32_e32 v0, 0x7f800000, v2
	v_cmp_ne_u32_e32 vcc, s0, v0
	flat_store_short_d16_hi v[4:5], v6 offset:416
                                        ; implicit-def: $vgpr0
	s_and_saveexec_b64 s[0:1], vcc
	s_xor_b64 s[0:1], exec, s[0:1]
; %bb.702:
	v_bfe_u32 v0, v2, 16, 1
	s_movk_i32 s2, 0x7fff
	v_add3_u32 v0, v2, v0, s2
; %bb.703:
	s_andn2_saveexec_b64 s[0:1], s[0:1]
; %bb.704:
	v_mov_b32_e32 v0, 0
	v_or_b32_e32 v1, 0x10000, v2
	v_cmp_eq_u32_sdwa vcc, v2, v0 src0_sel:WORD_0 src1_sel:DWORD
	s_nop 1
	v_cndmask_b32_e32 v0, v1, v2, vcc
; %bb.705:
	s_or_b64 exec, exec, s[0:1]
	flat_store_short_d16_hi v[4:5], v0 offset:448
	s_mov_b32 s0, 0x7f800000
	v_and_b32_e32 v0, 0x7f800000, v3
	v_cmp_ne_u32_e32 vcc, s0, v0
                                        ; implicit-def: $vgpr0
	s_and_saveexec_b64 s[0:1], vcc
	s_xor_b64 s[0:1], exec, s[0:1]
; %bb.706:
	v_bfe_u32 v0, v3, 16, 1
	s_movk_i32 s2, 0x7fff
	v_add3_u32 v0, v3, v0, s2
                                        ; implicit-def: $vgpr2_vgpr3
; %bb.707:
	s_andn2_saveexec_b64 s[0:1], s[0:1]
; %bb.708:
	v_mov_b32_e32 v0, 0
	v_or_b32_e32 v1, 0x10000, v3
	v_cmp_eq_u32_sdwa vcc, v3, v0 src0_sel:WORD_0 src1_sel:DWORD
	s_nop 1
	v_cndmask_b32_e32 v0, v1, v3, vcc
; %bb.709:
	s_or_b64 exec, exec, s[0:1]
	flat_store_short_d16_hi v[4:5], v0 offset:480
.LBB189_710:
	s_or_b64 exec, exec, s[16:17]
	scratch_load_dword a63, off, s32        ; 4-byte Folded Reload
	scratch_load_dword a62, off, s32 offset:4 ; 4-byte Folded Reload
	scratch_load_dword a61, off, s32 offset:8 ; 4-byte Folded Reload
	;; [unrolled: 1-line block ×46, first 2 shown]
	v_readlane_b32 s30, v63, 1
	v_readlane_b32 s31, v63, 2
	;; [unrolled: 1-line block ×3, first 2 shown]
	s_or_saveexec_b64 s[0:1], -1
	scratch_load_dword v63, off, s32 offset:672 ; 4-byte Folded Reload
	s_mov_b64 exec, s[0:1]
	s_waitcnt vmcnt(0) lgkmcnt(0)
	s_setpc_b64 s[30:31]
.LBB189_711:
	s_ashr_i32 s23, s22, 31
	s_lshl_b64 s[6:7], s[22:23], 2
	s_getpc_b64 s[8:9]
	s_add_u32 s8, s8, llvm.amdgcn.dynlds.offset.table@rel32@lo+4
	s_addc_u32 s9, s9, llvm.amdgcn.dynlds.offset.table@rel32@hi+12
	s_add_u32 s6, s6, s8
	s_addc_u32 s7, s7, s9
	s_load_dword s6, s[6:7], 0x0
	s_waitcnt lgkmcnt(0)
	v_lshl_add_u32 v5, v4, 2, s6
	ds_read_b32 v5, v5
	s_waitcnt lgkmcnt(0)
	v_add_f32_e32 v22, v5, v22
	s_or_b64 exec, exec, s[4:5]
	s_and_saveexec_b64 s[4:5], vcc
	s_cbranch_execz .LBB189_627
.LBB189_712:
	s_ashr_i32 s23, s22, 31
	s_lshl_b64 s[6:7], s[22:23], 2
	s_getpc_b64 s[8:9]
	s_add_u32 s8, s8, llvm.amdgcn.dynlds.offset.table@rel32@lo+4
	s_addc_u32 s9, s9, llvm.amdgcn.dynlds.offset.table@rel32@hi+12
	s_add_u32 s6, s6, s8
	s_addc_u32 s7, s7, s9
	s_load_dword s6, s[6:7], 0x0
	s_waitcnt lgkmcnt(0)
	v_lshl_add_u32 v5, v4, 2, s6
	ds_read_b32 v5, v5 offset:64
	s_waitcnt lgkmcnt(0)
	v_add_f32_e32 v23, v5, v23
	s_or_b64 exec, exec, s[4:5]
	s_and_saveexec_b64 s[4:5], vcc
	s_cbranch_execz .LBB189_628
.LBB189_713:
	s_ashr_i32 s23, s22, 31
	s_lshl_b64 s[6:7], s[22:23], 2
	s_getpc_b64 s[8:9]
	s_add_u32 s8, s8, llvm.amdgcn.dynlds.offset.table@rel32@lo+4
	s_addc_u32 s9, s9, llvm.amdgcn.dynlds.offset.table@rel32@hi+12
	s_add_u32 s6, s6, s8
	s_addc_u32 s7, s7, s9
	s_load_dword s6, s[6:7], 0x0
	s_waitcnt lgkmcnt(0)
	v_lshl_add_u32 v5, v4, 2, s6
	ds_read_b32 v5, v5 offset:128
	s_waitcnt lgkmcnt(0)
	v_add_f32_e32 v16, v5, v16
	s_or_b64 exec, exec, s[4:5]
	s_and_saveexec_b64 s[4:5], vcc
	s_cbranch_execz .LBB189_629
.LBB189_714:
	s_ashr_i32 s23, s22, 31
	s_lshl_b64 s[6:7], s[22:23], 2
	s_getpc_b64 s[8:9]
	s_add_u32 s8, s8, llvm.amdgcn.dynlds.offset.table@rel32@lo+4
	s_addc_u32 s9, s9, llvm.amdgcn.dynlds.offset.table@rel32@hi+12
	s_add_u32 s6, s6, s8
	s_addc_u32 s7, s7, s9
	s_load_dword s6, s[6:7], 0x0
	s_waitcnt lgkmcnt(0)
	v_lshl_add_u32 v5, v4, 2, s6
	ds_read_b32 v5, v5 offset:192
	s_waitcnt lgkmcnt(0)
	v_add_f32_e32 v17, v5, v17
	s_or_b64 exec, exec, s[4:5]
	s_and_saveexec_b64 s[4:5], vcc
	s_cbranch_execz .LBB189_630
.LBB189_715:
	s_ashr_i32 s23, s22, 31
	s_lshl_b64 s[6:7], s[22:23], 2
	s_getpc_b64 s[8:9]
	s_add_u32 s8, s8, llvm.amdgcn.dynlds.offset.table@rel32@lo+4
	s_addc_u32 s9, s9, llvm.amdgcn.dynlds.offset.table@rel32@hi+12
	s_add_u32 s6, s6, s8
	s_addc_u32 s7, s7, s9
	s_load_dword s6, s[6:7], 0x0
	s_waitcnt lgkmcnt(0)
	v_lshl_add_u32 v5, v4, 2, s6
	ds_read_b32 v5, v5 offset:256
	s_waitcnt lgkmcnt(0)
	v_add_f32_e32 v14, v5, v14
	s_or_b64 exec, exec, s[4:5]
	s_and_saveexec_b64 s[4:5], vcc
	s_cbranch_execz .LBB189_631
.LBB189_716:
	s_ashr_i32 s23, s22, 31
	s_lshl_b64 s[6:7], s[22:23], 2
	s_getpc_b64 s[8:9]
	s_add_u32 s8, s8, llvm.amdgcn.dynlds.offset.table@rel32@lo+4
	s_addc_u32 s9, s9, llvm.amdgcn.dynlds.offset.table@rel32@hi+12
	s_add_u32 s6, s6, s8
	s_addc_u32 s7, s7, s9
	s_load_dword s6, s[6:7], 0x0
	s_waitcnt lgkmcnt(0)
	v_lshl_add_u32 v5, v4, 2, s6
	ds_read_b32 v5, v5 offset:320
	s_waitcnt lgkmcnt(0)
	v_add_f32_e32 v15, v5, v15
	s_or_b64 exec, exec, s[4:5]
	s_and_saveexec_b64 s[4:5], vcc
	s_cbranch_execz .LBB189_632
.LBB189_717:
	s_ashr_i32 s23, s22, 31
	s_lshl_b64 s[6:7], s[22:23], 2
	s_getpc_b64 s[8:9]
	s_add_u32 s8, s8, llvm.amdgcn.dynlds.offset.table@rel32@lo+4
	s_addc_u32 s9, s9, llvm.amdgcn.dynlds.offset.table@rel32@hi+12
	s_add_u32 s6, s6, s8
	s_addc_u32 s7, s7, s9
	s_load_dword s6, s[6:7], 0x0
	s_waitcnt lgkmcnt(0)
	v_lshl_add_u32 v5, v4, 2, s6
	ds_read_b32 v5, v5 offset:384
	s_waitcnt lgkmcnt(0)
	v_add_f32_e32 v10, v5, v10
	s_or_b64 exec, exec, s[4:5]
	s_and_saveexec_b64 s[4:5], vcc
	s_cbranch_execz .LBB189_633
.LBB189_718:
	s_ashr_i32 s23, s22, 31
	s_lshl_b64 s[6:7], s[22:23], 2
	s_getpc_b64 s[8:9]
	s_add_u32 s8, s8, llvm.amdgcn.dynlds.offset.table@rel32@lo+4
	s_addc_u32 s9, s9, llvm.amdgcn.dynlds.offset.table@rel32@hi+12
	s_add_u32 s6, s6, s8
	s_addc_u32 s7, s7, s9
	s_load_dword s6, s[6:7], 0x0
	s_waitcnt lgkmcnt(0)
	v_lshl_add_u32 v5, v4, 2, s6
	ds_read_b32 v5, v5 offset:448
	s_waitcnt lgkmcnt(0)
	v_add_f32_e32 v11, v5, v11
	s_or_b64 exec, exec, s[4:5]
	s_and_saveexec_b64 s[4:5], vcc
	s_cbranch_execz .LBB189_634
.LBB189_719:
	s_ashr_i32 s23, s22, 31
	s_lshl_b64 s[6:7], s[22:23], 2
	s_getpc_b64 s[8:9]
	s_add_u32 s8, s8, llvm.amdgcn.dynlds.offset.table@rel32@lo+4
	s_addc_u32 s9, s9, llvm.amdgcn.dynlds.offset.table@rel32@hi+12
	s_add_u32 s6, s6, s8
	s_addc_u32 s7, s7, s9
	s_load_dword s6, s[6:7], 0x0
	s_waitcnt lgkmcnt(0)
	v_lshl_add_u32 v5, v4, 2, s6
	ds_read_b32 v5, v5 offset:512
	s_waitcnt lgkmcnt(0)
	v_add_f32_e32 v8, v5, v8
	s_or_b64 exec, exec, s[4:5]
	s_and_saveexec_b64 s[4:5], vcc
	s_cbranch_execz .LBB189_635
.LBB189_720:
	s_ashr_i32 s23, s22, 31
	s_lshl_b64 s[6:7], s[22:23], 2
	s_getpc_b64 s[8:9]
	s_add_u32 s8, s8, llvm.amdgcn.dynlds.offset.table@rel32@lo+4
	s_addc_u32 s9, s9, llvm.amdgcn.dynlds.offset.table@rel32@hi+12
	s_add_u32 s6, s6, s8
	s_addc_u32 s7, s7, s9
	s_load_dword s6, s[6:7], 0x0
	s_waitcnt lgkmcnt(0)
	v_lshl_add_u32 v5, v4, 2, s6
	ds_read_b32 v5, v5 offset:576
	s_waitcnt lgkmcnt(0)
	v_add_f32_e32 v9, v5, v9
	s_or_b64 exec, exec, s[4:5]
	s_and_saveexec_b64 s[4:5], vcc
	s_cbranch_execz .LBB189_636
.LBB189_721:
	s_ashr_i32 s23, s22, 31
	s_lshl_b64 s[6:7], s[22:23], 2
	s_getpc_b64 s[8:9]
	s_add_u32 s8, s8, llvm.amdgcn.dynlds.offset.table@rel32@lo+4
	s_addc_u32 s9, s9, llvm.amdgcn.dynlds.offset.table@rel32@hi+12
	s_add_u32 s6, s6, s8
	s_addc_u32 s7, s7, s9
	s_load_dword s6, s[6:7], 0x0
	s_waitcnt lgkmcnt(0)
	v_lshl_add_u32 v5, v4, 2, s6
	ds_read_b32 v5, v5 offset:640
	s_waitcnt lgkmcnt(0)
	v_add_f32_e32 v6, v5, v6
	s_or_b64 exec, exec, s[4:5]
	s_and_saveexec_b64 s[4:5], vcc
	s_cbranch_execz .LBB189_637
.LBB189_722:
	s_ashr_i32 s23, s22, 31
	s_lshl_b64 s[6:7], s[22:23], 2
	s_getpc_b64 s[8:9]
	s_add_u32 s8, s8, llvm.amdgcn.dynlds.offset.table@rel32@lo+4
	s_addc_u32 s9, s9, llvm.amdgcn.dynlds.offset.table@rel32@hi+12
	s_add_u32 s6, s6, s8
	s_addc_u32 s7, s7, s9
	s_load_dword s6, s[6:7], 0x0
	s_waitcnt lgkmcnt(0)
	v_lshl_add_u32 v5, v4, 2, s6
	ds_read_b32 v5, v5 offset:704
	s_waitcnt lgkmcnt(0)
	v_add_f32_e32 v7, v5, v7
	s_or_b64 exec, exec, s[4:5]
	s_and_saveexec_b64 s[4:5], vcc
	s_cbranch_execz .LBB189_638
.LBB189_723:
	s_ashr_i32 s23, s22, 31
	s_lshl_b64 s[6:7], s[22:23], 2
	s_getpc_b64 s[8:9]
	s_add_u32 s8, s8, llvm.amdgcn.dynlds.offset.table@rel32@lo+4
	s_addc_u32 s9, s9, llvm.amdgcn.dynlds.offset.table@rel32@hi+12
	s_add_u32 s6, s6, s8
	s_addc_u32 s7, s7, s9
	s_load_dword s6, s[6:7], 0x0
	s_waitcnt lgkmcnt(0)
	v_lshl_add_u32 v5, v4, 2, s6
	ds_read_b32 v5, v5 offset:768
	s_waitcnt lgkmcnt(0)
	v_add_f32_e32 v0, v5, v0
	s_or_b64 exec, exec, s[4:5]
	s_and_saveexec_b64 s[4:5], vcc
	s_cbranch_execz .LBB189_639
.LBB189_724:
	s_ashr_i32 s23, s22, 31
	s_lshl_b64 s[6:7], s[22:23], 2
	s_getpc_b64 s[8:9]
	s_add_u32 s8, s8, llvm.amdgcn.dynlds.offset.table@rel32@lo+4
	s_addc_u32 s9, s9, llvm.amdgcn.dynlds.offset.table@rel32@hi+12
	s_add_u32 s6, s6, s8
	s_addc_u32 s7, s7, s9
	s_load_dword s6, s[6:7], 0x0
	s_waitcnt lgkmcnt(0)
	v_lshl_add_u32 v5, v4, 2, s6
	ds_read_b32 v5, v5 offset:832
	s_waitcnt lgkmcnt(0)
	v_add_f32_e32 v1, v5, v1
	s_or_b64 exec, exec, s[4:5]
	s_and_saveexec_b64 s[4:5], vcc
	s_cbranch_execz .LBB189_640
.LBB189_725:
	s_ashr_i32 s23, s22, 31
	s_lshl_b64 s[6:7], s[22:23], 2
	s_getpc_b64 s[8:9]
	s_add_u32 s8, s8, llvm.amdgcn.dynlds.offset.table@rel32@lo+4
	s_addc_u32 s9, s9, llvm.amdgcn.dynlds.offset.table@rel32@hi+12
	s_add_u32 s6, s6, s8
	s_addc_u32 s7, s7, s9
	s_load_dword s6, s[6:7], 0x0
	s_waitcnt lgkmcnt(0)
	v_lshl_add_u32 v5, v4, 2, s6
	ds_read_b32 v5, v5 offset:896
	s_waitcnt lgkmcnt(0)
	v_add_f32_e32 v2, v5, v2
	s_or_b64 exec, exec, s[4:5]
	s_and_saveexec_b64 s[4:5], vcc
	s_cbranch_execnz .LBB189_641
	s_branch .LBB189_642
.Lfunc_end189:
	.size	_ZN4vllm22paged_attention_kernelI14__hip_bfloat16S1_Li256ELi32ELi128ELNS_18Fp8KVCacheDataTypeE0ELb0ELi512EEEvPfS3_PT_PKS4_PKT0_SA_ifPKiSC_iPKfiiiSE_SE_iiiii, .Lfunc_end189-_ZN4vllm22paged_attention_kernelI14__hip_bfloat16S1_Li256ELi32ELi128ELNS_18Fp8KVCacheDataTypeE0ELb0ELi512EEEvPfS3_PT_PKS4_PKT0_SA_ifPKiSC_iPKfiiiSE_SE_iiiii
                                        ; -- End function
	.section	.AMDGPU.csdata,"",@progbits
; Function info:
; codeLenInByte = 33516
; NumSgprs: 41
; NumVgprs: 64
; NumAgprs: 64
; TotalNumVgprs: 128
; ScratchSize: 680
; MemoryBound: 0
	.section	.text._ZN4vllm25paged_attention_v2_kernelI14__hip_bfloat16S1_Li256ELi32ELi128ELNS_18Fp8KVCacheDataTypeE0ELb0ELi512EEEvPfS3_PT_PKS4_PKT0_SA_ifPKiSC_iPKfiiiSE_SE_iiiii,"axG",@progbits,_ZN4vllm25paged_attention_v2_kernelI14__hip_bfloat16S1_Li256ELi32ELi128ELNS_18Fp8KVCacheDataTypeE0ELb0ELi512EEEvPfS3_PT_PKS4_PKT0_SA_ifPKiSC_iPKfiiiSE_SE_iiiii,comdat
	.protected	_ZN4vllm25paged_attention_v2_kernelI14__hip_bfloat16S1_Li256ELi32ELi128ELNS_18Fp8KVCacheDataTypeE0ELb0ELi512EEEvPfS3_PT_PKS4_PKT0_SA_ifPKiSC_iPKfiiiSE_SE_iiiii ; -- Begin function _ZN4vllm25paged_attention_v2_kernelI14__hip_bfloat16S1_Li256ELi32ELi128ELNS_18Fp8KVCacheDataTypeE0ELb0ELi512EEEvPfS3_PT_PKS4_PKT0_SA_ifPKiSC_iPKfiiiSE_SE_iiiii
	.globl	_ZN4vllm25paged_attention_v2_kernelI14__hip_bfloat16S1_Li256ELi32ELi128ELNS_18Fp8KVCacheDataTypeE0ELb0ELi512EEEvPfS3_PT_PKS4_PKT0_SA_ifPKiSC_iPKfiiiSE_SE_iiiii
	.p2align	8
	.type	_ZN4vllm25paged_attention_v2_kernelI14__hip_bfloat16S1_Li256ELi32ELi128ELNS_18Fp8KVCacheDataTypeE0ELb0ELi512EEEvPfS3_PT_PKS4_PKT0_SA_ifPKiSC_iPKfiiiSE_SE_iiiii,@function
_ZN4vllm25paged_attention_v2_kernelI14__hip_bfloat16S1_Li256ELi32ELi128ELNS_18Fp8KVCacheDataTypeE0ELb0ELi512EEEvPfS3_PT_PKS4_PKT0_SA_ifPKiSC_iPKfiiiSE_SE_iiiii: ; @_ZN4vllm25paged_attention_v2_kernelI14__hip_bfloat16S1_Li256ELi32ELi128ELNS_18Fp8KVCacheDataTypeE0ELb0ELi512EEEvPfS3_PT_PKS4_PKT0_SA_ifPKiSC_iPKfiiiSE_SE_iiiii
; %bb.0:
	s_load_dwordx8 s[24:31], s[0:1], 0x0
	s_load_dwordx8 s[16:23], s[0:1], 0x20
	s_load_dwordx2 s[6:7], s[0:1], 0x40
	s_load_dwordx2 s[10:11], s[0:1], 0x50
	s_load_dword s5, s[0:1], 0x48
	s_load_dwordx4 s[36:39], s[0:1], 0x58
	s_add_u32 s8, s0, 0x90
	s_addc_u32 s9, s1, 0
	s_mov_b32 s12, s2
	s_mov_b32 s13, s3
	;; [unrolled: 1-line block ×4, first 2 shown]
	v_mov_b32_e32 v31, v0
	s_waitcnt lgkmcnt(0)
	v_mov_b32_e32 v0, s24
	v_mov_b32_e32 v1, s25
	;; [unrolled: 1-line block ×24, first 2 shown]
	s_mov_b32 s32, 0
	s_getpc_b64 s[0:1]
	s_add_u32 s0, s0, _ZN4vllm22paged_attention_kernelI14__hip_bfloat16S1_Li256ELi32ELi128ELNS_18Fp8KVCacheDataTypeE0ELb0ELi512EEEvPfS3_PT_PKS4_PKT0_SA_ifPKiSC_iPKfiiiSE_SE_iiiii@rel32@lo+4
	s_addc_u32 s1, s1, _ZN4vllm22paged_attention_kernelI14__hip_bfloat16S1_Li256ELi32ELi128ELNS_18Fp8KVCacheDataTypeE0ELb0ELi512EEEvPfS3_PT_PKS4_PKT0_SA_ifPKiSC_iPKfiiiSE_SE_iiiii@rel32@hi+12
	s_swappc_b64 s[30:31], s[0:1]
	s_endpgm
	.section	.rodata,"a",@progbits
	.p2align	6, 0x0
	.amdhsa_kernel _ZN4vllm25paged_attention_v2_kernelI14__hip_bfloat16S1_Li256ELi32ELi128ELNS_18Fp8KVCacheDataTypeE0ELb0ELi512EEEvPfS3_PT_PKS4_PKT0_SA_ifPKiSC_iPKfiiiSE_SE_iiiii
		.amdhsa_group_segment_fixed_size 528
		.amdhsa_private_segment_fixed_size 680
		.amdhsa_kernarg_size 400
		.amdhsa_user_sgpr_count 2
		.amdhsa_user_sgpr_dispatch_ptr 0
		.amdhsa_user_sgpr_queue_ptr 0
		.amdhsa_user_sgpr_kernarg_segment_ptr 1
		.amdhsa_user_sgpr_dispatch_id 0
		.amdhsa_user_sgpr_kernarg_preload_length 0
		.amdhsa_user_sgpr_kernarg_preload_offset 0
		.amdhsa_user_sgpr_private_segment_size 0
		.amdhsa_uses_dynamic_stack 0
		.amdhsa_enable_private_segment 1
		.amdhsa_system_sgpr_workgroup_id_x 1
		.amdhsa_system_sgpr_workgroup_id_y 1
		.amdhsa_system_sgpr_workgroup_id_z 1
		.amdhsa_system_sgpr_workgroup_info 0
		.amdhsa_system_vgpr_workitem_id 0
		.amdhsa_next_free_vgpr 128
		.amdhsa_next_free_sgpr 40
		.amdhsa_accum_offset 64
		.amdhsa_reserve_vcc 1
		.amdhsa_float_round_mode_32 0
		.amdhsa_float_round_mode_16_64 0
		.amdhsa_float_denorm_mode_32 3
		.amdhsa_float_denorm_mode_16_64 3
		.amdhsa_dx10_clamp 1
		.amdhsa_ieee_mode 1
		.amdhsa_fp16_overflow 0
		.amdhsa_tg_split 0
		.amdhsa_exception_fp_ieee_invalid_op 0
		.amdhsa_exception_fp_denorm_src 0
		.amdhsa_exception_fp_ieee_div_zero 0
		.amdhsa_exception_fp_ieee_overflow 0
		.amdhsa_exception_fp_ieee_underflow 0
		.amdhsa_exception_fp_ieee_inexact 0
		.amdhsa_exception_int_div_zero 0
	.end_amdhsa_kernel
	.section	.text._ZN4vllm25paged_attention_v2_kernelI14__hip_bfloat16S1_Li256ELi32ELi128ELNS_18Fp8KVCacheDataTypeE0ELb0ELi512EEEvPfS3_PT_PKS4_PKT0_SA_ifPKiSC_iPKfiiiSE_SE_iiiii,"axG",@progbits,_ZN4vllm25paged_attention_v2_kernelI14__hip_bfloat16S1_Li256ELi32ELi128ELNS_18Fp8KVCacheDataTypeE0ELb0ELi512EEEvPfS3_PT_PKS4_PKT0_SA_ifPKiSC_iPKfiiiSE_SE_iiiii,comdat
.Lfunc_end190:
	.size	_ZN4vllm25paged_attention_v2_kernelI14__hip_bfloat16S1_Li256ELi32ELi128ELNS_18Fp8KVCacheDataTypeE0ELb0ELi512EEEvPfS3_PT_PKS4_PKT0_SA_ifPKiSC_iPKfiiiSE_SE_iiiii, .Lfunc_end190-_ZN4vllm25paged_attention_v2_kernelI14__hip_bfloat16S1_Li256ELi32ELi128ELNS_18Fp8KVCacheDataTypeE0ELb0ELi512EEEvPfS3_PT_PKS4_PKT0_SA_ifPKiSC_iPKfiiiSE_SE_iiiii
                                        ; -- End function
	.section	.AMDGPU.csdata,"",@progbits
; Kernel info:
; codeLenInByte = 212
; NumSgprs: 46
; NumVgprs: 64
; NumAgprs: 64
; TotalNumVgprs: 128
; ScratchSize: 680
; MemoryBound: 0
; FloatMode: 240
; IeeeMode: 1
; LDSByteSize: 528 bytes/workgroup (compile time only)
; SGPRBlocks: 5
; VGPRBlocks: 15
; NumSGPRsForWavesPerEU: 46
; NumVGPRsForWavesPerEU: 128
; AccumOffset: 64
; Occupancy: 4
; WaveLimiterHint : 1
; COMPUTE_PGM_RSRC2:SCRATCH_EN: 1
; COMPUTE_PGM_RSRC2:USER_SGPR: 2
; COMPUTE_PGM_RSRC2:TRAP_HANDLER: 0
; COMPUTE_PGM_RSRC2:TGID_X_EN: 1
; COMPUTE_PGM_RSRC2:TGID_Y_EN: 1
; COMPUTE_PGM_RSRC2:TGID_Z_EN: 1
; COMPUTE_PGM_RSRC2:TIDIG_COMP_CNT: 0
; COMPUTE_PGM_RSRC3_GFX90A:ACCUM_OFFSET: 15
; COMPUTE_PGM_RSRC3_GFX90A:TG_SPLIT: 0
	.section	.text._ZN4vllm25paged_attention_v2_kernelIfhLi32ELi8ELi128ELNS_18Fp8KVCacheDataTypeE1ELb1ELi512EEEvPfS2_PT_PKS3_PKT0_S9_ifPKiSB_iPKfiiiSD_SD_iiiii,"axG",@progbits,_ZN4vllm25paged_attention_v2_kernelIfhLi32ELi8ELi128ELNS_18Fp8KVCacheDataTypeE1ELb1ELi512EEEvPfS2_PT_PKS3_PKT0_S9_ifPKiSB_iPKfiiiSD_SD_iiiii,comdat
	.protected	_ZN4vllm25paged_attention_v2_kernelIfhLi32ELi8ELi128ELNS_18Fp8KVCacheDataTypeE1ELb1ELi512EEEvPfS2_PT_PKS3_PKT0_S9_ifPKiSB_iPKfiiiSD_SD_iiiii ; -- Begin function _ZN4vllm25paged_attention_v2_kernelIfhLi32ELi8ELi128ELNS_18Fp8KVCacheDataTypeE1ELb1ELi512EEEvPfS2_PT_PKS3_PKT0_S9_ifPKiSB_iPKfiiiSD_SD_iiiii
	.globl	_ZN4vllm25paged_attention_v2_kernelIfhLi32ELi8ELi128ELNS_18Fp8KVCacheDataTypeE1ELb1ELi512EEEvPfS2_PT_PKS3_PKT0_S9_ifPKiSB_iPKfiiiSD_SD_iiiii
	.p2align	8
	.type	_ZN4vllm25paged_attention_v2_kernelIfhLi32ELi8ELi128ELNS_18Fp8KVCacheDataTypeE1ELb1ELi512EEEvPfS2_PT_PKS3_PKT0_S9_ifPKiSB_iPKfiiiSD_SD_iiiii,@function
_ZN4vllm25paged_attention_v2_kernelIfhLi32ELi8ELi128ELNS_18Fp8KVCacheDataTypeE1ELb1ELi512EEEvPfS2_PT_PKS3_PKT0_S9_ifPKiSB_iPKfiiiSD_SD_iiiii: ; @_ZN4vllm25paged_attention_v2_kernelIfhLi32ELi8ELi128ELNS_18Fp8KVCacheDataTypeE1ELb1ELi512EEEvPfS2_PT_PKS3_PKT0_S9_ifPKiSB_iPKfiiiSD_SD_iiiii
; %bb.0:
	s_load_dwordx2 s[6:7], s[0:1], 0x40
	s_mov_b32 s34, s3
	s_ashr_i32 s35, s3, 31
	s_lshl_b64 s[8:9], s[34:35], 2
	s_waitcnt lgkmcnt(0)
	s_add_u32 s6, s6, s8
	s_addc_u32 s7, s7, s9
	s_load_dword s33, s[6:7], 0x0
	s_lshl_b32 s51, s4, 9
	s_waitcnt lgkmcnt(0)
	s_cmp_ge_i32 s51, s33
	s_cbranch_scc1 .LBB191_61
; %bb.1:
	s_load_dword s5, s[0:1], 0x90
	s_load_dwordx2 s[42:43], s[0:1], 0x30
	s_waitcnt lgkmcnt(0)
	s_abs_i32 s7, s5
	s_abs_i32 s3, s42
	v_cvt_f32_u32_e32 v1, s3
	s_sub_i32 s8, 0, s3
	s_xor_b32 s6, s5, s42
	s_ashr_i32 s6, s6, 31
	v_rcp_iflag_f32_e32 v1, v1
	s_nop 0
	v_mul_f32_e32 v1, 0x4f7ffffe, v1
	v_cvt_u32_f32_e32 v1, v1
	s_nop 0
	v_readfirstlane_b32 s9, v1
	s_mul_i32 s8, s8, s9
	s_mul_hi_u32 s8, s9, s8
	s_add_i32 s9, s9, s8
	s_mul_hi_u32 s8, s7, s9
	s_mul_i32 s9, s8, s3
	s_sub_i32 s7, s7, s9
	s_add_i32 s10, s8, 1
	s_sub_i32 s9, s7, s3
	s_cmp_ge_u32 s7, s3
	s_cselect_b32 s8, s10, s8
	s_cselect_b32 s7, s9, s7
	s_add_i32 s9, s8, 1
	s_cmp_ge_u32 s7, s3
	s_cselect_b32 s3, s9, s8
	s_xor_b32 s3, s3, s6
	s_sub_i32 s11, s3, s6
	s_abs_i32 s8, s11
	v_cvt_f32_u32_e32 v1, s8
	s_load_dwordx2 s[6:7], s[0:1], 0x50
	s_sub_i32 s10, 0, s8
	s_abs_i32 s9, s2
	v_rcp_iflag_f32_e32 v1, v1
	s_mov_b32 s3, 0
	v_mul_f32_e32 v1, 0x4f7ffffe, v1
	v_cvt_u32_f32_e32 v1, v1
	s_nop 0
	v_readfirstlane_b32 s12, v1
	s_mul_i32 s10, s10, s12
	s_mul_hi_u32 s10, s12, s10
	s_add_i32 s12, s12, s10
	s_waitcnt lgkmcnt(0)
	s_cmp_eq_u64 s[6:7], 0
	s_mul_hi_u32 s10, s9, s12
	s_cbranch_scc1 .LBB191_3
; %bb.2:
	s_ashr_i32 s3, s2, 31
	s_lshl_b64 s[12:13], s[2:3], 2
	s_add_u32 s6, s6, s12
	s_addc_u32 s7, s7, s13
	s_load_dword s3, s[6:7], 0x0
.LBB191_3:
	s_load_dwordx4 s[16:19], s[0:1], 0x58
	s_ashr_i32 s12, s2, 31
	s_ashr_i32 s11, s11, 31
	v_and_b32_e32 v2, 7, v0
	s_lshl_b32 s28, s2, 5
	v_cmp_gt_u32_e32 vcc, 32, v0
	v_lshlrev_b32_e32 v10, 2, v0
	s_and_saveexec_b64 s[6:7], vcc
	s_cbranch_execz .LBB191_5
; %bb.4:
	s_load_dwordx2 s[14:15], s[0:1], 0x18
	s_waitcnt lgkmcnt(0)
	s_mul_i32 s20, s34, s16
	s_ashr_i32 s21, s20, 31
	s_lshl_b64 s[20:21], s[20:21], 2
	v_lshrrev_b32_e32 v3, 1, v0
	s_add_u32 s13, s14, s20
	s_addc_u32 s16, s15, s21
	s_ashr_i32 s29, s28, 31
	s_lshl_b64 s[14:15], s[28:29], 2
	s_add_u32 s14, s13, s14
	s_addc_u32 s15, s16, s15
	global_load_dword v1, v10, s[14:15]
	v_and_b32_e32 v3, 0x1fc, v3
	v_lshl_add_u32 v3, v2, 4, v3
	s_waitcnt vmcnt(0)
	ds_write_b32 v3, v1
.LBB191_5:
	s_or_b64 exec, exec, s[6:7]
	s_mul_i32 s7, s10, s8
	s_sub_i32 s7, s9, s7
	s_xor_b32 s6, s12, s11
	s_add_i32 s9, s10, 1
	s_sub_i32 s11, s7, s8
	s_load_dwordx4 s[20:23], s[0:1], 0x78
	s_cmp_ge_u32 s7, s8
	s_cselect_b32 s9, s9, s10
	s_cselect_b32 s7, s11, s7
	s_add_i32 s10, s9, 1
	s_cmp_ge_u32 s7, s8
	s_cselect_b32 s7, s10, s9
	s_load_dword s10, s[0:1], 0x88
	s_waitcnt lgkmcnt(0)
	s_abs_i32 s16, s23
	v_cvt_f32_u32_e32 v1, s16
	s_xor_b32 s7, s7, s6
	s_sub_i32 s50, s7, s6
	s_sub_i32 s6, 0, s16
	v_rcp_iflag_f32_e32 v1, v1
	s_add_i32 s11, s33, -1
	s_abs_i32 s8, s11
	v_mul_f32_e32 v1, 0x4f7ffffe, v1
	v_cvt_u32_f32_e32 v1, v1
	s_barrier
	v_readfirstlane_b32 s29, v1
	s_mul_i32 s6, s6, s29
	s_mul_hi_u32 s6, s29, s6
	s_add_i32 s29, s29, s6
	s_cmp_lt_i32 s10, 0
	s_mul_hi_u32 s9, s8, s29
	s_cbranch_scc0 .LBB191_7
; %bb.6:
	s_mul_i32 s6, s20, s42
	s_add_i32 s6, s50, s6
	s_mul_i32 s6, s6, s10
	s_sub_i32 s35, 1, s6
	s_mov_b64 s[6:7], 0
	s_branch .LBB191_8
.LBB191_7:
	s_mov_b64 s[6:7], -1
                                        ; implicit-def: $sgpr35
.LBB191_8:
	s_load_dwordx2 s[36:37], s[0:1], 0x38
	s_ashr_i32 s11, s11, 31
	s_andn2_b64 vcc, exec, s[6:7]
	s_ashr_i32 s23, s23, 31
	s_cbranch_vccnz .LBB191_10
; %bb.9:
	s_mul_i32 s6, s5, s20
	s_add_i32 s6, s6, s2
	s_mul_i32 s6, s6, s10
	s_add_i32 s35, s6, 1
.LBB191_10:
	s_load_dwordx2 s[40:41], s[0:1], 0x28
	s_load_dword s6, s[0:1], 0x48
	s_load_dwordx4 s[24:27], s[0:1], 0x0
	s_load_dwordx2 s[30:31], s[0:1], 0x10
	s_load_dword s20, s[0:1], 0x98
	s_load_dwordx4 s[12:15], s[0:1], 0x68
	s_mul_i32 s7, s9, s16
	s_waitcnt lgkmcnt(0)
	s_mul_i32 s38, s34, s6
	s_sub_i32 s7, s8, s7
	s_ashr_i32 s39, s38, 31
	s_xor_b32 s6, s11, s23
	s_add_i32 s8, s9, 1
	s_sub_i32 s10, s7, s16
	s_cmp_ge_u32 s7, s16
	s_cselect_b32 s8, s8, s9
	s_cselect_b32 s7, s10, s7
	s_add_i32 s9, s8, 1
	s_cmp_ge_u32 s7, s16
	s_cselect_b32 s7, s9, s8
	s_xor_b32 s7, s7, s6
	s_sub_i32 s49, s7, s6
	s_add_i32 s6, s33, 7
	s_ashr_i32 s7, s6, 31
	s_lshr_b32 s7, s7, 29
	s_add_i32 s6, s6, s7
	s_lshl_b32 s52, s4, 6
	s_ashr_i32 s48, s6, 3
	s_add_i32 s6, s52, 64
	v_lshrrev_b32_e32 v14, 6, v0
	s_min_i32 s42, s6, s48
	v_or_b32_e32 v6, s52, v14
	v_cmp_gt_i32_e64 s[6:7], s42, v6
	v_mov_b32_e32 v15, 0xff7fffff
	s_mul_i32 s50, s50, s18
	v_ashrrev_i32_e32 v7, 31, v6
	v_lshl_add_u32 v1, v14, 3, s51
	v_mbcnt_lo_u32_b32 v11, -1, 0
	s_and_saveexec_b64 s[18:19], s[6:7]
	s_cbranch_execz .LBB191_20
; %bb.11:
	s_load_dwordx2 s[0:1], s[0:1], 0x20
	s_sub_i32 s53, s49, s21
	s_ashr_i32 s9, s50, 31
	v_bfe_u32 v12, v0, 3, 3
	v_mov_b32_e32 v5, 0
	s_waitcnt lgkmcnt(0)
	s_add_u32 s8, s0, s50
	s_addc_u32 s9, s1, s9
	s_abs_i32 s54, s22
	v_cvt_f32_u32_e32 v3, s54
	v_lshlrev_b32_e32 v4, 4, v12
	v_lshlrev_b32_e32 v15, 2, v12
	v_lshl_or_b32 v15, v14, 5, v15
	v_rcp_iflag_f32_e32 v3, v3
	v_add_u32_e32 v18, 0x90, v15
	v_subrev_u32_e32 v15, s33, v12
	v_mbcnt_hi_u32_b32 v21, -1, v11
	v_mul_f32_e32 v3, 0x4f7ffffe, v3
	v_cvt_u32_f32_e32 v8, v3
	v_mov_b32_e32 v3, v5
	v_lshl_add_u64 v[4:5], s[8:9], 0, v[4:5]
	s_sub_i32 s8, 0, s54
	v_mul_lo_u32 v9, s8, v8
	s_lshl_b64 s[8:9], s[38:39], 2
	s_add_u32 s8, s36, s8
	v_mul_hi_u32 v9, v8, v9
	s_addc_u32 s9, s37, s9
	v_add_u32_e32 v19, 1, v15
	v_and_b32_e32 v15, 64, v21
	v_cmp_eq_u32_e32 vcc, 0, v2
	s_mov_b32 s55, s17
	v_lshlrev_b32_e32 v13, 4, v2
	v_cmp_neq_f32_e64 s[0:1], s3, 0
	v_add_u32_e32 v16, v8, v9
	v_lshl_add_u64 v[8:9], v[6:7], 2, s[8:9]
	v_lshl_add_u32 v17, v14, 3, s51
	s_mov_b64 s[44:45], 0
	v_mov_b32_e32 v20, 0xff7fffff
	v_add_u32_e32 v22, 64, v15
	v_xor_b32_e32 v23, 4, v21
	v_xor_b32_e32 v24, 2, v21
	;; [unrolled: 1-line block ×3, first 2 shown]
	v_mov_b32_e32 v15, 0xff7fffff
	v_mov_b32_e32 v26, v6
	s_branch .LBB191_14
.LBB191_12:                             ;   in Loop: Header=BB191_14 Depth=1
	s_or_b64 exec, exec, s[46:47]
.LBB191_13:                             ;   in Loop: Header=BB191_14 Depth=1
	s_or_b64 exec, exec, s[10:11]
	v_add_u32_e32 v26, 2, v26
	v_cmp_le_i32_e64 s[8:9], s42, v26
	v_lshl_add_u64 v[8:9], v[8:9], 0, 8
	v_add_u32_e32 v17, 16, v17
	s_or_b64 s[44:45], s[8:9], s[44:45]
	v_add_u32_e32 v18, 64, v18
	s_andn2_b64 exec, exec, s[44:45]
	s_cbranch_execz .LBB191_19
.LBB191_14:                             ; =>This Inner Loop Header: Depth=1
	s_waitcnt lgkmcnt(0)
	v_sub_u32_e32 v28, 0, v17
	v_max_i32_e32 v28, v17, v28
	v_mul_hi_u32 v29, v28, s29
	v_mul_lo_u32 v30, v29, s16
	v_sub_u32_e32 v28, v28, v30
	v_add_u32_e32 v30, 1, v29
	v_cmp_le_u32_e64 s[8:9], s16, v28
	v_ashrrev_i32_e32 v27, 31, v17
	v_xor_b32_e32 v27, s23, v27
	v_cndmask_b32_e64 v29, v29, v30, s[8:9]
	v_subrev_u32_e32 v30, s16, v28
	v_cndmask_b32_e64 v28, v28, v30, s[8:9]
	v_add_u32_e32 v30, 1, v29
	v_cmp_le_u32_e64 s[8:9], s16, v28
	s_nop 1
	v_cndmask_b32_e64 v28, v29, v30, s[8:9]
	v_xor_b32_e32 v28, v28, v27
	v_sub_u32_e32 v27, v28, v27
	v_add_u32_e32 v28, s35, v27
	v_sub_u32_e32 v30, 0, v28
	v_ashrrev_i32_e32 v29, 31, v28
	v_max_i32_e32 v28, v28, v30
	v_mul_hi_u32 v30, v28, v16
	v_mul_lo_u32 v30, v30, s54
	v_sub_u32_e32 v28, v28, v30
	v_subrev_u32_e32 v30, s54, v28
	v_cmp_le_u32_e64 s[8:9], s54, v28
	v_cmp_ge_i32_e64 s[10:11], s53, v27
	s_nop 0
	v_cndmask_b32_e64 v28, v28, v30, s[8:9]
	v_subrev_u32_e32 v30, s54, v28
	v_cmp_le_u32_e64 s[8:9], s54, v28
	s_nop 1
	v_cndmask_b32_e64 v28, v28, v30, s[8:9]
	v_xor_b32_e32 v28, v28, v29
	v_sub_u32_e32 v28, v28, v29
	v_cmp_ne_u32_e64 s[8:9], 0, v28
	s_and_b64 s[8:9], s[8:9], s[10:11]
	s_and_b64 s[46:47], vcc, s[8:9]
	s_and_saveexec_b64 s[10:11], s[46:47]
	s_cbranch_execz .LBB191_16
; %bb.15:                               ;   in Loop: Header=BB191_14 Depth=1
	ds_write_b32 v18, v20
.LBB191_16:                             ;   in Loop: Header=BB191_14 Depth=1
	s_or_b64 exec, exec, s[10:11]
	s_xor_b64 s[8:9], s[8:9], -1
	s_and_saveexec_b64 s[10:11], s[8:9]
	s_cbranch_execz .LBB191_13
; %bb.17:                               ;   in Loop: Header=BB191_14 Depth=1
	global_load_dword v27, v[8:9], off
	s_waitcnt vmcnt(0)
	v_mad_i64_i32 v[28:29], s[8:9], v27, s55, v[4:5]
	v_lshl_add_u64 v[28:29], v[28:29], 0, v[2:3]
	global_load_ubyte v27, v[28:29], off
	global_load_ubyte v32, v[28:29], off offset:8
	global_load_ubyte v33, v[28:29], off offset:128
	;; [unrolled: 1-line block ×3, first 2 shown]
	v_cmp_lt_i32_e64 s[8:9], v23, v22
	ds_read_b128 v[28:31], v13
	s_waitcnt vmcnt(3)
	v_cvt_f32_fp8_sdwa v27, v27 src0_sel:BYTE_0
	v_cndmask_b32_e64 v35, v21, v23, s[8:9]
	s_load_dword s8, s[12:13], 0x0
	s_waitcnt vmcnt(2)
	v_cvt_f32_fp8_sdwa v32, v32 src0_sel:BYTE_0
	s_waitcnt vmcnt(1)
	v_cvt_f32_fp8_sdwa v33, v33 src0_sel:BYTE_0
	;; [unrolled: 2-line block ×3, first 2 shown]
	v_lshlrev_b32_e32 v35, 2, v35
	s_waitcnt lgkmcnt(0)
	v_mul_f32_e32 v32, s8, v32
	v_mul_f32_e32 v27, s8, v27
	;; [unrolled: 1-line block ×4, first 2 shown]
	v_fmac_f32_e32 v29, v28, v27
	v_mul_f32_e32 v34, s8, v34
	v_fmac_f32_e32 v29, v30, v33
	v_fmac_f32_e32 v29, v31, v34
	ds_bpermute_b32 v27, v35, v29
	v_cmp_lt_i32_e64 s[8:9], v24, v22
	s_waitcnt lgkmcnt(0)
	v_add_f32_e32 v27, v29, v27
	v_cndmask_b32_e64 v28, v21, v24, s[8:9]
	v_lshlrev_b32_e32 v28, 2, v28
	ds_bpermute_b32 v28, v28, v27
	v_cmp_lt_i32_e64 s[8:9], v25, v22
	s_waitcnt lgkmcnt(0)
	v_add_f32_e32 v27, v27, v28
	v_cndmask_b32_e64 v29, v21, v25, s[8:9]
	v_lshlrev_b32_e32 v29, 2, v29
	ds_bpermute_b32 v28, v29, v27
	s_and_saveexec_b64 s[46:47], vcc
	s_cbranch_execz .LBB191_12
; %bb.18:                               ;   in Loop: Header=BB191_14 Depth=1
	v_add_u32_e32 v29, v19, v17
	v_cvt_f32_i32_e32 v29, v29
	s_waitcnt lgkmcnt(0)
	v_add_f32_e32 v27, v27, v28
	v_add_u32_e32 v30, v12, v17
	v_cmp_gt_i32_e64 s[8:9], s33, v30
	v_mul_f32_e32 v28, s3, v29
	v_cndmask_b32_e64 v28, 0, v28, s[0:1]
	v_fmac_f32_e32 v28, s43, v27
	v_cndmask_b32_e64 v27, 0, v28, s[8:9]
	ds_write_b32 v18, v27
	v_max_f32_e32 v27, v15, v15
	v_max_f32_e32 v27, v27, v28
	v_cndmask_b32_e64 v15, v15, v27, s[8:9]
	s_branch .LBB191_12
.LBB191_19:
	s_or_b64 exec, exec, s[44:45]
.LBB191_20:
	s_or_b64 exec, exec, s[18:19]
	v_mbcnt_hi_u32_b32 v2, -1, v11
	v_and_b32_e32 v3, 64, v2
	v_add_u32_e32 v3, 64, v3
	v_xor_b32_e32 v4, 32, v2
	v_cmp_lt_i32_e32 vcc, v4, v3
	v_xor_b32_e32 v9, 16, v2
	v_max_f32_e32 v5, v15, v15
	v_cndmask_b32_e32 v4, v2, v4, vcc
	v_lshlrev_b32_e32 v8, 2, v4
	ds_bpermute_b32 v4, v8, v15
	v_cmp_lt_i32_e32 vcc, v9, v3
	v_and_b32_e32 v18, 63, v0
	s_waitcnt lgkmcnt(0)
	v_max_f32_e32 v4, v4, v4
	v_max_f32_e32 v4, v5, v4
	v_cndmask_b32_e32 v5, v2, v9, vcc
	v_lshlrev_b32_e32 v11, 2, v5
	ds_bpermute_b32 v5, v11, v4
	v_xor_b32_e32 v9, 8, v2
	v_cmp_lt_i32_e32 vcc, v9, v3
	s_waitcnt lgkmcnt(0)
	v_max_f32_e32 v5, v5, v5
	v_max_f32_e32 v4, v4, v5
	v_cndmask_b32_e32 v5, v2, v9, vcc
	v_lshlrev_b32_e32 v12, 2, v5
	ds_bpermute_b32 v9, v12, v4
	v_cmp_eq_u32_e32 vcc, 0, v18
	v_lshlrev_b32_e32 v5, 2, v14
	s_and_saveexec_b64 s[0:1], vcc
	s_cbranch_execz .LBB191_22
; %bb.21:
	s_waitcnt lgkmcnt(0)
	v_max_f32_e32 v9, v9, v9
	v_max_f32_e32 v4, v4, v4
	;; [unrolled: 1-line block ×3, first 2 shown]
	ds_write_b32 v5, v4 offset:128
.LBB191_22:
	s_or_b64 exec, exec, s[0:1]
	v_cmp_gt_u32_e64 s[0:1], 2, v18
	v_mov_b32_e32 v4, 0xff7fffff
	s_waitcnt lgkmcnt(0)
	v_lshlrev_b32_e32 v9, 2, v18
	s_barrier
	s_and_saveexec_b64 s[8:9], s[0:1]
	s_cbranch_execz .LBB191_24
; %bb.23:
	ds_read_b32 v4, v9 offset:128
.LBB191_24:
	s_or_b64 exec, exec, s[8:9]
	v_xor_b32_e32 v13, 1, v2
	v_cmp_lt_i32_e64 s[8:9], v13, v3
	s_sub_i32 s3, s42, s52
	s_lshl_b32 s3, s3, 3
	v_cndmask_b32_e64 v13, v2, v13, s[8:9]
	v_lshlrev_b32_e32 v19, 2, v13
	s_waitcnt lgkmcnt(0)
	ds_bpermute_b32 v13, v19, v4
	v_max_f32_e32 v4, v4, v4
	s_add_i32 s3, s3, s51
	s_min_i32 s43, s3, s33
	s_sub_i32 s3, s43, s51
	s_waitcnt lgkmcnt(0)
	v_max_f32_e32 v13, v13, v13
	v_max_f32_e32 v4, v4, v13
	v_lshlrev_b32_e32 v13, 2, v2
	v_and_b32_e32 v13, 0x100, v13
	ds_bpermute_b32 v4, v13, v4
	v_cmp_gt_i32_e64 s[8:9], s3, v0
	v_mov_b32_e32 v15, 0
	s_and_saveexec_b64 s[12:13], s[8:9]
	s_cbranch_execz .LBB191_28
; %bb.25:
	v_mov_b32_e32 v15, 0x90
	v_lshl_add_u32 v16, v0, 2, v15
	s_mov_b64 s[18:19], 0
	v_mov_b32_e32 v15, 0
	v_mov_b32_e32 v17, v0
.LBB191_26:                             ; =>This Inner Loop Header: Depth=1
	ds_read_b32 v20, v16
	v_add_u32_e32 v17, 0x80, v17
	v_cmp_le_i32_e64 s[10:11], s3, v17
	s_or_b64 s[18:19], s[10:11], s[18:19]
	s_waitcnt lgkmcnt(0)
	v_sub_f32_e32 v20, v20, v4
	v_mul_f32_e32 v20, 0x3fb8aa3b, v20
	v_exp_f32_e32 v20, v20
	ds_write_b32 v16, v20
	v_add_f32_e32 v15, v15, v20
	v_add_u32_e32 v16, 0x200, v16
	s_andn2_b64 exec, exec, s[18:19]
	s_cbranch_execnz .LBB191_26
; %bb.27:
	s_or_b64 exec, exec, s[18:19]
.LBB191_28:
	s_or_b64 exec, exec, s[12:13]
	ds_bpermute_b32 v8, v8, v15
	s_waitcnt lgkmcnt(0)
	v_add_f32_e32 v8, v15, v8
	ds_bpermute_b32 v11, v11, v8
	s_waitcnt lgkmcnt(0)
	v_add_f32_e32 v8, v8, v11
	ds_bpermute_b32 v11, v12, v8
	v_xor_b32_e32 v12, 4, v2
	v_cmp_lt_i32_e64 s[10:11], v12, v3
	s_waitcnt lgkmcnt(0)
	v_add_f32_e32 v8, v8, v11
	v_cndmask_b32_e64 v12, v2, v12, s[10:11]
	v_lshlrev_b32_e32 v12, 2, v12
	ds_bpermute_b32 v11, v12, v8
	v_xor_b32_e32 v12, 2, v2
	v_cmp_lt_i32_e64 s[10:11], v12, v3
	s_waitcnt lgkmcnt(0)
	v_add_f32_e32 v3, v8, v11
	v_cndmask_b32_e64 v2, v2, v12, s[10:11]
	v_lshlrev_b32_e32 v2, 2, v2
	ds_bpermute_b32 v2, v2, v3
	s_waitcnt lgkmcnt(0)
	v_add_f32_e32 v2, v3, v2
	ds_bpermute_b32 v3, v19, v2
	s_waitcnt lgkmcnt(0)
	v_add_f32_e32 v2, v2, v3
	s_and_saveexec_b64 s[10:11], vcc
	s_cbranch_execz .LBB191_30
; %bb.29:
	ds_write_b32 v5, v2 offset:136
.LBB191_30:
	s_or_b64 exec, exec, s[10:11]
	s_waitcnt lgkmcnt(0)
	s_barrier
	s_and_saveexec_b64 s[10:11], s[0:1]
	s_cbranch_execz .LBB191_32
; %bb.31:
	ds_read_b32 v2, v9 offset:136
.LBB191_32:
	s_or_b64 exec, exec, s[10:11]
	s_waitcnt lgkmcnt(0)
	ds_bpermute_b32 v3, v19, v2
	s_waitcnt lgkmcnt(0)
	v_add_f32_e32 v2, v2, v3
	ds_bpermute_b32 v5, v13, v2
	s_and_saveexec_b64 s[0:1], s[8:9]
	s_cbranch_execz .LBB191_45
; %bb.33:
	s_waitcnt lgkmcnt(0)
	v_add_f32_e32 v2, 0x358637bd, v5
	v_div_scale_f32 v3, s[8:9], v2, v2, 1.0
	v_rcp_f32_e32 v8, v3
	v_div_scale_f32 v9, vcc, 1.0, v2, 1.0
	s_movk_i32 s8, 0x7f
	v_fma_f32 v11, -v3, v8, 1.0
	v_fmac_f32_e32 v8, v11, v8
	v_mul_f32_e32 v11, v9, v8
	v_fma_f32 v12, -v3, v11, v9
	v_fmac_f32_e32 v11, v12, v8
	v_fma_f32 v3, -v3, v11, v9
	v_div_fmas_f32 v3, v3, v8, v11
	v_div_fixup_f32 v2, v3, v2, 1.0
	v_xad_u32 v3, v0, -1, s43
	v_subrev_u32_e32 v8, s51, v3
	v_cmp_lt_u32_e32 vcc, s8, v8
	s_mov_b64 s[10:11], -1
	v_mov_b32_e32 v3, v0
	s_and_saveexec_b64 s[8:9], vcc
	s_cbranch_execz .LBB191_42
; %bb.34:
	v_lshrrev_b32_e32 v8, 7, v8
	v_add_u32_e32 v11, -1, v8
	v_lshrrev_b32_e32 v9, 1, v11
	v_mov_b32_e32 v3, v2
	v_add_u32_e32 v9, 1, v9
	v_cmp_lt_u32_e32 vcc, 13, v11
	v_mov_b32_e32 v13, 0
	s_and_saveexec_b64 s[10:11], vcc
	s_cbranch_execz .LBB191_38
; %bb.35:
	v_mov_b32_e32 v12, 0x90
	v_and_b32_e32 v11, -8, v9
	v_lshl_add_u32 v12, v0, 2, v12
	s_mov_b32 s18, 0
	s_mov_b64 s[12:13], 0
.LBB191_36:                             ; =>This Inner Loop Header: Depth=1
	ds_read2st64_b32 v[16:17], v12 offset1:2
	ds_read2st64_b32 v[20:21], v12 offset0:4 offset1:6
	ds_read2st64_b32 v[22:23], v12 offset0:8 offset1:10
	;; [unrolled: 1-line block ×3, first 2 shown]
	v_add_u32_e32 v11, -8, v11
	s_waitcnt lgkmcnt(3)
	v_pk_mul_f32 v[16:17], v[2:3], v[16:17]
	s_waitcnt lgkmcnt(2)
	v_pk_mul_f32 v[20:21], v[2:3], v[20:21]
	ds_write2st64_b32 v12, v16, v17 offset1:2
	ds_write2st64_b32 v12, v20, v21 offset0:4 offset1:6
	ds_read2st64_b32 v[20:21], v12 offset0:16 offset1:18
	s_waitcnt lgkmcnt(4)
	v_pk_mul_f32 v[16:17], v[2:3], v[22:23]
	ds_write2st64_b32 v12, v16, v17 offset0:8 offset1:10
	s_waitcnt lgkmcnt(4)
	v_pk_mul_f32 v[16:17], v[2:3], v[24:25]
	ds_write2st64_b32 v12, v16, v17 offset0:12 offset1:14
	ds_read2st64_b32 v[16:17], v12 offset0:20 offset1:22
	s_waitcnt lgkmcnt(3)
	v_pk_mul_f32 v[20:21], v[2:3], v[20:21]
	ds_read2st64_b32 v[22:23], v12 offset0:24 offset1:26
	ds_write2st64_b32 v12, v20, v21 offset0:16 offset1:18
	ds_read2st64_b32 v[20:21], v12 offset0:28 offset1:30
	s_waitcnt lgkmcnt(3)
	v_pk_mul_f32 v[16:17], v[2:3], v[16:17]
	ds_write2st64_b32 v12, v16, v17 offset0:20 offset1:22
	s_waitcnt lgkmcnt(3)
	v_pk_mul_f32 v[16:17], v[2:3], v[22:23]
	ds_write2st64_b32 v12, v16, v17 offset0:24 offset1:26
	s_waitcnt lgkmcnt(2)
	v_pk_mul_f32 v[16:17], v[2:3], v[20:21]
	s_add_i32 s18, s18, 16
	v_cmp_eq_u32_e32 vcc, 0, v11
	ds_write2st64_b32 v12, v16, v17 offset0:28 offset1:30
	v_add_u32_e32 v12, 0x2000, v12
	s_or_b64 s[12:13], vcc, s[12:13]
	v_mov_b32_e32 v13, s18
	s_andn2_b64 exec, exec, s[12:13]
	s_cbranch_execnz .LBB191_36
; %bb.37:
	s_or_b64 exec, exec, s[12:13]
.LBB191_38:
	s_or_b64 exec, exec, s[10:11]
	v_and_b32_e32 v9, 7, v9
	v_cmp_ne_u32_e32 vcc, 0, v9
	s_and_saveexec_b64 s[10:11], vcc
	s_cbranch_execz .LBB191_41
; %bb.39:
	v_lshlrev_b32_e32 v11, 9, v13
	s_movk_i32 s12, 0x90
	v_add3_u32 v11, v11, v10, s12
	s_mov_b64 s[12:13], 0
.LBB191_40:                             ; =>This Inner Loop Header: Depth=1
	ds_read2st64_b32 v[12:13], v11 offset1:2
	v_add_u32_e32 v9, -1, v9
	v_cmp_eq_u32_e32 vcc, 0, v9
	s_or_b64 s[12:13], vcc, s[12:13]
	s_waitcnt lgkmcnt(0)
	v_pk_mul_f32 v[12:13], v[2:3], v[12:13]
	ds_write2st64_b32 v11, v12, v13 offset1:2
	v_add_u32_e32 v11, 0x400, v11
	s_andn2_b64 exec, exec, s[12:13]
	s_cbranch_execnz .LBB191_40
.LBB191_41:
	s_or_b64 exec, exec, s[10:11]
	v_add_u32_e32 v8, 1, v8
	v_and_b32_e32 v9, 0x3fffffe, v8
	v_cmp_ne_u32_e32 vcc, v8, v9
	v_lshl_add_u32 v3, v9, 7, v0
	s_orn2_b64 s[10:11], vcc, exec
.LBB191_42:
	s_or_b64 exec, exec, s[8:9]
	s_and_b64 exec, exec, s[10:11]
	s_cbranch_execz .LBB191_45
; %bb.43:
	v_mov_b32_e32 v8, 0x90
	v_lshl_add_u32 v8, v3, 2, v8
	s_mov_b64 s[8:9], 0
.LBB191_44:                             ; =>This Inner Loop Header: Depth=1
	ds_read_b32 v9, v8
	v_add_u32_e32 v3, 0x80, v3
	v_cmp_le_i32_e32 vcc, s3, v3
	s_or_b64 s[8:9], vcc, s[8:9]
	s_waitcnt lgkmcnt(0)
	v_mul_f32_e32 v9, v2, v9
	ds_write_b32 v8, v9
	v_add_u32_e32 v8, 0x200, v8
	s_andn2_b64 exec, exec, s[8:9]
	s_cbranch_execnz .LBB191_44
.LBB191_45:
	s_or_b64 exec, exec, s[0:1]
	s_mul_i32 s0, s20, s34
	v_cmp_eq_u32_e32 vcc, 0, v0
	s_mul_i32 s8, s0, s5
	s_waitcnt lgkmcnt(0)
	s_barrier
	s_and_saveexec_b64 s[0:1], vcc
	s_cbranch_execz .LBB191_47
; %bb.46:
	s_ashr_i32 s9, s8, 31
	s_lshl_b64 s[10:11], s[8:9], 2
	s_add_u32 s5, s26, s10
	s_mul_i32 s2, s20, s2
	s_addc_u32 s9, s27, s11
	s_ashr_i32 s3, s2, 31
	s_lshl_b64 s[2:3], s[2:3], 2
	s_add_u32 s18, s5, s2
	s_addc_u32 s9, s9, s3
	s_ashr_i32 s5, s4, 31
	s_lshl_b64 s[12:13], s[4:5], 2
	s_add_u32 s18, s18, s12
	s_addc_u32 s19, s9, s13
	s_add_u32 s5, s24, s10
	s_addc_u32 s9, s25, s11
	;; [unrolled: 2-line block ×3, first 2 shown]
	s_add_u32 s2, s2, s12
	v_mov_b32_e32 v2, 0
	s_addc_u32 s3, s3, s13
	global_store_dword v2, v4, s[18:19]
	global_store_dword v2, v5, s[2:3]
.LBB191_47:
	s_or_b64 exec, exec, s[0:1]
	v_mov_b32_e32 v9, 0
	s_and_saveexec_b64 s[2:3], s[6:7]
	s_cbranch_execz .LBB191_55
; %bb.48:
	s_sub_i32 s5, s49, s21
	s_ashr_i32 s1, s50, 31
	s_add_u32 s0, s40, s50
	s_addc_u32 s1, s41, s1
	s_abs_i32 s9, s22
	v_cvt_f32_u32_e32 v2, s9
	v_and_b32_e32 v8, 0xfc, v10
	v_mov_b32_e32 v9, 0
	v_and_b32_e32 v20, 4, v10
	v_rcp_iflag_f32_e32 v2, v2
	v_lshl_add_u64 v[10:11], s[0:1], 0, v[8:9]
	s_sub_i32 s0, 0, s9
	s_add_i32 s48, s48, -1
	v_mul_f32_e32 v2, 0x4f7ffffe, v2
	v_cvt_u32_f32_e32 v2, v2
	s_mov_b32 s12, s17
	s_mov_b64 s[6:7], 0
	v_mul_lo_u32 v3, s0, v2
	v_mul_hi_u32 v3, v2, v3
	v_add_u32_e32 v8, v2, v3
	s_lshl_b64 s[0:1], s[38:39], 2
	v_and_b32_e32 v2, 1, v0
	s_add_u32 s0, s36, s0
	v_lshlrev_b32_e32 v2, 4, v2
	s_addc_u32 s1, s37, s1
	v_lshl_or_b32 v2, v14, 5, v2
	v_lshl_add_u64 v[12:13], v[6:7], 2, s[0:1]
	v_add_u32_e32 v7, 0x90, v2
	s_branch .LBB191_51
.LBB191_49:                             ;   in Loop: Header=BB191_51 Depth=1
	s_or_b64 exec, exec, s[10:11]
	v_mul_f32_e32 v3, v3, v17
	v_fmac_f32_e32 v3, v2, v16
	v_fmac_f32_e32 v3, v4, v14
	;; [unrolled: 1-line block ×3, first 2 shown]
	v_add_f32_e32 v9, v9, v3
.LBB191_50:                             ;   in Loop: Header=BB191_51 Depth=1
	s_or_b64 exec, exec, s[0:1]
	v_add_u32_e32 v6, 2, v6
	v_cmp_le_i32_e32 vcc, s42, v6
	v_lshl_add_u64 v[12:13], v[12:13], 0, 8
	v_add_u32_e32 v1, 16, v1
	s_or_b64 s[6:7], vcc, s[6:7]
	v_add_u32_e32 v7, 64, v7
	s_andn2_b64 exec, exec, s[6:7]
	s_cbranch_execz .LBB191_54
.LBB191_51:                             ; =>This Inner Loop Header: Depth=1
	v_sub_u32_e32 v3, 0, v1
	v_max_i32_e32 v3, v1, v3
	v_mul_hi_u32 v4, v3, s29
	v_mul_lo_u32 v5, v4, s16
	v_sub_u32_e32 v3, v3, v5
	v_add_u32_e32 v5, 1, v4
	v_cmp_le_u32_e32 vcc, s16, v3
	v_ashrrev_i32_e32 v2, 31, v1
	v_xor_b32_e32 v2, s23, v2
	v_cndmask_b32_e32 v4, v4, v5, vcc
	v_subrev_u32_e32 v5, s16, v3
	v_cndmask_b32_e32 v3, v3, v5, vcc
	v_add_u32_e32 v5, 1, v4
	v_cmp_le_u32_e32 vcc, s16, v3
	s_nop 1
	v_cndmask_b32_e32 v3, v4, v5, vcc
	v_xor_b32_e32 v3, v3, v2
	v_sub_u32_e32 v2, v3, v2
	v_add_u32_e32 v3, s35, v2
	v_sub_u32_e32 v5, 0, v3
	v_ashrrev_i32_e32 v4, 31, v3
	v_max_i32_e32 v3, v3, v5
	v_mul_hi_u32 v5, v3, v8
	v_mul_lo_u32 v5, v5, s9
	v_sub_u32_e32 v3, v3, v5
	v_subrev_u32_e32 v5, s9, v3
	v_cmp_le_u32_e32 vcc, s9, v3
	v_cmp_lt_i32_e64 s[0:1], s5, v2
	s_nop 0
	v_cndmask_b32_e32 v3, v3, v5, vcc
	v_subrev_u32_e32 v5, s9, v3
	v_cmp_le_u32_e32 vcc, s9, v3
	s_nop 1
	v_cndmask_b32_e32 v3, v3, v5, vcc
	v_xor_b32_e32 v3, v3, v4
	v_sub_u32_e32 v3, v3, v4
	v_cmp_eq_u32_e32 vcc, 0, v3
	s_or_b64 s[10:11], vcc, s[0:1]
	s_and_saveexec_b64 s[0:1], s[10:11]
	s_cbranch_execz .LBB191_50
; %bb.52:                               ;   in Loop: Header=BB191_51 Depth=1
	global_load_dword v2, v[12:13], off
	v_cmp_eq_u32_e32 vcc, s48, v6
	s_waitcnt vmcnt(0)
	v_mad_i64_i32 v[2:3], s[10:11], v2, s12, v[10:11]
	global_load_dword v2, v[2:3], off
	s_load_dword s10, s[14:15], 0x0
	s_waitcnt vmcnt(0)
	v_and_b32_e32 v3, 0xffff, v2
	v_lshrrev_b32_e32 v2, 16, v2
	v_cvt_pk_f32_fp8_e32 v[14:15], v3
	v_cvt_pk_f32_fp8_e32 v[22:23], v2
	ds_read_b128 v[2:5], v7
	s_waitcnt lgkmcnt(0)
	v_pk_mul_f32 v[16:17], s[10:11], v[14:15] op_sel_hi:[0,1]
	v_pk_mul_f32 v[14:15], s[10:11], v[22:23] op_sel_hi:[0,1]
	s_and_saveexec_b64 s[10:11], vcc
	s_cbranch_execz .LBB191_49
; %bb.53:                               ;   in Loop: Header=BB191_51 Depth=1
	v_add_u32_e32 v21, v20, v1
	v_cmp_gt_i32_e32 vcc, s33, v21
	v_add_u32_e32 v22, 1, v21
	s_nop 0
	v_cndmask_b32_e32 v16, 0, v16, vcc
	v_cmp_gt_i32_e32 vcc, s33, v22
	v_add_u32_e32 v22, 2, v21
	v_add_u32_e32 v21, 3, v21
	v_cndmask_b32_e32 v17, 0, v17, vcc
	v_cmp_gt_i32_e32 vcc, s33, v22
	s_nop 1
	v_cndmask_b32_e32 v14, 0, v14, vcc
	v_cmp_gt_i32_e32 vcc, s33, v21
	s_nop 1
	v_cndmask_b32_e32 v15, 0, v15, vcc
	s_branch .LBB191_49
.LBB191_54:
	s_or_b64 exec, exec, s[6:7]
.LBB191_55:
	s_or_b64 exec, exec, s[2:3]
	ds_bpermute_b32 v1, v19, v9
	v_and_b32_e32 v2, 0x3c1, v0
	v_cmp_eq_u32_e32 vcc, 64, v2
	s_waitcnt lgkmcnt(0)
	s_barrier
	v_add_f32_e32 v1, v9, v1
	s_and_saveexec_b64 s[0:1], vcc
	s_cbranch_execz .LBB191_57
; %bb.56:
	v_mov_b32_e32 v3, 0x90
	v_lshl_add_u32 v3, v18, 1, v3
	ds_write_b32 v3, v1
.LBB191_57:
	s_or_b64 exec, exec, s[0:1]
	v_cmp_eq_u32_e32 vcc, 0, v2
	s_waitcnt lgkmcnt(0)
	s_barrier
	s_and_saveexec_b64 s[0:1], vcc
	s_cbranch_execz .LBB191_59
; %bb.58:
	v_mov_b32_e32 v2, 0x90
	v_lshl_add_u32 v2, v0, 1, v2
	ds_read_b32 v2, v2
	s_waitcnt lgkmcnt(0)
	v_add_f32_e32 v1, v1, v2
.LBB191_59:
	s_or_b64 exec, exec, s[0:1]
	s_barrier
	s_and_saveexec_b64 s[0:1], vcc
	s_cbranch_execz .LBB191_61
; %bb.60:
	s_lshl_b32 s0, s8, 5
	s_ashr_i32 s1, s0, 31
	s_lshl_b64 s[0:1], s[0:1], 2
	s_add_u32 s2, s30, s0
	s_mul_i32 s0, s20, s28
	s_addc_u32 s3, s31, s1
	s_ashr_i32 s1, s0, 31
	s_lshl_b64 s[0:1], s[0:1], 2
	s_add_u32 s2, s2, s0
	s_addc_u32 s3, s3, s1
	s_lshl_b32 s0, s4, 5
	s_ashr_i32 s1, s0, 31
	s_lshl_b64 s[0:1], s[0:1], 2
	s_add_u32 s0, s2, s0
	s_addc_u32 s1, s3, s1
	v_lshlrev_b32_e32 v0, 1, v0
	global_store_dword v0, v1, s[0:1]
.LBB191_61:
	s_endpgm
	.section	.rodata,"a",@progbits
	.p2align	6, 0x0
	.amdhsa_kernel _ZN4vllm25paged_attention_v2_kernelIfhLi32ELi8ELi128ELNS_18Fp8KVCacheDataTypeE1ELb1ELi512EEEvPfS2_PT_PKS3_PKT0_S9_ifPKiSB_iPKfiiiSD_SD_iiiii
		.amdhsa_group_segment_fixed_size 144
		.amdhsa_private_segment_fixed_size 0
		.amdhsa_kernarg_size 400
		.amdhsa_user_sgpr_count 2
		.amdhsa_user_sgpr_dispatch_ptr 0
		.amdhsa_user_sgpr_queue_ptr 0
		.amdhsa_user_sgpr_kernarg_segment_ptr 1
		.amdhsa_user_sgpr_dispatch_id 0
		.amdhsa_user_sgpr_kernarg_preload_length 0
		.amdhsa_user_sgpr_kernarg_preload_offset 0
		.amdhsa_user_sgpr_private_segment_size 0
		.amdhsa_uses_dynamic_stack 0
		.amdhsa_enable_private_segment 0
		.amdhsa_system_sgpr_workgroup_id_x 1
		.amdhsa_system_sgpr_workgroup_id_y 1
		.amdhsa_system_sgpr_workgroup_id_z 1
		.amdhsa_system_sgpr_workgroup_info 0
		.amdhsa_system_vgpr_workitem_id 0
		.amdhsa_next_free_vgpr 36
		.amdhsa_next_free_sgpr 56
		.amdhsa_accum_offset 36
		.amdhsa_reserve_vcc 1
		.amdhsa_float_round_mode_32 0
		.amdhsa_float_round_mode_16_64 0
		.amdhsa_float_denorm_mode_32 3
		.amdhsa_float_denorm_mode_16_64 3
		.amdhsa_dx10_clamp 1
		.amdhsa_ieee_mode 1
		.amdhsa_fp16_overflow 0
		.amdhsa_tg_split 0
		.amdhsa_exception_fp_ieee_invalid_op 0
		.amdhsa_exception_fp_denorm_src 0
		.amdhsa_exception_fp_ieee_div_zero 0
		.amdhsa_exception_fp_ieee_overflow 0
		.amdhsa_exception_fp_ieee_underflow 0
		.amdhsa_exception_fp_ieee_inexact 0
		.amdhsa_exception_int_div_zero 0
	.end_amdhsa_kernel
	.section	.text._ZN4vllm25paged_attention_v2_kernelIfhLi32ELi8ELi128ELNS_18Fp8KVCacheDataTypeE1ELb1ELi512EEEvPfS2_PT_PKS3_PKT0_S9_ifPKiSB_iPKfiiiSD_SD_iiiii,"axG",@progbits,_ZN4vllm25paged_attention_v2_kernelIfhLi32ELi8ELi128ELNS_18Fp8KVCacheDataTypeE1ELb1ELi512EEEvPfS2_PT_PKS3_PKT0_S9_ifPKiSB_iPKfiiiSD_SD_iiiii,comdat
.Lfunc_end191:
	.size	_ZN4vllm25paged_attention_v2_kernelIfhLi32ELi8ELi128ELNS_18Fp8KVCacheDataTypeE1ELb1ELi512EEEvPfS2_PT_PKS3_PKT0_S9_ifPKiSB_iPKfiiiSD_SD_iiiii, .Lfunc_end191-_ZN4vllm25paged_attention_v2_kernelIfhLi32ELi8ELi128ELNS_18Fp8KVCacheDataTypeE1ELb1ELi512EEEvPfS2_PT_PKS3_PKT0_S9_ifPKiSB_iPKfiiiSD_SD_iiiii
                                        ; -- End function
	.section	.AMDGPU.csdata,"",@progbits
; Kernel info:
; codeLenInByte = 3976
; NumSgprs: 62
; NumVgprs: 36
; NumAgprs: 0
; TotalNumVgprs: 36
; ScratchSize: 0
; MemoryBound: 0
; FloatMode: 240
; IeeeMode: 1
; LDSByteSize: 144 bytes/workgroup (compile time only)
; SGPRBlocks: 7
; VGPRBlocks: 4
; NumSGPRsForWavesPerEU: 62
; NumVGPRsForWavesPerEU: 36
; AccumOffset: 36
; Occupancy: 8
; WaveLimiterHint : 1
; COMPUTE_PGM_RSRC2:SCRATCH_EN: 0
; COMPUTE_PGM_RSRC2:USER_SGPR: 2
; COMPUTE_PGM_RSRC2:TRAP_HANDLER: 0
; COMPUTE_PGM_RSRC2:TGID_X_EN: 1
; COMPUTE_PGM_RSRC2:TGID_Y_EN: 1
; COMPUTE_PGM_RSRC2:TGID_Z_EN: 1
; COMPUTE_PGM_RSRC2:TIDIG_COMP_CNT: 0
; COMPUTE_PGM_RSRC3_GFX90A:ACCUM_OFFSET: 8
; COMPUTE_PGM_RSRC3_GFX90A:TG_SPLIT: 0
	.section	.text._ZN4vllm25paged_attention_v2_kernelIfhLi64ELi8ELi128ELNS_18Fp8KVCacheDataTypeE1ELb1ELi512EEEvPfS2_PT_PKS3_PKT0_S9_ifPKiSB_iPKfiiiSD_SD_iiiii,"axG",@progbits,_ZN4vllm25paged_attention_v2_kernelIfhLi64ELi8ELi128ELNS_18Fp8KVCacheDataTypeE1ELb1ELi512EEEvPfS2_PT_PKS3_PKT0_S9_ifPKiSB_iPKfiiiSD_SD_iiiii,comdat
	.protected	_ZN4vllm25paged_attention_v2_kernelIfhLi64ELi8ELi128ELNS_18Fp8KVCacheDataTypeE1ELb1ELi512EEEvPfS2_PT_PKS3_PKT0_S9_ifPKiSB_iPKfiiiSD_SD_iiiii ; -- Begin function _ZN4vllm25paged_attention_v2_kernelIfhLi64ELi8ELi128ELNS_18Fp8KVCacheDataTypeE1ELb1ELi512EEEvPfS2_PT_PKS3_PKT0_S9_ifPKiSB_iPKfiiiSD_SD_iiiii
	.globl	_ZN4vllm25paged_attention_v2_kernelIfhLi64ELi8ELi128ELNS_18Fp8KVCacheDataTypeE1ELb1ELi512EEEvPfS2_PT_PKS3_PKT0_S9_ifPKiSB_iPKfiiiSD_SD_iiiii
	.p2align	8
	.type	_ZN4vllm25paged_attention_v2_kernelIfhLi64ELi8ELi128ELNS_18Fp8KVCacheDataTypeE1ELb1ELi512EEEvPfS2_PT_PKS3_PKT0_S9_ifPKiSB_iPKfiiiSD_SD_iiiii,@function
_ZN4vllm25paged_attention_v2_kernelIfhLi64ELi8ELi128ELNS_18Fp8KVCacheDataTypeE1ELb1ELi512EEEvPfS2_PT_PKS3_PKT0_S9_ifPKiSB_iPKfiiiSD_SD_iiiii: ; @_ZN4vllm25paged_attention_v2_kernelIfhLi64ELi8ELi128ELNS_18Fp8KVCacheDataTypeE1ELb1ELi512EEEvPfS2_PT_PKS3_PKT0_S9_ifPKiSB_iPKfiiiSD_SD_iiiii
; %bb.0:
	s_load_dwordx2 s[6:7], s[0:1], 0x40
	s_mov_b32 s36, s3
	s_ashr_i32 s37, s3, 31
	s_lshl_b64 s[8:9], s[36:37], 2
	s_waitcnt lgkmcnt(0)
	s_add_u32 s6, s6, s8
	s_addc_u32 s7, s7, s9
	s_load_dword s33, s[6:7], 0x0
	s_lshl_b32 s54, s4, 9
	s_waitcnt lgkmcnt(0)
	s_cmp_ge_i32 s54, s33
	s_cbranch_scc1 .LBB192_67
; %bb.1:
	s_load_dword s5, s[0:1], 0x90
	s_load_dwordx2 s[44:45], s[0:1], 0x30
	s_waitcnt lgkmcnt(0)
	s_abs_i32 s7, s5
	s_abs_i32 s3, s44
	v_cvt_f32_u32_e32 v1, s3
	s_sub_i32 s8, 0, s3
	s_xor_b32 s6, s5, s44
	s_ashr_i32 s6, s6, 31
	v_rcp_iflag_f32_e32 v1, v1
	s_nop 0
	v_mul_f32_e32 v1, 0x4f7ffffe, v1
	v_cvt_u32_f32_e32 v1, v1
	s_nop 0
	v_readfirstlane_b32 s9, v1
	s_mul_i32 s8, s8, s9
	s_mul_hi_u32 s8, s9, s8
	s_add_i32 s9, s9, s8
	s_mul_hi_u32 s8, s7, s9
	s_mul_i32 s9, s8, s3
	s_sub_i32 s7, s7, s9
	s_add_i32 s10, s8, 1
	s_sub_i32 s9, s7, s3
	s_cmp_ge_u32 s7, s3
	s_cselect_b32 s8, s10, s8
	s_cselect_b32 s7, s9, s7
	s_add_i32 s9, s8, 1
	s_cmp_ge_u32 s7, s3
	s_cselect_b32 s3, s9, s8
	s_xor_b32 s3, s3, s6
	s_sub_i32 s8, s3, s6
	s_abs_i32 s10, s8
	v_cvt_f32_u32_e32 v1, s10
	s_load_dwordx2 s[6:7], s[0:1], 0x50
	s_sub_i32 s9, 0, s10
	s_abs_i32 s11, s2
	v_rcp_iflag_f32_e32 v1, v1
	s_mov_b32 s3, 0
	v_mul_f32_e32 v1, 0x4f7ffffe, v1
	v_cvt_u32_f32_e32 v1, v1
	s_nop 0
	v_readfirstlane_b32 s12, v1
	s_mul_i32 s9, s9, s12
	s_mul_hi_u32 s9, s12, s9
	s_add_i32 s12, s12, s9
	s_waitcnt lgkmcnt(0)
	s_cmp_eq_u64 s[6:7], 0
	s_mul_hi_u32 s12, s11, s12
	s_cbranch_scc1 .LBB192_3
; %bb.2:
	s_ashr_i32 s3, s2, 31
	s_lshl_b64 s[14:15], s[2:3], 2
	s_add_u32 s6, s6, s14
	s_addc_u32 s7, s7, s15
	s_load_dword s3, s[6:7], 0x0
.LBB192_3:
	s_load_dwordx4 s[20:23], s[0:1], 0x58
	s_ashr_i32 s13, s2, 31
	s_ashr_i32 s16, s8, 31
	v_and_b32_e32 v2, 7, v0
	s_lshl_b32 s14, s2, 6
	v_cmp_gt_u32_e64 s[8:9], 64, v0
	v_lshlrev_b32_e32 v10, 2, v0
	v_lshrrev_b32_e32 v1, 1, v0
	s_and_saveexec_b64 s[6:7], s[8:9]
	s_cbranch_execz .LBB192_5
; %bb.4:
	s_load_dwordx2 s[18:19], s[0:1], 0x18
	s_waitcnt lgkmcnt(0)
	s_mul_i32 s24, s36, s20
	s_ashr_i32 s25, s24, 31
	s_lshl_b64 s[24:25], s[24:25], 2
	v_and_b32_e32 v4, 0x1fc, v1
	s_add_u32 s17, s18, s24
	s_addc_u32 s20, s19, s25
	s_ashr_i32 s15, s14, 31
	s_lshl_b64 s[18:19], s[14:15], 2
	s_add_u32 s18, s17, s18
	s_addc_u32 s19, s20, s19
	global_load_dword v3, v10, s[18:19]
	v_lshl_add_u32 v4, v2, 5, v4
	s_waitcnt vmcnt(0)
	ds_write_b32 v4, v3
.LBB192_5:
	s_or_b64 exec, exec, s[6:7]
	s_mul_i32 s7, s12, s10
	s_sub_i32 s7, s11, s7
	s_xor_b32 s6, s13, s16
	s_add_i32 s11, s12, 1
	s_sub_i32 s13, s7, s10
	s_load_dwordx4 s[24:27], s[0:1], 0x78
	s_cmp_ge_u32 s7, s10
	s_cselect_b32 s11, s11, s12
	s_cselect_b32 s7, s13, s7
	s_add_i32 s12, s11, 1
	s_cmp_ge_u32 s7, s10
	s_cselect_b32 s7, s12, s11
	s_load_dword s12, s[0:1], 0x88
	s_waitcnt lgkmcnt(0)
	s_abs_i32 s37, s27
	v_cvt_f32_u32_e32 v3, s37
	s_xor_b32 s7, s7, s6
	s_sub_i32 s53, s7, s6
	s_sub_i32 s6, 0, s37
	v_rcp_iflag_f32_e32 v3, v3
	s_add_i32 s13, s33, -1
	s_abs_i32 s10, s13
	v_mul_f32_e32 v3, 0x4f7ffffe, v3
	v_cvt_u32_f32_e32 v3, v3
	s_barrier
	v_readfirstlane_b32 s50, v3
	s_mul_i32 s6, s6, s50
	s_mul_hi_u32 s6, s50, s6
	s_add_i32 s50, s50, s6
	s_cmp_lt_i32 s12, 0
	s_mul_hi_u32 s11, s10, s50
	s_cbranch_scc0 .LBB192_7
; %bb.6:
	s_mul_i32 s6, s24, s44
	s_add_i32 s6, s53, s6
	s_mul_i32 s6, s6, s12
	s_sub_i32 s44, 1, s6
	s_mov_b64 s[6:7], 0
	s_branch .LBB192_8
.LBB192_7:
	s_mov_b64 s[6:7], -1
                                        ; implicit-def: $sgpr44
.LBB192_8:
	s_load_dwordx2 s[38:39], s[0:1], 0x38
	s_ashr_i32 s13, s13, 31
	s_andn2_b64 vcc, exec, s[6:7]
	s_ashr_i32 s27, s27, 31
	s_cbranch_vccnz .LBB192_10
; %bb.9:
	s_mul_i32 s6, s5, s24
	s_add_i32 s6, s6, s2
	s_mul_i32 s6, s6, s12
	s_add_i32 s44, s6, 1
.LBB192_10:
	s_load_dwordx2 s[42:43], s[0:1], 0x28
	s_load_dword s6, s[0:1], 0x48
	s_load_dwordx4 s[28:31], s[0:1], 0x0
	s_load_dwordx2 s[34:35], s[0:1], 0x10
	s_load_dword s15, s[0:1], 0x98
	s_load_dwordx4 s[16:19], s[0:1], 0x68
	s_mul_i32 s7, s11, s37
	s_waitcnt lgkmcnt(0)
	s_mul_i32 s40, s36, s6
	s_sub_i32 s7, s10, s7
	s_ashr_i32 s41, s40, 31
	s_xor_b32 s6, s13, s27
	s_add_i32 s10, s11, 1
	s_sub_i32 s12, s7, s37
	s_cmp_ge_u32 s7, s37
	s_cselect_b32 s10, s10, s11
	s_cselect_b32 s7, s12, s7
	s_add_i32 s11, s10, 1
	s_cmp_ge_u32 s7, s37
	s_cselect_b32 s7, s11, s10
	s_xor_b32 s7, s7, s6
	s_sub_i32 s52, s7, s6
	s_add_i32 s6, s33, 7
	s_ashr_i32 s7, s6, 31
	s_lshr_b32 s7, s7, 29
	s_add_i32 s6, s6, s7
	s_lshl_b32 s20, s4, 6
	s_ashr_i32 s51, s6, 3
	s_add_i32 s6, s20, 64
	v_lshrrev_b32_e32 v14, 6, v0
	s_min_i32 s24, s6, s51
	v_or_b32_e32 v6, s20, v14
	v_cmp_gt_i32_e64 s[6:7], s24, v6
	v_mov_b32_e32 v15, 0xff7fffff
	s_mul_i32 s53, s53, s22
	v_ashrrev_i32_e32 v7, 31, v6
	v_lshl_add_u32 v22, v14, 3, s54
	v_mbcnt_lo_u32_b32 v11, -1, 0
	s_and_saveexec_b64 s[22:23], s[6:7]
	s_cbranch_execz .LBB192_20
; %bb.11:
	s_load_dwordx2 s[0:1], s[0:1], 0x20
	s_sub_i32 s55, s52, s25
	s_ashr_i32 s11, s53, 31
	v_bfe_u32 v12, v0, 3, 3
	v_mov_b32_e32 v5, 0
	s_waitcnt lgkmcnt(0)
	s_add_u32 s10, s0, s53
	s_addc_u32 s11, s1, s11
	s_abs_i32 s56, s26
	v_cvt_f32_u32_e32 v3, s56
	v_lshlrev_b32_e32 v4, 4, v12
	v_lshlrev_b32_e32 v15, 2, v12
	v_lshl_or_b32 v15, v14, 5, v15
	v_rcp_iflag_f32_e32 v3, v3
	v_add_u32_e32 v18, 0x110, v15
	v_subrev_u32_e32 v15, s33, v12
	v_mbcnt_hi_u32_b32 v21, -1, v11
	v_mul_f32_e32 v3, 0x4f7ffffe, v3
	v_cvt_u32_f32_e32 v8, v3
	v_mov_b32_e32 v3, v5
	v_lshl_add_u64 v[4:5], s[10:11], 0, v[4:5]
	s_sub_i32 s10, 0, s56
	v_mul_lo_u32 v9, s10, v8
	s_lshl_b64 s[10:11], s[40:41], 2
	s_add_u32 s10, s38, s10
	v_mul_hi_u32 v9, v8, v9
	s_addc_u32 s11, s39, s11
	v_add_u32_e32 v19, 1, v15
	v_and_b32_e32 v15, 64, v21
	v_cmp_eq_u32_e32 vcc, 0, v2
	s_mov_b32 s57, s21
	v_lshlrev_b32_e32 v13, 5, v2
	v_cmp_neq_f32_e64 s[0:1], s3, 0
	v_add_u32_e32 v16, v8, v9
	v_lshl_add_u64 v[8:9], v[6:7], 2, s[10:11]
	v_lshl_add_u32 v17, v14, 3, s54
	s_mov_b64 s[46:47], 0
	v_mov_b32_e32 v20, 0xff7fffff
	v_add_u32_e32 v23, 64, v15
	v_xor_b32_e32 v24, 4, v21
	v_xor_b32_e32 v25, 2, v21
	;; [unrolled: 1-line block ×3, first 2 shown]
	v_mov_b32_e32 v15, 0xff7fffff
	v_mov_b32_e32 v27, v6
	s_branch .LBB192_14
.LBB192_12:                             ;   in Loop: Header=BB192_14 Depth=1
	s_or_b64 exec, exec, s[48:49]
.LBB192_13:                             ;   in Loop: Header=BB192_14 Depth=1
	s_or_b64 exec, exec, s[12:13]
	v_add_u32_e32 v27, 2, v27
	v_cmp_le_i32_e64 s[10:11], s24, v27
	v_lshl_add_u64 v[8:9], v[8:9], 0, 8
	v_add_u32_e32 v17, 16, v17
	s_or_b64 s[46:47], s[10:11], s[46:47]
	v_add_u32_e32 v18, 64, v18
	s_andn2_b64 exec, exec, s[46:47]
	s_cbranch_execz .LBB192_19
.LBB192_14:                             ; =>This Inner Loop Header: Depth=1
	s_waitcnt lgkmcnt(0)
	v_sub_u32_e32 v29, 0, v17
	v_max_i32_e32 v29, v17, v29
	v_mul_hi_u32 v30, v29, s50
	v_mul_lo_u32 v31, v30, s37
	v_sub_u32_e32 v29, v29, v31
	v_add_u32_e32 v31, 1, v30
	v_cmp_le_u32_e64 s[10:11], s37, v29
	v_ashrrev_i32_e32 v28, 31, v17
	v_xor_b32_e32 v28, s27, v28
	v_cndmask_b32_e64 v30, v30, v31, s[10:11]
	v_subrev_u32_e32 v31, s37, v29
	v_cndmask_b32_e64 v29, v29, v31, s[10:11]
	v_add_u32_e32 v31, 1, v30
	v_cmp_le_u32_e64 s[10:11], s37, v29
	s_nop 1
	v_cndmask_b32_e64 v29, v30, v31, s[10:11]
	v_xor_b32_e32 v29, v29, v28
	v_sub_u32_e32 v28, v29, v28
	v_add_u32_e32 v29, s44, v28
	v_sub_u32_e32 v31, 0, v29
	v_ashrrev_i32_e32 v30, 31, v29
	v_max_i32_e32 v29, v29, v31
	v_mul_hi_u32 v31, v29, v16
	v_mul_lo_u32 v31, v31, s56
	v_sub_u32_e32 v29, v29, v31
	v_subrev_u32_e32 v31, s56, v29
	v_cmp_le_u32_e64 s[10:11], s56, v29
	v_cmp_ge_i32_e64 s[12:13], s55, v28
	s_nop 0
	v_cndmask_b32_e64 v29, v29, v31, s[10:11]
	v_subrev_u32_e32 v31, s56, v29
	v_cmp_le_u32_e64 s[10:11], s56, v29
	s_nop 1
	v_cndmask_b32_e64 v29, v29, v31, s[10:11]
	v_xor_b32_e32 v29, v29, v30
	v_sub_u32_e32 v29, v29, v30
	v_cmp_ne_u32_e64 s[10:11], 0, v29
	s_and_b64 s[10:11], s[10:11], s[12:13]
	s_and_b64 s[48:49], vcc, s[10:11]
	s_and_saveexec_b64 s[12:13], s[48:49]
	s_cbranch_execz .LBB192_16
; %bb.15:                               ;   in Loop: Header=BB192_14 Depth=1
	ds_write_b32 v18, v20
.LBB192_16:                             ;   in Loop: Header=BB192_14 Depth=1
	s_or_b64 exec, exec, s[12:13]
	s_xor_b64 s[10:11], s[10:11], -1
	s_and_saveexec_b64 s[12:13], s[10:11]
	s_cbranch_execz .LBB192_13
; %bb.17:                               ;   in Loop: Header=BB192_14 Depth=1
	global_load_dword v28, v[8:9], off
	s_waitcnt vmcnt(0)
	v_mad_i64_i32 v[28:29], s[10:11], v28, s57, v[4:5]
	v_lshl_add_u64 v[28:29], v[28:29], 0, v[2:3]
	global_load_ubyte v36, v[28:29], off
	global_load_ubyte v37, v[28:29], off offset:8
	global_load_ubyte v38, v[28:29], off offset:128
	global_load_ubyte v39, v[28:29], off offset:136
	global_load_ubyte v40, v[28:29], off offset:256
	global_load_ubyte v41, v[28:29], off offset:264
	global_load_ubyte v42, v[28:29], off offset:384
	global_load_ubyte v43, v[28:29], off offset:392
	v_cmp_lt_i32_e64 s[10:11], v24, v23
	ds_read_b128 v[28:31], v13
	ds_read_b128 v[32:35], v13 offset:16
	v_cndmask_b32_e64 v44, v21, v24, s[10:11]
	s_load_dword s10, s[16:17], 0x0
	v_lshlrev_b32_e32 v44, 2, v44
	s_waitcnt vmcnt(7)
	v_cvt_f32_fp8_sdwa v36, v36 src0_sel:BYTE_0
	s_waitcnt vmcnt(6)
	v_cvt_f32_fp8_sdwa v37, v37 src0_sel:BYTE_0
	s_waitcnt vmcnt(5)
	v_cvt_f32_fp8_sdwa v38, v38 src0_sel:BYTE_0
	s_waitcnt vmcnt(4)
	v_cvt_f32_fp8_sdwa v39, v39 src0_sel:BYTE_0
	s_waitcnt vmcnt(3)
	v_cvt_f32_fp8_sdwa v40, v40 src0_sel:BYTE_0
	s_waitcnt lgkmcnt(0)
	v_mul_f32_e32 v37, s10, v37
	s_waitcnt vmcnt(2)
	v_cvt_f32_fp8_sdwa v41, v41 src0_sel:BYTE_0
	v_mul_f32_e32 v36, s10, v36
	v_mul_f32_e32 v29, v29, v37
	s_waitcnt vmcnt(1)
	v_cvt_f32_fp8_sdwa v42, v42 src0_sel:BYTE_0
	v_mul_f32_e32 v38, s10, v38
	v_fmac_f32_e32 v29, v28, v36
	s_waitcnt vmcnt(0)
	v_cvt_f32_fp8_sdwa v43, v43 src0_sel:BYTE_0
	v_mul_f32_e32 v39, s10, v39
	v_fmac_f32_e32 v29, v30, v38
	v_mul_f32_e32 v40, s10, v40
	v_fmac_f32_e32 v29, v31, v39
	v_mul_f32_e32 v41, s10, v41
	v_fmac_f32_e32 v29, v32, v40
	v_mul_f32_e32 v42, s10, v42
	v_fmac_f32_e32 v29, v33, v41
	v_mul_f32_e32 v43, s10, v43
	v_fmac_f32_e32 v29, v34, v42
	v_fmac_f32_e32 v29, v35, v43
	ds_bpermute_b32 v28, v44, v29
	v_cmp_lt_i32_e64 s[10:11], v25, v23
	s_waitcnt lgkmcnt(0)
	v_add_f32_e32 v28, v29, v28
	v_cndmask_b32_e64 v30, v21, v25, s[10:11]
	v_lshlrev_b32_e32 v30, 2, v30
	ds_bpermute_b32 v29, v30, v28
	v_cmp_lt_i32_e64 s[10:11], v26, v23
	s_waitcnt lgkmcnt(0)
	v_add_f32_e32 v28, v28, v29
	v_cndmask_b32_e64 v30, v21, v26, s[10:11]
	v_lshlrev_b32_e32 v30, 2, v30
	ds_bpermute_b32 v29, v30, v28
	s_and_saveexec_b64 s[48:49], vcc
	s_cbranch_execz .LBB192_12
; %bb.18:                               ;   in Loop: Header=BB192_14 Depth=1
	v_add_u32_e32 v30, v19, v17
	v_cvt_f32_i32_e32 v30, v30
	s_waitcnt lgkmcnt(0)
	v_add_f32_e32 v28, v28, v29
	v_add_u32_e32 v31, v12, v17
	v_cmp_gt_i32_e64 s[10:11], s33, v31
	v_mul_f32_e32 v29, s3, v30
	v_cndmask_b32_e64 v29, 0, v29, s[0:1]
	v_fmac_f32_e32 v29, s45, v28
	v_cndmask_b32_e64 v28, 0, v29, s[10:11]
	ds_write_b32 v18, v28
	v_max_f32_e32 v28, v15, v15
	v_max_f32_e32 v28, v28, v29
	v_cndmask_b32_e64 v15, v15, v28, s[10:11]
	s_branch .LBB192_12
.LBB192_19:
	s_or_b64 exec, exec, s[46:47]
.LBB192_20:
	s_or_b64 exec, exec, s[22:23]
	v_mbcnt_hi_u32_b32 v2, -1, v11
	v_and_b32_e32 v3, 64, v2
	v_add_u32_e32 v3, 64, v3
	v_xor_b32_e32 v4, 32, v2
	v_cmp_lt_i32_e32 vcc, v4, v3
	v_xor_b32_e32 v9, 16, v2
	v_max_f32_e32 v5, v15, v15
	v_cndmask_b32_e32 v4, v2, v4, vcc
	v_lshlrev_b32_e32 v8, 2, v4
	ds_bpermute_b32 v4, v8, v15
	v_cmp_lt_i32_e32 vcc, v9, v3
	v_and_b32_e32 v23, 63, v0
	s_waitcnt lgkmcnt(0)
	v_max_f32_e32 v4, v4, v4
	v_max_f32_e32 v4, v5, v4
	v_cndmask_b32_e32 v5, v2, v9, vcc
	v_lshlrev_b32_e32 v11, 2, v5
	ds_bpermute_b32 v5, v11, v4
	v_xor_b32_e32 v9, 8, v2
	v_cmp_lt_i32_e32 vcc, v9, v3
	s_waitcnt lgkmcnt(0)
	v_max_f32_e32 v5, v5, v5
	v_max_f32_e32 v4, v4, v5
	v_cndmask_b32_e32 v5, v2, v9, vcc
	v_lshlrev_b32_e32 v12, 2, v5
	ds_bpermute_b32 v9, v12, v4
	v_cmp_eq_u32_e32 vcc, 0, v23
	v_lshlrev_b32_e32 v5, 2, v14
	s_and_saveexec_b64 s[0:1], vcc
	s_cbranch_execz .LBB192_22
; %bb.21:
	s_waitcnt lgkmcnt(0)
	v_max_f32_e32 v9, v9, v9
	v_max_f32_e32 v4, v4, v4
	;; [unrolled: 1-line block ×3, first 2 shown]
	ds_write_b32 v5, v4 offset:256
.LBB192_22:
	s_or_b64 exec, exec, s[0:1]
	v_cmp_gt_u32_e64 s[0:1], 2, v23
	v_mov_b32_e32 v4, 0xff7fffff
	s_waitcnt lgkmcnt(0)
	v_lshlrev_b32_e32 v9, 2, v23
	s_barrier
	s_and_saveexec_b64 s[10:11], s[0:1]
	s_cbranch_execz .LBB192_24
; %bb.23:
	ds_read_b32 v4, v9 offset:256
.LBB192_24:
	s_or_b64 exec, exec, s[10:11]
	v_xor_b32_e32 v13, 1, v2
	v_cmp_lt_i32_e64 s[10:11], v13, v3
	s_sub_i32 s3, s24, s20
	s_lshl_b32 s3, s3, 3
	v_cndmask_b32_e64 v13, v2, v13, s[10:11]
	v_lshlrev_b32_e32 v24, 2, v13
	s_waitcnt lgkmcnt(0)
	ds_bpermute_b32 v13, v24, v4
	v_max_f32_e32 v4, v4, v4
	s_add_i32 s3, s3, s54
	s_min_i32 s45, s3, s33
	s_sub_i32 s3, s45, s54
	s_waitcnt lgkmcnt(0)
	v_max_f32_e32 v13, v13, v13
	v_max_f32_e32 v4, v4, v13
	v_lshlrev_b32_e32 v13, 2, v2
	v_and_b32_e32 v13, 0x100, v13
	ds_bpermute_b32 v4, v13, v4
	v_cmp_gt_i32_e64 s[10:11], s3, v0
	v_mov_b32_e32 v15, 0
	s_and_saveexec_b64 s[16:17], s[10:11]
	s_cbranch_execz .LBB192_28
; %bb.25:
	v_mov_b32_e32 v15, 0x110
	v_lshl_add_u32 v16, v0, 2, v15
	s_mov_b64 s[22:23], 0
	v_mov_b32_e32 v15, 0
	v_mov_b32_e32 v17, v0
.LBB192_26:                             ; =>This Inner Loop Header: Depth=1
	ds_read_b32 v18, v16
	v_add_u32_e32 v17, 0x80, v17
	v_cmp_le_i32_e64 s[12:13], s3, v17
	s_or_b64 s[22:23], s[12:13], s[22:23]
	s_waitcnt lgkmcnt(0)
	v_sub_f32_e32 v18, v18, v4
	v_mul_f32_e32 v18, 0x3fb8aa3b, v18
	v_exp_f32_e32 v18, v18
	ds_write_b32 v16, v18
	v_add_f32_e32 v15, v15, v18
	v_add_u32_e32 v16, 0x200, v16
	s_andn2_b64 exec, exec, s[22:23]
	s_cbranch_execnz .LBB192_26
; %bb.27:
	s_or_b64 exec, exec, s[22:23]
.LBB192_28:
	s_or_b64 exec, exec, s[16:17]
	ds_bpermute_b32 v8, v8, v15
	s_waitcnt lgkmcnt(0)
	v_add_f32_e32 v8, v15, v8
	ds_bpermute_b32 v11, v11, v8
	s_waitcnt lgkmcnt(0)
	v_add_f32_e32 v8, v8, v11
	ds_bpermute_b32 v11, v12, v8
	v_xor_b32_e32 v12, 4, v2
	v_cmp_lt_i32_e64 s[12:13], v12, v3
	s_waitcnt lgkmcnt(0)
	v_add_f32_e32 v8, v8, v11
	v_cndmask_b32_e64 v12, v2, v12, s[12:13]
	v_lshlrev_b32_e32 v12, 2, v12
	ds_bpermute_b32 v11, v12, v8
	v_xor_b32_e32 v12, 2, v2
	v_cmp_lt_i32_e64 s[12:13], v12, v3
	s_waitcnt lgkmcnt(0)
	v_add_f32_e32 v3, v8, v11
	v_cndmask_b32_e64 v2, v2, v12, s[12:13]
	v_lshlrev_b32_e32 v2, 2, v2
	ds_bpermute_b32 v2, v2, v3
	s_waitcnt lgkmcnt(0)
	v_add_f32_e32 v2, v3, v2
	ds_bpermute_b32 v3, v24, v2
	s_waitcnt lgkmcnt(0)
	v_add_f32_e32 v2, v2, v3
	s_and_saveexec_b64 s[12:13], vcc
	s_cbranch_execz .LBB192_30
; %bb.29:
	ds_write_b32 v5, v2 offset:264
.LBB192_30:
	s_or_b64 exec, exec, s[12:13]
	s_waitcnt lgkmcnt(0)
	s_barrier
	s_and_saveexec_b64 s[12:13], s[0:1]
	s_cbranch_execz .LBB192_32
; %bb.31:
	ds_read_b32 v2, v9 offset:264
.LBB192_32:
	s_or_b64 exec, exec, s[12:13]
	s_waitcnt lgkmcnt(0)
	ds_bpermute_b32 v3, v24, v2
	s_waitcnt lgkmcnt(0)
	v_add_f32_e32 v2, v2, v3
	ds_bpermute_b32 v5, v13, v2
	s_and_saveexec_b64 s[0:1], s[10:11]
	s_cbranch_execz .LBB192_45
; %bb.33:
	s_waitcnt lgkmcnt(0)
	v_add_f32_e32 v2, 0x358637bd, v5
	v_div_scale_f32 v3, s[10:11], v2, v2, 1.0
	v_rcp_f32_e32 v8, v3
	v_div_scale_f32 v9, vcc, 1.0, v2, 1.0
	s_movk_i32 s10, 0x7f
	v_fma_f32 v11, -v3, v8, 1.0
	v_fmac_f32_e32 v8, v11, v8
	v_mul_f32_e32 v11, v9, v8
	v_fma_f32 v12, -v3, v11, v9
	v_fmac_f32_e32 v11, v12, v8
	v_fma_f32 v3, -v3, v11, v9
	v_div_fmas_f32 v3, v3, v8, v11
	v_div_fixup_f32 v2, v3, v2, 1.0
	v_xad_u32 v3, v0, -1, s45
	v_subrev_u32_e32 v8, s54, v3
	v_cmp_lt_u32_e32 vcc, s10, v8
	s_mov_b64 s[12:13], -1
	v_mov_b32_e32 v3, v0
	s_and_saveexec_b64 s[10:11], vcc
	s_cbranch_execz .LBB192_42
; %bb.34:
	v_lshrrev_b32_e32 v8, 7, v8
	v_add_u32_e32 v11, -1, v8
	v_lshrrev_b32_e32 v9, 1, v11
	v_mov_b32_e32 v3, v2
	v_add_u32_e32 v9, 1, v9
	v_cmp_lt_u32_e32 vcc, 13, v11
	v_mov_b32_e32 v13, 0
	s_and_saveexec_b64 s[12:13], vcc
	s_cbranch_execz .LBB192_38
; %bb.35:
	v_mov_b32_e32 v12, 0x110
	v_and_b32_e32 v11, -8, v9
	v_lshl_add_u32 v12, v0, 2, v12
	s_mov_b32 s22, 0
	s_mov_b64 s[16:17], 0
.LBB192_36:                             ; =>This Inner Loop Header: Depth=1
	ds_read2st64_b32 v[16:17], v12 offset1:2
	ds_read2st64_b32 v[18:19], v12 offset0:4 offset1:6
	ds_read2st64_b32 v[20:21], v12 offset0:8 offset1:10
	;; [unrolled: 1-line block ×3, first 2 shown]
	v_add_u32_e32 v11, -8, v11
	s_waitcnt lgkmcnt(3)
	v_pk_mul_f32 v[16:17], v[2:3], v[16:17]
	s_waitcnt lgkmcnt(2)
	v_pk_mul_f32 v[18:19], v[2:3], v[18:19]
	ds_write2st64_b32 v12, v16, v17 offset1:2
	ds_write2st64_b32 v12, v18, v19 offset0:4 offset1:6
	ds_read2st64_b32 v[18:19], v12 offset0:16 offset1:18
	s_waitcnt lgkmcnt(4)
	v_pk_mul_f32 v[16:17], v[2:3], v[20:21]
	ds_write2st64_b32 v12, v16, v17 offset0:8 offset1:10
	s_waitcnt lgkmcnt(4)
	v_pk_mul_f32 v[16:17], v[2:3], v[26:27]
	ds_write2st64_b32 v12, v16, v17 offset0:12 offset1:14
	ds_read2st64_b32 v[16:17], v12 offset0:20 offset1:22
	s_waitcnt lgkmcnt(3)
	v_pk_mul_f32 v[18:19], v[2:3], v[18:19]
	ds_read2st64_b32 v[20:21], v12 offset0:24 offset1:26
	ds_write2st64_b32 v12, v18, v19 offset0:16 offset1:18
	ds_read2st64_b32 v[18:19], v12 offset0:28 offset1:30
	s_waitcnt lgkmcnt(3)
	v_pk_mul_f32 v[16:17], v[2:3], v[16:17]
	ds_write2st64_b32 v12, v16, v17 offset0:20 offset1:22
	s_waitcnt lgkmcnt(3)
	v_pk_mul_f32 v[16:17], v[2:3], v[20:21]
	ds_write2st64_b32 v12, v16, v17 offset0:24 offset1:26
	s_waitcnt lgkmcnt(2)
	v_pk_mul_f32 v[16:17], v[2:3], v[18:19]
	s_add_i32 s22, s22, 16
	v_cmp_eq_u32_e32 vcc, 0, v11
	ds_write2st64_b32 v12, v16, v17 offset0:28 offset1:30
	v_add_u32_e32 v12, 0x2000, v12
	s_or_b64 s[16:17], vcc, s[16:17]
	v_mov_b32_e32 v13, s22
	s_andn2_b64 exec, exec, s[16:17]
	s_cbranch_execnz .LBB192_36
; %bb.37:
	s_or_b64 exec, exec, s[16:17]
.LBB192_38:
	s_or_b64 exec, exec, s[12:13]
	v_and_b32_e32 v9, 7, v9
	v_cmp_ne_u32_e32 vcc, 0, v9
	s_and_saveexec_b64 s[12:13], vcc
	s_cbranch_execz .LBB192_41
; %bb.39:
	v_lshlrev_b32_e32 v11, 9, v13
	s_movk_i32 s16, 0x110
	v_add3_u32 v11, v11, v10, s16
	s_mov_b64 s[16:17], 0
.LBB192_40:                             ; =>This Inner Loop Header: Depth=1
	ds_read2st64_b32 v[12:13], v11 offset1:2
	v_add_u32_e32 v9, -1, v9
	v_cmp_eq_u32_e32 vcc, 0, v9
	s_or_b64 s[16:17], vcc, s[16:17]
	s_waitcnt lgkmcnt(0)
	v_pk_mul_f32 v[12:13], v[2:3], v[12:13]
	ds_write2st64_b32 v11, v12, v13 offset1:2
	v_add_u32_e32 v11, 0x400, v11
	s_andn2_b64 exec, exec, s[16:17]
	s_cbranch_execnz .LBB192_40
.LBB192_41:
	s_or_b64 exec, exec, s[12:13]
	v_add_u32_e32 v8, 1, v8
	v_and_b32_e32 v9, 0x3fffffe, v8
	v_cmp_ne_u32_e32 vcc, v8, v9
	v_lshl_add_u32 v3, v9, 7, v0
	s_orn2_b64 s[12:13], vcc, exec
.LBB192_42:
	s_or_b64 exec, exec, s[10:11]
	s_and_b64 exec, exec, s[12:13]
	s_cbranch_execz .LBB192_45
; %bb.43:
	v_mov_b32_e32 v8, 0x110
	v_lshl_add_u32 v8, v3, 2, v8
	s_mov_b64 s[10:11], 0
.LBB192_44:                             ; =>This Inner Loop Header: Depth=1
	ds_read_b32 v9, v8
	v_add_u32_e32 v3, 0x80, v3
	v_cmp_le_i32_e32 vcc, s3, v3
	s_or_b64 s[10:11], vcc, s[10:11]
	s_waitcnt lgkmcnt(0)
	v_mul_f32_e32 v9, v2, v9
	ds_write_b32 v8, v9
	v_add_u32_e32 v8, 0x200, v8
	s_andn2_b64 exec, exec, s[10:11]
	s_cbranch_execnz .LBB192_44
.LBB192_45:
	s_or_b64 exec, exec, s[0:1]
	s_mul_i32 s0, s15, s36
	v_cmp_eq_u32_e32 vcc, 0, v0
	s_mul_i32 s10, s0, s5
	s_waitcnt lgkmcnt(0)
	s_barrier
	s_and_saveexec_b64 s[0:1], vcc
	s_cbranch_execz .LBB192_47
; %bb.46:
	s_ashr_i32 s11, s10, 31
	s_lshl_b64 s[12:13], s[10:11], 2
	s_add_u32 s5, s30, s12
	s_mul_i32 s2, s15, s2
	s_addc_u32 s11, s31, s13
	s_ashr_i32 s3, s2, 31
	s_lshl_b64 s[2:3], s[2:3], 2
	s_add_u32 s16, s5, s2
	s_addc_u32 s11, s11, s3
	s_ashr_i32 s5, s4, 31
	s_lshl_b64 s[4:5], s[4:5], 2
	s_add_u32 s16, s16, s4
	s_addc_u32 s17, s11, s5
	s_add_u32 s11, s28, s12
	s_addc_u32 s12, s29, s13
	;; [unrolled: 2-line block ×3, first 2 shown]
	s_add_u32 s2, s2, s4
	v_mov_b32_e32 v2, 0
	s_addc_u32 s3, s3, s5
	global_store_dword v2, v4, s[16:17]
	global_store_dword v2, v5, s[2:3]
.LBB192_47:
	s_or_b64 exec, exec, s[0:1]
	v_mov_b32_e32 v9, 0
	v_and_b32_e32 v25, 1, v0
	v_mov_b32_e32 v8, 0
	s_and_saveexec_b64 s[2:3], s[6:7]
	s_cbranch_execz .LBB192_57
; %bb.48:
	s_sub_i32 s11, s52, s25
	s_ashr_i32 s1, s53, 31
	s_add_u32 s0, s42, s53
	s_addc_u32 s1, s43, s1
	s_abs_i32 s22, s26
	v_cvt_f32_u32_e32 v2, s22
	s_sub_i32 s4, 0, s22
	v_and_b32_e32 v8, 0xfc, v10
	v_mov_b32_e32 v9, 0
	v_rcp_iflag_f32_e32 v2, v2
	v_and_b32_e32 v26, 4, v10
	s_add_i32 s51, s51, -1
	v_lshl_add_u64 v[10:11], s[0:1], 0, v[8:9]
	v_mul_f32_e32 v2, 0x4f7ffffe, v2
	v_cvt_u32_f32_e32 v2, v2
	s_lshl_b64 s[0:1], s[40:41], 2
	s_add_u32 s0, s38, s0
	s_addc_u32 s1, s39, s1
	v_mul_lo_u32 v3, s4, v2
	v_mul_hi_u32 v3, v2, v3
	v_add_u32_e32 v27, v2, v3
	v_lshlrev_b32_e32 v2, 4, v25
	v_lshl_or_b32 v2, v14, 5, v2
	v_lshl_add_u64 v[12:13], v[6:7], 2, s[0:1]
	v_add_u32_e32 v7, 0x110, v2
	s_mov_b64 s[4:5], 0
	v_mov_b32_e32 v8, v9
	s_branch .LBB192_51
.LBB192_49:                             ;   in Loop: Header=BB192_51 Depth=1
	s_or_b64 exec, exec, s[0:1]
	v_mul_f32_e32 v17, v3, v17
	v_mul_f32_e32 v3, v3, v21
	v_fmac_f32_e32 v17, v2, v16
	v_fmac_f32_e32 v3, v2, v20
	;; [unrolled: 1-line block ×6, first 2 shown]
	v_add_f32_e32 v8, v8, v17
	v_add_f32_e32 v9, v9, v3
.LBB192_50:                             ;   in Loop: Header=BB192_51 Depth=1
	s_or_b64 exec, exec, s[6:7]
	v_add_u32_e32 v6, 2, v6
	v_cmp_le_i32_e32 vcc, s24, v6
	v_lshl_add_u64 v[12:13], v[12:13], 0, 8
	v_add_u32_e32 v22, 16, v22
	s_or_b64 s[4:5], vcc, s[4:5]
	v_add_u32_e32 v7, 64, v7
	s_andn2_b64 exec, exec, s[4:5]
	s_cbranch_execz .LBB192_56
.LBB192_51:                             ; =>This Inner Loop Header: Depth=1
	v_sub_u32_e32 v3, 0, v22
	v_max_i32_e32 v3, v22, v3
	v_mul_hi_u32 v4, v3, s50
	v_mul_lo_u32 v5, v4, s37
	v_sub_u32_e32 v3, v3, v5
	v_add_u32_e32 v5, 1, v4
	v_cmp_le_u32_e32 vcc, s37, v3
	v_ashrrev_i32_e32 v2, 31, v22
	v_xor_b32_e32 v2, s27, v2
	v_cndmask_b32_e32 v4, v4, v5, vcc
	v_subrev_u32_e32 v5, s37, v3
	v_cndmask_b32_e32 v3, v3, v5, vcc
	v_add_u32_e32 v5, 1, v4
	v_cmp_le_u32_e32 vcc, s37, v3
	s_nop 1
	v_cndmask_b32_e32 v3, v4, v5, vcc
	v_xor_b32_e32 v3, v3, v2
	v_sub_u32_e32 v2, v3, v2
	v_add_u32_e32 v3, s44, v2
	v_sub_u32_e32 v5, 0, v3
	v_ashrrev_i32_e32 v4, 31, v3
	v_max_i32_e32 v3, v3, v5
	v_mul_hi_u32 v5, v3, v27
	v_mul_lo_u32 v5, v5, s22
	v_sub_u32_e32 v3, v3, v5
	v_subrev_u32_e32 v5, s22, v3
	v_cmp_le_u32_e32 vcc, s22, v3
	v_cmp_lt_i32_e64 s[0:1], s11, v2
	s_nop 0
	v_cndmask_b32_e32 v3, v3, v5, vcc
	v_subrev_u32_e32 v5, s22, v3
	v_cmp_le_u32_e32 vcc, s22, v3
	s_nop 1
	v_cndmask_b32_e32 v3, v3, v5, vcc
	v_xor_b32_e32 v3, v3, v4
	v_sub_u32_e32 v3, v3, v4
	v_cmp_eq_u32_e32 vcc, 0, v3
	s_or_b64 s[0:1], vcc, s[0:1]
	s_and_saveexec_b64 s[6:7], s[0:1]
	s_cbranch_execz .LBB192_50
; %bb.52:                               ;   in Loop: Header=BB192_51 Depth=1
	global_load_dword v2, v[12:13], off
	s_load_dword s12, s[18:19], 0x0
	v_add_u32_e32 v28, v26, v22
	v_cmp_eq_u32_e32 vcc, s51, v6
	v_add_u32_e32 v30, 1, v28
	v_add_u32_e32 v29, 2, v28
	;; [unrolled: 1-line block ×3, first 2 shown]
	s_waitcnt vmcnt(0)
	v_mad_i64_i32 v[18:19], s[0:1], v2, s21, v[10:11]
	global_load_dword v14, v[18:19], off
	ds_read_b128 v[2:5], v7
	s_waitcnt vmcnt(0)
	v_and_b32_e32 v15, 0xffff, v14
	v_lshrrev_b32_e32 v16, 16, v14
	v_cvt_pk_f32_fp8_e32 v[14:15], v15
	v_cvt_pk_f32_fp8_e32 v[20:21], v16
	s_waitcnt lgkmcnt(0)
	v_pk_mul_f32 v[16:17], s[12:13], v[14:15] op_sel_hi:[0,1]
	v_pk_mul_f32 v[14:15], s[12:13], v[20:21] op_sel_hi:[0,1]
	s_and_saveexec_b64 s[16:17], vcc
; %bb.53:                               ;   in Loop: Header=BB192_51 Depth=1
	v_cmp_gt_i32_e64 s[0:1], s33, v28
	s_nop 1
	v_cndmask_b32_e64 v16, 0, v16, s[0:1]
	v_cmp_gt_i32_e64 s[0:1], s33, v30
	s_nop 1
	v_cndmask_b32_e64 v17, 0, v17, s[0:1]
	;; [unrolled: 3-line block ×4, first 2 shown]
; %bb.54:                               ;   in Loop: Header=BB192_51 Depth=1
	s_or_b64 exec, exec, s[16:17]
	global_load_dword v18, v[18:19], off offset:256
	s_mov_b32 s13, s12
	s_waitcnt vmcnt(0)
	v_and_b32_e32 v19, 0xffff, v18
	v_lshrrev_b32_e32 v20, 16, v18
	v_cvt_pk_f32_fp8_e32 v[18:19], v19
	v_cvt_pk_f32_fp8_e32 v[32:33], v20
	v_pk_mul_f32 v[20:21], s[12:13], v[18:19]
	v_pk_mul_f32 v[18:19], s[12:13], v[32:33]
	s_and_saveexec_b64 s[0:1], vcc
	s_cbranch_execz .LBB192_49
; %bb.55:                               ;   in Loop: Header=BB192_51 Depth=1
	v_cmp_gt_i32_e32 vcc, s33, v28
	s_nop 1
	v_cndmask_b32_e32 v20, 0, v20, vcc
	v_cmp_gt_i32_e32 vcc, s33, v30
	s_nop 1
	v_cndmask_b32_e32 v21, 0, v21, vcc
	;; [unrolled: 3-line block ×4, first 2 shown]
	s_branch .LBB192_49
.LBB192_56:
	s_or_b64 exec, exec, s[4:5]
.LBB192_57:
	s_or_b64 exec, exec, s[2:3]
	ds_bpermute_b32 v2, v24, v8
	ds_bpermute_b32 v3, v24, v9
	v_and_b32_e32 v4, 0x3c1, v0
	v_cmp_eq_u32_e32 vcc, 64, v4
	s_waitcnt lgkmcnt(0)
	s_barrier
	v_pk_add_f32 v[2:3], v[8:9], v[2:3]
	s_and_saveexec_b64 s[0:1], vcc
	s_cbranch_execz .LBB192_59
; %bb.58:
	v_mov_b32_e32 v5, 0x110
	v_lshl_add_u32 v5, v23, 1, v5
	ds_write2_b32 v5, v2, v3 offset1:32
.LBB192_59:
	s_or_b64 exec, exec, s[0:1]
	s_waitcnt lgkmcnt(0)
	s_barrier
	s_and_saveexec_b64 s[0:1], s[8:9]
	s_cbranch_execz .LBB192_65
; %bb.60:
	v_cmp_eq_u32_e32 vcc, 0, v25
	s_and_saveexec_b64 s[2:3], vcc
	s_cbranch_execz .LBB192_62
; %bb.61:
	v_mov_b32_e32 v5, 0x110
	v_lshl_add_u32 v5, v1, 2, v5
	ds_read_b32 v5, v5
	s_waitcnt lgkmcnt(0)
	v_add_f32_e32 v2, v2, v5
.LBB192_62:
	s_or_b64 exec, exec, s[2:3]
	s_and_saveexec_b64 s[2:3], vcc
	s_cbranch_execz .LBB192_64
; %bb.63:
	v_mov_b32_e32 v5, 0x110
	v_lshl_add_u32 v1, v1, 2, v5
	ds_read_b32 v1, v1 offset:128
	s_waitcnt lgkmcnt(0)
	v_add_f32_e32 v3, v3, v1
.LBB192_64:
	s_or_b64 exec, exec, s[2:3]
.LBB192_65:
	s_or_b64 exec, exec, s[0:1]
	v_cmp_eq_u32_e32 vcc, 0, v4
	s_barrier
	s_and_saveexec_b64 s[0:1], vcc
	s_cbranch_execz .LBB192_67
; %bb.66:
	s_lshl_b32 s0, s10, 6
	s_ashr_i32 s1, s0, 31
	s_lshl_b64 s[0:1], s[0:1], 2
	s_add_u32 s2, s34, s0
	s_mul_i32 s0, s15, s14
	s_addc_u32 s3, s35, s1
	s_ashr_i32 s1, s0, 31
	s_lshl_b64 s[0:1], s[0:1], 2
	s_add_u32 s2, s2, s0
	s_addc_u32 s3, s3, s1
	s_ashr_i32 s21, s20, 31
	s_lshl_b64 s[0:1], s[20:21], 2
	s_add_u32 s0, s2, s0
	s_addc_u32 s1, s3, s1
	v_lshlrev_b32_e32 v0, 1, v0
	global_store_dword v0, v2, s[0:1]
	global_store_dword v0, v3, s[0:1] offset:128
.LBB192_67:
	s_endpgm
	.section	.rodata,"a",@progbits
	.p2align	6, 0x0
	.amdhsa_kernel _ZN4vllm25paged_attention_v2_kernelIfhLi64ELi8ELi128ELNS_18Fp8KVCacheDataTypeE1ELb1ELi512EEEvPfS2_PT_PKS3_PKT0_S9_ifPKiSB_iPKfiiiSD_SD_iiiii
		.amdhsa_group_segment_fixed_size 272
		.amdhsa_private_segment_fixed_size 0
		.amdhsa_kernarg_size 400
		.amdhsa_user_sgpr_count 2
		.amdhsa_user_sgpr_dispatch_ptr 0
		.amdhsa_user_sgpr_queue_ptr 0
		.amdhsa_user_sgpr_kernarg_segment_ptr 1
		.amdhsa_user_sgpr_dispatch_id 0
		.amdhsa_user_sgpr_kernarg_preload_length 0
		.amdhsa_user_sgpr_kernarg_preload_offset 0
		.amdhsa_user_sgpr_private_segment_size 0
		.amdhsa_uses_dynamic_stack 0
		.amdhsa_enable_private_segment 0
		.amdhsa_system_sgpr_workgroup_id_x 1
		.amdhsa_system_sgpr_workgroup_id_y 1
		.amdhsa_system_sgpr_workgroup_id_z 1
		.amdhsa_system_sgpr_workgroup_info 0
		.amdhsa_system_vgpr_workitem_id 0
		.amdhsa_next_free_vgpr 45
		.amdhsa_next_free_sgpr 58
		.amdhsa_accum_offset 48
		.amdhsa_reserve_vcc 1
		.amdhsa_float_round_mode_32 0
		.amdhsa_float_round_mode_16_64 0
		.amdhsa_float_denorm_mode_32 3
		.amdhsa_float_denorm_mode_16_64 3
		.amdhsa_dx10_clamp 1
		.amdhsa_ieee_mode 1
		.amdhsa_fp16_overflow 0
		.amdhsa_tg_split 0
		.amdhsa_exception_fp_ieee_invalid_op 0
		.amdhsa_exception_fp_denorm_src 0
		.amdhsa_exception_fp_ieee_div_zero 0
		.amdhsa_exception_fp_ieee_overflow 0
		.amdhsa_exception_fp_ieee_underflow 0
		.amdhsa_exception_fp_ieee_inexact 0
		.amdhsa_exception_int_div_zero 0
	.end_amdhsa_kernel
	.section	.text._ZN4vllm25paged_attention_v2_kernelIfhLi64ELi8ELi128ELNS_18Fp8KVCacheDataTypeE1ELb1ELi512EEEvPfS2_PT_PKS3_PKT0_S9_ifPKiSB_iPKfiiiSD_SD_iiiii,"axG",@progbits,_ZN4vllm25paged_attention_v2_kernelIfhLi64ELi8ELi128ELNS_18Fp8KVCacheDataTypeE1ELb1ELi512EEEvPfS2_PT_PKS3_PKT0_S9_ifPKiSB_iPKfiiiSD_SD_iiiii,comdat
.Lfunc_end192:
	.size	_ZN4vllm25paged_attention_v2_kernelIfhLi64ELi8ELi128ELNS_18Fp8KVCacheDataTypeE1ELb1ELi512EEEvPfS2_PT_PKS3_PKT0_S9_ifPKiSB_iPKfiiiSD_SD_iiiii, .Lfunc_end192-_ZN4vllm25paged_attention_v2_kernelIfhLi64ELi8ELi128ELNS_18Fp8KVCacheDataTypeE1ELb1ELi512EEEvPfS2_PT_PKS3_PKT0_S9_ifPKiSB_iPKfiiiSD_SD_iiiii
                                        ; -- End function
	.section	.AMDGPU.csdata,"",@progbits
; Kernel info:
; codeLenInByte = 4344
; NumSgprs: 64
; NumVgprs: 45
; NumAgprs: 0
; TotalNumVgprs: 45
; ScratchSize: 0
; MemoryBound: 0
; FloatMode: 240
; IeeeMode: 1
; LDSByteSize: 272 bytes/workgroup (compile time only)
; SGPRBlocks: 7
; VGPRBlocks: 5
; NumSGPRsForWavesPerEU: 64
; NumVGPRsForWavesPerEU: 45
; AccumOffset: 48
; Occupancy: 8
; WaveLimiterHint : 1
; COMPUTE_PGM_RSRC2:SCRATCH_EN: 0
; COMPUTE_PGM_RSRC2:USER_SGPR: 2
; COMPUTE_PGM_RSRC2:TRAP_HANDLER: 0
; COMPUTE_PGM_RSRC2:TGID_X_EN: 1
; COMPUTE_PGM_RSRC2:TGID_Y_EN: 1
; COMPUTE_PGM_RSRC2:TGID_Z_EN: 1
; COMPUTE_PGM_RSRC2:TIDIG_COMP_CNT: 0
; COMPUTE_PGM_RSRC3_GFX90A:ACCUM_OFFSET: 11
; COMPUTE_PGM_RSRC3_GFX90A:TG_SPLIT: 0
	.section	.text._ZN4vllm25paged_attention_v2_kernelIfhLi80ELi8ELi128ELNS_18Fp8KVCacheDataTypeE1ELb1ELi512EEEvPfS2_PT_PKS3_PKT0_S9_ifPKiSB_iPKfiiiSD_SD_iiiii,"axG",@progbits,_ZN4vllm25paged_attention_v2_kernelIfhLi80ELi8ELi128ELNS_18Fp8KVCacheDataTypeE1ELb1ELi512EEEvPfS2_PT_PKS3_PKT0_S9_ifPKiSB_iPKfiiiSD_SD_iiiii,comdat
	.protected	_ZN4vllm25paged_attention_v2_kernelIfhLi80ELi8ELi128ELNS_18Fp8KVCacheDataTypeE1ELb1ELi512EEEvPfS2_PT_PKS3_PKT0_S9_ifPKiSB_iPKfiiiSD_SD_iiiii ; -- Begin function _ZN4vllm25paged_attention_v2_kernelIfhLi80ELi8ELi128ELNS_18Fp8KVCacheDataTypeE1ELb1ELi512EEEvPfS2_PT_PKS3_PKT0_S9_ifPKiSB_iPKfiiiSD_SD_iiiii
	.globl	_ZN4vllm25paged_attention_v2_kernelIfhLi80ELi8ELi128ELNS_18Fp8KVCacheDataTypeE1ELb1ELi512EEEvPfS2_PT_PKS3_PKT0_S9_ifPKiSB_iPKfiiiSD_SD_iiiii
	.p2align	8
	.type	_ZN4vllm25paged_attention_v2_kernelIfhLi80ELi8ELi128ELNS_18Fp8KVCacheDataTypeE1ELb1ELi512EEEvPfS2_PT_PKS3_PKT0_S9_ifPKiSB_iPKfiiiSD_SD_iiiii,@function
_ZN4vllm25paged_attention_v2_kernelIfhLi80ELi8ELi128ELNS_18Fp8KVCacheDataTypeE1ELb1ELi512EEEvPfS2_PT_PKS3_PKT0_S9_ifPKiSB_iPKfiiiSD_SD_iiiii: ; @_ZN4vllm25paged_attention_v2_kernelIfhLi80ELi8ELi128ELNS_18Fp8KVCacheDataTypeE1ELb1ELi512EEEvPfS2_PT_PKS3_PKT0_S9_ifPKiSB_iPKfiiiSD_SD_iiiii
; %bb.0:
	s_load_dwordx2 s[6:7], s[0:1], 0x40
	s_mov_b32 s34, s3
	s_ashr_i32 s35, s3, 31
	s_lshl_b64 s[8:9], s[34:35], 2
	s_waitcnt lgkmcnt(0)
	s_add_u32 s6, s6, s8
	s_addc_u32 s7, s7, s9
	s_load_dword s33, s[6:7], 0x0
	s_lshl_b32 s50, s4, 9
	s_waitcnt lgkmcnt(0)
	s_cmp_ge_i32 s50, s33
	s_cbranch_scc1 .LBB193_79
; %bb.1:
	s_load_dword s5, s[0:1], 0x90
	s_load_dwordx2 s[42:43], s[0:1], 0x30
	s_mov_b32 s51, 0
	s_waitcnt lgkmcnt(0)
	s_abs_i32 s7, s5
	s_abs_i32 s3, s42
	v_cvt_f32_u32_e32 v1, s3
	s_sub_i32 s8, 0, s3
	s_xor_b32 s6, s5, s42
	s_ashr_i32 s6, s6, 31
	v_rcp_iflag_f32_e32 v1, v1
	s_nop 0
	v_mul_f32_e32 v1, 0x4f7ffffe, v1
	v_cvt_u32_f32_e32 v1, v1
	s_nop 0
	v_readfirstlane_b32 s9, v1
	s_mul_i32 s8, s8, s9
	s_mul_hi_u32 s8, s9, s8
	s_add_i32 s9, s9, s8
	s_mul_hi_u32 s8, s7, s9
	s_mul_i32 s9, s8, s3
	s_sub_i32 s7, s7, s9
	s_add_i32 s10, s8, 1
	s_sub_i32 s9, s7, s3
	s_cmp_ge_u32 s7, s3
	s_cselect_b32 s8, s10, s8
	s_cselect_b32 s7, s9, s7
	s_add_i32 s9, s8, 1
	s_cmp_ge_u32 s7, s3
	s_cselect_b32 s3, s9, s8
	s_xor_b32 s3, s3, s6
	s_sub_i32 s11, s3, s6
	s_abs_i32 s8, s11
	v_cvt_f32_u32_e32 v1, s8
	s_load_dwordx2 s[6:7], s[0:1], 0x50
	s_sub_i32 s3, 0, s8
	s_abs_i32 s9, s2
	v_rcp_iflag_f32_e32 v1, v1
	s_nop 0
	v_mul_f32_e32 v1, 0x4f7ffffe, v1
	v_cvt_u32_f32_e32 v1, v1
	s_nop 0
	v_readfirstlane_b32 s10, v1
	s_mul_i32 s3, s3, s10
	s_mul_hi_u32 s3, s10, s3
	s_add_i32 s10, s10, s3
	s_waitcnt lgkmcnt(0)
	s_cmp_eq_u64 s[6:7], 0
	s_mul_hi_u32 s10, s9, s10
	s_cbranch_scc1 .LBB193_3
; %bb.2:
	s_ashr_i32 s3, s2, 31
	s_lshl_b64 s[12:13], s[2:3], 2
	s_add_u32 s6, s6, s12
	s_addc_u32 s7, s7, s13
	s_load_dword s51, s[6:7], 0x0
.LBB193_3:
	s_load_dwordx4 s[16:19], s[0:1], 0x58
	s_movk_i32 s6, 0x50
	s_ashr_i32 s3, s2, 31
	s_ashr_i32 s11, s11, 31
	v_and_b32_e32 v2, 7, v0
	s_mul_i32 s28, s2, 0x50
	v_cmp_gt_u32_e32 vcc, s6, v0
	v_lshlrev_b32_e32 v12, 2, v0
	v_lshrrev_b32_e32 v1, 1, v0
	s_and_saveexec_b64 s[6:7], vcc
	s_cbranch_execz .LBB193_5
; %bb.4:
	s_load_dwordx2 s[12:13], s[0:1], 0x18
	s_waitcnt lgkmcnt(0)
	s_mul_i32 s14, s34, s16
	s_ashr_i32 s15, s14, 31
	s_lshl_b64 s[14:15], s[14:15], 2
	v_and_b32_e32 v4, 0x1fc, v1
	s_add_u32 s14, s12, s14
	s_addc_u32 s15, s13, s15
	s_ashr_i32 s29, s28, 31
	s_lshl_b64 s[12:13], s[28:29], 2
	s_add_u32 s12, s14, s12
	s_addc_u32 s13, s15, s13
	global_load_dword v3, v12, s[12:13]
	v_mad_u32_u24 v4, v2, 40, v4
	s_waitcnt vmcnt(0)
	ds_write_b32 v4, v3
.LBB193_5:
	s_or_b64 exec, exec, s[6:7]
	s_mul_i32 s6, s10, s8
	s_sub_i32 s6, s9, s6
	s_xor_b32 s3, s3, s11
	s_add_i32 s7, s10, 1
	s_sub_i32 s9, s6, s8
	s_load_dwordx4 s[20:23], s[0:1], 0x78
	s_cmp_ge_u32 s6, s8
	s_cselect_b32 s7, s7, s10
	s_load_dword s10, s[0:1], 0x88
	s_cselect_b32 s6, s9, s6
	s_add_i32 s9, s7, 1
	s_cmp_ge_u32 s6, s8
	s_cselect_b32 s6, s9, s7
	s_waitcnt lgkmcnt(0)
	s_abs_i32 s29, s23
	v_cvt_f32_u32_e32 v3, s29
	s_xor_b32 s6, s6, s3
	s_sub_i32 s8, s6, s3
	s_sub_i32 s6, 0, s29
	v_rcp_iflag_f32_e32 v3, v3
	s_add_i32 s11, s33, -1
	s_abs_i32 s3, s11
	v_mul_f32_e32 v3, 0x4f7ffffe, v3
	v_cvt_u32_f32_e32 v3, v3
	s_barrier
	v_readfirstlane_b32 s35, v3
	s_mul_i32 s6, s6, s35
	s_mul_hi_u32 s6, s35, s6
	s_add_i32 s35, s35, s6
	s_cmp_lt_i32 s10, 0
	s_mul_hi_u32 s9, s3, s35
	s_cbranch_scc0 .LBB193_7
; %bb.6:
	s_mul_i32 s6, s20, s42
	s_add_i32 s6, s8, s6
	s_mul_i32 s6, s6, s10
	s_sub_i32 s42, 1, s6
	s_mov_b64 s[6:7], 0
	s_branch .LBB193_8
.LBB193_7:
	s_mov_b64 s[6:7], -1
                                        ; implicit-def: $sgpr42
.LBB193_8:
	s_load_dwordx2 s[36:37], s[0:1], 0x38
	s_ashr_i32 s11, s11, 31
	s_andn2_b64 vcc, exec, s[6:7]
	s_ashr_i32 s48, s23, 31
	s_cbranch_vccnz .LBB193_10
; %bb.9:
	s_mul_i32 s6, s5, s20
	s_add_i32 s6, s6, s2
	s_mul_i32 s6, s6, s10
	s_add_i32 s42, s6, 1
.LBB193_10:
	s_load_dwordx2 s[40:41], s[0:1], 0x28
	s_load_dword s6, s[0:1], 0x48
	s_load_dwordx4 s[24:27], s[0:1], 0x0
	s_load_dwordx2 s[30:31], s[0:1], 0x10
	s_load_dword s23, s[0:1], 0x98
	s_load_dwordx4 s[12:15], s[0:1], 0x68
	s_mul_i32 s7, s9, s29
	s_waitcnt lgkmcnt(0)
	s_mul_i32 s38, s34, s6
	s_sub_i32 s3, s3, s7
	s_ashr_i32 s39, s38, 31
	s_xor_b32 s6, s11, s48
	s_add_i32 s7, s9, 1
	s_sub_i32 s10, s3, s29
	s_cmp_ge_u32 s3, s29
	s_cselect_b32 s7, s7, s9
	s_cselect_b32 s3, s10, s3
	s_add_i32 s9, s7, 1
	s_cmp_ge_u32 s3, s29
	s_cselect_b32 s3, s9, s7
	s_xor_b32 s3, s3, s6
	s_sub_i32 s16, s3, s6
	s_add_i32 s3, s33, 7
	s_ashr_i32 s6, s3, 31
	s_lshr_b32 s6, s6, 29
	s_add_i32 s3, s3, s6
	s_lshl_b32 s52, s4, 6
	s_ashr_i32 s3, s3, 3
	s_add_i32 s6, s52, 64
	v_lshrrev_b32_e32 v18, 6, v0
	s_min_i32 s49, s6, s3
	v_or_b32_e32 v10, s52, v18
	v_cmp_gt_i32_e64 s[6:7], s49, v10
	v_mov_b32_e32 v15, 0xff7fffff
	s_mul_i32 s20, s8, s18
	v_ashrrev_i32_e32 v11, 31, v10
	v_lshl_add_u32 v9, v18, 3, s50
	v_mbcnt_lo_u32_b32 v8, -1, 0
	s_and_saveexec_b64 s[18:19], s[6:7]
	s_cbranch_execz .LBB193_20
; %bb.11:
	s_load_dwordx2 s[0:1], s[0:1], 0x20
	s_sub_i32 s53, s16, s21
	s_ashr_i32 s9, s20, 31
	v_bfe_u32 v13, v0, 3, 3
	v_mov_b32_e32 v5, 0
	s_waitcnt lgkmcnt(0)
	s_add_u32 s8, s0, s20
	s_addc_u32 s9, s1, s9
	s_abs_i32 s54, s22
	v_cvt_f32_u32_e32 v3, s54
	v_lshlrev_b32_e32 v4, 4, v13
	v_lshlrev_b32_e32 v15, 2, v13
	v_lshl_or_b32 v15, v18, 5, v15
	v_rcp_iflag_f32_e32 v3, v3
	v_add_u32_e32 v19, 0x150, v15
	v_subrev_u32_e32 v15, s33, v13
	v_mbcnt_hi_u32_b32 v22, -1, v8
	v_mul_f32_e32 v3, 0x4f7ffffe, v3
	v_cvt_u32_f32_e32 v6, v3
	v_mov_b32_e32 v3, v5
	v_lshl_add_u64 v[4:5], s[8:9], 0, v[4:5]
	s_sub_i32 s8, 0, s54
	v_mul_lo_u32 v7, s8, v6
	s_lshl_b64 s[8:9], s[38:39], 2
	s_add_u32 s8, s36, s8
	v_mul_hi_u32 v7, v6, v7
	s_addc_u32 s9, s37, s9
	v_add_u32_e32 v20, 1, v15
	v_and_b32_e32 v15, 64, v22
	v_cmp_eq_u32_e32 vcc, 0, v2
	s_mov_b32 s55, s17
	v_mul_u32_u24_e32 v14, 40, v2
	v_cmp_neq_f32_e64 s[0:1], s51, 0
	v_add_u32_e32 v16, v6, v7
	v_lshl_add_u64 v[6:7], v[10:11], 2, s[8:9]
	v_lshl_add_u32 v17, v18, 3, s50
	s_mov_b64 s[44:45], 0
	v_mov_b32_e32 v21, 0xff7fffff
	v_add_u32_e32 v23, 64, v15
	v_xor_b32_e32 v24, 4, v22
	v_xor_b32_e32 v25, 2, v22
	;; [unrolled: 1-line block ×3, first 2 shown]
	v_mov_b32_e32 v15, 0xff7fffff
	v_mov_b32_e32 v27, v10
	s_branch .LBB193_14
.LBB193_12:                             ;   in Loop: Header=BB193_14 Depth=1
	s_or_b64 exec, exec, s[46:47]
.LBB193_13:                             ;   in Loop: Header=BB193_14 Depth=1
	s_or_b64 exec, exec, s[10:11]
	v_add_u32_e32 v27, 2, v27
	v_cmp_le_i32_e64 s[8:9], s49, v27
	v_lshl_add_u64 v[6:7], v[6:7], 0, 8
	v_add_u32_e32 v17, 16, v17
	s_or_b64 s[44:45], s[8:9], s[44:45]
	v_add_u32_e32 v19, 64, v19
	s_andn2_b64 exec, exec, s[44:45]
	s_cbranch_execz .LBB193_19
.LBB193_14:                             ; =>This Inner Loop Header: Depth=1
	s_waitcnt lgkmcnt(0)
	v_sub_u32_e32 v29, 0, v17
	v_max_i32_e32 v29, v17, v29
	v_mul_hi_u32 v30, v29, s35
	v_mul_lo_u32 v31, v30, s29
	v_sub_u32_e32 v29, v29, v31
	v_add_u32_e32 v31, 1, v30
	v_cmp_le_u32_e64 s[8:9], s29, v29
	v_ashrrev_i32_e32 v28, 31, v17
	v_xor_b32_e32 v28, s48, v28
	v_cndmask_b32_e64 v30, v30, v31, s[8:9]
	v_subrev_u32_e32 v31, s29, v29
	v_cndmask_b32_e64 v29, v29, v31, s[8:9]
	v_add_u32_e32 v31, 1, v30
	v_cmp_le_u32_e64 s[8:9], s29, v29
	s_nop 1
	v_cndmask_b32_e64 v29, v30, v31, s[8:9]
	v_xor_b32_e32 v29, v29, v28
	v_sub_u32_e32 v28, v29, v28
	v_add_u32_e32 v29, s42, v28
	v_sub_u32_e32 v31, 0, v29
	v_ashrrev_i32_e32 v30, 31, v29
	v_max_i32_e32 v29, v29, v31
	v_mul_hi_u32 v31, v29, v16
	v_mul_lo_u32 v31, v31, s54
	v_sub_u32_e32 v29, v29, v31
	v_subrev_u32_e32 v31, s54, v29
	v_cmp_le_u32_e64 s[8:9], s54, v29
	v_cmp_ge_i32_e64 s[10:11], s53, v28
	s_nop 0
	v_cndmask_b32_e64 v29, v29, v31, s[8:9]
	v_subrev_u32_e32 v31, s54, v29
	v_cmp_le_u32_e64 s[8:9], s54, v29
	s_nop 1
	v_cndmask_b32_e64 v29, v29, v31, s[8:9]
	v_xor_b32_e32 v29, v29, v30
	v_sub_u32_e32 v29, v29, v30
	v_cmp_ne_u32_e64 s[8:9], 0, v29
	s_and_b64 s[8:9], s[8:9], s[10:11]
	s_and_b64 s[46:47], vcc, s[8:9]
	s_and_saveexec_b64 s[10:11], s[46:47]
	s_cbranch_execz .LBB193_16
; %bb.15:                               ;   in Loop: Header=BB193_14 Depth=1
	ds_write_b32 v19, v21
.LBB193_16:                             ;   in Loop: Header=BB193_14 Depth=1
	s_or_b64 exec, exec, s[10:11]
	s_xor_b64 s[8:9], s[8:9], -1
	s_and_saveexec_b64 s[10:11], s[8:9]
	s_cbranch_execz .LBB193_13
; %bb.17:                               ;   in Loop: Header=BB193_14 Depth=1
	global_load_dword v28, v[6:7], off
	s_waitcnt vmcnt(0)
	v_mad_i64_i32 v[28:29], s[8:9], v28, s55, v[4:5]
	v_lshl_add_u64 v[28:29], v[28:29], 0, v[2:3]
	global_load_ubyte v38, v[28:29], off
	global_load_ubyte v39, v[28:29], off offset:8
	global_load_ubyte v40, v[28:29], off offset:128
	;; [unrolled: 1-line block ×9, first 2 shown]
	v_cmp_lt_i32_e64 s[8:9], v24, v23
	ds_read2_b64 v[28:31], v14 offset1:1
	ds_read2_b64 v[32:35], v14 offset0:2 offset1:3
	ds_read_b64 v[36:37], v14 offset:32
	v_cndmask_b32_e64 v48, v22, v24, s[8:9]
	s_load_dword s8, s[12:13], 0x0
	v_lshlrev_b32_e32 v48, 2, v48
	s_waitcnt vmcnt(9)
	v_cvt_f32_fp8_sdwa v38, v38 src0_sel:BYTE_0
	s_waitcnt vmcnt(8)
	v_cvt_f32_fp8_sdwa v39, v39 src0_sel:BYTE_0
	;; [unrolled: 2-line block ×5, first 2 shown]
	s_waitcnt lgkmcnt(0)
	v_mul_f32_e32 v39, s8, v39
	s_waitcnt vmcnt(4)
	v_cvt_f32_fp8_sdwa v43, v43 src0_sel:BYTE_0
	v_mul_f32_e32 v38, s8, v38
	v_mul_f32_e32 v29, v29, v39
	s_waitcnt vmcnt(3)
	v_cvt_f32_fp8_sdwa v44, v44 src0_sel:BYTE_0
	v_mul_f32_e32 v40, s8, v40
	v_fmac_f32_e32 v29, v28, v38
	s_waitcnt vmcnt(2)
	v_cvt_f32_fp8_sdwa v45, v45 src0_sel:BYTE_0
	v_mul_f32_e32 v41, s8, v41
	v_fmac_f32_e32 v29, v30, v40
	;; [unrolled: 4-line block ×4, first 2 shown]
	v_mul_f32_e32 v44, s8, v44
	v_fmac_f32_e32 v29, v33, v43
	v_mul_f32_e32 v45, s8, v45
	v_fmac_f32_e32 v29, v34, v44
	;; [unrolled: 2-line block ×4, first 2 shown]
	v_fmac_f32_e32 v29, v37, v47
	ds_bpermute_b32 v28, v48, v29
	v_cmp_lt_i32_e64 s[8:9], v25, v23
	s_waitcnt lgkmcnt(0)
	v_add_f32_e32 v28, v29, v28
	v_cndmask_b32_e64 v30, v22, v25, s[8:9]
	v_lshlrev_b32_e32 v30, 2, v30
	ds_bpermute_b32 v29, v30, v28
	v_cmp_lt_i32_e64 s[8:9], v26, v23
	s_waitcnt lgkmcnt(0)
	v_add_f32_e32 v28, v28, v29
	v_cndmask_b32_e64 v30, v22, v26, s[8:9]
	v_lshlrev_b32_e32 v30, 2, v30
	ds_bpermute_b32 v29, v30, v28
	s_and_saveexec_b64 s[46:47], vcc
	s_cbranch_execz .LBB193_12
; %bb.18:                               ;   in Loop: Header=BB193_14 Depth=1
	v_add_u32_e32 v30, v20, v17
	v_cvt_f32_i32_e32 v30, v30
	s_waitcnt lgkmcnt(0)
	v_add_f32_e32 v28, v28, v29
	v_add_u32_e32 v31, v13, v17
	v_cmp_gt_i32_e64 s[8:9], s33, v31
	v_mul_f32_e32 v29, s51, v30
	v_cndmask_b32_e64 v29, 0, v29, s[0:1]
	v_fmac_f32_e32 v29, s43, v28
	v_cndmask_b32_e64 v28, 0, v29, s[8:9]
	ds_write_b32 v19, v28
	v_max_f32_e32 v28, v15, v15
	v_max_f32_e32 v28, v28, v29
	v_cndmask_b32_e64 v15, v15, v28, s[8:9]
	s_branch .LBB193_12
.LBB193_19:
	s_or_b64 exec, exec, s[44:45]
.LBB193_20:
	s_or_b64 exec, exec, s[18:19]
	v_mbcnt_hi_u32_b32 v2, -1, v8
	v_and_b32_e32 v3, 64, v2
	v_add_u32_e32 v3, 64, v3
	v_xor_b32_e32 v4, 32, v2
	v_cmp_lt_i32_e32 vcc, v4, v3
	v_xor_b32_e32 v6, 16, v2
	v_max_f32_e32 v5, v15, v15
	v_cndmask_b32_e32 v4, v2, v4, vcc
	v_lshlrev_b32_e32 v7, 2, v4
	ds_bpermute_b32 v4, v7, v15
	v_cmp_lt_i32_e32 vcc, v6, v3
	s_waitcnt lgkmcnt(0)
	v_max_f32_e32 v4, v4, v4
	v_max_f32_e32 v4, v5, v4
	v_cndmask_b32_e32 v5, v2, v6, vcc
	v_lshlrev_b32_e32 v13, 2, v5
	ds_bpermute_b32 v5, v13, v4
	v_xor_b32_e32 v6, 8, v2
	v_cmp_lt_i32_e32 vcc, v6, v3
	s_waitcnt lgkmcnt(0)
	v_max_f32_e32 v5, v5, v5
	v_max_f32_e32 v5, v4, v5
	v_cndmask_b32_e32 v4, v2, v6, vcc
	v_lshlrev_b32_e32 v14, 2, v4
	ds_bpermute_b32 v8, v14, v5
	v_and_b32_e32 v4, 63, v0
	v_cmp_eq_u32_e32 vcc, 0, v4
	v_lshlrev_b32_e32 v6, 2, v18
	s_and_saveexec_b64 s[0:1], vcc
	s_cbranch_execz .LBB193_22
; %bb.21:
	s_waitcnt lgkmcnt(0)
	v_max_f32_e32 v8, v8, v8
	v_max_f32_e32 v5, v5, v5
	;; [unrolled: 1-line block ×3, first 2 shown]
	ds_write_b32 v6, v5 offset:320
.LBB193_22:
	s_or_b64 exec, exec, s[0:1]
	v_cmp_gt_u32_e64 s[0:1], 2, v4
	v_mov_b32_e32 v5, 0xff7fffff
	s_waitcnt lgkmcnt(0)
	v_lshlrev_b32_e32 v8, 2, v4
	s_barrier
	s_and_saveexec_b64 s[8:9], s[0:1]
	s_cbranch_execz .LBB193_24
; %bb.23:
	ds_read_b32 v5, v8 offset:320
.LBB193_24:
	s_or_b64 exec, exec, s[8:9]
	v_xor_b32_e32 v15, 1, v2
	v_cmp_lt_i32_e64 s[8:9], v15, v3
	v_mov_b32_e32 v16, 0
	s_nop 0
	v_cndmask_b32_e64 v15, v2, v15, s[8:9]
	v_lshlrev_b32_e32 v28, 2, v15
	s_waitcnt lgkmcnt(0)
	ds_bpermute_b32 v15, v28, v5
	v_max_f32_e32 v5, v5, v5
	s_sub_i32 s8, s49, s52
	s_lshl_b32 s8, s8, 3
	s_add_i32 s8, s8, s50
	s_waitcnt lgkmcnt(0)
	v_max_f32_e32 v15, v15, v15
	v_max_f32_e32 v5, v5, v15
	v_lshlrev_b32_e32 v15, 2, v2
	v_and_b32_e32 v15, 0x100, v15
	ds_bpermute_b32 v5, v15, v5
	s_min_i32 s44, s8, s33
	s_sub_i32 s43, s44, s50
	v_cmp_gt_i32_e64 s[8:9], s43, v0
	s_and_saveexec_b64 s[12:13], s[8:9]
	s_cbranch_execz .LBB193_28
; %bb.25:
	v_mov_b32_e32 v16, 0x150
	v_lshl_add_u32 v17, v0, 2, v16
	s_mov_b64 s[18:19], 0
	v_mov_b32_e32 v16, 0
	v_mov_b32_e32 v19, v0
.LBB193_26:                             ; =>This Inner Loop Header: Depth=1
	ds_read_b32 v20, v17
	v_add_u32_e32 v19, 0x80, v19
	v_cmp_le_i32_e64 s[10:11], s43, v19
	s_or_b64 s[18:19], s[10:11], s[18:19]
	s_waitcnt lgkmcnt(0)
	v_sub_f32_e32 v20, v20, v5
	v_mul_f32_e32 v20, 0x3fb8aa3b, v20
	v_exp_f32_e32 v20, v20
	ds_write_b32 v17, v20
	v_add_f32_e32 v16, v16, v20
	v_add_u32_e32 v17, 0x200, v17
	s_andn2_b64 exec, exec, s[18:19]
	s_cbranch_execnz .LBB193_26
; %bb.27:
	s_or_b64 exec, exec, s[18:19]
.LBB193_28:
	s_or_b64 exec, exec, s[12:13]
	ds_bpermute_b32 v7, v7, v16
	s_waitcnt lgkmcnt(0)
	v_add_f32_e32 v7, v16, v7
	ds_bpermute_b32 v13, v13, v7
	s_waitcnt lgkmcnt(0)
	v_add_f32_e32 v7, v7, v13
	ds_bpermute_b32 v13, v14, v7
	v_xor_b32_e32 v14, 4, v2
	v_cmp_lt_i32_e64 s[10:11], v14, v3
	s_waitcnt lgkmcnt(0)
	v_add_f32_e32 v7, v7, v13
	v_cndmask_b32_e64 v14, v2, v14, s[10:11]
	v_lshlrev_b32_e32 v14, 2, v14
	ds_bpermute_b32 v13, v14, v7
	v_xor_b32_e32 v14, 2, v2
	v_cmp_lt_i32_e64 s[10:11], v14, v3
	s_waitcnt lgkmcnt(0)
	v_add_f32_e32 v3, v7, v13
	v_cndmask_b32_e64 v2, v2, v14, s[10:11]
	v_lshlrev_b32_e32 v2, 2, v2
	ds_bpermute_b32 v2, v2, v3
	s_waitcnt lgkmcnt(0)
	v_add_f32_e32 v2, v3, v2
	ds_bpermute_b32 v3, v28, v2
	s_waitcnt lgkmcnt(0)
	v_add_f32_e32 v2, v2, v3
	s_and_saveexec_b64 s[10:11], vcc
	s_cbranch_execz .LBB193_30
; %bb.29:
	ds_write_b32 v6, v2 offset:328
.LBB193_30:
	s_or_b64 exec, exec, s[10:11]
	s_waitcnt lgkmcnt(0)
	s_barrier
	s_and_saveexec_b64 s[10:11], s[0:1]
	s_cbranch_execz .LBB193_32
; %bb.31:
	ds_read_b32 v2, v8 offset:328
.LBB193_32:
	s_or_b64 exec, exec, s[10:11]
	s_waitcnt lgkmcnt(0)
	ds_bpermute_b32 v3, v28, v2
	s_waitcnt lgkmcnt(0)
	v_add_f32_e32 v2, v2, v3
	ds_bpermute_b32 v6, v15, v2
	s_and_saveexec_b64 s[0:1], s[8:9]
	s_cbranch_execz .LBB193_45
; %bb.33:
	s_waitcnt lgkmcnt(0)
	v_add_f32_e32 v2, 0x358637bd, v6
	v_div_scale_f32 v3, s[8:9], v2, v2, 1.0
	v_rcp_f32_e32 v7, v3
	v_div_scale_f32 v8, vcc, 1.0, v2, 1.0
	s_movk_i32 s8, 0x7f
	v_fma_f32 v13, -v3, v7, 1.0
	v_fmac_f32_e32 v7, v13, v7
	v_mul_f32_e32 v13, v8, v7
	v_fma_f32 v14, -v3, v13, v8
	v_fmac_f32_e32 v13, v14, v7
	v_fma_f32 v3, -v3, v13, v8
	v_div_fmas_f32 v3, v3, v7, v13
	v_div_fixup_f32 v2, v3, v2, 1.0
	v_xad_u32 v3, v0, -1, s44
	v_subrev_u32_e32 v7, s50, v3
	v_cmp_lt_u32_e32 vcc, s8, v7
	s_mov_b64 s[10:11], -1
	v_mov_b32_e32 v3, v0
	s_and_saveexec_b64 s[8:9], vcc
	s_cbranch_execz .LBB193_42
; %bb.34:
	v_lshrrev_b32_e32 v7, 7, v7
	v_add_u32_e32 v13, -1, v7
	v_lshrrev_b32_e32 v8, 1, v13
	v_mov_b32_e32 v3, v2
	v_add_u32_e32 v8, 1, v8
	v_cmp_lt_u32_e32 vcc, 13, v13
	v_mov_b32_e32 v15, 0
	s_and_saveexec_b64 s[10:11], vcc
	s_cbranch_execz .LBB193_38
; %bb.35:
	v_mov_b32_e32 v14, 0x150
	v_and_b32_e32 v13, -8, v8
	v_lshl_add_u32 v14, v0, 2, v14
	s_mov_b32 s18, 0
	s_mov_b64 s[12:13], 0
.LBB193_36:                             ; =>This Inner Loop Header: Depth=1
	ds_read2st64_b32 v[16:17], v14 offset1:2
	ds_read2st64_b32 v[20:21], v14 offset0:4 offset1:6
	ds_read2st64_b32 v[22:23], v14 offset0:8 offset1:10
	;; [unrolled: 1-line block ×3, first 2 shown]
	v_add_u32_e32 v13, -8, v13
	s_waitcnt lgkmcnt(3)
	v_pk_mul_f32 v[16:17], v[2:3], v[16:17]
	s_waitcnt lgkmcnt(2)
	v_pk_mul_f32 v[20:21], v[2:3], v[20:21]
	ds_write2st64_b32 v14, v16, v17 offset1:2
	ds_write2st64_b32 v14, v20, v21 offset0:4 offset1:6
	ds_read2st64_b32 v[20:21], v14 offset0:16 offset1:18
	s_waitcnt lgkmcnt(4)
	v_pk_mul_f32 v[16:17], v[2:3], v[22:23]
	ds_write2st64_b32 v14, v16, v17 offset0:8 offset1:10
	s_waitcnt lgkmcnt(4)
	v_pk_mul_f32 v[16:17], v[2:3], v[24:25]
	ds_write2st64_b32 v14, v16, v17 offset0:12 offset1:14
	ds_read2st64_b32 v[16:17], v14 offset0:20 offset1:22
	s_waitcnt lgkmcnt(3)
	v_pk_mul_f32 v[20:21], v[2:3], v[20:21]
	ds_read2st64_b32 v[22:23], v14 offset0:24 offset1:26
	ds_write2st64_b32 v14, v20, v21 offset0:16 offset1:18
	ds_read2st64_b32 v[20:21], v14 offset0:28 offset1:30
	s_waitcnt lgkmcnt(3)
	v_pk_mul_f32 v[16:17], v[2:3], v[16:17]
	ds_write2st64_b32 v14, v16, v17 offset0:20 offset1:22
	s_waitcnt lgkmcnt(3)
	v_pk_mul_f32 v[16:17], v[2:3], v[22:23]
	ds_write2st64_b32 v14, v16, v17 offset0:24 offset1:26
	s_waitcnt lgkmcnt(2)
	v_pk_mul_f32 v[16:17], v[2:3], v[20:21]
	s_add_i32 s18, s18, 16
	v_cmp_eq_u32_e32 vcc, 0, v13
	ds_write2st64_b32 v14, v16, v17 offset0:28 offset1:30
	v_add_u32_e32 v14, 0x2000, v14
	s_or_b64 s[12:13], vcc, s[12:13]
	v_mov_b32_e32 v15, s18
	s_andn2_b64 exec, exec, s[12:13]
	s_cbranch_execnz .LBB193_36
; %bb.37:
	s_or_b64 exec, exec, s[12:13]
.LBB193_38:
	s_or_b64 exec, exec, s[10:11]
	v_and_b32_e32 v8, 7, v8
	v_cmp_ne_u32_e32 vcc, 0, v8
	s_and_saveexec_b64 s[10:11], vcc
	s_cbranch_execz .LBB193_41
; %bb.39:
	v_lshlrev_b32_e32 v13, 9, v15
	s_movk_i32 s12, 0x150
	v_add3_u32 v13, v13, v12, s12
	s_mov_b64 s[12:13], 0
.LBB193_40:                             ; =>This Inner Loop Header: Depth=1
	ds_read2st64_b32 v[14:15], v13 offset1:2
	v_add_u32_e32 v8, -1, v8
	v_cmp_eq_u32_e32 vcc, 0, v8
	s_or_b64 s[12:13], vcc, s[12:13]
	s_waitcnt lgkmcnt(0)
	v_pk_mul_f32 v[14:15], v[2:3], v[14:15]
	ds_write2st64_b32 v13, v14, v15 offset1:2
	v_add_u32_e32 v13, 0x400, v13
	s_andn2_b64 exec, exec, s[12:13]
	s_cbranch_execnz .LBB193_40
.LBB193_41:
	s_or_b64 exec, exec, s[10:11]
	v_add_u32_e32 v7, 1, v7
	v_and_b32_e32 v8, 0x3fffffe, v7
	v_cmp_ne_u32_e32 vcc, v7, v8
	v_lshl_add_u32 v3, v8, 7, v0
	s_orn2_b64 s[10:11], vcc, exec
.LBB193_42:
	s_or_b64 exec, exec, s[8:9]
	s_and_b64 exec, exec, s[10:11]
	s_cbranch_execz .LBB193_45
; %bb.43:
	v_mov_b32_e32 v7, 0x150
	v_lshl_add_u32 v7, v3, 2, v7
	s_mov_b64 s[8:9], 0
.LBB193_44:                             ; =>This Inner Loop Header: Depth=1
	ds_read_b32 v8, v7
	v_add_u32_e32 v3, 0x80, v3
	v_cmp_le_i32_e32 vcc, s43, v3
	s_or_b64 s[8:9], vcc, s[8:9]
	s_waitcnt lgkmcnt(0)
	v_mul_f32_e32 v8, v2, v8
	ds_write_b32 v7, v8
	v_add_u32_e32 v7, 0x200, v7
	s_andn2_b64 exec, exec, s[8:9]
	s_cbranch_execnz .LBB193_44
.LBB193_45:
	s_or_b64 exec, exec, s[0:1]
	s_mul_i32 s0, s23, s34
	v_cmp_eq_u32_e32 vcc, 0, v0
	s_mul_i32 s8, s0, s5
	s_waitcnt lgkmcnt(0)
	s_barrier
	s_and_saveexec_b64 s[0:1], vcc
	s_cbranch_execz .LBB193_47
; %bb.46:
	s_ashr_i32 s9, s8, 31
	s_lshl_b64 s[10:11], s[8:9], 2
	s_add_u32 s5, s26, s10
	s_mul_i32 s12, s23, s2
	s_addc_u32 s9, s27, s11
	s_ashr_i32 s13, s12, 31
	s_lshl_b64 s[12:13], s[12:13], 2
	s_add_u32 s2, s5, s12
	s_addc_u32 s9, s9, s13
	s_ashr_i32 s5, s4, 31
	s_lshl_b64 s[18:19], s[4:5], 2
	s_add_u32 s26, s2, s18
	s_addc_u32 s27, s9, s19
	s_add_u32 s2, s24, s10
	s_addc_u32 s5, s25, s11
	;; [unrolled: 2-line block ×3, first 2 shown]
	s_add_u32 s10, s2, s18
	v_mov_b32_e32 v2, 0
	s_addc_u32 s11, s5, s19
	global_store_dword v2, v5, s[26:27]
	global_store_dword v2, v6, s[10:11]
.LBB193_47:
	s_or_b64 exec, exec, s[0:1]
	s_mov_b32 s0, 0
	v_mov_b32_e32 v8, 0
	v_lshrrev_b32_e32 v30, 1, v4
	v_and_b32_e32 v29, 1, v0
	v_mov_b32_e32 v7, 0
	v_mov_b32_e32 v6, 0
	s_and_saveexec_b64 s[10:11], s[6:7]
	s_cbranch_execz .LBB193_61
; %bb.48:
	s_sub_i32 s5, s16, s21
	s_ashr_i32 s1, s20, 31
	s_add_u32 s6, s40, s20
	s_addc_u32 s7, s41, s1
	s_abs_i32 s22, s22
	v_cvt_f32_u32_e32 v2, s22
	v_or_b32_e32 v3, 64, v30
	s_movk_i32 s1, 0x50
	v_and_b32_e32 v31, 4, v12
	v_rcp_iflag_f32_e32 v2, v2
	s_add_i32 s24, s3, -1
	v_cmp_gt_u32_e32 vcc, s1, v3
	s_sub_i32 s1, 0, s22
	v_mul_f32_e32 v2, 0x4f7ffffe, v2
	v_cvt_u32_f32_e32 v2, v2
	s_lshl_b64 s[2:3], s[38:39], 2
	v_lshl_or_b32 v14, v3, 3, v31
	s_add_u32 s2, s36, s2
	v_mul_lo_u32 v3, s1, v2
	v_mul_hi_u32 v3, v2, v3
	s_addc_u32 s3, s37, s3
	v_add_u32_e32 v32, v2, v3
	v_lshl_add_u64 v[16:17], v[10:11], 2, s[2:3]
	v_lshlrev_b32_e32 v2, 4, v29
	s_mov_b32 s2, s0
	v_mov_b32_e32 v13, 0
	v_lshl_or_b32 v2, v18, 5, v2
	s_mov_b32 s1, s0
	v_mov_b32_e32 v8, s2
	s_mov_b32 s9, s17
	v_lshl_or_b32 v12, v30, 3, v31
	v_mov_b32_e32 v15, v13
	v_add_u32_e32 v11, 0x150, v2
	s_mov_b64 s[12:13], 0
	v_mov_b32_e32 v7, s1
	v_mov_b32_e32 v6, s0
	s_branch .LBB193_52
.LBB193_49:                             ;   in Loop: Header=BB193_52 Depth=1
	s_or_b64 exec, exec, s[18:19]
	v_mul_f32_e32 v3, v3, v21
	v_fmac_f32_e32 v3, v2, v20
	v_fmac_f32_e32 v3, v4, v18
	;; [unrolled: 1-line block ×3, first 2 shown]
	v_add_f32_e32 v8, v8, v3
.LBB193_50:                             ;   in Loop: Header=BB193_52 Depth=1
	s_or_b64 exec, exec, s[2:3]
.LBB193_51:                             ;   in Loop: Header=BB193_52 Depth=1
	s_or_b64 exec, exec, s[16:17]
	v_add_u32_e32 v10, 2, v10
	v_cmp_le_i32_e64 s[0:1], s49, v10
	v_lshl_add_u64 v[16:17], v[16:17], 0, 8
	v_add_u32_e32 v9, 16, v9
	s_or_b64 s[12:13], s[0:1], s[12:13]
	v_add_u32_e32 v11, 64, v11
	s_andn2_b64 exec, exec, s[12:13]
	s_cbranch_execz .LBB193_60
.LBB193_52:                             ; =>This Inner Loop Header: Depth=1
	v_sub_u32_e32 v3, 0, v9
	v_max_i32_e32 v3, v9, v3
	v_mul_hi_u32 v4, v3, s35
	v_mul_lo_u32 v5, v4, s29
	v_sub_u32_e32 v3, v3, v5
	v_add_u32_e32 v5, 1, v4
	v_cmp_le_u32_e64 s[0:1], s29, v3
	v_ashrrev_i32_e32 v2, 31, v9
	v_xor_b32_e32 v2, s48, v2
	v_cndmask_b32_e64 v4, v4, v5, s[0:1]
	v_subrev_u32_e32 v5, s29, v3
	v_cndmask_b32_e64 v3, v3, v5, s[0:1]
	v_add_u32_e32 v5, 1, v4
	v_cmp_le_u32_e64 s[0:1], s29, v3
	s_nop 1
	v_cndmask_b32_e64 v3, v4, v5, s[0:1]
	v_xor_b32_e32 v3, v3, v2
	v_sub_u32_e32 v2, v3, v2
	v_add_u32_e32 v3, s42, v2
	v_sub_u32_e32 v5, 0, v3
	v_ashrrev_i32_e32 v4, 31, v3
	v_max_i32_e32 v3, v3, v5
	v_mul_hi_u32 v5, v3, v32
	v_mul_lo_u32 v5, v5, s22
	v_sub_u32_e32 v3, v3, v5
	v_subrev_u32_e32 v5, s22, v3
	v_cmp_le_u32_e64 s[0:1], s22, v3
	v_cmp_lt_i32_e64 s[2:3], s5, v2
	s_nop 0
	v_cndmask_b32_e64 v3, v3, v5, s[0:1]
	v_subrev_u32_e32 v5, s22, v3
	v_cmp_le_u32_e64 s[0:1], s22, v3
	s_nop 1
	v_cndmask_b32_e64 v3, v3, v5, s[0:1]
	v_xor_b32_e32 v3, v3, v4
	v_sub_u32_e32 v3, v3, v4
	v_cmp_eq_u32_e64 s[0:1], 0, v3
	s_or_b64 s[0:1], s[0:1], s[2:3]
	s_and_saveexec_b64 s[16:17], s[0:1]
	s_cbranch_execz .LBB193_51
; %bb.53:                               ;   in Loop: Header=BB193_52 Depth=1
	global_load_dword v4, v[16:17], off
	v_mov_b64_e32 v[2:3], s[6:7]
	s_load_dword s18, s[14:15], 0x0
	v_add_u32_e32 v33, v31, v9
	s_waitcnt vmcnt(0)
	v_mad_i64_i32 v[18:19], s[0:1], v4, s9, v[2:3]
	v_lshl_add_u64 v[24:25], v[18:19], 0, v[12:13]
	global_load_dword v20, v[24:25], off
	ds_read_b128 v[2:5], v11
	v_cmp_eq_u32_e64 s[0:1], s24, v10
	s_waitcnt vmcnt(0)
	v_and_b32_e32 v21, 0xffff, v20
	v_lshrrev_b32_e32 v22, 16, v20
	v_cvt_pk_f32_fp8_e32 v[20:21], v21
	v_cvt_pk_f32_fp8_e32 v[26:27], v22
	s_waitcnt lgkmcnt(0)
	v_pk_mul_f32 v[22:23], s[18:19], v[20:21] op_sel_hi:[0,1]
	v_pk_mul_f32 v[20:21], s[18:19], v[26:27] op_sel_hi:[0,1]
	s_and_saveexec_b64 s[20:21], s[0:1]
; %bb.54:                               ;   in Loop: Header=BB193_52 Depth=1
	v_cmp_gt_i32_e64 s[2:3], s33, v33
	v_add_u32_e32 v26, 1, v33
	s_nop 0
	v_cndmask_b32_e64 v22, 0, v22, s[2:3]
	v_cmp_gt_i32_e64 s[2:3], s33, v26
	v_add_u32_e32 v26, 2, v33
	s_nop 0
	v_cndmask_b32_e64 v23, 0, v23, s[2:3]
	;; [unrolled: 4-line block ×3, first 2 shown]
	v_cmp_gt_i32_e64 s[2:3], s33, v26
	s_nop 1
	v_cndmask_b32_e64 v21, 0, v21, s[2:3]
; %bb.55:                               ;   in Loop: Header=BB193_52 Depth=1
	s_or_b64 exec, exec, s[20:21]
	global_load_dword v24, v[24:25], off offset:256
	s_mov_b32 s19, s18
	s_waitcnt vmcnt(0)
	v_and_b32_e32 v25, 0xffff, v24
	v_lshrrev_b32_e32 v26, 16, v24
	v_cvt_pk_f32_fp8_e32 v[24:25], v25
	v_cvt_pk_f32_fp8_e32 v[34:35], v26
	v_pk_mul_f32 v[26:27], s[18:19], v[24:25]
	v_pk_mul_f32 v[24:25], s[18:19], v[34:35]
	s_and_saveexec_b64 s[20:21], s[0:1]
; %bb.56:                               ;   in Loop: Header=BB193_52 Depth=1
	v_cmp_gt_i32_e64 s[2:3], s33, v33
	v_add_u32_e32 v34, 1, v33
	s_nop 0
	v_cndmask_b32_e64 v26, 0, v26, s[2:3]
	v_cmp_gt_i32_e64 s[2:3], s33, v34
	v_add_u32_e32 v34, 2, v33
	s_nop 0
	v_cndmask_b32_e64 v27, 0, v27, s[2:3]
	;; [unrolled: 4-line block ×3, first 2 shown]
	v_cmp_gt_i32_e64 s[2:3], s33, v34
	s_nop 1
	v_cndmask_b32_e64 v25, 0, v25, s[2:3]
; %bb.57:                               ;   in Loop: Header=BB193_52 Depth=1
	s_or_b64 exec, exec, s[20:21]
	v_mul_f32_e32 v23, v3, v23
	v_fmac_f32_e32 v23, v2, v22
	v_fmac_f32_e32 v23, v4, v20
	v_mul_f32_e32 v20, v3, v27
	v_fmac_f32_e32 v20, v2, v26
	v_fmac_f32_e32 v20, v4, v24
	;; [unrolled: 1-line block ×4, first 2 shown]
	v_add_f32_e32 v6, v6, v23
	v_add_f32_e32 v7, v7, v20
	s_and_saveexec_b64 s[2:3], vcc
	s_cbranch_execz .LBB193_50
; %bb.58:                               ;   in Loop: Header=BB193_52 Depth=1
	v_lshl_add_u64 v[18:19], v[18:19], 0, v[14:15]
	global_load_dword v18, v[18:19], off
	s_waitcnt vmcnt(0)
	v_and_b32_e32 v19, 0xffff, v18
	v_lshrrev_b32_e32 v20, 16, v18
	v_cvt_pk_f32_fp8_e32 v[18:19], v19
	v_cvt_pk_f32_fp8_e32 v[22:23], v20
	v_pk_mul_f32 v[20:21], s[18:19], v[18:19]
	v_pk_mul_f32 v[18:19], s[18:19], v[22:23]
	s_and_saveexec_b64 s[18:19], s[0:1]
	s_cbranch_execz .LBB193_49
; %bb.59:                               ;   in Loop: Header=BB193_52 Depth=1
	v_cmp_gt_i32_e64 s[0:1], s33, v33
	v_add_u32_e32 v22, 1, v33
	s_nop 0
	v_cndmask_b32_e64 v20, 0, v20, s[0:1]
	v_cmp_gt_i32_e64 s[0:1], s33, v22
	v_add_u32_e32 v22, 2, v33
	s_nop 0
	v_cndmask_b32_e64 v21, 0, v21, s[0:1]
	;; [unrolled: 4-line block ×3, first 2 shown]
	v_cmp_gt_i32_e64 s[0:1], s33, v22
	s_nop 1
	v_cndmask_b32_e64 v19, 0, v19, s[0:1]
	s_branch .LBB193_49
.LBB193_60:
	s_or_b64 exec, exec, s[12:13]
.LBB193_61:
	s_or_b64 exec, exec, s[10:11]
	ds_bpermute_b32 v2, v28, v6
	ds_bpermute_b32 v3, v28, v7
	;; [unrolled: 1-line block ×3, first 2 shown]
	v_and_b32_e32 v5, 0x3c0, v0
	v_cmp_eq_u32_e32 vcc, 64, v5
	s_waitcnt lgkmcnt(0)
	v_pk_add_f32 v[2:3], v[6:7], v[2:3]
	v_add_f32_e32 v4, v8, v4
	s_barrier
	s_and_saveexec_b64 s[2:3], vcc
	s_cbranch_execz .LBB193_66
; %bb.62:
	v_cmp_eq_u32_e32 vcc, 0, v29
	s_and_saveexec_b64 s[0:1], vcc
	s_cbranch_execz .LBB193_64
; %bb.63:
	v_mov_b32_e32 v5, 0x150
	v_lshl_add_u32 v5, v30, 2, v5
	ds_write2_b32 v5, v2, v3 offset1:32
.LBB193_64:
	s_or_b64 exec, exec, s[0:1]
	v_or_b32_e32 v5, 64, v30
	s_movk_i32 s0, 0x50
	v_cmp_gt_u32_e64 s[0:1], s0, v5
	s_and_b64 s[0:1], vcc, s[0:1]
	s_and_b64 exec, exec, s[0:1]
	s_cbranch_execz .LBB193_66
; %bb.65:
	v_mov_b32_e32 v5, 0x150
	v_lshl_add_u32 v5, v30, 2, v5
	ds_write_b32 v5, v4 offset:256
.LBB193_66:
	s_or_b64 exec, exec, s[2:3]
	v_cmp_gt_u32_e32 vcc, 64, v0
	s_waitcnt lgkmcnt(0)
	s_barrier
	s_and_saveexec_b64 s[6:7], vcc
	s_cbranch_execz .LBB193_74
; %bb.67:
	v_cmp_eq_u32_e64 s[0:1], 0, v29
	s_and_saveexec_b64 s[2:3], s[0:1]
	s_cbranch_execz .LBB193_69
; %bb.68:
	v_mov_b32_e32 v0, 0x150
	v_lshl_add_u32 v0, v1, 2, v0
	ds_read_b32 v0, v0
	s_waitcnt lgkmcnt(0)
	v_add_f32_e32 v2, v2, v0
.LBB193_69:
	s_or_b64 exec, exec, s[2:3]
	s_and_saveexec_b64 s[2:3], s[0:1]
	s_cbranch_execz .LBB193_71
; %bb.70:
	v_mov_b32_e32 v0, 0x150
	v_lshl_add_u32 v0, v1, 2, v0
	ds_read_b32 v0, v0 offset:128
	s_waitcnt lgkmcnt(0)
	v_add_f32_e32 v3, v3, v0
.LBB193_71:
	s_or_b64 exec, exec, s[2:3]
	v_or_b32_e32 v0, 64, v1
	s_movk_i32 s2, 0x50
	v_cmp_gt_u32_e64 s[2:3], s2, v0
	s_and_b64 s[2:3], s[0:1], s[2:3]
	s_and_saveexec_b64 s[0:1], s[2:3]
	s_cbranch_execz .LBB193_73
; %bb.72:
	v_mov_b32_e32 v0, 0x150
	v_lshl_add_u32 v0, v1, 2, v0
	ds_read_b32 v0, v0 offset:256
	s_waitcnt lgkmcnt(0)
	v_add_f32_e32 v4, v4, v0
.LBB193_73:
	s_or_b64 exec, exec, s[0:1]
.LBB193_74:
	s_or_b64 exec, exec, s[6:7]
	s_barrier
	s_and_saveexec_b64 s[0:1], vcc
	s_cbranch_execz .LBB193_79
; %bb.75:
	s_mul_i32 s0, s8, 0x50
	s_ashr_i32 s1, s0, 31
	s_lshl_b64 s[0:1], s[0:1], 2
	s_add_u32 s2, s30, s0
	s_mul_i32 s0, s23, s28
	s_addc_u32 s3, s31, s1
	s_ashr_i32 s1, s0, 31
	s_lshl_b64 s[0:1], s[0:1], 2
	s_add_u32 s2, s2, s0
	s_mul_i32 s0, s4, 0x50
	s_addc_u32 s3, s3, s1
	s_ashr_i32 s1, s0, 31
	s_lshl_b64 s[0:1], s[0:1], 2
	s_add_u32 s2, s2, s0
	s_movk_i32 s5, 0x50
	s_addc_u32 s3, s3, s1
	v_cmp_eq_u32_e32 vcc, 0, v29
	v_lshlrev_b32_e32 v0, 2, v1
	s_and_saveexec_b64 s[0:1], vcc
	s_cbranch_execz .LBB193_77
; %bb.76:
	global_store_dword v0, v2, s[2:3]
	global_store_dword v0, v3, s[2:3] offset:128
.LBB193_77:
	s_or_b64 exec, exec, s[0:1]
	v_or_b32_e32 v1, 64, v1
	v_cmp_gt_u32_e64 s[0:1], s5, v1
	s_and_b64 s[0:1], vcc, s[0:1]
	s_and_b64 exec, exec, s[0:1]
	s_cbranch_execz .LBB193_79
; %bb.78:
	global_store_dword v0, v4, s[2:3] offset:256
.LBB193_79:
	s_endpgm
	.section	.rodata,"a",@progbits
	.p2align	6, 0x0
	.amdhsa_kernel _ZN4vllm25paged_attention_v2_kernelIfhLi80ELi8ELi128ELNS_18Fp8KVCacheDataTypeE1ELb1ELi512EEEvPfS2_PT_PKS3_PKT0_S9_ifPKiSB_iPKfiiiSD_SD_iiiii
		.amdhsa_group_segment_fixed_size 336
		.amdhsa_private_segment_fixed_size 0
		.amdhsa_kernarg_size 400
		.amdhsa_user_sgpr_count 2
		.amdhsa_user_sgpr_dispatch_ptr 0
		.amdhsa_user_sgpr_queue_ptr 0
		.amdhsa_user_sgpr_kernarg_segment_ptr 1
		.amdhsa_user_sgpr_dispatch_id 0
		.amdhsa_user_sgpr_kernarg_preload_length 0
		.amdhsa_user_sgpr_kernarg_preload_offset 0
		.amdhsa_user_sgpr_private_segment_size 0
		.amdhsa_uses_dynamic_stack 0
		.amdhsa_enable_private_segment 0
		.amdhsa_system_sgpr_workgroup_id_x 1
		.amdhsa_system_sgpr_workgroup_id_y 1
		.amdhsa_system_sgpr_workgroup_id_z 1
		.amdhsa_system_sgpr_workgroup_info 0
		.amdhsa_system_vgpr_workitem_id 0
		.amdhsa_next_free_vgpr 49
		.amdhsa_next_free_sgpr 56
		.amdhsa_accum_offset 52
		.amdhsa_reserve_vcc 1
		.amdhsa_float_round_mode_32 0
		.amdhsa_float_round_mode_16_64 0
		.amdhsa_float_denorm_mode_32 3
		.amdhsa_float_denorm_mode_16_64 3
		.amdhsa_dx10_clamp 1
		.amdhsa_ieee_mode 1
		.amdhsa_fp16_overflow 0
		.amdhsa_tg_split 0
		.amdhsa_exception_fp_ieee_invalid_op 0
		.amdhsa_exception_fp_denorm_src 0
		.amdhsa_exception_fp_ieee_div_zero 0
		.amdhsa_exception_fp_ieee_overflow 0
		.amdhsa_exception_fp_ieee_underflow 0
		.amdhsa_exception_fp_ieee_inexact 0
		.amdhsa_exception_int_div_zero 0
	.end_amdhsa_kernel
	.section	.text._ZN4vllm25paged_attention_v2_kernelIfhLi80ELi8ELi128ELNS_18Fp8KVCacheDataTypeE1ELb1ELi512EEEvPfS2_PT_PKS3_PKT0_S9_ifPKiSB_iPKfiiiSD_SD_iiiii,"axG",@progbits,_ZN4vllm25paged_attention_v2_kernelIfhLi80ELi8ELi128ELNS_18Fp8KVCacheDataTypeE1ELb1ELi512EEEvPfS2_PT_PKS3_PKT0_S9_ifPKiSB_iPKfiiiSD_SD_iiiii,comdat
.Lfunc_end193:
	.size	_ZN4vllm25paged_attention_v2_kernelIfhLi80ELi8ELi128ELNS_18Fp8KVCacheDataTypeE1ELb1ELi512EEEvPfS2_PT_PKS3_PKT0_S9_ifPKiSB_iPKfiiiSD_SD_iiiii, .Lfunc_end193-_ZN4vllm25paged_attention_v2_kernelIfhLi80ELi8ELi128ELNS_18Fp8KVCacheDataTypeE1ELb1ELi512EEEvPfS2_PT_PKS3_PKT0_S9_ifPKiSB_iPKfiiiSD_SD_iiiii
                                        ; -- End function
	.section	.AMDGPU.csdata,"",@progbits
; Kernel info:
; codeLenInByte = 4972
; NumSgprs: 62
; NumVgprs: 49
; NumAgprs: 0
; TotalNumVgprs: 49
; ScratchSize: 0
; MemoryBound: 0
; FloatMode: 240
; IeeeMode: 1
; LDSByteSize: 336 bytes/workgroup (compile time only)
; SGPRBlocks: 7
; VGPRBlocks: 6
; NumSGPRsForWavesPerEU: 62
; NumVGPRsForWavesPerEU: 49
; AccumOffset: 52
; Occupancy: 8
; WaveLimiterHint : 1
; COMPUTE_PGM_RSRC2:SCRATCH_EN: 0
; COMPUTE_PGM_RSRC2:USER_SGPR: 2
; COMPUTE_PGM_RSRC2:TRAP_HANDLER: 0
; COMPUTE_PGM_RSRC2:TGID_X_EN: 1
; COMPUTE_PGM_RSRC2:TGID_Y_EN: 1
; COMPUTE_PGM_RSRC2:TGID_Z_EN: 1
; COMPUTE_PGM_RSRC2:TIDIG_COMP_CNT: 0
; COMPUTE_PGM_RSRC3_GFX90A:ACCUM_OFFSET: 12
; COMPUTE_PGM_RSRC3_GFX90A:TG_SPLIT: 0
	.section	.text._ZN4vllm25paged_attention_v2_kernelIfhLi96ELi8ELi128ELNS_18Fp8KVCacheDataTypeE1ELb1ELi512EEEvPfS2_PT_PKS3_PKT0_S9_ifPKiSB_iPKfiiiSD_SD_iiiii,"axG",@progbits,_ZN4vllm25paged_attention_v2_kernelIfhLi96ELi8ELi128ELNS_18Fp8KVCacheDataTypeE1ELb1ELi512EEEvPfS2_PT_PKS3_PKT0_S9_ifPKiSB_iPKfiiiSD_SD_iiiii,comdat
	.protected	_ZN4vllm25paged_attention_v2_kernelIfhLi96ELi8ELi128ELNS_18Fp8KVCacheDataTypeE1ELb1ELi512EEEvPfS2_PT_PKS3_PKT0_S9_ifPKiSB_iPKfiiiSD_SD_iiiii ; -- Begin function _ZN4vllm25paged_attention_v2_kernelIfhLi96ELi8ELi128ELNS_18Fp8KVCacheDataTypeE1ELb1ELi512EEEvPfS2_PT_PKS3_PKT0_S9_ifPKiSB_iPKfiiiSD_SD_iiiii
	.globl	_ZN4vllm25paged_attention_v2_kernelIfhLi96ELi8ELi128ELNS_18Fp8KVCacheDataTypeE1ELb1ELi512EEEvPfS2_PT_PKS3_PKT0_S9_ifPKiSB_iPKfiiiSD_SD_iiiii
	.p2align	8
	.type	_ZN4vllm25paged_attention_v2_kernelIfhLi96ELi8ELi128ELNS_18Fp8KVCacheDataTypeE1ELb1ELi512EEEvPfS2_PT_PKS3_PKT0_S9_ifPKiSB_iPKfiiiSD_SD_iiiii,@function
_ZN4vllm25paged_attention_v2_kernelIfhLi96ELi8ELi128ELNS_18Fp8KVCacheDataTypeE1ELb1ELi512EEEvPfS2_PT_PKS3_PKT0_S9_ifPKiSB_iPKfiiiSD_SD_iiiii: ; @_ZN4vllm25paged_attention_v2_kernelIfhLi96ELi8ELi128ELNS_18Fp8KVCacheDataTypeE1ELb1ELi512EEEvPfS2_PT_PKS3_PKT0_S9_ifPKiSB_iPKfiiiSD_SD_iiiii
; %bb.0:
	s_load_dwordx2 s[6:7], s[0:1], 0x40
	s_mov_b32 s34, s3
	s_ashr_i32 s35, s3, 31
	s_lshl_b64 s[8:9], s[34:35], 2
	s_waitcnt lgkmcnt(0)
	s_add_u32 s6, s6, s8
	s_addc_u32 s7, s7, s9
	s_load_dword s33, s[6:7], 0x0
	s_lshl_b32 s50, s4, 9
	s_waitcnt lgkmcnt(0)
	s_cmp_ge_i32 s50, s33
	s_cbranch_scc1 .LBB194_69
; %bb.1:
	s_load_dword s5, s[0:1], 0x90
	s_load_dwordx2 s[42:43], s[0:1], 0x30
	s_mov_b32 s51, 0
	s_waitcnt lgkmcnt(0)
	s_abs_i32 s7, s5
	s_abs_i32 s3, s42
	v_cvt_f32_u32_e32 v1, s3
	s_sub_i32 s8, 0, s3
	s_xor_b32 s6, s5, s42
	s_ashr_i32 s6, s6, 31
	v_rcp_iflag_f32_e32 v1, v1
	s_nop 0
	v_mul_f32_e32 v1, 0x4f7ffffe, v1
	v_cvt_u32_f32_e32 v1, v1
	s_nop 0
	v_readfirstlane_b32 s9, v1
	s_mul_i32 s8, s8, s9
	s_mul_hi_u32 s8, s9, s8
	s_add_i32 s9, s9, s8
	s_mul_hi_u32 s8, s7, s9
	s_mul_i32 s9, s8, s3
	s_sub_i32 s7, s7, s9
	s_add_i32 s10, s8, 1
	s_sub_i32 s9, s7, s3
	s_cmp_ge_u32 s7, s3
	s_cselect_b32 s8, s10, s8
	s_cselect_b32 s7, s9, s7
	s_add_i32 s9, s8, 1
	s_cmp_ge_u32 s7, s3
	s_cselect_b32 s3, s9, s8
	s_xor_b32 s3, s3, s6
	s_sub_i32 s11, s3, s6
	s_abs_i32 s8, s11
	v_cvt_f32_u32_e32 v1, s8
	s_load_dwordx2 s[6:7], s[0:1], 0x50
	s_sub_i32 s3, 0, s8
	s_abs_i32 s9, s2
	v_rcp_iflag_f32_e32 v1, v1
	s_nop 0
	v_mul_f32_e32 v1, 0x4f7ffffe, v1
	v_cvt_u32_f32_e32 v1, v1
	s_nop 0
	v_readfirstlane_b32 s10, v1
	s_mul_i32 s3, s3, s10
	s_mul_hi_u32 s3, s10, s3
	s_add_i32 s10, s10, s3
	s_waitcnt lgkmcnt(0)
	s_cmp_eq_u64 s[6:7], 0
	s_mul_hi_u32 s10, s9, s10
	s_cbranch_scc1 .LBB194_3
; %bb.2:
	s_ashr_i32 s3, s2, 31
	s_lshl_b64 s[12:13], s[2:3], 2
	s_add_u32 s6, s6, s12
	s_addc_u32 s7, s7, s13
	s_load_dword s51, s[6:7], 0x0
.LBB194_3:
	s_load_dwordx4 s[16:19], s[0:1], 0x58
	s_movk_i32 s6, 0x60
	s_ashr_i32 s3, s2, 31
	s_ashr_i32 s11, s11, 31
	v_and_b32_e32 v2, 7, v0
	s_mul_i32 s28, s2, 0x60
	v_cmp_gt_u32_e32 vcc, s6, v0
	v_lshlrev_b32_e32 v12, 2, v0
	v_lshrrev_b32_e32 v1, 1, v0
	s_and_saveexec_b64 s[6:7], vcc
	s_cbranch_execz .LBB194_5
; %bb.4:
	s_load_dwordx2 s[12:13], s[0:1], 0x18
	s_waitcnt lgkmcnt(0)
	s_mul_i32 s14, s34, s16
	s_ashr_i32 s15, s14, 31
	s_lshl_b64 s[14:15], s[14:15], 2
	v_and_b32_e32 v4, 0x1fc, v1
	s_add_u32 s14, s12, s14
	s_addc_u32 s15, s13, s15
	s_ashr_i32 s29, s28, 31
	s_lshl_b64 s[12:13], s[28:29], 2
	s_add_u32 s12, s14, s12
	s_addc_u32 s13, s15, s13
	global_load_dword v3, v12, s[12:13]
	v_mad_u32_u24 v4, v2, 48, v4
	s_waitcnt vmcnt(0)
	ds_write_b32 v4, v3
.LBB194_5:
	s_or_b64 exec, exec, s[6:7]
	s_mul_i32 s6, s10, s8
	s_sub_i32 s6, s9, s6
	s_xor_b32 s3, s3, s11
	s_add_i32 s7, s10, 1
	s_sub_i32 s9, s6, s8
	s_load_dwordx4 s[20:23], s[0:1], 0x78
	s_cmp_ge_u32 s6, s8
	s_cselect_b32 s7, s7, s10
	s_cselect_b32 s6, s9, s6
	s_add_i32 s9, s7, 1
	s_cmp_ge_u32 s6, s8
	s_cselect_b32 s6, s9, s7
	s_load_dword s9, s[0:1], 0x88
	s_waitcnt lgkmcnt(0)
	s_abs_i32 s29, s23
	v_cvt_f32_u32_e32 v3, s29
	s_xor_b32 s6, s6, s3
	s_sub_i32 s49, s6, s3
	s_sub_i32 s6, 0, s29
	v_rcp_iflag_f32_e32 v3, v3
	s_add_i32 s10, s33, -1
	s_abs_i32 s3, s10
	v_mul_f32_e32 v3, 0x4f7ffffe, v3
	v_cvt_u32_f32_e32 v3, v3
	s_barrier
	v_readfirstlane_b32 s35, v3
	s_mul_i32 s6, s6, s35
	s_mul_hi_u32 s6, s35, s6
	s_add_i32 s35, s35, s6
	s_cmp_lt_i32 s9, 0
	s_mul_hi_u32 s8, s3, s35
	s_cbranch_scc0 .LBB194_7
; %bb.6:
	s_mul_i32 s6, s20, s42
	s_add_i32 s6, s49, s6
	s_mul_i32 s6, s6, s9
	s_sub_i32 s42, 1, s6
	s_mov_b64 s[6:7], 0
	s_branch .LBB194_8
.LBB194_7:
	s_mov_b64 s[6:7], -1
                                        ; implicit-def: $sgpr42
.LBB194_8:
	s_load_dwordx2 s[36:37], s[0:1], 0x38
	s_ashr_i32 s10, s10, 31
	s_andn2_b64 vcc, exec, s[6:7]
	s_ashr_i32 s23, s23, 31
	s_cbranch_vccnz .LBB194_10
; %bb.9:
	s_mul_i32 s6, s5, s20
	s_add_i32 s6, s6, s2
	s_mul_i32 s6, s6, s9
	s_add_i32 s42, s6, 1
.LBB194_10:
	s_load_dwordx2 s[40:41], s[0:1], 0x28
	s_load_dword s6, s[0:1], 0x48
	s_load_dwordx4 s[24:27], s[0:1], 0x0
	s_load_dwordx2 s[30:31], s[0:1], 0x10
	s_load_dword s20, s[0:1], 0x98
	s_load_dwordx4 s[12:15], s[0:1], 0x68
	s_mul_i32 s7, s8, s29
	s_waitcnt lgkmcnt(0)
	s_mul_i32 s38, s34, s6
	s_sub_i32 s3, s3, s7
	s_ashr_i32 s39, s38, 31
	s_xor_b32 s6, s10, s23
	s_add_i32 s7, s8, 1
	s_sub_i32 s9, s3, s29
	s_cmp_ge_u32 s3, s29
	s_cselect_b32 s7, s7, s8
	s_cselect_b32 s3, s9, s3
	s_add_i32 s8, s7, 1
	s_cmp_ge_u32 s3, s29
	s_cselect_b32 s3, s8, s7
	s_xor_b32 s3, s3, s6
	s_sub_i32 s16, s3, s6
	s_add_i32 s3, s33, 7
	s_ashr_i32 s6, s3, 31
	s_lshr_b32 s6, s6, 29
	s_add_i32 s3, s3, s6
	s_lshl_b32 s52, s4, 6
	s_ashr_i32 s3, s3, 3
	s_add_i32 s6, s52, 64
	v_lshrrev_b32_e32 v16, 6, v0
	s_min_i32 s48, s6, s3
	v_or_b32_e32 v10, s52, v16
	v_cmp_gt_i32_e64 s[8:9], s48, v10
	v_mov_b32_e32 v15, 0xff7fffff
	s_mul_i32 s49, s49, s18
	v_ashrrev_i32_e32 v11, 31, v10
	v_lshl_add_u32 v9, v16, 3, s50
	v_mbcnt_lo_u32_b32 v8, -1, 0
	s_and_saveexec_b64 s[18:19], s[8:9]
	s_cbranch_execz .LBB194_20
; %bb.11:
	s_load_dwordx2 s[0:1], s[0:1], 0x20
	s_sub_i32 s53, s16, s21
	s_ashr_i32 s6, s49, 31
	v_bfe_u32 v13, v0, 3, 3
	v_mov_b32_e32 v5, 0
	s_waitcnt lgkmcnt(0)
	s_add_u32 s0, s0, s49
	s_addc_u32 s1, s1, s6
	s_abs_i32 s54, s22
	v_cvt_f32_u32_e32 v3, s54
	v_lshlrev_b32_e32 v4, 4, v13
	v_lshlrev_b32_e32 v15, 2, v13
	v_lshl_or_b32 v15, v16, 5, v15
	v_rcp_iflag_f32_e32 v3, v3
	v_add_u32_e32 v19, 0x190, v15
	v_subrev_u32_e32 v15, s33, v13
	v_mbcnt_hi_u32_b32 v22, -1, v8
	v_mul_f32_e32 v3, 0x4f7ffffe, v3
	v_cvt_u32_f32_e32 v6, v3
	v_mov_b32_e32 v3, v5
	v_lshl_add_u64 v[4:5], s[0:1], 0, v[4:5]
	s_sub_i32 s0, 0, s54
	v_mul_lo_u32 v7, s0, v6
	s_lshl_b64 s[0:1], s[38:39], 2
	s_add_u32 s0, s36, s0
	v_mul_hi_u32 v7, v6, v7
	s_addc_u32 s1, s37, s1
	v_add_u32_e32 v20, 1, v15
	v_and_b32_e32 v15, 64, v22
	v_cmp_eq_u32_e32 vcc, 0, v2
	s_mov_b32 s55, s17
	v_mul_u32_u24_e32 v14, 48, v2
	v_cmp_neq_f32_e64 s[6:7], s51, 0
	v_add_u32_e32 v17, v6, v7
	v_lshl_add_u64 v[6:7], v[10:11], 2, s[0:1]
	v_lshl_add_u32 v18, v16, 3, s50
	s_mov_b64 s[44:45], 0
	v_mov_b32_e32 v21, 0xff7fffff
	v_add_u32_e32 v23, 64, v15
	v_xor_b32_e32 v24, 4, v22
	v_xor_b32_e32 v25, 2, v22
	;; [unrolled: 1-line block ×3, first 2 shown]
	v_mov_b32_e32 v15, 0xff7fffff
	v_mov_b32_e32 v27, v10
	s_branch .LBB194_14
.LBB194_12:                             ;   in Loop: Header=BB194_14 Depth=1
	s_or_b64 exec, exec, s[46:47]
.LBB194_13:                             ;   in Loop: Header=BB194_14 Depth=1
	s_or_b64 exec, exec, s[10:11]
	v_add_u32_e32 v27, 2, v27
	v_cmp_le_i32_e64 s[0:1], s48, v27
	v_lshl_add_u64 v[6:7], v[6:7], 0, 8
	v_add_u32_e32 v18, 16, v18
	s_or_b64 s[44:45], s[0:1], s[44:45]
	v_add_u32_e32 v19, 64, v19
	s_andn2_b64 exec, exec, s[44:45]
	s_cbranch_execz .LBB194_19
.LBB194_14:                             ; =>This Inner Loop Header: Depth=1
	s_waitcnt lgkmcnt(0)
	v_sub_u32_e32 v29, 0, v18
	v_max_i32_e32 v29, v18, v29
	v_mul_hi_u32 v30, v29, s35
	v_mul_lo_u32 v31, v30, s29
	v_sub_u32_e32 v29, v29, v31
	v_add_u32_e32 v31, 1, v30
	v_cmp_le_u32_e64 s[0:1], s29, v29
	v_ashrrev_i32_e32 v28, 31, v18
	v_xor_b32_e32 v28, s23, v28
	v_cndmask_b32_e64 v30, v30, v31, s[0:1]
	v_subrev_u32_e32 v31, s29, v29
	v_cndmask_b32_e64 v29, v29, v31, s[0:1]
	v_add_u32_e32 v31, 1, v30
	v_cmp_le_u32_e64 s[0:1], s29, v29
	s_nop 1
	v_cndmask_b32_e64 v29, v30, v31, s[0:1]
	v_xor_b32_e32 v29, v29, v28
	v_sub_u32_e32 v28, v29, v28
	v_add_u32_e32 v29, s42, v28
	v_sub_u32_e32 v31, 0, v29
	v_ashrrev_i32_e32 v30, 31, v29
	v_max_i32_e32 v29, v29, v31
	v_mul_hi_u32 v31, v29, v17
	v_mul_lo_u32 v31, v31, s54
	v_sub_u32_e32 v29, v29, v31
	v_subrev_u32_e32 v31, s54, v29
	v_cmp_le_u32_e64 s[0:1], s54, v29
	v_cmp_ge_i32_e64 s[10:11], s53, v28
	s_nop 0
	v_cndmask_b32_e64 v29, v29, v31, s[0:1]
	v_subrev_u32_e32 v31, s54, v29
	v_cmp_le_u32_e64 s[0:1], s54, v29
	s_nop 1
	v_cndmask_b32_e64 v29, v29, v31, s[0:1]
	v_xor_b32_e32 v29, v29, v30
	v_sub_u32_e32 v29, v29, v30
	v_cmp_ne_u32_e64 s[0:1], 0, v29
	s_and_b64 s[0:1], s[0:1], s[10:11]
	s_and_b64 s[46:47], vcc, s[0:1]
	s_and_saveexec_b64 s[10:11], s[46:47]
	s_cbranch_execz .LBB194_16
; %bb.15:                               ;   in Loop: Header=BB194_14 Depth=1
	ds_write_b32 v19, v21
.LBB194_16:                             ;   in Loop: Header=BB194_14 Depth=1
	s_or_b64 exec, exec, s[10:11]
	s_xor_b64 s[0:1], s[0:1], -1
	s_and_saveexec_b64 s[10:11], s[0:1]
	s_cbranch_execz .LBB194_13
; %bb.17:                               ;   in Loop: Header=BB194_14 Depth=1
	global_load_dword v28, v[6:7], off
	s_waitcnt vmcnt(0)
	v_mad_i64_i32 v[28:29], s[0:1], v28, s55, v[4:5]
	v_lshl_add_u64 v[28:29], v[28:29], 0, v[2:3]
	global_load_ubyte v40, v[28:29], off
	global_load_ubyte v41, v[28:29], off offset:8
	global_load_ubyte v42, v[28:29], off offset:128
	;; [unrolled: 1-line block ×11, first 2 shown]
	v_cmp_lt_i32_e64 s[0:1], v24, v23
	ds_read_b128 v[28:31], v14
	ds_read_b128 v[32:35], v14 offset:16
	ds_read_b128 v[36:39], v14 offset:32
	v_cndmask_b32_e64 v52, v22, v24, s[0:1]
	s_load_dword s0, s[12:13], 0x0
	v_lshlrev_b32_e32 v52, 2, v52
	s_waitcnt vmcnt(11)
	v_cvt_f32_fp8_sdwa v40, v40 src0_sel:BYTE_0
	s_waitcnt vmcnt(10)
	v_cvt_f32_fp8_sdwa v41, v41 src0_sel:BYTE_0
	;; [unrolled: 2-line block ×5, first 2 shown]
	s_waitcnt lgkmcnt(0)
	v_mul_f32_e32 v41, s0, v41
	s_waitcnt vmcnt(6)
	v_cvt_f32_fp8_sdwa v45, v45 src0_sel:BYTE_0
	v_mul_f32_e32 v40, s0, v40
	v_mul_f32_e32 v29, v29, v41
	s_waitcnt vmcnt(5)
	v_cvt_f32_fp8_sdwa v46, v46 src0_sel:BYTE_0
	v_mul_f32_e32 v42, s0, v42
	v_fmac_f32_e32 v29, v28, v40
	s_waitcnt vmcnt(4)
	v_cvt_f32_fp8_sdwa v47, v47 src0_sel:BYTE_0
	v_mul_f32_e32 v43, s0, v43
	v_fmac_f32_e32 v29, v30, v42
	;; [unrolled: 4-line block ×6, first 2 shown]
	v_mul_f32_e32 v48, s0, v48
	v_fmac_f32_e32 v29, v35, v47
	v_mul_f32_e32 v49, s0, v49
	v_fmac_f32_e32 v29, v36, v48
	v_mul_f32_e32 v50, s0, v50
	v_fmac_f32_e32 v29, v37, v49
	v_mul_f32_e32 v51, s0, v51
	v_fmac_f32_e32 v29, v38, v50
	v_fmac_f32_e32 v29, v39, v51
	ds_bpermute_b32 v28, v52, v29
	v_cmp_lt_i32_e64 s[0:1], v25, v23
	s_waitcnt lgkmcnt(0)
	v_add_f32_e32 v28, v29, v28
	v_cndmask_b32_e64 v30, v22, v25, s[0:1]
	v_lshlrev_b32_e32 v30, 2, v30
	ds_bpermute_b32 v29, v30, v28
	v_cmp_lt_i32_e64 s[0:1], v26, v23
	s_waitcnt lgkmcnt(0)
	v_add_f32_e32 v28, v28, v29
	v_cndmask_b32_e64 v30, v22, v26, s[0:1]
	v_lshlrev_b32_e32 v30, 2, v30
	ds_bpermute_b32 v29, v30, v28
	s_and_saveexec_b64 s[46:47], vcc
	s_cbranch_execz .LBB194_12
; %bb.18:                               ;   in Loop: Header=BB194_14 Depth=1
	v_add_u32_e32 v30, v20, v18
	v_cvt_f32_i32_e32 v30, v30
	s_waitcnt lgkmcnt(0)
	v_add_f32_e32 v28, v28, v29
	v_add_u32_e32 v31, v13, v18
	v_cmp_gt_i32_e64 s[0:1], s33, v31
	v_mul_f32_e32 v29, s51, v30
	v_cndmask_b32_e64 v29, 0, v29, s[6:7]
	v_fmac_f32_e32 v29, s43, v28
	v_cndmask_b32_e64 v28, 0, v29, s[0:1]
	ds_write_b32 v19, v28
	v_max_f32_e32 v28, v15, v15
	v_max_f32_e32 v28, v28, v29
	v_cndmask_b32_e64 v15, v15, v28, s[0:1]
	s_branch .LBB194_12
.LBB194_19:
	s_or_b64 exec, exec, s[44:45]
.LBB194_20:
	s_or_b64 exec, exec, s[18:19]
	v_mbcnt_hi_u32_b32 v2, -1, v8
	v_and_b32_e32 v3, 64, v2
	v_add_u32_e32 v3, 64, v3
	v_xor_b32_e32 v4, 32, v2
	v_cmp_lt_i32_e32 vcc, v4, v3
	v_xor_b32_e32 v7, 16, v2
	v_max_f32_e32 v5, v15, v15
	v_cndmask_b32_e32 v4, v2, v4, vcc
	v_lshlrev_b32_e32 v6, 2, v4
	ds_bpermute_b32 v4, v6, v15
	v_cmp_lt_i32_e32 vcc, v7, v3
	v_and_b32_e32 v28, 63, v0
	s_waitcnt lgkmcnt(0)
	v_max_f32_e32 v4, v4, v4
	v_max_f32_e32 v4, v5, v4
	v_cndmask_b32_e32 v5, v2, v7, vcc
	v_lshlrev_b32_e32 v8, 2, v5
	ds_bpermute_b32 v5, v8, v4
	v_xor_b32_e32 v7, 8, v2
	v_cmp_lt_i32_e32 vcc, v7, v3
	s_waitcnt lgkmcnt(0)
	v_max_f32_e32 v5, v5, v5
	v_max_f32_e32 v4, v4, v5
	v_cndmask_b32_e32 v5, v2, v7, vcc
	v_lshlrev_b32_e32 v13, 2, v5
	ds_bpermute_b32 v7, v13, v4
	v_cmp_eq_u32_e32 vcc, 0, v28
	v_lshlrev_b32_e32 v5, 2, v16
	s_and_saveexec_b64 s[0:1], vcc
	s_cbranch_execz .LBB194_22
; %bb.21:
	s_waitcnt lgkmcnt(0)
	v_max_f32_e32 v7, v7, v7
	v_max_f32_e32 v4, v4, v4
	;; [unrolled: 1-line block ×3, first 2 shown]
	ds_write_b32 v5, v4 offset:384
.LBB194_22:
	s_or_b64 exec, exec, s[0:1]
	v_cmp_gt_u32_e64 s[0:1], 2, v28
	v_mov_b32_e32 v4, 0xff7fffff
	s_waitcnt lgkmcnt(0)
	v_lshlrev_b32_e32 v7, 2, v28
	s_barrier
	s_and_saveexec_b64 s[6:7], s[0:1]
	s_cbranch_execz .LBB194_24
; %bb.23:
	ds_read_b32 v4, v7 offset:384
.LBB194_24:
	s_or_b64 exec, exec, s[6:7]
	v_xor_b32_e32 v14, 1, v2
	v_cmp_lt_i32_e64 s[6:7], v14, v3
	v_mov_b32_e32 v15, 0
	s_nop 0
	v_cndmask_b32_e64 v14, v2, v14, s[6:7]
	v_lshlrev_b32_e32 v29, 2, v14
	s_waitcnt lgkmcnt(0)
	ds_bpermute_b32 v14, v29, v4
	v_max_f32_e32 v4, v4, v4
	s_sub_i32 s6, s48, s52
	s_lshl_b32 s6, s6, 3
	s_add_i32 s6, s6, s50
	s_waitcnt lgkmcnt(0)
	v_max_f32_e32 v14, v14, v14
	v_max_f32_e32 v4, v4, v14
	v_lshlrev_b32_e32 v14, 2, v2
	v_and_b32_e32 v14, 0x100, v14
	ds_bpermute_b32 v4, v14, v4
	s_min_i32 s44, s6, s33
	s_sub_i32 s43, s44, s50
	v_cmp_gt_i32_e64 s[6:7], s43, v0
	s_and_saveexec_b64 s[12:13], s[6:7]
	s_cbranch_execz .LBB194_28
; %bb.25:
	v_mov_b32_e32 v15, 0x190
	v_lshl_add_u32 v17, v0, 2, v15
	s_mov_b64 s[18:19], 0
	v_mov_b32_e32 v15, 0
	v_mov_b32_e32 v18, v0
.LBB194_26:                             ; =>This Inner Loop Header: Depth=1
	ds_read_b32 v19, v17
	v_add_u32_e32 v18, 0x80, v18
	v_cmp_le_i32_e64 s[10:11], s43, v18
	s_or_b64 s[18:19], s[10:11], s[18:19]
	s_waitcnt lgkmcnt(0)
	v_sub_f32_e32 v19, v19, v4
	v_mul_f32_e32 v19, 0x3fb8aa3b, v19
	v_exp_f32_e32 v19, v19
	ds_write_b32 v17, v19
	v_add_f32_e32 v15, v15, v19
	v_add_u32_e32 v17, 0x200, v17
	s_andn2_b64 exec, exec, s[18:19]
	s_cbranch_execnz .LBB194_26
; %bb.27:
	s_or_b64 exec, exec, s[18:19]
.LBB194_28:
	s_or_b64 exec, exec, s[12:13]
	ds_bpermute_b32 v6, v6, v15
	s_waitcnt lgkmcnt(0)
	v_add_f32_e32 v6, v15, v6
	ds_bpermute_b32 v8, v8, v6
	s_waitcnt lgkmcnt(0)
	v_add_f32_e32 v6, v6, v8
	ds_bpermute_b32 v8, v13, v6
	v_xor_b32_e32 v13, 4, v2
	v_cmp_lt_i32_e64 s[10:11], v13, v3
	s_waitcnt lgkmcnt(0)
	v_add_f32_e32 v6, v6, v8
	v_cndmask_b32_e64 v13, v2, v13, s[10:11]
	v_lshlrev_b32_e32 v13, 2, v13
	ds_bpermute_b32 v8, v13, v6
	v_xor_b32_e32 v13, 2, v2
	v_cmp_lt_i32_e64 s[10:11], v13, v3
	s_waitcnt lgkmcnt(0)
	v_add_f32_e32 v3, v6, v8
	v_cndmask_b32_e64 v2, v2, v13, s[10:11]
	v_lshlrev_b32_e32 v2, 2, v2
	ds_bpermute_b32 v2, v2, v3
	s_waitcnt lgkmcnt(0)
	v_add_f32_e32 v2, v3, v2
	ds_bpermute_b32 v3, v29, v2
	s_waitcnt lgkmcnt(0)
	v_add_f32_e32 v2, v2, v3
	s_and_saveexec_b64 s[10:11], vcc
	s_cbranch_execz .LBB194_30
; %bb.29:
	ds_write_b32 v5, v2 offset:392
.LBB194_30:
	s_or_b64 exec, exec, s[10:11]
	s_waitcnt lgkmcnt(0)
	s_barrier
	s_and_saveexec_b64 s[10:11], s[0:1]
	s_cbranch_execz .LBB194_32
; %bb.31:
	ds_read_b32 v2, v7 offset:392
.LBB194_32:
	s_or_b64 exec, exec, s[10:11]
	s_waitcnt lgkmcnt(0)
	ds_bpermute_b32 v3, v29, v2
	s_waitcnt lgkmcnt(0)
	v_add_f32_e32 v2, v2, v3
	ds_bpermute_b32 v5, v14, v2
	s_and_saveexec_b64 s[0:1], s[6:7]
	s_cbranch_execz .LBB194_45
; %bb.33:
	s_waitcnt lgkmcnt(0)
	v_add_f32_e32 v2, 0x358637bd, v5
	v_div_scale_f32 v3, s[6:7], v2, v2, 1.0
	v_rcp_f32_e32 v6, v3
	v_div_scale_f32 v7, vcc, 1.0, v2, 1.0
	s_movk_i32 s6, 0x7f
	v_fma_f32 v8, -v3, v6, 1.0
	v_fmac_f32_e32 v6, v8, v6
	v_mul_f32_e32 v8, v7, v6
	v_fma_f32 v13, -v3, v8, v7
	v_fmac_f32_e32 v8, v13, v6
	v_fma_f32 v3, -v3, v8, v7
	v_div_fmas_f32 v3, v3, v6, v8
	v_div_fixup_f32 v2, v3, v2, 1.0
	v_xad_u32 v3, v0, -1, s44
	v_subrev_u32_e32 v6, s50, v3
	v_cmp_lt_u32_e32 vcc, s6, v6
	s_mov_b64 s[10:11], -1
	v_mov_b32_e32 v3, v0
	s_and_saveexec_b64 s[6:7], vcc
	s_cbranch_execz .LBB194_42
; %bb.34:
	v_lshrrev_b32_e32 v6, 7, v6
	v_add_u32_e32 v8, -1, v6
	v_lshrrev_b32_e32 v7, 1, v8
	v_mov_b32_e32 v3, v2
	v_add_u32_e32 v7, 1, v7
	v_cmp_lt_u32_e32 vcc, 13, v8
	v_mov_b32_e32 v14, 0
	s_and_saveexec_b64 s[10:11], vcc
	s_cbranch_execz .LBB194_38
; %bb.35:
	v_mov_b32_e32 v13, 0x190
	v_and_b32_e32 v8, -8, v7
	v_lshl_add_u32 v13, v0, 2, v13
	s_mov_b32 s18, 0
	s_mov_b64 s[12:13], 0
.LBB194_36:                             ; =>This Inner Loop Header: Depth=1
	ds_read2st64_b32 v[14:15], v13 offset1:2
	ds_read2st64_b32 v[18:19], v13 offset0:4 offset1:6
	ds_read2st64_b32 v[20:21], v13 offset0:8 offset1:10
	;; [unrolled: 1-line block ×3, first 2 shown]
	v_add_u32_e32 v8, -8, v8
	s_waitcnt lgkmcnt(3)
	v_pk_mul_f32 v[14:15], v[2:3], v[14:15]
	s_waitcnt lgkmcnt(2)
	v_pk_mul_f32 v[18:19], v[2:3], v[18:19]
	ds_write2st64_b32 v13, v14, v15 offset1:2
	ds_write2st64_b32 v13, v18, v19 offset0:4 offset1:6
	ds_read2st64_b32 v[18:19], v13 offset0:16 offset1:18
	s_waitcnt lgkmcnt(4)
	v_pk_mul_f32 v[14:15], v[2:3], v[20:21]
	ds_write2st64_b32 v13, v14, v15 offset0:8 offset1:10
	s_waitcnt lgkmcnt(4)
	v_pk_mul_f32 v[14:15], v[2:3], v[22:23]
	ds_write2st64_b32 v13, v14, v15 offset0:12 offset1:14
	ds_read2st64_b32 v[14:15], v13 offset0:20 offset1:22
	s_waitcnt lgkmcnt(3)
	v_pk_mul_f32 v[18:19], v[2:3], v[18:19]
	ds_read2st64_b32 v[20:21], v13 offset0:24 offset1:26
	ds_write2st64_b32 v13, v18, v19 offset0:16 offset1:18
	ds_read2st64_b32 v[18:19], v13 offset0:28 offset1:30
	s_waitcnt lgkmcnt(3)
	v_pk_mul_f32 v[14:15], v[2:3], v[14:15]
	ds_write2st64_b32 v13, v14, v15 offset0:20 offset1:22
	s_waitcnt lgkmcnt(3)
	v_pk_mul_f32 v[14:15], v[2:3], v[20:21]
	ds_write2st64_b32 v13, v14, v15 offset0:24 offset1:26
	s_waitcnt lgkmcnt(2)
	v_pk_mul_f32 v[14:15], v[2:3], v[18:19]
	s_add_i32 s18, s18, 16
	v_cmp_eq_u32_e32 vcc, 0, v8
	ds_write2st64_b32 v13, v14, v15 offset0:28 offset1:30
	v_add_u32_e32 v13, 0x2000, v13
	s_or_b64 s[12:13], vcc, s[12:13]
	v_mov_b32_e32 v14, s18
	s_andn2_b64 exec, exec, s[12:13]
	s_cbranch_execnz .LBB194_36
; %bb.37:
	s_or_b64 exec, exec, s[12:13]
.LBB194_38:
	s_or_b64 exec, exec, s[10:11]
	v_and_b32_e32 v7, 7, v7
	v_cmp_ne_u32_e32 vcc, 0, v7
	s_and_saveexec_b64 s[10:11], vcc
	s_cbranch_execz .LBB194_41
; %bb.39:
	v_lshlrev_b32_e32 v8, 9, v14
	s_movk_i32 s12, 0x190
	v_add3_u32 v8, v8, v12, s12
	s_mov_b64 s[12:13], 0
.LBB194_40:                             ; =>This Inner Loop Header: Depth=1
	ds_read2st64_b32 v[14:15], v8 offset1:2
	v_add_u32_e32 v7, -1, v7
	v_cmp_eq_u32_e32 vcc, 0, v7
	s_or_b64 s[12:13], vcc, s[12:13]
	s_waitcnt lgkmcnt(0)
	v_pk_mul_f32 v[14:15], v[2:3], v[14:15]
	ds_write2st64_b32 v8, v14, v15 offset1:2
	v_add_u32_e32 v8, 0x400, v8
	s_andn2_b64 exec, exec, s[12:13]
	s_cbranch_execnz .LBB194_40
.LBB194_41:
	s_or_b64 exec, exec, s[10:11]
	v_add_u32_e32 v6, 1, v6
	v_and_b32_e32 v7, 0x3fffffe, v6
	v_cmp_ne_u32_e32 vcc, v6, v7
	v_lshl_add_u32 v3, v7, 7, v0
	s_orn2_b64 s[10:11], vcc, exec
.LBB194_42:
	s_or_b64 exec, exec, s[6:7]
	s_and_b64 exec, exec, s[10:11]
	s_cbranch_execz .LBB194_45
; %bb.43:
	v_mov_b32_e32 v6, 0x190
	v_lshl_add_u32 v6, v3, 2, v6
	s_mov_b64 s[6:7], 0
.LBB194_44:                             ; =>This Inner Loop Header: Depth=1
	ds_read_b32 v7, v6
	v_add_u32_e32 v3, 0x80, v3
	v_cmp_le_i32_e32 vcc, s43, v3
	s_or_b64 s[6:7], vcc, s[6:7]
	s_waitcnt lgkmcnt(0)
	v_mul_f32_e32 v7, v2, v7
	ds_write_b32 v6, v7
	v_add_u32_e32 v6, 0x200, v6
	s_andn2_b64 exec, exec, s[6:7]
	s_cbranch_execnz .LBB194_44
.LBB194_45:
	s_or_b64 exec, exec, s[0:1]
	s_mul_i32 s0, s20, s34
	v_cmp_eq_u32_e32 vcc, 0, v0
	s_mul_i32 s6, s0, s5
	s_waitcnt lgkmcnt(0)
	s_barrier
	s_and_saveexec_b64 s[0:1], vcc
	s_cbranch_execz .LBB194_47
; %bb.46:
	s_ashr_i32 s7, s6, 31
	s_lshl_b64 s[10:11], s[6:7], 2
	s_add_u32 s5, s26, s10
	s_mul_i32 s12, s20, s2
	s_addc_u32 s7, s27, s11
	s_ashr_i32 s13, s12, 31
	s_lshl_b64 s[12:13], s[12:13], 2
	s_add_u32 s2, s5, s12
	s_addc_u32 s7, s7, s13
	s_ashr_i32 s5, s4, 31
	s_lshl_b64 s[18:19], s[4:5], 2
	s_add_u32 s26, s2, s18
	s_addc_u32 s27, s7, s19
	s_add_u32 s2, s24, s10
	s_addc_u32 s5, s25, s11
	;; [unrolled: 2-line block ×3, first 2 shown]
	s_add_u32 s10, s2, s18
	v_mov_b32_e32 v2, 0
	s_addc_u32 s11, s5, s19
	global_store_dword v2, v4, s[26:27]
	global_store_dword v2, v5, s[10:11]
.LBB194_47:
	s_or_b64 exec, exec, s[0:1]
	s_mov_b32 s0, 0
	v_mov_b32_e32 v8, 0
	v_and_b32_e32 v30, 1, v0
	v_mov_b32_e32 v7, 0
	v_mov_b32_e32 v6, 0
	s_and_saveexec_b64 s[10:11], s[8:9]
	s_cbranch_execz .LBB194_59
; %bb.48:
	s_sub_i32 s5, s16, s21
	s_ashr_i32 s1, s49, 31
	s_add_u32 s8, s40, s49
	s_addc_u32 s9, s41, s1
	s_abs_i32 s7, s22
	v_cvt_f32_u32_e32 v2, s7
	v_mov_b32_e32 v3, 0
	s_add_i32 s19, s3, -1
	s_sub_i32 s1, 0, s7
	v_rcp_iflag_f32_e32 v4, v2
	v_and_b32_e32 v2, 0xfc, v12
	s_lshl_b64 s[2:3], s[38:39], 2
	v_and_b32_e32 v31, 4, v12
	v_mul_f32_e32 v4, 0x4f7ffffe, v4
	v_cvt_u32_f32_e32 v4, v4
	v_lshl_add_u64 v[12:13], s[8:9], 0, v[2:3]
	s_add_u32 s2, s36, s2
	s_addc_u32 s3, s37, s3
	v_mul_lo_u32 v2, s1, v4
	v_mul_hi_u32 v2, v4, v2
	v_add_u32_e32 v32, v4, v2
	v_lshl_add_u64 v[14:15], v[10:11], 2, s[2:3]
	v_lshlrev_b32_e32 v2, 4, v30
	s_mov_b32 s2, s0
	v_lshl_or_b32 v2, v16, 5, v2
	s_mov_b32 s1, s0
	v_mov_b32_e32 v8, s2
	s_mov_b32 s18, s17
	v_add_u32_e32 v11, 0x190, v2
	s_mov_b64 s[8:9], 0
	v_mov_b32_e32 v7, s1
	v_mov_b32_e32 v6, s0
	s_branch .LBB194_51
.LBB194_49:                             ;   in Loop: Header=BB194_51 Depth=1
	s_or_b64 exec, exec, s[0:1]
	v_mul_f32_e32 v19, v3, v19
	v_fmac_f32_e32 v19, v2, v18
	v_fmac_f32_e32 v19, v4, v16
	v_mul_f32_e32 v16, v3, v25
	v_mul_f32_e32 v3, v3, v27
	v_fmac_f32_e32 v16, v2, v24
	v_fmac_f32_e32 v3, v2, v26
	;; [unrolled: 1-line block ×7, first 2 shown]
	v_add_f32_e32 v6, v6, v19
	v_add_f32_e32 v7, v7, v16
	;; [unrolled: 1-line block ×3, first 2 shown]
.LBB194_50:                             ;   in Loop: Header=BB194_51 Depth=1
	s_or_b64 exec, exec, s[2:3]
	v_add_u32_e32 v10, 2, v10
	v_cmp_le_i32_e32 vcc, s48, v10
	v_lshl_add_u64 v[14:15], v[14:15], 0, 8
	v_add_u32_e32 v9, 16, v9
	s_or_b64 s[8:9], vcc, s[8:9]
	v_add_u32_e32 v11, 64, v11
	s_andn2_b64 exec, exec, s[8:9]
	s_cbranch_execz .LBB194_58
.LBB194_51:                             ; =>This Inner Loop Header: Depth=1
	v_sub_u32_e32 v3, 0, v9
	v_max_i32_e32 v3, v9, v3
	v_mul_hi_u32 v4, v3, s35
	v_mul_lo_u32 v5, v4, s29
	v_sub_u32_e32 v3, v3, v5
	v_add_u32_e32 v5, 1, v4
	v_cmp_le_u32_e32 vcc, s29, v3
	v_ashrrev_i32_e32 v2, 31, v9
	v_xor_b32_e32 v2, s23, v2
	v_cndmask_b32_e32 v4, v4, v5, vcc
	v_subrev_u32_e32 v5, s29, v3
	v_cndmask_b32_e32 v3, v3, v5, vcc
	v_add_u32_e32 v5, 1, v4
	v_cmp_le_u32_e32 vcc, s29, v3
	s_nop 1
	v_cndmask_b32_e32 v3, v4, v5, vcc
	v_xor_b32_e32 v3, v3, v2
	v_sub_u32_e32 v2, v3, v2
	v_add_u32_e32 v3, s42, v2
	v_sub_u32_e32 v5, 0, v3
	v_ashrrev_i32_e32 v4, 31, v3
	v_max_i32_e32 v3, v3, v5
	v_mul_hi_u32 v5, v3, v32
	v_mul_lo_u32 v5, v5, s7
	v_sub_u32_e32 v3, v3, v5
	v_subrev_u32_e32 v5, s7, v3
	v_cmp_le_u32_e32 vcc, s7, v3
	v_cmp_lt_i32_e64 s[0:1], s5, v2
	s_nop 0
	v_cndmask_b32_e32 v3, v3, v5, vcc
	v_subrev_u32_e32 v5, s7, v3
	v_cmp_le_u32_e32 vcc, s7, v3
	s_nop 1
	v_cndmask_b32_e32 v3, v3, v5, vcc
	v_xor_b32_e32 v3, v3, v4
	v_sub_u32_e32 v3, v3, v4
	v_cmp_eq_u32_e32 vcc, 0, v3
	s_or_b64 s[0:1], vcc, s[0:1]
	s_and_saveexec_b64 s[2:3], s[0:1]
	s_cbranch_execz .LBB194_50
; %bb.52:                               ;   in Loop: Header=BB194_51 Depth=1
	global_load_dword v2, v[14:15], off
	s_load_dword s12, s[14:15], 0x0
	v_add_u32_e32 v33, v31, v9
	v_cmp_eq_u32_e32 vcc, s19, v10
	v_add_u32_e32 v35, 1, v33
	v_add_u32_e32 v34, 2, v33
	;; [unrolled: 1-line block ×3, first 2 shown]
	s_waitcnt vmcnt(0)
	v_mad_i64_i32 v[20:21], s[0:1], v2, s18, v[12:13]
	global_load_dword v16, v[20:21], off
	ds_read_b128 v[2:5], v11
	s_waitcnt vmcnt(0)
	v_and_b32_e32 v17, 0xffff, v16
	v_lshrrev_b32_e32 v18, 16, v16
	v_cvt_pk_f32_fp8_e32 v[16:17], v17
	v_cvt_pk_f32_fp8_e32 v[22:23], v18
	s_waitcnt lgkmcnt(0)
	v_pk_mul_f32 v[18:19], s[12:13], v[16:17] op_sel_hi:[0,1]
	v_pk_mul_f32 v[16:17], s[12:13], v[22:23] op_sel_hi:[0,1]
	s_and_saveexec_b64 s[16:17], vcc
; %bb.53:                               ;   in Loop: Header=BB194_51 Depth=1
	v_cmp_gt_i32_e64 s[0:1], s33, v33
	s_nop 1
	v_cndmask_b32_e64 v18, 0, v18, s[0:1]
	v_cmp_gt_i32_e64 s[0:1], s33, v35
	s_nop 1
	v_cndmask_b32_e64 v19, 0, v19, s[0:1]
	;; [unrolled: 3-line block ×4, first 2 shown]
; %bb.54:                               ;   in Loop: Header=BB194_51 Depth=1
	s_or_b64 exec, exec, s[16:17]
	global_load_dword v22, v[20:21], off offset:256
	s_mov_b32 s13, s12
	s_waitcnt vmcnt(0)
	v_and_b32_e32 v23, 0xffff, v22
	v_lshrrev_b32_e32 v24, 16, v22
	v_cvt_pk_f32_fp8_e32 v[22:23], v23
	v_cvt_pk_f32_fp8_e32 v[26:27], v24
	v_pk_mul_f32 v[24:25], s[12:13], v[22:23]
	v_pk_mul_f32 v[22:23], s[12:13], v[26:27]
	s_and_saveexec_b64 s[16:17], vcc
; %bb.55:                               ;   in Loop: Header=BB194_51 Depth=1
	v_cmp_gt_i32_e64 s[0:1], s33, v33
	s_nop 1
	v_cndmask_b32_e64 v24, 0, v24, s[0:1]
	v_cmp_gt_i32_e64 s[0:1], s33, v35
	s_nop 1
	v_cndmask_b32_e64 v25, 0, v25, s[0:1]
	;; [unrolled: 3-line block ×4, first 2 shown]
; %bb.56:                               ;   in Loop: Header=BB194_51 Depth=1
	s_or_b64 exec, exec, s[16:17]
	global_load_dword v20, v[20:21], off offset:512
	s_waitcnt vmcnt(0)
	v_and_b32_e32 v21, 0xffff, v20
	v_lshrrev_b32_e32 v26, 16, v20
	v_cvt_pk_f32_fp8_e32 v[20:21], v21
	v_cvt_pk_f32_fp8_e32 v[38:39], v26
	v_pk_mul_f32 v[26:27], s[12:13], v[20:21]
	v_pk_mul_f32 v[20:21], s[12:13], v[38:39]
	s_and_saveexec_b64 s[0:1], vcc
	s_cbranch_execz .LBB194_49
; %bb.57:                               ;   in Loop: Header=BB194_51 Depth=1
	v_cmp_gt_i32_e32 vcc, s33, v33
	s_nop 1
	v_cndmask_b32_e32 v26, 0, v26, vcc
	v_cmp_gt_i32_e32 vcc, s33, v35
	s_nop 1
	v_cndmask_b32_e32 v27, 0, v27, vcc
	;; [unrolled: 3-line block ×4, first 2 shown]
	s_branch .LBB194_49
.LBB194_58:
	s_or_b64 exec, exec, s[8:9]
.LBB194_59:
	s_or_b64 exec, exec, s[10:11]
	ds_bpermute_b32 v2, v29, v6
	ds_bpermute_b32 v3, v29, v7
	;; [unrolled: 1-line block ×3, first 2 shown]
	v_and_b32_e32 v5, 0x3c1, v0
	v_cmp_eq_u32_e32 vcc, 64, v5
	s_waitcnt lgkmcnt(0)
	v_pk_add_f32 v[2:3], v[6:7], v[2:3]
	v_add_f32_e32 v4, v8, v4
	s_barrier
	s_and_saveexec_b64 s[0:1], vcc
	s_cbranch_execz .LBB194_61
; %bb.60:
	v_mov_b32_e32 v6, 0x190
	v_lshl_add_u32 v6, v28, 1, v6
	ds_write2_b32 v6, v2, v3 offset1:32
	ds_write_b32 v6, v4 offset:256
.LBB194_61:
	s_or_b64 exec, exec, s[0:1]
	v_cmp_gt_u32_e32 vcc, 64, v0
	s_waitcnt lgkmcnt(0)
	s_barrier
	s_and_saveexec_b64 s[0:1], vcc
	s_cbranch_execz .LBB194_67
; %bb.62:
	v_cmp_eq_u32_e32 vcc, 0, v30
	s_and_saveexec_b64 s[2:3], vcc
	s_cbranch_execnz .LBB194_70
; %bb.63:
	s_or_b64 exec, exec, s[2:3]
	s_and_saveexec_b64 s[2:3], vcc
	s_cbranch_execnz .LBB194_71
.LBB194_64:
	s_or_b64 exec, exec, s[2:3]
	s_and_saveexec_b64 s[2:3], vcc
	s_cbranch_execz .LBB194_66
.LBB194_65:
	v_mov_b32_e32 v6, 0x190
	v_lshl_add_u32 v1, v1, 2, v6
	ds_read_b32 v1, v1 offset:256
	s_waitcnt lgkmcnt(0)
	v_add_f32_e32 v4, v4, v1
.LBB194_66:
	s_or_b64 exec, exec, s[2:3]
.LBB194_67:
	s_or_b64 exec, exec, s[0:1]
	v_cmp_eq_u32_e32 vcc, 0, v5
	s_barrier
	s_and_saveexec_b64 s[0:1], vcc
	s_cbranch_execz .LBB194_69
; %bb.68:
	s_mul_i32 s0, s6, 0x60
	s_ashr_i32 s1, s0, 31
	s_lshl_b64 s[0:1], s[0:1], 2
	s_add_u32 s2, s30, s0
	s_mul_i32 s0, s20, s28
	s_addc_u32 s3, s31, s1
	s_ashr_i32 s1, s0, 31
	s_lshl_b64 s[0:1], s[0:1], 2
	s_add_u32 s2, s2, s0
	s_mul_i32 s0, s4, 0x60
	s_addc_u32 s3, s3, s1
	s_ashr_i32 s1, s0, 31
	s_lshl_b64 s[0:1], s[0:1], 2
	s_add_u32 s0, s2, s0
	s_addc_u32 s1, s3, s1
	v_lshlrev_b32_e32 v0, 1, v0
	global_store_dword v0, v2, s[0:1]
	global_store_dword v0, v3, s[0:1] offset:128
	global_store_dword v0, v4, s[0:1] offset:256
.LBB194_69:
	s_endpgm
.LBB194_70:
	v_mov_b32_e32 v6, 0x190
	v_lshl_add_u32 v6, v1, 2, v6
	ds_read_b32 v6, v6
	s_waitcnt lgkmcnt(0)
	v_add_f32_e32 v2, v2, v6
	s_or_b64 exec, exec, s[2:3]
	s_and_saveexec_b64 s[2:3], vcc
	s_cbranch_execz .LBB194_64
.LBB194_71:
	v_mov_b32_e32 v6, 0x190
	v_lshl_add_u32 v6, v1, 2, v6
	ds_read_b32 v6, v6 offset:128
	s_waitcnt lgkmcnt(0)
	v_add_f32_e32 v3, v3, v6
	s_or_b64 exec, exec, s[2:3]
	s_and_saveexec_b64 s[2:3], vcc
	s_cbranch_execnz .LBB194_65
	s_branch .LBB194_66
	.section	.rodata,"a",@progbits
	.p2align	6, 0x0
	.amdhsa_kernel _ZN4vllm25paged_attention_v2_kernelIfhLi96ELi8ELi128ELNS_18Fp8KVCacheDataTypeE1ELb1ELi512EEEvPfS2_PT_PKS3_PKT0_S9_ifPKiSB_iPKfiiiSD_SD_iiiii
		.amdhsa_group_segment_fixed_size 400
		.amdhsa_private_segment_fixed_size 0
		.amdhsa_kernarg_size 400
		.amdhsa_user_sgpr_count 2
		.amdhsa_user_sgpr_dispatch_ptr 0
		.amdhsa_user_sgpr_queue_ptr 0
		.amdhsa_user_sgpr_kernarg_segment_ptr 1
		.amdhsa_user_sgpr_dispatch_id 0
		.amdhsa_user_sgpr_kernarg_preload_length 0
		.amdhsa_user_sgpr_kernarg_preload_offset 0
		.amdhsa_user_sgpr_private_segment_size 0
		.amdhsa_uses_dynamic_stack 0
		.amdhsa_enable_private_segment 0
		.amdhsa_system_sgpr_workgroup_id_x 1
		.amdhsa_system_sgpr_workgroup_id_y 1
		.amdhsa_system_sgpr_workgroup_id_z 1
		.amdhsa_system_sgpr_workgroup_info 0
		.amdhsa_system_vgpr_workitem_id 0
		.amdhsa_next_free_vgpr 53
		.amdhsa_next_free_sgpr 56
		.amdhsa_accum_offset 56
		.amdhsa_reserve_vcc 1
		.amdhsa_float_round_mode_32 0
		.amdhsa_float_round_mode_16_64 0
		.amdhsa_float_denorm_mode_32 3
		.amdhsa_float_denorm_mode_16_64 3
		.amdhsa_dx10_clamp 1
		.amdhsa_ieee_mode 1
		.amdhsa_fp16_overflow 0
		.amdhsa_tg_split 0
		.amdhsa_exception_fp_ieee_invalid_op 0
		.amdhsa_exception_fp_denorm_src 0
		.amdhsa_exception_fp_ieee_div_zero 0
		.amdhsa_exception_fp_ieee_overflow 0
		.amdhsa_exception_fp_ieee_underflow 0
		.amdhsa_exception_fp_ieee_inexact 0
		.amdhsa_exception_int_div_zero 0
	.end_amdhsa_kernel
	.section	.text._ZN4vllm25paged_attention_v2_kernelIfhLi96ELi8ELi128ELNS_18Fp8KVCacheDataTypeE1ELb1ELi512EEEvPfS2_PT_PKS3_PKT0_S9_ifPKiSB_iPKfiiiSD_SD_iiiii,"axG",@progbits,_ZN4vllm25paged_attention_v2_kernelIfhLi96ELi8ELi128ELNS_18Fp8KVCacheDataTypeE1ELb1ELi512EEEvPfS2_PT_PKS3_PKT0_S9_ifPKiSB_iPKfiiiSD_SD_iiiii,comdat
.Lfunc_end194:
	.size	_ZN4vllm25paged_attention_v2_kernelIfhLi96ELi8ELi128ELNS_18Fp8KVCacheDataTypeE1ELb1ELi512EEEvPfS2_PT_PKS3_PKT0_S9_ifPKiSB_iPKfiiiSD_SD_iiiii, .Lfunc_end194-_ZN4vllm25paged_attention_v2_kernelIfhLi96ELi8ELi128ELNS_18Fp8KVCacheDataTypeE1ELb1ELi512EEEvPfS2_PT_PKS3_PKT0_S9_ifPKiSB_iPKfiiiSD_SD_iiiii
                                        ; -- End function
	.section	.AMDGPU.csdata,"",@progbits
; Kernel info:
; codeLenInByte = 4776
; NumSgprs: 62
; NumVgprs: 53
; NumAgprs: 0
; TotalNumVgprs: 53
; ScratchSize: 0
; MemoryBound: 0
; FloatMode: 240
; IeeeMode: 1
; LDSByteSize: 400 bytes/workgroup (compile time only)
; SGPRBlocks: 7
; VGPRBlocks: 6
; NumSGPRsForWavesPerEU: 62
; NumVGPRsForWavesPerEU: 53
; AccumOffset: 56
; Occupancy: 8
; WaveLimiterHint : 1
; COMPUTE_PGM_RSRC2:SCRATCH_EN: 0
; COMPUTE_PGM_RSRC2:USER_SGPR: 2
; COMPUTE_PGM_RSRC2:TRAP_HANDLER: 0
; COMPUTE_PGM_RSRC2:TGID_X_EN: 1
; COMPUTE_PGM_RSRC2:TGID_Y_EN: 1
; COMPUTE_PGM_RSRC2:TGID_Z_EN: 1
; COMPUTE_PGM_RSRC2:TIDIG_COMP_CNT: 0
; COMPUTE_PGM_RSRC3_GFX90A:ACCUM_OFFSET: 13
; COMPUTE_PGM_RSRC3_GFX90A:TG_SPLIT: 0
	.section	.text._ZN4vllm25paged_attention_v2_kernelIfhLi112ELi8ELi128ELNS_18Fp8KVCacheDataTypeE1ELb1ELi512EEEvPfS2_PT_PKS3_PKT0_S9_ifPKiSB_iPKfiiiSD_SD_iiiii,"axG",@progbits,_ZN4vllm25paged_attention_v2_kernelIfhLi112ELi8ELi128ELNS_18Fp8KVCacheDataTypeE1ELb1ELi512EEEvPfS2_PT_PKS3_PKT0_S9_ifPKiSB_iPKfiiiSD_SD_iiiii,comdat
	.protected	_ZN4vllm25paged_attention_v2_kernelIfhLi112ELi8ELi128ELNS_18Fp8KVCacheDataTypeE1ELb1ELi512EEEvPfS2_PT_PKS3_PKT0_S9_ifPKiSB_iPKfiiiSD_SD_iiiii ; -- Begin function _ZN4vllm25paged_attention_v2_kernelIfhLi112ELi8ELi128ELNS_18Fp8KVCacheDataTypeE1ELb1ELi512EEEvPfS2_PT_PKS3_PKT0_S9_ifPKiSB_iPKfiiiSD_SD_iiiii
	.globl	_ZN4vllm25paged_attention_v2_kernelIfhLi112ELi8ELi128ELNS_18Fp8KVCacheDataTypeE1ELb1ELi512EEEvPfS2_PT_PKS3_PKT0_S9_ifPKiSB_iPKfiiiSD_SD_iiiii
	.p2align	8
	.type	_ZN4vllm25paged_attention_v2_kernelIfhLi112ELi8ELi128ELNS_18Fp8KVCacheDataTypeE1ELb1ELi512EEEvPfS2_PT_PKS3_PKT0_S9_ifPKiSB_iPKfiiiSD_SD_iiiii,@function
_ZN4vllm25paged_attention_v2_kernelIfhLi112ELi8ELi128ELNS_18Fp8KVCacheDataTypeE1ELb1ELi512EEEvPfS2_PT_PKS3_PKT0_S9_ifPKiSB_iPKfiiiSD_SD_iiiii: ; @_ZN4vllm25paged_attention_v2_kernelIfhLi112ELi8ELi128ELNS_18Fp8KVCacheDataTypeE1ELb1ELi512EEEvPfS2_PT_PKS3_PKT0_S9_ifPKiSB_iPKfiiiSD_SD_iiiii
; %bb.0:
	s_load_dwordx2 s[6:7], s[0:1], 0x40
	s_mov_b32 s34, s3
	s_ashr_i32 s35, s3, 31
	s_lshl_b64 s[8:9], s[34:35], 2
	s_waitcnt lgkmcnt(0)
	s_add_u32 s6, s6, s8
	s_addc_u32 s7, s7, s9
	s_load_dword s33, s[6:7], 0x0
	s_lshl_b32 s50, s4, 9
	s_waitcnt lgkmcnt(0)
	s_cmp_ge_i32 s50, s33
	s_cbranch_scc1 .LBB195_81
; %bb.1:
	s_load_dword s5, s[0:1], 0x90
	s_load_dwordx2 s[42:43], s[0:1], 0x30
	s_mov_b32 s51, 0
	s_waitcnt lgkmcnt(0)
	s_abs_i32 s7, s5
	s_abs_i32 s3, s42
	v_cvt_f32_u32_e32 v1, s3
	s_sub_i32 s8, 0, s3
	s_xor_b32 s6, s5, s42
	s_ashr_i32 s6, s6, 31
	v_rcp_iflag_f32_e32 v1, v1
	s_nop 0
	v_mul_f32_e32 v1, 0x4f7ffffe, v1
	v_cvt_u32_f32_e32 v1, v1
	s_nop 0
	v_readfirstlane_b32 s9, v1
	s_mul_i32 s8, s8, s9
	s_mul_hi_u32 s8, s9, s8
	s_add_i32 s9, s9, s8
	s_mul_hi_u32 s8, s7, s9
	s_mul_i32 s9, s8, s3
	s_sub_i32 s7, s7, s9
	s_add_i32 s10, s8, 1
	s_sub_i32 s9, s7, s3
	s_cmp_ge_u32 s7, s3
	s_cselect_b32 s8, s10, s8
	s_cselect_b32 s7, s9, s7
	s_add_i32 s9, s8, 1
	s_cmp_ge_u32 s7, s3
	s_cselect_b32 s3, s9, s8
	s_xor_b32 s3, s3, s6
	s_sub_i32 s11, s3, s6
	s_abs_i32 s8, s11
	v_cvt_f32_u32_e32 v1, s8
	s_load_dwordx2 s[6:7], s[0:1], 0x50
	s_sub_i32 s3, 0, s8
	s_abs_i32 s9, s2
	v_rcp_iflag_f32_e32 v1, v1
	s_nop 0
	v_mul_f32_e32 v1, 0x4f7ffffe, v1
	v_cvt_u32_f32_e32 v1, v1
	s_nop 0
	v_readfirstlane_b32 s10, v1
	s_mul_i32 s3, s3, s10
	s_mul_hi_u32 s3, s10, s3
	s_add_i32 s10, s10, s3
	s_waitcnt lgkmcnt(0)
	s_cmp_eq_u64 s[6:7], 0
	s_mul_hi_u32 s10, s9, s10
	s_cbranch_scc1 .LBB195_3
; %bb.2:
	s_ashr_i32 s3, s2, 31
	s_lshl_b64 s[12:13], s[2:3], 2
	s_add_u32 s6, s6, s12
	s_addc_u32 s7, s7, s13
	s_load_dword s51, s[6:7], 0x0
.LBB195_3:
	s_load_dwordx4 s[16:19], s[0:1], 0x58
	s_movk_i32 s6, 0x70
	s_ashr_i32 s3, s2, 31
	s_ashr_i32 s11, s11, 31
	v_and_b32_e32 v2, 7, v0
	s_mul_i32 s28, s2, 0x70
	v_cmp_gt_u32_e32 vcc, s6, v0
	v_lshlrev_b32_e32 v8, 2, v0
	v_lshrrev_b32_e32 v1, 1, v0
	s_and_saveexec_b64 s[6:7], vcc
	s_cbranch_execz .LBB195_5
; %bb.4:
	s_load_dwordx2 s[12:13], s[0:1], 0x18
	s_waitcnt lgkmcnt(0)
	s_mul_i32 s14, s34, s16
	s_ashr_i32 s15, s14, 31
	s_lshl_b64 s[14:15], s[14:15], 2
	v_and_b32_e32 v4, 0x1fc, v1
	s_add_u32 s14, s12, s14
	s_addc_u32 s15, s13, s15
	s_ashr_i32 s29, s28, 31
	s_lshl_b64 s[12:13], s[28:29], 2
	s_add_u32 s12, s14, s12
	s_addc_u32 s13, s15, s13
	global_load_dword v3, v8, s[12:13]
	v_mad_u32_u24 v4, v2, 56, v4
	s_waitcnt vmcnt(0)
	ds_write_b32 v4, v3
.LBB195_5:
	s_or_b64 exec, exec, s[6:7]
	s_mul_i32 s6, s10, s8
	s_sub_i32 s6, s9, s6
	s_xor_b32 s3, s3, s11
	s_add_i32 s7, s10, 1
	s_sub_i32 s9, s6, s8
	s_load_dwordx4 s[20:23], s[0:1], 0x78
	s_cmp_ge_u32 s6, s8
	s_cselect_b32 s7, s7, s10
	s_cselect_b32 s6, s9, s6
	s_add_i32 s9, s7, 1
	s_cmp_ge_u32 s6, s8
	s_cselect_b32 s6, s9, s7
	s_load_dword s9, s[0:1], 0x88
	s_waitcnt lgkmcnt(0)
	s_abs_i32 s29, s23
	v_cvt_f32_u32_e32 v3, s29
	s_xor_b32 s6, s6, s3
	s_sub_i32 s10, s6, s3
	s_sub_i32 s6, 0, s29
	v_rcp_iflag_f32_e32 v3, v3
	s_add_i32 s11, s33, -1
	s_abs_i32 s3, s11
	v_mul_f32_e32 v3, 0x4f7ffffe, v3
	v_cvt_u32_f32_e32 v3, v3
	s_barrier
	v_readfirstlane_b32 s35, v3
	s_mul_i32 s6, s6, s35
	s_mul_hi_u32 s6, s35, s6
	s_add_i32 s35, s35, s6
	s_cmp_lt_i32 s9, 0
	s_mul_hi_u32 s8, s3, s35
	s_cbranch_scc0 .LBB195_7
; %bb.6:
	s_mul_i32 s6, s20, s42
	s_add_i32 s6, s10, s6
	s_mul_i32 s6, s6, s9
	s_sub_i32 s42, 1, s6
	s_mov_b64 s[6:7], 0
	s_branch .LBB195_8
.LBB195_7:
	s_mov_b64 s[6:7], -1
                                        ; implicit-def: $sgpr42
.LBB195_8:
	s_load_dwordx2 s[36:37], s[0:1], 0x38
	s_ashr_i32 s11, s11, 31
	s_andn2_b64 vcc, exec, s[6:7]
	s_ashr_i32 s48, s23, 31
	s_cbranch_vccnz .LBB195_10
; %bb.9:
	s_mul_i32 s6, s5, s20
	s_add_i32 s6, s6, s2
	s_mul_i32 s6, s6, s9
	s_add_i32 s42, s6, 1
.LBB195_10:
	s_load_dwordx2 s[40:41], s[0:1], 0x28
	s_load_dword s6, s[0:1], 0x48
	s_load_dwordx4 s[24:27], s[0:1], 0x0
	s_load_dwordx2 s[30:31], s[0:1], 0x10
	s_load_dword s23, s[0:1], 0x98
	s_load_dwordx4 s[12:15], s[0:1], 0x68
	s_mul_i32 s7, s8, s29
	s_waitcnt lgkmcnt(0)
	s_mul_i32 s38, s34, s6
	s_sub_i32 s3, s3, s7
	s_ashr_i32 s39, s38, 31
	s_xor_b32 s6, s11, s48
	s_add_i32 s7, s8, 1
	s_sub_i32 s9, s3, s29
	s_cmp_ge_u32 s3, s29
	s_cselect_b32 s7, s7, s8
	s_cselect_b32 s3, s9, s3
	s_add_i32 s8, s7, 1
	s_cmp_ge_u32 s3, s29
	s_cselect_b32 s3, s8, s7
	s_xor_b32 s3, s3, s6
	s_sub_i32 s16, s3, s6
	s_add_i32 s3, s33, 7
	s_ashr_i32 s6, s3, 31
	s_lshr_b32 s6, s6, 29
	s_add_i32 s3, s3, s6
	s_lshl_b32 s52, s4, 6
	s_ashr_i32 s3, s3, 3
	s_add_i32 s6, s52, 64
	v_lshrrev_b32_e32 v9, 6, v0
	s_min_i32 s49, s6, s3
	v_or_b32_e32 v10, s52, v9
	v_cmp_gt_i32_e64 s[8:9], s49, v10
	v_mov_b32_e32 v15, 0xff7fffff
	s_mul_i32 s20, s10, s18
	v_ashrrev_i32_e32 v11, 31, v10
	v_lshl_add_u32 v32, v9, 3, s50
	v_mbcnt_lo_u32_b32 v12, -1, 0
	s_and_saveexec_b64 s[18:19], s[8:9]
	s_cbranch_execz .LBB195_20
; %bb.11:
	s_load_dwordx2 s[0:1], s[0:1], 0x20
	s_sub_i32 s53, s16, s21
	s_ashr_i32 s6, s20, 31
	v_bfe_u32 v13, v0, 3, 3
	v_mov_b32_e32 v5, 0
	s_waitcnt lgkmcnt(0)
	s_add_u32 s0, s0, s20
	s_addc_u32 s1, s1, s6
	s_abs_i32 s54, s22
	v_cvt_f32_u32_e32 v3, s54
	v_lshlrev_b32_e32 v4, 4, v13
	v_lshlrev_b32_e32 v15, 2, v13
	v_lshl_or_b32 v15, v9, 5, v15
	v_rcp_iflag_f32_e32 v3, v3
	v_add_u32_e32 v18, 0x1d0, v15
	v_subrev_u32_e32 v15, s33, v13
	v_mbcnt_hi_u32_b32 v21, -1, v12
	v_mul_f32_e32 v3, 0x4f7ffffe, v3
	v_cvt_u32_f32_e32 v6, v3
	v_mov_b32_e32 v3, v5
	v_lshl_add_u64 v[4:5], s[0:1], 0, v[4:5]
	s_sub_i32 s0, 0, s54
	v_mul_lo_u32 v7, s0, v6
	s_lshl_b64 s[0:1], s[38:39], 2
	s_add_u32 s0, s36, s0
	v_mul_hi_u32 v7, v6, v7
	s_addc_u32 s1, s37, s1
	v_add_u32_e32 v19, 1, v15
	v_and_b32_e32 v15, 64, v21
	v_cmp_eq_u32_e32 vcc, 0, v2
	s_mov_b32 s55, s17
	v_mul_u32_u24_e32 v14, 56, v2
	v_cmp_neq_f32_e64 s[6:7], s51, 0
	v_add_u32_e32 v16, v6, v7
	v_lshl_add_u64 v[6:7], v[10:11], 2, s[0:1]
	v_lshl_add_u32 v17, v9, 3, s50
	s_mov_b64 s[44:45], 0
	v_mov_b32_e32 v20, 0xff7fffff
	v_add_u32_e32 v22, 64, v15
	v_xor_b32_e32 v23, 4, v21
	v_xor_b32_e32 v24, 2, v21
	;; [unrolled: 1-line block ×3, first 2 shown]
	v_mov_b32_e32 v15, 0xff7fffff
	v_mov_b32_e32 v26, v10
	s_branch .LBB195_14
.LBB195_12:                             ;   in Loop: Header=BB195_14 Depth=1
	s_or_b64 exec, exec, s[46:47]
.LBB195_13:                             ;   in Loop: Header=BB195_14 Depth=1
	s_or_b64 exec, exec, s[10:11]
	v_add_u32_e32 v26, 2, v26
	v_cmp_le_i32_e64 s[0:1], s49, v26
	v_lshl_add_u64 v[6:7], v[6:7], 0, 8
	v_add_u32_e32 v17, 16, v17
	s_or_b64 s[44:45], s[0:1], s[44:45]
	v_add_u32_e32 v18, 64, v18
	s_andn2_b64 exec, exec, s[44:45]
	s_cbranch_execz .LBB195_19
.LBB195_14:                             ; =>This Inner Loop Header: Depth=1
	s_waitcnt lgkmcnt(0)
	v_sub_u32_e32 v28, 0, v17
	v_max_i32_e32 v28, v17, v28
	v_mul_hi_u32 v29, v28, s35
	v_mul_lo_u32 v30, v29, s29
	v_sub_u32_e32 v28, v28, v30
	v_add_u32_e32 v30, 1, v29
	v_cmp_le_u32_e64 s[0:1], s29, v28
	v_ashrrev_i32_e32 v27, 31, v17
	v_xor_b32_e32 v27, s48, v27
	v_cndmask_b32_e64 v29, v29, v30, s[0:1]
	v_subrev_u32_e32 v30, s29, v28
	v_cndmask_b32_e64 v28, v28, v30, s[0:1]
	v_add_u32_e32 v30, 1, v29
	v_cmp_le_u32_e64 s[0:1], s29, v28
	s_nop 1
	v_cndmask_b32_e64 v28, v29, v30, s[0:1]
	v_xor_b32_e32 v28, v28, v27
	v_sub_u32_e32 v27, v28, v27
	v_add_u32_e32 v28, s42, v27
	v_sub_u32_e32 v30, 0, v28
	v_ashrrev_i32_e32 v29, 31, v28
	v_max_i32_e32 v28, v28, v30
	v_mul_hi_u32 v30, v28, v16
	v_mul_lo_u32 v30, v30, s54
	v_sub_u32_e32 v28, v28, v30
	v_subrev_u32_e32 v30, s54, v28
	v_cmp_le_u32_e64 s[0:1], s54, v28
	v_cmp_ge_i32_e64 s[10:11], s53, v27
	s_nop 0
	v_cndmask_b32_e64 v28, v28, v30, s[0:1]
	v_subrev_u32_e32 v30, s54, v28
	v_cmp_le_u32_e64 s[0:1], s54, v28
	s_nop 1
	v_cndmask_b32_e64 v28, v28, v30, s[0:1]
	v_xor_b32_e32 v28, v28, v29
	v_sub_u32_e32 v28, v28, v29
	v_cmp_ne_u32_e64 s[0:1], 0, v28
	s_and_b64 s[0:1], s[0:1], s[10:11]
	s_and_b64 s[46:47], vcc, s[0:1]
	s_and_saveexec_b64 s[10:11], s[46:47]
	s_cbranch_execz .LBB195_16
; %bb.15:                               ;   in Loop: Header=BB195_14 Depth=1
	ds_write_b32 v18, v20
.LBB195_16:                             ;   in Loop: Header=BB195_14 Depth=1
	s_or_b64 exec, exec, s[10:11]
	s_xor_b64 s[0:1], s[0:1], -1
	s_and_saveexec_b64 s[10:11], s[0:1]
	s_cbranch_execz .LBB195_13
; %bb.17:                               ;   in Loop: Header=BB195_14 Depth=1
	global_load_dword v27, v[6:7], off
	s_waitcnt vmcnt(0)
	v_mad_i64_i32 v[28:29], s[0:1], v27, s55, v[4:5]
	v_lshl_add_u64 v[28:29], v[28:29], 0, v[2:3]
	global_load_ubyte v27, v[28:29], off
	global_load_ubyte v33, v[28:29], off offset:8
	global_load_ubyte v44, v[28:29], off offset:128
	;; [unrolled: 1-line block ×13, first 2 shown]
	v_cmp_lt_i32_e64 s[0:1], v23, v22
	ds_read2_b64 v[28:31], v14 offset1:1
	ds_read2_b64 v[34:37], v14 offset0:2 offset1:3
	ds_read2_b64 v[38:41], v14 offset0:4 offset1:5
	ds_read_b64 v[42:43], v14 offset:48
	v_cndmask_b32_e64 v56, v21, v23, s[0:1]
	s_load_dword s0, s[12:13], 0x0
	v_lshlrev_b32_e32 v56, 2, v56
	s_waitcnt vmcnt(13)
	v_cvt_f32_fp8_sdwa v27, v27 src0_sel:BYTE_0
	s_waitcnt vmcnt(12)
	v_cvt_f32_fp8_sdwa v33, v33 src0_sel:BYTE_0
	;; [unrolled: 2-line block ×5, first 2 shown]
	s_waitcnt lgkmcnt(0)
	v_mul_f32_e32 v33, s0, v33
	s_waitcnt vmcnt(8)
	v_cvt_f32_fp8_sdwa v47, v47 src0_sel:BYTE_0
	v_mul_f32_e32 v27, s0, v27
	v_mul_f32_e32 v29, v29, v33
	s_waitcnt vmcnt(7)
	v_cvt_f32_fp8_sdwa v48, v48 src0_sel:BYTE_0
	v_mul_f32_e32 v44, s0, v44
	v_fmac_f32_e32 v29, v28, v27
	s_waitcnt vmcnt(6)
	v_cvt_f32_fp8_sdwa v49, v49 src0_sel:BYTE_0
	v_mul_f32_e32 v45, s0, v45
	v_fmac_f32_e32 v29, v30, v44
	;; [unrolled: 4-line block ×8, first 2 shown]
	v_mul_f32_e32 v52, s0, v52
	v_fmac_f32_e32 v29, v39, v51
	v_mul_f32_e32 v53, s0, v53
	v_fmac_f32_e32 v29, v40, v52
	v_mul_f32_e32 v54, s0, v54
	v_fmac_f32_e32 v29, v41, v53
	v_mul_f32_e32 v55, s0, v55
	v_fmac_f32_e32 v29, v42, v54
	v_fmac_f32_e32 v29, v43, v55
	ds_bpermute_b32 v27, v56, v29
	v_cmp_lt_i32_e64 s[0:1], v24, v22
	s_waitcnt lgkmcnt(0)
	v_add_f32_e32 v27, v29, v27
	v_cndmask_b32_e64 v28, v21, v24, s[0:1]
	v_lshlrev_b32_e32 v28, 2, v28
	ds_bpermute_b32 v28, v28, v27
	v_cmp_lt_i32_e64 s[0:1], v25, v22
	s_waitcnt lgkmcnt(0)
	v_add_f32_e32 v27, v27, v28
	v_cndmask_b32_e64 v29, v21, v25, s[0:1]
	v_lshlrev_b32_e32 v29, 2, v29
	ds_bpermute_b32 v28, v29, v27
	s_and_saveexec_b64 s[46:47], vcc
	s_cbranch_execz .LBB195_12
; %bb.18:                               ;   in Loop: Header=BB195_14 Depth=1
	v_add_u32_e32 v29, v19, v17
	v_cvt_f32_i32_e32 v29, v29
	s_waitcnt lgkmcnt(0)
	v_add_f32_e32 v27, v27, v28
	v_add_u32_e32 v30, v13, v17
	v_cmp_gt_i32_e64 s[0:1], s33, v30
	v_mul_f32_e32 v28, s51, v29
	v_cndmask_b32_e64 v28, 0, v28, s[6:7]
	v_fmac_f32_e32 v28, s43, v27
	v_cndmask_b32_e64 v27, 0, v28, s[0:1]
	ds_write_b32 v18, v27
	v_max_f32_e32 v27, v15, v15
	v_max_f32_e32 v27, v27, v28
	v_cndmask_b32_e64 v15, v15, v27, s[0:1]
	s_branch .LBB195_12
.LBB195_19:
	s_or_b64 exec, exec, s[44:45]
.LBB195_20:
	s_or_b64 exec, exec, s[18:19]
	v_mbcnt_hi_u32_b32 v2, -1, v12
	v_and_b32_e32 v3, 64, v2
	v_add_u32_e32 v3, 64, v3
	v_xor_b32_e32 v4, 32, v2
	v_cmp_lt_i32_e32 vcc, v4, v3
	v_xor_b32_e32 v6, 16, v2
	v_max_f32_e32 v5, v15, v15
	v_cndmask_b32_e32 v4, v2, v4, vcc
	v_lshlrev_b32_e32 v7, 2, v4
	ds_bpermute_b32 v4, v7, v15
	v_cmp_lt_i32_e32 vcc, v6, v3
	s_waitcnt lgkmcnt(0)
	v_max_f32_e32 v4, v4, v4
	v_max_f32_e32 v4, v5, v4
	v_cndmask_b32_e32 v5, v2, v6, vcc
	v_lshlrev_b32_e32 v13, 2, v5
	ds_bpermute_b32 v5, v13, v4
	v_xor_b32_e32 v6, 8, v2
	v_cmp_lt_i32_e32 vcc, v6, v3
	s_waitcnt lgkmcnt(0)
	v_max_f32_e32 v5, v5, v5
	v_max_f32_e32 v5, v4, v5
	v_cndmask_b32_e32 v4, v2, v6, vcc
	v_lshlrev_b32_e32 v14, 2, v4
	ds_bpermute_b32 v12, v14, v5
	v_and_b32_e32 v4, 63, v0
	v_cmp_eq_u32_e32 vcc, 0, v4
	v_lshlrev_b32_e32 v6, 2, v9
	s_and_saveexec_b64 s[0:1], vcc
	s_cbranch_execz .LBB195_22
; %bb.21:
	s_waitcnt lgkmcnt(0)
	v_max_f32_e32 v12, v12, v12
	v_max_f32_e32 v5, v5, v5
	;; [unrolled: 1-line block ×3, first 2 shown]
	ds_write_b32 v6, v5 offset:448
.LBB195_22:
	s_or_b64 exec, exec, s[0:1]
	v_cmp_gt_u32_e64 s[0:1], 2, v4
	v_mov_b32_e32 v5, 0xff7fffff
	s_waitcnt lgkmcnt(0)
	v_lshlrev_b32_e32 v12, 2, v4
	s_barrier
	s_and_saveexec_b64 s[6:7], s[0:1]
	s_cbranch_execz .LBB195_24
; %bb.23:
	ds_read_b32 v5, v12 offset:448
.LBB195_24:
	s_or_b64 exec, exec, s[6:7]
	v_xor_b32_e32 v15, 1, v2
	v_cmp_lt_i32_e64 s[6:7], v15, v3
	v_mov_b32_e32 v16, 0
	s_nop 0
	v_cndmask_b32_e64 v15, v2, v15, s[6:7]
	v_lshlrev_b32_e32 v33, 2, v15
	s_waitcnt lgkmcnt(0)
	ds_bpermute_b32 v15, v33, v5
	v_max_f32_e32 v5, v5, v5
	s_sub_i32 s6, s49, s52
	s_lshl_b32 s6, s6, 3
	s_add_i32 s6, s6, s50
	s_waitcnt lgkmcnt(0)
	v_max_f32_e32 v15, v15, v15
	v_max_f32_e32 v5, v5, v15
	v_lshlrev_b32_e32 v15, 2, v2
	v_and_b32_e32 v15, 0x100, v15
	ds_bpermute_b32 v5, v15, v5
	s_min_i32 s44, s6, s33
	s_sub_i32 s43, s44, s50
	v_cmp_gt_i32_e64 s[6:7], s43, v0
	s_and_saveexec_b64 s[12:13], s[6:7]
	s_cbranch_execz .LBB195_28
; %bb.25:
	v_mov_b32_e32 v16, 0x1d0
	v_lshl_add_u32 v17, v0, 2, v16
	s_mov_b64 s[18:19], 0
	v_mov_b32_e32 v16, 0
	v_mov_b32_e32 v18, v0
.LBB195_26:                             ; =>This Inner Loop Header: Depth=1
	ds_read_b32 v19, v17
	v_add_u32_e32 v18, 0x80, v18
	v_cmp_le_i32_e64 s[10:11], s43, v18
	s_or_b64 s[18:19], s[10:11], s[18:19]
	s_waitcnt lgkmcnt(0)
	v_sub_f32_e32 v19, v19, v5
	v_mul_f32_e32 v19, 0x3fb8aa3b, v19
	v_exp_f32_e32 v19, v19
	ds_write_b32 v17, v19
	v_add_f32_e32 v16, v16, v19
	v_add_u32_e32 v17, 0x200, v17
	s_andn2_b64 exec, exec, s[18:19]
	s_cbranch_execnz .LBB195_26
; %bb.27:
	s_or_b64 exec, exec, s[18:19]
.LBB195_28:
	s_or_b64 exec, exec, s[12:13]
	ds_bpermute_b32 v7, v7, v16
	s_waitcnt lgkmcnt(0)
	v_add_f32_e32 v7, v16, v7
	ds_bpermute_b32 v13, v13, v7
	s_waitcnt lgkmcnt(0)
	v_add_f32_e32 v7, v7, v13
	ds_bpermute_b32 v13, v14, v7
	v_xor_b32_e32 v14, 4, v2
	v_cmp_lt_i32_e64 s[10:11], v14, v3
	s_waitcnt lgkmcnt(0)
	v_add_f32_e32 v7, v7, v13
	v_cndmask_b32_e64 v14, v2, v14, s[10:11]
	v_lshlrev_b32_e32 v14, 2, v14
	ds_bpermute_b32 v13, v14, v7
	v_xor_b32_e32 v14, 2, v2
	v_cmp_lt_i32_e64 s[10:11], v14, v3
	s_waitcnt lgkmcnt(0)
	v_add_f32_e32 v3, v7, v13
	v_cndmask_b32_e64 v2, v2, v14, s[10:11]
	v_lshlrev_b32_e32 v2, 2, v2
	ds_bpermute_b32 v2, v2, v3
	s_waitcnt lgkmcnt(0)
	v_add_f32_e32 v2, v3, v2
	ds_bpermute_b32 v3, v33, v2
	s_waitcnt lgkmcnt(0)
	v_add_f32_e32 v2, v2, v3
	s_and_saveexec_b64 s[10:11], vcc
	s_cbranch_execz .LBB195_30
; %bb.29:
	ds_write_b32 v6, v2 offset:456
.LBB195_30:
	s_or_b64 exec, exec, s[10:11]
	s_waitcnt lgkmcnt(0)
	s_barrier
	s_and_saveexec_b64 s[10:11], s[0:1]
	s_cbranch_execz .LBB195_32
; %bb.31:
	ds_read_b32 v2, v12 offset:456
.LBB195_32:
	s_or_b64 exec, exec, s[10:11]
	s_waitcnt lgkmcnt(0)
	ds_bpermute_b32 v3, v33, v2
	s_waitcnt lgkmcnt(0)
	v_add_f32_e32 v2, v2, v3
	ds_bpermute_b32 v6, v15, v2
	s_and_saveexec_b64 s[0:1], s[6:7]
	s_cbranch_execz .LBB195_45
; %bb.33:
	s_waitcnt lgkmcnt(0)
	v_add_f32_e32 v2, 0x358637bd, v6
	v_div_scale_f32 v3, s[6:7], v2, v2, 1.0
	v_rcp_f32_e32 v7, v3
	v_div_scale_f32 v12, vcc, 1.0, v2, 1.0
	s_movk_i32 s6, 0x7f
	v_fma_f32 v13, -v3, v7, 1.0
	v_fmac_f32_e32 v7, v13, v7
	v_mul_f32_e32 v13, v12, v7
	v_fma_f32 v14, -v3, v13, v12
	v_fmac_f32_e32 v13, v14, v7
	v_fma_f32 v3, -v3, v13, v12
	v_div_fmas_f32 v3, v3, v7, v13
	v_div_fixup_f32 v2, v3, v2, 1.0
	v_xad_u32 v3, v0, -1, s44
	v_subrev_u32_e32 v7, s50, v3
	v_cmp_lt_u32_e32 vcc, s6, v7
	s_mov_b64 s[10:11], -1
	v_mov_b32_e32 v3, v0
	s_and_saveexec_b64 s[6:7], vcc
	s_cbranch_execz .LBB195_42
; %bb.34:
	v_lshrrev_b32_e32 v7, 7, v7
	v_add_u32_e32 v13, -1, v7
	v_lshrrev_b32_e32 v12, 1, v13
	v_mov_b32_e32 v3, v2
	v_add_u32_e32 v12, 1, v12
	v_cmp_lt_u32_e32 vcc, 13, v13
	v_mov_b32_e32 v15, 0
	s_and_saveexec_b64 s[10:11], vcc
	s_cbranch_execz .LBB195_38
; %bb.35:
	v_mov_b32_e32 v14, 0x1d0
	v_and_b32_e32 v13, -8, v12
	v_lshl_add_u32 v14, v0, 2, v14
	s_mov_b32 s18, 0
	s_mov_b64 s[12:13], 0
.LBB195_36:                             ; =>This Inner Loop Header: Depth=1
	ds_read2st64_b32 v[16:17], v14 offset1:2
	ds_read2st64_b32 v[18:19], v14 offset0:4 offset1:6
	ds_read2st64_b32 v[20:21], v14 offset0:8 offset1:10
	;; [unrolled: 1-line block ×3, first 2 shown]
	v_add_u32_e32 v13, -8, v13
	s_waitcnt lgkmcnt(3)
	v_pk_mul_f32 v[16:17], v[2:3], v[16:17]
	s_waitcnt lgkmcnt(2)
	v_pk_mul_f32 v[18:19], v[2:3], v[18:19]
	ds_write2st64_b32 v14, v16, v17 offset1:2
	ds_write2st64_b32 v14, v18, v19 offset0:4 offset1:6
	ds_read2st64_b32 v[18:19], v14 offset0:16 offset1:18
	s_waitcnt lgkmcnt(4)
	v_pk_mul_f32 v[16:17], v[2:3], v[20:21]
	ds_write2st64_b32 v14, v16, v17 offset0:8 offset1:10
	s_waitcnt lgkmcnt(4)
	v_pk_mul_f32 v[16:17], v[2:3], v[22:23]
	ds_write2st64_b32 v14, v16, v17 offset0:12 offset1:14
	ds_read2st64_b32 v[16:17], v14 offset0:20 offset1:22
	s_waitcnt lgkmcnt(3)
	v_pk_mul_f32 v[18:19], v[2:3], v[18:19]
	ds_read2st64_b32 v[20:21], v14 offset0:24 offset1:26
	ds_write2st64_b32 v14, v18, v19 offset0:16 offset1:18
	ds_read2st64_b32 v[18:19], v14 offset0:28 offset1:30
	s_waitcnt lgkmcnt(3)
	v_pk_mul_f32 v[16:17], v[2:3], v[16:17]
	ds_write2st64_b32 v14, v16, v17 offset0:20 offset1:22
	s_waitcnt lgkmcnt(3)
	v_pk_mul_f32 v[16:17], v[2:3], v[20:21]
	ds_write2st64_b32 v14, v16, v17 offset0:24 offset1:26
	s_waitcnt lgkmcnt(2)
	v_pk_mul_f32 v[16:17], v[2:3], v[18:19]
	s_add_i32 s18, s18, 16
	v_cmp_eq_u32_e32 vcc, 0, v13
	ds_write2st64_b32 v14, v16, v17 offset0:28 offset1:30
	v_add_u32_e32 v14, 0x2000, v14
	s_or_b64 s[12:13], vcc, s[12:13]
	v_mov_b32_e32 v15, s18
	s_andn2_b64 exec, exec, s[12:13]
	s_cbranch_execnz .LBB195_36
; %bb.37:
	s_or_b64 exec, exec, s[12:13]
.LBB195_38:
	s_or_b64 exec, exec, s[10:11]
	v_and_b32_e32 v12, 7, v12
	v_cmp_ne_u32_e32 vcc, 0, v12
	s_and_saveexec_b64 s[10:11], vcc
	s_cbranch_execz .LBB195_41
; %bb.39:
	v_lshlrev_b32_e32 v13, 9, v15
	s_movk_i32 s12, 0x1d0
	v_add3_u32 v13, v13, v8, s12
	s_mov_b64 s[12:13], 0
.LBB195_40:                             ; =>This Inner Loop Header: Depth=1
	ds_read2st64_b32 v[14:15], v13 offset1:2
	v_add_u32_e32 v12, -1, v12
	v_cmp_eq_u32_e32 vcc, 0, v12
	s_or_b64 s[12:13], vcc, s[12:13]
	s_waitcnt lgkmcnt(0)
	v_pk_mul_f32 v[14:15], v[2:3], v[14:15]
	ds_write2st64_b32 v13, v14, v15 offset1:2
	v_add_u32_e32 v13, 0x400, v13
	s_andn2_b64 exec, exec, s[12:13]
	s_cbranch_execnz .LBB195_40
.LBB195_41:
	s_or_b64 exec, exec, s[10:11]
	v_add_u32_e32 v7, 1, v7
	v_and_b32_e32 v12, 0x3fffffe, v7
	v_cmp_ne_u32_e32 vcc, v7, v12
	v_lshl_add_u32 v3, v12, 7, v0
	s_orn2_b64 s[10:11], vcc, exec
.LBB195_42:
	s_or_b64 exec, exec, s[6:7]
	s_and_b64 exec, exec, s[10:11]
	s_cbranch_execz .LBB195_45
; %bb.43:
	v_mov_b32_e32 v7, 0x1d0
	v_lshl_add_u32 v7, v3, 2, v7
	s_mov_b64 s[6:7], 0
.LBB195_44:                             ; =>This Inner Loop Header: Depth=1
	ds_read_b32 v12, v7
	v_add_u32_e32 v3, 0x80, v3
	v_cmp_le_i32_e32 vcc, s43, v3
	s_or_b64 s[6:7], vcc, s[6:7]
	s_waitcnt lgkmcnt(0)
	v_mul_f32_e32 v12, v2, v12
	ds_write_b32 v7, v12
	v_add_u32_e32 v7, 0x200, v7
	s_andn2_b64 exec, exec, s[6:7]
	s_cbranch_execnz .LBB195_44
.LBB195_45:
	s_or_b64 exec, exec, s[0:1]
	s_mul_i32 s0, s23, s34
	v_cmp_eq_u32_e32 vcc, 0, v0
	s_mul_i32 s6, s0, s5
	s_waitcnt lgkmcnt(0)
	s_barrier
	s_and_saveexec_b64 s[0:1], vcc
	s_cbranch_execz .LBB195_47
; %bb.46:
	s_ashr_i32 s7, s6, 31
	s_lshl_b64 s[10:11], s[6:7], 2
	s_add_u32 s5, s26, s10
	s_mul_i32 s12, s23, s2
	s_addc_u32 s7, s27, s11
	s_ashr_i32 s13, s12, 31
	s_lshl_b64 s[12:13], s[12:13], 2
	s_add_u32 s2, s5, s12
	s_addc_u32 s7, s7, s13
	s_ashr_i32 s5, s4, 31
	s_lshl_b64 s[18:19], s[4:5], 2
	s_add_u32 s26, s2, s18
	s_addc_u32 s27, s7, s19
	s_add_u32 s2, s24, s10
	s_addc_u32 s5, s25, s11
	;; [unrolled: 2-line block ×3, first 2 shown]
	s_add_u32 s10, s2, s18
	v_mov_b32_e32 v2, 0
	s_addc_u32 s11, s5, s19
	global_store_dword v2, v5, s[26:27]
	global_store_dword v2, v6, s[10:11]
.LBB195_47:
	s_or_b64 exec, exec, s[0:1]
	s_mov_b32 s0, 0
	v_mov_b32_e32 v5, 0
	v_lshrrev_b32_e32 v35, 1, v4
	v_and_b32_e32 v34, 1, v0
	v_mov_b32_e32 v4, 0
	v_mov_b32_e32 v3, 0
	;; [unrolled: 1-line block ×3, first 2 shown]
	s_and_saveexec_b64 s[10:11], s[8:9]
	s_cbranch_execz .LBB195_63
; %bb.48:
	s_sub_i32 s5, s16, s21
	s_ashr_i32 s1, s20, 31
	s_add_u32 s8, s40, s20
	s_addc_u32 s9, s41, s1
	s_abs_i32 s22, s22
	v_cvt_f32_u32_e32 v2, s22
	v_or_b32_e32 v3, 0x60, v35
	s_movk_i32 s1, 0x70
	v_and_b32_e32 v36, 4, v8
	v_rcp_iflag_f32_e32 v2, v2
	v_cmp_gt_u32_e32 vcc, s1, v3
	s_sub_i32 s1, 0, s22
	s_add_i32 s24, s3, -1
	v_mul_f32_e32 v2, 0x4f7ffffe, v2
	v_cvt_u32_f32_e32 v2, v2
	v_lshl_or_b32 v14, v3, 3, v36
	s_lshl_b64 s[2:3], s[38:39], 2
	s_add_u32 s2, s36, s2
	v_mul_lo_u32 v3, s1, v2
	v_mul_hi_u32 v3, v2, v3
	v_add_u32_e32 v37, v2, v3
	s_addc_u32 s3, s37, s3
	v_lshlrev_b32_e32 v2, 4, v34
	v_lshl_add_u64 v[16:17], v[10:11], 2, s[2:3]
	v_lshl_or_b32 v2, v9, 5, v2
	s_mov_b32 s2, s0
	s_mov_b32 s3, s0
	v_mov_b32_e32 v13, 0
	v_add_u32_e32 v11, 0x1d0, v2
	s_mov_b32 s1, s0
	v_mov_b64_e32 v[4:5], s[2:3]
	s_mov_b32 s7, s17
	v_lshl_or_b32 v12, v35, 3, v36
	v_mov_b32_e32 v15, v13
	s_mov_b64 s[12:13], 0
	v_mov_b64_e32 v[2:3], s[0:1]
	s_branch .LBB195_52
.LBB195_49:                             ;   in Loop: Header=BB195_52 Depth=1
	s_or_b64 exec, exec, s[18:19]
	v_mul_f32_e32 v7, v7, v21
	v_fmac_f32_e32 v7, v6, v20
	v_fmac_f32_e32 v7, v8, v18
	;; [unrolled: 1-line block ×3, first 2 shown]
	v_add_f32_e32 v5, v5, v7
.LBB195_50:                             ;   in Loop: Header=BB195_52 Depth=1
	s_or_b64 exec, exec, s[2:3]
.LBB195_51:                             ;   in Loop: Header=BB195_52 Depth=1
	s_or_b64 exec, exec, s[16:17]
	v_add_u32_e32 v10, 2, v10
	v_cmp_le_i32_e64 s[0:1], s49, v10
	v_lshl_add_u64 v[16:17], v[16:17], 0, 8
	v_add_u32_e32 v32, 16, v32
	s_or_b64 s[12:13], s[0:1], s[12:13]
	v_add_u32_e32 v11, 64, v11
	s_andn2_b64 exec, exec, s[12:13]
	s_cbranch_execz .LBB195_62
.LBB195_52:                             ; =>This Inner Loop Header: Depth=1
	v_sub_u32_e32 v7, 0, v32
	v_max_i32_e32 v7, v32, v7
	v_mul_hi_u32 v8, v7, s35
	v_mul_lo_u32 v9, v8, s29
	v_sub_u32_e32 v7, v7, v9
	v_add_u32_e32 v9, 1, v8
	v_cmp_le_u32_e64 s[0:1], s29, v7
	v_ashrrev_i32_e32 v6, 31, v32
	v_xor_b32_e32 v6, s48, v6
	v_cndmask_b32_e64 v8, v8, v9, s[0:1]
	v_subrev_u32_e32 v9, s29, v7
	v_cndmask_b32_e64 v7, v7, v9, s[0:1]
	v_add_u32_e32 v9, 1, v8
	v_cmp_le_u32_e64 s[0:1], s29, v7
	s_nop 1
	v_cndmask_b32_e64 v7, v8, v9, s[0:1]
	v_xor_b32_e32 v7, v7, v6
	v_sub_u32_e32 v6, v7, v6
	v_add_u32_e32 v7, s42, v6
	v_sub_u32_e32 v9, 0, v7
	v_ashrrev_i32_e32 v8, 31, v7
	v_max_i32_e32 v7, v7, v9
	v_mul_hi_u32 v9, v7, v37
	v_mul_lo_u32 v9, v9, s22
	v_sub_u32_e32 v7, v7, v9
	v_subrev_u32_e32 v9, s22, v7
	v_cmp_le_u32_e64 s[0:1], s22, v7
	v_cmp_lt_i32_e64 s[2:3], s5, v6
	s_nop 0
	v_cndmask_b32_e64 v7, v7, v9, s[0:1]
	v_subrev_u32_e32 v9, s22, v7
	v_cmp_le_u32_e64 s[0:1], s22, v7
	s_nop 1
	v_cndmask_b32_e64 v7, v7, v9, s[0:1]
	v_xor_b32_e32 v7, v7, v8
	v_sub_u32_e32 v7, v7, v8
	v_cmp_eq_u32_e64 s[0:1], 0, v7
	s_or_b64 s[0:1], s[0:1], s[2:3]
	s_and_saveexec_b64 s[16:17], s[0:1]
	s_cbranch_execz .LBB195_51
; %bb.53:                               ;   in Loop: Header=BB195_52 Depth=1
	global_load_dword v8, v[16:17], off
	v_mov_b64_e32 v[6:7], s[8:9]
	s_load_dword s18, s[14:15], 0x0
	v_add_u32_e32 v38, v36, v32
	s_waitcnt vmcnt(0)
	v_mad_i64_i32 v[18:19], s[0:1], v8, s7, v[6:7]
	v_lshl_add_u64 v[24:25], v[18:19], 0, v[12:13]
	global_load_dword v20, v[24:25], off
	ds_read_b128 v[6:9], v11
	v_cmp_eq_u32_e64 s[0:1], s24, v10
	s_waitcnt vmcnt(0)
	v_and_b32_e32 v21, 0xffff, v20
	v_lshrrev_b32_e32 v22, 16, v20
	v_cvt_pk_f32_fp8_e32 v[20:21], v21
	v_cvt_pk_f32_fp8_e32 v[26:27], v22
	s_waitcnt lgkmcnt(0)
	v_pk_mul_f32 v[22:23], s[18:19], v[20:21] op_sel_hi:[0,1]
	v_pk_mul_f32 v[20:21], s[18:19], v[26:27] op_sel_hi:[0,1]
	s_and_saveexec_b64 s[20:21], s[0:1]
; %bb.54:                               ;   in Loop: Header=BB195_52 Depth=1
	v_cmp_gt_i32_e64 s[2:3], s33, v38
	v_add_u32_e32 v26, 1, v38
	s_nop 0
	v_cndmask_b32_e64 v22, 0, v22, s[2:3]
	v_cmp_gt_i32_e64 s[2:3], s33, v26
	v_add_u32_e32 v26, 2, v38
	s_nop 0
	v_cndmask_b32_e64 v23, 0, v23, s[2:3]
	;; [unrolled: 4-line block ×3, first 2 shown]
	v_cmp_gt_i32_e64 s[2:3], s33, v26
	s_nop 1
	v_cndmask_b32_e64 v21, 0, v21, s[2:3]
; %bb.55:                               ;   in Loop: Header=BB195_52 Depth=1
	s_or_b64 exec, exec, s[20:21]
	global_load_dword v26, v[24:25], off offset:256
	s_mov_b32 s19, s18
	s_waitcnt vmcnt(0)
	v_and_b32_e32 v27, 0xffff, v26
	v_lshrrev_b32_e32 v28, 16, v26
	v_cvt_pk_f32_fp8_e32 v[26:27], v27
	v_cvt_pk_f32_fp8_e32 v[30:31], v28
	v_pk_mul_f32 v[28:29], s[18:19], v[26:27]
	v_pk_mul_f32 v[26:27], s[18:19], v[30:31]
	s_and_saveexec_b64 s[20:21], s[0:1]
; %bb.56:                               ;   in Loop: Header=BB195_52 Depth=1
	v_cmp_gt_i32_e64 s[2:3], s33, v38
	v_add_u32_e32 v30, 1, v38
	s_nop 0
	v_cndmask_b32_e64 v28, 0, v28, s[2:3]
	v_cmp_gt_i32_e64 s[2:3], s33, v30
	v_add_u32_e32 v30, 2, v38
	s_nop 0
	v_cndmask_b32_e64 v29, 0, v29, s[2:3]
	;; [unrolled: 4-line block ×3, first 2 shown]
	v_cmp_gt_i32_e64 s[2:3], s33, v30
	s_nop 1
	v_cndmask_b32_e64 v27, 0, v27, s[2:3]
; %bb.57:                               ;   in Loop: Header=BB195_52 Depth=1
	s_or_b64 exec, exec, s[20:21]
	global_load_dword v24, v[24:25], off offset:512
	s_waitcnt vmcnt(0)
	v_and_b32_e32 v25, 0xffff, v24
	v_lshrrev_b32_e32 v30, 16, v24
	v_cvt_pk_f32_fp8_e32 v[24:25], v25
	v_cvt_pk_f32_fp8_e32 v[40:41], v30
	v_pk_mul_f32 v[30:31], s[18:19], v[24:25]
	v_pk_mul_f32 v[24:25], s[18:19], v[40:41]
	s_and_saveexec_b64 s[20:21], s[0:1]
; %bb.58:                               ;   in Loop: Header=BB195_52 Depth=1
	v_cmp_gt_i32_e64 s[2:3], s33, v38
	v_add_u32_e32 v39, 1, v38
	s_nop 0
	v_cndmask_b32_e64 v30, 0, v30, s[2:3]
	v_cmp_gt_i32_e64 s[2:3], s33, v39
	v_add_u32_e32 v39, 2, v38
	s_nop 0
	v_cndmask_b32_e64 v31, 0, v31, s[2:3]
	;; [unrolled: 4-line block ×3, first 2 shown]
	v_cmp_gt_i32_e64 s[2:3], s33, v39
	s_nop 1
	v_cndmask_b32_e64 v25, 0, v25, s[2:3]
; %bb.59:                               ;   in Loop: Header=BB195_52 Depth=1
	s_or_b64 exec, exec, s[20:21]
	v_mul_f32_e32 v23, v7, v23
	v_fmac_f32_e32 v23, v6, v22
	v_fmac_f32_e32 v23, v8, v20
	v_mul_f32_e32 v20, v7, v29
	v_fmac_f32_e32 v20, v6, v28
	v_fmac_f32_e32 v20, v8, v26
	;; [unrolled: 1-line block ×3, first 2 shown]
	v_add_f32_e32 v3, v3, v20
	v_mul_f32_e32 v20, v7, v31
	v_fmac_f32_e32 v20, v6, v30
	v_fmac_f32_e32 v20, v8, v24
	;; [unrolled: 1-line block ×4, first 2 shown]
	v_add_f32_e32 v2, v2, v23
	v_add_f32_e32 v4, v4, v20
	s_and_saveexec_b64 s[2:3], vcc
	s_cbranch_execz .LBB195_50
; %bb.60:                               ;   in Loop: Header=BB195_52 Depth=1
	v_lshl_add_u64 v[18:19], v[18:19], 0, v[14:15]
	global_load_dword v18, v[18:19], off
	s_waitcnt vmcnt(0)
	v_and_b32_e32 v19, 0xffff, v18
	v_lshrrev_b32_e32 v20, 16, v18
	v_cvt_pk_f32_fp8_e32 v[18:19], v19
	v_cvt_pk_f32_fp8_e32 v[22:23], v20
	v_pk_mul_f32 v[20:21], s[18:19], v[18:19]
	v_pk_mul_f32 v[18:19], s[18:19], v[22:23]
	s_and_saveexec_b64 s[18:19], s[0:1]
	s_cbranch_execz .LBB195_49
; %bb.61:                               ;   in Loop: Header=BB195_52 Depth=1
	v_cmp_gt_i32_e64 s[0:1], s33, v38
	v_add_u32_e32 v22, 1, v38
	s_nop 0
	v_cndmask_b32_e64 v20, 0, v20, s[0:1]
	v_cmp_gt_i32_e64 s[0:1], s33, v22
	v_add_u32_e32 v22, 2, v38
	s_nop 0
	v_cndmask_b32_e64 v21, 0, v21, s[0:1]
	v_cmp_gt_i32_e64 s[0:1], s33, v22
	v_add_u32_e32 v22, 3, v38
	s_nop 0
	v_cndmask_b32_e64 v18, 0, v18, s[0:1]
	v_cmp_gt_i32_e64 s[0:1], s33, v22
	s_nop 1
	v_cndmask_b32_e64 v19, 0, v19, s[0:1]
	s_branch .LBB195_49
.LBB195_62:
	s_or_b64 exec, exec, s[12:13]
.LBB195_63:
	s_or_b64 exec, exec, s[10:11]
	ds_bpermute_b32 v6, v33, v2
	ds_bpermute_b32 v7, v33, v3
	;; [unrolled: 1-line block ×4, first 2 shown]
	s_waitcnt lgkmcnt(0)
	s_barrier
	v_pk_add_f32 v[6:7], v[2:3], v[6:7]
	v_pk_add_f32 v[2:3], v[4:5], v[8:9]
	v_and_b32_e32 v4, 0x3c0, v0
	v_cmp_eq_u32_e32 vcc, 64, v4
	s_and_saveexec_b64 s[2:3], vcc
	s_cbranch_execz .LBB195_68
; %bb.64:
	v_cmp_eq_u32_e32 vcc, 0, v34
	s_and_saveexec_b64 s[0:1], vcc
	s_cbranch_execz .LBB195_66
; %bb.65:
	v_mov_b32_e32 v4, 0x1d0
	v_lshl_add_u32 v4, v35, 2, v4
	ds_write2_b32 v4, v6, v7 offset1:32
	ds_write_b32 v4, v2 offset:256
.LBB195_66:
	s_or_b64 exec, exec, s[0:1]
	v_or_b32_e32 v4, 0x60, v35
	s_movk_i32 s0, 0x70
	v_cmp_gt_u32_e64 s[0:1], s0, v4
	s_and_b64 s[0:1], vcc, s[0:1]
	s_and_b64 exec, exec, s[0:1]
	s_cbranch_execz .LBB195_68
; %bb.67:
	v_mov_b32_e32 v4, 0x1d0
	v_lshl_add_u32 v4, v35, 2, v4
	ds_write_b32 v4, v3 offset:384
.LBB195_68:
	s_or_b64 exec, exec, s[2:3]
	v_cmp_gt_u32_e32 vcc, 64, v0
	s_waitcnt lgkmcnt(0)
	s_barrier
	s_and_saveexec_b64 s[8:9], vcc
	s_cbranch_execz .LBB195_76
; %bb.69:
	v_cmp_eq_u32_e64 s[0:1], 0, v34
	s_and_saveexec_b64 s[2:3], s[0:1]
	s_cbranch_execnz .LBB195_82
; %bb.70:
	s_or_b64 exec, exec, s[2:3]
	s_and_saveexec_b64 s[2:3], s[0:1]
	s_cbranch_execnz .LBB195_83
.LBB195_71:
	s_or_b64 exec, exec, s[2:3]
	s_and_saveexec_b64 s[2:3], s[0:1]
	s_cbranch_execz .LBB195_73
.LBB195_72:
	v_mov_b32_e32 v0, 0x1d0
	v_lshl_add_u32 v0, v1, 2, v0
	ds_read_b32 v0, v0 offset:256
	s_waitcnt lgkmcnt(0)
	v_add_f32_e32 v2, v2, v0
.LBB195_73:
	s_or_b64 exec, exec, s[2:3]
	v_or_b32_e32 v0, 0x60, v1
	s_movk_i32 s2, 0x70
	v_cmp_gt_u32_e64 s[2:3], s2, v0
	s_and_b64 s[2:3], s[0:1], s[2:3]
	s_and_saveexec_b64 s[0:1], s[2:3]
	s_cbranch_execz .LBB195_75
; %bb.74:
	v_mov_b32_e32 v0, 0x1d0
	v_lshl_add_u32 v0, v1, 2, v0
	ds_read_b32 v0, v0 offset:384
	s_waitcnt lgkmcnt(0)
	v_add_f32_e32 v3, v3, v0
.LBB195_75:
	s_or_b64 exec, exec, s[0:1]
.LBB195_76:
	s_or_b64 exec, exec, s[8:9]
	s_barrier
	s_and_saveexec_b64 s[0:1], vcc
	s_cbranch_execz .LBB195_81
; %bb.77:
	s_mul_i32 s0, s6, 0x70
	s_ashr_i32 s1, s0, 31
	s_lshl_b64 s[0:1], s[0:1], 2
	s_add_u32 s2, s30, s0
	s_mul_i32 s0, s23, s28
	s_addc_u32 s3, s31, s1
	s_ashr_i32 s1, s0, 31
	s_lshl_b64 s[0:1], s[0:1], 2
	s_add_u32 s2, s2, s0
	s_mul_i32 s0, s4, 0x70
	s_addc_u32 s3, s3, s1
	s_ashr_i32 s1, s0, 31
	s_lshl_b64 s[0:1], s[0:1], 2
	s_add_u32 s2, s2, s0
	s_movk_i32 s5, 0x70
	s_addc_u32 s3, s3, s1
	v_cmp_eq_u32_e32 vcc, 0, v34
	v_lshlrev_b32_e32 v0, 2, v1
	s_and_saveexec_b64 s[0:1], vcc
	s_cbranch_execz .LBB195_79
; %bb.78:
	global_store_dword v0, v6, s[2:3]
	global_store_dword v0, v7, s[2:3] offset:128
	global_store_dword v0, v2, s[2:3] offset:256
.LBB195_79:
	s_or_b64 exec, exec, s[0:1]
	v_or_b32_e32 v1, 0x60, v1
	v_cmp_gt_u32_e64 s[0:1], s5, v1
	s_and_b64 s[0:1], vcc, s[0:1]
	s_and_b64 exec, exec, s[0:1]
	s_cbranch_execz .LBB195_81
; %bb.80:
	global_store_dword v0, v3, s[2:3] offset:384
.LBB195_81:
	s_endpgm
.LBB195_82:
	v_mov_b32_e32 v0, 0x1d0
	v_lshl_add_u32 v0, v1, 2, v0
	ds_read_b32 v0, v0
	s_waitcnt lgkmcnt(0)
	v_add_f32_e32 v6, v6, v0
	s_or_b64 exec, exec, s[2:3]
	s_and_saveexec_b64 s[2:3], s[0:1]
	s_cbranch_execz .LBB195_71
.LBB195_83:
	v_mov_b32_e32 v0, 0x1d0
	v_lshl_add_u32 v0, v1, 2, v0
	ds_read_b32 v0, v0 offset:128
	s_waitcnt lgkmcnt(0)
	v_add_f32_e32 v7, v7, v0
	s_or_b64 exec, exec, s[2:3]
	s_and_saveexec_b64 s[2:3], s[0:1]
	s_cbranch_execnz .LBB195_72
	s_branch .LBB195_73
	.section	.rodata,"a",@progbits
	.p2align	6, 0x0
	.amdhsa_kernel _ZN4vllm25paged_attention_v2_kernelIfhLi112ELi8ELi128ELNS_18Fp8KVCacheDataTypeE1ELb1ELi512EEEvPfS2_PT_PKS3_PKT0_S9_ifPKiSB_iPKfiiiSD_SD_iiiii
		.amdhsa_group_segment_fixed_size 464
		.amdhsa_private_segment_fixed_size 0
		.amdhsa_kernarg_size 400
		.amdhsa_user_sgpr_count 2
		.amdhsa_user_sgpr_dispatch_ptr 0
		.amdhsa_user_sgpr_queue_ptr 0
		.amdhsa_user_sgpr_kernarg_segment_ptr 1
		.amdhsa_user_sgpr_dispatch_id 0
		.amdhsa_user_sgpr_kernarg_preload_length 0
		.amdhsa_user_sgpr_kernarg_preload_offset 0
		.amdhsa_user_sgpr_private_segment_size 0
		.amdhsa_uses_dynamic_stack 0
		.amdhsa_enable_private_segment 0
		.amdhsa_system_sgpr_workgroup_id_x 1
		.amdhsa_system_sgpr_workgroup_id_y 1
		.amdhsa_system_sgpr_workgroup_id_z 1
		.amdhsa_system_sgpr_workgroup_info 0
		.amdhsa_system_vgpr_workitem_id 0
		.amdhsa_next_free_vgpr 57
		.amdhsa_next_free_sgpr 56
		.amdhsa_accum_offset 60
		.amdhsa_reserve_vcc 1
		.amdhsa_float_round_mode_32 0
		.amdhsa_float_round_mode_16_64 0
		.amdhsa_float_denorm_mode_32 3
		.amdhsa_float_denorm_mode_16_64 3
		.amdhsa_dx10_clamp 1
		.amdhsa_ieee_mode 1
		.amdhsa_fp16_overflow 0
		.amdhsa_tg_split 0
		.amdhsa_exception_fp_ieee_invalid_op 0
		.amdhsa_exception_fp_denorm_src 0
		.amdhsa_exception_fp_ieee_div_zero 0
		.amdhsa_exception_fp_ieee_overflow 0
		.amdhsa_exception_fp_ieee_underflow 0
		.amdhsa_exception_fp_ieee_inexact 0
		.amdhsa_exception_int_div_zero 0
	.end_amdhsa_kernel
	.section	.text._ZN4vllm25paged_attention_v2_kernelIfhLi112ELi8ELi128ELNS_18Fp8KVCacheDataTypeE1ELb1ELi512EEEvPfS2_PT_PKS3_PKT0_S9_ifPKiSB_iPKfiiiSD_SD_iiiii,"axG",@progbits,_ZN4vllm25paged_attention_v2_kernelIfhLi112ELi8ELi128ELNS_18Fp8KVCacheDataTypeE1ELb1ELi512EEEvPfS2_PT_PKS3_PKT0_S9_ifPKiSB_iPKfiiiSD_SD_iiiii,comdat
.Lfunc_end195:
	.size	_ZN4vllm25paged_attention_v2_kernelIfhLi112ELi8ELi128ELNS_18Fp8KVCacheDataTypeE1ELb1ELi512EEEvPfS2_PT_PKS3_PKT0_S9_ifPKiSB_iPKfiiiSD_SD_iiiii, .Lfunc_end195-_ZN4vllm25paged_attention_v2_kernelIfhLi112ELi8ELi128ELNS_18Fp8KVCacheDataTypeE1ELb1ELi512EEEvPfS2_PT_PKS3_PKT0_S9_ifPKiSB_iPKfiiiSD_SD_iiiii
                                        ; -- End function
	.section	.AMDGPU.csdata,"",@progbits
; Kernel info:
; codeLenInByte = 5380
; NumSgprs: 62
; NumVgprs: 57
; NumAgprs: 0
; TotalNumVgprs: 57
; ScratchSize: 0
; MemoryBound: 0
; FloatMode: 240
; IeeeMode: 1
; LDSByteSize: 464 bytes/workgroup (compile time only)
; SGPRBlocks: 7
; VGPRBlocks: 7
; NumSGPRsForWavesPerEU: 62
; NumVGPRsForWavesPerEU: 57
; AccumOffset: 60
; Occupancy: 8
; WaveLimiterHint : 1
; COMPUTE_PGM_RSRC2:SCRATCH_EN: 0
; COMPUTE_PGM_RSRC2:USER_SGPR: 2
; COMPUTE_PGM_RSRC2:TRAP_HANDLER: 0
; COMPUTE_PGM_RSRC2:TGID_X_EN: 1
; COMPUTE_PGM_RSRC2:TGID_Y_EN: 1
; COMPUTE_PGM_RSRC2:TGID_Z_EN: 1
; COMPUTE_PGM_RSRC2:TIDIG_COMP_CNT: 0
; COMPUTE_PGM_RSRC3_GFX90A:ACCUM_OFFSET: 14
; COMPUTE_PGM_RSRC3_GFX90A:TG_SPLIT: 0
	.section	.text._ZN4vllm25paged_attention_v2_kernelIfhLi120ELi8ELi128ELNS_18Fp8KVCacheDataTypeE1ELb1ELi512EEEvPfS2_PT_PKS3_PKT0_S9_ifPKiSB_iPKfiiiSD_SD_iiiii,"axG",@progbits,_ZN4vllm25paged_attention_v2_kernelIfhLi120ELi8ELi128ELNS_18Fp8KVCacheDataTypeE1ELb1ELi512EEEvPfS2_PT_PKS3_PKT0_S9_ifPKiSB_iPKfiiiSD_SD_iiiii,comdat
	.protected	_ZN4vllm25paged_attention_v2_kernelIfhLi120ELi8ELi128ELNS_18Fp8KVCacheDataTypeE1ELb1ELi512EEEvPfS2_PT_PKS3_PKT0_S9_ifPKiSB_iPKfiiiSD_SD_iiiii ; -- Begin function _ZN4vllm25paged_attention_v2_kernelIfhLi120ELi8ELi128ELNS_18Fp8KVCacheDataTypeE1ELb1ELi512EEEvPfS2_PT_PKS3_PKT0_S9_ifPKiSB_iPKfiiiSD_SD_iiiii
	.globl	_ZN4vllm25paged_attention_v2_kernelIfhLi120ELi8ELi128ELNS_18Fp8KVCacheDataTypeE1ELb1ELi512EEEvPfS2_PT_PKS3_PKT0_S9_ifPKiSB_iPKfiiiSD_SD_iiiii
	.p2align	8
	.type	_ZN4vllm25paged_attention_v2_kernelIfhLi120ELi8ELi128ELNS_18Fp8KVCacheDataTypeE1ELb1ELi512EEEvPfS2_PT_PKS3_PKT0_S9_ifPKiSB_iPKfiiiSD_SD_iiiii,@function
_ZN4vllm25paged_attention_v2_kernelIfhLi120ELi8ELi128ELNS_18Fp8KVCacheDataTypeE1ELb1ELi512EEEvPfS2_PT_PKS3_PKT0_S9_ifPKiSB_iPKfiiiSD_SD_iiiii: ; @_ZN4vllm25paged_attention_v2_kernelIfhLi120ELi8ELi128ELNS_18Fp8KVCacheDataTypeE1ELb1ELi512EEEvPfS2_PT_PKS3_PKT0_S9_ifPKiSB_iPKfiiiSD_SD_iiiii
; %bb.0:
	s_load_dwordx2 s[6:7], s[0:1], 0x40
	s_mov_b32 s34, s3
	s_ashr_i32 s35, s3, 31
	s_lshl_b64 s[8:9], s[34:35], 2
	s_waitcnt lgkmcnt(0)
	s_add_u32 s6, s6, s8
	s_addc_u32 s7, s7, s9
	s_load_dword s33, s[6:7], 0x0
	s_lshl_b32 s50, s4, 9
	s_waitcnt lgkmcnt(0)
	s_cmp_ge_i32 s50, s33
	s_cbranch_scc1 .LBB196_81
; %bb.1:
	s_load_dword s5, s[0:1], 0x90
	s_load_dwordx2 s[42:43], s[0:1], 0x30
	s_mov_b32 s51, 0
	s_waitcnt lgkmcnt(0)
	s_abs_i32 s7, s5
	s_abs_i32 s3, s42
	v_cvt_f32_u32_e32 v1, s3
	s_sub_i32 s8, 0, s3
	s_xor_b32 s6, s5, s42
	s_ashr_i32 s6, s6, 31
	v_rcp_iflag_f32_e32 v1, v1
	s_nop 0
	v_mul_f32_e32 v1, 0x4f7ffffe, v1
	v_cvt_u32_f32_e32 v1, v1
	s_nop 0
	v_readfirstlane_b32 s9, v1
	s_mul_i32 s8, s8, s9
	s_mul_hi_u32 s8, s9, s8
	s_add_i32 s9, s9, s8
	s_mul_hi_u32 s8, s7, s9
	s_mul_i32 s9, s8, s3
	s_sub_i32 s7, s7, s9
	s_add_i32 s10, s8, 1
	s_sub_i32 s9, s7, s3
	s_cmp_ge_u32 s7, s3
	s_cselect_b32 s8, s10, s8
	s_cselect_b32 s7, s9, s7
	s_add_i32 s9, s8, 1
	s_cmp_ge_u32 s7, s3
	s_cselect_b32 s3, s9, s8
	s_xor_b32 s3, s3, s6
	s_sub_i32 s11, s3, s6
	s_abs_i32 s8, s11
	v_cvt_f32_u32_e32 v1, s8
	s_load_dwordx2 s[6:7], s[0:1], 0x50
	s_sub_i32 s3, 0, s8
	s_abs_i32 s9, s2
	v_rcp_iflag_f32_e32 v1, v1
	s_nop 0
	v_mul_f32_e32 v1, 0x4f7ffffe, v1
	v_cvt_u32_f32_e32 v1, v1
	s_nop 0
	v_readfirstlane_b32 s10, v1
	s_mul_i32 s3, s3, s10
	s_mul_hi_u32 s3, s10, s3
	s_add_i32 s10, s10, s3
	s_waitcnt lgkmcnt(0)
	s_cmp_eq_u64 s[6:7], 0
	s_mul_hi_u32 s10, s9, s10
	s_cbranch_scc1 .LBB196_3
; %bb.2:
	s_ashr_i32 s3, s2, 31
	s_lshl_b64 s[12:13], s[2:3], 2
	s_add_u32 s6, s6, s12
	s_addc_u32 s7, s7, s13
	s_load_dword s51, s[6:7], 0x0
.LBB196_3:
	s_load_dwordx4 s[16:19], s[0:1], 0x58
	s_movk_i32 s6, 0x78
	s_ashr_i32 s3, s2, 31
	s_ashr_i32 s11, s11, 31
	v_and_b32_e32 v2, 7, v0
	s_mul_i32 s28, s2, 0x78
	v_cmp_gt_u32_e32 vcc, s6, v0
	v_lshlrev_b32_e32 v8, 2, v0
	v_lshrrev_b32_e32 v1, 1, v0
	s_and_saveexec_b64 s[6:7], vcc
	s_cbranch_execz .LBB196_5
; %bb.4:
	s_load_dwordx2 s[12:13], s[0:1], 0x18
	s_waitcnt lgkmcnt(0)
	s_mul_i32 s14, s34, s16
	s_ashr_i32 s15, s14, 31
	s_lshl_b64 s[14:15], s[14:15], 2
	v_and_b32_e32 v4, 0x1fc, v1
	s_add_u32 s14, s12, s14
	s_addc_u32 s15, s13, s15
	s_ashr_i32 s29, s28, 31
	s_lshl_b64 s[12:13], s[28:29], 2
	s_add_u32 s12, s14, s12
	s_addc_u32 s13, s15, s13
	global_load_dword v3, v8, s[12:13]
	v_mad_u32_u24 v4, v2, 60, v4
	s_waitcnt vmcnt(0)
	ds_write_b32 v4, v3
.LBB196_5:
	s_or_b64 exec, exec, s[6:7]
	s_mul_i32 s6, s10, s8
	s_sub_i32 s6, s9, s6
	s_xor_b32 s3, s3, s11
	s_add_i32 s7, s10, 1
	s_sub_i32 s9, s6, s8
	s_load_dwordx4 s[20:23], s[0:1], 0x78
	s_cmp_ge_u32 s6, s8
	s_cselect_b32 s7, s7, s10
	s_cselect_b32 s6, s9, s6
	s_add_i32 s9, s7, 1
	s_cmp_ge_u32 s6, s8
	s_cselect_b32 s6, s9, s7
	s_load_dword s9, s[0:1], 0x88
	s_waitcnt lgkmcnt(0)
	s_abs_i32 s29, s23
	v_cvt_f32_u32_e32 v3, s29
	s_xor_b32 s6, s6, s3
	s_sub_i32 s10, s6, s3
	s_sub_i32 s6, 0, s29
	v_rcp_iflag_f32_e32 v3, v3
	s_add_i32 s11, s33, -1
	s_abs_i32 s3, s11
	v_mul_f32_e32 v3, 0x4f7ffffe, v3
	v_cvt_u32_f32_e32 v3, v3
	s_barrier
	v_readfirstlane_b32 s35, v3
	s_mul_i32 s6, s6, s35
	s_mul_hi_u32 s6, s35, s6
	s_add_i32 s35, s35, s6
	s_cmp_lt_i32 s9, 0
	s_mul_hi_u32 s8, s3, s35
	s_cbranch_scc0 .LBB196_7
; %bb.6:
	s_mul_i32 s6, s20, s42
	s_add_i32 s6, s10, s6
	s_mul_i32 s6, s6, s9
	s_sub_i32 s42, 1, s6
	s_mov_b64 s[6:7], 0
	s_branch .LBB196_8
.LBB196_7:
	s_mov_b64 s[6:7], -1
                                        ; implicit-def: $sgpr42
.LBB196_8:
	s_load_dwordx2 s[36:37], s[0:1], 0x38
	s_ashr_i32 s11, s11, 31
	s_andn2_b64 vcc, exec, s[6:7]
	s_ashr_i32 s48, s23, 31
	s_cbranch_vccnz .LBB196_10
; %bb.9:
	s_mul_i32 s6, s5, s20
	s_add_i32 s6, s6, s2
	s_mul_i32 s6, s6, s9
	s_add_i32 s42, s6, 1
.LBB196_10:
	s_load_dwordx2 s[40:41], s[0:1], 0x28
	s_load_dword s6, s[0:1], 0x48
	s_load_dwordx4 s[24:27], s[0:1], 0x0
	s_load_dwordx2 s[30:31], s[0:1], 0x10
	s_load_dword s23, s[0:1], 0x98
	s_load_dwordx4 s[12:15], s[0:1], 0x68
	s_mul_i32 s7, s8, s29
	s_waitcnt lgkmcnt(0)
	s_mul_i32 s38, s34, s6
	s_sub_i32 s3, s3, s7
	s_ashr_i32 s39, s38, 31
	s_xor_b32 s6, s11, s48
	s_add_i32 s7, s8, 1
	s_sub_i32 s9, s3, s29
	s_cmp_ge_u32 s3, s29
	s_cselect_b32 s7, s7, s8
	s_cselect_b32 s3, s9, s3
	s_add_i32 s8, s7, 1
	s_cmp_ge_u32 s3, s29
	s_cselect_b32 s3, s8, s7
	s_xor_b32 s3, s3, s6
	s_sub_i32 s16, s3, s6
	s_add_i32 s3, s33, 7
	s_ashr_i32 s6, s3, 31
	s_lshr_b32 s6, s6, 29
	s_add_i32 s3, s3, s6
	s_lshl_b32 s52, s4, 6
	s_ashr_i32 s3, s3, 3
	s_add_i32 s6, s52, 64
	v_lshrrev_b32_e32 v9, 6, v0
	s_min_i32 s49, s6, s3
	v_or_b32_e32 v10, s52, v9
	v_cmp_gt_i32_e64 s[8:9], s49, v10
	v_mov_b32_e32 v15, 0xff7fffff
	s_mul_i32 s20, s10, s18
	v_ashrrev_i32_e32 v11, 31, v10
	v_lshl_add_u32 v32, v9, 3, s50
	v_mbcnt_lo_u32_b32 v12, -1, 0
	s_and_saveexec_b64 s[18:19], s[8:9]
	s_cbranch_execz .LBB196_20
; %bb.11:
	s_load_dwordx2 s[0:1], s[0:1], 0x20
	s_sub_i32 s53, s16, s21
	s_ashr_i32 s6, s20, 31
	v_bfe_u32 v13, v0, 3, 3
	v_mov_b32_e32 v5, 0
	s_waitcnt lgkmcnt(0)
	s_add_u32 s0, s0, s20
	s_addc_u32 s1, s1, s6
	s_abs_i32 s54, s22
	v_cvt_f32_u32_e32 v3, s54
	v_lshlrev_b32_e32 v4, 4, v13
	v_lshlrev_b32_e32 v15, 2, v13
	v_lshl_or_b32 v15, v9, 5, v15
	v_rcp_iflag_f32_e32 v3, v3
	v_add_u32_e32 v18, 0x1f0, v15
	v_subrev_u32_e32 v15, s33, v13
	v_mbcnt_hi_u32_b32 v21, -1, v12
	v_mul_f32_e32 v3, 0x4f7ffffe, v3
	v_cvt_u32_f32_e32 v6, v3
	v_mov_b32_e32 v3, v5
	v_lshl_add_u64 v[4:5], s[0:1], 0, v[4:5]
	s_sub_i32 s0, 0, s54
	v_mul_lo_u32 v7, s0, v6
	s_lshl_b64 s[0:1], s[38:39], 2
	s_add_u32 s0, s36, s0
	v_mul_hi_u32 v7, v6, v7
	s_addc_u32 s1, s37, s1
	v_add_u32_e32 v19, 1, v15
	v_and_b32_e32 v15, 64, v21
	v_cmp_eq_u32_e32 vcc, 0, v2
	s_mov_b32 s55, s17
	v_mul_u32_u24_e32 v14, 60, v2
	v_cmp_neq_f32_e64 s[6:7], s51, 0
	v_add_u32_e32 v16, v6, v7
	v_lshl_add_u64 v[6:7], v[10:11], 2, s[0:1]
	v_lshl_add_u32 v17, v9, 3, s50
	s_mov_b64 s[44:45], 0
	v_mov_b32_e32 v20, 0xff7fffff
	v_add_u32_e32 v22, 64, v15
	v_xor_b32_e32 v23, 4, v21
	v_xor_b32_e32 v24, 2, v21
	;; [unrolled: 1-line block ×3, first 2 shown]
	v_mov_b32_e32 v15, 0xff7fffff
	v_mov_b32_e32 v26, v10
	s_branch .LBB196_14
.LBB196_12:                             ;   in Loop: Header=BB196_14 Depth=1
	s_or_b64 exec, exec, s[46:47]
.LBB196_13:                             ;   in Loop: Header=BB196_14 Depth=1
	s_or_b64 exec, exec, s[10:11]
	v_add_u32_e32 v26, 2, v26
	v_cmp_le_i32_e64 s[0:1], s49, v26
	v_lshl_add_u64 v[6:7], v[6:7], 0, 8
	v_add_u32_e32 v17, 16, v17
	s_or_b64 s[44:45], s[0:1], s[44:45]
	v_add_u32_e32 v18, 64, v18
	s_andn2_b64 exec, exec, s[44:45]
	s_cbranch_execz .LBB196_19
.LBB196_14:                             ; =>This Inner Loop Header: Depth=1
	s_waitcnt lgkmcnt(0)
	v_sub_u32_e32 v28, 0, v17
	v_max_i32_e32 v28, v17, v28
	v_mul_hi_u32 v29, v28, s35
	v_mul_lo_u32 v30, v29, s29
	v_sub_u32_e32 v28, v28, v30
	v_add_u32_e32 v30, 1, v29
	v_cmp_le_u32_e64 s[0:1], s29, v28
	v_ashrrev_i32_e32 v27, 31, v17
	v_xor_b32_e32 v27, s48, v27
	v_cndmask_b32_e64 v29, v29, v30, s[0:1]
	v_subrev_u32_e32 v30, s29, v28
	v_cndmask_b32_e64 v28, v28, v30, s[0:1]
	v_add_u32_e32 v30, 1, v29
	v_cmp_le_u32_e64 s[0:1], s29, v28
	s_nop 1
	v_cndmask_b32_e64 v28, v29, v30, s[0:1]
	v_xor_b32_e32 v28, v28, v27
	v_sub_u32_e32 v27, v28, v27
	v_add_u32_e32 v28, s42, v27
	v_sub_u32_e32 v30, 0, v28
	v_ashrrev_i32_e32 v29, 31, v28
	v_max_i32_e32 v28, v28, v30
	v_mul_hi_u32 v30, v28, v16
	v_mul_lo_u32 v30, v30, s54
	v_sub_u32_e32 v28, v28, v30
	v_subrev_u32_e32 v30, s54, v28
	v_cmp_le_u32_e64 s[0:1], s54, v28
	v_cmp_ge_i32_e64 s[10:11], s53, v27
	s_nop 0
	v_cndmask_b32_e64 v28, v28, v30, s[0:1]
	v_subrev_u32_e32 v30, s54, v28
	v_cmp_le_u32_e64 s[0:1], s54, v28
	s_nop 1
	v_cndmask_b32_e64 v28, v28, v30, s[0:1]
	v_xor_b32_e32 v28, v28, v29
	v_sub_u32_e32 v28, v28, v29
	v_cmp_ne_u32_e64 s[0:1], 0, v28
	s_and_b64 s[0:1], s[0:1], s[10:11]
	s_and_b64 s[46:47], vcc, s[0:1]
	s_and_saveexec_b64 s[10:11], s[46:47]
	s_cbranch_execz .LBB196_16
; %bb.15:                               ;   in Loop: Header=BB196_14 Depth=1
	ds_write_b32 v18, v20
.LBB196_16:                             ;   in Loop: Header=BB196_14 Depth=1
	s_or_b64 exec, exec, s[10:11]
	s_xor_b64 s[0:1], s[0:1], -1
	s_and_saveexec_b64 s[10:11], s[0:1]
	s_cbranch_execz .LBB196_13
; %bb.17:                               ;   in Loop: Header=BB196_14 Depth=1
	global_load_dword v27, v[6:7], off
	s_waitcnt vmcnt(0)
	v_mad_i64_i32 v[28:29], s[0:1], v27, s55, v[4:5]
	v_lshl_add_u64 v[28:29], v[28:29], 0, v[2:3]
	global_load_ubyte v27, v[28:29], off
	global_load_ubyte v33, v[28:29], off offset:8
	global_load_ubyte v44, v[28:29], off offset:128
	global_load_ubyte v45, v[28:29], off offset:136
	global_load_ubyte v46, v[28:29], off offset:256
	global_load_ubyte v47, v[28:29], off offset:264
	global_load_ubyte v48, v[28:29], off offset:384
	global_load_ubyte v49, v[28:29], off offset:392
	global_load_ubyte v50, v[28:29], off offset:512
	global_load_ubyte v51, v[28:29], off offset:520
	global_load_ubyte v52, v[28:29], off offset:640
	global_load_ubyte v53, v[28:29], off offset:648
	global_load_ubyte v54, v[28:29], off offset:768
	global_load_ubyte v55, v[28:29], off offset:776
	global_load_ubyte v56, v[28:29], off offset:896
	v_cmp_lt_i32_e64 s[0:1], v23, v22
	ds_read2_b32 v[28:29], v14 offset1:1
	ds_read2_b32 v[30:31], v14 offset0:2 offset1:3
	ds_read2_b32 v[34:35], v14 offset0:4 offset1:5
	;; [unrolled: 1-line block ×6, first 2 shown]
	ds_read_b32 v57, v14 offset:56
	v_cndmask_b32_e64 v58, v21, v23, s[0:1]
	s_load_dword s0, s[12:13], 0x0
	v_lshlrev_b32_e32 v58, 2, v58
	s_waitcnt vmcnt(14)
	v_cvt_f32_fp8_sdwa v27, v27 src0_sel:BYTE_0
	s_waitcnt vmcnt(13)
	v_cvt_f32_fp8_sdwa v33, v33 src0_sel:BYTE_0
	;; [unrolled: 2-line block ×5, first 2 shown]
	s_waitcnt lgkmcnt(0)
	v_mul_f32_e32 v33, s0, v33
	s_waitcnt vmcnt(9)
	v_cvt_f32_fp8_sdwa v47, v47 src0_sel:BYTE_0
	v_mul_f32_e32 v27, s0, v27
	v_mul_f32_e32 v29, v29, v33
	s_waitcnt vmcnt(8)
	v_cvt_f32_fp8_sdwa v48, v48 src0_sel:BYTE_0
	v_mul_f32_e32 v44, s0, v44
	v_fmac_f32_e32 v29, v28, v27
	s_waitcnt vmcnt(7)
	v_cvt_f32_fp8_sdwa v49, v49 src0_sel:BYTE_0
	v_mul_f32_e32 v45, s0, v45
	v_fmac_f32_e32 v29, v30, v44
	;; [unrolled: 4-line block ×9, first 2 shown]
	v_mul_f32_e32 v53, s0, v53
	v_fmac_f32_e32 v29, v40, v52
	v_mul_f32_e32 v54, s0, v54
	v_fmac_f32_e32 v29, v41, v53
	;; [unrolled: 2-line block ×4, first 2 shown]
	v_fmac_f32_e32 v29, v57, v56
	ds_bpermute_b32 v27, v58, v29
	v_cmp_lt_i32_e64 s[0:1], v24, v22
	s_waitcnt lgkmcnt(0)
	v_add_f32_e32 v27, v29, v27
	v_cndmask_b32_e64 v28, v21, v24, s[0:1]
	v_lshlrev_b32_e32 v28, 2, v28
	ds_bpermute_b32 v28, v28, v27
	v_cmp_lt_i32_e64 s[0:1], v25, v22
	s_waitcnt lgkmcnt(0)
	v_add_f32_e32 v27, v27, v28
	v_cndmask_b32_e64 v29, v21, v25, s[0:1]
	v_lshlrev_b32_e32 v29, 2, v29
	ds_bpermute_b32 v28, v29, v27
	s_and_saveexec_b64 s[46:47], vcc
	s_cbranch_execz .LBB196_12
; %bb.18:                               ;   in Loop: Header=BB196_14 Depth=1
	v_add_u32_e32 v29, v19, v17
	v_cvt_f32_i32_e32 v29, v29
	s_waitcnt lgkmcnt(0)
	v_add_f32_e32 v27, v27, v28
	v_add_u32_e32 v30, v13, v17
	v_cmp_gt_i32_e64 s[0:1], s33, v30
	v_mul_f32_e32 v28, s51, v29
	v_cndmask_b32_e64 v28, 0, v28, s[6:7]
	v_fmac_f32_e32 v28, s43, v27
	v_cndmask_b32_e64 v27, 0, v28, s[0:1]
	ds_write_b32 v18, v27
	v_max_f32_e32 v27, v15, v15
	v_max_f32_e32 v27, v27, v28
	v_cndmask_b32_e64 v15, v15, v27, s[0:1]
	s_branch .LBB196_12
.LBB196_19:
	s_or_b64 exec, exec, s[44:45]
.LBB196_20:
	s_or_b64 exec, exec, s[18:19]
	v_mbcnt_hi_u32_b32 v2, -1, v12
	v_and_b32_e32 v3, 64, v2
	v_add_u32_e32 v3, 64, v3
	v_xor_b32_e32 v4, 32, v2
	v_cmp_lt_i32_e32 vcc, v4, v3
	v_xor_b32_e32 v6, 16, v2
	v_max_f32_e32 v5, v15, v15
	v_cndmask_b32_e32 v4, v2, v4, vcc
	v_lshlrev_b32_e32 v7, 2, v4
	ds_bpermute_b32 v4, v7, v15
	v_cmp_lt_i32_e32 vcc, v6, v3
	s_waitcnt lgkmcnt(0)
	v_max_f32_e32 v4, v4, v4
	v_max_f32_e32 v4, v5, v4
	v_cndmask_b32_e32 v5, v2, v6, vcc
	v_lshlrev_b32_e32 v13, 2, v5
	ds_bpermute_b32 v5, v13, v4
	v_xor_b32_e32 v6, 8, v2
	v_cmp_lt_i32_e32 vcc, v6, v3
	s_waitcnt lgkmcnt(0)
	v_max_f32_e32 v5, v5, v5
	v_max_f32_e32 v5, v4, v5
	v_cndmask_b32_e32 v4, v2, v6, vcc
	v_lshlrev_b32_e32 v14, 2, v4
	ds_bpermute_b32 v12, v14, v5
	v_and_b32_e32 v4, 63, v0
	v_cmp_eq_u32_e32 vcc, 0, v4
	v_lshlrev_b32_e32 v6, 2, v9
	s_and_saveexec_b64 s[0:1], vcc
	s_cbranch_execz .LBB196_22
; %bb.21:
	s_waitcnt lgkmcnt(0)
	v_max_f32_e32 v12, v12, v12
	v_max_f32_e32 v5, v5, v5
	;; [unrolled: 1-line block ×3, first 2 shown]
	ds_write_b32 v6, v5 offset:480
.LBB196_22:
	s_or_b64 exec, exec, s[0:1]
	v_cmp_gt_u32_e64 s[0:1], 2, v4
	v_mov_b32_e32 v5, 0xff7fffff
	s_waitcnt lgkmcnt(0)
	v_lshlrev_b32_e32 v12, 2, v4
	s_barrier
	s_and_saveexec_b64 s[6:7], s[0:1]
	s_cbranch_execz .LBB196_24
; %bb.23:
	ds_read_b32 v5, v12 offset:480
.LBB196_24:
	s_or_b64 exec, exec, s[6:7]
	v_xor_b32_e32 v15, 1, v2
	v_cmp_lt_i32_e64 s[6:7], v15, v3
	v_mov_b32_e32 v16, 0
	s_nop 0
	v_cndmask_b32_e64 v15, v2, v15, s[6:7]
	v_lshlrev_b32_e32 v33, 2, v15
	s_waitcnt lgkmcnt(0)
	ds_bpermute_b32 v15, v33, v5
	v_max_f32_e32 v5, v5, v5
	s_sub_i32 s6, s49, s52
	s_lshl_b32 s6, s6, 3
	s_add_i32 s6, s6, s50
	s_waitcnt lgkmcnt(0)
	v_max_f32_e32 v15, v15, v15
	v_max_f32_e32 v5, v5, v15
	v_lshlrev_b32_e32 v15, 2, v2
	v_and_b32_e32 v15, 0x100, v15
	ds_bpermute_b32 v5, v15, v5
	s_min_i32 s44, s6, s33
	s_sub_i32 s43, s44, s50
	v_cmp_gt_i32_e64 s[6:7], s43, v0
	s_and_saveexec_b64 s[12:13], s[6:7]
	s_cbranch_execz .LBB196_28
; %bb.25:
	v_mov_b32_e32 v16, 0x1f0
	v_lshl_add_u32 v17, v0, 2, v16
	s_mov_b64 s[18:19], 0
	v_mov_b32_e32 v16, 0
	v_mov_b32_e32 v18, v0
.LBB196_26:                             ; =>This Inner Loop Header: Depth=1
	ds_read_b32 v19, v17
	v_add_u32_e32 v18, 0x80, v18
	v_cmp_le_i32_e64 s[10:11], s43, v18
	s_or_b64 s[18:19], s[10:11], s[18:19]
	s_waitcnt lgkmcnt(0)
	v_sub_f32_e32 v19, v19, v5
	v_mul_f32_e32 v19, 0x3fb8aa3b, v19
	v_exp_f32_e32 v19, v19
	ds_write_b32 v17, v19
	v_add_f32_e32 v16, v16, v19
	v_add_u32_e32 v17, 0x200, v17
	s_andn2_b64 exec, exec, s[18:19]
	s_cbranch_execnz .LBB196_26
; %bb.27:
	s_or_b64 exec, exec, s[18:19]
.LBB196_28:
	s_or_b64 exec, exec, s[12:13]
	ds_bpermute_b32 v7, v7, v16
	s_waitcnt lgkmcnt(0)
	v_add_f32_e32 v7, v16, v7
	ds_bpermute_b32 v13, v13, v7
	s_waitcnt lgkmcnt(0)
	v_add_f32_e32 v7, v7, v13
	ds_bpermute_b32 v13, v14, v7
	v_xor_b32_e32 v14, 4, v2
	v_cmp_lt_i32_e64 s[10:11], v14, v3
	s_waitcnt lgkmcnt(0)
	v_add_f32_e32 v7, v7, v13
	v_cndmask_b32_e64 v14, v2, v14, s[10:11]
	v_lshlrev_b32_e32 v14, 2, v14
	ds_bpermute_b32 v13, v14, v7
	v_xor_b32_e32 v14, 2, v2
	v_cmp_lt_i32_e64 s[10:11], v14, v3
	s_waitcnt lgkmcnt(0)
	v_add_f32_e32 v3, v7, v13
	v_cndmask_b32_e64 v2, v2, v14, s[10:11]
	v_lshlrev_b32_e32 v2, 2, v2
	ds_bpermute_b32 v2, v2, v3
	s_waitcnt lgkmcnt(0)
	v_add_f32_e32 v2, v3, v2
	ds_bpermute_b32 v3, v33, v2
	s_waitcnt lgkmcnt(0)
	v_add_f32_e32 v2, v2, v3
	s_and_saveexec_b64 s[10:11], vcc
	s_cbranch_execz .LBB196_30
; %bb.29:
	ds_write_b32 v6, v2 offset:488
.LBB196_30:
	s_or_b64 exec, exec, s[10:11]
	s_waitcnt lgkmcnt(0)
	s_barrier
	s_and_saveexec_b64 s[10:11], s[0:1]
	s_cbranch_execz .LBB196_32
; %bb.31:
	ds_read_b32 v2, v12 offset:488
.LBB196_32:
	s_or_b64 exec, exec, s[10:11]
	s_waitcnt lgkmcnt(0)
	ds_bpermute_b32 v3, v33, v2
	s_waitcnt lgkmcnt(0)
	v_add_f32_e32 v2, v2, v3
	ds_bpermute_b32 v6, v15, v2
	s_and_saveexec_b64 s[0:1], s[6:7]
	s_cbranch_execz .LBB196_45
; %bb.33:
	s_waitcnt lgkmcnt(0)
	v_add_f32_e32 v2, 0x358637bd, v6
	v_div_scale_f32 v3, s[6:7], v2, v2, 1.0
	v_rcp_f32_e32 v7, v3
	v_div_scale_f32 v12, vcc, 1.0, v2, 1.0
	s_movk_i32 s6, 0x7f
	v_fma_f32 v13, -v3, v7, 1.0
	v_fmac_f32_e32 v7, v13, v7
	v_mul_f32_e32 v13, v12, v7
	v_fma_f32 v14, -v3, v13, v12
	v_fmac_f32_e32 v13, v14, v7
	v_fma_f32 v3, -v3, v13, v12
	v_div_fmas_f32 v3, v3, v7, v13
	v_div_fixup_f32 v2, v3, v2, 1.0
	v_xad_u32 v3, v0, -1, s44
	v_subrev_u32_e32 v7, s50, v3
	v_cmp_lt_u32_e32 vcc, s6, v7
	s_mov_b64 s[10:11], -1
	v_mov_b32_e32 v3, v0
	s_and_saveexec_b64 s[6:7], vcc
	s_cbranch_execz .LBB196_42
; %bb.34:
	v_lshrrev_b32_e32 v7, 7, v7
	v_add_u32_e32 v13, -1, v7
	v_lshrrev_b32_e32 v12, 1, v13
	v_mov_b32_e32 v3, v2
	v_add_u32_e32 v12, 1, v12
	v_cmp_lt_u32_e32 vcc, 13, v13
	v_mov_b32_e32 v15, 0
	s_and_saveexec_b64 s[10:11], vcc
	s_cbranch_execz .LBB196_38
; %bb.35:
	v_mov_b32_e32 v14, 0x1f0
	v_and_b32_e32 v13, -8, v12
	v_lshl_add_u32 v14, v0, 2, v14
	s_mov_b32 s18, 0
	s_mov_b64 s[12:13], 0
.LBB196_36:                             ; =>This Inner Loop Header: Depth=1
	ds_read2st64_b32 v[16:17], v14 offset1:2
	ds_read2st64_b32 v[18:19], v14 offset0:4 offset1:6
	ds_read2st64_b32 v[20:21], v14 offset0:8 offset1:10
	;; [unrolled: 1-line block ×3, first 2 shown]
	v_add_u32_e32 v13, -8, v13
	s_waitcnt lgkmcnt(3)
	v_pk_mul_f32 v[16:17], v[2:3], v[16:17]
	s_waitcnt lgkmcnt(2)
	v_pk_mul_f32 v[18:19], v[2:3], v[18:19]
	ds_write2st64_b32 v14, v16, v17 offset1:2
	ds_write2st64_b32 v14, v18, v19 offset0:4 offset1:6
	ds_read2st64_b32 v[18:19], v14 offset0:16 offset1:18
	s_waitcnt lgkmcnt(4)
	v_pk_mul_f32 v[16:17], v[2:3], v[20:21]
	ds_write2st64_b32 v14, v16, v17 offset0:8 offset1:10
	s_waitcnt lgkmcnt(4)
	v_pk_mul_f32 v[16:17], v[2:3], v[22:23]
	ds_write2st64_b32 v14, v16, v17 offset0:12 offset1:14
	ds_read2st64_b32 v[16:17], v14 offset0:20 offset1:22
	s_waitcnt lgkmcnt(3)
	v_pk_mul_f32 v[18:19], v[2:3], v[18:19]
	ds_read2st64_b32 v[20:21], v14 offset0:24 offset1:26
	ds_write2st64_b32 v14, v18, v19 offset0:16 offset1:18
	ds_read2st64_b32 v[18:19], v14 offset0:28 offset1:30
	s_waitcnt lgkmcnt(3)
	v_pk_mul_f32 v[16:17], v[2:3], v[16:17]
	ds_write2st64_b32 v14, v16, v17 offset0:20 offset1:22
	s_waitcnt lgkmcnt(3)
	v_pk_mul_f32 v[16:17], v[2:3], v[20:21]
	ds_write2st64_b32 v14, v16, v17 offset0:24 offset1:26
	s_waitcnt lgkmcnt(2)
	v_pk_mul_f32 v[16:17], v[2:3], v[18:19]
	s_add_i32 s18, s18, 16
	v_cmp_eq_u32_e32 vcc, 0, v13
	ds_write2st64_b32 v14, v16, v17 offset0:28 offset1:30
	v_add_u32_e32 v14, 0x2000, v14
	s_or_b64 s[12:13], vcc, s[12:13]
	v_mov_b32_e32 v15, s18
	s_andn2_b64 exec, exec, s[12:13]
	s_cbranch_execnz .LBB196_36
; %bb.37:
	s_or_b64 exec, exec, s[12:13]
.LBB196_38:
	s_or_b64 exec, exec, s[10:11]
	v_and_b32_e32 v12, 7, v12
	v_cmp_ne_u32_e32 vcc, 0, v12
	s_and_saveexec_b64 s[10:11], vcc
	s_cbranch_execz .LBB196_41
; %bb.39:
	v_lshlrev_b32_e32 v13, 9, v15
	s_movk_i32 s12, 0x1f0
	v_add3_u32 v13, v13, v8, s12
	s_mov_b64 s[12:13], 0
.LBB196_40:                             ; =>This Inner Loop Header: Depth=1
	ds_read2st64_b32 v[14:15], v13 offset1:2
	v_add_u32_e32 v12, -1, v12
	v_cmp_eq_u32_e32 vcc, 0, v12
	s_or_b64 s[12:13], vcc, s[12:13]
	s_waitcnt lgkmcnt(0)
	v_pk_mul_f32 v[14:15], v[2:3], v[14:15]
	ds_write2st64_b32 v13, v14, v15 offset1:2
	v_add_u32_e32 v13, 0x400, v13
	s_andn2_b64 exec, exec, s[12:13]
	s_cbranch_execnz .LBB196_40
.LBB196_41:
	s_or_b64 exec, exec, s[10:11]
	v_add_u32_e32 v7, 1, v7
	v_and_b32_e32 v12, 0x3fffffe, v7
	v_cmp_ne_u32_e32 vcc, v7, v12
	v_lshl_add_u32 v3, v12, 7, v0
	s_orn2_b64 s[10:11], vcc, exec
.LBB196_42:
	s_or_b64 exec, exec, s[6:7]
	s_and_b64 exec, exec, s[10:11]
	s_cbranch_execz .LBB196_45
; %bb.43:
	v_mov_b32_e32 v7, 0x1f0
	v_lshl_add_u32 v7, v3, 2, v7
	s_mov_b64 s[6:7], 0
.LBB196_44:                             ; =>This Inner Loop Header: Depth=1
	ds_read_b32 v12, v7
	v_add_u32_e32 v3, 0x80, v3
	v_cmp_le_i32_e32 vcc, s43, v3
	s_or_b64 s[6:7], vcc, s[6:7]
	s_waitcnt lgkmcnt(0)
	v_mul_f32_e32 v12, v2, v12
	ds_write_b32 v7, v12
	v_add_u32_e32 v7, 0x200, v7
	s_andn2_b64 exec, exec, s[6:7]
	s_cbranch_execnz .LBB196_44
.LBB196_45:
	s_or_b64 exec, exec, s[0:1]
	s_mul_i32 s0, s23, s34
	v_cmp_eq_u32_e32 vcc, 0, v0
	s_mul_i32 s6, s0, s5
	s_waitcnt lgkmcnt(0)
	s_barrier
	s_and_saveexec_b64 s[0:1], vcc
	s_cbranch_execz .LBB196_47
; %bb.46:
	s_ashr_i32 s7, s6, 31
	s_lshl_b64 s[10:11], s[6:7], 2
	s_add_u32 s5, s26, s10
	s_mul_i32 s12, s23, s2
	s_addc_u32 s7, s27, s11
	s_ashr_i32 s13, s12, 31
	s_lshl_b64 s[12:13], s[12:13], 2
	s_add_u32 s2, s5, s12
	s_addc_u32 s7, s7, s13
	s_ashr_i32 s5, s4, 31
	s_lshl_b64 s[18:19], s[4:5], 2
	s_add_u32 s26, s2, s18
	s_addc_u32 s27, s7, s19
	s_add_u32 s2, s24, s10
	s_addc_u32 s5, s25, s11
	;; [unrolled: 2-line block ×3, first 2 shown]
	s_add_u32 s10, s2, s18
	v_mov_b32_e32 v2, 0
	s_addc_u32 s11, s5, s19
	global_store_dword v2, v5, s[26:27]
	global_store_dword v2, v6, s[10:11]
.LBB196_47:
	s_or_b64 exec, exec, s[0:1]
	s_mov_b32 s0, 0
	v_mov_b32_e32 v5, 0
	v_lshrrev_b32_e32 v35, 1, v4
	v_and_b32_e32 v34, 1, v0
	v_mov_b32_e32 v4, 0
	v_mov_b32_e32 v3, 0
	;; [unrolled: 1-line block ×3, first 2 shown]
	s_and_saveexec_b64 s[10:11], s[8:9]
	s_cbranch_execz .LBB196_63
; %bb.48:
	s_sub_i32 s5, s16, s21
	s_ashr_i32 s1, s20, 31
	s_add_u32 s8, s40, s20
	s_addc_u32 s9, s41, s1
	s_abs_i32 s22, s22
	v_cvt_f32_u32_e32 v2, s22
	v_or_b32_e32 v3, 0x60, v35
	s_movk_i32 s1, 0x78
	v_and_b32_e32 v36, 4, v8
	v_rcp_iflag_f32_e32 v2, v2
	v_cmp_gt_u32_e32 vcc, s1, v3
	s_sub_i32 s1, 0, s22
	s_add_i32 s24, s3, -1
	v_mul_f32_e32 v2, 0x4f7ffffe, v2
	v_cvt_u32_f32_e32 v2, v2
	v_lshl_or_b32 v14, v3, 3, v36
	s_lshl_b64 s[2:3], s[38:39], 2
	s_add_u32 s2, s36, s2
	v_mul_lo_u32 v3, s1, v2
	v_mul_hi_u32 v3, v2, v3
	v_add_u32_e32 v37, v2, v3
	s_addc_u32 s3, s37, s3
	v_lshlrev_b32_e32 v2, 4, v34
	v_lshl_add_u64 v[16:17], v[10:11], 2, s[2:3]
	v_lshl_or_b32 v2, v9, 5, v2
	s_mov_b32 s2, s0
	s_mov_b32 s3, s0
	v_mov_b32_e32 v13, 0
	v_add_u32_e32 v11, 0x1f0, v2
	s_mov_b32 s1, s0
	v_mov_b64_e32 v[4:5], s[2:3]
	s_mov_b32 s7, s17
	v_lshl_or_b32 v12, v35, 3, v36
	v_mov_b32_e32 v15, v13
	s_mov_b64 s[12:13], 0
	v_mov_b64_e32 v[2:3], s[0:1]
	s_branch .LBB196_52
.LBB196_49:                             ;   in Loop: Header=BB196_52 Depth=1
	s_or_b64 exec, exec, s[18:19]
	v_mul_f32_e32 v7, v7, v21
	v_fmac_f32_e32 v7, v6, v20
	v_fmac_f32_e32 v7, v8, v18
	;; [unrolled: 1-line block ×3, first 2 shown]
	v_add_f32_e32 v5, v5, v7
.LBB196_50:                             ;   in Loop: Header=BB196_52 Depth=1
	s_or_b64 exec, exec, s[2:3]
.LBB196_51:                             ;   in Loop: Header=BB196_52 Depth=1
	s_or_b64 exec, exec, s[16:17]
	v_add_u32_e32 v10, 2, v10
	v_cmp_le_i32_e64 s[0:1], s49, v10
	v_lshl_add_u64 v[16:17], v[16:17], 0, 8
	v_add_u32_e32 v32, 16, v32
	s_or_b64 s[12:13], s[0:1], s[12:13]
	v_add_u32_e32 v11, 64, v11
	s_andn2_b64 exec, exec, s[12:13]
	s_cbranch_execz .LBB196_62
.LBB196_52:                             ; =>This Inner Loop Header: Depth=1
	v_sub_u32_e32 v7, 0, v32
	v_max_i32_e32 v7, v32, v7
	v_mul_hi_u32 v8, v7, s35
	v_mul_lo_u32 v9, v8, s29
	v_sub_u32_e32 v7, v7, v9
	v_add_u32_e32 v9, 1, v8
	v_cmp_le_u32_e64 s[0:1], s29, v7
	v_ashrrev_i32_e32 v6, 31, v32
	v_xor_b32_e32 v6, s48, v6
	v_cndmask_b32_e64 v8, v8, v9, s[0:1]
	v_subrev_u32_e32 v9, s29, v7
	v_cndmask_b32_e64 v7, v7, v9, s[0:1]
	v_add_u32_e32 v9, 1, v8
	v_cmp_le_u32_e64 s[0:1], s29, v7
	s_nop 1
	v_cndmask_b32_e64 v7, v8, v9, s[0:1]
	v_xor_b32_e32 v7, v7, v6
	v_sub_u32_e32 v6, v7, v6
	v_add_u32_e32 v7, s42, v6
	v_sub_u32_e32 v9, 0, v7
	v_ashrrev_i32_e32 v8, 31, v7
	v_max_i32_e32 v7, v7, v9
	v_mul_hi_u32 v9, v7, v37
	v_mul_lo_u32 v9, v9, s22
	v_sub_u32_e32 v7, v7, v9
	v_subrev_u32_e32 v9, s22, v7
	v_cmp_le_u32_e64 s[0:1], s22, v7
	v_cmp_lt_i32_e64 s[2:3], s5, v6
	s_nop 0
	v_cndmask_b32_e64 v7, v7, v9, s[0:1]
	v_subrev_u32_e32 v9, s22, v7
	v_cmp_le_u32_e64 s[0:1], s22, v7
	s_nop 1
	v_cndmask_b32_e64 v7, v7, v9, s[0:1]
	v_xor_b32_e32 v7, v7, v8
	v_sub_u32_e32 v7, v7, v8
	v_cmp_eq_u32_e64 s[0:1], 0, v7
	s_or_b64 s[0:1], s[0:1], s[2:3]
	s_and_saveexec_b64 s[16:17], s[0:1]
	s_cbranch_execz .LBB196_51
; %bb.53:                               ;   in Loop: Header=BB196_52 Depth=1
	global_load_dword v8, v[16:17], off
	v_mov_b64_e32 v[6:7], s[8:9]
	s_load_dword s18, s[14:15], 0x0
	v_add_u32_e32 v38, v36, v32
	s_waitcnt vmcnt(0)
	v_mad_i64_i32 v[18:19], s[0:1], v8, s7, v[6:7]
	v_lshl_add_u64 v[24:25], v[18:19], 0, v[12:13]
	global_load_dword v20, v[24:25], off
	ds_read_b128 v[6:9], v11
	v_cmp_eq_u32_e64 s[0:1], s24, v10
	s_waitcnt vmcnt(0)
	v_and_b32_e32 v21, 0xffff, v20
	v_lshrrev_b32_e32 v22, 16, v20
	v_cvt_pk_f32_fp8_e32 v[20:21], v21
	v_cvt_pk_f32_fp8_e32 v[26:27], v22
	s_waitcnt lgkmcnt(0)
	v_pk_mul_f32 v[22:23], s[18:19], v[20:21] op_sel_hi:[0,1]
	v_pk_mul_f32 v[20:21], s[18:19], v[26:27] op_sel_hi:[0,1]
	s_and_saveexec_b64 s[20:21], s[0:1]
; %bb.54:                               ;   in Loop: Header=BB196_52 Depth=1
	v_cmp_gt_i32_e64 s[2:3], s33, v38
	v_add_u32_e32 v26, 1, v38
	s_nop 0
	v_cndmask_b32_e64 v22, 0, v22, s[2:3]
	v_cmp_gt_i32_e64 s[2:3], s33, v26
	v_add_u32_e32 v26, 2, v38
	s_nop 0
	v_cndmask_b32_e64 v23, 0, v23, s[2:3]
	;; [unrolled: 4-line block ×3, first 2 shown]
	v_cmp_gt_i32_e64 s[2:3], s33, v26
	s_nop 1
	v_cndmask_b32_e64 v21, 0, v21, s[2:3]
; %bb.55:                               ;   in Loop: Header=BB196_52 Depth=1
	s_or_b64 exec, exec, s[20:21]
	global_load_dword v26, v[24:25], off offset:256
	s_mov_b32 s19, s18
	s_waitcnt vmcnt(0)
	v_and_b32_e32 v27, 0xffff, v26
	v_lshrrev_b32_e32 v28, 16, v26
	v_cvt_pk_f32_fp8_e32 v[26:27], v27
	v_cvt_pk_f32_fp8_e32 v[30:31], v28
	v_pk_mul_f32 v[28:29], s[18:19], v[26:27]
	v_pk_mul_f32 v[26:27], s[18:19], v[30:31]
	s_and_saveexec_b64 s[20:21], s[0:1]
; %bb.56:                               ;   in Loop: Header=BB196_52 Depth=1
	v_cmp_gt_i32_e64 s[2:3], s33, v38
	v_add_u32_e32 v30, 1, v38
	s_nop 0
	v_cndmask_b32_e64 v28, 0, v28, s[2:3]
	v_cmp_gt_i32_e64 s[2:3], s33, v30
	v_add_u32_e32 v30, 2, v38
	s_nop 0
	v_cndmask_b32_e64 v29, 0, v29, s[2:3]
	;; [unrolled: 4-line block ×3, first 2 shown]
	v_cmp_gt_i32_e64 s[2:3], s33, v30
	s_nop 1
	v_cndmask_b32_e64 v27, 0, v27, s[2:3]
; %bb.57:                               ;   in Loop: Header=BB196_52 Depth=1
	s_or_b64 exec, exec, s[20:21]
	global_load_dword v24, v[24:25], off offset:512
	s_waitcnt vmcnt(0)
	v_and_b32_e32 v25, 0xffff, v24
	v_lshrrev_b32_e32 v30, 16, v24
	v_cvt_pk_f32_fp8_e32 v[24:25], v25
	v_cvt_pk_f32_fp8_e32 v[40:41], v30
	v_pk_mul_f32 v[30:31], s[18:19], v[24:25]
	v_pk_mul_f32 v[24:25], s[18:19], v[40:41]
	s_and_saveexec_b64 s[20:21], s[0:1]
; %bb.58:                               ;   in Loop: Header=BB196_52 Depth=1
	v_cmp_gt_i32_e64 s[2:3], s33, v38
	v_add_u32_e32 v39, 1, v38
	s_nop 0
	v_cndmask_b32_e64 v30, 0, v30, s[2:3]
	v_cmp_gt_i32_e64 s[2:3], s33, v39
	v_add_u32_e32 v39, 2, v38
	s_nop 0
	v_cndmask_b32_e64 v31, 0, v31, s[2:3]
	;; [unrolled: 4-line block ×3, first 2 shown]
	v_cmp_gt_i32_e64 s[2:3], s33, v39
	s_nop 1
	v_cndmask_b32_e64 v25, 0, v25, s[2:3]
; %bb.59:                               ;   in Loop: Header=BB196_52 Depth=1
	s_or_b64 exec, exec, s[20:21]
	v_mul_f32_e32 v23, v7, v23
	v_fmac_f32_e32 v23, v6, v22
	v_fmac_f32_e32 v23, v8, v20
	v_mul_f32_e32 v20, v7, v29
	v_fmac_f32_e32 v20, v6, v28
	v_fmac_f32_e32 v20, v8, v26
	;; [unrolled: 1-line block ×3, first 2 shown]
	v_add_f32_e32 v3, v3, v20
	v_mul_f32_e32 v20, v7, v31
	v_fmac_f32_e32 v20, v6, v30
	v_fmac_f32_e32 v20, v8, v24
	;; [unrolled: 1-line block ×4, first 2 shown]
	v_add_f32_e32 v2, v2, v23
	v_add_f32_e32 v4, v4, v20
	s_and_saveexec_b64 s[2:3], vcc
	s_cbranch_execz .LBB196_50
; %bb.60:                               ;   in Loop: Header=BB196_52 Depth=1
	v_lshl_add_u64 v[18:19], v[18:19], 0, v[14:15]
	global_load_dword v18, v[18:19], off
	s_waitcnt vmcnt(0)
	v_and_b32_e32 v19, 0xffff, v18
	v_lshrrev_b32_e32 v20, 16, v18
	v_cvt_pk_f32_fp8_e32 v[18:19], v19
	v_cvt_pk_f32_fp8_e32 v[22:23], v20
	v_pk_mul_f32 v[20:21], s[18:19], v[18:19]
	v_pk_mul_f32 v[18:19], s[18:19], v[22:23]
	s_and_saveexec_b64 s[18:19], s[0:1]
	s_cbranch_execz .LBB196_49
; %bb.61:                               ;   in Loop: Header=BB196_52 Depth=1
	v_cmp_gt_i32_e64 s[0:1], s33, v38
	v_add_u32_e32 v22, 1, v38
	s_nop 0
	v_cndmask_b32_e64 v20, 0, v20, s[0:1]
	v_cmp_gt_i32_e64 s[0:1], s33, v22
	v_add_u32_e32 v22, 2, v38
	s_nop 0
	v_cndmask_b32_e64 v21, 0, v21, s[0:1]
	;; [unrolled: 4-line block ×3, first 2 shown]
	v_cmp_gt_i32_e64 s[0:1], s33, v22
	s_nop 1
	v_cndmask_b32_e64 v19, 0, v19, s[0:1]
	s_branch .LBB196_49
.LBB196_62:
	s_or_b64 exec, exec, s[12:13]
.LBB196_63:
	s_or_b64 exec, exec, s[10:11]
	ds_bpermute_b32 v6, v33, v2
	ds_bpermute_b32 v7, v33, v3
	;; [unrolled: 1-line block ×4, first 2 shown]
	s_waitcnt lgkmcnt(0)
	s_barrier
	v_pk_add_f32 v[6:7], v[2:3], v[6:7]
	v_pk_add_f32 v[2:3], v[4:5], v[8:9]
	v_and_b32_e32 v4, 0x3c0, v0
	v_cmp_eq_u32_e32 vcc, 64, v4
	s_and_saveexec_b64 s[2:3], vcc
	s_cbranch_execz .LBB196_68
; %bb.64:
	v_cmp_eq_u32_e32 vcc, 0, v34
	s_and_saveexec_b64 s[0:1], vcc
	s_cbranch_execz .LBB196_66
; %bb.65:
	v_mov_b32_e32 v4, 0x1f0
	v_lshl_add_u32 v4, v35, 2, v4
	ds_write2_b32 v4, v6, v7 offset1:32
	ds_write_b32 v4, v2 offset:256
.LBB196_66:
	s_or_b64 exec, exec, s[0:1]
	v_or_b32_e32 v4, 0x60, v35
	s_movk_i32 s0, 0x78
	v_cmp_gt_u32_e64 s[0:1], s0, v4
	s_and_b64 s[0:1], vcc, s[0:1]
	s_and_b64 exec, exec, s[0:1]
	s_cbranch_execz .LBB196_68
; %bb.67:
	v_mov_b32_e32 v4, 0x1f0
	v_lshl_add_u32 v4, v35, 2, v4
	ds_write_b32 v4, v3 offset:384
.LBB196_68:
	s_or_b64 exec, exec, s[2:3]
	v_cmp_gt_u32_e32 vcc, 64, v0
	s_waitcnt lgkmcnt(0)
	s_barrier
	s_and_saveexec_b64 s[8:9], vcc
	s_cbranch_execz .LBB196_76
; %bb.69:
	v_cmp_eq_u32_e64 s[0:1], 0, v34
	s_and_saveexec_b64 s[2:3], s[0:1]
	s_cbranch_execnz .LBB196_82
; %bb.70:
	s_or_b64 exec, exec, s[2:3]
	s_and_saveexec_b64 s[2:3], s[0:1]
	s_cbranch_execnz .LBB196_83
.LBB196_71:
	s_or_b64 exec, exec, s[2:3]
	s_and_saveexec_b64 s[2:3], s[0:1]
	s_cbranch_execz .LBB196_73
.LBB196_72:
	v_mov_b32_e32 v0, 0x1f0
	v_lshl_add_u32 v0, v1, 2, v0
	ds_read_b32 v0, v0 offset:256
	s_waitcnt lgkmcnt(0)
	v_add_f32_e32 v2, v2, v0
.LBB196_73:
	s_or_b64 exec, exec, s[2:3]
	v_or_b32_e32 v0, 0x60, v1
	s_movk_i32 s2, 0x78
	v_cmp_gt_u32_e64 s[2:3], s2, v0
	s_and_b64 s[2:3], s[0:1], s[2:3]
	s_and_saveexec_b64 s[0:1], s[2:3]
	s_cbranch_execz .LBB196_75
; %bb.74:
	v_mov_b32_e32 v0, 0x1f0
	v_lshl_add_u32 v0, v1, 2, v0
	ds_read_b32 v0, v0 offset:384
	s_waitcnt lgkmcnt(0)
	v_add_f32_e32 v3, v3, v0
.LBB196_75:
	s_or_b64 exec, exec, s[0:1]
.LBB196_76:
	s_or_b64 exec, exec, s[8:9]
	s_barrier
	s_and_saveexec_b64 s[0:1], vcc
	s_cbranch_execz .LBB196_81
; %bb.77:
	s_mul_i32 s0, s6, 0x78
	s_ashr_i32 s1, s0, 31
	s_lshl_b64 s[0:1], s[0:1], 2
	s_add_u32 s2, s30, s0
	s_mul_i32 s0, s23, s28
	s_addc_u32 s3, s31, s1
	s_ashr_i32 s1, s0, 31
	s_lshl_b64 s[0:1], s[0:1], 2
	s_add_u32 s2, s2, s0
	s_mul_i32 s0, s4, 0x78
	s_addc_u32 s3, s3, s1
	s_ashr_i32 s1, s0, 31
	s_lshl_b64 s[0:1], s[0:1], 2
	s_add_u32 s2, s2, s0
	s_movk_i32 s5, 0x78
	s_addc_u32 s3, s3, s1
	v_cmp_eq_u32_e32 vcc, 0, v34
	v_lshlrev_b32_e32 v0, 2, v1
	s_and_saveexec_b64 s[0:1], vcc
	s_cbranch_execz .LBB196_79
; %bb.78:
	global_store_dword v0, v6, s[2:3]
	global_store_dword v0, v7, s[2:3] offset:128
	global_store_dword v0, v2, s[2:3] offset:256
.LBB196_79:
	s_or_b64 exec, exec, s[0:1]
	v_or_b32_e32 v1, 0x60, v1
	v_cmp_gt_u32_e64 s[0:1], s5, v1
	s_and_b64 s[0:1], vcc, s[0:1]
	s_and_b64 exec, exec, s[0:1]
	s_cbranch_execz .LBB196_81
; %bb.80:
	global_store_dword v0, v3, s[2:3] offset:384
.LBB196_81:
	s_endpgm
.LBB196_82:
	v_mov_b32_e32 v0, 0x1f0
	v_lshl_add_u32 v0, v1, 2, v0
	ds_read_b32 v0, v0
	s_waitcnt lgkmcnt(0)
	v_add_f32_e32 v6, v6, v0
	s_or_b64 exec, exec, s[2:3]
	s_and_saveexec_b64 s[2:3], s[0:1]
	s_cbranch_execz .LBB196_71
.LBB196_83:
	v_mov_b32_e32 v0, 0x1f0
	v_lshl_add_u32 v0, v1, 2, v0
	ds_read_b32 v0, v0 offset:128
	s_waitcnt lgkmcnt(0)
	v_add_f32_e32 v7, v7, v0
	s_or_b64 exec, exec, s[2:3]
	s_and_saveexec_b64 s[2:3], s[0:1]
	s_cbranch_execnz .LBB196_72
	s_branch .LBB196_73
	.section	.rodata,"a",@progbits
	.p2align	6, 0x0
	.amdhsa_kernel _ZN4vllm25paged_attention_v2_kernelIfhLi120ELi8ELi128ELNS_18Fp8KVCacheDataTypeE1ELb1ELi512EEEvPfS2_PT_PKS3_PKT0_S9_ifPKiSB_iPKfiiiSD_SD_iiiii
		.amdhsa_group_segment_fixed_size 496
		.amdhsa_private_segment_fixed_size 0
		.amdhsa_kernarg_size 400
		.amdhsa_user_sgpr_count 2
		.amdhsa_user_sgpr_dispatch_ptr 0
		.amdhsa_user_sgpr_queue_ptr 0
		.amdhsa_user_sgpr_kernarg_segment_ptr 1
		.amdhsa_user_sgpr_dispatch_id 0
		.amdhsa_user_sgpr_kernarg_preload_length 0
		.amdhsa_user_sgpr_kernarg_preload_offset 0
		.amdhsa_user_sgpr_private_segment_size 0
		.amdhsa_uses_dynamic_stack 0
		.amdhsa_enable_private_segment 0
		.amdhsa_system_sgpr_workgroup_id_x 1
		.amdhsa_system_sgpr_workgroup_id_y 1
		.amdhsa_system_sgpr_workgroup_id_z 1
		.amdhsa_system_sgpr_workgroup_info 0
		.amdhsa_system_vgpr_workitem_id 0
		.amdhsa_next_free_vgpr 59
		.amdhsa_next_free_sgpr 56
		.amdhsa_accum_offset 60
		.amdhsa_reserve_vcc 1
		.amdhsa_float_round_mode_32 0
		.amdhsa_float_round_mode_16_64 0
		.amdhsa_float_denorm_mode_32 3
		.amdhsa_float_denorm_mode_16_64 3
		.amdhsa_dx10_clamp 1
		.amdhsa_ieee_mode 1
		.amdhsa_fp16_overflow 0
		.amdhsa_tg_split 0
		.amdhsa_exception_fp_ieee_invalid_op 0
		.amdhsa_exception_fp_denorm_src 0
		.amdhsa_exception_fp_ieee_div_zero 0
		.amdhsa_exception_fp_ieee_overflow 0
		.amdhsa_exception_fp_ieee_underflow 0
		.amdhsa_exception_fp_ieee_inexact 0
		.amdhsa_exception_int_div_zero 0
	.end_amdhsa_kernel
	.section	.text._ZN4vllm25paged_attention_v2_kernelIfhLi120ELi8ELi128ELNS_18Fp8KVCacheDataTypeE1ELb1ELi512EEEvPfS2_PT_PKS3_PKT0_S9_ifPKiSB_iPKfiiiSD_SD_iiiii,"axG",@progbits,_ZN4vllm25paged_attention_v2_kernelIfhLi120ELi8ELi128ELNS_18Fp8KVCacheDataTypeE1ELb1ELi512EEEvPfS2_PT_PKS3_PKT0_S9_ifPKiSB_iPKfiiiSD_SD_iiiii,comdat
.Lfunc_end196:
	.size	_ZN4vllm25paged_attention_v2_kernelIfhLi120ELi8ELi128ELNS_18Fp8KVCacheDataTypeE1ELb1ELi512EEEvPfS2_PT_PKS3_PKT0_S9_ifPKiSB_iPKfiiiSD_SD_iiiii, .Lfunc_end196-_ZN4vllm25paged_attention_v2_kernelIfhLi120ELi8ELi128ELNS_18Fp8KVCacheDataTypeE1ELb1ELi512EEEvPfS2_PT_PKS3_PKT0_S9_ifPKiSB_iPKfiiiSD_SD_iiiii
                                        ; -- End function
	.section	.AMDGPU.csdata,"",@progbits
; Kernel info:
; codeLenInByte = 5440
; NumSgprs: 62
; NumVgprs: 59
; NumAgprs: 0
; TotalNumVgprs: 59
; ScratchSize: 0
; MemoryBound: 0
; FloatMode: 240
; IeeeMode: 1
; LDSByteSize: 496 bytes/workgroup (compile time only)
; SGPRBlocks: 7
; VGPRBlocks: 7
; NumSGPRsForWavesPerEU: 62
; NumVGPRsForWavesPerEU: 59
; AccumOffset: 60
; Occupancy: 8
; WaveLimiterHint : 1
; COMPUTE_PGM_RSRC2:SCRATCH_EN: 0
; COMPUTE_PGM_RSRC2:USER_SGPR: 2
; COMPUTE_PGM_RSRC2:TRAP_HANDLER: 0
; COMPUTE_PGM_RSRC2:TGID_X_EN: 1
; COMPUTE_PGM_RSRC2:TGID_Y_EN: 1
; COMPUTE_PGM_RSRC2:TGID_Z_EN: 1
; COMPUTE_PGM_RSRC2:TIDIG_COMP_CNT: 0
; COMPUTE_PGM_RSRC3_GFX90A:ACCUM_OFFSET: 14
; COMPUTE_PGM_RSRC3_GFX90A:TG_SPLIT: 0
	.section	.text._ZN4vllm25paged_attention_v2_kernelIfhLi128ELi8ELi128ELNS_18Fp8KVCacheDataTypeE1ELb1ELi512EEEvPfS2_PT_PKS3_PKT0_S9_ifPKiSB_iPKfiiiSD_SD_iiiii,"axG",@progbits,_ZN4vllm25paged_attention_v2_kernelIfhLi128ELi8ELi128ELNS_18Fp8KVCacheDataTypeE1ELb1ELi512EEEvPfS2_PT_PKS3_PKT0_S9_ifPKiSB_iPKfiiiSD_SD_iiiii,comdat
	.protected	_ZN4vllm25paged_attention_v2_kernelIfhLi128ELi8ELi128ELNS_18Fp8KVCacheDataTypeE1ELb1ELi512EEEvPfS2_PT_PKS3_PKT0_S9_ifPKiSB_iPKfiiiSD_SD_iiiii ; -- Begin function _ZN4vllm25paged_attention_v2_kernelIfhLi128ELi8ELi128ELNS_18Fp8KVCacheDataTypeE1ELb1ELi512EEEvPfS2_PT_PKS3_PKT0_S9_ifPKiSB_iPKfiiiSD_SD_iiiii
	.globl	_ZN4vllm25paged_attention_v2_kernelIfhLi128ELi8ELi128ELNS_18Fp8KVCacheDataTypeE1ELb1ELi512EEEvPfS2_PT_PKS3_PKT0_S9_ifPKiSB_iPKfiiiSD_SD_iiiii
	.p2align	8
	.type	_ZN4vllm25paged_attention_v2_kernelIfhLi128ELi8ELi128ELNS_18Fp8KVCacheDataTypeE1ELb1ELi512EEEvPfS2_PT_PKS3_PKT0_S9_ifPKiSB_iPKfiiiSD_SD_iiiii,@function
_ZN4vllm25paged_attention_v2_kernelIfhLi128ELi8ELi128ELNS_18Fp8KVCacheDataTypeE1ELb1ELi512EEEvPfS2_PT_PKS3_PKT0_S9_ifPKiSB_iPKfiiiSD_SD_iiiii: ; @_ZN4vllm25paged_attention_v2_kernelIfhLi128ELi8ELi128ELNS_18Fp8KVCacheDataTypeE1ELb1ELi512EEEvPfS2_PT_PKS3_PKT0_S9_ifPKiSB_iPKfiiiSD_SD_iiiii
; %bb.0:
	s_load_dwordx2 s[6:7], s[0:1], 0x40
	s_mov_b32 s34, s3
	s_ashr_i32 s35, s3, 31
	s_lshl_b64 s[8:9], s[34:35], 2
	s_waitcnt lgkmcnt(0)
	s_add_u32 s6, s6, s8
	s_addc_u32 s7, s7, s9
	s_load_dword s33, s[6:7], 0x0
	s_lshl_b32 s50, s4, 9
	s_waitcnt lgkmcnt(0)
	s_cmp_ge_i32 s50, s33
	s_cbranch_scc1 .LBB197_72
; %bb.1:
	s_load_dword s5, s[0:1], 0x90
	s_load_dwordx2 s[42:43], s[0:1], 0x30
	s_mov_b32 s51, 0
	s_waitcnt lgkmcnt(0)
	s_abs_i32 s7, s5
	s_abs_i32 s3, s42
	v_cvt_f32_u32_e32 v1, s3
	s_sub_i32 s8, 0, s3
	s_xor_b32 s6, s5, s42
	s_ashr_i32 s6, s6, 31
	v_rcp_iflag_f32_e32 v1, v1
	s_nop 0
	v_mul_f32_e32 v1, 0x4f7ffffe, v1
	v_cvt_u32_f32_e32 v1, v1
	s_nop 0
	v_readfirstlane_b32 s9, v1
	s_mul_i32 s8, s8, s9
	s_mul_hi_u32 s8, s9, s8
	s_add_i32 s9, s9, s8
	s_mul_hi_u32 s8, s7, s9
	s_mul_i32 s9, s8, s3
	s_sub_i32 s7, s7, s9
	s_add_i32 s10, s8, 1
	s_sub_i32 s9, s7, s3
	s_cmp_ge_u32 s7, s3
	s_cselect_b32 s8, s10, s8
	s_cselect_b32 s7, s9, s7
	s_add_i32 s9, s8, 1
	s_cmp_ge_u32 s7, s3
	s_cselect_b32 s3, s9, s8
	s_xor_b32 s3, s3, s6
	s_sub_i32 s11, s3, s6
	s_abs_i32 s8, s11
	v_cvt_f32_u32_e32 v1, s8
	s_load_dwordx2 s[6:7], s[0:1], 0x50
	s_sub_i32 s3, 0, s8
	s_abs_i32 s9, s2
	v_rcp_iflag_f32_e32 v1, v1
	s_nop 0
	v_mul_f32_e32 v1, 0x4f7ffffe, v1
	v_cvt_u32_f32_e32 v1, v1
	s_nop 0
	v_readfirstlane_b32 s10, v1
	s_mul_i32 s3, s3, s10
	s_mul_hi_u32 s3, s10, s3
	s_add_i32 s10, s10, s3
	s_waitcnt lgkmcnt(0)
	s_cmp_eq_u64 s[6:7], 0
	s_mul_hi_u32 s10, s9, s10
	s_cbranch_scc1 .LBB197_3
; %bb.2:
	s_ashr_i32 s3, s2, 31
	s_lshl_b64 s[12:13], s[2:3], 2
	s_add_u32 s6, s6, s12
	s_addc_u32 s7, s7, s13
	s_load_dword s51, s[6:7], 0x0
.LBB197_3:
	s_load_dwordx4 s[16:19], s[0:1], 0x58
	s_movk_i32 s6, 0x80
	s_ashr_i32 s3, s2, 31
	s_ashr_i32 s11, s11, 31
	v_and_b32_e32 v2, 7, v0
	s_lshl_b32 s28, s2, 7
	v_cmp_gt_u32_e32 vcc, s6, v0
	v_lshlrev_b32_e32 v8, 2, v0
	v_lshrrev_b32_e32 v1, 1, v0
	s_and_saveexec_b64 s[6:7], vcc
	s_cbranch_execz .LBB197_5
; %bb.4:
	s_load_dwordx2 s[12:13], s[0:1], 0x18
	s_waitcnt lgkmcnt(0)
	s_mul_i32 s14, s34, s16
	s_ashr_i32 s15, s14, 31
	s_lshl_b64 s[14:15], s[14:15], 2
	v_and_b32_e32 v4, 0x1fc, v1
	s_add_u32 s14, s12, s14
	s_addc_u32 s15, s13, s15
	s_ashr_i32 s29, s28, 31
	s_lshl_b64 s[12:13], s[28:29], 2
	s_add_u32 s12, s14, s12
	s_addc_u32 s13, s15, s13
	global_load_dword v3, v8, s[12:13]
	v_lshl_add_u32 v4, v2, 6, v4
	s_waitcnt vmcnt(0)
	ds_write_b32 v4, v3
.LBB197_5:
	s_or_b64 exec, exec, s[6:7]
	s_mul_i32 s6, s10, s8
	s_sub_i32 s6, s9, s6
	s_xor_b32 s3, s3, s11
	s_add_i32 s7, s10, 1
	s_sub_i32 s9, s6, s8
	s_load_dwordx4 s[20:23], s[0:1], 0x78
	s_cmp_ge_u32 s6, s8
	s_cselect_b32 s7, s7, s10
	s_cselect_b32 s6, s9, s6
	s_add_i32 s9, s7, 1
	s_cmp_ge_u32 s6, s8
	s_cselect_b32 s6, s9, s7
	s_load_dword s9, s[0:1], 0x88
	s_waitcnt lgkmcnt(0)
	s_abs_i32 s29, s23
	v_cvt_f32_u32_e32 v3, s29
	s_xor_b32 s6, s6, s3
	s_sub_i32 s49, s6, s3
	s_sub_i32 s6, 0, s29
	v_rcp_iflag_f32_e32 v3, v3
	s_add_i32 s10, s33, -1
	s_abs_i32 s3, s10
	v_mul_f32_e32 v3, 0x4f7ffffe, v3
	v_cvt_u32_f32_e32 v3, v3
	s_barrier
	v_readfirstlane_b32 s35, v3
	s_mul_i32 s6, s6, s35
	s_mul_hi_u32 s6, s35, s6
	s_add_i32 s35, s35, s6
	s_cmp_lt_i32 s9, 0
	s_mul_hi_u32 s8, s3, s35
	s_cbranch_scc0 .LBB197_7
; %bb.6:
	s_mul_i32 s6, s20, s42
	s_add_i32 s6, s49, s6
	s_mul_i32 s6, s6, s9
	s_sub_i32 s42, 1, s6
	s_mov_b64 s[6:7], 0
	s_branch .LBB197_8
.LBB197_7:
	s_mov_b64 s[6:7], -1
                                        ; implicit-def: $sgpr42
.LBB197_8:
	s_load_dwordx2 s[36:37], s[0:1], 0x38
	s_ashr_i32 s10, s10, 31
	s_andn2_b64 vcc, exec, s[6:7]
	s_ashr_i32 s23, s23, 31
	s_cbranch_vccnz .LBB197_10
; %bb.9:
	s_mul_i32 s6, s5, s20
	s_add_i32 s6, s6, s2
	s_mul_i32 s6, s6, s9
	s_add_i32 s42, s6, 1
.LBB197_10:
	s_load_dwordx2 s[40:41], s[0:1], 0x28
	s_load_dword s6, s[0:1], 0x48
	s_load_dwordx4 s[24:27], s[0:1], 0x0
	s_load_dwordx2 s[30:31], s[0:1], 0x10
	s_load_dword s20, s[0:1], 0x98
	s_load_dwordx4 s[12:15], s[0:1], 0x68
	s_mul_i32 s7, s8, s29
	s_waitcnt lgkmcnt(0)
	s_mul_i32 s38, s34, s6
	s_sub_i32 s3, s3, s7
	s_ashr_i32 s39, s38, 31
	s_xor_b32 s6, s10, s23
	s_add_i32 s7, s8, 1
	s_sub_i32 s9, s3, s29
	s_cmp_ge_u32 s3, s29
	s_cselect_b32 s7, s7, s8
	s_cselect_b32 s3, s9, s3
	s_add_i32 s8, s7, 1
	s_cmp_ge_u32 s3, s29
	s_cselect_b32 s3, s8, s7
	s_xor_b32 s3, s3, s6
	s_sub_i32 s16, s3, s6
	s_add_i32 s3, s33, 7
	s_ashr_i32 s6, s3, 31
	s_lshr_b32 s6, s6, 29
	s_add_i32 s3, s3, s6
	s_lshl_b32 s52, s4, 6
	s_ashr_i32 s3, s3, 3
	s_add_i32 s6, s52, 64
	v_lshrrev_b32_e32 v9, 6, v0
	s_min_i32 s48, s6, s3
	v_or_b32_e32 v10, s52, v9
	v_cmp_gt_i32_e64 s[8:9], s48, v10
	v_mov_b32_e32 v15, 0xff7fffff
	s_mul_i32 s49, s49, s18
	v_ashrrev_i32_e32 v11, 31, v10
	v_lshl_add_u32 v32, v9, 3, s50
	v_mbcnt_lo_u32_b32 v12, -1, 0
	s_and_saveexec_b64 s[18:19], s[8:9]
	s_cbranch_execz .LBB197_20
; %bb.11:
	s_load_dwordx2 s[0:1], s[0:1], 0x20
	s_sub_i32 s53, s16, s21
	s_ashr_i32 s6, s49, 31
	v_bfe_u32 v13, v0, 3, 3
	v_mov_b32_e32 v5, 0
	s_waitcnt lgkmcnt(0)
	s_add_u32 s0, s0, s49
	s_addc_u32 s1, s1, s6
	s_abs_i32 s54, s22
	v_cvt_f32_u32_e32 v3, s54
	v_lshlrev_b32_e32 v4, 4, v13
	v_lshlrev_b32_e32 v15, 2, v13
	v_lshl_or_b32 v15, v9, 5, v15
	v_rcp_iflag_f32_e32 v3, v3
	v_add_u32_e32 v18, 0x210, v15
	v_subrev_u32_e32 v15, s33, v13
	v_mbcnt_hi_u32_b32 v21, -1, v12
	v_mul_f32_e32 v3, 0x4f7ffffe, v3
	v_cvt_u32_f32_e32 v6, v3
	v_mov_b32_e32 v3, v5
	v_lshl_add_u64 v[4:5], s[0:1], 0, v[4:5]
	s_sub_i32 s0, 0, s54
	v_mul_lo_u32 v7, s0, v6
	s_lshl_b64 s[0:1], s[38:39], 2
	s_add_u32 s0, s36, s0
	v_mul_hi_u32 v7, v6, v7
	s_addc_u32 s1, s37, s1
	v_add_u32_e32 v19, 1, v15
	v_and_b32_e32 v15, 64, v21
	v_cmp_eq_u32_e32 vcc, 0, v2
	s_mov_b32 s55, s17
	v_lshlrev_b32_e32 v14, 6, v2
	v_cmp_neq_f32_e64 s[6:7], s51, 0
	v_add_u32_e32 v16, v6, v7
	v_lshl_add_u64 v[6:7], v[10:11], 2, s[0:1]
	v_lshl_add_u32 v17, v9, 3, s50
	s_mov_b64 s[44:45], 0
	v_mov_b32_e32 v20, 0xff7fffff
	v_add_u32_e32 v22, 64, v15
	v_xor_b32_e32 v23, 4, v21
	v_xor_b32_e32 v24, 2, v21
	;; [unrolled: 1-line block ×3, first 2 shown]
	v_mov_b32_e32 v15, 0xff7fffff
	v_mov_b32_e32 v26, v10
	s_branch .LBB197_14
.LBB197_12:                             ;   in Loop: Header=BB197_14 Depth=1
	s_or_b64 exec, exec, s[46:47]
.LBB197_13:                             ;   in Loop: Header=BB197_14 Depth=1
	s_or_b64 exec, exec, s[10:11]
	v_add_u32_e32 v26, 2, v26
	v_cmp_le_i32_e64 s[0:1], s48, v26
	v_lshl_add_u64 v[6:7], v[6:7], 0, 8
	v_add_u32_e32 v17, 16, v17
	s_or_b64 s[44:45], s[0:1], s[44:45]
	v_add_u32_e32 v18, 64, v18
	s_andn2_b64 exec, exec, s[44:45]
	s_cbranch_execz .LBB197_19
.LBB197_14:                             ; =>This Inner Loop Header: Depth=1
	s_waitcnt lgkmcnt(0)
	v_sub_u32_e32 v28, 0, v17
	v_max_i32_e32 v28, v17, v28
	v_mul_hi_u32 v29, v28, s35
	v_mul_lo_u32 v30, v29, s29
	v_sub_u32_e32 v28, v28, v30
	v_add_u32_e32 v30, 1, v29
	v_cmp_le_u32_e64 s[0:1], s29, v28
	v_ashrrev_i32_e32 v27, 31, v17
	v_xor_b32_e32 v27, s23, v27
	v_cndmask_b32_e64 v29, v29, v30, s[0:1]
	v_subrev_u32_e32 v30, s29, v28
	v_cndmask_b32_e64 v28, v28, v30, s[0:1]
	v_add_u32_e32 v30, 1, v29
	v_cmp_le_u32_e64 s[0:1], s29, v28
	s_nop 1
	v_cndmask_b32_e64 v28, v29, v30, s[0:1]
	v_xor_b32_e32 v28, v28, v27
	v_sub_u32_e32 v27, v28, v27
	v_add_u32_e32 v28, s42, v27
	v_sub_u32_e32 v30, 0, v28
	v_ashrrev_i32_e32 v29, 31, v28
	v_max_i32_e32 v28, v28, v30
	v_mul_hi_u32 v30, v28, v16
	v_mul_lo_u32 v30, v30, s54
	v_sub_u32_e32 v28, v28, v30
	v_subrev_u32_e32 v30, s54, v28
	v_cmp_le_u32_e64 s[0:1], s54, v28
	v_cmp_ge_i32_e64 s[10:11], s53, v27
	s_nop 0
	v_cndmask_b32_e64 v28, v28, v30, s[0:1]
	v_subrev_u32_e32 v30, s54, v28
	v_cmp_le_u32_e64 s[0:1], s54, v28
	s_nop 1
	v_cndmask_b32_e64 v28, v28, v30, s[0:1]
	v_xor_b32_e32 v28, v28, v29
	v_sub_u32_e32 v28, v28, v29
	v_cmp_ne_u32_e64 s[0:1], 0, v28
	s_and_b64 s[0:1], s[0:1], s[10:11]
	s_and_b64 s[46:47], vcc, s[0:1]
	s_and_saveexec_b64 s[10:11], s[46:47]
	s_cbranch_execz .LBB197_16
; %bb.15:                               ;   in Loop: Header=BB197_14 Depth=1
	ds_write_b32 v18, v20
.LBB197_16:                             ;   in Loop: Header=BB197_14 Depth=1
	s_or_b64 exec, exec, s[10:11]
	s_xor_b64 s[0:1], s[0:1], -1
	s_and_saveexec_b64 s[10:11], s[0:1]
	s_cbranch_execz .LBB197_13
; %bb.17:                               ;   in Loop: Header=BB197_14 Depth=1
	global_load_dword v27, v[6:7], off
	s_waitcnt vmcnt(0)
	v_mad_i64_i32 v[28:29], s[0:1], v27, s55, v[4:5]
	v_lshl_add_u64 v[28:29], v[28:29], 0, v[2:3]
	global_load_ubyte v27, v[28:29], off
	global_load_ubyte v33, v[28:29], off offset:8
	global_load_ubyte v46, v[28:29], off offset:128
	;; [unrolled: 1-line block ×15, first 2 shown]
	v_cmp_lt_i32_e64 s[0:1], v23, v22
	ds_read_b128 v[28:31], v14
	ds_read_b128 v[34:37], v14 offset:16
	ds_read_b128 v[38:41], v14 offset:32
	ds_read_b128 v[42:45], v14 offset:48
	v_cndmask_b32_e64 v60, v21, v23, s[0:1]
	s_load_dword s0, s[12:13], 0x0
	v_lshlrev_b32_e32 v60, 2, v60
	s_waitcnt vmcnt(15)
	v_cvt_f32_fp8_sdwa v27, v27 src0_sel:BYTE_0
	s_waitcnt vmcnt(14)
	v_cvt_f32_fp8_sdwa v33, v33 src0_sel:BYTE_0
	;; [unrolled: 2-line block ×5, first 2 shown]
	s_waitcnt lgkmcnt(0)
	v_mul_f32_e32 v33, s0, v33
	s_waitcnt vmcnt(10)
	v_cvt_f32_fp8_sdwa v49, v49 src0_sel:BYTE_0
	v_mul_f32_e32 v27, s0, v27
	v_mul_f32_e32 v29, v29, v33
	s_waitcnt vmcnt(9)
	v_cvt_f32_fp8_sdwa v50, v50 src0_sel:BYTE_0
	v_mul_f32_e32 v46, s0, v46
	v_fmac_f32_e32 v29, v28, v27
	s_waitcnt vmcnt(8)
	v_cvt_f32_fp8_sdwa v51, v51 src0_sel:BYTE_0
	v_mul_f32_e32 v47, s0, v47
	v_fmac_f32_e32 v29, v30, v46
	;; [unrolled: 4-line block ×10, first 2 shown]
	v_mul_f32_e32 v56, s0, v56
	v_fmac_f32_e32 v29, v41, v55
	v_mul_f32_e32 v57, s0, v57
	v_fmac_f32_e32 v29, v42, v56
	;; [unrolled: 2-line block ×4, first 2 shown]
	v_fmac_f32_e32 v29, v45, v59
	ds_bpermute_b32 v27, v60, v29
	v_cmp_lt_i32_e64 s[0:1], v24, v22
	s_waitcnt lgkmcnt(0)
	v_add_f32_e32 v27, v29, v27
	v_cndmask_b32_e64 v28, v21, v24, s[0:1]
	v_lshlrev_b32_e32 v28, 2, v28
	ds_bpermute_b32 v28, v28, v27
	v_cmp_lt_i32_e64 s[0:1], v25, v22
	s_waitcnt lgkmcnt(0)
	v_add_f32_e32 v27, v27, v28
	v_cndmask_b32_e64 v29, v21, v25, s[0:1]
	v_lshlrev_b32_e32 v29, 2, v29
	ds_bpermute_b32 v28, v29, v27
	s_and_saveexec_b64 s[46:47], vcc
	s_cbranch_execz .LBB197_12
; %bb.18:                               ;   in Loop: Header=BB197_14 Depth=1
	v_add_u32_e32 v29, v19, v17
	v_cvt_f32_i32_e32 v29, v29
	s_waitcnt lgkmcnt(0)
	v_add_f32_e32 v27, v27, v28
	v_add_u32_e32 v30, v13, v17
	v_cmp_gt_i32_e64 s[0:1], s33, v30
	v_mul_f32_e32 v28, s51, v29
	v_cndmask_b32_e64 v28, 0, v28, s[6:7]
	v_fmac_f32_e32 v28, s43, v27
	v_cndmask_b32_e64 v27, 0, v28, s[0:1]
	ds_write_b32 v18, v27
	v_max_f32_e32 v27, v15, v15
	v_max_f32_e32 v27, v27, v28
	v_cndmask_b32_e64 v15, v15, v27, s[0:1]
	s_branch .LBB197_12
.LBB197_19:
	s_or_b64 exec, exec, s[44:45]
.LBB197_20:
	s_or_b64 exec, exec, s[18:19]
	v_mbcnt_hi_u32_b32 v2, -1, v12
	v_and_b32_e32 v3, 64, v2
	v_add_u32_e32 v3, 64, v3
	v_xor_b32_e32 v4, 32, v2
	v_cmp_lt_i32_e32 vcc, v4, v3
	v_xor_b32_e32 v7, 16, v2
	v_max_f32_e32 v5, v15, v15
	v_cndmask_b32_e32 v4, v2, v4, vcc
	v_lshlrev_b32_e32 v6, 2, v4
	ds_bpermute_b32 v4, v6, v15
	v_cmp_lt_i32_e32 vcc, v7, v3
	v_and_b32_e32 v33, 63, v0
	s_waitcnt lgkmcnt(0)
	v_max_f32_e32 v4, v4, v4
	v_max_f32_e32 v4, v5, v4
	v_cndmask_b32_e32 v5, v2, v7, vcc
	v_lshlrev_b32_e32 v12, 2, v5
	ds_bpermute_b32 v5, v12, v4
	v_xor_b32_e32 v7, 8, v2
	v_cmp_lt_i32_e32 vcc, v7, v3
	s_waitcnt lgkmcnt(0)
	v_max_f32_e32 v5, v5, v5
	v_max_f32_e32 v4, v4, v5
	v_cndmask_b32_e32 v5, v2, v7, vcc
	v_lshlrev_b32_e32 v13, 2, v5
	ds_bpermute_b32 v7, v13, v4
	v_cmp_eq_u32_e32 vcc, 0, v33
	v_lshlrev_b32_e32 v5, 2, v9
	s_and_saveexec_b64 s[0:1], vcc
	s_cbranch_execz .LBB197_22
; %bb.21:
	s_waitcnt lgkmcnt(0)
	v_max_f32_e32 v7, v7, v7
	v_max_f32_e32 v4, v4, v4
	;; [unrolled: 1-line block ×3, first 2 shown]
	ds_write_b32 v5, v4 offset:512
.LBB197_22:
	s_or_b64 exec, exec, s[0:1]
	v_cmp_gt_u32_e64 s[0:1], 2, v33
	v_mov_b32_e32 v4, 0xff7fffff
	s_waitcnt lgkmcnt(0)
	v_lshlrev_b32_e32 v7, 2, v33
	s_barrier
	s_and_saveexec_b64 s[6:7], s[0:1]
	s_cbranch_execz .LBB197_24
; %bb.23:
	ds_read_b32 v4, v7 offset:512
.LBB197_24:
	s_or_b64 exec, exec, s[6:7]
	v_xor_b32_e32 v14, 1, v2
	v_cmp_lt_i32_e64 s[6:7], v14, v3
	v_mov_b32_e32 v15, 0
	s_nop 0
	v_cndmask_b32_e64 v14, v2, v14, s[6:7]
	v_lshlrev_b32_e32 v34, 2, v14
	s_waitcnt lgkmcnt(0)
	ds_bpermute_b32 v14, v34, v4
	v_max_f32_e32 v4, v4, v4
	s_sub_i32 s6, s48, s52
	s_lshl_b32 s6, s6, 3
	s_add_i32 s6, s6, s50
	s_waitcnt lgkmcnt(0)
	v_max_f32_e32 v14, v14, v14
	v_max_f32_e32 v4, v4, v14
	v_lshlrev_b32_e32 v14, 2, v2
	v_and_b32_e32 v14, 0x100, v14
	ds_bpermute_b32 v4, v14, v4
	s_min_i32 s44, s6, s33
	s_sub_i32 s43, s44, s50
	v_cmp_gt_i32_e64 s[6:7], s43, v0
	s_and_saveexec_b64 s[12:13], s[6:7]
	s_cbranch_execz .LBB197_28
; %bb.25:
	v_mov_b32_e32 v15, 0x210
	v_lshl_add_u32 v16, v0, 2, v15
	s_mov_b64 s[18:19], 0
	v_mov_b32_e32 v15, 0
	v_mov_b32_e32 v17, v0
.LBB197_26:                             ; =>This Inner Loop Header: Depth=1
	ds_read_b32 v18, v16
	v_add_u32_e32 v17, 0x80, v17
	v_cmp_le_i32_e64 s[10:11], s43, v17
	s_or_b64 s[18:19], s[10:11], s[18:19]
	s_waitcnt lgkmcnt(0)
	v_sub_f32_e32 v18, v18, v4
	v_mul_f32_e32 v18, 0x3fb8aa3b, v18
	v_exp_f32_e32 v18, v18
	ds_write_b32 v16, v18
	v_add_f32_e32 v15, v15, v18
	v_add_u32_e32 v16, 0x200, v16
	s_andn2_b64 exec, exec, s[18:19]
	s_cbranch_execnz .LBB197_26
; %bb.27:
	s_or_b64 exec, exec, s[18:19]
.LBB197_28:
	s_or_b64 exec, exec, s[12:13]
	ds_bpermute_b32 v6, v6, v15
	s_waitcnt lgkmcnt(0)
	v_add_f32_e32 v6, v15, v6
	ds_bpermute_b32 v12, v12, v6
	s_waitcnt lgkmcnt(0)
	v_add_f32_e32 v6, v6, v12
	ds_bpermute_b32 v12, v13, v6
	v_xor_b32_e32 v13, 4, v2
	v_cmp_lt_i32_e64 s[10:11], v13, v3
	s_waitcnt lgkmcnt(0)
	v_add_f32_e32 v6, v6, v12
	v_cndmask_b32_e64 v13, v2, v13, s[10:11]
	v_lshlrev_b32_e32 v13, 2, v13
	ds_bpermute_b32 v12, v13, v6
	v_xor_b32_e32 v13, 2, v2
	v_cmp_lt_i32_e64 s[10:11], v13, v3
	s_waitcnt lgkmcnt(0)
	v_add_f32_e32 v3, v6, v12
	v_cndmask_b32_e64 v2, v2, v13, s[10:11]
	v_lshlrev_b32_e32 v2, 2, v2
	ds_bpermute_b32 v2, v2, v3
	s_waitcnt lgkmcnt(0)
	v_add_f32_e32 v2, v3, v2
	ds_bpermute_b32 v3, v34, v2
	s_waitcnt lgkmcnt(0)
	v_add_f32_e32 v2, v2, v3
	s_and_saveexec_b64 s[10:11], vcc
	s_cbranch_execz .LBB197_30
; %bb.29:
	ds_write_b32 v5, v2 offset:520
.LBB197_30:
	s_or_b64 exec, exec, s[10:11]
	s_waitcnt lgkmcnt(0)
	s_barrier
	s_and_saveexec_b64 s[10:11], s[0:1]
	s_cbranch_execz .LBB197_32
; %bb.31:
	ds_read_b32 v2, v7 offset:520
.LBB197_32:
	s_or_b64 exec, exec, s[10:11]
	s_waitcnt lgkmcnt(0)
	ds_bpermute_b32 v3, v34, v2
	s_waitcnt lgkmcnt(0)
	v_add_f32_e32 v2, v2, v3
	ds_bpermute_b32 v5, v14, v2
	s_and_saveexec_b64 s[0:1], s[6:7]
	s_cbranch_execz .LBB197_45
; %bb.33:
	s_waitcnt lgkmcnt(0)
	v_add_f32_e32 v2, 0x358637bd, v5
	v_div_scale_f32 v3, s[6:7], v2, v2, 1.0
	v_rcp_f32_e32 v6, v3
	v_div_scale_f32 v7, vcc, 1.0, v2, 1.0
	s_movk_i32 s6, 0x7f
	v_fma_f32 v12, -v3, v6, 1.0
	v_fmac_f32_e32 v6, v12, v6
	v_mul_f32_e32 v12, v7, v6
	v_fma_f32 v13, -v3, v12, v7
	v_fmac_f32_e32 v12, v13, v6
	v_fma_f32 v3, -v3, v12, v7
	v_div_fmas_f32 v3, v3, v6, v12
	v_div_fixup_f32 v2, v3, v2, 1.0
	v_xad_u32 v3, v0, -1, s44
	v_subrev_u32_e32 v6, s50, v3
	v_cmp_lt_u32_e32 vcc, s6, v6
	s_mov_b64 s[10:11], -1
	v_mov_b32_e32 v3, v0
	s_and_saveexec_b64 s[6:7], vcc
	s_cbranch_execz .LBB197_42
; %bb.34:
	v_lshrrev_b32_e32 v6, 7, v6
	v_add_u32_e32 v12, -1, v6
	v_lshrrev_b32_e32 v7, 1, v12
	v_mov_b32_e32 v3, v2
	v_add_u32_e32 v7, 1, v7
	v_cmp_lt_u32_e32 vcc, 13, v12
	v_mov_b32_e32 v14, 0
	s_and_saveexec_b64 s[10:11], vcc
	s_cbranch_execz .LBB197_38
; %bb.35:
	v_mov_b32_e32 v13, 0x210
	v_and_b32_e32 v12, -8, v7
	v_lshl_add_u32 v13, v0, 2, v13
	s_mov_b32 s18, 0
	s_mov_b64 s[12:13], 0
.LBB197_36:                             ; =>This Inner Loop Header: Depth=1
	ds_read2st64_b32 v[14:15], v13 offset1:2
	ds_read2st64_b32 v[16:17], v13 offset0:4 offset1:6
	ds_read2st64_b32 v[18:19], v13 offset0:8 offset1:10
	;; [unrolled: 1-line block ×3, first 2 shown]
	v_add_u32_e32 v12, -8, v12
	s_waitcnt lgkmcnt(3)
	v_pk_mul_f32 v[14:15], v[2:3], v[14:15]
	s_waitcnt lgkmcnt(2)
	v_pk_mul_f32 v[16:17], v[2:3], v[16:17]
	ds_write2st64_b32 v13, v14, v15 offset1:2
	ds_write2st64_b32 v13, v16, v17 offset0:4 offset1:6
	ds_read2st64_b32 v[16:17], v13 offset0:16 offset1:18
	s_waitcnt lgkmcnt(4)
	v_pk_mul_f32 v[14:15], v[2:3], v[18:19]
	ds_write2st64_b32 v13, v14, v15 offset0:8 offset1:10
	s_waitcnt lgkmcnt(4)
	v_pk_mul_f32 v[14:15], v[2:3], v[20:21]
	ds_write2st64_b32 v13, v14, v15 offset0:12 offset1:14
	ds_read2st64_b32 v[14:15], v13 offset0:20 offset1:22
	s_waitcnt lgkmcnt(3)
	v_pk_mul_f32 v[16:17], v[2:3], v[16:17]
	ds_read2st64_b32 v[18:19], v13 offset0:24 offset1:26
	ds_write2st64_b32 v13, v16, v17 offset0:16 offset1:18
	ds_read2st64_b32 v[16:17], v13 offset0:28 offset1:30
	s_waitcnt lgkmcnt(3)
	v_pk_mul_f32 v[14:15], v[2:3], v[14:15]
	ds_write2st64_b32 v13, v14, v15 offset0:20 offset1:22
	s_waitcnt lgkmcnt(3)
	v_pk_mul_f32 v[14:15], v[2:3], v[18:19]
	ds_write2st64_b32 v13, v14, v15 offset0:24 offset1:26
	s_waitcnt lgkmcnt(2)
	v_pk_mul_f32 v[14:15], v[2:3], v[16:17]
	s_add_i32 s18, s18, 16
	v_cmp_eq_u32_e32 vcc, 0, v12
	ds_write2st64_b32 v13, v14, v15 offset0:28 offset1:30
	v_add_u32_e32 v13, 0x2000, v13
	s_or_b64 s[12:13], vcc, s[12:13]
	v_mov_b32_e32 v14, s18
	s_andn2_b64 exec, exec, s[12:13]
	s_cbranch_execnz .LBB197_36
; %bb.37:
	s_or_b64 exec, exec, s[12:13]
.LBB197_38:
	s_or_b64 exec, exec, s[10:11]
	v_and_b32_e32 v7, 7, v7
	v_cmp_ne_u32_e32 vcc, 0, v7
	s_and_saveexec_b64 s[10:11], vcc
	s_cbranch_execz .LBB197_41
; %bb.39:
	v_lshlrev_b32_e32 v12, 9, v14
	s_movk_i32 s12, 0x210
	v_add3_u32 v12, v12, v8, s12
	s_mov_b64 s[12:13], 0
.LBB197_40:                             ; =>This Inner Loop Header: Depth=1
	ds_read2st64_b32 v[14:15], v12 offset1:2
	v_add_u32_e32 v7, -1, v7
	v_cmp_eq_u32_e32 vcc, 0, v7
	s_or_b64 s[12:13], vcc, s[12:13]
	s_waitcnt lgkmcnt(0)
	v_pk_mul_f32 v[14:15], v[2:3], v[14:15]
	ds_write2st64_b32 v12, v14, v15 offset1:2
	v_add_u32_e32 v12, 0x400, v12
	s_andn2_b64 exec, exec, s[12:13]
	s_cbranch_execnz .LBB197_40
.LBB197_41:
	s_or_b64 exec, exec, s[10:11]
	v_add_u32_e32 v6, 1, v6
	v_and_b32_e32 v7, 0x3fffffe, v6
	v_cmp_ne_u32_e32 vcc, v6, v7
	v_lshl_add_u32 v3, v7, 7, v0
	s_orn2_b64 s[10:11], vcc, exec
.LBB197_42:
	s_or_b64 exec, exec, s[6:7]
	s_and_b64 exec, exec, s[10:11]
	s_cbranch_execz .LBB197_45
; %bb.43:
	v_mov_b32_e32 v6, 0x210
	v_lshl_add_u32 v6, v3, 2, v6
	s_mov_b64 s[6:7], 0
.LBB197_44:                             ; =>This Inner Loop Header: Depth=1
	ds_read_b32 v7, v6
	v_add_u32_e32 v3, 0x80, v3
	v_cmp_le_i32_e32 vcc, s43, v3
	s_or_b64 s[6:7], vcc, s[6:7]
	s_waitcnt lgkmcnt(0)
	v_mul_f32_e32 v7, v2, v7
	ds_write_b32 v6, v7
	v_add_u32_e32 v6, 0x200, v6
	s_andn2_b64 exec, exec, s[6:7]
	s_cbranch_execnz .LBB197_44
.LBB197_45:
	s_or_b64 exec, exec, s[0:1]
	s_mul_i32 s0, s20, s34
	v_cmp_eq_u32_e32 vcc, 0, v0
	s_mul_i32 s6, s0, s5
	s_waitcnt lgkmcnt(0)
	s_barrier
	s_and_saveexec_b64 s[0:1], vcc
	s_cbranch_execz .LBB197_47
; %bb.46:
	s_ashr_i32 s7, s6, 31
	s_lshl_b64 s[10:11], s[6:7], 2
	s_add_u32 s5, s26, s10
	s_mul_i32 s12, s20, s2
	s_addc_u32 s7, s27, s11
	s_ashr_i32 s13, s12, 31
	s_lshl_b64 s[12:13], s[12:13], 2
	s_add_u32 s2, s5, s12
	s_addc_u32 s7, s7, s13
	s_ashr_i32 s5, s4, 31
	s_lshl_b64 s[18:19], s[4:5], 2
	s_add_u32 s26, s2, s18
	s_addc_u32 s27, s7, s19
	s_add_u32 s2, s24, s10
	s_addc_u32 s5, s25, s11
	;; [unrolled: 2-line block ×3, first 2 shown]
	s_add_u32 s10, s2, s18
	v_mov_b32_e32 v2, 0
	s_addc_u32 s11, s5, s19
	global_store_dword v2, v4, s[26:27]
	global_store_dword v2, v5, s[10:11]
.LBB197_47:
	s_or_b64 exec, exec, s[0:1]
	s_mov_b32 s0, 0
	v_mov_b32_e32 v5, 0
	v_and_b32_e32 v35, 1, v0
	v_mov_b32_e32 v4, 0
	v_mov_b32_e32 v3, 0
	;; [unrolled: 1-line block ×3, first 2 shown]
	s_and_saveexec_b64 s[10:11], s[8:9]
	s_cbranch_execz .LBB197_61
; %bb.48:
	s_sub_i32 s5, s16, s21
	s_ashr_i32 s1, s49, 31
	s_add_u32 s8, s40, s49
	s_addc_u32 s9, s41, s1
	s_abs_i32 s7, s22
	v_cvt_f32_u32_e32 v2, s7
	v_mov_b32_e32 v3, 0
	s_sub_i32 s1, 0, s7
	s_add_i32 s19, s3, -1
	v_rcp_iflag_f32_e32 v4, v2
	v_and_b32_e32 v2, 0xfc, v8
	v_lshl_add_u64 v[12:13], s[8:9], 0, v[2:3]
	s_lshl_b64 s[2:3], s[38:39], 2
	v_mul_f32_e32 v4, 0x4f7ffffe, v4
	v_cvt_u32_f32_e32 v4, v4
	s_add_u32 s2, s36, s2
	s_addc_u32 s3, s37, s3
	v_lshl_add_u64 v[14:15], v[10:11], 2, s[2:3]
	v_mul_lo_u32 v2, s1, v4
	v_mul_hi_u32 v2, v4, v2
	v_add_u32_e32 v37, v4, v2
	v_lshlrev_b32_e32 v2, 4, v35
	v_lshl_or_b32 v2, v9, 5, v2
	s_mov_b32 s2, s0
	s_mov_b32 s3, s0
	v_add_u32_e32 v11, 0x210, v2
	s_mov_b32 s1, s0
	v_mov_b64_e32 v[4:5], s[2:3]
	v_and_b32_e32 v36, 4, v8
	s_mov_b32 s18, s17
	s_mov_b64 s[8:9], 0
	v_mov_b64_e32 v[2:3], s[0:1]
	s_branch .LBB197_51
.LBB197_49:                             ;   in Loop: Header=BB197_51 Depth=1
	s_or_b64 exec, exec, s[0:1]
	v_mul_f32_e32 v19, v7, v19
	v_fmac_f32_e32 v19, v6, v18
	v_fmac_f32_e32 v19, v8, v16
	v_mul_f32_e32 v16, v7, v25
	v_fmac_f32_e32 v16, v6, v24
	v_fmac_f32_e32 v16, v8, v22
	;; [unrolled: 1-line block ×3, first 2 shown]
	v_add_f32_e32 v3, v3, v16
	v_mul_f32_e32 v16, v7, v29
	v_mul_f32_e32 v7, v7, v31
	v_fmac_f32_e32 v16, v6, v28
	v_fmac_f32_e32 v7, v6, v30
	;; [unrolled: 1-line block ×7, first 2 shown]
	v_add_f32_e32 v2, v2, v19
	v_add_f32_e32 v4, v4, v16
	;; [unrolled: 1-line block ×3, first 2 shown]
.LBB197_50:                             ;   in Loop: Header=BB197_51 Depth=1
	s_or_b64 exec, exec, s[2:3]
	v_add_u32_e32 v10, 2, v10
	v_cmp_le_i32_e32 vcc, s48, v10
	v_lshl_add_u64 v[14:15], v[14:15], 0, 8
	v_add_u32_e32 v32, 16, v32
	s_or_b64 s[8:9], vcc, s[8:9]
	v_add_u32_e32 v11, 64, v11
	s_andn2_b64 exec, exec, s[8:9]
	s_cbranch_execz .LBB197_60
.LBB197_51:                             ; =>This Inner Loop Header: Depth=1
	v_sub_u32_e32 v7, 0, v32
	v_max_i32_e32 v7, v32, v7
	v_mul_hi_u32 v8, v7, s35
	v_mul_lo_u32 v9, v8, s29
	v_sub_u32_e32 v7, v7, v9
	v_add_u32_e32 v9, 1, v8
	v_cmp_le_u32_e32 vcc, s29, v7
	v_ashrrev_i32_e32 v6, 31, v32
	v_xor_b32_e32 v6, s23, v6
	v_cndmask_b32_e32 v8, v8, v9, vcc
	v_subrev_u32_e32 v9, s29, v7
	v_cndmask_b32_e32 v7, v7, v9, vcc
	v_add_u32_e32 v9, 1, v8
	v_cmp_le_u32_e32 vcc, s29, v7
	s_nop 1
	v_cndmask_b32_e32 v7, v8, v9, vcc
	v_xor_b32_e32 v7, v7, v6
	v_sub_u32_e32 v6, v7, v6
	v_add_u32_e32 v7, s42, v6
	v_sub_u32_e32 v9, 0, v7
	v_ashrrev_i32_e32 v8, 31, v7
	v_max_i32_e32 v7, v7, v9
	v_mul_hi_u32 v9, v7, v37
	v_mul_lo_u32 v9, v9, s7
	v_sub_u32_e32 v7, v7, v9
	v_subrev_u32_e32 v9, s7, v7
	v_cmp_le_u32_e32 vcc, s7, v7
	v_cmp_lt_i32_e64 s[0:1], s5, v6
	s_nop 0
	v_cndmask_b32_e32 v7, v7, v9, vcc
	v_subrev_u32_e32 v9, s7, v7
	v_cmp_le_u32_e32 vcc, s7, v7
	s_nop 1
	v_cndmask_b32_e32 v7, v7, v9, vcc
	v_xor_b32_e32 v7, v7, v8
	v_sub_u32_e32 v7, v7, v8
	v_cmp_eq_u32_e32 vcc, 0, v7
	s_or_b64 s[0:1], vcc, s[0:1]
	s_and_saveexec_b64 s[2:3], s[0:1]
	s_cbranch_execz .LBB197_50
; %bb.52:                               ;   in Loop: Header=BB197_51 Depth=1
	global_load_dword v6, v[14:15], off
	s_load_dword s12, s[14:15], 0x0
	v_add_u32_e32 v38, v36, v32
	v_cmp_eq_u32_e32 vcc, s19, v10
	v_add_u32_e32 v40, 1, v38
	v_add_u32_e32 v39, 2, v38
	;; [unrolled: 1-line block ×3, first 2 shown]
	s_waitcnt vmcnt(0)
	v_mad_i64_i32 v[20:21], s[0:1], v6, s18, v[12:13]
	global_load_dword v16, v[20:21], off
	ds_read_b128 v[6:9], v11
	s_waitcnt vmcnt(0)
	v_and_b32_e32 v17, 0xffff, v16
	v_lshrrev_b32_e32 v18, 16, v16
	v_cvt_pk_f32_fp8_e32 v[16:17], v17
	v_cvt_pk_f32_fp8_e32 v[22:23], v18
	s_waitcnt lgkmcnt(0)
	v_pk_mul_f32 v[18:19], s[12:13], v[16:17] op_sel_hi:[0,1]
	v_pk_mul_f32 v[16:17], s[12:13], v[22:23] op_sel_hi:[0,1]
	s_and_saveexec_b64 s[16:17], vcc
; %bb.53:                               ;   in Loop: Header=BB197_51 Depth=1
	v_cmp_gt_i32_e64 s[0:1], s33, v38
	s_nop 1
	v_cndmask_b32_e64 v18, 0, v18, s[0:1]
	v_cmp_gt_i32_e64 s[0:1], s33, v40
	s_nop 1
	v_cndmask_b32_e64 v19, 0, v19, s[0:1]
	;; [unrolled: 3-line block ×4, first 2 shown]
; %bb.54:                               ;   in Loop: Header=BB197_51 Depth=1
	s_or_b64 exec, exec, s[16:17]
	global_load_dword v22, v[20:21], off offset:256
	s_mov_b32 s13, s12
	s_waitcnt vmcnt(0)
	v_and_b32_e32 v23, 0xffff, v22
	v_lshrrev_b32_e32 v24, 16, v22
	v_cvt_pk_f32_fp8_e32 v[22:23], v23
	v_cvt_pk_f32_fp8_e32 v[26:27], v24
	v_pk_mul_f32 v[24:25], s[12:13], v[22:23]
	v_pk_mul_f32 v[22:23], s[12:13], v[26:27]
	s_and_saveexec_b64 s[16:17], vcc
; %bb.55:                               ;   in Loop: Header=BB197_51 Depth=1
	v_cmp_gt_i32_e64 s[0:1], s33, v38
	s_nop 1
	v_cndmask_b32_e64 v24, 0, v24, s[0:1]
	v_cmp_gt_i32_e64 s[0:1], s33, v40
	s_nop 1
	v_cndmask_b32_e64 v25, 0, v25, s[0:1]
	;; [unrolled: 3-line block ×4, first 2 shown]
; %bb.56:                               ;   in Loop: Header=BB197_51 Depth=1
	s_or_b64 exec, exec, s[16:17]
	global_load_dword v26, v[20:21], off offset:512
	s_waitcnt vmcnt(0)
	v_and_b32_e32 v27, 0xffff, v26
	v_lshrrev_b32_e32 v28, 16, v26
	v_cvt_pk_f32_fp8_e32 v[26:27], v27
	v_cvt_pk_f32_fp8_e32 v[30:31], v28
	v_pk_mul_f32 v[28:29], s[12:13], v[26:27]
	v_pk_mul_f32 v[26:27], s[12:13], v[30:31]
	s_and_saveexec_b64 s[16:17], vcc
; %bb.57:                               ;   in Loop: Header=BB197_51 Depth=1
	v_cmp_gt_i32_e64 s[0:1], s33, v38
	s_nop 1
	v_cndmask_b32_e64 v28, 0, v28, s[0:1]
	v_cmp_gt_i32_e64 s[0:1], s33, v40
	s_nop 1
	v_cndmask_b32_e64 v29, 0, v29, s[0:1]
	;; [unrolled: 3-line block ×4, first 2 shown]
; %bb.58:                               ;   in Loop: Header=BB197_51 Depth=1
	s_or_b64 exec, exec, s[16:17]
	global_load_dword v20, v[20:21], off offset:768
	s_waitcnt vmcnt(0)
	v_and_b32_e32 v21, 0xffff, v20
	v_lshrrev_b32_e32 v30, 16, v20
	v_cvt_pk_f32_fp8_e32 v[20:21], v21
	v_cvt_pk_f32_fp8_e32 v[42:43], v30
	v_pk_mul_f32 v[30:31], s[12:13], v[20:21]
	v_pk_mul_f32 v[20:21], s[12:13], v[42:43]
	s_and_saveexec_b64 s[0:1], vcc
	s_cbranch_execz .LBB197_49
; %bb.59:                               ;   in Loop: Header=BB197_51 Depth=1
	v_cmp_gt_i32_e32 vcc, s33, v38
	s_nop 1
	v_cndmask_b32_e32 v30, 0, v30, vcc
	v_cmp_gt_i32_e32 vcc, s33, v40
	s_nop 1
	v_cndmask_b32_e32 v31, 0, v31, vcc
	;; [unrolled: 3-line block ×4, first 2 shown]
	s_branch .LBB197_49
.LBB197_60:
	s_or_b64 exec, exec, s[8:9]
.LBB197_61:
	s_or_b64 exec, exec, s[10:11]
	ds_bpermute_b32 v6, v34, v2
	ds_bpermute_b32 v7, v34, v3
	;; [unrolled: 1-line block ×4, first 2 shown]
	s_waitcnt lgkmcnt(0)
	s_barrier
	v_pk_add_f32 v[2:3], v[2:3], v[6:7]
	v_and_b32_e32 v6, 0x3c1, v0
	v_pk_add_f32 v[4:5], v[4:5], v[8:9]
	v_cmp_eq_u32_e32 vcc, 64, v6
	s_and_saveexec_b64 s[0:1], vcc
	s_cbranch_execz .LBB197_63
; %bb.62:
	v_mov_b32_e32 v7, 0x210
	v_lshl_add_u32 v7, v33, 1, v7
	ds_write2_b32 v7, v2, v3 offset1:32
	ds_write2_b32 v7, v4, v5 offset0:64 offset1:96
.LBB197_63:
	s_or_b64 exec, exec, s[0:1]
	v_cmp_gt_u32_e32 vcc, 64, v0
	s_waitcnt lgkmcnt(0)
	s_barrier
	s_and_saveexec_b64 s[0:1], vcc
	s_cbranch_execz .LBB197_70
; %bb.64:
	v_cmp_eq_u32_e32 vcc, 0, v35
	s_and_saveexec_b64 s[2:3], vcc
	s_cbranch_execnz .LBB197_73
; %bb.65:
	s_or_b64 exec, exec, s[2:3]
	s_and_saveexec_b64 s[2:3], vcc
	s_cbranch_execnz .LBB197_74
.LBB197_66:
	s_or_b64 exec, exec, s[2:3]
	s_and_saveexec_b64 s[2:3], vcc
	s_cbranch_execnz .LBB197_75
.LBB197_67:
	s_or_b64 exec, exec, s[2:3]
	s_and_saveexec_b64 s[2:3], vcc
	s_cbranch_execz .LBB197_69
.LBB197_68:
	v_mov_b32_e32 v7, 0x210
	v_lshl_add_u32 v1, v1, 2, v7
	ds_read_b32 v1, v1 offset:384
	s_waitcnt lgkmcnt(0)
	v_add_f32_e32 v5, v5, v1
.LBB197_69:
	s_or_b64 exec, exec, s[2:3]
.LBB197_70:
	s_or_b64 exec, exec, s[0:1]
	v_cmp_eq_u32_e32 vcc, 0, v6
	s_barrier
	s_and_saveexec_b64 s[0:1], vcc
	s_cbranch_execz .LBB197_72
; %bb.71:
	s_lshl_b32 s0, s6, 7
	s_ashr_i32 s1, s0, 31
	s_lshl_b64 s[0:1], s[0:1], 2
	s_add_u32 s2, s30, s0
	s_mul_i32 s0, s20, s28
	s_addc_u32 s3, s31, s1
	s_ashr_i32 s1, s0, 31
	s_lshl_b64 s[0:1], s[0:1], 2
	s_add_u32 s2, s2, s0
	s_addc_u32 s3, s3, s1
	s_lshl_b32 s0, s4, 7
	s_ashr_i32 s1, s0, 31
	s_lshl_b64 s[0:1], s[0:1], 2
	s_add_u32 s0, s2, s0
	s_addc_u32 s1, s3, s1
	v_lshlrev_b32_e32 v0, 1, v0
	global_store_dword v0, v2, s[0:1]
	global_store_dword v0, v3, s[0:1] offset:128
	global_store_dword v0, v4, s[0:1] offset:256
	;; [unrolled: 1-line block ×3, first 2 shown]
.LBB197_72:
	s_endpgm
.LBB197_73:
	v_mov_b32_e32 v7, 0x210
	v_lshl_add_u32 v7, v1, 2, v7
	ds_read_b32 v7, v7
	s_waitcnt lgkmcnt(0)
	v_add_f32_e32 v2, v2, v7
	s_or_b64 exec, exec, s[2:3]
	s_and_saveexec_b64 s[2:3], vcc
	s_cbranch_execz .LBB197_66
.LBB197_74:
	v_mov_b32_e32 v7, 0x210
	v_lshl_add_u32 v7, v1, 2, v7
	ds_read_b32 v7, v7 offset:128
	s_waitcnt lgkmcnt(0)
	v_add_f32_e32 v3, v3, v7
	s_or_b64 exec, exec, s[2:3]
	s_and_saveexec_b64 s[2:3], vcc
	s_cbranch_execz .LBB197_67
.LBB197_75:
	v_mov_b32_e32 v7, 0x210
	v_lshl_add_u32 v7, v1, 2, v7
	ds_read_b32 v7, v7 offset:256
	s_waitcnt lgkmcnt(0)
	v_add_f32_e32 v4, v4, v7
	s_or_b64 exec, exec, s[2:3]
	s_and_saveexec_b64 s[2:3], vcc
	s_cbranch_execnz .LBB197_68
	s_branch .LBB197_69
	.section	.rodata,"a",@progbits
	.p2align	6, 0x0
	.amdhsa_kernel _ZN4vllm25paged_attention_v2_kernelIfhLi128ELi8ELi128ELNS_18Fp8KVCacheDataTypeE1ELb1ELi512EEEvPfS2_PT_PKS3_PKT0_S9_ifPKiSB_iPKfiiiSD_SD_iiiii
		.amdhsa_group_segment_fixed_size 528
		.amdhsa_private_segment_fixed_size 0
		.amdhsa_kernarg_size 400
		.amdhsa_user_sgpr_count 2
		.amdhsa_user_sgpr_dispatch_ptr 0
		.amdhsa_user_sgpr_queue_ptr 0
		.amdhsa_user_sgpr_kernarg_segment_ptr 1
		.amdhsa_user_sgpr_dispatch_id 0
		.amdhsa_user_sgpr_kernarg_preload_length 0
		.amdhsa_user_sgpr_kernarg_preload_offset 0
		.amdhsa_user_sgpr_private_segment_size 0
		.amdhsa_uses_dynamic_stack 0
		.amdhsa_enable_private_segment 0
		.amdhsa_system_sgpr_workgroup_id_x 1
		.amdhsa_system_sgpr_workgroup_id_y 1
		.amdhsa_system_sgpr_workgroup_id_z 1
		.amdhsa_system_sgpr_workgroup_info 0
		.amdhsa_system_vgpr_workitem_id 0
		.amdhsa_next_free_vgpr 61
		.amdhsa_next_free_sgpr 56
		.amdhsa_accum_offset 64
		.amdhsa_reserve_vcc 1
		.amdhsa_float_round_mode_32 0
		.amdhsa_float_round_mode_16_64 0
		.amdhsa_float_denorm_mode_32 3
		.amdhsa_float_denorm_mode_16_64 3
		.amdhsa_dx10_clamp 1
		.amdhsa_ieee_mode 1
		.amdhsa_fp16_overflow 0
		.amdhsa_tg_split 0
		.amdhsa_exception_fp_ieee_invalid_op 0
		.amdhsa_exception_fp_denorm_src 0
		.amdhsa_exception_fp_ieee_div_zero 0
		.amdhsa_exception_fp_ieee_overflow 0
		.amdhsa_exception_fp_ieee_underflow 0
		.amdhsa_exception_fp_ieee_inexact 0
		.amdhsa_exception_int_div_zero 0
	.end_amdhsa_kernel
	.section	.text._ZN4vllm25paged_attention_v2_kernelIfhLi128ELi8ELi128ELNS_18Fp8KVCacheDataTypeE1ELb1ELi512EEEvPfS2_PT_PKS3_PKT0_S9_ifPKiSB_iPKfiiiSD_SD_iiiii,"axG",@progbits,_ZN4vllm25paged_attention_v2_kernelIfhLi128ELi8ELi128ELNS_18Fp8KVCacheDataTypeE1ELb1ELi512EEEvPfS2_PT_PKS3_PKT0_S9_ifPKiSB_iPKfiiiSD_SD_iiiii,comdat
.Lfunc_end197:
	.size	_ZN4vllm25paged_attention_v2_kernelIfhLi128ELi8ELi128ELNS_18Fp8KVCacheDataTypeE1ELb1ELi512EEEvPfS2_PT_PKS3_PKT0_S9_ifPKiSB_iPKfiiiSD_SD_iiiii, .Lfunc_end197-_ZN4vllm25paged_attention_v2_kernelIfhLi128ELi8ELi128ELNS_18Fp8KVCacheDataTypeE1ELb1ELi512EEEvPfS2_PT_PKS3_PKT0_S9_ifPKiSB_iPKfiiiSD_SD_iiiii
                                        ; -- End function
	.section	.AMDGPU.csdata,"",@progbits
; Kernel info:
; codeLenInByte = 5120
; NumSgprs: 62
; NumVgprs: 61
; NumAgprs: 0
; TotalNumVgprs: 61
; ScratchSize: 0
; MemoryBound: 0
; FloatMode: 240
; IeeeMode: 1
; LDSByteSize: 528 bytes/workgroup (compile time only)
; SGPRBlocks: 7
; VGPRBlocks: 7
; NumSGPRsForWavesPerEU: 62
; NumVGPRsForWavesPerEU: 61
; AccumOffset: 64
; Occupancy: 8
; WaveLimiterHint : 1
; COMPUTE_PGM_RSRC2:SCRATCH_EN: 0
; COMPUTE_PGM_RSRC2:USER_SGPR: 2
; COMPUTE_PGM_RSRC2:TRAP_HANDLER: 0
; COMPUTE_PGM_RSRC2:TGID_X_EN: 1
; COMPUTE_PGM_RSRC2:TGID_Y_EN: 1
; COMPUTE_PGM_RSRC2:TGID_Z_EN: 1
; COMPUTE_PGM_RSRC2:TIDIG_COMP_CNT: 0
; COMPUTE_PGM_RSRC3_GFX90A:ACCUM_OFFSET: 15
; COMPUTE_PGM_RSRC3_GFX90A:TG_SPLIT: 0
	.section	.text._ZN4vllm25paged_attention_v2_kernelIfhLi192ELi8ELi128ELNS_18Fp8KVCacheDataTypeE1ELb1ELi512EEEvPfS2_PT_PKS3_PKT0_S9_ifPKiSB_iPKfiiiSD_SD_iiiii,"axG",@progbits,_ZN4vllm25paged_attention_v2_kernelIfhLi192ELi8ELi128ELNS_18Fp8KVCacheDataTypeE1ELb1ELi512EEEvPfS2_PT_PKS3_PKT0_S9_ifPKiSB_iPKfiiiSD_SD_iiiii,comdat
	.protected	_ZN4vllm25paged_attention_v2_kernelIfhLi192ELi8ELi128ELNS_18Fp8KVCacheDataTypeE1ELb1ELi512EEEvPfS2_PT_PKS3_PKT0_S9_ifPKiSB_iPKfiiiSD_SD_iiiii ; -- Begin function _ZN4vllm25paged_attention_v2_kernelIfhLi192ELi8ELi128ELNS_18Fp8KVCacheDataTypeE1ELb1ELi512EEEvPfS2_PT_PKS3_PKT0_S9_ifPKiSB_iPKfiiiSD_SD_iiiii
	.globl	_ZN4vllm25paged_attention_v2_kernelIfhLi192ELi8ELi128ELNS_18Fp8KVCacheDataTypeE1ELb1ELi512EEEvPfS2_PT_PKS3_PKT0_S9_ifPKiSB_iPKfiiiSD_SD_iiiii
	.p2align	8
	.type	_ZN4vllm25paged_attention_v2_kernelIfhLi192ELi8ELi128ELNS_18Fp8KVCacheDataTypeE1ELb1ELi512EEEvPfS2_PT_PKS3_PKT0_S9_ifPKiSB_iPKfiiiSD_SD_iiiii,@function
_ZN4vllm25paged_attention_v2_kernelIfhLi192ELi8ELi128ELNS_18Fp8KVCacheDataTypeE1ELb1ELi512EEEvPfS2_PT_PKS3_PKT0_S9_ifPKiSB_iPKfiiiSD_SD_iiiii: ; @_ZN4vllm25paged_attention_v2_kernelIfhLi192ELi8ELi128ELNS_18Fp8KVCacheDataTypeE1ELb1ELi512EEEvPfS2_PT_PKS3_PKT0_S9_ifPKiSB_iPKfiiiSD_SD_iiiii
; %bb.0:
	s_load_dwordx2 s[6:7], s[0:1], 0x40
	s_mov_b32 s40, s3
	s_ashr_i32 s41, s3, 31
	s_lshl_b64 s[8:9], s[40:41], 2
	s_waitcnt lgkmcnt(0)
	s_add_u32 s6, s6, s8
	s_addc_u32 s7, s7, s9
	s_load_dword s41, s[6:7], 0x0
	s_lshl_b32 s51, s4, 9
	s_waitcnt lgkmcnt(0)
	s_cmp_ge_i32 s51, s41
	s_cbranch_scc1 .LBB198_78
; %bb.1:
	s_load_dword s5, s[0:1], 0x90
	s_load_dwordx2 s[44:45], s[0:1], 0x30
	s_waitcnt lgkmcnt(0)
	s_abs_i32 s7, s5
	s_abs_i32 s3, s44
	v_cvt_f32_u32_e32 v1, s3
	s_sub_i32 s8, 0, s3
	s_xor_b32 s6, s5, s44
	s_ashr_i32 s6, s6, 31
	v_rcp_iflag_f32_e32 v1, v1
	s_nop 0
	v_mul_f32_e32 v1, 0x4f7ffffe, v1
	v_cvt_u32_f32_e32 v1, v1
	s_nop 0
	v_readfirstlane_b32 s9, v1
	s_mul_i32 s8, s8, s9
	s_mul_hi_u32 s8, s9, s8
	s_add_i32 s9, s9, s8
	s_mul_hi_u32 s8, s7, s9
	s_mul_i32 s9, s8, s3
	s_sub_i32 s7, s7, s9
	s_add_i32 s10, s8, 1
	s_sub_i32 s9, s7, s3
	s_cmp_ge_u32 s7, s3
	s_cselect_b32 s8, s10, s8
	s_cselect_b32 s7, s9, s7
	s_add_i32 s9, s8, 1
	s_cmp_ge_u32 s7, s3
	s_cselect_b32 s3, s9, s8
	s_xor_b32 s3, s3, s6
	s_sub_i32 s13, s3, s6
	s_abs_i32 s12, s13
	v_cvt_f32_u32_e32 v1, s12
	s_load_dwordx2 s[6:7], s[0:1], 0x50
	s_sub_i32 s3, 0, s12
	s_abs_i32 s14, s2
	v_rcp_iflag_f32_e32 v1, v1
	s_nop 0
	v_mul_f32_e32 v1, 0x4f7ffffe, v1
	v_cvt_u32_f32_e32 v1, v1
	s_nop 0
	v_readfirstlane_b32 s8, v1
	s_mul_i32 s3, s3, s8
	s_mul_hi_u32 s3, s8, s3
	s_add_i32 s8, s8, s3
	s_waitcnt lgkmcnt(0)
	s_cmp_eq_u64 s[6:7], 0
	s_mov_b32 s3, 0
	s_cbranch_scc1 .LBB198_3
; %bb.2:
	s_ashr_i32 s3, s2, 31
	s_lshl_b64 s[10:11], s[2:3], 2
	s_add_u32 s6, s6, s10
	s_addc_u32 s7, s7, s11
	s_load_dword s3, s[6:7], 0x0
.LBB198_3:
	s_load_dwordx4 s[24:27], s[0:1], 0x0
	s_load_dwordx2 s[34:35], s[0:1], 0x10
	s_load_dwordx4 s[20:23], s[0:1], 0x20
	s_load_dwordx2 s[38:39], s[0:1], 0x38
	s_load_dword s33, s[0:1], 0x98
	s_load_dwordx4 s[16:19], s[0:1], 0x58
	s_movk_i32 s6, 0xc0
	s_mul_i32 s36, s2, 0xc0
	s_mul_hi_u32 s15, s14, s8
	v_and_b32_e32 v2, 7, v0
	s_ashr_i32 s37, s36, 31
	v_cmp_gt_u32_e32 vcc, s6, v0
	s_and_saveexec_b64 s[6:7], vcc
	s_cbranch_execz .LBB198_6
; %bb.4:
	s_load_dwordx2 s[8:9], s[0:1], 0x18
	s_waitcnt lgkmcnt(0)
	s_mul_i32 s10, s40, s16
	s_ashr_i32 s11, s10, 31
	s_lshl_b64 s[10:11], s[10:11], 2
	s_lshl_b64 s[28:29], s[36:37], 2
	s_add_u32 s10, s10, s28
	s_addc_u32 s11, s11, s29
	v_lshrrev_b32_e32 v4, 3, v0
	v_lshlrev_b32_e32 v5, 2, v2
	s_add_u32 s8, s8, s10
	v_add_u32_e32 v1, -16, v4
	v_lshlrev_b32_e32 v3, 2, v4
	s_movk_i32 s16, 0x60
	v_lshl_or_b32 v4, v4, 5, v5
	v_mov_b32_e32 v5, 0
	s_addc_u32 s9, s9, s11
	v_mad_u32_u24 v3, v2, s16, v3
	v_lshl_add_u64 v[4:5], s[8:9], 0, v[4:5]
	s_mov_b64 s[8:9], 0
	s_mov_b64 s[10:11], 0x200
.LBB198_5:                              ; =>This Inner Loop Header: Depth=1
	global_load_dword v6, v[4:5], off
	v_add_u32_e32 v1, 16, v1
	v_cmp_lt_u32_e32 vcc, 7, v1
	v_lshl_add_u64 v[4:5], v[4:5], 0, s[10:11]
	s_or_b64 s[8:9], vcc, s[8:9]
	s_waitcnt vmcnt(0)
	ds_write_b32 v3, v6
	v_add_u32_e32 v3, 64, v3
	s_andn2_b64 exec, exec, s[8:9]
	s_cbranch_execnz .LBB198_5
.LBB198_6:
	s_or_b64 exec, exec, s[6:7]
	s_ashr_i32 s6, s2, 31
	s_ashr_i32 s7, s13, 31
	s_xor_b32 s6, s6, s7
	s_mul_i32 s7, s15, s12
	s_sub_i32 s7, s14, s7
	s_add_i32 s8, s15, 1
	s_sub_i32 s9, s7, s12
	s_load_dwordx4 s[28:31], s[0:1], 0x78
	s_cmp_ge_u32 s7, s12
	s_cselect_b32 s8, s8, s15
	s_cselect_b32 s7, s9, s7
	s_add_i32 s9, s8, 1
	s_cmp_ge_u32 s7, s12
	s_cselect_b32 s7, s9, s8
	s_load_dword s8, s[0:1], 0x88
	s_waitcnt lgkmcnt(0)
	s_abs_i32 s37, s31
	v_cvt_f32_u32_e32 v1, s37
	s_xor_b32 s7, s7, s6
	s_sub_i32 s50, s7, s6
	s_sub_i32 s6, 0, s37
	v_rcp_iflag_f32_e32 v1, v1
	s_add_i32 s11, s41, -1
	s_abs_i32 s9, s11
	v_mul_f32_e32 v1, 0x4f7ffffe, v1
	v_cvt_u32_f32_e32 v1, v1
	s_barrier
	v_readfirstlane_b32 s48, v1
	s_mul_i32 s6, s6, s48
	s_mul_hi_u32 s6, s48, s6
	s_add_i32 s48, s48, s6
	s_cmp_lt_i32 s8, 0
	s_mul_hi_u32 s10, s9, s48
	s_cbranch_scc0 .LBB198_8
; %bb.7:
	s_mul_i32 s6, s28, s44
	s_add_i32 s6, s50, s6
	s_mul_i32 s6, s6, s8
	s_sub_i32 s44, 1, s6
	s_ashr_i32 s11, s11, 31
	s_ashr_i32 s31, s31, 31
	s_cbranch_execz .LBB198_9
	s_branch .LBB198_10
.LBB198_8:
                                        ; implicit-def: $sgpr44
	s_ashr_i32 s11, s11, 31
	s_ashr_i32 s31, s31, 31
.LBB198_9:
	s_mul_i32 s6, s5, s28
	s_add_i32 s6, s6, s2
	s_mul_i32 s6, s6, s8
	s_add_i32 s44, s6, 1
.LBB198_10:
	s_load_dword s6, s[0:1], 0x48
	s_load_dwordx4 s[12:15], s[0:1], 0x68
	s_mul_i32 s1, s10, s37
	s_sub_i32 s1, s9, s1
	s_xor_b32 s0, s11, s31
	s_waitcnt lgkmcnt(0)
	s_mul_i32 s42, s40, s6
	s_ashr_i32 s43, s42, 31
	s_add_i32 s6, s10, 1
	s_sub_i32 s7, s1, s37
	s_cmp_ge_u32 s1, s37
	s_cselect_b32 s6, s6, s10
	s_cselect_b32 s1, s7, s1
	s_add_i32 s7, s6, 1
	s_cmp_ge_u32 s1, s37
	s_cselect_b32 s1, s7, s6
	s_xor_b32 s1, s1, s0
	s_sub_i32 s49, s1, s0
	s_add_i32 s0, s41, 7
	s_ashr_i32 s1, s0, 31
	s_lshr_b32 s1, s1, 29
	s_add_i32 s0, s0, s1
	s_lshl_b32 s52, s4, 6
	s_ashr_i32 s16, s0, 3
	s_add_i32 s0, s52, 64
	v_lshrrev_b32_e32 v8, 6, v0
	s_min_i32 s28, s0, s16
	v_or_b32_e32 v12, s52, v8
	v_cmp_gt_i32_e64 s[0:1], s28, v12
	v_mov_b32_e32 v14, 0xff7fffff
	s_mul_i32 s50, s50, s18
	v_ashrrev_i32_e32 v13, 31, v12
	v_lshl_add_u32 v1, v8, 3, s51
	v_mbcnt_lo_u32_b32 v9, -1, 0
	s_and_saveexec_b64 s[18:19], s[0:1]
	s_cbranch_execz .LBB198_20
; %bb.11:
	s_sub_i32 s53, s49, s29
	s_ashr_i32 s7, s50, 31
	s_add_u32 s6, s20, s50
	s_addc_u32 s7, s21, s7
	s_abs_i32 s54, s30
	v_cvt_f32_u32_e32 v3, s54
	v_bfe_u32 v10, v0, 3, 3
	v_lshlrev_b32_e32 v6, 4, v10
	v_mov_b32_e32 v7, 0
	v_rcp_iflag_f32_e32 v3, v3
	v_lshl_add_u64 v[4:5], s[6:7], 0, v[6:7]
	s_sub_i32 s8, 0, s54
	v_lshlrev_b32_e32 v14, 2, v10
	v_mul_f32_e32 v3, 0x4f7ffffe, v3
	v_cvt_u32_f32_e32 v6, v3
	v_mov_b32_e32 v3, v7
	v_lshl_or_b32 v14, v8, 5, v14
	v_add_u32_e32 v17, 0x310, v14
	v_mul_lo_u32 v7, s8, v6
	s_lshl_b64 s[8:9], s[42:43], 2
	s_add_u32 s8, s38, s8
	v_subrev_u32_e32 v14, s41, v10
	v_mbcnt_hi_u32_b32 v20, -1, v9
	v_mul_hi_u32 v7, v6, v7
	s_addc_u32 s9, s39, s9
	v_add_u32_e32 v18, 1, v14
	v_and_b32_e32 v14, 64, v20
	v_cmp_eq_u32_e32 vcc, 0, v2
	s_mov_b32 s55, s17
	v_mul_u32_u24_e32 v11, 0x60, v2
	v_cmp_neq_f32_e64 s[6:7], s3, 0
	v_add_u32_e32 v15, v6, v7
	v_lshl_add_u64 v[6:7], v[12:13], 2, s[8:9]
	v_lshl_add_u32 v16, v8, 3, s51
	s_mov_b64 s[20:21], 0
	v_mov_b32_e32 v19, 0xff7fffff
	v_add_u32_e32 v21, 64, v14
	v_xor_b32_e32 v22, 4, v20
	v_xor_b32_e32 v23, 2, v20
	;; [unrolled: 1-line block ×3, first 2 shown]
	v_mov_b32_e32 v14, 0xff7fffff
	v_mov_b32_e32 v25, v12
	s_branch .LBB198_14
.LBB198_12:                             ;   in Loop: Header=BB198_14 Depth=1
	s_or_b64 exec, exec, s[46:47]
.LBB198_13:                             ;   in Loop: Header=BB198_14 Depth=1
	s_or_b64 exec, exec, s[10:11]
	v_add_u32_e32 v25, 2, v25
	v_cmp_le_i32_e64 s[8:9], s28, v25
	v_lshl_add_u64 v[6:7], v[6:7], 0, 8
	v_add_u32_e32 v16, 16, v16
	s_or_b64 s[20:21], s[8:9], s[20:21]
	v_add_u32_e32 v17, 64, v17
	s_andn2_b64 exec, exec, s[20:21]
	s_cbranch_execz .LBB198_19
.LBB198_14:                             ; =>This Inner Loop Header: Depth=1
	s_waitcnt lgkmcnt(0)
	v_sub_u32_e32 v27, 0, v16
	v_max_i32_e32 v27, v16, v27
	v_mul_hi_u32 v28, v27, s48
	v_mul_lo_u32 v29, v28, s37
	v_sub_u32_e32 v27, v27, v29
	v_add_u32_e32 v29, 1, v28
	v_cmp_le_u32_e64 s[8:9], s37, v27
	v_ashrrev_i32_e32 v26, 31, v16
	v_xor_b32_e32 v26, s31, v26
	v_cndmask_b32_e64 v28, v28, v29, s[8:9]
	v_subrev_u32_e32 v29, s37, v27
	v_cndmask_b32_e64 v27, v27, v29, s[8:9]
	v_add_u32_e32 v29, 1, v28
	v_cmp_le_u32_e64 s[8:9], s37, v27
	s_nop 1
	v_cndmask_b32_e64 v27, v28, v29, s[8:9]
	v_xor_b32_e32 v27, v27, v26
	v_sub_u32_e32 v26, v27, v26
	v_add_u32_e32 v27, s44, v26
	v_sub_u32_e32 v29, 0, v27
	v_ashrrev_i32_e32 v28, 31, v27
	v_max_i32_e32 v27, v27, v29
	v_mul_hi_u32 v29, v27, v15
	v_mul_lo_u32 v29, v29, s54
	v_sub_u32_e32 v27, v27, v29
	v_subrev_u32_e32 v29, s54, v27
	v_cmp_le_u32_e64 s[8:9], s54, v27
	v_cmp_ge_i32_e64 s[10:11], s53, v26
	s_nop 0
	v_cndmask_b32_e64 v27, v27, v29, s[8:9]
	v_subrev_u32_e32 v29, s54, v27
	v_cmp_le_u32_e64 s[8:9], s54, v27
	s_nop 1
	v_cndmask_b32_e64 v27, v27, v29, s[8:9]
	v_xor_b32_e32 v27, v27, v28
	v_sub_u32_e32 v27, v27, v28
	v_cmp_ne_u32_e64 s[8:9], 0, v27
	s_and_b64 s[8:9], s[8:9], s[10:11]
	s_and_b64 s[46:47], vcc, s[8:9]
	s_and_saveexec_b64 s[10:11], s[46:47]
	s_cbranch_execz .LBB198_16
; %bb.15:                               ;   in Loop: Header=BB198_14 Depth=1
	ds_write_b32 v17, v19
.LBB198_16:                             ;   in Loop: Header=BB198_14 Depth=1
	s_or_b64 exec, exec, s[10:11]
	s_xor_b64 s[8:9], s[8:9], -1
	s_and_saveexec_b64 s[10:11], s[8:9]
	s_cbranch_execz .LBB198_13
; %bb.17:                               ;   in Loop: Header=BB198_14 Depth=1
	global_load_dword v26, v[6:7], off
	s_waitcnt vmcnt(0)
	v_mad_i64_i32 v[26:27], s[8:9], v26, s55, v[4:5]
	v_lshl_add_u64 v[26:27], v[26:27], 0, v[2:3]
	global_load_ubyte v50, v[26:27], off
	global_load_ubyte v51, v[26:27], off offset:8
	global_load_ubyte v52, v[26:27], off offset:128
	;; [unrolled: 1-line block ×23, first 2 shown]
	ds_read_b128 v[26:29], v11
	ds_read_b128 v[30:33], v11 offset:16
	ds_read_b128 v[34:37], v11 offset:32
	;; [unrolled: 1-line block ×3, first 2 shown]
	s_load_dword s46, s[12:13], 0x0
	ds_read_b128 v[42:45], v11 offset:64
	ds_read_b128 v[46:49], v11 offset:80
	v_cmp_lt_i32_e64 s[8:9], v22, v21
	s_waitcnt vmcnt(23)
	v_cvt_f32_fp8_sdwa v50, v50 src0_sel:BYTE_0
	s_waitcnt vmcnt(22)
	v_cvt_f32_fp8_sdwa v51, v51 src0_sel:BYTE_0
	;; [unrolled: 2-line block ×5, first 2 shown]
	s_waitcnt lgkmcnt(0)
	v_mul_f32_e32 v51, s46, v51
	s_waitcnt vmcnt(18)
	v_cvt_f32_fp8_sdwa v55, v55 src0_sel:BYTE_0
	v_mul_f32_e32 v50, s46, v50
	v_mul_f32_e32 v27, v27, v51
	s_waitcnt vmcnt(17)
	v_cvt_f32_fp8_sdwa v56, v56 src0_sel:BYTE_0
	v_mul_f32_e32 v52, s46, v52
	v_fmac_f32_e32 v27, v26, v50
	s_waitcnt vmcnt(16)
	v_cvt_f32_fp8_sdwa v57, v57 src0_sel:BYTE_0
	v_mul_f32_e32 v53, s46, v53
	v_fmac_f32_e32 v27, v28, v52
	s_waitcnt vmcnt(15)
	v_cvt_f32_fp8_sdwa v58, v58 src0_sel:BYTE_0
	v_mul_f32_e32 v54, s46, v54
	v_fmac_f32_e32 v27, v29, v53
	s_waitcnt vmcnt(14)
	v_cvt_f32_fp8_sdwa v59, v59 src0_sel:BYTE_0
	v_mul_f32_e32 v55, s46, v55
	v_fmac_f32_e32 v27, v30, v54
	s_waitcnt vmcnt(13)
	v_cvt_f32_fp8_sdwa v60, v60 src0_sel:BYTE_0
	v_mul_f32_e32 v56, s46, v56
	v_fmac_f32_e32 v27, v31, v55
	s_waitcnt vmcnt(12)
	v_cvt_f32_fp8_sdwa v61, v61 src0_sel:BYTE_0
	v_mul_f32_e32 v57, s46, v57
	v_fmac_f32_e32 v27, v32, v56
	s_waitcnt vmcnt(11)
	v_cvt_f32_fp8_sdwa v62, v62 src0_sel:BYTE_0
	v_mul_f32_e32 v58, s46, v58
	v_fmac_f32_e32 v27, v33, v57
	s_waitcnt vmcnt(10)
	v_cvt_f32_fp8_sdwa v63, v63 src0_sel:BYTE_0
	v_mul_f32_e32 v59, s46, v59
	v_fmac_f32_e32 v27, v34, v58
	s_waitcnt vmcnt(9)
	v_cvt_f32_fp8_sdwa v64, v64 src0_sel:BYTE_0
	v_mul_f32_e32 v60, s46, v60
	v_fmac_f32_e32 v27, v35, v59
	s_waitcnt vmcnt(8)
	v_cvt_f32_fp8_sdwa v65, v65 src0_sel:BYTE_0
	v_mul_f32_e32 v61, s46, v61
	v_fmac_f32_e32 v27, v36, v60
	s_waitcnt vmcnt(7)
	v_cvt_f32_fp8_sdwa v66, v66 src0_sel:BYTE_0
	v_mul_f32_e32 v62, s46, v62
	v_fmac_f32_e32 v27, v37, v61
	s_waitcnt vmcnt(6)
	v_cvt_f32_fp8_sdwa v67, v67 src0_sel:BYTE_0
	v_mul_f32_e32 v63, s46, v63
	v_fmac_f32_e32 v27, v38, v62
	s_waitcnt vmcnt(5)
	v_cvt_f32_fp8_sdwa v68, v68 src0_sel:BYTE_0
	v_mul_f32_e32 v64, s46, v64
	v_fmac_f32_e32 v27, v39, v63
	s_waitcnt vmcnt(4)
	v_cvt_f32_fp8_sdwa v69, v69 src0_sel:BYTE_0
	v_mul_f32_e32 v65, s46, v65
	v_fmac_f32_e32 v27, v40, v64
	s_waitcnt vmcnt(3)
	v_cvt_f32_fp8_sdwa v70, v70 src0_sel:BYTE_0
	v_mul_f32_e32 v66, s46, v66
	v_fmac_f32_e32 v27, v41, v65
	s_waitcnt vmcnt(2)
	v_cvt_f32_fp8_sdwa v71, v71 src0_sel:BYTE_0
	v_mul_f32_e32 v67, s46, v67
	v_fmac_f32_e32 v27, v42, v66
	s_waitcnt vmcnt(1)
	v_cvt_f32_fp8_sdwa v72, v72 src0_sel:BYTE_0
	v_mul_f32_e32 v68, s46, v68
	v_fmac_f32_e32 v27, v43, v67
	s_waitcnt vmcnt(0)
	v_cvt_f32_fp8_sdwa v73, v73 src0_sel:BYTE_0
	v_mul_f32_e32 v69, s46, v69
	v_fmac_f32_e32 v27, v44, v68
	v_mul_f32_e32 v70, s46, v70
	v_fmac_f32_e32 v27, v45, v69
	v_mul_f32_e32 v71, s46, v71
	v_fmac_f32_e32 v27, v46, v70
	;; [unrolled: 2-line block ×3, first 2 shown]
	v_cndmask_b32_e64 v74, v20, v22, s[8:9]
	v_mul_f32_e32 v73, s46, v73
	v_fmac_f32_e32 v27, v48, v72
	v_lshlrev_b32_e32 v26, 2, v74
	v_fmac_f32_e32 v27, v49, v73
	ds_bpermute_b32 v26, v26, v27
	v_cmp_lt_i32_e64 s[8:9], v23, v21
	s_waitcnt lgkmcnt(0)
	v_add_f32_e32 v26, v27, v26
	v_cndmask_b32_e64 v28, v20, v23, s[8:9]
	v_lshlrev_b32_e32 v28, 2, v28
	ds_bpermute_b32 v27, v28, v26
	v_cmp_lt_i32_e64 s[8:9], v24, v21
	s_waitcnt lgkmcnt(0)
	v_add_f32_e32 v26, v26, v27
	v_cndmask_b32_e64 v28, v20, v24, s[8:9]
	v_lshlrev_b32_e32 v28, 2, v28
	ds_bpermute_b32 v27, v28, v26
	s_and_saveexec_b64 s[46:47], vcc
	s_cbranch_execz .LBB198_12
; %bb.18:                               ;   in Loop: Header=BB198_14 Depth=1
	v_add_u32_e32 v28, v18, v16
	v_cvt_f32_i32_e32 v28, v28
	s_waitcnt lgkmcnt(0)
	v_add_f32_e32 v26, v26, v27
	v_add_u32_e32 v29, v10, v16
	v_cmp_gt_i32_e64 s[8:9], s41, v29
	v_mul_f32_e32 v27, s3, v28
	v_cndmask_b32_e64 v27, 0, v27, s[6:7]
	v_fmac_f32_e32 v27, s45, v26
	v_cndmask_b32_e64 v26, 0, v27, s[8:9]
	ds_write_b32 v17, v26
	v_max_f32_e32 v26, v14, v14
	v_max_f32_e32 v26, v26, v27
	v_cndmask_b32_e64 v14, v14, v26, s[8:9]
	s_branch .LBB198_12
.LBB198_19:
	s_or_b64 exec, exec, s[20:21]
.LBB198_20:
	s_or_b64 exec, exec, s[18:19]
	v_mbcnt_hi_u32_b32 v2, -1, v9
	v_and_b32_e32 v3, 64, v2
	v_add_u32_e32 v3, 64, v3
	v_xor_b32_e32 v4, 32, v2
	v_cmp_lt_i32_e32 vcc, v4, v3
	v_xor_b32_e32 v7, 16, v2
	v_max_f32_e32 v5, v14, v14
	v_cndmask_b32_e32 v4, v2, v4, vcc
	v_lshlrev_b32_e32 v6, 2, v4
	ds_bpermute_b32 v4, v6, v14
	v_cmp_lt_i32_e32 vcc, v7, v3
	v_and_b32_e32 v42, 63, v0
	s_waitcnt lgkmcnt(0)
	v_max_f32_e32 v4, v4, v4
	v_max_f32_e32 v4, v5, v4
	v_cndmask_b32_e32 v5, v2, v7, vcc
	v_lshlrev_b32_e32 v9, 2, v5
	ds_bpermute_b32 v5, v9, v4
	v_xor_b32_e32 v7, 8, v2
	v_cmp_lt_i32_e32 vcc, v7, v3
	s_waitcnt lgkmcnt(0)
	v_max_f32_e32 v5, v5, v5
	v_max_f32_e32 v4, v4, v5
	v_cndmask_b32_e32 v5, v2, v7, vcc
	v_lshlrev_b32_e32 v10, 2, v5
	ds_bpermute_b32 v7, v10, v4
	v_cmp_eq_u32_e32 vcc, 0, v42
	v_lshlrev_b32_e32 v5, 2, v8
	s_and_saveexec_b64 s[6:7], vcc
	s_cbranch_execz .LBB198_22
; %bb.21:
	s_waitcnt lgkmcnt(0)
	v_max_f32_e32 v7, v7, v7
	v_max_f32_e32 v4, v4, v4
	;; [unrolled: 1-line block ×3, first 2 shown]
	ds_write_b32 v5, v4 offset:768
.LBB198_22:
	s_or_b64 exec, exec, s[6:7]
	v_cmp_gt_u32_e64 s[6:7], 2, v42
	v_mov_b32_e32 v4, 0xff7fffff
	s_waitcnt lgkmcnt(0)
	v_lshlrev_b32_e32 v7, 2, v42
	s_barrier
	s_and_saveexec_b64 s[8:9], s[6:7]
	s_cbranch_execz .LBB198_24
; %bb.23:
	ds_read_b32 v4, v7 offset:768
.LBB198_24:
	s_or_b64 exec, exec, s[8:9]
	v_xor_b32_e32 v11, 1, v2
	v_cmp_lt_i32_e64 s[8:9], v11, v3
	s_sub_i32 s3, s28, s52
	s_lshl_b32 s3, s3, 3
	v_cndmask_b32_e64 v11, v2, v11, s[8:9]
	v_lshlrev_b32_e32 v43, 2, v11
	s_waitcnt lgkmcnt(0)
	ds_bpermute_b32 v11, v43, v4
	v_max_f32_e32 v4, v4, v4
	s_add_i32 s3, s3, s51
	s_min_i32 s20, s3, s41
	s_sub_i32 s3, s20, s51
	s_waitcnt lgkmcnt(0)
	v_max_f32_e32 v11, v11, v11
	v_max_f32_e32 v4, v4, v11
	v_lshlrev_b32_e32 v11, 2, v2
	v_and_b32_e32 v11, 0x100, v11
	ds_bpermute_b32 v4, v11, v4
	v_cmp_gt_i32_e64 s[8:9], s3, v0
	v_mov_b32_e32 v14, 0
	s_and_saveexec_b64 s[12:13], s[8:9]
	s_cbranch_execz .LBB198_28
; %bb.25:
	v_mov_b32_e32 v14, 0x310
	v_lshl_add_u32 v15, v0, 2, v14
	s_mov_b64 s[18:19], 0
	v_mov_b32_e32 v14, 0
	v_mov_b32_e32 v16, v0
.LBB198_26:                             ; =>This Inner Loop Header: Depth=1
	ds_read_b32 v17, v15
	v_add_u32_e32 v16, 0x80, v16
	v_cmp_le_i32_e64 s[10:11], s3, v16
	s_or_b64 s[18:19], s[10:11], s[18:19]
	s_waitcnt lgkmcnt(0)
	v_sub_f32_e32 v17, v17, v4
	v_mul_f32_e32 v17, 0x3fb8aa3b, v17
	v_exp_f32_e32 v17, v17
	ds_write_b32 v15, v17
	v_add_f32_e32 v14, v14, v17
	v_add_u32_e32 v15, 0x200, v15
	s_andn2_b64 exec, exec, s[18:19]
	s_cbranch_execnz .LBB198_26
; %bb.27:
	s_or_b64 exec, exec, s[18:19]
.LBB198_28:
	s_or_b64 exec, exec, s[12:13]
	ds_bpermute_b32 v6, v6, v14
	s_waitcnt lgkmcnt(0)
	v_add_f32_e32 v6, v14, v6
	ds_bpermute_b32 v9, v9, v6
	s_waitcnt lgkmcnt(0)
	v_add_f32_e32 v6, v6, v9
	ds_bpermute_b32 v9, v10, v6
	v_xor_b32_e32 v10, 4, v2
	v_cmp_lt_i32_e64 s[10:11], v10, v3
	s_waitcnt lgkmcnt(0)
	v_add_f32_e32 v6, v6, v9
	v_cndmask_b32_e64 v10, v2, v10, s[10:11]
	v_lshlrev_b32_e32 v10, 2, v10
	ds_bpermute_b32 v9, v10, v6
	v_xor_b32_e32 v10, 2, v2
	v_cmp_lt_i32_e64 s[10:11], v10, v3
	s_waitcnt lgkmcnt(0)
	v_add_f32_e32 v3, v6, v9
	v_cndmask_b32_e64 v2, v2, v10, s[10:11]
	v_lshlrev_b32_e32 v2, 2, v2
	ds_bpermute_b32 v2, v2, v3
	s_waitcnt lgkmcnt(0)
	v_add_f32_e32 v2, v3, v2
	ds_bpermute_b32 v3, v43, v2
	s_waitcnt lgkmcnt(0)
	v_add_f32_e32 v2, v2, v3
	s_and_saveexec_b64 s[10:11], vcc
	s_cbranch_execz .LBB198_30
; %bb.29:
	ds_write_b32 v5, v2 offset:776
.LBB198_30:
	s_or_b64 exec, exec, s[10:11]
	s_waitcnt lgkmcnt(0)
	s_barrier
	s_and_saveexec_b64 s[10:11], s[6:7]
	s_cbranch_execz .LBB198_32
; %bb.31:
	ds_read_b32 v2, v7 offset:776
.LBB198_32:
	s_or_b64 exec, exec, s[10:11]
	s_waitcnt lgkmcnt(0)
	ds_bpermute_b32 v3, v43, v2
	s_waitcnt lgkmcnt(0)
	v_add_f32_e32 v2, v2, v3
	ds_bpermute_b32 v5, v11, v2
	s_and_saveexec_b64 s[6:7], s[8:9]
	s_cbranch_execz .LBB198_45
; %bb.33:
	s_waitcnt lgkmcnt(0)
	v_add_f32_e32 v2, 0x358637bd, v5
	v_div_scale_f32 v3, s[8:9], v2, v2, 1.0
	v_rcp_f32_e32 v6, v3
	v_div_scale_f32 v7, vcc, 1.0, v2, 1.0
	s_movk_i32 s8, 0x7f
	v_fma_f32 v9, -v3, v6, 1.0
	v_fmac_f32_e32 v6, v9, v6
	v_mul_f32_e32 v9, v7, v6
	v_fma_f32 v10, -v3, v9, v7
	v_fmac_f32_e32 v9, v10, v6
	v_fma_f32 v3, -v3, v9, v7
	v_div_fmas_f32 v3, v3, v6, v9
	v_div_fixup_f32 v2, v3, v2, 1.0
	v_xad_u32 v3, v0, -1, s20
	v_subrev_u32_e32 v6, s51, v3
	v_cmp_lt_u32_e32 vcc, s8, v6
	s_mov_b64 s[10:11], -1
	v_mov_b32_e32 v3, v0
	s_and_saveexec_b64 s[8:9], vcc
	s_cbranch_execz .LBB198_42
; %bb.34:
	v_lshrrev_b32_e32 v6, 7, v6
	v_add_u32_e32 v9, -1, v6
	v_lshrrev_b32_e32 v7, 1, v9
	v_mov_b32_e32 v3, v2
	v_add_u32_e32 v7, 1, v7
	v_cmp_lt_u32_e32 vcc, 13, v9
	v_mov_b32_e32 v11, 0
	s_and_saveexec_b64 s[10:11], vcc
	s_cbranch_execz .LBB198_38
; %bb.35:
	v_mov_b32_e32 v10, 0x310
	v_and_b32_e32 v9, -8, v7
	v_lshl_add_u32 v10, v0, 2, v10
	s_mov_b32 s18, 0
	s_mov_b64 s[12:13], 0
.LBB198_36:                             ; =>This Inner Loop Header: Depth=1
	ds_read2st64_b32 v[14:15], v10 offset1:2
	ds_read2st64_b32 v[16:17], v10 offset0:4 offset1:6
	ds_read2st64_b32 v[18:19], v10 offset0:8 offset1:10
	;; [unrolled: 1-line block ×3, first 2 shown]
	v_add_u32_e32 v9, -8, v9
	s_waitcnt lgkmcnt(3)
	v_pk_mul_f32 v[14:15], v[2:3], v[14:15]
	s_waitcnt lgkmcnt(2)
	v_pk_mul_f32 v[16:17], v[2:3], v[16:17]
	ds_write2st64_b32 v10, v14, v15 offset1:2
	ds_write2st64_b32 v10, v16, v17 offset0:4 offset1:6
	ds_read2st64_b32 v[16:17], v10 offset0:16 offset1:18
	s_waitcnt lgkmcnt(4)
	v_pk_mul_f32 v[14:15], v[2:3], v[18:19]
	ds_write2st64_b32 v10, v14, v15 offset0:8 offset1:10
	s_waitcnt lgkmcnt(4)
	v_pk_mul_f32 v[14:15], v[2:3], v[20:21]
	ds_write2st64_b32 v10, v14, v15 offset0:12 offset1:14
	ds_read2st64_b32 v[14:15], v10 offset0:20 offset1:22
	s_waitcnt lgkmcnt(3)
	v_pk_mul_f32 v[16:17], v[2:3], v[16:17]
	ds_read2st64_b32 v[18:19], v10 offset0:24 offset1:26
	ds_write2st64_b32 v10, v16, v17 offset0:16 offset1:18
	ds_read2st64_b32 v[16:17], v10 offset0:28 offset1:30
	s_waitcnt lgkmcnt(3)
	v_pk_mul_f32 v[14:15], v[2:3], v[14:15]
	ds_write2st64_b32 v10, v14, v15 offset0:20 offset1:22
	s_waitcnt lgkmcnt(3)
	v_pk_mul_f32 v[14:15], v[2:3], v[18:19]
	ds_write2st64_b32 v10, v14, v15 offset0:24 offset1:26
	s_waitcnt lgkmcnt(2)
	v_pk_mul_f32 v[14:15], v[2:3], v[16:17]
	s_add_i32 s18, s18, 16
	v_cmp_eq_u32_e32 vcc, 0, v9
	ds_write2st64_b32 v10, v14, v15 offset0:28 offset1:30
	v_add_u32_e32 v10, 0x2000, v10
	s_or_b64 s[12:13], vcc, s[12:13]
	v_mov_b32_e32 v11, s18
	s_andn2_b64 exec, exec, s[12:13]
	s_cbranch_execnz .LBB198_36
; %bb.37:
	s_or_b64 exec, exec, s[12:13]
.LBB198_38:
	s_or_b64 exec, exec, s[10:11]
	v_and_b32_e32 v7, 7, v7
	v_cmp_ne_u32_e32 vcc, 0, v7
	s_and_saveexec_b64 s[10:11], vcc
	s_cbranch_execz .LBB198_41
; %bb.39:
	v_lshlrev_b32_e32 v9, 9, v11
	v_lshlrev_b32_e32 v10, 2, v0
	s_movk_i32 s12, 0x310
	v_add3_u32 v9, v9, v10, s12
	s_mov_b64 s[12:13], 0
.LBB198_40:                             ; =>This Inner Loop Header: Depth=1
	ds_read2st64_b32 v[10:11], v9 offset1:2
	v_add_u32_e32 v7, -1, v7
	v_cmp_eq_u32_e32 vcc, 0, v7
	s_or_b64 s[12:13], vcc, s[12:13]
	s_waitcnt lgkmcnt(0)
	v_pk_mul_f32 v[10:11], v[2:3], v[10:11]
	ds_write2st64_b32 v9, v10, v11 offset1:2
	v_add_u32_e32 v9, 0x400, v9
	s_andn2_b64 exec, exec, s[12:13]
	s_cbranch_execnz .LBB198_40
.LBB198_41:
	s_or_b64 exec, exec, s[10:11]
	v_add_u32_e32 v6, 1, v6
	v_and_b32_e32 v7, 0x3fffffe, v6
	v_cmp_ne_u32_e32 vcc, v6, v7
	v_lshl_add_u32 v3, v7, 7, v0
	s_orn2_b64 s[10:11], vcc, exec
.LBB198_42:
	s_or_b64 exec, exec, s[8:9]
	s_and_b64 exec, exec, s[10:11]
	s_cbranch_execz .LBB198_45
; %bb.43:
	v_mov_b32_e32 v6, 0x310
	v_lshl_add_u32 v6, v3, 2, v6
	s_mov_b64 s[8:9], 0
.LBB198_44:                             ; =>This Inner Loop Header: Depth=1
	ds_read_b32 v7, v6
	v_add_u32_e32 v3, 0x80, v3
	v_cmp_le_i32_e32 vcc, s3, v3
	s_or_b64 s[8:9], vcc, s[8:9]
	s_waitcnt lgkmcnt(0)
	v_mul_f32_e32 v7, v2, v7
	ds_write_b32 v6, v7
	v_add_u32_e32 v6, 0x200, v6
	s_andn2_b64 exec, exec, s[8:9]
	s_cbranch_execnz .LBB198_44
.LBB198_45:
	s_or_b64 exec, exec, s[6:7]
	s_mul_i32 s3, s33, s40
	v_cmp_eq_u32_e32 vcc, 0, v0
	s_mul_i32 s6, s3, s5
	s_waitcnt lgkmcnt(0)
	s_barrier
	s_and_saveexec_b64 s[8:9], vcc
	s_cbranch_execz .LBB198_47
; %bb.46:
	s_ashr_i32 s7, s6, 31
	s_lshl_b64 s[10:11], s[6:7], 2
	s_add_u32 s5, s26, s10
	s_mul_i32 s2, s33, s2
	s_addc_u32 s7, s27, s11
	s_ashr_i32 s3, s2, 31
	s_lshl_b64 s[2:3], s[2:3], 2
	s_add_u32 s18, s5, s2
	s_addc_u32 s7, s7, s3
	s_ashr_i32 s5, s4, 31
	s_lshl_b64 s[12:13], s[4:5], 2
	s_add_u32 s18, s18, s12
	s_addc_u32 s19, s7, s13
	s_add_u32 s5, s24, s10
	s_addc_u32 s7, s25, s11
	s_add_u32 s2, s5, s2
	s_addc_u32 s3, s7, s3
	s_add_u32 s2, s2, s12
	v_mov_b32_e32 v2, 0
	s_addc_u32 s3, s3, s13
	global_store_dword v2, v4, s[18:19]
	global_store_dword v2, v5, s[2:3]
.LBB198_47:
	s_or_b64 exec, exec, s[8:9]
	s_mov_b32 s8, 0
	v_mov_b32_e32 v7, 0
	v_and_b32_e32 v44, 1, v0
	v_mov_b32_e32 v6, 0
	v_mov_b32_e32 v5, 0
	;; [unrolled: 1-line block ×5, first 2 shown]
	s_and_saveexec_b64 s[2:3], s[0:1]
	s_cbranch_execz .LBB198_65
; %bb.48:
	s_sub_i32 s5, s49, s29
	s_ashr_i32 s1, s50, 31
	s_add_u32 s0, s22, s50
	s_addc_u32 s1, s23, s1
	s_abs_i32 s7, s30
	v_cvt_f32_u32_e32 v2, s7
	v_lshlrev_b32_e32 v4, 2, v0
	v_mov_b32_e32 v3, 0
	s_add_i32 s19, s16, -1
	v_rcp_iflag_f32_e32 v2, v2
	s_sub_i32 s9, 0, s7
	v_and_b32_e32 v45, 4, v4
	s_mov_b32 s10, s8
	v_mul_f32_e32 v2, 0x4f7ffffe, v2
	v_cvt_u32_f32_e32 v5, v2
	v_and_b32_e32 v2, 0xfc, v4
	v_lshl_add_u64 v[14:15], s[0:1], 0, v[2:3]
	s_lshl_b64 s[0:1], s[42:43], 2
	v_mul_lo_u32 v4, s9, v5
	s_add_u32 s0, s38, s0
	v_lshlrev_b32_e32 v2, 4, v44
	v_mul_hi_u32 v4, v5, v4
	s_addc_u32 s1, s39, s1
	v_lshl_or_b32 v2, v8, 5, v2
	s_mov_b32 s9, s8
	v_add_u32_e32 v46, v5, v4
	v_lshl_add_u64 v[16:17], v[12:13], 2, s[0:1]
	v_add_u32_e32 v13, 0x310, v2
	s_mov_b32 s11, s8
	s_mov_b32 s12, s8
	;; [unrolled: 1-line block ×3, first 2 shown]
	v_mov_b64_e32 v[2:3], s[8:9]
	s_mov_b32 s18, s17
	s_mov_b64 s[16:17], 0
	v_mov_b64_e32 v[4:5], s[10:11]
	v_mov_b64_e32 v[6:7], s[12:13]
	s_branch .LBB198_51
.LBB198_49:                             ;   in Loop: Header=BB198_51 Depth=1
	s_or_b64 exec, exec, s[0:1]
	v_mul_f32_e32 v21, v9, v21
	v_fmac_f32_e32 v21, v8, v20
	v_fmac_f32_e32 v21, v10, v18
	v_mul_f32_e32 v18, v9, v27
	v_fmac_f32_e32 v18, v8, v26
	v_fmac_f32_e32 v18, v10, v24
	v_fmac_f32_e32 v18, v11, v25
	v_add_f32_e32 v3, v3, v18
	v_mul_f32_e32 v18, v9, v31
	v_fmac_f32_e32 v18, v8, v30
	v_fmac_f32_e32 v18, v10, v28
	v_fmac_f32_e32 v18, v11, v29
	v_add_f32_e32 v4, v4, v18
	;; [unrolled: 5-line block ×3, first 2 shown]
	v_mul_f32_e32 v18, v9, v39
	v_mul_f32_e32 v9, v9, v41
	v_fmac_f32_e32 v18, v8, v38
	v_fmac_f32_e32 v9, v8, v40
	;; [unrolled: 1-line block ×7, first 2 shown]
	v_add_f32_e32 v2, v2, v21
	v_add_f32_e32 v6, v6, v18
	;; [unrolled: 1-line block ×3, first 2 shown]
.LBB198_50:                             ;   in Loop: Header=BB198_51 Depth=1
	s_or_b64 exec, exec, s[8:9]
	v_add_u32_e32 v12, 2, v12
	v_cmp_le_i32_e32 vcc, s28, v12
	v_lshl_add_u64 v[16:17], v[16:17], 0, 8
	v_add_u32_e32 v1, 16, v1
	s_or_b64 s[16:17], vcc, s[16:17]
	v_add_u32_e32 v13, 64, v13
	s_andn2_b64 exec, exec, s[16:17]
	s_cbranch_execz .LBB198_64
.LBB198_51:                             ; =>This Inner Loop Header: Depth=1
	v_sub_u32_e32 v9, 0, v1
	v_max_i32_e32 v9, v1, v9
	v_mul_hi_u32 v10, v9, s48
	v_mul_lo_u32 v11, v10, s37
	v_sub_u32_e32 v9, v9, v11
	v_add_u32_e32 v11, 1, v10
	v_cmp_le_u32_e32 vcc, s37, v9
	v_ashrrev_i32_e32 v8, 31, v1
	v_xor_b32_e32 v8, s31, v8
	v_cndmask_b32_e32 v10, v10, v11, vcc
	v_subrev_u32_e32 v11, s37, v9
	v_cndmask_b32_e32 v9, v9, v11, vcc
	v_add_u32_e32 v11, 1, v10
	v_cmp_le_u32_e32 vcc, s37, v9
	s_nop 1
	v_cndmask_b32_e32 v9, v10, v11, vcc
	v_xor_b32_e32 v9, v9, v8
	v_sub_u32_e32 v8, v9, v8
	v_add_u32_e32 v9, s44, v8
	v_sub_u32_e32 v11, 0, v9
	v_ashrrev_i32_e32 v10, 31, v9
	v_max_i32_e32 v9, v9, v11
	v_mul_hi_u32 v11, v9, v46
	v_mul_lo_u32 v11, v11, s7
	v_sub_u32_e32 v9, v9, v11
	v_subrev_u32_e32 v11, s7, v9
	v_cmp_le_u32_e32 vcc, s7, v9
	v_cmp_lt_i32_e64 s[0:1], s5, v8
	s_nop 0
	v_cndmask_b32_e32 v9, v9, v11, vcc
	v_subrev_u32_e32 v11, s7, v9
	v_cmp_le_u32_e32 vcc, s7, v9
	s_nop 1
	v_cndmask_b32_e32 v9, v9, v11, vcc
	v_xor_b32_e32 v9, v9, v10
	v_sub_u32_e32 v9, v9, v10
	v_cmp_eq_u32_e32 vcc, 0, v9
	s_or_b64 s[0:1], vcc, s[0:1]
	s_and_saveexec_b64 s[8:9], s[0:1]
	s_cbranch_execz .LBB198_50
; %bb.52:                               ;   in Loop: Header=BB198_51 Depth=1
	global_load_dword v8, v[16:17], off
	s_load_dword s10, s[14:15], 0x0
	v_add_u32_e32 v47, v45, v1
	v_cmp_eq_u32_e32 vcc, s19, v12
	v_add_u32_e32 v49, 1, v47
	v_add_u32_e32 v48, 2, v47
	;; [unrolled: 1-line block ×3, first 2 shown]
	s_waitcnt vmcnt(0)
	v_mad_i64_i32 v[22:23], s[0:1], v8, s18, v[14:15]
	global_load_dword v18, v[22:23], off
	ds_read_b128 v[8:11], v13
	s_waitcnt vmcnt(0)
	v_and_b32_e32 v19, 0xffff, v18
	v_lshrrev_b32_e32 v20, 16, v18
	v_cvt_pk_f32_fp8_e32 v[18:19], v19
	v_cvt_pk_f32_fp8_e32 v[24:25], v20
	s_waitcnt lgkmcnt(0)
	v_pk_mul_f32 v[20:21], s[10:11], v[18:19] op_sel_hi:[0,1]
	v_pk_mul_f32 v[18:19], s[10:11], v[24:25] op_sel_hi:[0,1]
	s_and_saveexec_b64 s[12:13], vcc
; %bb.53:                               ;   in Loop: Header=BB198_51 Depth=1
	v_cmp_gt_i32_e64 s[0:1], s41, v47
	s_nop 1
	v_cndmask_b32_e64 v20, 0, v20, s[0:1]
	v_cmp_gt_i32_e64 s[0:1], s41, v49
	s_nop 1
	v_cndmask_b32_e64 v21, 0, v21, s[0:1]
	;; [unrolled: 3-line block ×4, first 2 shown]
; %bb.54:                               ;   in Loop: Header=BB198_51 Depth=1
	s_or_b64 exec, exec, s[12:13]
	global_load_dword v24, v[22:23], off offset:256
	s_mov_b32 s11, s10
	s_waitcnt vmcnt(0)
	v_and_b32_e32 v25, 0xffff, v24
	v_lshrrev_b32_e32 v26, 16, v24
	v_cvt_pk_f32_fp8_e32 v[24:25], v25
	v_cvt_pk_f32_fp8_e32 v[28:29], v26
	v_pk_mul_f32 v[26:27], s[10:11], v[24:25]
	v_pk_mul_f32 v[24:25], s[10:11], v[28:29]
	s_and_saveexec_b64 s[12:13], vcc
; %bb.55:                               ;   in Loop: Header=BB198_51 Depth=1
	v_cmp_gt_i32_e64 s[0:1], s41, v47
	s_nop 1
	v_cndmask_b32_e64 v26, 0, v26, s[0:1]
	v_cmp_gt_i32_e64 s[0:1], s41, v49
	s_nop 1
	v_cndmask_b32_e64 v27, 0, v27, s[0:1]
	v_cmp_gt_i32_e64 s[0:1], s41, v48
	s_nop 1
	v_cndmask_b32_e64 v24, 0, v24, s[0:1]
	v_cmp_gt_i32_e64 s[0:1], s41, v50
	s_nop 1
	v_cndmask_b32_e64 v25, 0, v25, s[0:1]
; %bb.56:                               ;   in Loop: Header=BB198_51 Depth=1
	s_or_b64 exec, exec, s[12:13]
	global_load_dword v28, v[22:23], off offset:512
	s_waitcnt vmcnt(0)
	v_and_b32_e32 v29, 0xffff, v28
	v_lshrrev_b32_e32 v30, 16, v28
	v_cvt_pk_f32_fp8_e32 v[28:29], v29
	v_cvt_pk_f32_fp8_e32 v[32:33], v30
	v_pk_mul_f32 v[30:31], s[10:11], v[28:29]
	v_pk_mul_f32 v[28:29], s[10:11], v[32:33]
	s_and_saveexec_b64 s[12:13], vcc
; %bb.57:                               ;   in Loop: Header=BB198_51 Depth=1
	v_cmp_gt_i32_e64 s[0:1], s41, v47
	s_nop 1
	v_cndmask_b32_e64 v30, 0, v30, s[0:1]
	v_cmp_gt_i32_e64 s[0:1], s41, v49
	s_nop 1
	v_cndmask_b32_e64 v31, 0, v31, s[0:1]
	v_cmp_gt_i32_e64 s[0:1], s41, v48
	s_nop 1
	v_cndmask_b32_e64 v28, 0, v28, s[0:1]
	v_cmp_gt_i32_e64 s[0:1], s41, v50
	s_nop 1
	v_cndmask_b32_e64 v29, 0, v29, s[0:1]
; %bb.58:                               ;   in Loop: Header=BB198_51 Depth=1
	s_or_b64 exec, exec, s[12:13]
	global_load_dword v32, v[22:23], off offset:768
	;; [unrolled: 24-line block ×4, first 2 shown]
	s_waitcnt vmcnt(0)
	v_and_b32_e32 v23, 0xffff, v22
	v_lshrrev_b32_e32 v40, 16, v22
	v_cvt_pk_f32_fp8_e32 v[22:23], v23
	v_cvt_pk_f32_fp8_e32 v[52:53], v40
	v_pk_mul_f32 v[40:41], s[10:11], v[22:23]
	v_pk_mul_f32 v[22:23], s[10:11], v[52:53]
	s_and_saveexec_b64 s[0:1], vcc
	s_cbranch_execz .LBB198_49
; %bb.63:                               ;   in Loop: Header=BB198_51 Depth=1
	v_cmp_gt_i32_e32 vcc, s41, v47
	s_nop 1
	v_cndmask_b32_e32 v40, 0, v40, vcc
	v_cmp_gt_i32_e32 vcc, s41, v49
	s_nop 1
	v_cndmask_b32_e32 v41, 0, v41, vcc
	;; [unrolled: 3-line block ×4, first 2 shown]
	s_branch .LBB198_49
.LBB198_64:
	s_or_b64 exec, exec, s[16:17]
.LBB198_65:
	s_or_b64 exec, exec, s[2:3]
	ds_bpermute_b32 v8, v43, v2
	ds_bpermute_b32 v9, v43, v3
	;; [unrolled: 1-line block ×6, first 2 shown]
	v_and_b32_e32 v1, 0x3c1, v0
	s_waitcnt lgkmcnt(4)
	v_pk_add_f32 v[8:9], v[2:3], v[8:9]
	s_waitcnt lgkmcnt(2)
	v_pk_add_f32 v[2:3], v[4:5], v[10:11]
	v_cmp_eq_u32_e32 vcc, 64, v1
	s_waitcnt lgkmcnt(0)
	v_pk_add_f32 v[4:5], v[6:7], v[12:13]
	s_barrier
	s_and_saveexec_b64 s[0:1], vcc
	s_cbranch_execz .LBB198_67
; %bb.66:
	v_mov_b32_e32 v6, 0x310
	v_lshl_add_u32 v6, v42, 1, v6
	ds_write2_b32 v6, v8, v9 offset1:32
	ds_write2_b32 v6, v2, v3 offset0:64 offset1:96
	ds_write2_b32 v6, v4, v5 offset0:128 offset1:160
.LBB198_67:
	s_or_b64 exec, exec, s[0:1]
	v_cmp_gt_u32_e32 vcc, 64, v0
	s_waitcnt lgkmcnt(0)
	s_barrier
	s_and_saveexec_b64 s[0:1], vcc
	s_cbranch_execz .LBB198_76
; %bb.68:
	v_cmp_eq_u32_e32 vcc, 0, v44
	v_lshrrev_b32_e32 v6, 1, v0
	s_and_saveexec_b64 s[2:3], vcc
	s_cbranch_execnz .LBB198_79
; %bb.69:
	s_or_b64 exec, exec, s[2:3]
	s_and_saveexec_b64 s[2:3], vcc
	s_cbranch_execnz .LBB198_80
.LBB198_70:
	s_or_b64 exec, exec, s[2:3]
	s_and_saveexec_b64 s[2:3], vcc
	s_cbranch_execnz .LBB198_81
.LBB198_71:
	s_or_b64 exec, exec, s[2:3]
	s_and_saveexec_b64 s[2:3], vcc
	s_cbranch_execnz .LBB198_82
.LBB198_72:
	s_or_b64 exec, exec, s[2:3]
	s_and_saveexec_b64 s[2:3], vcc
	s_cbranch_execnz .LBB198_83
.LBB198_73:
	s_or_b64 exec, exec, s[2:3]
	s_and_saveexec_b64 s[2:3], vcc
	s_cbranch_execz .LBB198_75
.LBB198_74:
	v_mov_b32_e32 v7, 0x310
	v_lshl_add_u32 v6, v6, 2, v7
	ds_read_b32 v6, v6 offset:640
	s_waitcnt lgkmcnt(0)
	v_add_f32_e32 v5, v5, v6
.LBB198_75:
	s_or_b64 exec, exec, s[2:3]
.LBB198_76:
	s_or_b64 exec, exec, s[0:1]
	v_cmp_eq_u32_e32 vcc, 0, v1
	s_barrier
	s_and_saveexec_b64 s[0:1], vcc
	s_cbranch_execz .LBB198_78
; %bb.77:
	s_mul_i32 s0, s6, 0xc0
	s_ashr_i32 s1, s0, 31
	s_lshl_b64 s[0:1], s[0:1], 2
	s_add_u32 s2, s34, s0
	s_mul_i32 s0, s33, s36
	s_addc_u32 s3, s35, s1
	s_ashr_i32 s1, s0, 31
	s_lshl_b64 s[0:1], s[0:1], 2
	s_add_u32 s2, s2, s0
	s_mul_i32 s0, s4, 0xc0
	s_addc_u32 s3, s3, s1
	s_ashr_i32 s1, s0, 31
	s_lshl_b64 s[0:1], s[0:1], 2
	s_add_u32 s0, s2, s0
	s_addc_u32 s1, s3, s1
	v_lshlrev_b32_e32 v0, 1, v0
	global_store_dword v0, v8, s[0:1]
	global_store_dword v0, v9, s[0:1] offset:128
	global_store_dword v0, v2, s[0:1] offset:256
	;; [unrolled: 1-line block ×5, first 2 shown]
.LBB198_78:
	s_endpgm
.LBB198_79:
	v_mov_b32_e32 v7, 0x310
	v_lshl_add_u32 v7, v6, 2, v7
	ds_read_b32 v7, v7
	s_waitcnt lgkmcnt(0)
	v_add_f32_e32 v8, v8, v7
	s_or_b64 exec, exec, s[2:3]
	s_and_saveexec_b64 s[2:3], vcc
	s_cbranch_execz .LBB198_70
.LBB198_80:
	v_mov_b32_e32 v7, 0x310
	v_lshl_add_u32 v7, v6, 2, v7
	ds_read_b32 v7, v7 offset:128
	s_waitcnt lgkmcnt(0)
	v_add_f32_e32 v9, v9, v7
	s_or_b64 exec, exec, s[2:3]
	s_and_saveexec_b64 s[2:3], vcc
	s_cbranch_execz .LBB198_71
.LBB198_81:
	v_mov_b32_e32 v7, 0x310
	v_lshl_add_u32 v7, v6, 2, v7
	ds_read_b32 v7, v7 offset:256
	s_waitcnt lgkmcnt(0)
	v_add_f32_e32 v2, v2, v7
	s_or_b64 exec, exec, s[2:3]
	s_and_saveexec_b64 s[2:3], vcc
	s_cbranch_execz .LBB198_72
.LBB198_82:
	v_mov_b32_e32 v7, 0x310
	v_lshl_add_u32 v7, v6, 2, v7
	ds_read_b32 v7, v7 offset:384
	s_waitcnt lgkmcnt(0)
	v_add_f32_e32 v3, v3, v7
	s_or_b64 exec, exec, s[2:3]
	s_and_saveexec_b64 s[2:3], vcc
	s_cbranch_execz .LBB198_73
.LBB198_83:
	v_mov_b32_e32 v7, 0x310
	v_lshl_add_u32 v7, v6, 2, v7
	ds_read_b32 v7, v7 offset:512
	s_waitcnt lgkmcnt(0)
	v_add_f32_e32 v4, v4, v7
	s_or_b64 exec, exec, s[2:3]
	s_and_saveexec_b64 s[2:3], vcc
	s_cbranch_execnz .LBB198_74
	s_branch .LBB198_75
	.section	.rodata,"a",@progbits
	.p2align	6, 0x0
	.amdhsa_kernel _ZN4vllm25paged_attention_v2_kernelIfhLi192ELi8ELi128ELNS_18Fp8KVCacheDataTypeE1ELb1ELi512EEEvPfS2_PT_PKS3_PKT0_S9_ifPKiSB_iPKfiiiSD_SD_iiiii
		.amdhsa_group_segment_fixed_size 784
		.amdhsa_private_segment_fixed_size 0
		.amdhsa_kernarg_size 400
		.amdhsa_user_sgpr_count 2
		.amdhsa_user_sgpr_dispatch_ptr 0
		.amdhsa_user_sgpr_queue_ptr 0
		.amdhsa_user_sgpr_kernarg_segment_ptr 1
		.amdhsa_user_sgpr_dispatch_id 0
		.amdhsa_user_sgpr_kernarg_preload_length 0
		.amdhsa_user_sgpr_kernarg_preload_offset 0
		.amdhsa_user_sgpr_private_segment_size 0
		.amdhsa_uses_dynamic_stack 0
		.amdhsa_enable_private_segment 0
		.amdhsa_system_sgpr_workgroup_id_x 1
		.amdhsa_system_sgpr_workgroup_id_y 1
		.amdhsa_system_sgpr_workgroup_id_z 1
		.amdhsa_system_sgpr_workgroup_info 0
		.amdhsa_system_vgpr_workitem_id 0
		.amdhsa_next_free_vgpr 75
		.amdhsa_next_free_sgpr 56
		.amdhsa_accum_offset 76
		.amdhsa_reserve_vcc 1
		.amdhsa_float_round_mode_32 0
		.amdhsa_float_round_mode_16_64 0
		.amdhsa_float_denorm_mode_32 3
		.amdhsa_float_denorm_mode_16_64 3
		.amdhsa_dx10_clamp 1
		.amdhsa_ieee_mode 1
		.amdhsa_fp16_overflow 0
		.amdhsa_tg_split 0
		.amdhsa_exception_fp_ieee_invalid_op 0
		.amdhsa_exception_fp_denorm_src 0
		.amdhsa_exception_fp_ieee_div_zero 0
		.amdhsa_exception_fp_ieee_overflow 0
		.amdhsa_exception_fp_ieee_underflow 0
		.amdhsa_exception_fp_ieee_inexact 0
		.amdhsa_exception_int_div_zero 0
	.end_amdhsa_kernel
	.section	.text._ZN4vllm25paged_attention_v2_kernelIfhLi192ELi8ELi128ELNS_18Fp8KVCacheDataTypeE1ELb1ELi512EEEvPfS2_PT_PKS3_PKT0_S9_ifPKiSB_iPKfiiiSD_SD_iiiii,"axG",@progbits,_ZN4vllm25paged_attention_v2_kernelIfhLi192ELi8ELi128ELNS_18Fp8KVCacheDataTypeE1ELb1ELi512EEEvPfS2_PT_PKS3_PKT0_S9_ifPKiSB_iPKfiiiSD_SD_iiiii,comdat
.Lfunc_end198:
	.size	_ZN4vllm25paged_attention_v2_kernelIfhLi192ELi8ELi128ELNS_18Fp8KVCacheDataTypeE1ELb1ELi512EEEvPfS2_PT_PKS3_PKT0_S9_ifPKiSB_iPKfiiiSD_SD_iiiii, .Lfunc_end198-_ZN4vllm25paged_attention_v2_kernelIfhLi192ELi8ELi128ELNS_18Fp8KVCacheDataTypeE1ELb1ELi512EEEvPfS2_PT_PKS3_PKT0_S9_ifPKiSB_iPKfiiiSD_SD_iiiii
                                        ; -- End function
	.section	.AMDGPU.csdata,"",@progbits
; Kernel info:
; codeLenInByte = 5936
; NumSgprs: 62
; NumVgprs: 75
; NumAgprs: 0
; TotalNumVgprs: 75
; ScratchSize: 0
; MemoryBound: 0
; FloatMode: 240
; IeeeMode: 1
; LDSByteSize: 784 bytes/workgroup (compile time only)
; SGPRBlocks: 7
; VGPRBlocks: 9
; NumSGPRsForWavesPerEU: 62
; NumVGPRsForWavesPerEU: 75
; AccumOffset: 76
; Occupancy: 6
; WaveLimiterHint : 1
; COMPUTE_PGM_RSRC2:SCRATCH_EN: 0
; COMPUTE_PGM_RSRC2:USER_SGPR: 2
; COMPUTE_PGM_RSRC2:TRAP_HANDLER: 0
; COMPUTE_PGM_RSRC2:TGID_X_EN: 1
; COMPUTE_PGM_RSRC2:TGID_Y_EN: 1
; COMPUTE_PGM_RSRC2:TGID_Z_EN: 1
; COMPUTE_PGM_RSRC2:TIDIG_COMP_CNT: 0
; COMPUTE_PGM_RSRC3_GFX90A:ACCUM_OFFSET: 18
; COMPUTE_PGM_RSRC3_GFX90A:TG_SPLIT: 0
	.section	.text._ZN4vllm25paged_attention_v2_kernelIfhLi256ELi8ELi128ELNS_18Fp8KVCacheDataTypeE1ELb1ELi512EEEvPfS2_PT_PKS3_PKT0_S9_ifPKiSB_iPKfiiiSD_SD_iiiii,"axG",@progbits,_ZN4vllm25paged_attention_v2_kernelIfhLi256ELi8ELi128ELNS_18Fp8KVCacheDataTypeE1ELb1ELi512EEEvPfS2_PT_PKS3_PKT0_S9_ifPKiSB_iPKfiiiSD_SD_iiiii,comdat
	.protected	_ZN4vllm25paged_attention_v2_kernelIfhLi256ELi8ELi128ELNS_18Fp8KVCacheDataTypeE1ELb1ELi512EEEvPfS2_PT_PKS3_PKT0_S9_ifPKiSB_iPKfiiiSD_SD_iiiii ; -- Begin function _ZN4vllm25paged_attention_v2_kernelIfhLi256ELi8ELi128ELNS_18Fp8KVCacheDataTypeE1ELb1ELi512EEEvPfS2_PT_PKS3_PKT0_S9_ifPKiSB_iPKfiiiSD_SD_iiiii
	.globl	_ZN4vllm25paged_attention_v2_kernelIfhLi256ELi8ELi128ELNS_18Fp8KVCacheDataTypeE1ELb1ELi512EEEvPfS2_PT_PKS3_PKT0_S9_ifPKiSB_iPKfiiiSD_SD_iiiii
	.p2align	8
	.type	_ZN4vllm25paged_attention_v2_kernelIfhLi256ELi8ELi128ELNS_18Fp8KVCacheDataTypeE1ELb1ELi512EEEvPfS2_PT_PKS3_PKT0_S9_ifPKiSB_iPKfiiiSD_SD_iiiii,@function
_ZN4vllm25paged_attention_v2_kernelIfhLi256ELi8ELi128ELNS_18Fp8KVCacheDataTypeE1ELb1ELi512EEEvPfS2_PT_PKS3_PKT0_S9_ifPKiSB_iPKfiiiSD_SD_iiiii: ; @_ZN4vllm25paged_attention_v2_kernelIfhLi256ELi8ELi128ELNS_18Fp8KVCacheDataTypeE1ELb1ELi512EEEvPfS2_PT_PKS3_PKT0_S9_ifPKiSB_iPKfiiiSD_SD_iiiii
; %bb.0:
	s_load_dwordx2 s[6:7], s[0:1], 0x40
	s_mov_b32 s40, s3
	s_ashr_i32 s41, s3, 31
	s_lshl_b64 s[8:9], s[40:41], 2
	s_waitcnt lgkmcnt(0)
	s_add_u32 s6, s6, s8
	s_addc_u32 s7, s7, s9
	s_load_dword s41, s[6:7], 0x0
	s_lshl_b32 s51, s4, 9
	s_waitcnt lgkmcnt(0)
	s_cmp_ge_i32 s51, s41
	s_cbranch_scc1 .LBB199_84
; %bb.1:
	s_load_dword s5, s[0:1], 0x90
	s_load_dwordx2 s[44:45], s[0:1], 0x30
	s_waitcnt lgkmcnt(0)
	s_abs_i32 s7, s5
	s_abs_i32 s3, s44
	v_cvt_f32_u32_e32 v1, s3
	s_sub_i32 s8, 0, s3
	s_xor_b32 s6, s5, s44
	s_ashr_i32 s6, s6, 31
	v_rcp_iflag_f32_e32 v1, v1
	s_nop 0
	v_mul_f32_e32 v1, 0x4f7ffffe, v1
	v_cvt_u32_f32_e32 v1, v1
	s_nop 0
	v_readfirstlane_b32 s9, v1
	s_mul_i32 s8, s8, s9
	s_mul_hi_u32 s8, s9, s8
	s_add_i32 s9, s9, s8
	s_mul_hi_u32 s8, s7, s9
	s_mul_i32 s9, s8, s3
	s_sub_i32 s7, s7, s9
	s_add_i32 s10, s8, 1
	s_sub_i32 s9, s7, s3
	s_cmp_ge_u32 s7, s3
	s_cselect_b32 s8, s10, s8
	s_cselect_b32 s7, s9, s7
	s_add_i32 s9, s8, 1
	s_cmp_ge_u32 s7, s3
	s_cselect_b32 s3, s9, s8
	s_xor_b32 s3, s3, s6
	s_sub_i32 s17, s3, s6
	s_abs_i32 s16, s17
	v_cvt_f32_u32_e32 v1, s16
	s_load_dwordx2 s[6:7], s[0:1], 0x50
	s_sub_i32 s3, 0, s16
	s_abs_i32 s18, s2
	v_rcp_iflag_f32_e32 v1, v1
	s_nop 0
	v_mul_f32_e32 v1, 0x4f7ffffe, v1
	v_cvt_u32_f32_e32 v1, v1
	s_nop 0
	v_readfirstlane_b32 s8, v1
	s_mul_i32 s3, s3, s8
	s_mul_hi_u32 s3, s8, s3
	s_add_i32 s8, s8, s3
	s_waitcnt lgkmcnt(0)
	s_cmp_eq_u64 s[6:7], 0
	s_mov_b32 s3, 0
	s_cbranch_scc1 .LBB199_3
; %bb.2:
	s_ashr_i32 s3, s2, 31
	s_lshl_b64 s[10:11], s[2:3], 2
	s_add_u32 s6, s6, s10
	s_addc_u32 s7, s7, s11
	s_load_dword s3, s[6:7], 0x0
.LBB199_3:
	s_load_dwordx4 s[24:27], s[0:1], 0x0
	s_load_dwordx2 s[34:35], s[0:1], 0x10
	s_load_dwordx4 s[20:23], s[0:1], 0x20
	s_load_dwordx2 s[38:39], s[0:1], 0x38
	s_load_dword s33, s[0:1], 0x98
	s_load_dwordx4 s[12:15], s[0:1], 0x58
	s_lshl_b32 s36, s2, 8
	s_movk_i32 s6, 0x100
	s_mul_hi_u32 s19, s18, s8
	v_and_b32_e32 v24, 7, v0
	s_ashr_i32 s37, s36, 31
	v_cmp_gt_u32_e32 vcc, s6, v0
	s_and_saveexec_b64 s[6:7], vcc
	s_cbranch_execz .LBB199_6
; %bb.4:
	s_load_dwordx2 s[8:9], s[0:1], 0x18
	s_waitcnt lgkmcnt(0)
	s_mul_i32 s10, s40, s12
	s_ashr_i32 s11, s10, 31
	s_lshl_b64 s[10:11], s[10:11], 2
	s_lshl_b64 s[28:29], s[36:37], 2
	v_lshrrev_b32_e32 v2, 3, v0
	s_add_u32 s10, s10, s28
	v_lshlrev_b32_e32 v3, 2, v2
	s_addc_u32 s11, s11, s29
	v_lshl_add_u32 v4, v24, 7, v3
	v_lshlrev_b32_e32 v3, 2, v24
	s_add_u32 s8, s8, s10
	v_add_u32_e32 v1, -16, v2
	v_lshl_or_b32 v2, v2, 5, v3
	v_mov_b32_e32 v3, 0
	s_addc_u32 s9, s9, s11
	v_lshl_add_u64 v[2:3], s[8:9], 0, v[2:3]
	s_mov_b64 s[8:9], 0
	s_mov_b64 s[10:11], 0x200
.LBB199_5:                              ; =>This Inner Loop Header: Depth=1
	global_load_dword v5, v[2:3], off
	v_add_co_u32_e32 v1, vcc, 16, v1
	s_xor_b64 s[28:29], vcc, -1
	s_and_b64 s[28:29], exec, s[28:29]
	v_lshl_add_u64 v[2:3], v[2:3], 0, s[10:11]
	s_or_b64 s[8:9], s[28:29], s[8:9]
	s_waitcnt vmcnt(0)
	ds_write_b32 v4, v5
	v_add_u32_e32 v4, 64, v4
	s_andn2_b64 exec, exec, s[8:9]
	s_cbranch_execnz .LBB199_5
.LBB199_6:
	s_or_b64 exec, exec, s[6:7]
	s_ashr_i32 s6, s2, 31
	s_ashr_i32 s7, s17, 31
	s_xor_b32 s6, s6, s7
	s_mul_i32 s7, s19, s16
	s_sub_i32 s7, s18, s7
	s_add_i32 s8, s19, 1
	s_sub_i32 s9, s7, s16
	s_load_dwordx4 s[28:31], s[0:1], 0x78
	s_cmp_ge_u32 s7, s16
	s_cselect_b32 s8, s8, s19
	s_cselect_b32 s7, s9, s7
	s_add_i32 s9, s8, 1
	s_cmp_ge_u32 s7, s16
	s_cselect_b32 s7, s9, s8
	s_load_dword s8, s[0:1], 0x88
	s_waitcnt lgkmcnt(0)
	s_abs_i32 s37, s31
	v_cvt_f32_u32_e32 v1, s37
	s_xor_b32 s7, s7, s6
	s_sub_i32 s50, s7, s6
	s_sub_i32 s6, 0, s37
	v_rcp_iflag_f32_e32 v1, v1
	s_add_i32 s11, s41, -1
	s_abs_i32 s9, s11
	v_mul_f32_e32 v1, 0x4f7ffffe, v1
	v_cvt_u32_f32_e32 v1, v1
	s_barrier
	v_readfirstlane_b32 s48, v1
	s_mul_i32 s6, s6, s48
	s_mul_hi_u32 s6, s48, s6
	s_add_i32 s48, s48, s6
	s_cmp_lt_i32 s8, 0
	s_mul_hi_u32 s10, s9, s48
	s_cbranch_scc0 .LBB199_8
; %bb.7:
	s_mul_i32 s6, s28, s44
	s_add_i32 s6, s50, s6
	s_mul_i32 s6, s6, s8
	s_sub_i32 s44, 1, s6
	s_ashr_i32 s11, s11, 31
	s_ashr_i32 s31, s31, 31
	s_cbranch_execz .LBB199_9
	s_branch .LBB199_10
.LBB199_8:
                                        ; implicit-def: $sgpr44
	s_ashr_i32 s11, s11, 31
	s_ashr_i32 s31, s31, 31
.LBB199_9:
	s_mul_i32 s6, s5, s28
	s_add_i32 s6, s6, s2
	s_mul_i32 s6, s6, s8
	s_add_i32 s44, s6, 1
.LBB199_10:
	s_load_dword s6, s[0:1], 0x48
	s_load_dwordx4 s[16:19], s[0:1], 0x68
	s_mul_i32 s1, s10, s37
	s_sub_i32 s1, s9, s1
	s_xor_b32 s0, s11, s31
	s_waitcnt lgkmcnt(0)
	s_mul_i32 s42, s40, s6
	s_ashr_i32 s43, s42, 31
	s_add_i32 s6, s10, 1
	s_sub_i32 s7, s1, s37
	s_cmp_ge_u32 s1, s37
	s_cselect_b32 s6, s6, s10
	s_cselect_b32 s1, s7, s1
	s_add_i32 s7, s6, 1
	s_cmp_ge_u32 s1, s37
	s_cselect_b32 s1, s7, s6
	s_xor_b32 s1, s1, s0
	s_sub_i32 s49, s1, s0
	s_add_i32 s0, s41, 7
	s_ashr_i32 s1, s0, 31
	s_lshr_b32 s1, s1, 29
	s_add_i32 s0, s0, s1
	s_lshl_b32 s52, s4, 6
	s_ashr_i32 s12, s0, 3
	s_add_i32 s0, s52, 64
	v_lshrrev_b32_e32 v30, 6, v0
	s_min_i32 s28, s0, s12
	v_or_b32_e32 v22, s52, v30
	v_cmp_gt_i32_e64 s[0:1], s28, v22
	v_mov_b32_e32 v34, 0xff7fffff
	s_mul_i32 s50, s50, s14
	v_ashrrev_i32_e32 v23, 31, v22
	v_lshl_add_u32 v1, v30, 3, s51
	v_mbcnt_lo_u32_b32 v31, -1, 0
	s_and_saveexec_b64 s[14:15], s[0:1]
	s_cbranch_execz .LBB199_20
; %bb.11:
	s_sub_i32 s53, s49, s29
	s_ashr_i32 s7, s50, 31
	s_add_u32 s6, s20, s50
	s_addc_u32 s7, s21, s7
	s_abs_i32 s54, s30
	v_cvt_f32_u32_e32 v3, s54
	v_bfe_u32 v32, v0, 3, 3
	v_lshlrev_b32_e32 v2, 4, v32
	s_sub_i32 s8, 0, s54
	v_rcp_iflag_f32_e32 v4, v3
	v_mov_b32_e32 v3, 0
	v_lshl_add_u64 v[26:27], s[6:7], 0, v[2:3]
	v_mov_b32_e32 v25, v3
	v_mul_f32_e32 v2, 0x4f7ffffe, v4
	v_cvt_u32_f32_e32 v2, v2
	v_mbcnt_hi_u32_b32 v40, -1, v31
	v_cmp_eq_u32_e32 vcc, 0, v24
	s_mov_b32 s55, s13
	v_mul_lo_u32 v3, s8, v2
	v_mul_hi_u32 v3, v2, v3
	v_add_u32_e32 v35, v2, v3
	v_lshlrev_b32_e32 v2, 2, v32
	s_lshl_b64 s[8:9], s[42:43], 2
	v_lshl_or_b32 v2, v30, 5, v2
	s_add_u32 s8, s38, s8
	v_add_u32_e32 v37, 0x410, v2
	v_subrev_u32_e32 v2, s41, v32
	s_addc_u32 s9, s39, s9
	v_add_u32_e32 v38, 1, v2
	v_and_b32_e32 v2, 64, v40
	v_lshlrev_b32_e32 v33, 7, v24
	v_cmp_neq_f32_e64 s[6:7], s3, 0
	v_lshl_add_u64 v[28:29], v[22:23], 2, s[8:9]
	v_lshl_add_u32 v36, v30, 3, s51
	s_mov_b64 s[20:21], 0
	v_mov_b32_e32 v39, 0xff7fffff
	v_add_u32_e32 v41, 64, v2
	v_xor_b32_e32 v42, 4, v40
	v_xor_b32_e32 v43, 2, v40
	;; [unrolled: 1-line block ×3, first 2 shown]
	v_mov_b32_e32 v34, 0xff7fffff
	v_mov_b32_e32 v45, v22
	s_branch .LBB199_14
.LBB199_12:                             ;   in Loop: Header=BB199_14 Depth=1
	s_or_b64 exec, exec, s[46:47]
.LBB199_13:                             ;   in Loop: Header=BB199_14 Depth=1
	s_or_b64 exec, exec, s[10:11]
	v_add_u32_e32 v45, 2, v45
	v_cmp_le_i32_e64 s[8:9], s28, v45
	v_lshl_add_u64 v[28:29], v[28:29], 0, 8
	v_add_u32_e32 v36, 16, v36
	s_or_b64 s[20:21], s[8:9], s[20:21]
	v_add_u32_e32 v37, 64, v37
	s_andn2_b64 exec, exec, s[20:21]
	s_cbranch_execz .LBB199_19
.LBB199_14:                             ; =>This Inner Loop Header: Depth=1
	s_waitcnt lgkmcnt(0)
	v_sub_u32_e32 v3, 0, v36
	v_max_i32_e32 v3, v36, v3
	v_mul_hi_u32 v4, v3, s48
	v_mul_lo_u32 v5, v4, s37
	v_sub_u32_e32 v3, v3, v5
	v_add_u32_e32 v5, 1, v4
	v_cmp_le_u32_e64 s[8:9], s37, v3
	v_ashrrev_i32_e32 v2, 31, v36
	v_xor_b32_e32 v2, s31, v2
	v_cndmask_b32_e64 v4, v4, v5, s[8:9]
	v_subrev_u32_e32 v5, s37, v3
	v_cndmask_b32_e64 v3, v3, v5, s[8:9]
	v_add_u32_e32 v5, 1, v4
	v_cmp_le_u32_e64 s[8:9], s37, v3
	s_nop 1
	v_cndmask_b32_e64 v3, v4, v5, s[8:9]
	v_xor_b32_e32 v3, v3, v2
	v_sub_u32_e32 v2, v3, v2
	v_add_u32_e32 v3, s44, v2
	v_sub_u32_e32 v5, 0, v3
	v_ashrrev_i32_e32 v4, 31, v3
	v_max_i32_e32 v3, v3, v5
	v_mul_hi_u32 v5, v3, v35
	v_mul_lo_u32 v5, v5, s54
	v_sub_u32_e32 v3, v3, v5
	v_subrev_u32_e32 v5, s54, v3
	v_cmp_le_u32_e64 s[8:9], s54, v3
	v_cmp_ge_i32_e64 s[10:11], s53, v2
	s_nop 0
	v_cndmask_b32_e64 v3, v3, v5, s[8:9]
	v_subrev_u32_e32 v5, s54, v3
	v_cmp_le_u32_e64 s[8:9], s54, v3
	s_nop 1
	v_cndmask_b32_e64 v3, v3, v5, s[8:9]
	v_xor_b32_e32 v3, v3, v4
	v_sub_u32_e32 v3, v3, v4
	v_cmp_ne_u32_e64 s[8:9], 0, v3
	s_and_b64 s[8:9], s[8:9], s[10:11]
	s_and_b64 s[46:47], vcc, s[8:9]
	s_and_saveexec_b64 s[10:11], s[46:47]
	s_cbranch_execz .LBB199_16
; %bb.15:                               ;   in Loop: Header=BB199_14 Depth=1
	ds_write_b32 v37, v39
.LBB199_16:                             ;   in Loop: Header=BB199_14 Depth=1
	s_or_b64 exec, exec, s[10:11]
	s_xor_b64 s[8:9], s[8:9], -1
	s_and_saveexec_b64 s[10:11], s[8:9]
	s_cbranch_execz .LBB199_13
; %bb.17:                               ;   in Loop: Header=BB199_14 Depth=1
	global_load_dword v2, v[28:29], off
	s_waitcnt vmcnt(0)
	v_mad_i64_i32 v[2:3], s[8:9], v2, s55, v[26:27]
	v_lshl_add_u64 v[2:3], v[2:3], 0, v[24:25]
	global_load_ubyte v50, v[2:3], off
	global_load_ubyte v51, v[2:3], off offset:8
	global_load_ubyte v58, v[2:3], off offset:128
	;; [unrolled: 1-line block ×31, first 2 shown]
	ds_read_b128 v[18:21], v33
	ds_read_b128 v[14:17], v33 offset:16
	ds_read_b128 v[6:9], v33 offset:32
	;; [unrolled: 1-line block ×3, first 2 shown]
	s_load_dword s46, s[16:17], 0x0
	ds_read_b128 v[46:49], v33 offset:64
	ds_read_b128 v[10:13], v33 offset:80
	v_cmp_lt_i32_e64 s[8:9], v42, v41
	s_waitcnt vmcnt(31)
	v_cvt_f32_fp8_sdwa v88, v50 src0_sel:BYTE_0
	s_waitcnt vmcnt(30)
	v_cvt_f32_fp8_sdwa v89, v51 src0_sel:BYTE_0
	s_waitcnt vmcnt(29)
	v_cvt_f32_fp8_sdwa v58, v58 src0_sel:BYTE_0
	s_waitcnt vmcnt(28)
	v_cvt_f32_fp8_sdwa v59, v59 src0_sel:BYTE_0
	s_waitcnt vmcnt(27)
	v_cvt_f32_fp8_sdwa v60, v60 src0_sel:BYTE_0
	s_waitcnt lgkmcnt(0)
	v_mul_f32_e32 v89, s46, v89
	v_mul_f32_e32 v88, s46, v88
	;; [unrolled: 1-line block ×3, first 2 shown]
	s_waitcnt vmcnt(26)
	v_cvt_f32_fp8_sdwa v61, v61 src0_sel:BYTE_0
	v_fmac_f32_e32 v19, v18, v88
	s_waitcnt vmcnt(25)
	v_cvt_f32_fp8_sdwa v62, v62 src0_sel:BYTE_0
	v_mul_f32_e32 v58, s46, v58
	s_waitcnt vmcnt(24)
	v_cvt_f32_fp8_sdwa v63, v63 src0_sel:BYTE_0
	v_mul_f32_e32 v59, s46, v59
	v_fmac_f32_e32 v19, v20, v58
	s_waitcnt vmcnt(23)
	v_cvt_f32_fp8_sdwa v64, v64 src0_sel:BYTE_0
	v_mul_f32_e32 v60, s46, v60
	v_fmac_f32_e32 v19, v21, v59
	s_waitcnt vmcnt(22)
	v_cvt_f32_fp8_sdwa v65, v65 src0_sel:BYTE_0
	v_mul_f32_e32 v61, s46, v61
	v_fmac_f32_e32 v19, v14, v60
	s_waitcnt vmcnt(21)
	v_cvt_f32_fp8_sdwa v66, v66 src0_sel:BYTE_0
	v_mul_f32_e32 v62, s46, v62
	v_fmac_f32_e32 v19, v15, v61
	s_waitcnt vmcnt(20)
	v_cvt_f32_fp8_sdwa v67, v67 src0_sel:BYTE_0
	v_mul_f32_e32 v63, s46, v63
	v_fmac_f32_e32 v19, v16, v62
	s_waitcnt vmcnt(19)
	v_cvt_f32_fp8_sdwa v68, v68 src0_sel:BYTE_0
	v_mul_f32_e32 v64, s46, v64
	v_fmac_f32_e32 v19, v17, v63
	s_waitcnt vmcnt(18)
	v_cvt_f32_fp8_sdwa v69, v69 src0_sel:BYTE_0
	v_mul_f32_e32 v65, s46, v65
	v_fmac_f32_e32 v19, v6, v64
	s_waitcnt vmcnt(17)
	v_cvt_f32_fp8_sdwa v70, v70 src0_sel:BYTE_0
	v_mul_f32_e32 v66, s46, v66
	v_fmac_f32_e32 v19, v7, v65
	s_waitcnt vmcnt(16)
	v_cvt_f32_fp8_sdwa v71, v71 src0_sel:BYTE_0
	v_mul_f32_e32 v67, s46, v67
	v_fmac_f32_e32 v19, v8, v66
	s_waitcnt vmcnt(15)
	v_cvt_f32_fp8_sdwa v72, v72 src0_sel:BYTE_0
	v_mul_f32_e32 v68, s46, v68
	v_fmac_f32_e32 v19, v9, v67
	s_waitcnt vmcnt(14)
	v_cvt_f32_fp8_sdwa v73, v73 src0_sel:BYTE_0
	v_mul_f32_e32 v69, s46, v69
	v_fmac_f32_e32 v19, v2, v68
	s_waitcnt vmcnt(13)
	v_cvt_f32_fp8_sdwa v74, v74 src0_sel:BYTE_0
	v_mul_f32_e32 v70, s46, v70
	v_fmac_f32_e32 v19, v3, v69
	s_waitcnt vmcnt(12)
	v_cvt_f32_fp8_sdwa v75, v75 src0_sel:BYTE_0
	v_mul_f32_e32 v71, s46, v71
	v_fmac_f32_e32 v19, v4, v70
	s_waitcnt vmcnt(11)
	v_cvt_f32_fp8_sdwa v76, v76 src0_sel:BYTE_0
	v_mul_f32_e32 v72, s46, v72
	v_fmac_f32_e32 v19, v5, v71
	s_waitcnt vmcnt(10)
	v_cvt_f32_fp8_sdwa v77, v77 src0_sel:BYTE_0
	v_mul_f32_e32 v73, s46, v73
	v_fmac_f32_e32 v19, v46, v72
	s_waitcnt vmcnt(9)
	v_cvt_f32_fp8_sdwa v78, v78 src0_sel:BYTE_0
	v_mul_f32_e32 v74, s46, v74
	v_fmac_f32_e32 v19, v47, v73
	s_waitcnt vmcnt(8)
	v_cvt_f32_fp8_sdwa v79, v79 src0_sel:BYTE_0
	v_mul_f32_e32 v75, s46, v75
	v_fmac_f32_e32 v19, v48, v74
	s_waitcnt vmcnt(7)
	v_cvt_f32_fp8_sdwa v80, v80 src0_sel:BYTE_0
	v_mul_f32_e32 v76, s46, v76
	v_fmac_f32_e32 v19, v49, v75
	ds_read_b128 v[50:53], v33 offset:96
	ds_read_b128 v[54:57], v33 offset:112
	s_waitcnt vmcnt(6)
	v_cvt_f32_fp8_sdwa v81, v81 src0_sel:BYTE_0
	v_mul_f32_e32 v77, s46, v77
	v_fmac_f32_e32 v19, v10, v76
	s_waitcnt vmcnt(5)
	v_cvt_f32_fp8_sdwa v82, v82 src0_sel:BYTE_0
	v_mul_f32_e32 v78, s46, v78
	v_fmac_f32_e32 v19, v11, v77
	;; [unrolled: 4-line block ×4, first 2 shown]
	s_waitcnt vmcnt(2)
	v_cvt_f32_fp8_sdwa v85, v85 src0_sel:BYTE_0
	v_mul_f32_e32 v81, s46, v81
	s_waitcnt lgkmcnt(1)
	v_fmac_f32_e32 v19, v50, v80
	s_waitcnt vmcnt(1)
	v_cvt_f32_fp8_sdwa v86, v86 src0_sel:BYTE_0
	v_mul_f32_e32 v82, s46, v82
	v_fmac_f32_e32 v19, v51, v81
	s_waitcnt vmcnt(0)
	v_cvt_f32_fp8_sdwa v87, v87 src0_sel:BYTE_0
	v_mul_f32_e32 v83, s46, v83
	v_fmac_f32_e32 v19, v52, v82
	v_mul_f32_e32 v84, s46, v84
	v_fmac_f32_e32 v19, v53, v83
	v_mul_f32_e32 v85, s46, v85
	s_waitcnt lgkmcnt(0)
	v_fmac_f32_e32 v19, v54, v84
	v_mul_f32_e32 v86, s46, v86
	v_fmac_f32_e32 v19, v55, v85
	v_cndmask_b32_e64 v18, v40, v42, s[8:9]
	v_mul_f32_e32 v87, s46, v87
	v_fmac_f32_e32 v19, v56, v86
	v_lshlrev_b32_e32 v6, 2, v18
	v_fmac_f32_e32 v19, v57, v87
	ds_bpermute_b32 v2, v6, v19
	v_cmp_lt_i32_e64 s[8:9], v43, v41
	s_waitcnt lgkmcnt(0)
	v_add_f32_e32 v2, v19, v2
	v_cndmask_b32_e64 v3, v40, v43, s[8:9]
	v_lshlrev_b32_e32 v3, 2, v3
	ds_bpermute_b32 v3, v3, v2
	v_cmp_lt_i32_e64 s[8:9], v44, v41
	s_waitcnt lgkmcnt(0)
	v_add_f32_e32 v2, v2, v3
	v_cndmask_b32_e64 v4, v40, v44, s[8:9]
	v_lshlrev_b32_e32 v4, 2, v4
	ds_bpermute_b32 v3, v4, v2
	s_and_saveexec_b64 s[46:47], vcc
	s_cbranch_execz .LBB199_12
; %bb.18:                               ;   in Loop: Header=BB199_14 Depth=1
	v_add_u32_e32 v4, v38, v36
	v_cvt_f32_i32_e32 v4, v4
	s_waitcnt lgkmcnt(0)
	v_add_f32_e32 v2, v2, v3
	v_add_u32_e32 v5, v32, v36
	v_cmp_gt_i32_e64 s[8:9], s41, v5
	v_mul_f32_e32 v3, s3, v4
	v_cndmask_b32_e64 v3, 0, v3, s[6:7]
	v_fmac_f32_e32 v3, s45, v2
	v_cndmask_b32_e64 v2, 0, v3, s[8:9]
	ds_write_b32 v37, v2
	v_max_f32_e32 v2, v34, v34
	v_max_f32_e32 v2, v2, v3
	v_cndmask_b32_e64 v34, v34, v2, s[8:9]
	s_branch .LBB199_12
.LBB199_19:
	s_or_b64 exec, exec, s[20:21]
.LBB199_20:
	s_or_b64 exec, exec, s[14:15]
	v_mbcnt_hi_u32_b32 v2, -1, v31
	s_waitcnt lgkmcnt(0)
	v_and_b32_e32 v3, 64, v2
	v_add_u32_e32 v3, 64, v3
	v_xor_b32_e32 v4, 32, v2
	v_cmp_lt_i32_e32 vcc, v4, v3
	v_xor_b32_e32 v7, 16, v2
	v_max_f32_e32 v5, v34, v34
	v_cndmask_b32_e32 v4, v2, v4, vcc
	v_lshlrev_b32_e32 v6, 2, v4
	ds_bpermute_b32 v4, v6, v34
	v_cmp_lt_i32_e32 vcc, v7, v3
	v_and_b32_e32 v52, 63, v0
	s_waitcnt lgkmcnt(0)
	v_max_f32_e32 v4, v4, v4
	v_max_f32_e32 v4, v5, v4
	v_cndmask_b32_e32 v5, v2, v7, vcc
	v_lshlrev_b32_e32 v8, 2, v5
	ds_bpermute_b32 v5, v8, v4
	v_xor_b32_e32 v7, 8, v2
	v_cmp_lt_i32_e32 vcc, v7, v3
	s_waitcnt lgkmcnt(0)
	v_max_f32_e32 v5, v5, v5
	v_max_f32_e32 v4, v4, v5
	v_cndmask_b32_e32 v5, v2, v7, vcc
	v_lshlrev_b32_e32 v9, 2, v5
	ds_bpermute_b32 v7, v9, v4
	v_cmp_eq_u32_e32 vcc, 0, v52
	v_lshlrev_b32_e32 v5, 2, v30
	s_and_saveexec_b64 s[6:7], vcc
	s_cbranch_execz .LBB199_22
; %bb.21:
	s_waitcnt lgkmcnt(0)
	v_max_f32_e32 v7, v7, v7
	v_max_f32_e32 v4, v4, v4
	;; [unrolled: 1-line block ×3, first 2 shown]
	ds_write_b32 v5, v4 offset:1024
.LBB199_22:
	s_or_b64 exec, exec, s[6:7]
	v_cmp_gt_u32_e64 s[6:7], 2, v52
	v_mov_b32_e32 v4, 0xff7fffff
	s_waitcnt lgkmcnt(0)
	v_lshlrev_b32_e32 v7, 2, v52
	s_barrier
	s_and_saveexec_b64 s[8:9], s[6:7]
	s_cbranch_execz .LBB199_24
; %bb.23:
	ds_read_b32 v4, v7 offset:1024
.LBB199_24:
	s_or_b64 exec, exec, s[8:9]
	v_xor_b32_e32 v10, 1, v2
	v_cmp_lt_i32_e64 s[8:9], v10, v3
	s_sub_i32 s3, s28, s52
	s_lshl_b32 s3, s3, 3
	v_cndmask_b32_e64 v10, v2, v10, s[8:9]
	v_lshlrev_b32_e32 v53, 2, v10
	s_waitcnt lgkmcnt(0)
	ds_bpermute_b32 v10, v53, v4
	v_max_f32_e32 v4, v4, v4
	s_add_i32 s3, s3, s51
	s_min_i32 s20, s3, s41
	s_sub_i32 s3, s20, s51
	s_waitcnt lgkmcnt(0)
	v_max_f32_e32 v10, v10, v10
	v_max_f32_e32 v4, v4, v10
	v_lshlrev_b32_e32 v10, 2, v2
	v_and_b32_e32 v10, 0x100, v10
	ds_bpermute_b32 v4, v10, v4
	v_cmp_gt_i32_e64 s[8:9], s3, v0
	v_mov_b32_e32 v11, 0
	s_and_saveexec_b64 s[14:15], s[8:9]
	s_cbranch_execz .LBB199_28
; %bb.25:
	v_mov_b32_e32 v11, 0x410
	v_lshl_add_u32 v12, v0, 2, v11
	s_mov_b64 s[16:17], 0
	v_mov_b32_e32 v11, 0
	v_mov_b32_e32 v13, v0
.LBB199_26:                             ; =>This Inner Loop Header: Depth=1
	ds_read_b32 v14, v12
	v_add_u32_e32 v13, 0x80, v13
	v_cmp_le_i32_e64 s[10:11], s3, v13
	s_or_b64 s[16:17], s[10:11], s[16:17]
	s_waitcnt lgkmcnt(0)
	v_sub_f32_e32 v14, v14, v4
	v_mul_f32_e32 v14, 0x3fb8aa3b, v14
	v_exp_f32_e32 v14, v14
	ds_write_b32 v12, v14
	v_add_f32_e32 v11, v11, v14
	v_add_u32_e32 v12, 0x200, v12
	s_andn2_b64 exec, exec, s[16:17]
	s_cbranch_execnz .LBB199_26
; %bb.27:
	s_or_b64 exec, exec, s[16:17]
.LBB199_28:
	s_or_b64 exec, exec, s[14:15]
	ds_bpermute_b32 v6, v6, v11
	s_waitcnt lgkmcnt(0)
	v_add_f32_e32 v6, v11, v6
	ds_bpermute_b32 v8, v8, v6
	s_waitcnt lgkmcnt(0)
	v_add_f32_e32 v6, v6, v8
	ds_bpermute_b32 v8, v9, v6
	v_xor_b32_e32 v9, 4, v2
	v_cmp_lt_i32_e64 s[10:11], v9, v3
	s_waitcnt lgkmcnt(0)
	v_add_f32_e32 v6, v6, v8
	v_cndmask_b32_e64 v9, v2, v9, s[10:11]
	v_lshlrev_b32_e32 v9, 2, v9
	ds_bpermute_b32 v8, v9, v6
	v_xor_b32_e32 v9, 2, v2
	v_cmp_lt_i32_e64 s[10:11], v9, v3
	s_waitcnt lgkmcnt(0)
	v_add_f32_e32 v3, v6, v8
	v_cndmask_b32_e64 v2, v2, v9, s[10:11]
	v_lshlrev_b32_e32 v2, 2, v2
	ds_bpermute_b32 v2, v2, v3
	s_waitcnt lgkmcnt(0)
	v_add_f32_e32 v2, v3, v2
	ds_bpermute_b32 v3, v53, v2
	s_waitcnt lgkmcnt(0)
	v_add_f32_e32 v2, v2, v3
	s_and_saveexec_b64 s[10:11], vcc
	s_cbranch_execz .LBB199_30
; %bb.29:
	ds_write_b32 v5, v2 offset:1032
.LBB199_30:
	s_or_b64 exec, exec, s[10:11]
	s_waitcnt lgkmcnt(0)
	s_barrier
	s_and_saveexec_b64 s[10:11], s[6:7]
	s_cbranch_execz .LBB199_32
; %bb.31:
	ds_read_b32 v2, v7 offset:1032
.LBB199_32:
	s_or_b64 exec, exec, s[10:11]
	s_waitcnt lgkmcnt(0)
	ds_bpermute_b32 v3, v53, v2
	s_waitcnt lgkmcnt(0)
	v_add_f32_e32 v2, v2, v3
	ds_bpermute_b32 v5, v10, v2
	s_and_saveexec_b64 s[6:7], s[8:9]
	s_cbranch_execz .LBB199_45
; %bb.33:
	s_waitcnt lgkmcnt(0)
	v_add_f32_e32 v2, 0x358637bd, v5
	v_div_scale_f32 v3, s[8:9], v2, v2, 1.0
	v_rcp_f32_e32 v6, v3
	v_div_scale_f32 v7, vcc, 1.0, v2, 1.0
	s_movk_i32 s8, 0x7f
	v_fma_f32 v8, -v3, v6, 1.0
	v_fmac_f32_e32 v6, v8, v6
	v_mul_f32_e32 v8, v7, v6
	v_fma_f32 v9, -v3, v8, v7
	v_fmac_f32_e32 v8, v9, v6
	v_fma_f32 v3, -v3, v8, v7
	v_div_fmas_f32 v3, v3, v6, v8
	v_div_fixup_f32 v2, v3, v2, 1.0
	v_xad_u32 v3, v0, -1, s20
	v_subrev_u32_e32 v6, s51, v3
	v_cmp_lt_u32_e32 vcc, s8, v6
	s_mov_b64 s[10:11], -1
	v_mov_b32_e32 v3, v0
	s_and_saveexec_b64 s[8:9], vcc
	s_cbranch_execz .LBB199_42
; %bb.34:
	v_lshrrev_b32_e32 v6, 7, v6
	v_add_u32_e32 v8, -1, v6
	v_lshrrev_b32_e32 v7, 1, v8
	v_mov_b32_e32 v3, v2
	v_add_u32_e32 v7, 1, v7
	v_cmp_lt_u32_e32 vcc, 13, v8
	v_mov_b32_e32 v10, 0
	s_and_saveexec_b64 s[10:11], vcc
	s_cbranch_execz .LBB199_38
; %bb.35:
	v_mov_b32_e32 v9, 0x410
	v_and_b32_e32 v8, -8, v7
	v_lshl_add_u32 v9, v0, 2, v9
	s_mov_b32 s16, 0
	s_mov_b64 s[14:15], 0
.LBB199_36:                             ; =>This Inner Loop Header: Depth=1
	ds_read2st64_b32 v[10:11], v9 offset1:2
	ds_read2st64_b32 v[12:13], v9 offset0:4 offset1:6
	ds_read2st64_b32 v[14:15], v9 offset0:8 offset1:10
	;; [unrolled: 1-line block ×3, first 2 shown]
	v_add_u32_e32 v8, -8, v8
	s_waitcnt lgkmcnt(3)
	v_pk_mul_f32 v[10:11], v[2:3], v[10:11]
	s_waitcnt lgkmcnt(2)
	v_pk_mul_f32 v[12:13], v[2:3], v[12:13]
	ds_write2st64_b32 v9, v10, v11 offset1:2
	ds_write2st64_b32 v9, v12, v13 offset0:4 offset1:6
	ds_read2st64_b32 v[12:13], v9 offset0:16 offset1:18
	s_waitcnt lgkmcnt(4)
	v_pk_mul_f32 v[10:11], v[2:3], v[14:15]
	ds_write2st64_b32 v9, v10, v11 offset0:8 offset1:10
	s_waitcnt lgkmcnt(4)
	v_pk_mul_f32 v[10:11], v[2:3], v[16:17]
	ds_write2st64_b32 v9, v10, v11 offset0:12 offset1:14
	ds_read2st64_b32 v[10:11], v9 offset0:20 offset1:22
	s_waitcnt lgkmcnt(3)
	v_pk_mul_f32 v[12:13], v[2:3], v[12:13]
	ds_read2st64_b32 v[14:15], v9 offset0:24 offset1:26
	ds_write2st64_b32 v9, v12, v13 offset0:16 offset1:18
	ds_read2st64_b32 v[12:13], v9 offset0:28 offset1:30
	s_waitcnt lgkmcnt(3)
	v_pk_mul_f32 v[10:11], v[2:3], v[10:11]
	ds_write2st64_b32 v9, v10, v11 offset0:20 offset1:22
	s_waitcnt lgkmcnt(3)
	v_pk_mul_f32 v[10:11], v[2:3], v[14:15]
	ds_write2st64_b32 v9, v10, v11 offset0:24 offset1:26
	s_waitcnt lgkmcnt(2)
	v_pk_mul_f32 v[10:11], v[2:3], v[12:13]
	s_add_i32 s16, s16, 16
	v_cmp_eq_u32_e32 vcc, 0, v8
	ds_write2st64_b32 v9, v10, v11 offset0:28 offset1:30
	v_add_u32_e32 v9, 0x2000, v9
	s_or_b64 s[14:15], vcc, s[14:15]
	v_mov_b32_e32 v10, s16
	s_andn2_b64 exec, exec, s[14:15]
	s_cbranch_execnz .LBB199_36
; %bb.37:
	s_or_b64 exec, exec, s[14:15]
.LBB199_38:
	s_or_b64 exec, exec, s[10:11]
	v_and_b32_e32 v7, 7, v7
	v_cmp_ne_u32_e32 vcc, 0, v7
	s_and_saveexec_b64 s[10:11], vcc
	s_cbranch_execz .LBB199_41
; %bb.39:
	v_lshlrev_b32_e32 v8, 9, v10
	v_lshlrev_b32_e32 v9, 2, v0
	s_movk_i32 s14, 0x410
	v_add3_u32 v8, v8, v9, s14
	s_mov_b64 s[14:15], 0
.LBB199_40:                             ; =>This Inner Loop Header: Depth=1
	ds_read2st64_b32 v[10:11], v8 offset1:2
	v_add_u32_e32 v7, -1, v7
	v_cmp_eq_u32_e32 vcc, 0, v7
	s_or_b64 s[14:15], vcc, s[14:15]
	s_waitcnt lgkmcnt(0)
	v_pk_mul_f32 v[10:11], v[2:3], v[10:11]
	ds_write2st64_b32 v8, v10, v11 offset1:2
	v_add_u32_e32 v8, 0x400, v8
	s_andn2_b64 exec, exec, s[14:15]
	s_cbranch_execnz .LBB199_40
.LBB199_41:
	s_or_b64 exec, exec, s[10:11]
	v_add_u32_e32 v6, 1, v6
	v_and_b32_e32 v7, 0x3fffffe, v6
	v_cmp_ne_u32_e32 vcc, v6, v7
	v_lshl_add_u32 v3, v7, 7, v0
	s_orn2_b64 s[10:11], vcc, exec
.LBB199_42:
	s_or_b64 exec, exec, s[8:9]
	s_and_b64 exec, exec, s[10:11]
	s_cbranch_execz .LBB199_45
; %bb.43:
	v_mov_b32_e32 v6, 0x410
	v_lshl_add_u32 v6, v3, 2, v6
	s_mov_b64 s[8:9], 0
.LBB199_44:                             ; =>This Inner Loop Header: Depth=1
	ds_read_b32 v7, v6
	v_add_u32_e32 v3, 0x80, v3
	v_cmp_le_i32_e32 vcc, s3, v3
	s_or_b64 s[8:9], vcc, s[8:9]
	s_waitcnt lgkmcnt(0)
	v_mul_f32_e32 v7, v2, v7
	ds_write_b32 v6, v7
	v_add_u32_e32 v6, 0x200, v6
	s_andn2_b64 exec, exec, s[8:9]
	s_cbranch_execnz .LBB199_44
.LBB199_45:
	s_or_b64 exec, exec, s[6:7]
	s_mul_i32 s3, s33, s40
	v_cmp_eq_u32_e32 vcc, 0, v0
	s_mul_i32 s6, s3, s5
	s_waitcnt lgkmcnt(0)
	s_barrier
	s_and_saveexec_b64 s[8:9], vcc
	s_cbranch_execz .LBB199_47
; %bb.46:
	s_ashr_i32 s7, s6, 31
	s_lshl_b64 s[10:11], s[6:7], 2
	s_add_u32 s5, s26, s10
	s_mul_i32 s2, s33, s2
	s_addc_u32 s7, s27, s11
	s_ashr_i32 s3, s2, 31
	s_lshl_b64 s[2:3], s[2:3], 2
	s_add_u32 s16, s5, s2
	s_addc_u32 s7, s7, s3
	s_ashr_i32 s5, s4, 31
	s_lshl_b64 s[14:15], s[4:5], 2
	s_add_u32 s16, s16, s14
	s_addc_u32 s17, s7, s15
	s_add_u32 s5, s24, s10
	s_addc_u32 s7, s25, s11
	;; [unrolled: 2-line block ×3, first 2 shown]
	s_add_u32 s2, s2, s14
	v_mov_b32_e32 v2, 0
	s_addc_u32 s3, s3, s15
	global_store_dword v2, v4, s[16:17]
	global_store_dword v2, v5, s[2:3]
.LBB199_47:
	s_or_b64 exec, exec, s[8:9]
	s_mov_b32 s8, 0
	v_mov_b32_e32 v9, 0
	v_and_b32_e32 v54, 1, v0
	v_mov_b32_e32 v8, 0
	v_mov_b32_e32 v7, 0
	;; [unrolled: 1-line block ×7, first 2 shown]
	s_and_saveexec_b64 s[2:3], s[0:1]
	s_cbranch_execz .LBB199_69
; %bb.48:
	s_sub_i32 s5, s49, s29
	s_ashr_i32 s1, s50, 31
	s_add_u32 s0, s22, s50
	s_addc_u32 s1, s23, s1
	s_abs_i32 s7, s30
	v_cvt_f32_u32_e32 v2, s7
	v_lshlrev_b32_e32 v4, 2, v0
	v_mov_b32_e32 v3, 0
	s_add_i32 s21, s12, -1
	v_rcp_iflag_f32_e32 v2, v2
	s_sub_i32 s9, 0, s7
	v_and_b32_e32 v55, 4, v4
	s_mov_b32 s20, s13
	v_mul_f32_e32 v2, 0x4f7ffffe, v2
	v_cvt_u32_f32_e32 v5, v2
	v_and_b32_e32 v2, 0xfc, v4
	v_lshl_add_u64 v[14:15], s[0:1], 0, v[2:3]
	s_lshl_b64 s[0:1], s[42:43], 2
	v_mul_lo_u32 v4, s9, v5
	s_add_u32 s0, s38, s0
	v_lshlrev_b32_e32 v2, 4, v54
	v_mul_hi_u32 v4, v5, v4
	s_addc_u32 s1, s39, s1
	v_lshl_or_b32 v2, v30, 5, v2
	s_mov_b32 s9, s8
	v_add_u32_e32 v56, v5, v4
	v_lshl_add_u64 v[16:17], v[22:23], 2, s[0:1]
	v_add_u32_e32 v23, 0x410, v2
	s_mov_b32 s10, s8
	s_mov_b32 s11, s8
	;; [unrolled: 1-line block ×6, first 2 shown]
	v_mov_b64_e32 v[2:3], s[8:9]
	s_mov_b64 s[16:17], 0
	v_mov_b64_e32 v[4:5], s[10:11]
	v_mov_b64_e32 v[6:7], s[12:13]
	;; [unrolled: 1-line block ×3, first 2 shown]
	s_branch .LBB199_51
.LBB199_49:                             ;   in Loop: Header=BB199_51 Depth=1
	s_or_b64 exec, exec, s[0:1]
	v_mul_f32_e32 v21, v11, v21
	v_fmac_f32_e32 v21, v10, v20
	v_fmac_f32_e32 v21, v12, v18
	v_mul_f32_e32 v18, v11, v29
	v_fmac_f32_e32 v18, v10, v28
	v_fmac_f32_e32 v18, v12, v26
	v_fmac_f32_e32 v18, v13, v27
	v_add_f32_e32 v3, v3, v18
	v_mul_f32_e32 v18, v11, v33
	v_fmac_f32_e32 v18, v10, v32
	v_fmac_f32_e32 v18, v12, v30
	v_fmac_f32_e32 v18, v13, v31
	v_add_f32_e32 v4, v4, v18
	;; [unrolled: 5-line block ×5, first 2 shown]
	v_mul_f32_e32 v18, v11, v49
	v_mul_f32_e32 v11, v11, v51
	v_fmac_f32_e32 v18, v10, v48
	v_fmac_f32_e32 v11, v10, v50
	;; [unrolled: 1-line block ×7, first 2 shown]
	v_add_f32_e32 v2, v2, v21
	v_add_f32_e32 v8, v8, v18
	;; [unrolled: 1-line block ×3, first 2 shown]
.LBB199_50:                             ;   in Loop: Header=BB199_51 Depth=1
	s_or_b64 exec, exec, s[8:9]
	v_add_u32_e32 v22, 2, v22
	v_cmp_le_i32_e32 vcc, s28, v22
	v_lshl_add_u64 v[16:17], v[16:17], 0, 8
	v_add_u32_e32 v1, 16, v1
	s_or_b64 s[16:17], vcc, s[16:17]
	v_add_u32_e32 v23, 64, v23
	s_andn2_b64 exec, exec, s[16:17]
	s_cbranch_execz .LBB199_68
.LBB199_51:                             ; =>This Inner Loop Header: Depth=1
	v_sub_u32_e32 v11, 0, v1
	v_max_i32_e32 v11, v1, v11
	v_mul_hi_u32 v12, v11, s48
	v_mul_lo_u32 v13, v12, s37
	v_sub_u32_e32 v11, v11, v13
	v_add_u32_e32 v13, 1, v12
	v_cmp_le_u32_e32 vcc, s37, v11
	v_ashrrev_i32_e32 v10, 31, v1
	v_xor_b32_e32 v10, s31, v10
	v_cndmask_b32_e32 v12, v12, v13, vcc
	v_subrev_u32_e32 v13, s37, v11
	v_cndmask_b32_e32 v11, v11, v13, vcc
	v_add_u32_e32 v13, 1, v12
	v_cmp_le_u32_e32 vcc, s37, v11
	s_nop 1
	v_cndmask_b32_e32 v11, v12, v13, vcc
	v_xor_b32_e32 v11, v11, v10
	v_sub_u32_e32 v10, v11, v10
	v_add_u32_e32 v11, s44, v10
	v_sub_u32_e32 v13, 0, v11
	v_ashrrev_i32_e32 v12, 31, v11
	v_max_i32_e32 v11, v11, v13
	v_mul_hi_u32 v13, v11, v56
	v_mul_lo_u32 v13, v13, s7
	v_sub_u32_e32 v11, v11, v13
	v_subrev_u32_e32 v13, s7, v11
	v_cmp_le_u32_e32 vcc, s7, v11
	v_cmp_lt_i32_e64 s[0:1], s5, v10
	s_nop 0
	v_cndmask_b32_e32 v11, v11, v13, vcc
	v_subrev_u32_e32 v13, s7, v11
	v_cmp_le_u32_e32 vcc, s7, v11
	s_nop 1
	v_cndmask_b32_e32 v11, v11, v13, vcc
	v_xor_b32_e32 v11, v11, v12
	v_sub_u32_e32 v11, v11, v12
	v_cmp_eq_u32_e32 vcc, 0, v11
	s_or_b64 s[0:1], vcc, s[0:1]
	s_and_saveexec_b64 s[8:9], s[0:1]
	s_cbranch_execz .LBB199_50
; %bb.52:                               ;   in Loop: Header=BB199_51 Depth=1
	global_load_dword v10, v[16:17], off
	s_load_dword s10, s[18:19], 0x0
	v_add_u32_e32 v57, v55, v1
	v_cmp_eq_u32_e32 vcc, s21, v22
	v_add_u32_e32 v59, 1, v57
	v_add_u32_e32 v58, 2, v57
	;; [unrolled: 1-line block ×3, first 2 shown]
	s_waitcnt vmcnt(0)
	v_mad_i64_i32 v[24:25], s[0:1], v10, s20, v[14:15]
	global_load_dword v18, v[24:25], off
	ds_read_b128 v[10:13], v23
	s_waitcnt vmcnt(0)
	v_and_b32_e32 v19, 0xffff, v18
	v_lshrrev_b32_e32 v20, 16, v18
	v_cvt_pk_f32_fp8_e32 v[18:19], v19
	v_cvt_pk_f32_fp8_e32 v[26:27], v20
	s_waitcnt lgkmcnt(0)
	v_pk_mul_f32 v[20:21], s[10:11], v[18:19] op_sel_hi:[0,1]
	v_pk_mul_f32 v[18:19], s[10:11], v[26:27] op_sel_hi:[0,1]
	s_and_saveexec_b64 s[12:13], vcc
; %bb.53:                               ;   in Loop: Header=BB199_51 Depth=1
	v_cmp_gt_i32_e64 s[0:1], s41, v57
	s_nop 1
	v_cndmask_b32_e64 v20, 0, v20, s[0:1]
	v_cmp_gt_i32_e64 s[0:1], s41, v59
	s_nop 1
	v_cndmask_b32_e64 v21, 0, v21, s[0:1]
	;; [unrolled: 3-line block ×4, first 2 shown]
; %bb.54:                               ;   in Loop: Header=BB199_51 Depth=1
	s_or_b64 exec, exec, s[12:13]
	global_load_dword v26, v[24:25], off offset:256
	s_mov_b32 s11, s10
	s_waitcnt vmcnt(0)
	v_and_b32_e32 v27, 0xffff, v26
	v_lshrrev_b32_e32 v28, 16, v26
	v_cvt_pk_f32_fp8_e32 v[26:27], v27
	v_cvt_pk_f32_fp8_e32 v[30:31], v28
	v_pk_mul_f32 v[28:29], s[10:11], v[26:27]
	v_pk_mul_f32 v[26:27], s[10:11], v[30:31]
	s_and_saveexec_b64 s[12:13], vcc
; %bb.55:                               ;   in Loop: Header=BB199_51 Depth=1
	v_cmp_gt_i32_e64 s[0:1], s41, v57
	s_nop 1
	v_cndmask_b32_e64 v28, 0, v28, s[0:1]
	v_cmp_gt_i32_e64 s[0:1], s41, v59
	s_nop 1
	v_cndmask_b32_e64 v29, 0, v29, s[0:1]
	v_cmp_gt_i32_e64 s[0:1], s41, v58
	s_nop 1
	v_cndmask_b32_e64 v26, 0, v26, s[0:1]
	v_cmp_gt_i32_e64 s[0:1], s41, v60
	s_nop 1
	v_cndmask_b32_e64 v27, 0, v27, s[0:1]
; %bb.56:                               ;   in Loop: Header=BB199_51 Depth=1
	s_or_b64 exec, exec, s[12:13]
	global_load_dword v30, v[24:25], off offset:512
	s_waitcnt vmcnt(0)
	v_and_b32_e32 v31, 0xffff, v30
	v_lshrrev_b32_e32 v32, 16, v30
	v_cvt_pk_f32_fp8_e32 v[30:31], v31
	v_cvt_pk_f32_fp8_e32 v[34:35], v32
	v_pk_mul_f32 v[32:33], s[10:11], v[30:31]
	v_pk_mul_f32 v[30:31], s[10:11], v[34:35]
	s_and_saveexec_b64 s[12:13], vcc
; %bb.57:                               ;   in Loop: Header=BB199_51 Depth=1
	v_cmp_gt_i32_e64 s[0:1], s41, v57
	s_nop 1
	v_cndmask_b32_e64 v32, 0, v32, s[0:1]
	v_cmp_gt_i32_e64 s[0:1], s41, v59
	s_nop 1
	v_cndmask_b32_e64 v33, 0, v33, s[0:1]
	v_cmp_gt_i32_e64 s[0:1], s41, v58
	s_nop 1
	v_cndmask_b32_e64 v30, 0, v30, s[0:1]
	v_cmp_gt_i32_e64 s[0:1], s41, v60
	s_nop 1
	v_cndmask_b32_e64 v31, 0, v31, s[0:1]
; %bb.58:                               ;   in Loop: Header=BB199_51 Depth=1
	s_or_b64 exec, exec, s[12:13]
	global_load_dword v34, v[24:25], off offset:768
	s_waitcnt vmcnt(0)
	v_and_b32_e32 v35, 0xffff, v34
	v_lshrrev_b32_e32 v36, 16, v34
	v_cvt_pk_f32_fp8_e32 v[34:35], v35
	v_cvt_pk_f32_fp8_e32 v[38:39], v36
	v_pk_mul_f32 v[36:37], s[10:11], v[34:35]
	v_pk_mul_f32 v[34:35], s[10:11], v[38:39]
	s_and_saveexec_b64 s[12:13], vcc
; %bb.59:                               ;   in Loop: Header=BB199_51 Depth=1
	v_cmp_gt_i32_e64 s[0:1], s41, v57
	s_nop 1
	v_cndmask_b32_e64 v36, 0, v36, s[0:1]
	v_cmp_gt_i32_e64 s[0:1], s41, v59
	s_nop 1
	v_cndmask_b32_e64 v37, 0, v37, s[0:1]
	v_cmp_gt_i32_e64 s[0:1], s41, v58
	s_nop 1
	v_cndmask_b32_e64 v34, 0, v34, s[0:1]
	v_cmp_gt_i32_e64 s[0:1], s41, v60
	s_nop 1
	v_cndmask_b32_e64 v35, 0, v35, s[0:1]
; %bb.60:                               ;   in Loop: Header=BB199_51 Depth=1
	s_or_b64 exec, exec, s[12:13]
	global_load_dword v38, v[24:25], off offset:1024
	s_waitcnt vmcnt(0)
	v_and_b32_e32 v39, 0xffff, v38
	v_lshrrev_b32_e32 v40, 16, v38
	v_cvt_pk_f32_fp8_e32 v[38:39], v39
	v_cvt_pk_f32_fp8_e32 v[42:43], v40
	v_pk_mul_f32 v[40:41], s[10:11], v[38:39]
	v_pk_mul_f32 v[38:39], s[10:11], v[42:43]
	s_and_saveexec_b64 s[12:13], vcc
; %bb.61:                               ;   in Loop: Header=BB199_51 Depth=1
	v_cmp_gt_i32_e64 s[0:1], s41, v57
	s_nop 1
	v_cndmask_b32_e64 v40, 0, v40, s[0:1]
	v_cmp_gt_i32_e64 s[0:1], s41, v59
	s_nop 1
	v_cndmask_b32_e64 v41, 0, v41, s[0:1]
	v_cmp_gt_i32_e64 s[0:1], s41, v58
	s_nop 1
	v_cndmask_b32_e64 v38, 0, v38, s[0:1]
	v_cmp_gt_i32_e64 s[0:1], s41, v60
	s_nop 1
	v_cndmask_b32_e64 v39, 0, v39, s[0:1]
; %bb.62:                               ;   in Loop: Header=BB199_51 Depth=1
	s_or_b64 exec, exec, s[12:13]
	global_load_dword v42, v[24:25], off offset:1280
	s_waitcnt vmcnt(0)
	v_and_b32_e32 v43, 0xffff, v42
	v_lshrrev_b32_e32 v44, 16, v42
	v_cvt_pk_f32_fp8_e32 v[42:43], v43
	v_cvt_pk_f32_fp8_e32 v[46:47], v44
	v_pk_mul_f32 v[44:45], s[10:11], v[42:43]
	v_pk_mul_f32 v[42:43], s[10:11], v[46:47]
	s_and_saveexec_b64 s[12:13], vcc
; %bb.63:                               ;   in Loop: Header=BB199_51 Depth=1
	v_cmp_gt_i32_e64 s[0:1], s41, v57
	s_nop 1
	v_cndmask_b32_e64 v44, 0, v44, s[0:1]
	v_cmp_gt_i32_e64 s[0:1], s41, v59
	s_nop 1
	v_cndmask_b32_e64 v45, 0, v45, s[0:1]
	v_cmp_gt_i32_e64 s[0:1], s41, v58
	s_nop 1
	v_cndmask_b32_e64 v42, 0, v42, s[0:1]
	v_cmp_gt_i32_e64 s[0:1], s41, v60
	s_nop 1
	v_cndmask_b32_e64 v43, 0, v43, s[0:1]
; %bb.64:                               ;   in Loop: Header=BB199_51 Depth=1
	s_or_b64 exec, exec, s[12:13]
	global_load_dword v46, v[24:25], off offset:1536
	s_waitcnt vmcnt(0)
	v_and_b32_e32 v47, 0xffff, v46
	v_lshrrev_b32_e32 v48, 16, v46
	v_cvt_pk_f32_fp8_e32 v[46:47], v47
	v_cvt_pk_f32_fp8_e32 v[50:51], v48
	v_pk_mul_f32 v[48:49], s[10:11], v[46:47]
	v_pk_mul_f32 v[46:47], s[10:11], v[50:51]
	s_and_saveexec_b64 s[12:13], vcc
; %bb.65:                               ;   in Loop: Header=BB199_51 Depth=1
	v_cmp_gt_i32_e64 s[0:1], s41, v57
	s_nop 1
	v_cndmask_b32_e64 v48, 0, v48, s[0:1]
	v_cmp_gt_i32_e64 s[0:1], s41, v59
	s_nop 1
	v_cndmask_b32_e64 v49, 0, v49, s[0:1]
	v_cmp_gt_i32_e64 s[0:1], s41, v58
	s_nop 1
	v_cndmask_b32_e64 v46, 0, v46, s[0:1]
	v_cmp_gt_i32_e64 s[0:1], s41, v60
	s_nop 1
	v_cndmask_b32_e64 v47, 0, v47, s[0:1]
; %bb.66:                               ;   in Loop: Header=BB199_51 Depth=1
	s_or_b64 exec, exec, s[12:13]
	global_load_dword v24, v[24:25], off offset:1792
	s_waitcnt vmcnt(0)
	v_and_b32_e32 v25, 0xffff, v24
	v_lshrrev_b32_e32 v50, 16, v24
	v_cvt_pk_f32_fp8_e32 v[24:25], v25
	v_cvt_pk_f32_fp8_e32 v[62:63], v50
	v_pk_mul_f32 v[50:51], s[10:11], v[24:25]
	v_pk_mul_f32 v[24:25], s[10:11], v[62:63]
	s_and_saveexec_b64 s[0:1], vcc
	s_cbranch_execz .LBB199_49
; %bb.67:                               ;   in Loop: Header=BB199_51 Depth=1
	v_cmp_gt_i32_e32 vcc, s41, v57
	s_nop 1
	v_cndmask_b32_e32 v50, 0, v50, vcc
	v_cmp_gt_i32_e32 vcc, s41, v59
	s_nop 1
	v_cndmask_b32_e32 v51, 0, v51, vcc
	;; [unrolled: 3-line block ×4, first 2 shown]
	s_branch .LBB199_49
.LBB199_68:
	s_or_b64 exec, exec, s[16:17]
.LBB199_69:
	s_or_b64 exec, exec, s[2:3]
	ds_bpermute_b32 v10, v53, v2
	ds_bpermute_b32 v11, v53, v3
	;; [unrolled: 1-line block ×8, first 2 shown]
	v_and_b32_e32 v1, 0x3c1, v0
	s_waitcnt lgkmcnt(6)
	v_pk_add_f32 v[10:11], v[2:3], v[10:11]
	s_waitcnt lgkmcnt(4)
	v_pk_add_f32 v[4:5], v[4:5], v[12:13]
	;; [unrolled: 2-line block ×4, first 2 shown]
	v_cmp_eq_u32_e32 vcc, 64, v1
	s_barrier
	s_and_saveexec_b64 s[0:1], vcc
	s_cbranch_execz .LBB199_71
; %bb.70:
	v_mov_b32_e32 v8, 0x410
	v_lshl_add_u32 v8, v52, 1, v8
	ds_write2_b32 v8, v10, v11 offset1:32
	ds_write2_b32 v8, v4, v5 offset0:64 offset1:96
	ds_write2_b32 v8, v2, v3 offset0:128 offset1:160
	ds_write2_b32 v8, v6, v7 offset0:192 offset1:224
.LBB199_71:
	s_or_b64 exec, exec, s[0:1]
	v_cmp_gt_u32_e32 vcc, 64, v0
	s_waitcnt lgkmcnt(0)
	s_barrier
	s_and_saveexec_b64 s[0:1], vcc
	s_cbranch_execz .LBB199_82
; %bb.72:
	v_cmp_eq_u32_e32 vcc, 0, v54
	v_lshrrev_b32_e32 v8, 1, v0
	s_and_saveexec_b64 s[2:3], vcc
	s_cbranch_execnz .LBB199_85
; %bb.73:
	s_or_b64 exec, exec, s[2:3]
	s_and_saveexec_b64 s[2:3], vcc
	s_cbranch_execnz .LBB199_86
.LBB199_74:
	s_or_b64 exec, exec, s[2:3]
	s_and_saveexec_b64 s[2:3], vcc
	s_cbranch_execnz .LBB199_87
.LBB199_75:
	s_or_b64 exec, exec, s[2:3]
	s_and_saveexec_b64 s[2:3], vcc
	s_cbranch_execnz .LBB199_88
.LBB199_76:
	s_or_b64 exec, exec, s[2:3]
	s_and_saveexec_b64 s[2:3], vcc
	s_cbranch_execnz .LBB199_89
.LBB199_77:
	s_or_b64 exec, exec, s[2:3]
	s_and_saveexec_b64 s[2:3], vcc
	s_cbranch_execnz .LBB199_90
.LBB199_78:
	s_or_b64 exec, exec, s[2:3]
	s_and_saveexec_b64 s[2:3], vcc
	s_cbranch_execnz .LBB199_91
.LBB199_79:
	s_or_b64 exec, exec, s[2:3]
	s_and_saveexec_b64 s[2:3], vcc
	s_cbranch_execz .LBB199_81
.LBB199_80:
	v_mov_b32_e32 v9, 0x410
	v_lshl_add_u32 v8, v8, 2, v9
	ds_read_b32 v8, v8 offset:896
	s_waitcnt lgkmcnt(0)
	v_add_f32_e32 v7, v7, v8
.LBB199_81:
	s_or_b64 exec, exec, s[2:3]
.LBB199_82:
	s_or_b64 exec, exec, s[0:1]
	v_cmp_eq_u32_e32 vcc, 0, v1
	s_barrier
	s_and_saveexec_b64 s[0:1], vcc
	s_cbranch_execz .LBB199_84
; %bb.83:
	s_lshl_b32 s0, s6, 8
	s_ashr_i32 s1, s0, 31
	s_lshl_b64 s[0:1], s[0:1], 2
	s_add_u32 s2, s34, s0
	s_mul_i32 s0, s33, s36
	s_addc_u32 s3, s35, s1
	s_ashr_i32 s1, s0, 31
	s_lshl_b64 s[0:1], s[0:1], 2
	s_add_u32 s2, s2, s0
	s_addc_u32 s3, s3, s1
	s_lshl_b32 s0, s4, 8
	s_ashr_i32 s1, s0, 31
	s_lshl_b64 s[0:1], s[0:1], 2
	s_add_u32 s0, s2, s0
	s_addc_u32 s1, s3, s1
	v_lshlrev_b32_e32 v0, 1, v0
	global_store_dword v0, v10, s[0:1]
	global_store_dword v0, v11, s[0:1] offset:128
	global_store_dword v0, v4, s[0:1] offset:256
	;; [unrolled: 1-line block ×7, first 2 shown]
.LBB199_84:
	s_endpgm
.LBB199_85:
	v_mov_b32_e32 v9, 0x410
	v_lshl_add_u32 v9, v8, 2, v9
	ds_read_b32 v9, v9
	s_waitcnt lgkmcnt(0)
	v_add_f32_e32 v10, v10, v9
	s_or_b64 exec, exec, s[2:3]
	s_and_saveexec_b64 s[2:3], vcc
	s_cbranch_execz .LBB199_74
.LBB199_86:
	v_mov_b32_e32 v9, 0x410
	v_lshl_add_u32 v9, v8, 2, v9
	ds_read_b32 v9, v9 offset:128
	s_waitcnt lgkmcnt(0)
	v_add_f32_e32 v11, v11, v9
	s_or_b64 exec, exec, s[2:3]
	s_and_saveexec_b64 s[2:3], vcc
	s_cbranch_execz .LBB199_75
.LBB199_87:
	v_mov_b32_e32 v9, 0x410
	v_lshl_add_u32 v9, v8, 2, v9
	ds_read_b32 v9, v9 offset:256
	s_waitcnt lgkmcnt(0)
	v_add_f32_e32 v4, v4, v9
	s_or_b64 exec, exec, s[2:3]
	s_and_saveexec_b64 s[2:3], vcc
	s_cbranch_execz .LBB199_76
.LBB199_88:
	v_mov_b32_e32 v9, 0x410
	v_lshl_add_u32 v9, v8, 2, v9
	ds_read_b32 v9, v9 offset:384
	s_waitcnt lgkmcnt(0)
	v_add_f32_e32 v5, v5, v9
	s_or_b64 exec, exec, s[2:3]
	s_and_saveexec_b64 s[2:3], vcc
	s_cbranch_execz .LBB199_77
.LBB199_89:
	v_mov_b32_e32 v9, 0x410
	v_lshl_add_u32 v9, v8, 2, v9
	ds_read_b32 v9, v9 offset:512
	s_waitcnt lgkmcnt(0)
	v_add_f32_e32 v2, v2, v9
	s_or_b64 exec, exec, s[2:3]
	s_and_saveexec_b64 s[2:3], vcc
	s_cbranch_execz .LBB199_78
.LBB199_90:
	v_mov_b32_e32 v9, 0x410
	v_lshl_add_u32 v9, v8, 2, v9
	ds_read_b32 v9, v9 offset:640
	s_waitcnt lgkmcnt(0)
	v_add_f32_e32 v3, v3, v9
	s_or_b64 exec, exec, s[2:3]
	s_and_saveexec_b64 s[2:3], vcc
	s_cbranch_execz .LBB199_79
.LBB199_91:
	v_mov_b32_e32 v9, 0x410
	v_lshl_add_u32 v9, v8, 2, v9
	ds_read_b32 v9, v9 offset:768
	s_waitcnt lgkmcnt(0)
	v_add_f32_e32 v6, v6, v9
	s_or_b64 exec, exec, s[2:3]
	s_and_saveexec_b64 s[2:3], vcc
	s_cbranch_execnz .LBB199_80
	s_branch .LBB199_81
	.section	.rodata,"a",@progbits
	.p2align	6, 0x0
	.amdhsa_kernel _ZN4vllm25paged_attention_v2_kernelIfhLi256ELi8ELi128ELNS_18Fp8KVCacheDataTypeE1ELb1ELi512EEEvPfS2_PT_PKS3_PKT0_S9_ifPKiSB_iPKfiiiSD_SD_iiiii
		.amdhsa_group_segment_fixed_size 1040
		.amdhsa_private_segment_fixed_size 0
		.amdhsa_kernarg_size 400
		.amdhsa_user_sgpr_count 2
		.amdhsa_user_sgpr_dispatch_ptr 0
		.amdhsa_user_sgpr_queue_ptr 0
		.amdhsa_user_sgpr_kernarg_segment_ptr 1
		.amdhsa_user_sgpr_dispatch_id 0
		.amdhsa_user_sgpr_kernarg_preload_length 0
		.amdhsa_user_sgpr_kernarg_preload_offset 0
		.amdhsa_user_sgpr_private_segment_size 0
		.amdhsa_uses_dynamic_stack 0
		.amdhsa_enable_private_segment 0
		.amdhsa_system_sgpr_workgroup_id_x 1
		.amdhsa_system_sgpr_workgroup_id_y 1
		.amdhsa_system_sgpr_workgroup_id_z 1
		.amdhsa_system_sgpr_workgroup_info 0
		.amdhsa_system_vgpr_workitem_id 0
		.amdhsa_next_free_vgpr 90
		.amdhsa_next_free_sgpr 56
		.amdhsa_accum_offset 92
		.amdhsa_reserve_vcc 1
		.amdhsa_float_round_mode_32 0
		.amdhsa_float_round_mode_16_64 0
		.amdhsa_float_denorm_mode_32 3
		.amdhsa_float_denorm_mode_16_64 3
		.amdhsa_dx10_clamp 1
		.amdhsa_ieee_mode 1
		.amdhsa_fp16_overflow 0
		.amdhsa_tg_split 0
		.amdhsa_exception_fp_ieee_invalid_op 0
		.amdhsa_exception_fp_denorm_src 0
		.amdhsa_exception_fp_ieee_div_zero 0
		.amdhsa_exception_fp_ieee_overflow 0
		.amdhsa_exception_fp_ieee_underflow 0
		.amdhsa_exception_fp_ieee_inexact 0
		.amdhsa_exception_int_div_zero 0
	.end_amdhsa_kernel
	.section	.text._ZN4vllm25paged_attention_v2_kernelIfhLi256ELi8ELi128ELNS_18Fp8KVCacheDataTypeE1ELb1ELi512EEEvPfS2_PT_PKS3_PKT0_S9_ifPKiSB_iPKfiiiSD_SD_iiiii,"axG",@progbits,_ZN4vllm25paged_attention_v2_kernelIfhLi256ELi8ELi128ELNS_18Fp8KVCacheDataTypeE1ELb1ELi512EEEvPfS2_PT_PKS3_PKT0_S9_ifPKiSB_iPKfiiiSD_SD_iiiii,comdat
.Lfunc_end199:
	.size	_ZN4vllm25paged_attention_v2_kernelIfhLi256ELi8ELi128ELNS_18Fp8KVCacheDataTypeE1ELb1ELi512EEEvPfS2_PT_PKS3_PKT0_S9_ifPKiSB_iPKfiiiSD_SD_iiiii, .Lfunc_end199-_ZN4vllm25paged_attention_v2_kernelIfhLi256ELi8ELi128ELNS_18Fp8KVCacheDataTypeE1ELb1ELi512EEEvPfS2_PT_PKS3_PKT0_S9_ifPKiSB_iPKfiiiSD_SD_iiiii
                                        ; -- End function
	.section	.AMDGPU.csdata,"",@progbits
; Kernel info:
; codeLenInByte = 6668
; NumSgprs: 62
; NumVgprs: 90
; NumAgprs: 0
; TotalNumVgprs: 90
; ScratchSize: 0
; MemoryBound: 0
; FloatMode: 240
; IeeeMode: 1
; LDSByteSize: 1040 bytes/workgroup (compile time only)
; SGPRBlocks: 7
; VGPRBlocks: 11
; NumSGPRsForWavesPerEU: 62
; NumVGPRsForWavesPerEU: 90
; AccumOffset: 92
; Occupancy: 5
; WaveLimiterHint : 1
; COMPUTE_PGM_RSRC2:SCRATCH_EN: 0
; COMPUTE_PGM_RSRC2:USER_SGPR: 2
; COMPUTE_PGM_RSRC2:TRAP_HANDLER: 0
; COMPUTE_PGM_RSRC2:TGID_X_EN: 1
; COMPUTE_PGM_RSRC2:TGID_Y_EN: 1
; COMPUTE_PGM_RSRC2:TGID_Z_EN: 1
; COMPUTE_PGM_RSRC2:TIDIG_COMP_CNT: 0
; COMPUTE_PGM_RSRC3_GFX90A:ACCUM_OFFSET: 22
; COMPUTE_PGM_RSRC3_GFX90A:TG_SPLIT: 0
	.section	.text._ZN4vllm25paged_attention_v2_kernelIfhLi32ELi8ELi128ELNS_18Fp8KVCacheDataTypeE1ELb0ELi512EEEvPfS2_PT_PKS3_PKT0_S9_ifPKiSB_iPKfiiiSD_SD_iiiii,"axG",@progbits,_ZN4vllm25paged_attention_v2_kernelIfhLi32ELi8ELi128ELNS_18Fp8KVCacheDataTypeE1ELb0ELi512EEEvPfS2_PT_PKS3_PKT0_S9_ifPKiSB_iPKfiiiSD_SD_iiiii,comdat
	.protected	_ZN4vllm25paged_attention_v2_kernelIfhLi32ELi8ELi128ELNS_18Fp8KVCacheDataTypeE1ELb0ELi512EEEvPfS2_PT_PKS3_PKT0_S9_ifPKiSB_iPKfiiiSD_SD_iiiii ; -- Begin function _ZN4vllm25paged_attention_v2_kernelIfhLi32ELi8ELi128ELNS_18Fp8KVCacheDataTypeE1ELb0ELi512EEEvPfS2_PT_PKS3_PKT0_S9_ifPKiSB_iPKfiiiSD_SD_iiiii
	.globl	_ZN4vllm25paged_attention_v2_kernelIfhLi32ELi8ELi128ELNS_18Fp8KVCacheDataTypeE1ELb0ELi512EEEvPfS2_PT_PKS3_PKT0_S9_ifPKiSB_iPKfiiiSD_SD_iiiii
	.p2align	8
	.type	_ZN4vllm25paged_attention_v2_kernelIfhLi32ELi8ELi128ELNS_18Fp8KVCacheDataTypeE1ELb0ELi512EEEvPfS2_PT_PKS3_PKT0_S9_ifPKiSB_iPKfiiiSD_SD_iiiii,@function
_ZN4vllm25paged_attention_v2_kernelIfhLi32ELi8ELi128ELNS_18Fp8KVCacheDataTypeE1ELb0ELi512EEEvPfS2_PT_PKS3_PKT0_S9_ifPKiSB_iPKfiiiSD_SD_iiiii: ; @_ZN4vllm25paged_attention_v2_kernelIfhLi32ELi8ELi128ELNS_18Fp8KVCacheDataTypeE1ELb0ELi512EEEvPfS2_PT_PKS3_PKT0_S9_ifPKiSB_iPKfiiiSD_SD_iiiii
; %bb.0:
	s_load_dwordx2 s[6:7], s[0:1], 0x40
	s_mov_b32 s28, s3
	s_ashr_i32 s29, s3, 31
	s_lshl_b64 s[8:9], s[28:29], 2
	s_waitcnt lgkmcnt(0)
	s_add_u32 s6, s6, s8
	s_addc_u32 s7, s7, s9
	s_load_dword s29, s[6:7], 0x0
	s_lshl_b32 s33, s4, 9
	s_waitcnt lgkmcnt(0)
	s_cmp_ge_i32 s33, s29
	s_cbranch_scc1 .LBB200_52
; %bb.1:
	s_load_dword s5, s[0:1], 0x90
	s_load_dwordx2 s[10:11], s[0:1], 0x30
	s_waitcnt lgkmcnt(0)
	s_abs_i32 s7, s5
	s_abs_i32 s3, s10
	v_cvt_f32_u32_e32 v1, s3
	s_sub_i32 s8, 0, s3
	s_xor_b32 s6, s5, s10
	s_ashr_i32 s6, s6, 31
	v_rcp_iflag_f32_e32 v1, v1
	s_nop 0
	v_mul_f32_e32 v1, 0x4f7ffffe, v1
	v_cvt_u32_f32_e32 v1, v1
	s_nop 0
	v_readfirstlane_b32 s9, v1
	s_mul_i32 s8, s8, s9
	s_mul_hi_u32 s8, s9, s8
	s_add_i32 s9, s9, s8
	s_mul_hi_u32 s8, s7, s9
	s_mul_i32 s9, s8, s3
	s_sub_i32 s7, s7, s9
	s_add_i32 s10, s8, 1
	s_sub_i32 s9, s7, s3
	s_cmp_ge_u32 s7, s3
	s_cselect_b32 s8, s10, s8
	s_cselect_b32 s7, s9, s7
	s_add_i32 s9, s8, 1
	s_cmp_ge_u32 s7, s3
	s_cselect_b32 s3, s9, s8
	s_xor_b32 s3, s3, s6
	s_sub_i32 s12, s3, s6
	s_abs_i32 s8, s12
	v_cvt_f32_u32_e32 v1, s8
	s_load_dwordx2 s[6:7], s[0:1], 0x50
	s_sub_i32 s3, 0, s8
	s_abs_i32 s9, s2
	v_rcp_iflag_f32_e32 v1, v1
	s_mov_b32 s10, 0
	v_mul_f32_e32 v1, 0x4f7ffffe, v1
	v_cvt_u32_f32_e32 v1, v1
	s_nop 0
	v_readfirstlane_b32 s13, v1
	s_mul_i32 s3, s3, s13
	s_mul_hi_u32 s3, s13, s3
	s_add_i32 s13, s13, s3
	s_waitcnt lgkmcnt(0)
	s_cmp_eq_u64 s[6:7], 0
	s_mul_hi_u32 s16, s9, s13
	s_cbranch_scc1 .LBB200_3
; %bb.2:
	s_ashr_i32 s3, s2, 31
	s_lshl_b64 s[14:15], s[2:3], 2
	s_add_u32 s6, s6, s14
	s_addc_u32 s7, s7, s15
	s_load_dword s10, s[6:7], 0x0
.LBB200_3:
	s_ashr_i32 s18, s12, 31
	s_load_dwordx4 s[12:15], s[0:1], 0x58
	s_ashr_i32 s17, s2, 31
	v_and_b32_e32 v8, 7, v0
	s_lshl_b32 s24, s2, 5
	v_cmp_gt_u32_e32 vcc, 32, v0
	v_lshlrev_b32_e32 v1, 2, v0
	s_and_saveexec_b64 s[6:7], vcc
	s_cbranch_execz .LBB200_5
; %bb.4:
	s_load_dwordx2 s[20:21], s[0:1], 0x18
	s_waitcnt lgkmcnt(0)
	s_mul_i32 s22, s28, s12
	s_ashr_i32 s23, s22, 31
	s_lshl_b64 s[22:23], s[22:23], 2
	v_lshrrev_b32_e32 v3, 1, v0
	s_add_u32 s3, s20, s22
	s_addc_u32 s12, s21, s23
	s_ashr_i32 s25, s24, 31
	s_lshl_b64 s[20:21], s[24:25], 2
	s_add_u32 s20, s3, s20
	s_addc_u32 s21, s12, s21
	global_load_dword v2, v1, s[20:21]
	v_and_b32_e32 v3, 0x1fc, v3
	v_lshl_add_u32 v3, v8, 4, v3
	s_waitcnt vmcnt(0)
	ds_write_b32 v3, v2
.LBB200_5:
	s_or_b64 exec, exec, s[6:7]
	s_add_i32 s3, s29, 7
	s_ashr_i32 s6, s3, 31
	s_lshr_b32 s6, s6, 29
	s_add_i32 s3, s3, s6
	s_ashr_i32 s40, s3, 3
	s_lshl_b32 s3, s4, 6
	s_mul_i32 s7, s16, s8
	s_add_i32 s6, s3, 64
	s_sub_i32 s7, s9, s7
	s_min_i32 s25, s6, s40
	s_xor_b32 s6, s17, s18
	s_add_i32 s9, s16, 1
	s_waitcnt lgkmcnt(0)
	s_sub_i32 s12, s7, s8
	s_cmp_ge_u32 s7, s8
	s_cselect_b32 s9, s9, s16
	s_cselect_b32 s7, s12, s7
	s_add_i32 s12, s9, 1
	s_cmp_ge_u32 s7, s8
	s_load_dwordx2 s[30:31], s[0:1], 0x38
	s_load_dword s8, s[0:1], 0x48
	v_lshrrev_b32_e32 v14, 6, v0
	s_cselect_b32 s7, s12, s9
	s_xor_b32 s7, s7, s6
	v_or_b32_e32 v6, s3, v14
	s_waitcnt lgkmcnt(0)
	s_mul_i32 s34, s28, s8
	s_sub_i32 s41, s7, s6
	s_ashr_i32 s35, s34, 31
	v_cmp_gt_i32_e64 s[6:7], s25, v6
	v_cmp_le_i32_e32 vcc, s25, v6
	v_mbcnt_lo_u32_b32 v9, -1, 0
	s_barrier
	s_waitcnt lgkmcnt(0)
                                        ; implicit-def: $sgpr15
                                        ; implicit-def: $vgpr15
                                        ; implicit-def: $vgpr16
	s_and_saveexec_b64 s[8:9], vcc
	s_xor_b64 s[8:9], exec, s[8:9]
; %bb.6:
	v_mbcnt_hi_u32_b32 v15, -1, v9
	v_and_b32_e32 v2, 64, v15
	v_add_u32_e32 v16, 64, v2
	s_mov_b32 s15, 0xff7fffff
                                        ; implicit-def: $vgpr8
                                        ; implicit-def: $vgpr9
; %bb.7:
	s_or_saveexec_b64 s[38:39], s[8:9]
	s_load_dwordx4 s[20:23], s[0:1], 0x0
	s_load_dwordx2 s[26:27], s[0:1], 0x10
	s_load_dword s12, s[0:1], 0x98
	s_load_dwordx2 s[36:37], s[0:1], 0x28
	s_load_dwordx4 s[16:19], s[0:1], 0x68
	v_mov_b32_e32 v17, s15
	s_mul_i32 s41, s41, s14
	v_ashrrev_i32_e32 v7, 31, v6
	s_xor_b64 exec, exec, s[38:39]
	s_cbranch_execz .LBB200_13
; %bb.8:
	v_mbcnt_hi_u32_b32 v15, -1, v9
	s_load_dwordx2 s[0:1], s[0:1], 0x20
	v_and_b32_e32 v9, 64, v15
	v_add_u32_e32 v16, 64, v9
	v_xor_b32_e32 v9, 4, v15
	v_cmp_lt_i32_e32 vcc, v9, v16
	s_ashr_i32 s8, s41, 31
	v_bfe_u32 v17, v0, 3, 3
	v_cndmask_b32_e32 v9, v15, v9, vcc
	v_lshlrev_b32_e32 v18, 2, v9
	v_xor_b32_e32 v9, 2, v15
	s_waitcnt lgkmcnt(0)
	s_add_u32 s0, s0, s41
	v_lshlrev_b32_e32 v2, 4, v8
	v_cmp_lt_i32_e32 vcc, v9, v16
	v_lshlrev_b32_e32 v12, 4, v17
	s_addc_u32 s1, s1, s8
	v_mov_b32_e32 v13, 0
	ds_read_b128 v[2:5], v2
	v_cndmask_b32_e32 v9, v15, v9, vcc
	s_load_dword s43, s[16:17], 0x0
	v_lshl_add_u64 v[10:11], s[0:1], 0, v[12:13]
	v_lshlrev_b32_e32 v19, 2, v9
	v_xor_b32_e32 v9, 1, v15
	s_sub_i32 s44, 1, s29
	v_lshlrev_b32_e32 v12, 3, v14
	s_lshl_b64 s[8:9], s[34:35], 2
	v_cmp_lt_i32_e32 vcc, v9, v16
	v_add3_u32 v21, s33, v12, v17
	v_lshlrev_b32_e32 v12, 2, v17
	s_add_u32 s8, s30, s8
	v_cndmask_b32_e32 v9, v15, v9, vcc
	v_lshl_or_b32 v12, v14, 5, v12
	s_addc_u32 s9, s31, s9
	s_mov_b32 s42, s13
	v_lshlrev_b32_e32 v20, 2, v9
	v_cmp_eq_u32_e32 vcc, 0, v8
	v_cmp_neq_f32_e64 s[0:1], s10, 0
	v_mov_b32_e32 v9, v13
	v_add_u32_e32 v22, 0x90, v12
	v_lshl_add_u64 v[12:13], v[6:7], 2, s[8:9]
	s_mov_b64 s[14:15], 0
	v_mov_b32_e32 v17, 0xff7fffff
	v_mov_b32_e32 v23, v6
	s_branch .LBB200_10
.LBB200_9:                              ;   in Loop: Header=BB200_10 Depth=1
	s_or_b64 exec, exec, s[16:17]
	v_add_u32_e32 v23, 2, v23
	v_cmp_le_i32_e64 s[8:9], s25, v23
	v_add_u32_e32 v21, 16, v21
	v_add_u32_e32 v22, 64, v22
	s_or_b64 s[14:15], s[8:9], s[14:15]
	v_lshl_add_u64 v[12:13], v[12:13], 0, 8
	s_andn2_b64 exec, exec, s[14:15]
	s_cbranch_execz .LBB200_12
.LBB200_10:                             ; =>This Inner Loop Header: Depth=1
	global_load_dword v24, v[12:13], off
	s_waitcnt vmcnt(0) lgkmcnt(0)
	v_mad_i64_i32 v[24:25], s[8:9], v24, s42, v[10:11]
	v_lshl_add_u64 v[24:25], v[24:25], 0, v[8:9]
	global_load_ubyte v26, v[24:25], off
	global_load_ubyte v27, v[24:25], off offset:8
	global_load_ubyte v28, v[24:25], off offset:128
	;; [unrolled: 1-line block ×3, first 2 shown]
	s_waitcnt vmcnt(3)
	v_cvt_f32_fp8_sdwa v24, v26 src0_sel:BYTE_0
	s_waitcnt vmcnt(2)
	v_cvt_f32_fp8_sdwa v25, v27 src0_sel:BYTE_0
	s_waitcnt vmcnt(1)
	v_cvt_f32_fp8_sdwa v26, v28 src0_sel:BYTE_0
	s_waitcnt vmcnt(0)
	v_cvt_f32_fp8_sdwa v27, v29 src0_sel:BYTE_0
	s_waitcnt lgkmcnt(0)
	v_mul_f32_e32 v24, s43, v24
	v_mul_f32_e32 v25, s43, v25
	;; [unrolled: 1-line block ×4, first 2 shown]
	v_fmac_f32_e32 v25, v2, v24
	v_mul_f32_e32 v27, s43, v27
	v_fmac_f32_e32 v25, v4, v26
	v_fmac_f32_e32 v25, v5, v27
	ds_bpermute_b32 v24, v18, v25
	s_waitcnt lgkmcnt(0)
	v_add_f32_e32 v24, v25, v24
	ds_bpermute_b32 v25, v19, v24
	s_waitcnt lgkmcnt(0)
	v_add_f32_e32 v24, v24, v25
	ds_bpermute_b32 v25, v20, v24
	s_and_saveexec_b64 s[16:17], vcc
	s_cbranch_execz .LBB200_9
; %bb.11:                               ;   in Loop: Header=BB200_10 Depth=1
	v_add_u32_e32 v26, s44, v21
	v_cvt_f32_i32_e32 v26, v26
	s_waitcnt lgkmcnt(0)
	v_add_f32_e32 v24, v24, v25
	v_cmp_gt_i32_e64 s[8:9], s29, v21
	v_max_f32_e32 v25, v17, v17
	v_mul_f32_e32 v26, s10, v26
	v_cndmask_b32_e64 v26, 0, v26, s[0:1]
	v_fmac_f32_e32 v26, s11, v24
	v_cndmask_b32_e64 v24, 0, v26, s[8:9]
	ds_write_b32 v22, v24
	v_max_f32_e32 v24, v25, v26
	v_cndmask_b32_e64 v17, v17, v24, s[8:9]
	s_branch .LBB200_9
.LBB200_12:
	s_or_b64 exec, exec, s[14:15]
.LBB200_13:
	s_or_b64 exec, exec, s[38:39]
	v_xor_b32_e32 v2, 32, v15
	v_cmp_lt_i32_e32 vcc, v2, v16
	v_xor_b32_e32 v5, 16, v15
	v_max_f32_e32 v4, v17, v17
	v_cndmask_b32_e32 v2, v15, v2, vcc
	v_lshlrev_b32_e32 v3, 2, v2
	ds_bpermute_b32 v2, v3, v17
	v_cmp_lt_i32_e32 vcc, v5, v16
	v_and_b32_e32 v18, 63, v0
	s_waitcnt lgkmcnt(0)
	v_max_f32_e32 v2, v2, v2
	v_max_f32_e32 v2, v4, v2
	v_cndmask_b32_e32 v4, v15, v5, vcc
	v_lshlrev_b32_e32 v8, 2, v4
	ds_bpermute_b32 v4, v8, v2
	v_xor_b32_e32 v5, 8, v15
	v_cmp_lt_i32_e32 vcc, v5, v16
	s_waitcnt lgkmcnt(0)
	v_max_f32_e32 v4, v4, v4
	v_max_f32_e32 v4, v2, v4
	v_cndmask_b32_e32 v2, v15, v5, vcc
	v_lshlrev_b32_e32 v9, 2, v2
	ds_bpermute_b32 v5, v9, v4
	v_cmp_eq_u32_e32 vcc, 0, v18
	v_lshlrev_b32_e32 v2, 2, v14
	s_and_saveexec_b64 s[0:1], vcc
	s_cbranch_execz .LBB200_15
; %bb.14:
	s_waitcnt lgkmcnt(0)
	v_max_f32_e32 v5, v5, v5
	v_max_f32_e32 v4, v4, v4
	;; [unrolled: 1-line block ×3, first 2 shown]
	ds_write_b32 v2, v4 offset:128
.LBB200_15:
	s_or_b64 exec, exec, s[0:1]
	v_cmp_gt_u32_e64 s[0:1], 2, v18
	v_mov_b32_e32 v4, 0xff7fffff
	s_waitcnt lgkmcnt(0)
	v_lshlrev_b32_e32 v5, 2, v18
	s_barrier
	s_and_saveexec_b64 s[8:9], s[0:1]
	s_cbranch_execz .LBB200_17
; %bb.16:
	ds_read_b32 v4, v5 offset:128
.LBB200_17:
	s_or_b64 exec, exec, s[8:9]
	v_xor_b32_e32 v10, 1, v15
	v_cmp_lt_i32_e64 s[8:9], v10, v16
	s_sub_i32 s3, s25, s3
	s_lshl_b32 s3, s3, 3
	v_cndmask_b32_e64 v10, v15, v10, s[8:9]
	v_lshlrev_b32_e32 v19, 2, v10
	s_waitcnt lgkmcnt(0)
	ds_bpermute_b32 v10, v19, v4
	v_max_f32_e32 v4, v4, v4
	s_add_i32 s3, s3, s33
	s_min_i32 s38, s3, s29
	s_sub_i32 s3, s38, s33
	s_waitcnt lgkmcnt(0)
	v_max_f32_e32 v10, v10, v10
	v_max_f32_e32 v4, v4, v10
	v_lshlrev_b32_e32 v10, 2, v15
	v_and_b32_e32 v10, 0xffffff00, v10
	ds_bpermute_b32 v4, v10, v4
	v_cmp_gt_i32_e64 s[8:9], s3, v0
	v_mov_b32_e32 v11, 0
	s_and_saveexec_b64 s[14:15], s[8:9]
	s_cbranch_execz .LBB200_21
; %bb.18:
	v_mov_b32_e32 v11, 0x90
	v_lshl_add_u32 v12, v0, 2, v11
	s_mov_b64 s[16:17], 0
	v_mov_b32_e32 v11, 0
	v_mov_b32_e32 v13, v0
.LBB200_19:                             ; =>This Inner Loop Header: Depth=1
	ds_read_b32 v17, v12
	v_add_u32_e32 v13, 0x80, v13
	v_cmp_le_i32_e64 s[10:11], s3, v13
	s_or_b64 s[16:17], s[10:11], s[16:17]
	s_waitcnt lgkmcnt(0)
	v_sub_f32_e32 v17, v17, v4
	v_mul_f32_e32 v17, 0x3fb8aa3b, v17
	v_exp_f32_e32 v17, v17
	ds_write_b32 v12, v17
	v_add_f32_e32 v11, v11, v17
	v_add_u32_e32 v12, 0x200, v12
	s_andn2_b64 exec, exec, s[16:17]
	s_cbranch_execnz .LBB200_19
; %bb.20:
	s_or_b64 exec, exec, s[16:17]
.LBB200_21:
	s_or_b64 exec, exec, s[14:15]
	ds_bpermute_b32 v3, v3, v11
	s_waitcnt lgkmcnt(0)
	v_add_f32_e32 v3, v11, v3
	ds_bpermute_b32 v8, v8, v3
	s_waitcnt lgkmcnt(0)
	v_add_f32_e32 v3, v3, v8
	ds_bpermute_b32 v8, v9, v3
	v_xor_b32_e32 v9, 4, v15
	v_cmp_lt_i32_e64 s[10:11], v9, v16
	s_waitcnt lgkmcnt(0)
	v_add_f32_e32 v3, v3, v8
	v_cndmask_b32_e64 v9, v15, v9, s[10:11]
	v_lshlrev_b32_e32 v9, 2, v9
	ds_bpermute_b32 v8, v9, v3
	v_xor_b32_e32 v9, 2, v15
	v_cmp_lt_i32_e64 s[10:11], v9, v16
	s_waitcnt lgkmcnt(0)
	v_add_f32_e32 v3, v3, v8
	v_cndmask_b32_e64 v9, v15, v9, s[10:11]
	v_lshlrev_b32_e32 v8, 2, v9
	ds_bpermute_b32 v8, v8, v3
	s_waitcnt lgkmcnt(0)
	v_add_f32_e32 v3, v3, v8
	ds_bpermute_b32 v8, v19, v3
	s_waitcnt lgkmcnt(0)
	v_add_f32_e32 v3, v3, v8
	s_and_saveexec_b64 s[10:11], vcc
	s_cbranch_execz .LBB200_23
; %bb.22:
	ds_write_b32 v2, v3 offset:136
.LBB200_23:
	s_or_b64 exec, exec, s[10:11]
	s_waitcnt lgkmcnt(0)
	s_barrier
	s_and_saveexec_b64 s[10:11], s[0:1]
	s_cbranch_execz .LBB200_25
; %bb.24:
	ds_read_b32 v3, v5 offset:136
.LBB200_25:
	s_or_b64 exec, exec, s[10:11]
	s_waitcnt lgkmcnt(0)
	ds_bpermute_b32 v2, v19, v3
	s_waitcnt lgkmcnt(0)
	v_add_f32_e32 v2, v3, v2
	ds_bpermute_b32 v5, v10, v2
	s_and_saveexec_b64 s[0:1], s[8:9]
	s_cbranch_execz .LBB200_38
; %bb.26:
	s_waitcnt lgkmcnt(0)
	v_add_f32_e32 v2, 0x358637bd, v5
	v_div_scale_f32 v3, s[8:9], v2, v2, 1.0
	v_rcp_f32_e32 v8, v3
	v_div_scale_f32 v9, vcc, 1.0, v2, 1.0
	s_movk_i32 s8, 0x7f
	v_fma_f32 v10, -v3, v8, 1.0
	v_fmac_f32_e32 v8, v10, v8
	v_mul_f32_e32 v10, v9, v8
	v_fma_f32 v11, -v3, v10, v9
	v_fmac_f32_e32 v10, v11, v8
	v_fma_f32 v3, -v3, v10, v9
	v_div_fmas_f32 v3, v3, v8, v10
	v_div_fixup_f32 v2, v3, v2, 1.0
	v_xad_u32 v3, v0, -1, s38
	v_subrev_u32_e32 v8, s33, v3
	v_cmp_lt_u32_e32 vcc, s8, v8
	s_mov_b64 s[10:11], -1
	v_mov_b32_e32 v3, v0
	s_and_saveexec_b64 s[8:9], vcc
	s_cbranch_execz .LBB200_35
; %bb.27:
	v_lshrrev_b32_e32 v8, 7, v8
	v_add_u32_e32 v10, -1, v8
	v_lshrrev_b32_e32 v9, 1, v10
	v_mov_b32_e32 v3, v2
	v_add_u32_e32 v9, 1, v9
	v_cmp_lt_u32_e32 vcc, 13, v10
	v_mov_b32_e32 v12, 0
	s_and_saveexec_b64 s[10:11], vcc
	s_cbranch_execz .LBB200_31
; %bb.28:
	v_mov_b32_e32 v11, 0x90
	v_and_b32_e32 v10, -8, v9
	v_lshl_add_u32 v11, v0, 2, v11
	s_mov_b32 s16, 0
	s_mov_b64 s[14:15], 0
.LBB200_29:                             ; =>This Inner Loop Header: Depth=1
	ds_read2st64_b32 v[12:13], v11 offset1:2
	ds_read2st64_b32 v[16:17], v11 offset0:4 offset1:6
	ds_read2st64_b32 v[20:21], v11 offset0:8 offset1:10
	;; [unrolled: 1-line block ×3, first 2 shown]
	v_add_u32_e32 v10, -8, v10
	s_waitcnt lgkmcnt(3)
	v_pk_mul_f32 v[12:13], v[2:3], v[12:13]
	s_waitcnt lgkmcnt(2)
	v_pk_mul_f32 v[16:17], v[2:3], v[16:17]
	ds_write2st64_b32 v11, v12, v13 offset1:2
	ds_write2st64_b32 v11, v16, v17 offset0:4 offset1:6
	ds_read2st64_b32 v[16:17], v11 offset0:16 offset1:18
	s_waitcnt lgkmcnt(4)
	v_pk_mul_f32 v[12:13], v[2:3], v[20:21]
	ds_write2st64_b32 v11, v12, v13 offset0:8 offset1:10
	s_waitcnt lgkmcnt(4)
	v_pk_mul_f32 v[12:13], v[2:3], v[22:23]
	ds_write2st64_b32 v11, v12, v13 offset0:12 offset1:14
	ds_read2st64_b32 v[12:13], v11 offset0:20 offset1:22
	s_waitcnt lgkmcnt(3)
	v_pk_mul_f32 v[16:17], v[2:3], v[16:17]
	ds_read2st64_b32 v[20:21], v11 offset0:24 offset1:26
	ds_write2st64_b32 v11, v16, v17 offset0:16 offset1:18
	ds_read2st64_b32 v[16:17], v11 offset0:28 offset1:30
	s_waitcnt lgkmcnt(3)
	v_pk_mul_f32 v[12:13], v[2:3], v[12:13]
	ds_write2st64_b32 v11, v12, v13 offset0:20 offset1:22
	s_waitcnt lgkmcnt(3)
	v_pk_mul_f32 v[12:13], v[2:3], v[20:21]
	ds_write2st64_b32 v11, v12, v13 offset0:24 offset1:26
	s_waitcnt lgkmcnt(2)
	v_pk_mul_f32 v[12:13], v[2:3], v[16:17]
	s_add_i32 s16, s16, 16
	v_cmp_eq_u32_e32 vcc, 0, v10
	ds_write2st64_b32 v11, v12, v13 offset0:28 offset1:30
	v_add_u32_e32 v11, 0x2000, v11
	s_or_b64 s[14:15], vcc, s[14:15]
	v_mov_b32_e32 v12, s16
	s_andn2_b64 exec, exec, s[14:15]
	s_cbranch_execnz .LBB200_29
; %bb.30:
	s_or_b64 exec, exec, s[14:15]
.LBB200_31:
	s_or_b64 exec, exec, s[10:11]
	v_and_b32_e32 v9, 7, v9
	v_cmp_ne_u32_e32 vcc, 0, v9
	s_and_saveexec_b64 s[10:11], vcc
	s_cbranch_execz .LBB200_34
; %bb.32:
	v_lshlrev_b32_e32 v10, 9, v12
	s_movk_i32 s14, 0x90
	v_add3_u32 v10, v10, v1, s14
	s_mov_b64 s[14:15], 0
.LBB200_33:                             ; =>This Inner Loop Header: Depth=1
	ds_read2st64_b32 v[12:13], v10 offset1:2
	v_add_u32_e32 v9, -1, v9
	v_cmp_eq_u32_e32 vcc, 0, v9
	s_or_b64 s[14:15], vcc, s[14:15]
	s_waitcnt lgkmcnt(0)
	v_pk_mul_f32 v[12:13], v[2:3], v[12:13]
	ds_write2st64_b32 v10, v12, v13 offset1:2
	v_add_u32_e32 v10, 0x400, v10
	s_andn2_b64 exec, exec, s[14:15]
	s_cbranch_execnz .LBB200_33
.LBB200_34:
	s_or_b64 exec, exec, s[10:11]
	v_add_u32_e32 v8, 1, v8
	v_and_b32_e32 v9, 0x3fffffe, v8
	v_cmp_ne_u32_e32 vcc, v8, v9
	v_lshl_add_u32 v3, v9, 7, v0
	s_orn2_b64 s[10:11], vcc, exec
.LBB200_35:
	s_or_b64 exec, exec, s[8:9]
	s_and_b64 exec, exec, s[10:11]
	s_cbranch_execz .LBB200_38
; %bb.36:
	v_mov_b32_e32 v8, 0x90
	v_lshl_add_u32 v8, v3, 2, v8
	s_mov_b64 s[8:9], 0
.LBB200_37:                             ; =>This Inner Loop Header: Depth=1
	ds_read_b32 v9, v8
	v_add_u32_e32 v3, 0x80, v3
	v_cmp_le_i32_e32 vcc, s3, v3
	s_or_b64 s[8:9], vcc, s[8:9]
	s_waitcnt lgkmcnt(0)
	v_mul_f32_e32 v9, v2, v9
	ds_write_b32 v8, v9
	v_add_u32_e32 v8, 0x200, v8
	s_andn2_b64 exec, exec, s[8:9]
	s_cbranch_execnz .LBB200_37
.LBB200_38:
	s_or_b64 exec, exec, s[0:1]
	s_mul_i32 s0, s12, s28
	v_cmp_eq_u32_e32 vcc, 0, v0
	s_mul_i32 s0, s0, s5
	s_waitcnt lgkmcnt(0)
	s_barrier
	s_and_saveexec_b64 s[8:9], vcc
	s_cbranch_execz .LBB200_40
; %bb.39:
	s_ashr_i32 s1, s0, 31
	s_lshl_b64 s[10:11], s[0:1], 2
	s_add_u32 s1, s22, s10
	s_mul_i32 s2, s12, s2
	s_addc_u32 s5, s23, s11
	s_ashr_i32 s3, s2, 31
	s_lshl_b64 s[2:3], s[2:3], 2
	s_add_u32 s1, s1, s2
	s_addc_u32 s17, s5, s3
	s_ashr_i32 s5, s4, 31
	s_lshl_b64 s[14:15], s[4:5], 2
	s_add_u32 s16, s1, s14
	s_addc_u32 s17, s17, s15
	s_add_u32 s1, s20, s10
	s_addc_u32 s5, s21, s11
	;; [unrolled: 2-line block ×3, first 2 shown]
	s_add_u32 s2, s1, s14
	v_mov_b32_e32 v2, 0
	s_addc_u32 s3, s3, s15
	global_store_dword v2, v4, s[16:17]
	global_store_dword v2, v5, s[2:3]
.LBB200_40:
	s_or_b64 exec, exec, s[8:9]
	v_mov_b32_e32 v9, 0
	s_and_saveexec_b64 s[2:3], s[6:7]
	s_cbranch_execz .LBB200_46
; %bb.41:
	s_ashr_i32 s5, s41, 31
	s_add_u32 s8, s36, s41
	s_load_dword s6, s[18:19], 0x0
	v_and_b32_e32 v2, 4, v1
	s_addc_u32 s9, s37, s5
	v_and_b32_e32 v8, 0xfc, v1
	v_mov_b32_e32 v9, 0
	v_lshl_add_u32 v1, v14, 3, s33
	v_lshl_add_u64 v[10:11], s[8:9], 0, v[8:9]
	s_add_i32 s40, s40, -1
	v_add3_u32 v1, v1, v2, 3
	v_and_b32_e32 v2, 1, v0
	s_lshl_b64 s[8:9], s[34:35], 2
	v_lshlrev_b32_e32 v2, 4, v2
	s_add_u32 s8, s30, s8
	v_lshl_or_b32 v2, v14, 5, v2
	s_addc_u32 s9, s31, s9
	s_mov_b32 s1, s13
	s_waitcnt lgkmcnt(0)
	s_mov_b32 s7, s6
	v_add_u32_e32 v8, 0x90, v2
	v_lshl_add_u64 v[12:13], v[6:7], 2, s[8:9]
	s_mov_b64 s[8:9], 0
	s_branch .LBB200_43
.LBB200_42:                             ;   in Loop: Header=BB200_43 Depth=1
	s_or_b64 exec, exec, s[10:11]
	s_waitcnt lgkmcnt(0)
	v_mul_f32_e32 v3, v3, v17
	v_fmac_f32_e32 v3, v2, v16
	v_fmac_f32_e32 v3, v4, v14
	v_add_u32_e32 v6, 2, v6
	v_fmac_f32_e32 v3, v5, v15
	v_cmp_le_i32_e32 vcc, s25, v6
	v_add_f32_e32 v9, v9, v3
	v_add_u32_e32 v1, 16, v1
	v_add_u32_e32 v8, 64, v8
	s_or_b64 s[8:9], vcc, s[8:9]
	v_lshl_add_u64 v[12:13], v[12:13], 0, 8
	s_andn2_b64 exec, exec, s[8:9]
	s_cbranch_execz .LBB200_45
.LBB200_43:                             ; =>This Inner Loop Header: Depth=1
	global_load_dword v2, v[12:13], off
	v_cmp_eq_u32_e32 vcc, s40, v6
	s_waitcnt vmcnt(0)
	v_mad_i64_i32 v[2:3], s[10:11], v2, s1, v[10:11]
	global_load_dword v2, v[2:3], off
	s_waitcnt vmcnt(0)
	v_and_b32_e32 v3, 0xffff, v2
	v_lshrrev_b32_e32 v2, 16, v2
	v_cvt_pk_f32_fp8_e32 v[14:15], v3
	v_cvt_pk_f32_fp8_e32 v[20:21], v2
	ds_read_b128 v[2:5], v8
	v_pk_mul_f32 v[16:17], s[6:7], v[14:15]
	v_pk_mul_f32 v[14:15], s[6:7], v[20:21]
	s_and_saveexec_b64 s[10:11], vcc
	s_cbranch_execz .LBB200_42
; %bb.44:                               ;   in Loop: Header=BB200_43 Depth=1
	v_add_u32_e32 v7, -3, v1
	v_cmp_gt_i32_e32 vcc, s29, v7
	v_add_u32_e32 v7, -2, v1
	s_nop 0
	v_cndmask_b32_e32 v16, 0, v16, vcc
	v_cmp_gt_i32_e32 vcc, s29, v7
	v_add_u32_e32 v7, -1, v1
	s_nop 0
	v_cndmask_b32_e32 v17, 0, v17, vcc
	v_cmp_gt_i32_e32 vcc, s29, v7
	s_nop 1
	v_cndmask_b32_e32 v14, 0, v14, vcc
	v_cmp_gt_i32_e32 vcc, s29, v1
	s_nop 1
	v_cndmask_b32_e32 v15, 0, v15, vcc
	s_branch .LBB200_42
.LBB200_45:
	s_or_b64 exec, exec, s[8:9]
.LBB200_46:
	s_or_b64 exec, exec, s[2:3]
	ds_bpermute_b32 v1, v19, v9
	v_and_b32_e32 v2, 0x3c1, v0
	v_cmp_eq_u32_e32 vcc, 64, v2
	s_waitcnt lgkmcnt(0)
	s_barrier
	v_add_f32_e32 v1, v9, v1
	s_and_saveexec_b64 s[2:3], vcc
	s_cbranch_execz .LBB200_48
; %bb.47:
	v_mov_b32_e32 v3, 0x90
	v_lshl_add_u32 v3, v18, 1, v3
	ds_write_b32 v3, v1
.LBB200_48:
	s_or_b64 exec, exec, s[2:3]
	v_cmp_eq_u32_e32 vcc, 0, v2
	s_waitcnt lgkmcnt(0)
	s_barrier
	s_and_saveexec_b64 s[2:3], vcc
	s_cbranch_execz .LBB200_50
; %bb.49:
	v_mov_b32_e32 v2, 0x90
	v_lshl_add_u32 v2, v0, 1, v2
	ds_read_b32 v2, v2
	s_waitcnt lgkmcnt(0)
	v_add_f32_e32 v1, v1, v2
.LBB200_50:
	s_or_b64 exec, exec, s[2:3]
	s_barrier
	s_and_saveexec_b64 s[2:3], vcc
	s_cbranch_execz .LBB200_52
; %bb.51:
	s_lshl_b32 s0, s0, 5
	s_ashr_i32 s1, s0, 31
	s_lshl_b64 s[0:1], s[0:1], 2
	s_add_u32 s2, s26, s0
	s_mul_i32 s0, s12, s24
	s_addc_u32 s3, s27, s1
	s_ashr_i32 s1, s0, 31
	s_lshl_b64 s[0:1], s[0:1], 2
	s_add_u32 s2, s2, s0
	s_addc_u32 s3, s3, s1
	s_lshl_b32 s0, s4, 5
	s_ashr_i32 s1, s0, 31
	s_lshl_b64 s[0:1], s[0:1], 2
	s_add_u32 s0, s2, s0
	s_addc_u32 s1, s3, s1
	v_lshlrev_b32_e32 v0, 1, v0
	global_store_dword v0, v1, s[0:1]
.LBB200_52:
	s_endpgm
	.section	.rodata,"a",@progbits
	.p2align	6, 0x0
	.amdhsa_kernel _ZN4vllm25paged_attention_v2_kernelIfhLi32ELi8ELi128ELNS_18Fp8KVCacheDataTypeE1ELb0ELi512EEEvPfS2_PT_PKS3_PKT0_S9_ifPKiSB_iPKfiiiSD_SD_iiiii
		.amdhsa_group_segment_fixed_size 144
		.amdhsa_private_segment_fixed_size 0
		.amdhsa_kernarg_size 400
		.amdhsa_user_sgpr_count 2
		.amdhsa_user_sgpr_dispatch_ptr 0
		.amdhsa_user_sgpr_queue_ptr 0
		.amdhsa_user_sgpr_kernarg_segment_ptr 1
		.amdhsa_user_sgpr_dispatch_id 0
		.amdhsa_user_sgpr_kernarg_preload_length 0
		.amdhsa_user_sgpr_kernarg_preload_offset 0
		.amdhsa_user_sgpr_private_segment_size 0
		.amdhsa_uses_dynamic_stack 0
		.amdhsa_enable_private_segment 0
		.amdhsa_system_sgpr_workgroup_id_x 1
		.amdhsa_system_sgpr_workgroup_id_y 1
		.amdhsa_system_sgpr_workgroup_id_z 1
		.amdhsa_system_sgpr_workgroup_info 0
		.amdhsa_system_vgpr_workitem_id 0
		.amdhsa_next_free_vgpr 30
		.amdhsa_next_free_sgpr 45
		.amdhsa_accum_offset 32
		.amdhsa_reserve_vcc 1
		.amdhsa_float_round_mode_32 0
		.amdhsa_float_round_mode_16_64 0
		.amdhsa_float_denorm_mode_32 3
		.amdhsa_float_denorm_mode_16_64 3
		.amdhsa_dx10_clamp 1
		.amdhsa_ieee_mode 1
		.amdhsa_fp16_overflow 0
		.amdhsa_tg_split 0
		.amdhsa_exception_fp_ieee_invalid_op 0
		.amdhsa_exception_fp_denorm_src 0
		.amdhsa_exception_fp_ieee_div_zero 0
		.amdhsa_exception_fp_ieee_overflow 0
		.amdhsa_exception_fp_ieee_underflow 0
		.amdhsa_exception_fp_ieee_inexact 0
		.amdhsa_exception_int_div_zero 0
	.end_amdhsa_kernel
	.section	.text._ZN4vllm25paged_attention_v2_kernelIfhLi32ELi8ELi128ELNS_18Fp8KVCacheDataTypeE1ELb0ELi512EEEvPfS2_PT_PKS3_PKT0_S9_ifPKiSB_iPKfiiiSD_SD_iiiii,"axG",@progbits,_ZN4vllm25paged_attention_v2_kernelIfhLi32ELi8ELi128ELNS_18Fp8KVCacheDataTypeE1ELb0ELi512EEEvPfS2_PT_PKS3_PKT0_S9_ifPKiSB_iPKfiiiSD_SD_iiiii,comdat
.Lfunc_end200:
	.size	_ZN4vllm25paged_attention_v2_kernelIfhLi32ELi8ELi128ELNS_18Fp8KVCacheDataTypeE1ELb0ELi512EEEvPfS2_PT_PKS3_PKT0_S9_ifPKiSB_iPKfiiiSD_SD_iiiii, .Lfunc_end200-_ZN4vllm25paged_attention_v2_kernelIfhLi32ELi8ELi128ELNS_18Fp8KVCacheDataTypeE1ELb0ELi512EEEvPfS2_PT_PKS3_PKT0_S9_ifPKiSB_iPKfiiiSD_SD_iiiii
                                        ; -- End function
	.section	.AMDGPU.csdata,"",@progbits
; Kernel info:
; codeLenInByte = 3244
; NumSgprs: 51
; NumVgprs: 30
; NumAgprs: 0
; TotalNumVgprs: 30
; ScratchSize: 0
; MemoryBound: 0
; FloatMode: 240
; IeeeMode: 1
; LDSByteSize: 144 bytes/workgroup (compile time only)
; SGPRBlocks: 6
; VGPRBlocks: 3
; NumSGPRsForWavesPerEU: 51
; NumVGPRsForWavesPerEU: 30
; AccumOffset: 32
; Occupancy: 8
; WaveLimiterHint : 1
; COMPUTE_PGM_RSRC2:SCRATCH_EN: 0
; COMPUTE_PGM_RSRC2:USER_SGPR: 2
; COMPUTE_PGM_RSRC2:TRAP_HANDLER: 0
; COMPUTE_PGM_RSRC2:TGID_X_EN: 1
; COMPUTE_PGM_RSRC2:TGID_Y_EN: 1
; COMPUTE_PGM_RSRC2:TGID_Z_EN: 1
; COMPUTE_PGM_RSRC2:TIDIG_COMP_CNT: 0
; COMPUTE_PGM_RSRC3_GFX90A:ACCUM_OFFSET: 7
; COMPUTE_PGM_RSRC3_GFX90A:TG_SPLIT: 0
	.section	.text._ZN4vllm25paged_attention_v2_kernelIfhLi64ELi8ELi128ELNS_18Fp8KVCacheDataTypeE1ELb0ELi512EEEvPfS2_PT_PKS3_PKT0_S9_ifPKiSB_iPKfiiiSD_SD_iiiii,"axG",@progbits,_ZN4vllm25paged_attention_v2_kernelIfhLi64ELi8ELi128ELNS_18Fp8KVCacheDataTypeE1ELb0ELi512EEEvPfS2_PT_PKS3_PKT0_S9_ifPKiSB_iPKfiiiSD_SD_iiiii,comdat
	.protected	_ZN4vllm25paged_attention_v2_kernelIfhLi64ELi8ELi128ELNS_18Fp8KVCacheDataTypeE1ELb0ELi512EEEvPfS2_PT_PKS3_PKT0_S9_ifPKiSB_iPKfiiiSD_SD_iiiii ; -- Begin function _ZN4vllm25paged_attention_v2_kernelIfhLi64ELi8ELi128ELNS_18Fp8KVCacheDataTypeE1ELb0ELi512EEEvPfS2_PT_PKS3_PKT0_S9_ifPKiSB_iPKfiiiSD_SD_iiiii
	.globl	_ZN4vllm25paged_attention_v2_kernelIfhLi64ELi8ELi128ELNS_18Fp8KVCacheDataTypeE1ELb0ELi512EEEvPfS2_PT_PKS3_PKT0_S9_ifPKiSB_iPKfiiiSD_SD_iiiii
	.p2align	8
	.type	_ZN4vllm25paged_attention_v2_kernelIfhLi64ELi8ELi128ELNS_18Fp8KVCacheDataTypeE1ELb0ELi512EEEvPfS2_PT_PKS3_PKT0_S9_ifPKiSB_iPKfiiiSD_SD_iiiii,@function
_ZN4vllm25paged_attention_v2_kernelIfhLi64ELi8ELi128ELNS_18Fp8KVCacheDataTypeE1ELb0ELi512EEEvPfS2_PT_PKS3_PKT0_S9_ifPKiSB_iPKfiiiSD_SD_iiiii: ; @_ZN4vllm25paged_attention_v2_kernelIfhLi64ELi8ELi128ELNS_18Fp8KVCacheDataTypeE1ELb0ELi512EEEvPfS2_PT_PKS3_PKT0_S9_ifPKiSB_iPKfiiiSD_SD_iiiii
; %bb.0:
	s_load_dwordx2 s[6:7], s[0:1], 0x40
	s_mov_b32 s28, s3
	s_ashr_i32 s29, s3, 31
	s_lshl_b64 s[8:9], s[28:29], 2
	s_waitcnt lgkmcnt(0)
	s_add_u32 s6, s6, s8
	s_addc_u32 s7, s7, s9
	s_load_dword s29, s[6:7], 0x0
	s_lshl_b32 s42, s4, 9
	s_waitcnt lgkmcnt(0)
	s_cmp_ge_i32 s42, s29
	s_cbranch_scc1 .LBB201_58
; %bb.1:
	s_load_dword s5, s[0:1], 0x90
	s_load_dwordx2 s[38:39], s[0:1], 0x30
	s_waitcnt lgkmcnt(0)
	s_abs_i32 s7, s5
	s_abs_i32 s3, s38
	v_cvt_f32_u32_e32 v1, s3
	s_sub_i32 s8, 0, s3
	s_xor_b32 s6, s5, s38
	s_ashr_i32 s6, s6, 31
	v_rcp_iflag_f32_e32 v1, v1
	s_nop 0
	v_mul_f32_e32 v1, 0x4f7ffffe, v1
	v_cvt_u32_f32_e32 v1, v1
	s_nop 0
	v_readfirstlane_b32 s9, v1
	s_mul_i32 s8, s8, s9
	s_mul_hi_u32 s8, s9, s8
	s_add_i32 s9, s9, s8
	s_mul_hi_u32 s8, s7, s9
	s_mul_i32 s9, s8, s3
	s_sub_i32 s7, s7, s9
	s_add_i32 s10, s8, 1
	s_sub_i32 s9, s7, s3
	s_cmp_ge_u32 s7, s3
	s_cselect_b32 s8, s10, s8
	s_cselect_b32 s7, s9, s7
	s_add_i32 s9, s8, 1
	s_cmp_ge_u32 s7, s3
	s_cselect_b32 s3, s9, s8
	s_xor_b32 s3, s3, s6
	s_sub_i32 s8, s3, s6
	s_abs_i32 s10, s8
	v_cvt_f32_u32_e32 v1, s10
	s_load_dwordx2 s[6:7], s[0:1], 0x50
	s_sub_i32 s9, 0, s10
	s_abs_i32 s11, s2
	v_rcp_iflag_f32_e32 v1, v1
	s_mov_b32 s3, 0
	v_mul_f32_e32 v1, 0x4f7ffffe, v1
	v_cvt_u32_f32_e32 v1, v1
	s_nop 0
	v_readfirstlane_b32 s12, v1
	s_mul_i32 s9, s9, s12
	s_mul_hi_u32 s9, s12, s9
	s_add_i32 s12, s12, s9
	s_waitcnt lgkmcnt(0)
	s_cmp_eq_u64 s[6:7], 0
	s_mul_hi_u32 s12, s11, s12
	s_cbranch_scc1 .LBB201_3
; %bb.2:
	s_ashr_i32 s3, s2, 31
	s_lshl_b64 s[14:15], s[2:3], 2
	s_add_u32 s6, s6, s14
	s_addc_u32 s7, s7, s15
	s_load_dword s3, s[6:7], 0x0
.LBB201_3:
	s_load_dwordx4 s[16:19], s[0:1], 0x58
	s_ashr_i32 s13, s2, 31
	s_ashr_i32 s14, s8, 31
	v_and_b32_e32 v12, 7, v0
	s_lshl_b32 s24, s2, 6
	v_cmp_gt_u32_e64 s[8:9], 64, v0
	v_lshlrev_b32_e32 v18, 2, v0
	v_lshrrev_b32_e32 v1, 1, v0
	s_and_saveexec_b64 s[6:7], s[8:9]
	s_cbranch_execz .LBB201_5
; %bb.4:
	s_load_dwordx2 s[20:21], s[0:1], 0x18
	s_waitcnt lgkmcnt(0)
	s_mul_i32 s22, s28, s16
	s_ashr_i32 s23, s22, 31
	s_lshl_b64 s[22:23], s[22:23], 2
	v_and_b32_e32 v3, 0x1fc, v1
	s_add_u32 s15, s20, s22
	s_addc_u32 s16, s21, s23
	s_ashr_i32 s25, s24, 31
	s_lshl_b64 s[20:21], s[24:25], 2
	s_add_u32 s20, s15, s20
	s_addc_u32 s21, s16, s21
	global_load_dword v2, v18, s[20:21]
	v_lshl_add_u32 v3, v12, 5, v3
	s_waitcnt vmcnt(0)
	ds_write_b32 v3, v2
.LBB201_5:
	s_or_b64 exec, exec, s[6:7]
	s_add_i32 s6, s29, 7
	s_ashr_i32 s7, s6, 31
	s_lshr_b32 s7, s7, 29
	s_add_i32 s6, s6, s7
	s_waitcnt lgkmcnt(0)
	s_lshl_b32 s16, s4, 6
	s_mul_i32 s7, s12, s10
	s_ashr_i32 s43, s6, 3
	s_add_i32 s6, s16, 64
	s_sub_i32 s7, s11, s7
	s_min_i32 s33, s6, s43
	s_xor_b32 s6, s13, s14
	s_add_i32 s11, s12, 1
	s_sub_i32 s13, s7, s10
	s_cmp_ge_u32 s7, s10
	s_cselect_b32 s11, s11, s12
	s_cselect_b32 s7, s13, s7
	s_add_i32 s12, s11, 1
	s_cmp_ge_u32 s7, s10
	s_load_dwordx2 s[30:31], s[0:1], 0x38
	s_load_dword s10, s[0:1], 0x48
	v_lshrrev_b32_e32 v19, 6, v0
	s_cselect_b32 s7, s12, s11
	s_xor_b32 s7, s7, s6
	v_or_b32_e32 v10, s16, v19
	s_waitcnt lgkmcnt(0)
	s_mul_i32 s34, s28, s10
	s_sub_i32 s44, s7, s6
	s_ashr_i32 s35, s34, 31
	v_cmp_gt_i32_e64 s[6:7], s33, v10
	v_cmp_le_i32_e32 vcc, s33, v10
	v_mbcnt_lo_u32_b32 v13, -1, 0
	s_barrier
	s_waitcnt lgkmcnt(0)
                                        ; implicit-def: $sgpr19
                                        ; implicit-def: $vgpr20
                                        ; implicit-def: $vgpr21
	s_and_saveexec_b64 s[10:11], vcc
	s_xor_b64 s[10:11], exec, s[10:11]
; %bb.6:
	v_mbcnt_hi_u32_b32 v20, -1, v13
	v_and_b32_e32 v2, 64, v20
	v_add_u32_e32 v21, 64, v2
	s_mov_b32 s19, 0xff7fffff
                                        ; implicit-def: $vgpr12
                                        ; implicit-def: $vgpr13
; %bb.7:
	s_or_saveexec_b64 s[40:41], s[10:11]
	s_load_dwordx4 s[20:23], s[0:1], 0x0
	s_load_dwordx2 s[26:27], s[0:1], 0x10
	s_load_dword s25, s[0:1], 0x98
	s_load_dwordx2 s[36:37], s[0:1], 0x28
	s_load_dwordx4 s[12:15], s[0:1], 0x68
	v_mov_b32_e32 v22, s19
	s_mul_i32 s44, s44, s18
	v_ashrrev_i32_e32 v11, 31, v10
	s_xor_b64 exec, exec, s[40:41]
	s_cbranch_execz .LBB201_13
; %bb.8:
	v_mbcnt_hi_u32_b32 v20, -1, v13
	s_load_dwordx2 s[0:1], s[0:1], 0x20
	v_and_b32_e32 v13, 64, v20
	v_add_u32_e32 v21, 64, v13
	v_xor_b32_e32 v13, 4, v20
	v_cmp_lt_i32_e32 vcc, v13, v21
	s_ashr_i32 s10, s44, 31
	v_bfe_u32 v22, v0, 3, 3
	v_cndmask_b32_e32 v13, v20, v13, vcc
	v_lshlrev_b32_e32 v23, 2, v13
	v_xor_b32_e32 v13, 2, v20
	s_waitcnt lgkmcnt(0)
	s_add_u32 s0, s0, s44
	v_lshlrev_b32_e32 v6, 5, v12
	v_cmp_lt_i32_e32 vcc, v13, v21
	v_lshlrev_b32_e32 v16, 4, v22
	s_addc_u32 s1, s1, s10
	v_mov_b32_e32 v17, 0
	ds_read_b128 v[2:5], v6
	ds_read_b128 v[6:9], v6 offset:16
	v_cndmask_b32_e32 v13, v20, v13, vcc
	s_load_dword s45, s[12:13], 0x0
	v_lshl_add_u64 v[14:15], s[0:1], 0, v[16:17]
	v_lshlrev_b32_e32 v24, 2, v13
	v_xor_b32_e32 v13, 1, v20
	s_sub_i32 s46, 1, s29
	v_lshlrev_b32_e32 v16, 3, v19
	s_lshl_b64 s[10:11], s[34:35], 2
	v_cmp_lt_i32_e32 vcc, v13, v21
	v_add3_u32 v26, s42, v16, v22
	v_lshlrev_b32_e32 v16, 2, v22
	s_add_u32 s10, s30, s10
	v_cndmask_b32_e32 v13, v20, v13, vcc
	v_lshl_or_b32 v16, v19, 5, v16
	s_addc_u32 s11, s31, s11
	s_mov_b32 s38, s17
	v_lshlrev_b32_e32 v25, 2, v13
	v_cmp_eq_u32_e32 vcc, 0, v12
	v_cmp_neq_f32_e64 s[0:1], s3, 0
	v_mov_b32_e32 v13, v17
	v_add_u32_e32 v27, 0x110, v16
	v_lshl_add_u64 v[16:17], v[10:11], 2, s[10:11]
	s_mov_b64 s[12:13], 0
	v_mov_b32_e32 v22, 0xff7fffff
	v_mov_b32_e32 v28, v10
	s_branch .LBB201_10
.LBB201_9:                              ;   in Loop: Header=BB201_10 Depth=1
	s_or_b64 exec, exec, s[18:19]
	v_add_u32_e32 v28, 2, v28
	v_cmp_le_i32_e64 s[10:11], s33, v28
	v_add_u32_e32 v26, 16, v26
	v_add_u32_e32 v27, 64, v27
	s_or_b64 s[12:13], s[10:11], s[12:13]
	v_lshl_add_u64 v[16:17], v[16:17], 0, 8
	s_andn2_b64 exec, exec, s[12:13]
	s_cbranch_execz .LBB201_12
.LBB201_10:                             ; =>This Inner Loop Header: Depth=1
	global_load_dword v29, v[16:17], off
	s_waitcnt vmcnt(0) lgkmcnt(0)
	v_mad_i64_i32 v[30:31], s[10:11], v29, s38, v[14:15]
	v_lshl_add_u64 v[30:31], v[30:31], 0, v[12:13]
	global_load_ubyte v29, v[30:31], off
	global_load_ubyte v32, v[30:31], off offset:8
	global_load_ubyte v33, v[30:31], off offset:128
	;; [unrolled: 1-line block ×7, first 2 shown]
	s_waitcnt vmcnt(7)
	v_cvt_f32_fp8_sdwa v29, v29 src0_sel:BYTE_0
	s_waitcnt vmcnt(6)
	v_cvt_f32_fp8_sdwa v30, v32 src0_sel:BYTE_0
	;; [unrolled: 2-line block ×5, first 2 shown]
	s_waitcnt lgkmcnt(0)
	v_mul_f32_e32 v30, s45, v30
	s_waitcnt vmcnt(2)
	v_cvt_f32_fp8_sdwa v34, v36 src0_sel:BYTE_0
	v_mul_f32_e32 v29, s45, v29
	v_mul_f32_e32 v30, v3, v30
	s_waitcnt vmcnt(1)
	v_cvt_f32_fp8_sdwa v35, v37 src0_sel:BYTE_0
	v_mul_f32_e32 v31, s45, v31
	v_fmac_f32_e32 v30, v2, v29
	s_waitcnt vmcnt(0)
	v_cvt_f32_fp8_sdwa v36, v38 src0_sel:BYTE_0
	v_mul_f32_e32 v32, s45, v32
	v_fmac_f32_e32 v30, v4, v31
	v_mul_f32_e32 v33, s45, v33
	v_fmac_f32_e32 v30, v5, v32
	;; [unrolled: 2-line block ×5, first 2 shown]
	v_fmac_f32_e32 v30, v9, v36
	ds_bpermute_b32 v29, v23, v30
	s_waitcnt lgkmcnt(0)
	v_add_f32_e32 v29, v30, v29
	ds_bpermute_b32 v30, v24, v29
	s_waitcnt lgkmcnt(0)
	v_add_f32_e32 v29, v29, v30
	ds_bpermute_b32 v30, v25, v29
	s_and_saveexec_b64 s[18:19], vcc
	s_cbranch_execz .LBB201_9
; %bb.11:                               ;   in Loop: Header=BB201_10 Depth=1
	v_add_u32_e32 v31, s46, v26
	v_cvt_f32_i32_e32 v31, v31
	s_waitcnt lgkmcnt(0)
	v_add_f32_e32 v29, v29, v30
	v_cmp_gt_i32_e64 s[10:11], s29, v26
	v_max_f32_e32 v30, v22, v22
	v_mul_f32_e32 v31, s3, v31
	v_cndmask_b32_e64 v31, 0, v31, s[0:1]
	v_fmac_f32_e32 v31, s39, v29
	v_cndmask_b32_e64 v29, 0, v31, s[10:11]
	ds_write_b32 v27, v29
	v_max_f32_e32 v29, v30, v31
	v_cndmask_b32_e64 v22, v22, v29, s[10:11]
	s_branch .LBB201_9
.LBB201_12:
	s_or_b64 exec, exec, s[12:13]
.LBB201_13:
	s_or_b64 exec, exec, s[40:41]
	v_xor_b32_e32 v2, 32, v20
	v_cmp_lt_i32_e32 vcc, v2, v21
	v_xor_b32_e32 v5, 16, v20
	v_max_f32_e32 v4, v22, v22
	v_cndmask_b32_e32 v2, v20, v2, vcc
	v_lshlrev_b32_e32 v3, 2, v2
	ds_bpermute_b32 v2, v3, v22
	v_cmp_lt_i32_e32 vcc, v5, v21
	v_and_b32_e32 v22, 63, v0
	s_waitcnt lgkmcnt(0)
	v_max_f32_e32 v2, v2, v2
	v_max_f32_e32 v2, v4, v2
	v_cndmask_b32_e32 v4, v20, v5, vcc
	v_lshlrev_b32_e32 v6, 2, v4
	ds_bpermute_b32 v4, v6, v2
	v_xor_b32_e32 v5, 8, v20
	v_cmp_lt_i32_e32 vcc, v5, v21
	s_waitcnt lgkmcnt(0)
	v_max_f32_e32 v4, v4, v4
	v_max_f32_e32 v4, v2, v4
	v_cndmask_b32_e32 v2, v20, v5, vcc
	v_lshlrev_b32_e32 v7, 2, v2
	ds_bpermute_b32 v5, v7, v4
	v_cmp_eq_u32_e32 vcc, 0, v22
	v_lshlrev_b32_e32 v2, 2, v19
	s_and_saveexec_b64 s[0:1], vcc
	s_cbranch_execz .LBB201_15
; %bb.14:
	s_waitcnt lgkmcnt(0)
	v_max_f32_e32 v5, v5, v5
	v_max_f32_e32 v4, v4, v4
	;; [unrolled: 1-line block ×3, first 2 shown]
	ds_write_b32 v2, v4 offset:256
.LBB201_15:
	s_or_b64 exec, exec, s[0:1]
	v_cmp_gt_u32_e64 s[0:1], 2, v22
	v_mov_b32_e32 v4, 0xff7fffff
	s_waitcnt lgkmcnt(0)
	v_lshlrev_b32_e32 v5, 2, v22
	s_barrier
	s_and_saveexec_b64 s[10:11], s[0:1]
	s_cbranch_execz .LBB201_17
; %bb.16:
	ds_read_b32 v4, v5 offset:256
.LBB201_17:
	s_or_b64 exec, exec, s[10:11]
	v_xor_b32_e32 v8, 1, v20
	v_cmp_lt_i32_e64 s[10:11], v8, v21
	s_sub_i32 s3, s33, s16
	s_lshl_b32 s3, s3, 3
	v_cndmask_b32_e64 v8, v20, v8, s[10:11]
	v_lshlrev_b32_e32 v23, 2, v8
	s_waitcnt lgkmcnt(0)
	ds_bpermute_b32 v8, v23, v4
	v_max_f32_e32 v4, v4, v4
	s_add_i32 s3, s3, s42
	s_min_i32 s40, s3, s29
	s_sub_i32 s3, s40, s42
	s_waitcnt lgkmcnt(0)
	v_max_f32_e32 v8, v8, v8
	v_max_f32_e32 v4, v4, v8
	v_lshlrev_b32_e32 v8, 2, v20
	v_and_b32_e32 v8, 0xffffff00, v8
	ds_bpermute_b32 v4, v8, v4
	v_cmp_gt_i32_e64 s[10:11], s3, v0
	v_mov_b32_e32 v9, 0
	s_and_saveexec_b64 s[18:19], s[10:11]
	s_cbranch_execz .LBB201_21
; %bb.18:
	v_mov_b32_e32 v9, 0x110
	v_lshl_add_u32 v12, v0, 2, v9
	s_mov_b64 s[38:39], 0
	v_mov_b32_e32 v9, 0
	v_mov_b32_e32 v13, v0
.LBB201_19:                             ; =>This Inner Loop Header: Depth=1
	ds_read_b32 v14, v12
	v_add_u32_e32 v13, 0x80, v13
	v_cmp_le_i32_e64 s[12:13], s3, v13
	s_or_b64 s[38:39], s[12:13], s[38:39]
	s_waitcnt lgkmcnt(0)
	v_sub_f32_e32 v14, v14, v4
	v_mul_f32_e32 v14, 0x3fb8aa3b, v14
	v_exp_f32_e32 v14, v14
	ds_write_b32 v12, v14
	v_add_f32_e32 v9, v9, v14
	v_add_u32_e32 v12, 0x200, v12
	s_andn2_b64 exec, exec, s[38:39]
	s_cbranch_execnz .LBB201_19
; %bb.20:
	s_or_b64 exec, exec, s[38:39]
.LBB201_21:
	s_or_b64 exec, exec, s[18:19]
	ds_bpermute_b32 v3, v3, v9
	s_waitcnt lgkmcnt(0)
	v_add_f32_e32 v3, v9, v3
	ds_bpermute_b32 v6, v6, v3
	s_waitcnt lgkmcnt(0)
	v_add_f32_e32 v3, v3, v6
	ds_bpermute_b32 v6, v7, v3
	v_xor_b32_e32 v7, 4, v20
	v_cmp_lt_i32_e64 s[12:13], v7, v21
	s_waitcnt lgkmcnt(0)
	v_add_f32_e32 v3, v3, v6
	v_cndmask_b32_e64 v7, v20, v7, s[12:13]
	v_lshlrev_b32_e32 v7, 2, v7
	ds_bpermute_b32 v6, v7, v3
	v_xor_b32_e32 v7, 2, v20
	v_cmp_lt_i32_e64 s[12:13], v7, v21
	s_waitcnt lgkmcnt(0)
	v_add_f32_e32 v3, v3, v6
	v_cndmask_b32_e64 v7, v20, v7, s[12:13]
	v_lshlrev_b32_e32 v6, 2, v7
	ds_bpermute_b32 v6, v6, v3
	s_waitcnt lgkmcnt(0)
	v_add_f32_e32 v3, v3, v6
	ds_bpermute_b32 v6, v23, v3
	s_waitcnt lgkmcnt(0)
	v_add_f32_e32 v3, v3, v6
	s_and_saveexec_b64 s[12:13], vcc
	s_cbranch_execz .LBB201_23
; %bb.22:
	ds_write_b32 v2, v3 offset:264
.LBB201_23:
	s_or_b64 exec, exec, s[12:13]
	s_waitcnt lgkmcnt(0)
	s_barrier
	s_and_saveexec_b64 s[12:13], s[0:1]
	s_cbranch_execz .LBB201_25
; %bb.24:
	ds_read_b32 v3, v5 offset:264
.LBB201_25:
	s_or_b64 exec, exec, s[12:13]
	s_waitcnt lgkmcnt(0)
	ds_bpermute_b32 v2, v23, v3
	s_waitcnt lgkmcnt(0)
	v_add_f32_e32 v2, v3, v2
	ds_bpermute_b32 v5, v8, v2
	s_and_saveexec_b64 s[0:1], s[10:11]
	s_cbranch_execz .LBB201_38
; %bb.26:
	s_waitcnt lgkmcnt(0)
	v_add_f32_e32 v2, 0x358637bd, v5
	v_div_scale_f32 v3, s[10:11], v2, v2, 1.0
	v_rcp_f32_e32 v6, v3
	v_div_scale_f32 v7, vcc, 1.0, v2, 1.0
	s_movk_i32 s10, 0x7f
	v_fma_f32 v8, -v3, v6, 1.0
	v_fmac_f32_e32 v6, v8, v6
	v_mul_f32_e32 v8, v7, v6
	v_fma_f32 v9, -v3, v8, v7
	v_fmac_f32_e32 v8, v9, v6
	v_fma_f32 v3, -v3, v8, v7
	v_div_fmas_f32 v3, v3, v6, v8
	v_div_fixup_f32 v2, v3, v2, 1.0
	v_xad_u32 v3, v0, -1, s40
	v_subrev_u32_e32 v6, s42, v3
	v_cmp_lt_u32_e32 vcc, s10, v6
	s_mov_b64 s[12:13], -1
	v_mov_b32_e32 v3, v0
	s_and_saveexec_b64 s[10:11], vcc
	s_cbranch_execz .LBB201_35
; %bb.27:
	v_lshrrev_b32_e32 v6, 7, v6
	v_add_u32_e32 v8, -1, v6
	v_lshrrev_b32_e32 v7, 1, v8
	v_mov_b32_e32 v3, v2
	v_add_u32_e32 v7, 1, v7
	v_cmp_lt_u32_e32 vcc, 13, v8
	v_mov_b32_e32 v12, 0
	s_and_saveexec_b64 s[12:13], vcc
	s_cbranch_execz .LBB201_31
; %bb.28:
	v_mov_b32_e32 v9, 0x110
	v_and_b32_e32 v8, -8, v7
	v_lshl_add_u32 v9, v0, 2, v9
	s_mov_b32 s38, 0
	s_mov_b64 s[18:19], 0
.LBB201_29:                             ; =>This Inner Loop Header: Depth=1
	ds_read2st64_b32 v[12:13], v9 offset1:2
	ds_read2st64_b32 v[14:15], v9 offset0:4 offset1:6
	ds_read2st64_b32 v[16:17], v9 offset0:8 offset1:10
	;; [unrolled: 1-line block ×3, first 2 shown]
	v_add_u32_e32 v8, -8, v8
	s_waitcnt lgkmcnt(3)
	v_pk_mul_f32 v[12:13], v[2:3], v[12:13]
	s_waitcnt lgkmcnt(2)
	v_pk_mul_f32 v[14:15], v[2:3], v[14:15]
	ds_write2st64_b32 v9, v12, v13 offset1:2
	ds_write2st64_b32 v9, v14, v15 offset0:4 offset1:6
	ds_read2st64_b32 v[14:15], v9 offset0:16 offset1:18
	s_waitcnt lgkmcnt(4)
	v_pk_mul_f32 v[12:13], v[2:3], v[16:17]
	ds_write2st64_b32 v9, v12, v13 offset0:8 offset1:10
	s_waitcnt lgkmcnt(4)
	v_pk_mul_f32 v[12:13], v[2:3], v[20:21]
	ds_write2st64_b32 v9, v12, v13 offset0:12 offset1:14
	ds_read2st64_b32 v[12:13], v9 offset0:20 offset1:22
	s_waitcnt lgkmcnt(3)
	v_pk_mul_f32 v[14:15], v[2:3], v[14:15]
	ds_read2st64_b32 v[16:17], v9 offset0:24 offset1:26
	ds_write2st64_b32 v9, v14, v15 offset0:16 offset1:18
	ds_read2st64_b32 v[14:15], v9 offset0:28 offset1:30
	s_waitcnt lgkmcnt(3)
	v_pk_mul_f32 v[12:13], v[2:3], v[12:13]
	ds_write2st64_b32 v9, v12, v13 offset0:20 offset1:22
	s_waitcnt lgkmcnt(3)
	v_pk_mul_f32 v[12:13], v[2:3], v[16:17]
	ds_write2st64_b32 v9, v12, v13 offset0:24 offset1:26
	s_waitcnt lgkmcnt(2)
	v_pk_mul_f32 v[12:13], v[2:3], v[14:15]
	s_add_i32 s38, s38, 16
	v_cmp_eq_u32_e32 vcc, 0, v8
	ds_write2st64_b32 v9, v12, v13 offset0:28 offset1:30
	v_add_u32_e32 v9, 0x2000, v9
	s_or_b64 s[18:19], vcc, s[18:19]
	v_mov_b32_e32 v12, s38
	s_andn2_b64 exec, exec, s[18:19]
	s_cbranch_execnz .LBB201_29
; %bb.30:
	s_or_b64 exec, exec, s[18:19]
.LBB201_31:
	s_or_b64 exec, exec, s[12:13]
	v_and_b32_e32 v7, 7, v7
	v_cmp_ne_u32_e32 vcc, 0, v7
	s_and_saveexec_b64 s[12:13], vcc
	s_cbranch_execz .LBB201_34
; %bb.32:
	v_lshlrev_b32_e32 v8, 9, v12
	s_movk_i32 s18, 0x110
	v_add3_u32 v8, v8, v18, s18
	s_mov_b64 s[18:19], 0
.LBB201_33:                             ; =>This Inner Loop Header: Depth=1
	ds_read2st64_b32 v[12:13], v8 offset1:2
	v_add_u32_e32 v7, -1, v7
	v_cmp_eq_u32_e32 vcc, 0, v7
	s_or_b64 s[18:19], vcc, s[18:19]
	s_waitcnt lgkmcnt(0)
	v_pk_mul_f32 v[12:13], v[2:3], v[12:13]
	ds_write2st64_b32 v8, v12, v13 offset1:2
	v_add_u32_e32 v8, 0x400, v8
	s_andn2_b64 exec, exec, s[18:19]
	s_cbranch_execnz .LBB201_33
.LBB201_34:
	s_or_b64 exec, exec, s[12:13]
	v_add_u32_e32 v6, 1, v6
	v_and_b32_e32 v7, 0x3fffffe, v6
	v_cmp_ne_u32_e32 vcc, v6, v7
	v_lshl_add_u32 v3, v7, 7, v0
	s_orn2_b64 s[12:13], vcc, exec
.LBB201_35:
	s_or_b64 exec, exec, s[10:11]
	s_and_b64 exec, exec, s[12:13]
	s_cbranch_execz .LBB201_38
; %bb.36:
	v_mov_b32_e32 v6, 0x110
	v_lshl_add_u32 v6, v3, 2, v6
	s_mov_b64 s[10:11], 0
.LBB201_37:                             ; =>This Inner Loop Header: Depth=1
	ds_read_b32 v7, v6
	v_add_u32_e32 v3, 0x80, v3
	v_cmp_le_i32_e32 vcc, s3, v3
	s_or_b64 s[10:11], vcc, s[10:11]
	s_waitcnt lgkmcnt(0)
	v_mul_f32_e32 v7, v2, v7
	ds_write_b32 v6, v7
	v_add_u32_e32 v6, 0x200, v6
	s_andn2_b64 exec, exec, s[10:11]
	s_cbranch_execnz .LBB201_37
.LBB201_38:
	s_or_b64 exec, exec, s[0:1]
	s_mul_i32 s0, s25, s28
	v_cmp_eq_u32_e32 vcc, 0, v0
	s_mul_i32 s10, s0, s5
	s_waitcnt lgkmcnt(0)
	s_barrier
	s_and_saveexec_b64 s[0:1], vcc
	s_cbranch_execz .LBB201_40
; %bb.39:
	s_ashr_i32 s11, s10, 31
	s_lshl_b64 s[12:13], s[10:11], 2
	s_add_u32 s5, s22, s12
	s_mul_i32 s2, s25, s2
	s_addc_u32 s11, s23, s13
	s_ashr_i32 s3, s2, 31
	s_lshl_b64 s[2:3], s[2:3], 2
	s_add_u32 s18, s5, s2
	s_addc_u32 s11, s11, s3
	s_ashr_i32 s5, s4, 31
	s_lshl_b64 s[4:5], s[4:5], 2
	s_add_u32 s18, s18, s4
	s_addc_u32 s19, s11, s5
	s_add_u32 s11, s20, s12
	s_addc_u32 s12, s21, s13
	;; [unrolled: 2-line block ×3, first 2 shown]
	s_add_u32 s2, s2, s4
	v_mov_b32_e32 v2, 0
	s_addc_u32 s3, s3, s5
	global_store_dword v2, v4, s[18:19]
	global_store_dword v2, v5, s[2:3]
.LBB201_40:
	s_or_b64 exec, exec, s[0:1]
	v_mov_b32_e32 v7, 0
	v_and_b32_e32 v24, 1, v0
	v_mov_b32_e32 v6, 0
	s_and_saveexec_b64 s[2:3], s[6:7]
	s_cbranch_execz .LBB201_48
; %bb.41:
	s_ashr_i32 s1, s44, 31
	s_load_dword s4, s[14:15], 0x0
	s_add_u32 s0, s36, s44
	s_addc_u32 s1, s37, s1
	v_and_b32_e32 v6, 0xfc, v18
	v_mov_b32_e32 v7, 0
	v_and_b32_e32 v2, 4, v18
	s_add_i32 s43, s43, -1
	v_lshl_add_u64 v[8:9], s[0:1], 0, v[6:7]
	v_lshl_add_u32 v3, v19, 3, s42
	s_lshl_b64 s[0:1], s[34:35], 2
	v_add3_u32 v25, v3, v2, 3
	v_lshlrev_b32_e32 v2, 4, v24
	s_add_u32 s0, s30, s0
	v_lshl_or_b32 v2, v19, 5, v2
	s_addc_u32 s1, s31, s1
	s_mov_b32 s11, s17
	s_waitcnt lgkmcnt(0)
	s_mov_b32 s5, s4
	v_add_u32_e32 v26, 0x110, v2
	v_lshl_add_u64 v[12:13], v[10:11], 2, s[0:1]
	s_mov_b64 s[6:7], 0
	v_mov_b32_e32 v6, v7
	s_branch .LBB201_43
.LBB201_42:                             ;   in Loop: Header=BB201_43 Depth=1
	s_or_b64 exec, exec, s[0:1]
	s_waitcnt lgkmcnt(0)
	v_mul_f32_e32 v11, v3, v17
	v_mul_f32_e32 v3, v3, v21
	v_fmac_f32_e32 v11, v2, v16
	v_fmac_f32_e32 v3, v2, v20
	;; [unrolled: 1-line block ×4, first 2 shown]
	v_add_u32_e32 v10, 2, v10
	v_fmac_f32_e32 v11, v5, v15
	v_fmac_f32_e32 v3, v5, v19
	v_cmp_le_i32_e32 vcc, s33, v10
	v_add_f32_e32 v6, v6, v11
	v_add_f32_e32 v7, v7, v3
	v_add_u32_e32 v25, 16, v25
	v_add_u32_e32 v26, 64, v26
	s_or_b64 s[6:7], vcc, s[6:7]
	v_lshl_add_u64 v[12:13], v[12:13], 0, 8
	s_andn2_b64 exec, exec, s[6:7]
	s_cbranch_execz .LBB201_47
.LBB201_43:                             ; =>This Inner Loop Header: Depth=1
	global_load_dword v2, v[12:13], off
	v_add_u32_e32 v11, -3, v25
	v_cmp_eq_u32_e32 vcc, s43, v10
	v_add_u32_e32 v27, -2, v25
	v_add_u32_e32 v28, -1, v25
	s_waitcnt vmcnt(0)
	v_mad_i64_i32 v[18:19], s[0:1], v2, s11, v[8:9]
	global_load_dword v14, v[18:19], off
	ds_read_b128 v[2:5], v26
	s_waitcnt vmcnt(0)
	v_and_b32_e32 v15, 0xffff, v14
	v_lshrrev_b32_e32 v16, 16, v14
	v_cvt_pk_f32_fp8_e32 v[14:15], v15
	v_cvt_pk_f32_fp8_e32 v[20:21], v16
	v_pk_mul_f32 v[16:17], s[4:5], v[14:15]
	v_pk_mul_f32 v[14:15], s[4:5], v[20:21]
	s_and_saveexec_b64 s[12:13], vcc
; %bb.44:                               ;   in Loop: Header=BB201_43 Depth=1
	v_cmp_gt_i32_e64 s[0:1], s29, v11
	s_nop 1
	v_cndmask_b32_e64 v16, 0, v16, s[0:1]
	v_cmp_gt_i32_e64 s[0:1], s29, v27
	s_nop 1
	v_cndmask_b32_e64 v17, 0, v17, s[0:1]
	;; [unrolled: 3-line block ×4, first 2 shown]
; %bb.45:                               ;   in Loop: Header=BB201_43 Depth=1
	s_or_b64 exec, exec, s[12:13]
	global_load_dword v18, v[18:19], off offset:256
	s_waitcnt vmcnt(0)
	v_and_b32_e32 v19, 0xffff, v18
	v_lshrrev_b32_e32 v20, 16, v18
	v_cvt_pk_f32_fp8_e32 v[18:19], v19
	v_cvt_pk_f32_fp8_e32 v[30:31], v20
	v_pk_mul_f32 v[20:21], s[4:5], v[18:19]
	v_pk_mul_f32 v[18:19], s[4:5], v[30:31]
	s_and_saveexec_b64 s[0:1], vcc
	s_cbranch_execz .LBB201_42
; %bb.46:                               ;   in Loop: Header=BB201_43 Depth=1
	v_cmp_gt_i32_e32 vcc, s29, v11
	s_nop 1
	v_cndmask_b32_e32 v20, 0, v20, vcc
	v_cmp_gt_i32_e32 vcc, s29, v27
	s_nop 1
	v_cndmask_b32_e32 v21, 0, v21, vcc
	;; [unrolled: 3-line block ×4, first 2 shown]
	s_branch .LBB201_42
.LBB201_47:
	s_or_b64 exec, exec, s[6:7]
.LBB201_48:
	s_or_b64 exec, exec, s[2:3]
	ds_bpermute_b32 v2, v23, v6
	ds_bpermute_b32 v3, v23, v7
	v_and_b32_e32 v4, 0x3c1, v0
	v_cmp_eq_u32_e32 vcc, 64, v4
	s_waitcnt lgkmcnt(0)
	s_barrier
	v_pk_add_f32 v[2:3], v[6:7], v[2:3]
	s_and_saveexec_b64 s[0:1], vcc
	s_cbranch_execz .LBB201_50
; %bb.49:
	v_mov_b32_e32 v5, 0x110
	v_lshl_add_u32 v5, v22, 1, v5
	ds_write2_b32 v5, v2, v3 offset1:32
.LBB201_50:
	s_or_b64 exec, exec, s[0:1]
	s_waitcnt lgkmcnt(0)
	s_barrier
	s_and_saveexec_b64 s[0:1], s[8:9]
	s_cbranch_execz .LBB201_56
; %bb.51:
	v_cmp_eq_u32_e32 vcc, 0, v24
	s_and_saveexec_b64 s[2:3], vcc
	s_cbranch_execz .LBB201_53
; %bb.52:
	v_mov_b32_e32 v5, 0x110
	v_lshl_add_u32 v5, v1, 2, v5
	ds_read_b32 v5, v5
	s_waitcnt lgkmcnt(0)
	v_add_f32_e32 v2, v2, v5
.LBB201_53:
	s_or_b64 exec, exec, s[2:3]
	s_and_saveexec_b64 s[2:3], vcc
	s_cbranch_execz .LBB201_55
; %bb.54:
	v_mov_b32_e32 v5, 0x110
	v_lshl_add_u32 v1, v1, 2, v5
	ds_read_b32 v1, v1 offset:128
	s_waitcnt lgkmcnt(0)
	v_add_f32_e32 v3, v3, v1
.LBB201_55:
	s_or_b64 exec, exec, s[2:3]
.LBB201_56:
	s_or_b64 exec, exec, s[0:1]
	v_cmp_eq_u32_e32 vcc, 0, v4
	s_barrier
	s_and_saveexec_b64 s[0:1], vcc
	s_cbranch_execz .LBB201_58
; %bb.57:
	s_lshl_b32 s0, s10, 6
	s_ashr_i32 s1, s0, 31
	s_lshl_b64 s[0:1], s[0:1], 2
	s_add_u32 s2, s26, s0
	s_mul_i32 s0, s25, s24
	s_addc_u32 s3, s27, s1
	s_ashr_i32 s1, s0, 31
	s_lshl_b64 s[0:1], s[0:1], 2
	s_add_u32 s2, s2, s0
	s_addc_u32 s3, s3, s1
	s_ashr_i32 s17, s16, 31
	s_lshl_b64 s[0:1], s[16:17], 2
	s_add_u32 s0, s2, s0
	s_addc_u32 s1, s3, s1
	v_lshlrev_b32_e32 v0, 1, v0
	global_store_dword v0, v2, s[0:1]
	global_store_dword v0, v3, s[0:1] offset:128
.LBB201_58:
	s_endpgm
	.section	.rodata,"a",@progbits
	.p2align	6, 0x0
	.amdhsa_kernel _ZN4vllm25paged_attention_v2_kernelIfhLi64ELi8ELi128ELNS_18Fp8KVCacheDataTypeE1ELb0ELi512EEEvPfS2_PT_PKS3_PKT0_S9_ifPKiSB_iPKfiiiSD_SD_iiiii
		.amdhsa_group_segment_fixed_size 272
		.amdhsa_private_segment_fixed_size 0
		.amdhsa_kernarg_size 400
		.amdhsa_user_sgpr_count 2
		.amdhsa_user_sgpr_dispatch_ptr 0
		.amdhsa_user_sgpr_queue_ptr 0
		.amdhsa_user_sgpr_kernarg_segment_ptr 1
		.amdhsa_user_sgpr_dispatch_id 0
		.amdhsa_user_sgpr_kernarg_preload_length 0
		.amdhsa_user_sgpr_kernarg_preload_offset 0
		.amdhsa_user_sgpr_private_segment_size 0
		.amdhsa_uses_dynamic_stack 0
		.amdhsa_enable_private_segment 0
		.amdhsa_system_sgpr_workgroup_id_x 1
		.amdhsa_system_sgpr_workgroup_id_y 1
		.amdhsa_system_sgpr_workgroup_id_z 1
		.amdhsa_system_sgpr_workgroup_info 0
		.amdhsa_system_vgpr_workitem_id 0
		.amdhsa_next_free_vgpr 39
		.amdhsa_next_free_sgpr 47
		.amdhsa_accum_offset 40
		.amdhsa_reserve_vcc 1
		.amdhsa_float_round_mode_32 0
		.amdhsa_float_round_mode_16_64 0
		.amdhsa_float_denorm_mode_32 3
		.amdhsa_float_denorm_mode_16_64 3
		.amdhsa_dx10_clamp 1
		.amdhsa_ieee_mode 1
		.amdhsa_fp16_overflow 0
		.amdhsa_tg_split 0
		.amdhsa_exception_fp_ieee_invalid_op 0
		.amdhsa_exception_fp_denorm_src 0
		.amdhsa_exception_fp_ieee_div_zero 0
		.amdhsa_exception_fp_ieee_overflow 0
		.amdhsa_exception_fp_ieee_underflow 0
		.amdhsa_exception_fp_ieee_inexact 0
		.amdhsa_exception_int_div_zero 0
	.end_amdhsa_kernel
	.section	.text._ZN4vllm25paged_attention_v2_kernelIfhLi64ELi8ELi128ELNS_18Fp8KVCacheDataTypeE1ELb0ELi512EEEvPfS2_PT_PKS3_PKT0_S9_ifPKiSB_iPKfiiiSD_SD_iiiii,"axG",@progbits,_ZN4vllm25paged_attention_v2_kernelIfhLi64ELi8ELi128ELNS_18Fp8KVCacheDataTypeE1ELb0ELi512EEEvPfS2_PT_PKS3_PKT0_S9_ifPKiSB_iPKfiiiSD_SD_iiiii,comdat
.Lfunc_end201:
	.size	_ZN4vllm25paged_attention_v2_kernelIfhLi64ELi8ELi128ELNS_18Fp8KVCacheDataTypeE1ELb0ELi512EEEvPfS2_PT_PKS3_PKT0_S9_ifPKiSB_iPKfiiiSD_SD_iiiii, .Lfunc_end201-_ZN4vllm25paged_attention_v2_kernelIfhLi64ELi8ELi128ELNS_18Fp8KVCacheDataTypeE1ELb0ELi512EEEvPfS2_PT_PKS3_PKT0_S9_ifPKiSB_iPKfiiiSD_SD_iiiii
                                        ; -- End function
	.section	.AMDGPU.csdata,"",@progbits
; Kernel info:
; codeLenInByte = 3608
; NumSgprs: 53
; NumVgprs: 39
; NumAgprs: 0
; TotalNumVgprs: 39
; ScratchSize: 0
; MemoryBound: 0
; FloatMode: 240
; IeeeMode: 1
; LDSByteSize: 272 bytes/workgroup (compile time only)
; SGPRBlocks: 6
; VGPRBlocks: 4
; NumSGPRsForWavesPerEU: 53
; NumVGPRsForWavesPerEU: 39
; AccumOffset: 40
; Occupancy: 8
; WaveLimiterHint : 1
; COMPUTE_PGM_RSRC2:SCRATCH_EN: 0
; COMPUTE_PGM_RSRC2:USER_SGPR: 2
; COMPUTE_PGM_RSRC2:TRAP_HANDLER: 0
; COMPUTE_PGM_RSRC2:TGID_X_EN: 1
; COMPUTE_PGM_RSRC2:TGID_Y_EN: 1
; COMPUTE_PGM_RSRC2:TGID_Z_EN: 1
; COMPUTE_PGM_RSRC2:TIDIG_COMP_CNT: 0
; COMPUTE_PGM_RSRC3_GFX90A:ACCUM_OFFSET: 9
; COMPUTE_PGM_RSRC3_GFX90A:TG_SPLIT: 0
	.section	.text._ZN4vllm25paged_attention_v2_kernelIfhLi80ELi8ELi128ELNS_18Fp8KVCacheDataTypeE1ELb0ELi512EEEvPfS2_PT_PKS3_PKT0_S9_ifPKiSB_iPKfiiiSD_SD_iiiii,"axG",@progbits,_ZN4vllm25paged_attention_v2_kernelIfhLi80ELi8ELi128ELNS_18Fp8KVCacheDataTypeE1ELb0ELi512EEEvPfS2_PT_PKS3_PKT0_S9_ifPKiSB_iPKfiiiSD_SD_iiiii,comdat
	.protected	_ZN4vllm25paged_attention_v2_kernelIfhLi80ELi8ELi128ELNS_18Fp8KVCacheDataTypeE1ELb0ELi512EEEvPfS2_PT_PKS3_PKT0_S9_ifPKiSB_iPKfiiiSD_SD_iiiii ; -- Begin function _ZN4vllm25paged_attention_v2_kernelIfhLi80ELi8ELi128ELNS_18Fp8KVCacheDataTypeE1ELb0ELi512EEEvPfS2_PT_PKS3_PKT0_S9_ifPKiSB_iPKfiiiSD_SD_iiiii
	.globl	_ZN4vllm25paged_attention_v2_kernelIfhLi80ELi8ELi128ELNS_18Fp8KVCacheDataTypeE1ELb0ELi512EEEvPfS2_PT_PKS3_PKT0_S9_ifPKiSB_iPKfiiiSD_SD_iiiii
	.p2align	8
	.type	_ZN4vllm25paged_attention_v2_kernelIfhLi80ELi8ELi128ELNS_18Fp8KVCacheDataTypeE1ELb0ELi512EEEvPfS2_PT_PKS3_PKT0_S9_ifPKiSB_iPKfiiiSD_SD_iiiii,@function
_ZN4vllm25paged_attention_v2_kernelIfhLi80ELi8ELi128ELNS_18Fp8KVCacheDataTypeE1ELb0ELi512EEEvPfS2_PT_PKS3_PKT0_S9_ifPKiSB_iPKfiiiSD_SD_iiiii: ; @_ZN4vllm25paged_attention_v2_kernelIfhLi80ELi8ELi128ELNS_18Fp8KVCacheDataTypeE1ELb0ELi512EEEvPfS2_PT_PKS3_PKT0_S9_ifPKiSB_iPKfiiiSD_SD_iiiii
; %bb.0:
	s_load_dwordx2 s[6:7], s[0:1], 0x40
	s_mov_b32 s28, s3
	s_ashr_i32 s29, s3, 31
	s_lshl_b64 s[8:9], s[28:29], 2
	s_waitcnt lgkmcnt(0)
	s_add_u32 s6, s6, s8
	s_addc_u32 s7, s7, s9
	s_load_dword s29, s[6:7], 0x0
	s_lshl_b32 s40, s4, 9
	s_waitcnt lgkmcnt(0)
	s_cmp_ge_i32 s40, s29
	s_cbranch_scc1 .LBB202_70
; %bb.1:
	s_load_dword s5, s[0:1], 0x90
	s_load_dwordx2 s[10:11], s[0:1], 0x30
	s_mov_b32 s41, 0
	s_waitcnt lgkmcnt(0)
	s_abs_i32 s7, s5
	s_abs_i32 s3, s10
	v_cvt_f32_u32_e32 v1, s3
	s_sub_i32 s8, 0, s3
	s_xor_b32 s6, s5, s10
	s_ashr_i32 s6, s6, 31
	v_rcp_iflag_f32_e32 v1, v1
	s_nop 0
	v_mul_f32_e32 v1, 0x4f7ffffe, v1
	v_cvt_u32_f32_e32 v1, v1
	s_nop 0
	v_readfirstlane_b32 s9, v1
	s_mul_i32 s8, s8, s9
	s_mul_hi_u32 s8, s9, s8
	s_add_i32 s9, s9, s8
	s_mul_hi_u32 s8, s7, s9
	s_mul_i32 s9, s8, s3
	s_sub_i32 s7, s7, s9
	s_add_i32 s10, s8, 1
	s_sub_i32 s9, s7, s3
	s_cmp_ge_u32 s7, s3
	s_cselect_b32 s8, s10, s8
	s_cselect_b32 s7, s9, s7
	s_add_i32 s9, s8, 1
	s_cmp_ge_u32 s7, s3
	s_cselect_b32 s3, s9, s8
	s_xor_b32 s3, s3, s6
	s_sub_i32 s10, s3, s6
	s_abs_i32 s8, s10
	v_cvt_f32_u32_e32 v1, s8
	s_load_dwordx2 s[6:7], s[0:1], 0x50
	s_sub_i32 s3, 0, s8
	s_abs_i32 s9, s2
	v_rcp_iflag_f32_e32 v1, v1
	s_nop 0
	v_mul_f32_e32 v1, 0x4f7ffffe, v1
	v_cvt_u32_f32_e32 v1, v1
	s_nop 0
	v_readfirstlane_b32 s12, v1
	s_mul_i32 s3, s3, s12
	s_mul_hi_u32 s3, s12, s3
	s_add_i32 s12, s12, s3
	s_waitcnt lgkmcnt(0)
	s_cmp_eq_u64 s[6:7], 0
	s_mul_hi_u32 s16, s9, s12
	s_cbranch_scc1 .LBB202_3
; %bb.2:
	s_ashr_i32 s3, s2, 31
	s_lshl_b64 s[12:13], s[2:3], 2
	s_add_u32 s6, s6, s12
	s_addc_u32 s7, s7, s13
	s_load_dword s41, s[6:7], 0x0
.LBB202_3:
	s_load_dwordx4 s[12:15], s[0:1], 0x58
	s_movk_i32 s3, 0x50
	s_ashr_i32 s17, s2, 31
	s_ashr_i32 s18, s10, 31
	v_and_b32_e32 v12, 7, v0
	s_mul_i32 s24, s2, 0x50
	v_cmp_gt_u32_e32 vcc, s3, v0
	v_lshlrev_b32_e32 v20, 2, v0
	v_lshrrev_b32_e32 v1, 1, v0
	s_and_saveexec_b64 s[6:7], vcc
	s_cbranch_execz .LBB202_5
; %bb.4:
	s_load_dwordx2 s[20:21], s[0:1], 0x18
	s_waitcnt lgkmcnt(0)
	s_mul_i32 s22, s28, s12
	s_ashr_i32 s23, s22, 31
	s_lshl_b64 s[22:23], s[22:23], 2
	v_and_b32_e32 v3, 0x1fc, v1
	s_add_u32 s3, s20, s22
	s_addc_u32 s10, s21, s23
	s_ashr_i32 s25, s24, 31
	s_lshl_b64 s[20:21], s[24:25], 2
	s_add_u32 s20, s3, s20
	s_addc_u32 s21, s10, s21
	global_load_dword v2, v20, s[20:21]
	v_mad_u32_u24 v3, v12, 40, v3
	s_waitcnt vmcnt(0)
	ds_write_b32 v3, v2
.LBB202_5:
	s_or_b64 exec, exec, s[6:7]
	s_add_i32 s3, s29, 7
	s_ashr_i32 s6, s3, 31
	s_lshr_b32 s6, s6, 29
	s_add_i32 s3, s3, s6
	s_lshl_b32 s10, s4, 6
	s_mul_i32 s7, s16, s8
	s_ashr_i32 s3, s3, 3
	s_add_i32 s6, s10, 64
	s_sub_i32 s7, s9, s7
	s_min_i32 s33, s6, s3
	s_xor_b32 s6, s17, s18
	s_add_i32 s9, s16, 1
	s_waitcnt lgkmcnt(0)
	s_sub_i32 s12, s7, s8
	s_cmp_ge_u32 s7, s8
	s_cselect_b32 s9, s9, s16
	s_cselect_b32 s7, s12, s7
	s_add_i32 s12, s9, 1
	s_cmp_ge_u32 s7, s8
	s_load_dwordx2 s[30:31], s[0:1], 0x38
	s_load_dword s8, s[0:1], 0x48
	v_lshrrev_b32_e32 v21, 6, v0
	s_cselect_b32 s7, s12, s9
	s_xor_b32 s7, s7, s6
	v_or_b32_e32 v10, s10, v21
	s_waitcnt lgkmcnt(0)
	s_mul_i32 s34, s28, s8
	s_sub_i32 s12, s7, s6
	s_ashr_i32 s35, s34, 31
	v_cmp_gt_i32_e64 s[6:7], s33, v10
	v_cmp_le_i32_e32 vcc, s33, v10
	v_mbcnt_lo_u32_b32 v13, -1, 0
	s_barrier
	s_waitcnt lgkmcnt(0)
                                        ; implicit-def: $sgpr15
                                        ; implicit-def: $vgpr22
                                        ; implicit-def: $vgpr23
	s_and_saveexec_b64 s[8:9], vcc
	s_xor_b64 s[8:9], exec, s[8:9]
; %bb.6:
	v_mbcnt_hi_u32_b32 v22, -1, v13
	v_and_b32_e32 v2, 64, v22
	v_add_u32_e32 v23, 64, v2
	s_mov_b32 s15, 0xff7fffff
                                        ; implicit-def: $vgpr12
                                        ; implicit-def: $vgpr13
; %bb.7:
	s_or_saveexec_b64 s[38:39], s[8:9]
	s_load_dwordx4 s[20:23], s[0:1], 0x0
	s_load_dwordx2 s[26:27], s[0:1], 0x10
	s_load_dword s25, s[0:1], 0x98
	s_load_dwordx2 s[36:37], s[0:1], 0x28
	s_load_dwordx4 s[16:19], s[0:1], 0x68
	v_mov_b32_e32 v24, s15
	s_mul_i32 s12, s12, s14
	v_ashrrev_i32_e32 v11, 31, v10
	s_xor_b64 exec, exec, s[38:39]
	s_cbranch_execz .LBB202_13
; %bb.8:
	v_mbcnt_hi_u32_b32 v22, -1, v13
	s_load_dwordx2 s[0:1], s[0:1], 0x20
	v_and_b32_e32 v13, 64, v22
	v_add_u32_e32 v23, 64, v13
	v_xor_b32_e32 v13, 4, v22
	v_cmp_lt_i32_e32 vcc, v13, v23
	s_ashr_i32 s8, s12, 31
	v_mul_u32_u24_e32 v16, 40, v12
	v_cndmask_b32_e32 v13, v22, v13, vcc
	v_lshlrev_b32_e32 v25, 2, v13
	v_xor_b32_e32 v13, 2, v22
	v_bfe_u32 v24, v0, 3, 3
	s_waitcnt lgkmcnt(0)
	s_add_u32 s0, s0, s12
	ds_read2_b64 v[2:5], v16 offset1:1
	ds_read2_b64 v[6:9], v16 offset0:2 offset1:3
	ds_read_b64 v[16:17], v16 offset:32
	v_cmp_lt_i32_e32 vcc, v13, v23
	v_lshlrev_b32_e32 v18, 4, v24
	s_addc_u32 s1, s1, s8
	v_mov_b32_e32 v19, 0
	v_cndmask_b32_e32 v13, v22, v13, vcc
	s_load_dword s43, s[16:17], 0x0
	v_lshl_add_u64 v[14:15], s[0:1], 0, v[18:19]
	v_lshlrev_b32_e32 v26, 2, v13
	v_xor_b32_e32 v13, 1, v22
	s_sub_i32 s44, 1, s29
	v_lshlrev_b32_e32 v18, 3, v21
	s_lshl_b64 s[8:9], s[34:35], 2
	v_cmp_lt_i32_e32 vcc, v13, v23
	v_add3_u32 v28, s40, v18, v24
	v_lshlrev_b32_e32 v18, 2, v24
	s_add_u32 s8, s30, s8
	v_cndmask_b32_e32 v13, v22, v13, vcc
	v_lshl_or_b32 v18, v21, 5, v18
	s_addc_u32 s9, s31, s9
	s_mov_b32 s42, s13
	v_lshlrev_b32_e32 v27, 2, v13
	v_cmp_eq_u32_e32 vcc, 0, v12
	v_cmp_neq_f32_e64 s[0:1], s41, 0
	v_mov_b32_e32 v13, v19
	v_add_u32_e32 v29, 0x150, v18
	v_lshl_add_u64 v[18:19], v[10:11], 2, s[8:9]
	s_mov_b64 s[14:15], 0
	v_mov_b32_e32 v24, 0xff7fffff
	v_mov_b32_e32 v30, v10
	s_branch .LBB202_10
.LBB202_9:                              ;   in Loop: Header=BB202_10 Depth=1
	s_or_b64 exec, exec, s[16:17]
	v_add_u32_e32 v30, 2, v30
	v_cmp_le_i32_e64 s[8:9], s33, v30
	v_add_u32_e32 v28, 16, v28
	v_add_u32_e32 v29, 64, v29
	s_or_b64 s[14:15], s[8:9], s[14:15]
	v_lshl_add_u64 v[18:19], v[18:19], 0, 8
	s_andn2_b64 exec, exec, s[14:15]
	s_cbranch_execz .LBB202_12
.LBB202_10:                             ; =>This Inner Loop Header: Depth=1
	global_load_dword v31, v[18:19], off
	s_waitcnt vmcnt(0) lgkmcnt(0)
	v_mad_i64_i32 v[32:33], s[8:9], v31, s42, v[14:15]
	v_lshl_add_u64 v[32:33], v[32:33], 0, v[12:13]
	global_load_ubyte v31, v[32:33], off
	global_load_ubyte v34, v[32:33], off offset:8
	global_load_ubyte v35, v[32:33], off offset:128
	;; [unrolled: 1-line block ×9, first 2 shown]
	s_waitcnt vmcnt(9)
	v_cvt_f32_fp8_sdwa v31, v31 src0_sel:BYTE_0
	s_waitcnt vmcnt(8)
	v_cvt_f32_fp8_sdwa v32, v34 src0_sel:BYTE_0
	s_waitcnt vmcnt(7)
	v_cvt_f32_fp8_sdwa v33, v35 src0_sel:BYTE_0
	s_waitcnt vmcnt(6)
	v_cvt_f32_fp8_sdwa v34, v36 src0_sel:BYTE_0
	s_waitcnt vmcnt(5)
	v_cvt_f32_fp8_sdwa v35, v37 src0_sel:BYTE_0
	s_waitcnt lgkmcnt(0)
	v_mul_f32_e32 v32, s43, v32
	s_waitcnt vmcnt(4)
	v_cvt_f32_fp8_sdwa v36, v38 src0_sel:BYTE_0
	v_mul_f32_e32 v31, s43, v31
	v_mul_f32_e32 v32, v3, v32
	s_waitcnt vmcnt(3)
	v_cvt_f32_fp8_sdwa v37, v39 src0_sel:BYTE_0
	v_mul_f32_e32 v33, s43, v33
	v_fmac_f32_e32 v32, v2, v31
	s_waitcnt vmcnt(2)
	v_cvt_f32_fp8_sdwa v38, v40 src0_sel:BYTE_0
	v_mul_f32_e32 v34, s43, v34
	v_fmac_f32_e32 v32, v4, v33
	;; [unrolled: 4-line block ×4, first 2 shown]
	v_mul_f32_e32 v37, s43, v37
	v_fmac_f32_e32 v32, v7, v36
	v_mul_f32_e32 v38, s43, v38
	v_fmac_f32_e32 v32, v8, v37
	;; [unrolled: 2-line block ×4, first 2 shown]
	v_fmac_f32_e32 v32, v17, v40
	ds_bpermute_b32 v31, v25, v32
	s_waitcnt lgkmcnt(0)
	v_add_f32_e32 v31, v32, v31
	ds_bpermute_b32 v32, v26, v31
	s_waitcnt lgkmcnt(0)
	v_add_f32_e32 v31, v31, v32
	ds_bpermute_b32 v32, v27, v31
	s_and_saveexec_b64 s[16:17], vcc
	s_cbranch_execz .LBB202_9
; %bb.11:                               ;   in Loop: Header=BB202_10 Depth=1
	v_add_u32_e32 v33, s44, v28
	v_cvt_f32_i32_e32 v33, v33
	s_waitcnt lgkmcnt(0)
	v_add_f32_e32 v31, v31, v32
	v_cmp_gt_i32_e64 s[8:9], s29, v28
	v_max_f32_e32 v32, v24, v24
	v_mul_f32_e32 v33, s41, v33
	v_cndmask_b32_e64 v33, 0, v33, s[0:1]
	v_fmac_f32_e32 v33, s11, v31
	v_cndmask_b32_e64 v31, 0, v33, s[8:9]
	ds_write_b32 v29, v31
	v_max_f32_e32 v31, v32, v33
	v_cndmask_b32_e64 v24, v24, v31, s[8:9]
	s_branch .LBB202_9
.LBB202_12:
	s_or_b64 exec, exec, s[14:15]
.LBB202_13:
	s_or_b64 exec, exec, s[38:39]
	v_xor_b32_e32 v2, 32, v22
	v_cmp_lt_i32_e32 vcc, v2, v23
	v_xor_b32_e32 v5, 16, v22
	v_max_f32_e32 v4, v24, v24
	v_cndmask_b32_e32 v2, v22, v2, vcc
	v_lshlrev_b32_e32 v3, 2, v2
	ds_bpermute_b32 v2, v3, v24
	v_cmp_lt_i32_e32 vcc, v5, v23
	v_xor_b32_e32 v6, 8, v22
	s_waitcnt lgkmcnt(0)
	v_max_f32_e32 v2, v2, v2
	v_max_f32_e32 v2, v4, v2
	v_cndmask_b32_e32 v4, v22, v5, vcc
	v_lshlrev_b32_e32 v8, 2, v4
	ds_bpermute_b32 v4, v8, v2
	v_cmp_lt_i32_e32 vcc, v6, v23
	s_waitcnt lgkmcnt(0)
	v_max_f32_e32 v4, v4, v4
	v_max_f32_e32 v5, v2, v4
	v_cndmask_b32_e32 v2, v22, v6, vcc
	v_lshlrev_b32_e32 v9, 2, v2
	ds_bpermute_b32 v6, v9, v5
	v_and_b32_e32 v4, 63, v0
	v_cmp_eq_u32_e32 vcc, 0, v4
	v_lshlrev_b32_e32 v2, 2, v21
	s_and_saveexec_b64 s[0:1], vcc
	s_cbranch_execz .LBB202_15
; %bb.14:
	s_waitcnt lgkmcnt(0)
	v_max_f32_e32 v6, v6, v6
	v_max_f32_e32 v5, v5, v5
	;; [unrolled: 1-line block ×3, first 2 shown]
	ds_write_b32 v2, v5 offset:320
.LBB202_15:
	s_or_b64 exec, exec, s[0:1]
	v_cmp_gt_u32_e64 s[0:1], 2, v4
	v_mov_b32_e32 v5, 0xff7fffff
	s_waitcnt lgkmcnt(0)
	v_lshlrev_b32_e32 v6, 2, v4
	s_barrier
	s_and_saveexec_b64 s[8:9], s[0:1]
	s_cbranch_execz .LBB202_17
; %bb.16:
	ds_read_b32 v5, v6 offset:320
.LBB202_17:
	s_or_b64 exec, exec, s[8:9]
	v_xor_b32_e32 v7, 1, v22
	v_cmp_lt_i32_e64 s[8:9], v7, v23
	v_mov_b32_e32 v13, 0
	s_nop 0
	v_cndmask_b32_e64 v7, v22, v7, s[8:9]
	v_lshlrev_b32_e32 v7, 2, v7
	s_waitcnt lgkmcnt(0)
	ds_bpermute_b32 v12, v7, v5
	v_max_f32_e32 v5, v5, v5
	s_sub_i32 s8, s33, s10
	s_lshl_b32 s8, s8, 3
	s_add_i32 s8, s8, s40
	s_waitcnt lgkmcnt(0)
	v_max_f32_e32 v12, v12, v12
	v_max_f32_e32 v5, v5, v12
	v_lshlrev_b32_e32 v12, 2, v22
	v_and_b32_e32 v12, 0xffffff00, v12
	ds_bpermute_b32 v5, v12, v5
	s_min_i32 s39, s8, s29
	s_sub_i32 s38, s39, s40
	v_cmp_gt_i32_e64 s[8:9], s38, v0
	s_and_saveexec_b64 s[14:15], s[8:9]
	s_cbranch_execz .LBB202_21
; %bb.18:
	v_mov_b32_e32 v13, 0x150
	v_lshl_add_u32 v14, v0, 2, v13
	s_mov_b64 s[16:17], 0
	v_mov_b32_e32 v13, 0
	v_mov_b32_e32 v15, v0
.LBB202_19:                             ; =>This Inner Loop Header: Depth=1
	ds_read_b32 v16, v14
	v_add_u32_e32 v15, 0x80, v15
	v_cmp_le_i32_e64 s[10:11], s38, v15
	s_or_b64 s[16:17], s[10:11], s[16:17]
	s_waitcnt lgkmcnt(0)
	v_sub_f32_e32 v16, v16, v5
	v_mul_f32_e32 v16, 0x3fb8aa3b, v16
	v_exp_f32_e32 v16, v16
	ds_write_b32 v14, v16
	v_add_f32_e32 v13, v13, v16
	v_add_u32_e32 v14, 0x200, v14
	s_andn2_b64 exec, exec, s[16:17]
	s_cbranch_execnz .LBB202_19
; %bb.20:
	s_or_b64 exec, exec, s[16:17]
.LBB202_21:
	s_or_b64 exec, exec, s[14:15]
	ds_bpermute_b32 v3, v3, v13
	s_waitcnt lgkmcnt(0)
	v_add_f32_e32 v3, v13, v3
	ds_bpermute_b32 v8, v8, v3
	s_waitcnt lgkmcnt(0)
	v_add_f32_e32 v3, v3, v8
	ds_bpermute_b32 v8, v9, v3
	v_xor_b32_e32 v9, 4, v22
	v_cmp_lt_i32_e64 s[10:11], v9, v23
	s_waitcnt lgkmcnt(0)
	v_add_f32_e32 v3, v3, v8
	v_cndmask_b32_e64 v9, v22, v9, s[10:11]
	v_lshlrev_b32_e32 v9, 2, v9
	ds_bpermute_b32 v8, v9, v3
	v_xor_b32_e32 v9, 2, v22
	v_cmp_lt_i32_e64 s[10:11], v9, v23
	s_waitcnt lgkmcnt(0)
	v_add_f32_e32 v3, v3, v8
	v_cndmask_b32_e64 v9, v22, v9, s[10:11]
	v_lshlrev_b32_e32 v8, 2, v9
	ds_bpermute_b32 v8, v8, v3
	s_waitcnt lgkmcnt(0)
	v_add_f32_e32 v3, v3, v8
	ds_bpermute_b32 v8, v7, v3
	s_waitcnt lgkmcnt(0)
	v_add_f32_e32 v3, v3, v8
	s_and_saveexec_b64 s[10:11], vcc
	s_cbranch_execz .LBB202_23
; %bb.22:
	ds_write_b32 v2, v3 offset:328
.LBB202_23:
	s_or_b64 exec, exec, s[10:11]
	s_waitcnt lgkmcnt(0)
	s_barrier
	s_and_saveexec_b64 s[10:11], s[0:1]
	s_cbranch_execz .LBB202_25
; %bb.24:
	ds_read_b32 v3, v6 offset:328
.LBB202_25:
	s_or_b64 exec, exec, s[10:11]
	s_waitcnt lgkmcnt(0)
	ds_bpermute_b32 v2, v7, v3
	s_waitcnt lgkmcnt(0)
	v_add_f32_e32 v2, v3, v2
	ds_bpermute_b32 v6, v12, v2
	s_and_saveexec_b64 s[0:1], s[8:9]
	s_cbranch_execz .LBB202_38
; %bb.26:
	s_waitcnt lgkmcnt(0)
	v_add_f32_e32 v2, 0x358637bd, v6
	v_div_scale_f32 v3, s[8:9], v2, v2, 1.0
	v_rcp_f32_e32 v8, v3
	v_div_scale_f32 v9, vcc, 1.0, v2, 1.0
	s_movk_i32 s8, 0x7f
	v_fma_f32 v12, -v3, v8, 1.0
	v_fmac_f32_e32 v8, v12, v8
	v_mul_f32_e32 v12, v9, v8
	v_fma_f32 v13, -v3, v12, v9
	v_fmac_f32_e32 v12, v13, v8
	v_fma_f32 v3, -v3, v12, v9
	v_div_fmas_f32 v3, v3, v8, v12
	v_div_fixup_f32 v2, v3, v2, 1.0
	v_xad_u32 v3, v0, -1, s39
	v_subrev_u32_e32 v8, s40, v3
	v_cmp_lt_u32_e32 vcc, s8, v8
	s_mov_b64 s[10:11], -1
	v_mov_b32_e32 v3, v0
	s_and_saveexec_b64 s[8:9], vcc
	s_cbranch_execz .LBB202_35
; %bb.27:
	v_lshrrev_b32_e32 v8, 7, v8
	v_add_u32_e32 v12, -1, v8
	v_lshrrev_b32_e32 v9, 1, v12
	v_mov_b32_e32 v3, v2
	v_add_u32_e32 v9, 1, v9
	v_cmp_lt_u32_e32 vcc, 13, v12
	v_mov_b32_e32 v14, 0
	s_and_saveexec_b64 s[10:11], vcc
	s_cbranch_execz .LBB202_31
; %bb.28:
	v_mov_b32_e32 v13, 0x150
	v_and_b32_e32 v12, -8, v9
	v_lshl_add_u32 v13, v0, 2, v13
	s_mov_b32 s16, 0
	s_mov_b64 s[14:15], 0
.LBB202_29:                             ; =>This Inner Loop Header: Depth=1
	ds_read2st64_b32 v[14:15], v13 offset1:2
	ds_read2st64_b32 v[16:17], v13 offset0:4 offset1:6
	ds_read2st64_b32 v[18:19], v13 offset0:8 offset1:10
	;; [unrolled: 1-line block ×3, first 2 shown]
	v_add_u32_e32 v12, -8, v12
	s_waitcnt lgkmcnt(3)
	v_pk_mul_f32 v[14:15], v[2:3], v[14:15]
	s_waitcnt lgkmcnt(2)
	v_pk_mul_f32 v[16:17], v[2:3], v[16:17]
	ds_write2st64_b32 v13, v14, v15 offset1:2
	ds_write2st64_b32 v13, v16, v17 offset0:4 offset1:6
	ds_read2st64_b32 v[16:17], v13 offset0:16 offset1:18
	s_waitcnt lgkmcnt(4)
	v_pk_mul_f32 v[14:15], v[2:3], v[18:19]
	ds_write2st64_b32 v13, v14, v15 offset0:8 offset1:10
	s_waitcnt lgkmcnt(4)
	v_pk_mul_f32 v[14:15], v[2:3], v[22:23]
	ds_write2st64_b32 v13, v14, v15 offset0:12 offset1:14
	ds_read2st64_b32 v[14:15], v13 offset0:20 offset1:22
	s_waitcnt lgkmcnt(3)
	v_pk_mul_f32 v[16:17], v[2:3], v[16:17]
	ds_read2st64_b32 v[18:19], v13 offset0:24 offset1:26
	ds_write2st64_b32 v13, v16, v17 offset0:16 offset1:18
	ds_read2st64_b32 v[16:17], v13 offset0:28 offset1:30
	s_waitcnt lgkmcnt(3)
	v_pk_mul_f32 v[14:15], v[2:3], v[14:15]
	ds_write2st64_b32 v13, v14, v15 offset0:20 offset1:22
	s_waitcnt lgkmcnt(3)
	v_pk_mul_f32 v[14:15], v[2:3], v[18:19]
	ds_write2st64_b32 v13, v14, v15 offset0:24 offset1:26
	s_waitcnt lgkmcnt(2)
	v_pk_mul_f32 v[14:15], v[2:3], v[16:17]
	s_add_i32 s16, s16, 16
	v_cmp_eq_u32_e32 vcc, 0, v12
	ds_write2st64_b32 v13, v14, v15 offset0:28 offset1:30
	v_add_u32_e32 v13, 0x2000, v13
	s_or_b64 s[14:15], vcc, s[14:15]
	v_mov_b32_e32 v14, s16
	s_andn2_b64 exec, exec, s[14:15]
	s_cbranch_execnz .LBB202_29
; %bb.30:
	s_or_b64 exec, exec, s[14:15]
.LBB202_31:
	s_or_b64 exec, exec, s[10:11]
	v_and_b32_e32 v9, 7, v9
	v_cmp_ne_u32_e32 vcc, 0, v9
	s_and_saveexec_b64 s[10:11], vcc
	s_cbranch_execz .LBB202_34
; %bb.32:
	v_lshlrev_b32_e32 v12, 9, v14
	s_movk_i32 s14, 0x150
	v_add3_u32 v12, v12, v20, s14
	s_mov_b64 s[14:15], 0
.LBB202_33:                             ; =>This Inner Loop Header: Depth=1
	ds_read2st64_b32 v[14:15], v12 offset1:2
	v_add_u32_e32 v9, -1, v9
	v_cmp_eq_u32_e32 vcc, 0, v9
	s_or_b64 s[14:15], vcc, s[14:15]
	s_waitcnt lgkmcnt(0)
	v_pk_mul_f32 v[14:15], v[2:3], v[14:15]
	ds_write2st64_b32 v12, v14, v15 offset1:2
	v_add_u32_e32 v12, 0x400, v12
	s_andn2_b64 exec, exec, s[14:15]
	s_cbranch_execnz .LBB202_33
.LBB202_34:
	s_or_b64 exec, exec, s[10:11]
	v_add_u32_e32 v8, 1, v8
	v_and_b32_e32 v9, 0x3fffffe, v8
	v_cmp_ne_u32_e32 vcc, v8, v9
	v_lshl_add_u32 v3, v9, 7, v0
	s_orn2_b64 s[10:11], vcc, exec
.LBB202_35:
	s_or_b64 exec, exec, s[8:9]
	s_and_b64 exec, exec, s[10:11]
	s_cbranch_execz .LBB202_38
; %bb.36:
	v_mov_b32_e32 v8, 0x150
	v_lshl_add_u32 v8, v3, 2, v8
	s_mov_b64 s[8:9], 0
.LBB202_37:                             ; =>This Inner Loop Header: Depth=1
	ds_read_b32 v9, v8
	v_add_u32_e32 v3, 0x80, v3
	v_cmp_le_i32_e32 vcc, s38, v3
	s_or_b64 s[8:9], vcc, s[8:9]
	s_waitcnt lgkmcnt(0)
	v_mul_f32_e32 v9, v2, v9
	ds_write_b32 v8, v9
	v_add_u32_e32 v8, 0x200, v8
	s_andn2_b64 exec, exec, s[8:9]
	s_cbranch_execnz .LBB202_37
.LBB202_38:
	s_or_b64 exec, exec, s[0:1]
	s_mul_i32 s0, s25, s28
	v_cmp_eq_u32_e32 vcc, 0, v0
	s_mul_i32 s8, s0, s5
	s_waitcnt lgkmcnt(0)
	s_barrier
	s_and_saveexec_b64 s[0:1], vcc
	s_cbranch_execz .LBB202_40
; %bb.39:
	s_ashr_i32 s9, s8, 31
	s_lshl_b64 s[10:11], s[8:9], 2
	s_add_u32 s5, s22, s10
	s_mul_i32 s14, s25, s2
	s_addc_u32 s9, s23, s11
	s_ashr_i32 s15, s14, 31
	s_lshl_b64 s[14:15], s[14:15], 2
	s_add_u32 s2, s5, s14
	s_addc_u32 s9, s9, s15
	s_ashr_i32 s5, s4, 31
	s_lshl_b64 s[16:17], s[4:5], 2
	s_add_u32 s22, s2, s16
	s_addc_u32 s23, s9, s17
	s_add_u32 s2, s20, s10
	s_addc_u32 s5, s21, s11
	;; [unrolled: 2-line block ×3, first 2 shown]
	s_add_u32 s10, s2, s16
	v_mov_b32_e32 v2, 0
	s_addc_u32 s11, s5, s17
	global_store_dword v2, v5, s[22:23]
	global_store_dword v2, v6, s[10:11]
.LBB202_40:
	s_or_b64 exec, exec, s[0:1]
	v_mov_b32_e32 v6, 0
	v_lshrrev_b32_e32 v31, 1, v4
	v_and_b32_e32 v30, 1, v0
	v_mov_b32_e32 v13, v6
	v_mov_b32_e32 v12, v6
	s_and_saveexec_b64 s[10:11], s[6:7]
	s_cbranch_execz .LBB202_52
; %bb.41:
	s_ashr_i32 s1, s12, 31
	s_load_dword s6, s[18:19], 0x0
	v_and_b32_e32 v2, 4, v20
	s_add_u32 s0, s36, s12
	v_or_b32_e32 v3, 64, v31
	s_movk_i32 s2, 0x50
	s_addc_u32 s1, s37, s1
	s_add_i32 s9, s3, -1
	v_cmp_gt_u32_e32 vcc, s2, v3
	v_lshl_or_b32 v14, v3, 3, v2
	v_lshl_add_u32 v3, v21, 3, s40
	s_lshl_b64 s[2:3], s[34:35], 2
	v_lshl_or_b32 v8, v31, 3, v2
	v_add3_u32 v32, v3, v2, 3
	v_lshlrev_b32_e32 v2, 4, v30
	s_add_u32 s2, s30, s2
	v_mov_b32_e32 v9, 0
	v_lshl_or_b32 v2, v21, 5, v2
	s_addc_u32 s3, s31, s3
	s_mov_b32 s5, s13
	s_waitcnt lgkmcnt(0)
	s_mov_b32 s7, s6
	v_mov_b32_e32 v15, v9
	v_add_u32_e32 v33, 0x150, v2
	v_lshl_add_u64 v[16:17], v[10:11], 2, s[2:3]
	s_mov_b64 s[12:13], 0
	v_mov_b64_e32 v[18:19], s[0:1]
	v_mov_b32_e32 v12, v9
	v_mov_b32_e32 v13, v9
	v_mov_b32_e32 v6, v9
	s_branch .LBB202_44
.LBB202_42:                             ;   in Loop: Header=BB202_44 Depth=1
	s_or_b64 exec, exec, s[14:15]
	v_mul_f32_e32 v3, v3, v23
	v_fmac_f32_e32 v3, v2, v22
	v_fmac_f32_e32 v3, v4, v20
	;; [unrolled: 1-line block ×3, first 2 shown]
	v_add_f32_e32 v6, v6, v3
.LBB202_43:                             ;   in Loop: Header=BB202_44 Depth=1
	s_or_b64 exec, exec, s[2:3]
	v_add_u32_e32 v10, 2, v10
	v_cmp_le_i32_e64 s[0:1], s33, v10
	v_add_u32_e32 v32, 16, v32
	v_add_u32_e32 v33, 64, v33
	s_or_b64 s[12:13], s[0:1], s[12:13]
	v_lshl_add_u64 v[16:17], v[16:17], 0, 8
	s_andn2_b64 exec, exec, s[12:13]
	s_cbranch_execz .LBB202_51
.LBB202_44:                             ; =>This Inner Loop Header: Depth=1
	global_load_dword v2, v[16:17], off
	s_waitcnt vmcnt(0)
	v_mad_i64_i32 v[20:21], s[0:1], v2, s5, v[18:19]
	v_lshl_add_u64 v[26:27], v[20:21], 0, v[8:9]
	global_load_dword v11, v[26:27], off
	ds_read_b128 v[2:5], v33
	v_cmp_eq_u32_e64 s[0:1], s9, v10
	s_waitcnt vmcnt(0)
	v_and_b32_e32 v22, 0xffff, v11
	v_lshrrev_b32_e32 v11, 16, v11
	v_cvt_pk_f32_fp8_e32 v[22:23], v22
	v_cvt_pk_f32_fp8_e32 v[28:29], v11
	v_add_u32_e32 v11, -3, v32
	v_pk_mul_f32 v[24:25], s[6:7], v[22:23]
	v_pk_mul_f32 v[22:23], s[6:7], v[28:29]
	s_and_saveexec_b64 s[14:15], s[0:1]
; %bb.45:                               ;   in Loop: Header=BB202_44 Depth=1
	v_cmp_gt_i32_e64 s[2:3], s29, v11
	v_add_u32_e32 v28, -2, v32
	s_nop 0
	v_cndmask_b32_e64 v24, 0, v24, s[2:3]
	v_cmp_gt_i32_e64 s[2:3], s29, v28
	v_add_u32_e32 v28, -1, v32
	s_nop 0
	v_cndmask_b32_e64 v25, 0, v25, s[2:3]
	v_cmp_gt_i32_e64 s[2:3], s29, v28
	s_nop 1
	v_cndmask_b32_e64 v22, 0, v22, s[2:3]
	v_cmp_gt_i32_e64 s[2:3], s29, v32
	s_nop 1
	v_cndmask_b32_e64 v23, 0, v23, s[2:3]
; %bb.46:                               ;   in Loop: Header=BB202_44 Depth=1
	s_or_b64 exec, exec, s[14:15]
	global_load_dword v26, v[26:27], off offset:256
	s_waitcnt vmcnt(0)
	v_and_b32_e32 v27, 0xffff, v26
	v_lshrrev_b32_e32 v28, 16, v26
	v_cvt_pk_f32_fp8_e32 v[26:27], v27
	v_cvt_pk_f32_fp8_e32 v[34:35], v28
	v_pk_mul_f32 v[28:29], s[6:7], v[26:27]
	v_pk_mul_f32 v[26:27], s[6:7], v[34:35]
	s_and_saveexec_b64 s[14:15], s[0:1]
; %bb.47:                               ;   in Loop: Header=BB202_44 Depth=1
	v_cmp_gt_i32_e64 s[2:3], s29, v11
	v_add_u32_e32 v34, -2, v32
	s_nop 0
	v_cndmask_b32_e64 v28, 0, v28, s[2:3]
	v_cmp_gt_i32_e64 s[2:3], s29, v34
	v_add_u32_e32 v34, -1, v32
	s_nop 0
	v_cndmask_b32_e64 v29, 0, v29, s[2:3]
	v_cmp_gt_i32_e64 s[2:3], s29, v34
	s_nop 1
	v_cndmask_b32_e64 v26, 0, v26, s[2:3]
	v_cmp_gt_i32_e64 s[2:3], s29, v32
	s_nop 1
	v_cndmask_b32_e64 v27, 0, v27, s[2:3]
; %bb.48:                               ;   in Loop: Header=BB202_44 Depth=1
	s_or_b64 exec, exec, s[14:15]
	s_waitcnt lgkmcnt(0)
	v_mul_f32_e32 v25, v3, v25
	v_fmac_f32_e32 v25, v2, v24
	v_fmac_f32_e32 v25, v4, v22
	v_mul_f32_e32 v22, v3, v29
	v_fmac_f32_e32 v22, v2, v28
	v_fmac_f32_e32 v22, v4, v26
	v_fmac_f32_e32 v25, v5, v23
	v_fmac_f32_e32 v22, v5, v27
	v_add_f32_e32 v12, v12, v25
	v_add_f32_e32 v13, v13, v22
	s_and_saveexec_b64 s[2:3], vcc
	s_cbranch_execz .LBB202_43
; %bb.49:                               ;   in Loop: Header=BB202_44 Depth=1
	v_lshl_add_u64 v[20:21], v[20:21], 0, v[14:15]
	global_load_dword v20, v[20:21], off
	s_waitcnt vmcnt(0)
	v_and_b32_e32 v21, 0xffff, v20
	v_lshrrev_b32_e32 v22, 16, v20
	v_cvt_pk_f32_fp8_e32 v[20:21], v21
	v_cvt_pk_f32_fp8_e32 v[24:25], v22
	v_pk_mul_f32 v[22:23], s[6:7], v[20:21]
	v_pk_mul_f32 v[20:21], s[6:7], v[24:25]
	s_and_saveexec_b64 s[14:15], s[0:1]
	s_cbranch_execz .LBB202_42
; %bb.50:                               ;   in Loop: Header=BB202_44 Depth=1
	v_cmp_gt_i32_e64 s[0:1], s29, v11
	v_add_u32_e32 v11, -2, v32
	s_nop 0
	v_cndmask_b32_e64 v22, 0, v22, s[0:1]
	v_cmp_gt_i32_e64 s[0:1], s29, v11
	v_add_u32_e32 v11, -1, v32
	s_nop 0
	v_cndmask_b32_e64 v23, 0, v23, s[0:1]
	v_cmp_gt_i32_e64 s[0:1], s29, v11
	s_nop 1
	v_cndmask_b32_e64 v20, 0, v20, s[0:1]
	v_cmp_gt_i32_e64 s[0:1], s29, v32
	s_nop 1
	v_cndmask_b32_e64 v21, 0, v21, s[0:1]
	s_branch .LBB202_42
.LBB202_51:
	s_or_b64 exec, exec, s[12:13]
.LBB202_52:
	s_or_b64 exec, exec, s[10:11]
	ds_bpermute_b32 v2, v7, v12
	ds_bpermute_b32 v3, v7, v13
	;; [unrolled: 1-line block ×3, first 2 shown]
	v_and_b32_e32 v5, 0x3c0, v0
	v_cmp_eq_u32_e32 vcc, 64, v5
	s_waitcnt lgkmcnt(0)
	v_pk_add_f32 v[2:3], v[12:13], v[2:3]
	v_add_f32_e32 v4, v6, v4
	s_barrier
	s_and_saveexec_b64 s[2:3], vcc
	s_cbranch_execz .LBB202_57
; %bb.53:
	v_cmp_eq_u32_e32 vcc, 0, v30
	s_and_saveexec_b64 s[0:1], vcc
	s_cbranch_execz .LBB202_55
; %bb.54:
	v_mov_b32_e32 v5, 0x150
	v_lshl_add_u32 v5, v31, 2, v5
	ds_write2_b32 v5, v2, v3 offset1:32
.LBB202_55:
	s_or_b64 exec, exec, s[0:1]
	v_or_b32_e32 v5, 64, v31
	s_movk_i32 s0, 0x50
	v_cmp_gt_u32_e64 s[0:1], s0, v5
	s_and_b64 s[0:1], vcc, s[0:1]
	s_and_b64 exec, exec, s[0:1]
	s_cbranch_execz .LBB202_57
; %bb.56:
	v_mov_b32_e32 v5, 0x150
	v_lshl_add_u32 v5, v31, 2, v5
	ds_write_b32 v5, v4 offset:256
.LBB202_57:
	s_or_b64 exec, exec, s[2:3]
	v_cmp_gt_u32_e32 vcc, 64, v0
	s_waitcnt lgkmcnt(0)
	s_barrier
	s_and_saveexec_b64 s[6:7], vcc
	s_cbranch_execz .LBB202_65
; %bb.58:
	v_cmp_eq_u32_e64 s[0:1], 0, v30
	s_and_saveexec_b64 s[2:3], s[0:1]
	s_cbranch_execz .LBB202_60
; %bb.59:
	v_mov_b32_e32 v0, 0x150
	v_lshl_add_u32 v0, v1, 2, v0
	ds_read_b32 v0, v0
	s_waitcnt lgkmcnt(0)
	v_add_f32_e32 v2, v2, v0
.LBB202_60:
	s_or_b64 exec, exec, s[2:3]
	s_and_saveexec_b64 s[2:3], s[0:1]
	s_cbranch_execz .LBB202_62
; %bb.61:
	v_mov_b32_e32 v0, 0x150
	v_lshl_add_u32 v0, v1, 2, v0
	ds_read_b32 v0, v0 offset:128
	s_waitcnt lgkmcnt(0)
	v_add_f32_e32 v3, v3, v0
.LBB202_62:
	s_or_b64 exec, exec, s[2:3]
	v_or_b32_e32 v0, 64, v1
	s_movk_i32 s2, 0x50
	v_cmp_gt_u32_e64 s[2:3], s2, v0
	s_and_b64 s[2:3], s[0:1], s[2:3]
	s_and_saveexec_b64 s[0:1], s[2:3]
	s_cbranch_execz .LBB202_64
; %bb.63:
	v_mov_b32_e32 v0, 0x150
	v_lshl_add_u32 v0, v1, 2, v0
	ds_read_b32 v0, v0 offset:256
	s_waitcnt lgkmcnt(0)
	v_add_f32_e32 v4, v4, v0
.LBB202_64:
	s_or_b64 exec, exec, s[0:1]
.LBB202_65:
	s_or_b64 exec, exec, s[6:7]
	s_barrier
	s_and_saveexec_b64 s[0:1], vcc
	s_cbranch_execz .LBB202_70
; %bb.66:
	s_mul_i32 s0, s8, 0x50
	s_ashr_i32 s1, s0, 31
	s_lshl_b64 s[0:1], s[0:1], 2
	s_add_u32 s2, s26, s0
	s_mul_i32 s0, s25, s24
	s_addc_u32 s3, s27, s1
	s_ashr_i32 s1, s0, 31
	s_lshl_b64 s[0:1], s[0:1], 2
	s_add_u32 s2, s2, s0
	s_mul_i32 s0, s4, 0x50
	s_addc_u32 s3, s3, s1
	s_ashr_i32 s1, s0, 31
	s_lshl_b64 s[0:1], s[0:1], 2
	s_add_u32 s2, s2, s0
	s_movk_i32 s5, 0x50
	s_addc_u32 s3, s3, s1
	v_cmp_eq_u32_e32 vcc, 0, v30
	v_lshlrev_b32_e32 v0, 2, v1
	s_and_saveexec_b64 s[0:1], vcc
	s_cbranch_execz .LBB202_68
; %bb.67:
	global_store_dword v0, v2, s[2:3]
	global_store_dword v0, v3, s[2:3] offset:128
.LBB202_68:
	s_or_b64 exec, exec, s[0:1]
	v_or_b32_e32 v1, 64, v1
	v_cmp_gt_u32_e64 s[0:1], s5, v1
	s_and_b64 s[0:1], vcc, s[0:1]
	s_and_b64 exec, exec, s[0:1]
	s_cbranch_execz .LBB202_70
; %bb.69:
	global_store_dword v0, v4, s[2:3] offset:256
.LBB202_70:
	s_endpgm
	.section	.rodata,"a",@progbits
	.p2align	6, 0x0
	.amdhsa_kernel _ZN4vllm25paged_attention_v2_kernelIfhLi80ELi8ELi128ELNS_18Fp8KVCacheDataTypeE1ELb0ELi512EEEvPfS2_PT_PKS3_PKT0_S9_ifPKiSB_iPKfiiiSD_SD_iiiii
		.amdhsa_group_segment_fixed_size 336
		.amdhsa_private_segment_fixed_size 0
		.amdhsa_kernarg_size 400
		.amdhsa_user_sgpr_count 2
		.amdhsa_user_sgpr_dispatch_ptr 0
		.amdhsa_user_sgpr_queue_ptr 0
		.amdhsa_user_sgpr_kernarg_segment_ptr 1
		.amdhsa_user_sgpr_dispatch_id 0
		.amdhsa_user_sgpr_kernarg_preload_length 0
		.amdhsa_user_sgpr_kernarg_preload_offset 0
		.amdhsa_user_sgpr_private_segment_size 0
		.amdhsa_uses_dynamic_stack 0
		.amdhsa_enable_private_segment 0
		.amdhsa_system_sgpr_workgroup_id_x 1
		.amdhsa_system_sgpr_workgroup_id_y 1
		.amdhsa_system_sgpr_workgroup_id_z 1
		.amdhsa_system_sgpr_workgroup_info 0
		.amdhsa_system_vgpr_workitem_id 0
		.amdhsa_next_free_vgpr 43
		.amdhsa_next_free_sgpr 45
		.amdhsa_accum_offset 44
		.amdhsa_reserve_vcc 1
		.amdhsa_float_round_mode_32 0
		.amdhsa_float_round_mode_16_64 0
		.amdhsa_float_denorm_mode_32 3
		.amdhsa_float_denorm_mode_16_64 3
		.amdhsa_dx10_clamp 1
		.amdhsa_ieee_mode 1
		.amdhsa_fp16_overflow 0
		.amdhsa_tg_split 0
		.amdhsa_exception_fp_ieee_invalid_op 0
		.amdhsa_exception_fp_denorm_src 0
		.amdhsa_exception_fp_ieee_div_zero 0
		.amdhsa_exception_fp_ieee_overflow 0
		.amdhsa_exception_fp_ieee_underflow 0
		.amdhsa_exception_fp_ieee_inexact 0
		.amdhsa_exception_int_div_zero 0
	.end_amdhsa_kernel
	.section	.text._ZN4vllm25paged_attention_v2_kernelIfhLi80ELi8ELi128ELNS_18Fp8KVCacheDataTypeE1ELb0ELi512EEEvPfS2_PT_PKS3_PKT0_S9_ifPKiSB_iPKfiiiSD_SD_iiiii,"axG",@progbits,_ZN4vllm25paged_attention_v2_kernelIfhLi80ELi8ELi128ELNS_18Fp8KVCacheDataTypeE1ELb0ELi512EEEvPfS2_PT_PKS3_PKT0_S9_ifPKiSB_iPKfiiiSD_SD_iiiii,comdat
.Lfunc_end202:
	.size	_ZN4vllm25paged_attention_v2_kernelIfhLi80ELi8ELi128ELNS_18Fp8KVCacheDataTypeE1ELb0ELi512EEEvPfS2_PT_PKS3_PKT0_S9_ifPKiSB_iPKfiiiSD_SD_iiiii, .Lfunc_end202-_ZN4vllm25paged_attention_v2_kernelIfhLi80ELi8ELi128ELNS_18Fp8KVCacheDataTypeE1ELb0ELi512EEEvPfS2_PT_PKS3_PKT0_S9_ifPKiSB_iPKfiiiSD_SD_iiiii
                                        ; -- End function
	.section	.AMDGPU.csdata,"",@progbits
; Kernel info:
; codeLenInByte = 4172
; NumSgprs: 51
; NumVgprs: 43
; NumAgprs: 0
; TotalNumVgprs: 43
; ScratchSize: 0
; MemoryBound: 0
; FloatMode: 240
; IeeeMode: 1
; LDSByteSize: 336 bytes/workgroup (compile time only)
; SGPRBlocks: 6
; VGPRBlocks: 5
; NumSGPRsForWavesPerEU: 51
; NumVGPRsForWavesPerEU: 43
; AccumOffset: 44
; Occupancy: 8
; WaveLimiterHint : 1
; COMPUTE_PGM_RSRC2:SCRATCH_EN: 0
; COMPUTE_PGM_RSRC2:USER_SGPR: 2
; COMPUTE_PGM_RSRC2:TRAP_HANDLER: 0
; COMPUTE_PGM_RSRC2:TGID_X_EN: 1
; COMPUTE_PGM_RSRC2:TGID_Y_EN: 1
; COMPUTE_PGM_RSRC2:TGID_Z_EN: 1
; COMPUTE_PGM_RSRC2:TIDIG_COMP_CNT: 0
; COMPUTE_PGM_RSRC3_GFX90A:ACCUM_OFFSET: 10
; COMPUTE_PGM_RSRC3_GFX90A:TG_SPLIT: 0
	.section	.text._ZN4vllm25paged_attention_v2_kernelIfhLi96ELi8ELi128ELNS_18Fp8KVCacheDataTypeE1ELb0ELi512EEEvPfS2_PT_PKS3_PKT0_S9_ifPKiSB_iPKfiiiSD_SD_iiiii,"axG",@progbits,_ZN4vllm25paged_attention_v2_kernelIfhLi96ELi8ELi128ELNS_18Fp8KVCacheDataTypeE1ELb0ELi512EEEvPfS2_PT_PKS3_PKT0_S9_ifPKiSB_iPKfiiiSD_SD_iiiii,comdat
	.protected	_ZN4vllm25paged_attention_v2_kernelIfhLi96ELi8ELi128ELNS_18Fp8KVCacheDataTypeE1ELb0ELi512EEEvPfS2_PT_PKS3_PKT0_S9_ifPKiSB_iPKfiiiSD_SD_iiiii ; -- Begin function _ZN4vllm25paged_attention_v2_kernelIfhLi96ELi8ELi128ELNS_18Fp8KVCacheDataTypeE1ELb0ELi512EEEvPfS2_PT_PKS3_PKT0_S9_ifPKiSB_iPKfiiiSD_SD_iiiii
	.globl	_ZN4vllm25paged_attention_v2_kernelIfhLi96ELi8ELi128ELNS_18Fp8KVCacheDataTypeE1ELb0ELi512EEEvPfS2_PT_PKS3_PKT0_S9_ifPKiSB_iPKfiiiSD_SD_iiiii
	.p2align	8
	.type	_ZN4vllm25paged_attention_v2_kernelIfhLi96ELi8ELi128ELNS_18Fp8KVCacheDataTypeE1ELb0ELi512EEEvPfS2_PT_PKS3_PKT0_S9_ifPKiSB_iPKfiiiSD_SD_iiiii,@function
_ZN4vllm25paged_attention_v2_kernelIfhLi96ELi8ELi128ELNS_18Fp8KVCacheDataTypeE1ELb0ELi512EEEvPfS2_PT_PKS3_PKT0_S9_ifPKiSB_iPKfiiiSD_SD_iiiii: ; @_ZN4vllm25paged_attention_v2_kernelIfhLi96ELi8ELi128ELNS_18Fp8KVCacheDataTypeE1ELb0ELi512EEEvPfS2_PT_PKS3_PKT0_S9_ifPKiSB_iPKfiiiSD_SD_iiiii
; %bb.0:
	s_load_dwordx2 s[6:7], s[0:1], 0x40
	s_mov_b32 s28, s3
	s_ashr_i32 s29, s3, 31
	s_lshl_b64 s[8:9], s[28:29], 2
	s_waitcnt lgkmcnt(0)
	s_add_u32 s6, s6, s8
	s_addc_u32 s7, s7, s9
	s_load_dword s29, s[6:7], 0x0
	s_lshl_b32 s40, s4, 9
	s_waitcnt lgkmcnt(0)
	s_cmp_ge_i32 s40, s29
	s_cbranch_scc1 .LBB203_60
; %bb.1:
	s_load_dword s5, s[0:1], 0x90
	s_load_dwordx2 s[10:11], s[0:1], 0x30
	s_waitcnt lgkmcnt(0)
	s_abs_i32 s7, s5
	s_abs_i32 s3, s10
	v_cvt_f32_u32_e32 v1, s3
	s_sub_i32 s8, 0, s3
	s_xor_b32 s6, s5, s10
	s_ashr_i32 s6, s6, 31
	v_rcp_iflag_f32_e32 v1, v1
	s_nop 0
	v_mul_f32_e32 v1, 0x4f7ffffe, v1
	v_cvt_u32_f32_e32 v1, v1
	s_nop 0
	v_readfirstlane_b32 s9, v1
	s_mul_i32 s8, s8, s9
	s_mul_hi_u32 s8, s9, s8
	s_add_i32 s9, s9, s8
	s_mul_hi_u32 s8, s7, s9
	s_mul_i32 s9, s8, s3
	s_sub_i32 s7, s7, s9
	s_add_i32 s10, s8, 1
	s_sub_i32 s9, s7, s3
	s_cmp_ge_u32 s7, s3
	s_cselect_b32 s8, s10, s8
	s_cselect_b32 s7, s9, s7
	s_add_i32 s9, s8, 1
	s_cmp_ge_u32 s7, s3
	s_cselect_b32 s3, s9, s8
	s_xor_b32 s3, s3, s6
	s_sub_i32 s12, s3, s6
	s_abs_i32 s8, s12
	v_cvt_f32_u32_e32 v1, s8
	s_load_dwordx2 s[6:7], s[0:1], 0x50
	s_sub_i32 s3, 0, s8
	s_abs_i32 s9, s2
	v_rcp_iflag_f32_e32 v1, v1
	s_mov_b32 s10, 0
	v_mul_f32_e32 v1, 0x4f7ffffe, v1
	v_cvt_u32_f32_e32 v1, v1
	s_nop 0
	v_readfirstlane_b32 s13, v1
	s_mul_i32 s3, s3, s13
	s_mul_hi_u32 s3, s13, s3
	s_add_i32 s13, s13, s3
	s_waitcnt lgkmcnt(0)
	s_cmp_eq_u64 s[6:7], 0
	s_mul_hi_u32 s16, s9, s13
	s_cbranch_scc1 .LBB203_3
; %bb.2:
	s_ashr_i32 s3, s2, 31
	s_lshl_b64 s[14:15], s[2:3], 2
	s_add_u32 s6, s6, s14
	s_addc_u32 s7, s7, s15
	s_load_dword s10, s[6:7], 0x0
.LBB203_3:
	s_ashr_i32 s18, s12, 31
	s_load_dwordx4 s[12:15], s[0:1], 0x58
	s_movk_i32 s3, 0x60
	s_ashr_i32 s17, s2, 31
	v_and_b32_e32 v16, 7, v0
	s_mul_i32 s24, s2, 0x60
	v_cmp_gt_u32_e32 vcc, s3, v0
	v_lshlrev_b32_e32 v22, 2, v0
	v_lshrrev_b32_e32 v1, 1, v0
	s_and_saveexec_b64 s[6:7], vcc
	s_cbranch_execz .LBB203_5
; %bb.4:
	s_load_dwordx2 s[20:21], s[0:1], 0x18
	s_waitcnt lgkmcnt(0)
	s_mul_i32 s22, s28, s12
	s_ashr_i32 s23, s22, 31
	s_lshl_b64 s[22:23], s[22:23], 2
	v_and_b32_e32 v3, 0x1fc, v1
	s_add_u32 s3, s20, s22
	s_addc_u32 s12, s21, s23
	s_ashr_i32 s25, s24, 31
	s_lshl_b64 s[20:21], s[24:25], 2
	s_add_u32 s20, s3, s20
	s_addc_u32 s21, s12, s21
	global_load_dword v2, v22, s[20:21]
	v_mad_u32_u24 v3, v16, 48, v3
	s_waitcnt vmcnt(0)
	ds_write_b32 v3, v2
.LBB203_5:
	s_or_b64 exec, exec, s[6:7]
	s_add_i32 s3, s29, 7
	s_ashr_i32 s6, s3, 31
	s_lshr_b32 s6, s6, 29
	s_add_i32 s3, s3, s6
	s_waitcnt lgkmcnt(0)
	s_ashr_i32 s12, s3, 3
	s_lshl_b32 s3, s4, 6
	s_mul_i32 s7, s16, s8
	s_add_i32 s6, s3, 64
	s_sub_i32 s7, s9, s7
	s_min_i32 s33, s6, s12
	s_xor_b32 s6, s17, s18
	s_add_i32 s9, s16, 1
	s_sub_i32 s15, s7, s8
	s_cmp_ge_u32 s7, s8
	s_cselect_b32 s9, s9, s16
	s_cselect_b32 s7, s15, s7
	s_add_i32 s15, s9, 1
	s_cmp_ge_u32 s7, s8
	s_load_dwordx2 s[30:31], s[0:1], 0x38
	s_load_dword s8, s[0:1], 0x48
	v_lshrrev_b32_e32 v23, 6, v0
	s_cselect_b32 s7, s15, s9
	s_xor_b32 s7, s7, s6
	v_or_b32_e32 v14, s3, v23
	s_waitcnt lgkmcnt(0)
	s_mul_i32 s34, s28, s8
	s_sub_i32 s41, s7, s6
	s_ashr_i32 s35, s34, 31
	v_cmp_gt_i32_e64 s[6:7], s33, v14
	v_cmp_le_i32_e32 vcc, s33, v14
	v_mbcnt_lo_u32_b32 v17, -1, 0
	s_barrier
	s_waitcnt lgkmcnt(0)
                                        ; implicit-def: $sgpr15
                                        ; implicit-def: $vgpr24
                                        ; implicit-def: $vgpr25
	s_and_saveexec_b64 s[8:9], vcc
	s_xor_b64 s[8:9], exec, s[8:9]
; %bb.6:
	v_mbcnt_hi_u32_b32 v24, -1, v17
	v_and_b32_e32 v2, 64, v24
	v_add_u32_e32 v25, 64, v2
	s_mov_b32 s15, 0xff7fffff
                                        ; implicit-def: $vgpr16
                                        ; implicit-def: $vgpr17
; %bb.7:
	s_or_saveexec_b64 s[38:39], s[8:9]
	s_load_dwordx4 s[20:23], s[0:1], 0x0
	s_load_dwordx2 s[26:27], s[0:1], 0x10
	s_load_dword s25, s[0:1], 0x98
	s_load_dwordx2 s[36:37], s[0:1], 0x28
	s_load_dwordx4 s[16:19], s[0:1], 0x68
	v_mov_b32_e32 v26, s15
	s_mul_i32 s41, s41, s14
	v_ashrrev_i32_e32 v15, 31, v14
	s_xor_b64 exec, exec, s[38:39]
	s_cbranch_execz .LBB203_13
; %bb.8:
	v_mbcnt_hi_u32_b32 v24, -1, v17
	s_load_dwordx2 s[0:1], s[0:1], 0x20
	v_and_b32_e32 v17, 64, v24
	v_add_u32_e32 v25, 64, v17
	v_xor_b32_e32 v17, 4, v24
	v_cmp_lt_i32_e32 vcc, v17, v25
	s_ashr_i32 s8, s41, 31
	v_mul_u32_u24_e32 v10, 48, v16
	v_cndmask_b32_e32 v17, v24, v17, vcc
	v_lshlrev_b32_e32 v27, 2, v17
	v_xor_b32_e32 v17, 2, v24
	v_bfe_u32 v26, v0, 3, 3
	s_waitcnt lgkmcnt(0)
	s_add_u32 s0, s0, s41
	ds_read_b128 v[2:5], v10
	ds_read_b128 v[6:9], v10 offset:16
	ds_read_b128 v[10:13], v10 offset:32
	v_cmp_lt_i32_e32 vcc, v17, v25
	v_lshlrev_b32_e32 v20, 4, v26
	s_addc_u32 s1, s1, s8
	v_mov_b32_e32 v21, 0
	v_cndmask_b32_e32 v17, v24, v17, vcc
	s_load_dword s43, s[16:17], 0x0
	v_lshl_add_u64 v[18:19], s[0:1], 0, v[20:21]
	v_lshlrev_b32_e32 v28, 2, v17
	v_xor_b32_e32 v17, 1, v24
	s_sub_i32 s44, 1, s29
	v_lshlrev_b32_e32 v20, 3, v23
	s_lshl_b64 s[8:9], s[34:35], 2
	v_cmp_lt_i32_e32 vcc, v17, v25
	v_add3_u32 v30, s40, v20, v26
	v_lshlrev_b32_e32 v20, 2, v26
	s_add_u32 s8, s30, s8
	v_cndmask_b32_e32 v17, v24, v17, vcc
	v_lshl_or_b32 v20, v23, 5, v20
	s_addc_u32 s9, s31, s9
	s_mov_b32 s42, s13
	v_lshlrev_b32_e32 v29, 2, v17
	v_cmp_eq_u32_e32 vcc, 0, v16
	v_cmp_neq_f32_e64 s[0:1], s10, 0
	v_mov_b32_e32 v17, v21
	v_add_u32_e32 v31, 0x190, v20
	v_lshl_add_u64 v[20:21], v[14:15], 2, s[8:9]
	s_mov_b64 s[14:15], 0
	v_mov_b32_e32 v26, 0xff7fffff
	v_mov_b32_e32 v32, v14
	s_branch .LBB203_10
.LBB203_9:                              ;   in Loop: Header=BB203_10 Depth=1
	s_or_b64 exec, exec, s[16:17]
	v_add_u32_e32 v32, 2, v32
	v_cmp_le_i32_e64 s[8:9], s33, v32
	v_add_u32_e32 v30, 16, v30
	v_add_u32_e32 v31, 64, v31
	s_or_b64 s[14:15], s[8:9], s[14:15]
	v_lshl_add_u64 v[20:21], v[20:21], 0, 8
	s_andn2_b64 exec, exec, s[14:15]
	s_cbranch_execz .LBB203_12
.LBB203_10:                             ; =>This Inner Loop Header: Depth=1
	global_load_dword v33, v[20:21], off
	s_waitcnt vmcnt(0) lgkmcnt(0)
	v_mad_i64_i32 v[34:35], s[8:9], v33, s42, v[18:19]
	v_lshl_add_u64 v[34:35], v[34:35], 0, v[16:17]
	global_load_ubyte v33, v[34:35], off
	global_load_ubyte v36, v[34:35], off offset:8
	global_load_ubyte v37, v[34:35], off offset:128
	;; [unrolled: 1-line block ×11, first 2 shown]
	s_waitcnt vmcnt(11)
	v_cvt_f32_fp8_sdwa v33, v33 src0_sel:BYTE_0
	s_waitcnt vmcnt(10)
	v_cvt_f32_fp8_sdwa v34, v36 src0_sel:BYTE_0
	;; [unrolled: 2-line block ×5, first 2 shown]
	s_waitcnt lgkmcnt(0)
	v_mul_f32_e32 v34, s43, v34
	s_waitcnt vmcnt(6)
	v_cvt_f32_fp8_sdwa v38, v40 src0_sel:BYTE_0
	v_mul_f32_e32 v33, s43, v33
	v_mul_f32_e32 v34, v3, v34
	s_waitcnt vmcnt(5)
	v_cvt_f32_fp8_sdwa v39, v41 src0_sel:BYTE_0
	v_mul_f32_e32 v35, s43, v35
	v_fmac_f32_e32 v34, v2, v33
	s_waitcnt vmcnt(4)
	v_cvt_f32_fp8_sdwa v40, v42 src0_sel:BYTE_0
	v_mul_f32_e32 v36, s43, v36
	v_fmac_f32_e32 v34, v4, v35
	;; [unrolled: 4-line block ×6, first 2 shown]
	v_mul_f32_e32 v41, s43, v41
	v_fmac_f32_e32 v34, v9, v40
	v_mul_f32_e32 v42, s43, v42
	v_fmac_f32_e32 v34, v10, v41
	;; [unrolled: 2-line block ×4, first 2 shown]
	v_fmac_f32_e32 v34, v13, v44
	ds_bpermute_b32 v33, v27, v34
	s_waitcnt lgkmcnt(0)
	v_add_f32_e32 v33, v34, v33
	ds_bpermute_b32 v34, v28, v33
	s_waitcnt lgkmcnt(0)
	v_add_f32_e32 v33, v33, v34
	ds_bpermute_b32 v34, v29, v33
	s_and_saveexec_b64 s[16:17], vcc
	s_cbranch_execz .LBB203_9
; %bb.11:                               ;   in Loop: Header=BB203_10 Depth=1
	v_add_u32_e32 v35, s44, v30
	v_cvt_f32_i32_e32 v35, v35
	s_waitcnt lgkmcnt(0)
	v_add_f32_e32 v33, v33, v34
	v_cmp_gt_i32_e64 s[8:9], s29, v30
	v_max_f32_e32 v34, v26, v26
	v_mul_f32_e32 v35, s10, v35
	v_cndmask_b32_e64 v35, 0, v35, s[0:1]
	v_fmac_f32_e32 v35, s11, v33
	v_cndmask_b32_e64 v33, 0, v35, s[8:9]
	ds_write_b32 v31, v33
	v_max_f32_e32 v33, v34, v35
	v_cndmask_b32_e64 v26, v26, v33, s[8:9]
	s_branch .LBB203_9
.LBB203_12:
	s_or_b64 exec, exec, s[14:15]
.LBB203_13:
	s_or_b64 exec, exec, s[38:39]
	v_xor_b32_e32 v2, 32, v24
	v_cmp_lt_i32_e32 vcc, v2, v25
	v_xor_b32_e32 v5, 16, v24
	v_max_f32_e32 v4, v26, v26
	v_cndmask_b32_e32 v2, v24, v2, vcc
	v_lshlrev_b32_e32 v3, 2, v2
	ds_bpermute_b32 v2, v3, v26
	v_cmp_lt_i32_e32 vcc, v5, v25
	v_and_b32_e32 v26, 63, v0
	s_waitcnt lgkmcnt(0)
	v_max_f32_e32 v2, v2, v2
	v_max_f32_e32 v2, v4, v2
	v_cndmask_b32_e32 v4, v24, v5, vcc
	v_lshlrev_b32_e32 v6, 2, v4
	ds_bpermute_b32 v4, v6, v2
	v_xor_b32_e32 v5, 8, v24
	v_cmp_lt_i32_e32 vcc, v5, v25
	s_waitcnt lgkmcnt(0)
	v_max_f32_e32 v4, v4, v4
	v_max_f32_e32 v4, v2, v4
	v_cndmask_b32_e32 v2, v24, v5, vcc
	v_lshlrev_b32_e32 v7, 2, v2
	ds_bpermute_b32 v5, v7, v4
	v_cmp_eq_u32_e32 vcc, 0, v26
	v_lshlrev_b32_e32 v2, 2, v23
	s_and_saveexec_b64 s[0:1], vcc
	s_cbranch_execz .LBB203_15
; %bb.14:
	s_waitcnt lgkmcnt(0)
	v_max_f32_e32 v5, v5, v5
	v_max_f32_e32 v4, v4, v4
	;; [unrolled: 1-line block ×3, first 2 shown]
	ds_write_b32 v2, v4 offset:384
.LBB203_15:
	s_or_b64 exec, exec, s[0:1]
	v_cmp_gt_u32_e64 s[0:1], 2, v26
	v_mov_b32_e32 v4, 0xff7fffff
	s_waitcnt lgkmcnt(0)
	v_lshlrev_b32_e32 v5, 2, v26
	s_barrier
	s_and_saveexec_b64 s[8:9], s[0:1]
	s_cbranch_execz .LBB203_17
; %bb.16:
	ds_read_b32 v4, v5 offset:384
.LBB203_17:
	s_or_b64 exec, exec, s[8:9]
	v_xor_b32_e32 v8, 1, v24
	v_cmp_lt_i32_e64 s[8:9], v8, v25
	s_sub_i32 s3, s33, s3
	s_lshl_b32 s3, s3, 3
	v_cndmask_b32_e64 v8, v24, v8, s[8:9]
	v_lshlrev_b32_e32 v27, 2, v8
	s_waitcnt lgkmcnt(0)
	ds_bpermute_b32 v8, v27, v4
	v_max_f32_e32 v4, v4, v4
	s_add_i32 s3, s3, s40
	s_min_i32 s38, s3, s29
	s_sub_i32 s3, s38, s40
	s_waitcnt lgkmcnt(0)
	v_max_f32_e32 v8, v8, v8
	v_max_f32_e32 v4, v4, v8
	v_lshlrev_b32_e32 v8, 2, v24
	v_and_b32_e32 v8, 0xffffff00, v8
	ds_bpermute_b32 v4, v8, v4
	v_cmp_gt_i32_e64 s[8:9], s3, v0
	v_mov_b32_e32 v9, 0
	s_and_saveexec_b64 s[14:15], s[8:9]
	s_cbranch_execz .LBB203_21
; %bb.18:
	v_mov_b32_e32 v9, 0x190
	v_lshl_add_u32 v10, v0, 2, v9
	s_mov_b64 s[16:17], 0
	v_mov_b32_e32 v9, 0
	v_mov_b32_e32 v11, v0
.LBB203_19:                             ; =>This Inner Loop Header: Depth=1
	ds_read_b32 v12, v10
	v_add_u32_e32 v11, 0x80, v11
	v_cmp_le_i32_e64 s[10:11], s3, v11
	s_or_b64 s[16:17], s[10:11], s[16:17]
	s_waitcnt lgkmcnt(0)
	v_sub_f32_e32 v12, v12, v4
	v_mul_f32_e32 v12, 0x3fb8aa3b, v12
	v_exp_f32_e32 v12, v12
	ds_write_b32 v10, v12
	v_add_f32_e32 v9, v9, v12
	v_add_u32_e32 v10, 0x200, v10
	s_andn2_b64 exec, exec, s[16:17]
	s_cbranch_execnz .LBB203_19
; %bb.20:
	s_or_b64 exec, exec, s[16:17]
.LBB203_21:
	s_or_b64 exec, exec, s[14:15]
	ds_bpermute_b32 v3, v3, v9
	s_waitcnt lgkmcnt(0)
	v_add_f32_e32 v3, v9, v3
	ds_bpermute_b32 v6, v6, v3
	s_waitcnt lgkmcnt(0)
	v_add_f32_e32 v3, v3, v6
	ds_bpermute_b32 v6, v7, v3
	v_xor_b32_e32 v7, 4, v24
	v_cmp_lt_i32_e64 s[10:11], v7, v25
	s_waitcnt lgkmcnt(0)
	v_add_f32_e32 v3, v3, v6
	v_cndmask_b32_e64 v7, v24, v7, s[10:11]
	v_lshlrev_b32_e32 v7, 2, v7
	ds_bpermute_b32 v6, v7, v3
	v_xor_b32_e32 v7, 2, v24
	v_cmp_lt_i32_e64 s[10:11], v7, v25
	s_waitcnt lgkmcnt(0)
	v_add_f32_e32 v3, v3, v6
	v_cndmask_b32_e64 v7, v24, v7, s[10:11]
	v_lshlrev_b32_e32 v6, 2, v7
	ds_bpermute_b32 v6, v6, v3
	s_waitcnt lgkmcnt(0)
	v_add_f32_e32 v3, v3, v6
	ds_bpermute_b32 v6, v27, v3
	s_waitcnt lgkmcnt(0)
	v_add_f32_e32 v3, v3, v6
	s_and_saveexec_b64 s[10:11], vcc
	s_cbranch_execz .LBB203_23
; %bb.22:
	ds_write_b32 v2, v3 offset:392
.LBB203_23:
	s_or_b64 exec, exec, s[10:11]
	s_waitcnt lgkmcnt(0)
	s_barrier
	s_and_saveexec_b64 s[10:11], s[0:1]
	s_cbranch_execz .LBB203_25
; %bb.24:
	ds_read_b32 v3, v5 offset:392
.LBB203_25:
	s_or_b64 exec, exec, s[10:11]
	s_waitcnt lgkmcnt(0)
	ds_bpermute_b32 v2, v27, v3
	s_waitcnt lgkmcnt(0)
	v_add_f32_e32 v2, v3, v2
	ds_bpermute_b32 v5, v8, v2
	s_and_saveexec_b64 s[0:1], s[8:9]
	s_cbranch_execz .LBB203_38
; %bb.26:
	s_waitcnt lgkmcnt(0)
	v_add_f32_e32 v2, 0x358637bd, v5
	v_div_scale_f32 v3, s[8:9], v2, v2, 1.0
	v_rcp_f32_e32 v6, v3
	v_div_scale_f32 v7, vcc, 1.0, v2, 1.0
	s_movk_i32 s8, 0x7f
	v_fma_f32 v8, -v3, v6, 1.0
	v_fmac_f32_e32 v6, v8, v6
	v_mul_f32_e32 v8, v7, v6
	v_fma_f32 v9, -v3, v8, v7
	v_fmac_f32_e32 v8, v9, v6
	v_fma_f32 v3, -v3, v8, v7
	v_div_fmas_f32 v3, v3, v6, v8
	v_div_fixup_f32 v2, v3, v2, 1.0
	v_xad_u32 v3, v0, -1, s38
	v_subrev_u32_e32 v6, s40, v3
	v_cmp_lt_u32_e32 vcc, s8, v6
	s_mov_b64 s[10:11], -1
	v_mov_b32_e32 v3, v0
	s_and_saveexec_b64 s[8:9], vcc
	s_cbranch_execz .LBB203_35
; %bb.27:
	v_lshrrev_b32_e32 v6, 7, v6
	v_add_u32_e32 v8, -1, v6
	v_lshrrev_b32_e32 v7, 1, v8
	v_mov_b32_e32 v3, v2
	v_add_u32_e32 v7, 1, v7
	v_cmp_lt_u32_e32 vcc, 13, v8
	v_mov_b32_e32 v10, 0
	s_and_saveexec_b64 s[10:11], vcc
	s_cbranch_execz .LBB203_31
; %bb.28:
	v_mov_b32_e32 v9, 0x190
	v_and_b32_e32 v8, -8, v7
	v_lshl_add_u32 v9, v0, 2, v9
	s_mov_b32 s16, 0
	s_mov_b64 s[14:15], 0
.LBB203_29:                             ; =>This Inner Loop Header: Depth=1
	ds_read2st64_b32 v[10:11], v9 offset1:2
	ds_read2st64_b32 v[12:13], v9 offset0:4 offset1:6
	ds_read2st64_b32 v[16:17], v9 offset0:8 offset1:10
	;; [unrolled: 1-line block ×3, first 2 shown]
	v_add_u32_e32 v8, -8, v8
	s_waitcnt lgkmcnt(3)
	v_pk_mul_f32 v[10:11], v[2:3], v[10:11]
	s_waitcnt lgkmcnt(2)
	v_pk_mul_f32 v[12:13], v[2:3], v[12:13]
	ds_write2st64_b32 v9, v10, v11 offset1:2
	ds_write2st64_b32 v9, v12, v13 offset0:4 offset1:6
	ds_read2st64_b32 v[12:13], v9 offset0:16 offset1:18
	s_waitcnt lgkmcnt(4)
	v_pk_mul_f32 v[10:11], v[2:3], v[16:17]
	ds_write2st64_b32 v9, v10, v11 offset0:8 offset1:10
	s_waitcnt lgkmcnt(4)
	v_pk_mul_f32 v[10:11], v[2:3], v[18:19]
	ds_write2st64_b32 v9, v10, v11 offset0:12 offset1:14
	ds_read2st64_b32 v[10:11], v9 offset0:20 offset1:22
	s_waitcnt lgkmcnt(3)
	v_pk_mul_f32 v[12:13], v[2:3], v[12:13]
	ds_read2st64_b32 v[16:17], v9 offset0:24 offset1:26
	ds_write2st64_b32 v9, v12, v13 offset0:16 offset1:18
	ds_read2st64_b32 v[12:13], v9 offset0:28 offset1:30
	s_waitcnt lgkmcnt(3)
	v_pk_mul_f32 v[10:11], v[2:3], v[10:11]
	ds_write2st64_b32 v9, v10, v11 offset0:20 offset1:22
	s_waitcnt lgkmcnt(3)
	v_pk_mul_f32 v[10:11], v[2:3], v[16:17]
	ds_write2st64_b32 v9, v10, v11 offset0:24 offset1:26
	s_waitcnt lgkmcnt(2)
	v_pk_mul_f32 v[10:11], v[2:3], v[12:13]
	s_add_i32 s16, s16, 16
	v_cmp_eq_u32_e32 vcc, 0, v8
	ds_write2st64_b32 v9, v10, v11 offset0:28 offset1:30
	v_add_u32_e32 v9, 0x2000, v9
	s_or_b64 s[14:15], vcc, s[14:15]
	v_mov_b32_e32 v10, s16
	s_andn2_b64 exec, exec, s[14:15]
	s_cbranch_execnz .LBB203_29
; %bb.30:
	s_or_b64 exec, exec, s[14:15]
.LBB203_31:
	s_or_b64 exec, exec, s[10:11]
	v_and_b32_e32 v7, 7, v7
	v_cmp_ne_u32_e32 vcc, 0, v7
	s_and_saveexec_b64 s[10:11], vcc
	s_cbranch_execz .LBB203_34
; %bb.32:
	v_lshlrev_b32_e32 v8, 9, v10
	s_movk_i32 s14, 0x190
	v_add3_u32 v8, v8, v22, s14
	s_mov_b64 s[14:15], 0
.LBB203_33:                             ; =>This Inner Loop Header: Depth=1
	ds_read2st64_b32 v[10:11], v8 offset1:2
	v_add_u32_e32 v7, -1, v7
	v_cmp_eq_u32_e32 vcc, 0, v7
	s_or_b64 s[14:15], vcc, s[14:15]
	s_waitcnt lgkmcnt(0)
	v_pk_mul_f32 v[10:11], v[2:3], v[10:11]
	ds_write2st64_b32 v8, v10, v11 offset1:2
	v_add_u32_e32 v8, 0x400, v8
	s_andn2_b64 exec, exec, s[14:15]
	s_cbranch_execnz .LBB203_33
.LBB203_34:
	s_or_b64 exec, exec, s[10:11]
	v_add_u32_e32 v6, 1, v6
	v_and_b32_e32 v7, 0x3fffffe, v6
	v_cmp_ne_u32_e32 vcc, v6, v7
	v_lshl_add_u32 v3, v7, 7, v0
	s_orn2_b64 s[10:11], vcc, exec
.LBB203_35:
	s_or_b64 exec, exec, s[8:9]
	s_and_b64 exec, exec, s[10:11]
	s_cbranch_execz .LBB203_38
; %bb.36:
	v_mov_b32_e32 v6, 0x190
	v_lshl_add_u32 v6, v3, 2, v6
	s_mov_b64 s[8:9], 0
.LBB203_37:                             ; =>This Inner Loop Header: Depth=1
	ds_read_b32 v7, v6
	v_add_u32_e32 v3, 0x80, v3
	v_cmp_le_i32_e32 vcc, s3, v3
	s_or_b64 s[8:9], vcc, s[8:9]
	s_waitcnt lgkmcnt(0)
	v_mul_f32_e32 v7, v2, v7
	ds_write_b32 v6, v7
	v_add_u32_e32 v6, 0x200, v6
	s_andn2_b64 exec, exec, s[8:9]
	s_cbranch_execnz .LBB203_37
.LBB203_38:
	s_or_b64 exec, exec, s[0:1]
	s_mul_i32 s0, s25, s28
	v_cmp_eq_u32_e32 vcc, 0, v0
	s_mul_i32 s8, s0, s5
	s_waitcnt lgkmcnt(0)
	s_barrier
	s_and_saveexec_b64 s[0:1], vcc
	s_cbranch_execz .LBB203_40
; %bb.39:
	s_ashr_i32 s9, s8, 31
	s_lshl_b64 s[10:11], s[8:9], 2
	s_add_u32 s5, s22, s10
	s_mul_i32 s2, s25, s2
	s_addc_u32 s9, s23, s11
	s_ashr_i32 s3, s2, 31
	s_lshl_b64 s[2:3], s[2:3], 2
	s_add_u32 s16, s5, s2
	s_addc_u32 s9, s9, s3
	s_ashr_i32 s5, s4, 31
	s_lshl_b64 s[14:15], s[4:5], 2
	s_add_u32 s16, s16, s14
	s_addc_u32 s17, s9, s15
	s_add_u32 s5, s20, s10
	s_addc_u32 s9, s21, s11
	;; [unrolled: 2-line block ×3, first 2 shown]
	s_add_u32 s2, s2, s14
	v_mov_b32_e32 v2, 0
	s_addc_u32 s3, s3, s15
	global_store_dword v2, v4, s[16:17]
	global_store_dword v2, v5, s[2:3]
.LBB203_40:
	s_or_b64 exec, exec, s[0:1]
	v_mov_b32_e32 v29, 0
	v_and_b32_e32 v28, 1, v0
	v_mov_b32_e32 v7, 0
	v_mov_b32_e32 v6, 0
	s_and_saveexec_b64 s[2:3], s[6:7]
	s_cbranch_execz .LBB203_50
; %bb.41:
	s_ashr_i32 s1, s41, 31
	s_load_dword s6, s[18:19], 0x0
	s_add_u32 s0, s36, s41
	s_addc_u32 s1, s37, s1
	v_and_b32_e32 v6, 0xfc, v22
	v_mov_b32_e32 v7, 0
	v_and_b32_e32 v2, 4, v22
	s_add_i32 s9, s12, -1
	v_lshl_add_u64 v[8:9], s[0:1], 0, v[6:7]
	v_lshl_add_u32 v3, v23, 3, s40
	s_lshl_b64 s[0:1], s[34:35], 2
	v_add3_u32 v30, v3, v2, 3
	v_lshlrev_b32_e32 v2, 4, v28
	s_add_u32 s0, s30, s0
	v_lshl_or_b32 v2, v23, 5, v2
	s_addc_u32 s1, s31, s1
	s_mov_b32 s5, s13
	s_waitcnt lgkmcnt(0)
	s_mov_b32 s7, s6
	v_add_u32_e32 v31, 0x190, v2
	v_lshl_add_u64 v[10:11], v[14:15], 2, s[0:1]
	s_mov_b64 s[10:11], 0
	v_mov_b32_e32 v6, v7
	v_mov_b32_e32 v29, v7
	s_branch .LBB203_43
.LBB203_42:                             ;   in Loop: Header=BB203_43 Depth=1
	s_or_b64 exec, exec, s[0:1]
	s_waitcnt lgkmcnt(0)
	v_mul_f32_e32 v15, v3, v17
	v_fmac_f32_e32 v15, v2, v16
	v_fmac_f32_e32 v15, v4, v12
	v_mul_f32_e32 v12, v3, v23
	v_mul_f32_e32 v3, v3, v25
	v_fmac_f32_e32 v12, v2, v22
	v_fmac_f32_e32 v3, v2, v24
	;; [unrolled: 1-line block ×4, first 2 shown]
	v_add_u32_e32 v14, 2, v14
	v_fmac_f32_e32 v15, v5, v13
	v_fmac_f32_e32 v12, v5, v21
	;; [unrolled: 1-line block ×3, first 2 shown]
	v_cmp_le_i32_e32 vcc, s33, v14
	v_add_f32_e32 v6, v6, v15
	v_add_f32_e32 v7, v7, v12
	;; [unrolled: 1-line block ×3, first 2 shown]
	v_add_u32_e32 v30, 16, v30
	v_add_u32_e32 v31, 64, v31
	s_or_b64 s[10:11], vcc, s[10:11]
	v_lshl_add_u64 v[10:11], v[10:11], 0, 8
	s_andn2_b64 exec, exec, s[10:11]
	s_cbranch_execz .LBB203_49
.LBB203_43:                             ; =>This Inner Loop Header: Depth=1
	global_load_dword v2, v[10:11], off
	v_add_u32_e32 v15, -3, v30
	v_cmp_eq_u32_e32 vcc, s9, v14
	v_add_u32_e32 v32, -2, v30
	v_add_u32_e32 v33, -1, v30
	s_waitcnt vmcnt(0)
	v_mad_i64_i32 v[18:19], s[0:1], v2, s5, v[8:9]
	global_load_dword v12, v[18:19], off
	ds_read_b128 v[2:5], v31
	s_waitcnt vmcnt(0)
	v_and_b32_e32 v13, 0xffff, v12
	v_lshrrev_b32_e32 v16, 16, v12
	v_cvt_pk_f32_fp8_e32 v[12:13], v13
	v_cvt_pk_f32_fp8_e32 v[20:21], v16
	v_pk_mul_f32 v[16:17], s[6:7], v[12:13]
	v_pk_mul_f32 v[12:13], s[6:7], v[20:21]
	s_and_saveexec_b64 s[12:13], vcc
; %bb.44:                               ;   in Loop: Header=BB203_43 Depth=1
	v_cmp_gt_i32_e64 s[0:1], s29, v15
	s_nop 1
	v_cndmask_b32_e64 v16, 0, v16, s[0:1]
	v_cmp_gt_i32_e64 s[0:1], s29, v32
	s_nop 1
	v_cndmask_b32_e64 v17, 0, v17, s[0:1]
	;; [unrolled: 3-line block ×4, first 2 shown]
; %bb.45:                               ;   in Loop: Header=BB203_43 Depth=1
	s_or_b64 exec, exec, s[12:13]
	global_load_dword v20, v[18:19], off offset:256
	s_waitcnt vmcnt(0)
	v_and_b32_e32 v21, 0xffff, v20
	v_lshrrev_b32_e32 v22, 16, v20
	v_cvt_pk_f32_fp8_e32 v[20:21], v21
	v_cvt_pk_f32_fp8_e32 v[24:25], v22
	v_pk_mul_f32 v[22:23], s[6:7], v[20:21]
	v_pk_mul_f32 v[20:21], s[6:7], v[24:25]
	s_and_saveexec_b64 s[12:13], vcc
; %bb.46:                               ;   in Loop: Header=BB203_43 Depth=1
	v_cmp_gt_i32_e64 s[0:1], s29, v15
	s_nop 1
	v_cndmask_b32_e64 v22, 0, v22, s[0:1]
	v_cmp_gt_i32_e64 s[0:1], s29, v32
	s_nop 1
	v_cndmask_b32_e64 v23, 0, v23, s[0:1]
	;; [unrolled: 3-line block ×4, first 2 shown]
; %bb.47:                               ;   in Loop: Header=BB203_43 Depth=1
	s_or_b64 exec, exec, s[12:13]
	global_load_dword v18, v[18:19], off offset:512
	s_waitcnt vmcnt(0)
	v_and_b32_e32 v19, 0xffff, v18
	v_lshrrev_b32_e32 v24, 16, v18
	v_cvt_pk_f32_fp8_e32 v[18:19], v19
	v_cvt_pk_f32_fp8_e32 v[34:35], v24
	v_pk_mul_f32 v[24:25], s[6:7], v[18:19]
	v_pk_mul_f32 v[18:19], s[6:7], v[34:35]
	s_and_saveexec_b64 s[0:1], vcc
	s_cbranch_execz .LBB203_42
; %bb.48:                               ;   in Loop: Header=BB203_43 Depth=1
	v_cmp_gt_i32_e32 vcc, s29, v15
	s_nop 1
	v_cndmask_b32_e32 v24, 0, v24, vcc
	v_cmp_gt_i32_e32 vcc, s29, v32
	s_nop 1
	v_cndmask_b32_e32 v25, 0, v25, vcc
	;; [unrolled: 3-line block ×4, first 2 shown]
	s_branch .LBB203_42
.LBB203_49:
	s_or_b64 exec, exec, s[10:11]
.LBB203_50:
	s_or_b64 exec, exec, s[2:3]
	ds_bpermute_b32 v2, v27, v6
	ds_bpermute_b32 v3, v27, v7
	;; [unrolled: 1-line block ×3, first 2 shown]
	v_and_b32_e32 v5, 0x3c1, v0
	v_cmp_eq_u32_e32 vcc, 64, v5
	s_waitcnt lgkmcnt(0)
	v_pk_add_f32 v[2:3], v[6:7], v[2:3]
	v_add_f32_e32 v4, v29, v4
	s_barrier
	s_and_saveexec_b64 s[0:1], vcc
	s_cbranch_execz .LBB203_52
; %bb.51:
	v_mov_b32_e32 v6, 0x190
	v_lshl_add_u32 v6, v26, 1, v6
	ds_write2_b32 v6, v2, v3 offset1:32
	ds_write_b32 v6, v4 offset:256
.LBB203_52:
	s_or_b64 exec, exec, s[0:1]
	v_cmp_gt_u32_e32 vcc, 64, v0
	s_waitcnt lgkmcnt(0)
	s_barrier
	s_and_saveexec_b64 s[0:1], vcc
	s_cbranch_execz .LBB203_58
; %bb.53:
	v_cmp_eq_u32_e32 vcc, 0, v28
	s_and_saveexec_b64 s[2:3], vcc
	s_cbranch_execnz .LBB203_61
; %bb.54:
	s_or_b64 exec, exec, s[2:3]
	s_and_saveexec_b64 s[2:3], vcc
	s_cbranch_execnz .LBB203_62
.LBB203_55:
	s_or_b64 exec, exec, s[2:3]
	s_and_saveexec_b64 s[2:3], vcc
	s_cbranch_execz .LBB203_57
.LBB203_56:
	v_mov_b32_e32 v6, 0x190
	v_lshl_add_u32 v1, v1, 2, v6
	ds_read_b32 v1, v1 offset:256
	s_waitcnt lgkmcnt(0)
	v_add_f32_e32 v4, v4, v1
.LBB203_57:
	s_or_b64 exec, exec, s[2:3]
.LBB203_58:
	s_or_b64 exec, exec, s[0:1]
	v_cmp_eq_u32_e32 vcc, 0, v5
	s_barrier
	s_and_saveexec_b64 s[0:1], vcc
	s_cbranch_execz .LBB203_60
; %bb.59:
	s_mul_i32 s0, s8, 0x60
	s_ashr_i32 s1, s0, 31
	s_lshl_b64 s[0:1], s[0:1], 2
	s_add_u32 s2, s26, s0
	s_mul_i32 s0, s25, s24
	s_addc_u32 s3, s27, s1
	s_ashr_i32 s1, s0, 31
	s_lshl_b64 s[0:1], s[0:1], 2
	s_add_u32 s2, s2, s0
	s_mul_i32 s0, s4, 0x60
	s_addc_u32 s3, s3, s1
	s_ashr_i32 s1, s0, 31
	s_lshl_b64 s[0:1], s[0:1], 2
	s_add_u32 s0, s2, s0
	s_addc_u32 s1, s3, s1
	v_lshlrev_b32_e32 v0, 1, v0
	global_store_dword v0, v2, s[0:1]
	global_store_dword v0, v3, s[0:1] offset:128
	global_store_dword v0, v4, s[0:1] offset:256
.LBB203_60:
	s_endpgm
.LBB203_61:
	v_mov_b32_e32 v6, 0x190
	v_lshl_add_u32 v6, v1, 2, v6
	ds_read_b32 v6, v6
	s_waitcnt lgkmcnt(0)
	v_add_f32_e32 v2, v2, v6
	s_or_b64 exec, exec, s[2:3]
	s_and_saveexec_b64 s[2:3], vcc
	s_cbranch_execz .LBB203_55
.LBB203_62:
	v_mov_b32_e32 v6, 0x190
	v_lshl_add_u32 v6, v1, 2, v6
	ds_read_b32 v6, v6 offset:128
	s_waitcnt lgkmcnt(0)
	v_add_f32_e32 v3, v3, v6
	s_or_b64 exec, exec, s[2:3]
	s_and_saveexec_b64 s[2:3], vcc
	s_cbranch_execnz .LBB203_56
	s_branch .LBB203_57
	.section	.rodata,"a",@progbits
	.p2align	6, 0x0
	.amdhsa_kernel _ZN4vllm25paged_attention_v2_kernelIfhLi96ELi8ELi128ELNS_18Fp8KVCacheDataTypeE1ELb0ELi512EEEvPfS2_PT_PKS3_PKT0_S9_ifPKiSB_iPKfiiiSD_SD_iiiii
		.amdhsa_group_segment_fixed_size 400
		.amdhsa_private_segment_fixed_size 0
		.amdhsa_kernarg_size 400
		.amdhsa_user_sgpr_count 2
		.amdhsa_user_sgpr_dispatch_ptr 0
		.amdhsa_user_sgpr_queue_ptr 0
		.amdhsa_user_sgpr_kernarg_segment_ptr 1
		.amdhsa_user_sgpr_dispatch_id 0
		.amdhsa_user_sgpr_kernarg_preload_length 0
		.amdhsa_user_sgpr_kernarg_preload_offset 0
		.amdhsa_user_sgpr_private_segment_size 0
		.amdhsa_uses_dynamic_stack 0
		.amdhsa_enable_private_segment 0
		.amdhsa_system_sgpr_workgroup_id_x 1
		.amdhsa_system_sgpr_workgroup_id_y 1
		.amdhsa_system_sgpr_workgroup_id_z 1
		.amdhsa_system_sgpr_workgroup_info 0
		.amdhsa_system_vgpr_workitem_id 0
		.amdhsa_next_free_vgpr 47
		.amdhsa_next_free_sgpr 45
		.amdhsa_accum_offset 48
		.amdhsa_reserve_vcc 1
		.amdhsa_float_round_mode_32 0
		.amdhsa_float_round_mode_16_64 0
		.amdhsa_float_denorm_mode_32 3
		.amdhsa_float_denorm_mode_16_64 3
		.amdhsa_dx10_clamp 1
		.amdhsa_ieee_mode 1
		.amdhsa_fp16_overflow 0
		.amdhsa_tg_split 0
		.amdhsa_exception_fp_ieee_invalid_op 0
		.amdhsa_exception_fp_denorm_src 0
		.amdhsa_exception_fp_ieee_div_zero 0
		.amdhsa_exception_fp_ieee_overflow 0
		.amdhsa_exception_fp_ieee_underflow 0
		.amdhsa_exception_fp_ieee_inexact 0
		.amdhsa_exception_int_div_zero 0
	.end_amdhsa_kernel
	.section	.text._ZN4vllm25paged_attention_v2_kernelIfhLi96ELi8ELi128ELNS_18Fp8KVCacheDataTypeE1ELb0ELi512EEEvPfS2_PT_PKS3_PKT0_S9_ifPKiSB_iPKfiiiSD_SD_iiiii,"axG",@progbits,_ZN4vllm25paged_attention_v2_kernelIfhLi96ELi8ELi128ELNS_18Fp8KVCacheDataTypeE1ELb0ELi512EEEvPfS2_PT_PKS3_PKT0_S9_ifPKiSB_iPKfiiiSD_SD_iiiii,comdat
.Lfunc_end203:
	.size	_ZN4vllm25paged_attention_v2_kernelIfhLi96ELi8ELi128ELNS_18Fp8KVCacheDataTypeE1ELb0ELi512EEEvPfS2_PT_PKS3_PKT0_S9_ifPKiSB_iPKfiiiSD_SD_iiiii, .Lfunc_end203-_ZN4vllm25paged_attention_v2_kernelIfhLi96ELi8ELi128ELNS_18Fp8KVCacheDataTypeE1ELb0ELi512EEEvPfS2_PT_PKS3_PKT0_S9_ifPKiSB_iPKfiiiSD_SD_iiiii
                                        ; -- End function
	.section	.AMDGPU.csdata,"",@progbits
; Kernel info:
; codeLenInByte = 4012
; NumSgprs: 51
; NumVgprs: 47
; NumAgprs: 0
; TotalNumVgprs: 47
; ScratchSize: 0
; MemoryBound: 0
; FloatMode: 240
; IeeeMode: 1
; LDSByteSize: 400 bytes/workgroup (compile time only)
; SGPRBlocks: 6
; VGPRBlocks: 5
; NumSGPRsForWavesPerEU: 51
; NumVGPRsForWavesPerEU: 47
; AccumOffset: 48
; Occupancy: 8
; WaveLimiterHint : 1
; COMPUTE_PGM_RSRC2:SCRATCH_EN: 0
; COMPUTE_PGM_RSRC2:USER_SGPR: 2
; COMPUTE_PGM_RSRC2:TRAP_HANDLER: 0
; COMPUTE_PGM_RSRC2:TGID_X_EN: 1
; COMPUTE_PGM_RSRC2:TGID_Y_EN: 1
; COMPUTE_PGM_RSRC2:TGID_Z_EN: 1
; COMPUTE_PGM_RSRC2:TIDIG_COMP_CNT: 0
; COMPUTE_PGM_RSRC3_GFX90A:ACCUM_OFFSET: 11
; COMPUTE_PGM_RSRC3_GFX90A:TG_SPLIT: 0
	.section	.text._ZN4vllm25paged_attention_v2_kernelIfhLi112ELi8ELi128ELNS_18Fp8KVCacheDataTypeE1ELb0ELi512EEEvPfS2_PT_PKS3_PKT0_S9_ifPKiSB_iPKfiiiSD_SD_iiiii,"axG",@progbits,_ZN4vllm25paged_attention_v2_kernelIfhLi112ELi8ELi128ELNS_18Fp8KVCacheDataTypeE1ELb0ELi512EEEvPfS2_PT_PKS3_PKT0_S9_ifPKiSB_iPKfiiiSD_SD_iiiii,comdat
	.protected	_ZN4vllm25paged_attention_v2_kernelIfhLi112ELi8ELi128ELNS_18Fp8KVCacheDataTypeE1ELb0ELi512EEEvPfS2_PT_PKS3_PKT0_S9_ifPKiSB_iPKfiiiSD_SD_iiiii ; -- Begin function _ZN4vllm25paged_attention_v2_kernelIfhLi112ELi8ELi128ELNS_18Fp8KVCacheDataTypeE1ELb0ELi512EEEvPfS2_PT_PKS3_PKT0_S9_ifPKiSB_iPKfiiiSD_SD_iiiii
	.globl	_ZN4vllm25paged_attention_v2_kernelIfhLi112ELi8ELi128ELNS_18Fp8KVCacheDataTypeE1ELb0ELi512EEEvPfS2_PT_PKS3_PKT0_S9_ifPKiSB_iPKfiiiSD_SD_iiiii
	.p2align	8
	.type	_ZN4vllm25paged_attention_v2_kernelIfhLi112ELi8ELi128ELNS_18Fp8KVCacheDataTypeE1ELb0ELi512EEEvPfS2_PT_PKS3_PKT0_S9_ifPKiSB_iPKfiiiSD_SD_iiiii,@function
_ZN4vllm25paged_attention_v2_kernelIfhLi112ELi8ELi128ELNS_18Fp8KVCacheDataTypeE1ELb0ELi512EEEvPfS2_PT_PKS3_PKT0_S9_ifPKiSB_iPKfiiiSD_SD_iiiii: ; @_ZN4vllm25paged_attention_v2_kernelIfhLi112ELi8ELi128ELNS_18Fp8KVCacheDataTypeE1ELb0ELi512EEEvPfS2_PT_PKS3_PKT0_S9_ifPKiSB_iPKfiiiSD_SD_iiiii
; %bb.0:
	s_load_dwordx2 s[6:7], s[0:1], 0x40
	s_mov_b32 s28, s3
	s_ashr_i32 s29, s3, 31
	s_lshl_b64 s[8:9], s[28:29], 2
	s_waitcnt lgkmcnt(0)
	s_add_u32 s6, s6, s8
	s_addc_u32 s7, s7, s9
	s_load_dword s29, s[6:7], 0x0
	s_lshl_b32 s40, s4, 9
	s_waitcnt lgkmcnt(0)
	s_cmp_ge_i32 s40, s29
	s_cbranch_scc1 .LBB204_72
; %bb.1:
	s_load_dword s5, s[0:1], 0x90
	s_load_dwordx2 s[10:11], s[0:1], 0x30
	s_mov_b32 s41, 0
	s_waitcnt lgkmcnt(0)
	s_abs_i32 s7, s5
	s_abs_i32 s3, s10
	v_cvt_f32_u32_e32 v1, s3
	s_sub_i32 s8, 0, s3
	s_xor_b32 s6, s5, s10
	s_ashr_i32 s6, s6, 31
	v_rcp_iflag_f32_e32 v1, v1
	s_nop 0
	v_mul_f32_e32 v1, 0x4f7ffffe, v1
	v_cvt_u32_f32_e32 v1, v1
	s_nop 0
	v_readfirstlane_b32 s9, v1
	s_mul_i32 s8, s8, s9
	s_mul_hi_u32 s8, s9, s8
	s_add_i32 s9, s9, s8
	s_mul_hi_u32 s8, s7, s9
	s_mul_i32 s9, s8, s3
	s_sub_i32 s7, s7, s9
	s_add_i32 s10, s8, 1
	s_sub_i32 s9, s7, s3
	s_cmp_ge_u32 s7, s3
	s_cselect_b32 s8, s10, s8
	s_cselect_b32 s7, s9, s7
	s_add_i32 s9, s8, 1
	s_cmp_ge_u32 s7, s3
	s_cselect_b32 s3, s9, s8
	s_xor_b32 s3, s3, s6
	s_sub_i32 s10, s3, s6
	s_abs_i32 s8, s10
	v_cvt_f32_u32_e32 v1, s8
	s_load_dwordx2 s[6:7], s[0:1], 0x50
	s_sub_i32 s3, 0, s8
	s_abs_i32 s9, s2
	v_rcp_iflag_f32_e32 v1, v1
	s_nop 0
	v_mul_f32_e32 v1, 0x4f7ffffe, v1
	v_cvt_u32_f32_e32 v1, v1
	s_nop 0
	v_readfirstlane_b32 s12, v1
	s_mul_i32 s3, s3, s12
	s_mul_hi_u32 s3, s12, s3
	s_add_i32 s12, s12, s3
	s_waitcnt lgkmcnt(0)
	s_cmp_eq_u64 s[6:7], 0
	s_mul_hi_u32 s16, s9, s12
	s_cbranch_scc1 .LBB204_3
; %bb.2:
	s_ashr_i32 s3, s2, 31
	s_lshl_b64 s[12:13], s[2:3], 2
	s_add_u32 s6, s6, s12
	s_addc_u32 s7, s7, s13
	s_load_dword s41, s[6:7], 0x0
.LBB204_3:
	s_load_dwordx4 s[12:15], s[0:1], 0x58
	s_movk_i32 s3, 0x70
	s_ashr_i32 s17, s2, 31
	s_ashr_i32 s18, s10, 31
	v_and_b32_e32 v16, 7, v0
	s_mul_i32 s24, s2, 0x70
	v_cmp_gt_u32_e32 vcc, s3, v0
	v_lshlrev_b32_e32 v24, 2, v0
	v_lshrrev_b32_e32 v1, 1, v0
	s_and_saveexec_b64 s[6:7], vcc
	s_cbranch_execz .LBB204_5
; %bb.4:
	s_load_dwordx2 s[20:21], s[0:1], 0x18
	s_waitcnt lgkmcnt(0)
	s_mul_i32 s22, s28, s12
	s_ashr_i32 s23, s22, 31
	s_lshl_b64 s[22:23], s[22:23], 2
	v_and_b32_e32 v3, 0x1fc, v1
	s_add_u32 s3, s20, s22
	s_addc_u32 s10, s21, s23
	s_ashr_i32 s25, s24, 31
	s_lshl_b64 s[20:21], s[24:25], 2
	s_add_u32 s20, s3, s20
	s_addc_u32 s21, s10, s21
	global_load_dword v2, v24, s[20:21]
	v_mad_u32_u24 v3, v16, 56, v3
	s_waitcnt vmcnt(0)
	ds_write_b32 v3, v2
.LBB204_5:
	s_or_b64 exec, exec, s[6:7]
	s_add_i32 s3, s29, 7
	s_ashr_i32 s6, s3, 31
	s_lshr_b32 s6, s6, 29
	s_add_i32 s3, s3, s6
	s_lshl_b32 s10, s4, 6
	s_mul_i32 s7, s16, s8
	s_ashr_i32 s3, s3, 3
	s_add_i32 s6, s10, 64
	s_sub_i32 s7, s9, s7
	s_min_i32 s33, s6, s3
	s_xor_b32 s6, s17, s18
	s_add_i32 s9, s16, 1
	s_waitcnt lgkmcnt(0)
	s_sub_i32 s12, s7, s8
	s_cmp_ge_u32 s7, s8
	s_cselect_b32 s9, s9, s16
	s_cselect_b32 s7, s12, s7
	s_add_i32 s12, s9, 1
	s_cmp_ge_u32 s7, s8
	s_load_dwordx2 s[30:31], s[0:1], 0x38
	s_load_dword s8, s[0:1], 0x48
	v_lshrrev_b32_e32 v25, 6, v0
	s_cselect_b32 s7, s12, s9
	s_xor_b32 s7, s7, s6
	v_or_b32_e32 v14, s10, v25
	s_waitcnt lgkmcnt(0)
	s_mul_i32 s34, s28, s8
	s_sub_i32 s12, s7, s6
	s_ashr_i32 s35, s34, 31
	v_cmp_gt_i32_e64 s[6:7], s33, v14
	v_cmp_le_i32_e32 vcc, s33, v14
	v_mbcnt_lo_u32_b32 v17, -1, 0
	s_barrier
	s_waitcnt lgkmcnt(0)
                                        ; implicit-def: $sgpr15
                                        ; implicit-def: $vgpr26
                                        ; implicit-def: $vgpr27
	s_and_saveexec_b64 s[8:9], vcc
	s_xor_b64 s[8:9], exec, s[8:9]
; %bb.6:
	v_mbcnt_hi_u32_b32 v26, -1, v17
	v_and_b32_e32 v2, 64, v26
	v_add_u32_e32 v27, 64, v2
	s_mov_b32 s15, 0xff7fffff
                                        ; implicit-def: $vgpr16
                                        ; implicit-def: $vgpr17
; %bb.7:
	s_or_saveexec_b64 s[38:39], s[8:9]
	s_load_dwordx4 s[20:23], s[0:1], 0x0
	s_load_dwordx2 s[26:27], s[0:1], 0x10
	s_load_dword s25, s[0:1], 0x98
	s_load_dwordx2 s[36:37], s[0:1], 0x28
	s_load_dwordx4 s[16:19], s[0:1], 0x68
	v_mov_b32_e32 v28, s15
	s_mul_i32 s12, s12, s14
	v_ashrrev_i32_e32 v15, 31, v14
	s_xor_b64 exec, exec, s[38:39]
	s_cbranch_execz .LBB204_13
; %bb.8:
	v_mbcnt_hi_u32_b32 v26, -1, v17
	s_load_dwordx2 s[0:1], s[0:1], 0x20
	v_and_b32_e32 v17, 64, v26
	v_add_u32_e32 v27, 64, v17
	v_xor_b32_e32 v17, 4, v26
	v_cmp_lt_i32_e32 vcc, v17, v27
	v_mul_u32_u24_e32 v20, 56, v16
	s_ashr_i32 s8, s12, 31
	v_cndmask_b32_e32 v17, v26, v17, vcc
	ds_read2_b64 v[2:5], v20 offset1:1
	ds_read2_b64 v[6:9], v20 offset0:2 offset1:3
	ds_read2_b64 v[10:13], v20 offset0:4 offset1:5
	ds_read_b64 v[20:21], v20 offset:48
	v_lshlrev_b32_e32 v29, 2, v17
	v_xor_b32_e32 v17, 2, v26
	v_bfe_u32 v28, v0, 3, 3
	s_waitcnt lgkmcnt(0)
	s_add_u32 s0, s0, s12
	v_cmp_lt_i32_e32 vcc, v17, v27
	v_lshlrev_b32_e32 v22, 4, v28
	s_addc_u32 s1, s1, s8
	v_mov_b32_e32 v23, 0
	v_cndmask_b32_e32 v17, v26, v17, vcc
	s_load_dword s43, s[16:17], 0x0
	v_lshl_add_u64 v[18:19], s[0:1], 0, v[22:23]
	v_lshlrev_b32_e32 v30, 2, v17
	v_xor_b32_e32 v17, 1, v26
	s_sub_i32 s44, 1, s29
	v_lshlrev_b32_e32 v22, 3, v25
	s_lshl_b64 s[8:9], s[34:35], 2
	v_cmp_lt_i32_e32 vcc, v17, v27
	v_add3_u32 v32, s40, v22, v28
	v_lshlrev_b32_e32 v22, 2, v28
	s_add_u32 s8, s30, s8
	v_cndmask_b32_e32 v17, v26, v17, vcc
	v_lshl_or_b32 v22, v25, 5, v22
	s_addc_u32 s9, s31, s9
	s_mov_b32 s42, s13
	v_lshlrev_b32_e32 v31, 2, v17
	v_cmp_eq_u32_e32 vcc, 0, v16
	v_cmp_neq_f32_e64 s[0:1], s41, 0
	v_mov_b32_e32 v17, v23
	v_add_u32_e32 v33, 0x1d0, v22
	v_lshl_add_u64 v[22:23], v[14:15], 2, s[8:9]
	s_mov_b64 s[14:15], 0
	v_mov_b32_e32 v28, 0xff7fffff
	v_mov_b32_e32 v34, v14
	s_branch .LBB204_10
.LBB204_9:                              ;   in Loop: Header=BB204_10 Depth=1
	s_or_b64 exec, exec, s[16:17]
	v_add_u32_e32 v34, 2, v34
	v_cmp_le_i32_e64 s[8:9], s33, v34
	v_add_u32_e32 v32, 16, v32
	v_add_u32_e32 v33, 64, v33
	s_or_b64 s[14:15], s[8:9], s[14:15]
	v_lshl_add_u64 v[22:23], v[22:23], 0, 8
	s_andn2_b64 exec, exec, s[14:15]
	s_cbranch_execz .LBB204_12
.LBB204_10:                             ; =>This Inner Loop Header: Depth=1
	global_load_dword v35, v[22:23], off
	s_waitcnt vmcnt(0) lgkmcnt(0)
	v_mad_i64_i32 v[36:37], s[8:9], v35, s42, v[18:19]
	v_lshl_add_u64 v[36:37], v[36:37], 0, v[16:17]
	global_load_ubyte v35, v[36:37], off
	global_load_ubyte v38, v[36:37], off offset:8
	global_load_ubyte v39, v[36:37], off offset:128
	;; [unrolled: 1-line block ×13, first 2 shown]
	s_waitcnt vmcnt(13)
	v_cvt_f32_fp8_sdwa v35, v35 src0_sel:BYTE_0
	s_waitcnt vmcnt(12)
	v_cvt_f32_fp8_sdwa v36, v38 src0_sel:BYTE_0
	;; [unrolled: 2-line block ×5, first 2 shown]
	s_waitcnt lgkmcnt(0)
	v_mul_f32_e32 v36, s43, v36
	s_waitcnt vmcnt(8)
	v_cvt_f32_fp8_sdwa v40, v42 src0_sel:BYTE_0
	v_mul_f32_e32 v35, s43, v35
	v_mul_f32_e32 v36, v3, v36
	s_waitcnt vmcnt(7)
	v_cvt_f32_fp8_sdwa v41, v43 src0_sel:BYTE_0
	v_mul_f32_e32 v37, s43, v37
	v_fmac_f32_e32 v36, v2, v35
	s_waitcnt vmcnt(6)
	v_cvt_f32_fp8_sdwa v42, v44 src0_sel:BYTE_0
	v_mul_f32_e32 v38, s43, v38
	v_fmac_f32_e32 v36, v4, v37
	;; [unrolled: 4-line block ×8, first 2 shown]
	v_mul_f32_e32 v45, s43, v45
	v_fmac_f32_e32 v36, v11, v44
	v_mul_f32_e32 v46, s43, v46
	v_fmac_f32_e32 v36, v12, v45
	;; [unrolled: 2-line block ×4, first 2 shown]
	v_fmac_f32_e32 v36, v21, v48
	ds_bpermute_b32 v35, v29, v36
	s_waitcnt lgkmcnt(0)
	v_add_f32_e32 v35, v36, v35
	ds_bpermute_b32 v36, v30, v35
	s_waitcnt lgkmcnt(0)
	v_add_f32_e32 v35, v35, v36
	ds_bpermute_b32 v36, v31, v35
	s_and_saveexec_b64 s[16:17], vcc
	s_cbranch_execz .LBB204_9
; %bb.11:                               ;   in Loop: Header=BB204_10 Depth=1
	v_add_u32_e32 v37, s44, v32
	v_cvt_f32_i32_e32 v37, v37
	s_waitcnt lgkmcnt(0)
	v_add_f32_e32 v35, v35, v36
	v_cmp_gt_i32_e64 s[8:9], s29, v32
	v_max_f32_e32 v36, v28, v28
	v_mul_f32_e32 v37, s41, v37
	v_cndmask_b32_e64 v37, 0, v37, s[0:1]
	v_fmac_f32_e32 v37, s11, v35
	v_cndmask_b32_e64 v35, 0, v37, s[8:9]
	ds_write_b32 v33, v35
	v_max_f32_e32 v35, v36, v37
	v_cndmask_b32_e64 v28, v28, v35, s[8:9]
	s_branch .LBB204_9
.LBB204_12:
	s_or_b64 exec, exec, s[14:15]
.LBB204_13:
	s_or_b64 exec, exec, s[38:39]
	v_xor_b32_e32 v2, 32, v26
	v_cmp_lt_i32_e32 vcc, v2, v27
	v_xor_b32_e32 v5, 16, v26
	v_max_f32_e32 v4, v28, v28
	v_cndmask_b32_e32 v2, v26, v2, vcc
	v_lshlrev_b32_e32 v3, 2, v2
	ds_bpermute_b32 v2, v3, v28
	v_cmp_lt_i32_e32 vcc, v5, v27
	v_xor_b32_e32 v6, 8, v26
	s_waitcnt lgkmcnt(0)
	v_max_f32_e32 v2, v2, v2
	v_max_f32_e32 v2, v4, v2
	v_cndmask_b32_e32 v4, v26, v5, vcc
	v_lshlrev_b32_e32 v7, 2, v4
	ds_bpermute_b32 v4, v7, v2
	v_cmp_lt_i32_e32 vcc, v6, v27
	s_waitcnt lgkmcnt(0)
	v_max_f32_e32 v4, v4, v4
	v_max_f32_e32 v5, v2, v4
	v_cndmask_b32_e32 v2, v26, v6, vcc
	v_lshlrev_b32_e32 v8, 2, v2
	ds_bpermute_b32 v6, v8, v5
	v_and_b32_e32 v4, 63, v0
	v_cmp_eq_u32_e32 vcc, 0, v4
	v_lshlrev_b32_e32 v2, 2, v25
	s_and_saveexec_b64 s[0:1], vcc
	s_cbranch_execz .LBB204_15
; %bb.14:
	s_waitcnt lgkmcnt(0)
	v_max_f32_e32 v6, v6, v6
	v_max_f32_e32 v5, v5, v5
	;; [unrolled: 1-line block ×3, first 2 shown]
	ds_write_b32 v2, v5 offset:448
.LBB204_15:
	s_or_b64 exec, exec, s[0:1]
	v_cmp_gt_u32_e64 s[0:1], 2, v4
	v_mov_b32_e32 v5, 0xff7fffff
	s_waitcnt lgkmcnt(0)
	v_lshlrev_b32_e32 v6, 2, v4
	s_barrier
	s_and_saveexec_b64 s[8:9], s[0:1]
	s_cbranch_execz .LBB204_17
; %bb.16:
	ds_read_b32 v5, v6 offset:448
.LBB204_17:
	s_or_b64 exec, exec, s[8:9]
	v_xor_b32_e32 v9, 1, v26
	v_cmp_lt_i32_e64 s[8:9], v9, v27
	v_mov_b32_e32 v10, 0
	s_nop 0
	v_cndmask_b32_e64 v9, v26, v9, s[8:9]
	v_lshlrev_b32_e32 v34, 2, v9
	s_waitcnt lgkmcnt(0)
	ds_bpermute_b32 v9, v34, v5
	v_max_f32_e32 v5, v5, v5
	s_sub_i32 s8, s33, s10
	s_lshl_b32 s8, s8, 3
	s_add_i32 s8, s8, s40
	s_waitcnt lgkmcnt(0)
	v_max_f32_e32 v9, v9, v9
	v_max_f32_e32 v5, v5, v9
	v_lshlrev_b32_e32 v9, 2, v26
	v_and_b32_e32 v9, 0xffffff00, v9
	ds_bpermute_b32 v5, v9, v5
	s_min_i32 s39, s8, s29
	s_sub_i32 s38, s39, s40
	v_cmp_gt_i32_e64 s[8:9], s38, v0
	s_and_saveexec_b64 s[14:15], s[8:9]
	s_cbranch_execz .LBB204_21
; %bb.18:
	v_mov_b32_e32 v10, 0x1d0
	v_lshl_add_u32 v11, v0, 2, v10
	s_mov_b64 s[16:17], 0
	v_mov_b32_e32 v10, 0
	v_mov_b32_e32 v12, v0
.LBB204_19:                             ; =>This Inner Loop Header: Depth=1
	ds_read_b32 v13, v11
	v_add_u32_e32 v12, 0x80, v12
	v_cmp_le_i32_e64 s[10:11], s38, v12
	s_or_b64 s[16:17], s[10:11], s[16:17]
	s_waitcnt lgkmcnt(0)
	v_sub_f32_e32 v13, v13, v5
	v_mul_f32_e32 v13, 0x3fb8aa3b, v13
	v_exp_f32_e32 v13, v13
	ds_write_b32 v11, v13
	v_add_f32_e32 v10, v10, v13
	v_add_u32_e32 v11, 0x200, v11
	s_andn2_b64 exec, exec, s[16:17]
	s_cbranch_execnz .LBB204_19
; %bb.20:
	s_or_b64 exec, exec, s[16:17]
.LBB204_21:
	s_or_b64 exec, exec, s[14:15]
	ds_bpermute_b32 v3, v3, v10
	s_waitcnt lgkmcnt(0)
	v_add_f32_e32 v3, v10, v3
	ds_bpermute_b32 v7, v7, v3
	s_waitcnt lgkmcnt(0)
	v_add_f32_e32 v3, v3, v7
	ds_bpermute_b32 v7, v8, v3
	v_xor_b32_e32 v8, 4, v26
	v_cmp_lt_i32_e64 s[10:11], v8, v27
	s_waitcnt lgkmcnt(0)
	v_add_f32_e32 v3, v3, v7
	v_cndmask_b32_e64 v8, v26, v8, s[10:11]
	v_lshlrev_b32_e32 v8, 2, v8
	ds_bpermute_b32 v7, v8, v3
	v_xor_b32_e32 v8, 2, v26
	v_cmp_lt_i32_e64 s[10:11], v8, v27
	s_waitcnt lgkmcnt(0)
	v_add_f32_e32 v3, v3, v7
	v_cndmask_b32_e64 v8, v26, v8, s[10:11]
	v_lshlrev_b32_e32 v7, 2, v8
	ds_bpermute_b32 v7, v7, v3
	s_waitcnt lgkmcnt(0)
	v_add_f32_e32 v3, v3, v7
	ds_bpermute_b32 v7, v34, v3
	s_waitcnt lgkmcnt(0)
	v_add_f32_e32 v3, v3, v7
	s_and_saveexec_b64 s[10:11], vcc
	s_cbranch_execz .LBB204_23
; %bb.22:
	ds_write_b32 v2, v3 offset:456
.LBB204_23:
	s_or_b64 exec, exec, s[10:11]
	s_waitcnt lgkmcnt(0)
	s_barrier
	s_and_saveexec_b64 s[10:11], s[0:1]
	s_cbranch_execz .LBB204_25
; %bb.24:
	ds_read_b32 v3, v6 offset:456
.LBB204_25:
	s_or_b64 exec, exec, s[10:11]
	s_waitcnt lgkmcnt(0)
	ds_bpermute_b32 v2, v34, v3
	s_waitcnt lgkmcnt(0)
	v_add_f32_e32 v2, v3, v2
	ds_bpermute_b32 v6, v9, v2
	s_and_saveexec_b64 s[0:1], s[8:9]
	s_cbranch_execz .LBB204_38
; %bb.26:
	s_waitcnt lgkmcnt(0)
	v_add_f32_e32 v2, 0x358637bd, v6
	v_div_scale_f32 v3, s[8:9], v2, v2, 1.0
	v_rcp_f32_e32 v7, v3
	v_div_scale_f32 v8, vcc, 1.0, v2, 1.0
	s_movk_i32 s8, 0x7f
	v_fma_f32 v9, -v3, v7, 1.0
	v_fmac_f32_e32 v7, v9, v7
	v_mul_f32_e32 v9, v8, v7
	v_fma_f32 v10, -v3, v9, v8
	v_fmac_f32_e32 v9, v10, v7
	v_fma_f32 v3, -v3, v9, v8
	v_div_fmas_f32 v3, v3, v7, v9
	v_div_fixup_f32 v2, v3, v2, 1.0
	v_xad_u32 v3, v0, -1, s39
	v_subrev_u32_e32 v7, s40, v3
	v_cmp_lt_u32_e32 vcc, s8, v7
	s_mov_b64 s[10:11], -1
	v_mov_b32_e32 v3, v0
	s_and_saveexec_b64 s[8:9], vcc
	s_cbranch_execz .LBB204_35
; %bb.27:
	v_lshrrev_b32_e32 v7, 7, v7
	v_add_u32_e32 v9, -1, v7
	v_lshrrev_b32_e32 v8, 1, v9
	v_mov_b32_e32 v3, v2
	v_add_u32_e32 v8, 1, v8
	v_cmp_lt_u32_e32 vcc, 13, v9
	v_mov_b32_e32 v11, 0
	s_and_saveexec_b64 s[10:11], vcc
	s_cbranch_execz .LBB204_31
; %bb.28:
	v_mov_b32_e32 v10, 0x1d0
	v_and_b32_e32 v9, -8, v8
	v_lshl_add_u32 v10, v0, 2, v10
	s_mov_b32 s16, 0
	s_mov_b64 s[14:15], 0
.LBB204_29:                             ; =>This Inner Loop Header: Depth=1
	ds_read2st64_b32 v[12:13], v10 offset1:2
	ds_read2st64_b32 v[16:17], v10 offset0:4 offset1:6
	ds_read2st64_b32 v[18:19], v10 offset0:8 offset1:10
	ds_read2st64_b32 v[20:21], v10 offset0:12 offset1:14
	v_add_u32_e32 v9, -8, v9
	s_waitcnt lgkmcnt(3)
	v_pk_mul_f32 v[12:13], v[2:3], v[12:13]
	s_waitcnt lgkmcnt(2)
	v_pk_mul_f32 v[16:17], v[2:3], v[16:17]
	ds_write2st64_b32 v10, v12, v13 offset1:2
	ds_write2st64_b32 v10, v16, v17 offset0:4 offset1:6
	ds_read2st64_b32 v[16:17], v10 offset0:16 offset1:18
	s_waitcnt lgkmcnt(4)
	v_pk_mul_f32 v[12:13], v[2:3], v[18:19]
	ds_write2st64_b32 v10, v12, v13 offset0:8 offset1:10
	s_waitcnt lgkmcnt(4)
	v_pk_mul_f32 v[12:13], v[2:3], v[20:21]
	ds_write2st64_b32 v10, v12, v13 offset0:12 offset1:14
	ds_read2st64_b32 v[12:13], v10 offset0:20 offset1:22
	s_waitcnt lgkmcnt(3)
	v_pk_mul_f32 v[16:17], v[2:3], v[16:17]
	ds_read2st64_b32 v[18:19], v10 offset0:24 offset1:26
	ds_write2st64_b32 v10, v16, v17 offset0:16 offset1:18
	ds_read2st64_b32 v[16:17], v10 offset0:28 offset1:30
	s_waitcnt lgkmcnt(3)
	v_pk_mul_f32 v[12:13], v[2:3], v[12:13]
	ds_write2st64_b32 v10, v12, v13 offset0:20 offset1:22
	s_waitcnt lgkmcnt(3)
	v_pk_mul_f32 v[12:13], v[2:3], v[18:19]
	ds_write2st64_b32 v10, v12, v13 offset0:24 offset1:26
	s_waitcnt lgkmcnt(2)
	v_pk_mul_f32 v[12:13], v[2:3], v[16:17]
	s_add_i32 s16, s16, 16
	v_cmp_eq_u32_e32 vcc, 0, v9
	ds_write2st64_b32 v10, v12, v13 offset0:28 offset1:30
	v_add_u32_e32 v10, 0x2000, v10
	s_or_b64 s[14:15], vcc, s[14:15]
	v_mov_b32_e32 v11, s16
	s_andn2_b64 exec, exec, s[14:15]
	s_cbranch_execnz .LBB204_29
; %bb.30:
	s_or_b64 exec, exec, s[14:15]
.LBB204_31:
	s_or_b64 exec, exec, s[10:11]
	v_and_b32_e32 v8, 7, v8
	v_cmp_ne_u32_e32 vcc, 0, v8
	s_and_saveexec_b64 s[10:11], vcc
	s_cbranch_execz .LBB204_34
; %bb.32:
	v_lshlrev_b32_e32 v9, 9, v11
	s_movk_i32 s14, 0x1d0
	v_add3_u32 v9, v9, v24, s14
	s_mov_b64 s[14:15], 0
.LBB204_33:                             ; =>This Inner Loop Header: Depth=1
	ds_read2st64_b32 v[10:11], v9 offset1:2
	v_add_u32_e32 v8, -1, v8
	v_cmp_eq_u32_e32 vcc, 0, v8
	s_or_b64 s[14:15], vcc, s[14:15]
	s_waitcnt lgkmcnt(0)
	v_pk_mul_f32 v[10:11], v[2:3], v[10:11]
	ds_write2st64_b32 v9, v10, v11 offset1:2
	v_add_u32_e32 v9, 0x400, v9
	s_andn2_b64 exec, exec, s[14:15]
	s_cbranch_execnz .LBB204_33
.LBB204_34:
	s_or_b64 exec, exec, s[10:11]
	v_add_u32_e32 v7, 1, v7
	v_and_b32_e32 v8, 0x3fffffe, v7
	v_cmp_ne_u32_e32 vcc, v7, v8
	v_lshl_add_u32 v3, v8, 7, v0
	s_orn2_b64 s[10:11], vcc, exec
.LBB204_35:
	s_or_b64 exec, exec, s[8:9]
	s_and_b64 exec, exec, s[10:11]
	s_cbranch_execz .LBB204_38
; %bb.36:
	v_mov_b32_e32 v7, 0x1d0
	v_lshl_add_u32 v7, v3, 2, v7
	s_mov_b64 s[8:9], 0
.LBB204_37:                             ; =>This Inner Loop Header: Depth=1
	ds_read_b32 v8, v7
	v_add_u32_e32 v3, 0x80, v3
	v_cmp_le_i32_e32 vcc, s38, v3
	s_or_b64 s[8:9], vcc, s[8:9]
	s_waitcnt lgkmcnt(0)
	v_mul_f32_e32 v8, v2, v8
	ds_write_b32 v7, v8
	v_add_u32_e32 v7, 0x200, v7
	s_andn2_b64 exec, exec, s[8:9]
	s_cbranch_execnz .LBB204_37
.LBB204_38:
	s_or_b64 exec, exec, s[0:1]
	s_mul_i32 s0, s25, s28
	v_cmp_eq_u32_e32 vcc, 0, v0
	s_mul_i32 s8, s0, s5
	s_waitcnt lgkmcnt(0)
	s_barrier
	s_and_saveexec_b64 s[0:1], vcc
	s_cbranch_execz .LBB204_40
; %bb.39:
	s_ashr_i32 s9, s8, 31
	s_lshl_b64 s[10:11], s[8:9], 2
	s_add_u32 s5, s22, s10
	s_mul_i32 s14, s25, s2
	s_addc_u32 s9, s23, s11
	s_ashr_i32 s15, s14, 31
	s_lshl_b64 s[14:15], s[14:15], 2
	s_add_u32 s2, s5, s14
	s_addc_u32 s9, s9, s15
	s_ashr_i32 s5, s4, 31
	s_lshl_b64 s[16:17], s[4:5], 2
	s_add_u32 s22, s2, s16
	s_addc_u32 s23, s9, s17
	s_add_u32 s2, s20, s10
	s_addc_u32 s5, s21, s11
	;; [unrolled: 2-line block ×3, first 2 shown]
	s_add_u32 s10, s2, s16
	v_mov_b32_e32 v2, 0
	s_addc_u32 s11, s5, s17
	global_store_dword v2, v5, s[22:23]
	global_store_dword v2, v6, s[10:11]
.LBB204_40:
	s_or_b64 exec, exec, s[0:1]
	v_mov_b32_e32 v7, 0
	v_lshrrev_b32_e32 v36, 1, v4
	v_and_b32_e32 v35, 1, v0
	v_mov_b32_e32 v6, v7
	v_mov_b32_e32 v9, v7
	;; [unrolled: 1-line block ×3, first 2 shown]
	s_and_saveexec_b64 s[10:11], s[6:7]
	s_cbranch_execz .LBB204_54
; %bb.41:
	s_ashr_i32 s1, s12, 31
	s_load_dword s6, s[18:19], 0x0
	v_and_b32_e32 v2, 4, v24
	s_add_u32 s0, s36, s12
	v_or_b32_e32 v3, 0x60, v36
	s_movk_i32 s2, 0x70
	s_addc_u32 s1, s37, s1
	s_add_i32 s9, s3, -1
	v_cmp_gt_u32_e32 vcc, s2, v3
	v_lshl_or_b32 v12, v3, 3, v2
	v_lshl_add_u32 v3, v25, 3, s40
	s_lshl_b64 s[2:3], s[34:35], 2
	v_lshl_or_b32 v10, v36, 3, v2
	v_add3_u32 v37, v3, v2, 3
	v_lshlrev_b32_e32 v2, 4, v35
	s_add_u32 s2, s30, s2
	v_mov_b32_e32 v11, 0
	v_lshl_or_b32 v2, v25, 5, v2
	s_addc_u32 s3, s31, s3
	s_mov_b32 s5, s13
	s_waitcnt lgkmcnt(0)
	s_mov_b32 s7, s6
	v_mov_b32_e32 v13, v11
	v_add_u32_e32 v38, 0x1d0, v2
	v_lshl_add_u64 v[16:17], v[14:15], 2, s[2:3]
	s_mov_b64 s[12:13], 0
	v_mov_b64_e32 v[18:19], s[0:1]
	v_mov_b32_e32 v8, v11
	v_mov_b32_e32 v9, v11
	;; [unrolled: 1-line block ×4, first 2 shown]
	s_branch .LBB204_44
.LBB204_42:                             ;   in Loop: Header=BB204_44 Depth=1
	s_or_b64 exec, exec, s[14:15]
	v_mul_f32_e32 v3, v3, v23
	v_fmac_f32_e32 v3, v2, v22
	v_fmac_f32_e32 v3, v4, v20
	;; [unrolled: 1-line block ×3, first 2 shown]
	v_add_f32_e32 v7, v7, v3
.LBB204_43:                             ;   in Loop: Header=BB204_44 Depth=1
	s_or_b64 exec, exec, s[2:3]
	v_add_u32_e32 v14, 2, v14
	v_cmp_le_i32_e64 s[0:1], s33, v14
	v_add_u32_e32 v37, 16, v37
	v_add_u32_e32 v38, 64, v38
	s_or_b64 s[12:13], s[0:1], s[12:13]
	v_lshl_add_u64 v[16:17], v[16:17], 0, 8
	s_andn2_b64 exec, exec, s[12:13]
	s_cbranch_execz .LBB204_53
.LBB204_44:                             ; =>This Inner Loop Header: Depth=1
	global_load_dword v2, v[16:17], off
	s_waitcnt vmcnt(0)
	v_mad_i64_i32 v[20:21], s[0:1], v2, s5, v[18:19]
	v_lshl_add_u64 v[28:29], v[20:21], 0, v[10:11]
	global_load_dword v15, v[28:29], off
	ds_read_b128 v[2:5], v38
	v_cmp_eq_u32_e64 s[0:1], s9, v14
	s_waitcnt vmcnt(0)
	v_and_b32_e32 v22, 0xffff, v15
	v_lshrrev_b32_e32 v15, 16, v15
	v_cvt_pk_f32_fp8_e32 v[22:23], v22
	v_cvt_pk_f32_fp8_e32 v[26:27], v15
	v_add_u32_e32 v15, -3, v37
	v_pk_mul_f32 v[24:25], s[6:7], v[22:23]
	v_pk_mul_f32 v[22:23], s[6:7], v[26:27]
	s_and_saveexec_b64 s[14:15], s[0:1]
; %bb.45:                               ;   in Loop: Header=BB204_44 Depth=1
	v_cmp_gt_i32_e64 s[2:3], s29, v15
	v_add_u32_e32 v26, -2, v37
	s_nop 0
	v_cndmask_b32_e64 v24, 0, v24, s[2:3]
	v_cmp_gt_i32_e64 s[2:3], s29, v26
	v_add_u32_e32 v26, -1, v37
	s_nop 0
	v_cndmask_b32_e64 v25, 0, v25, s[2:3]
	v_cmp_gt_i32_e64 s[2:3], s29, v26
	s_nop 1
	v_cndmask_b32_e64 v22, 0, v22, s[2:3]
	v_cmp_gt_i32_e64 s[2:3], s29, v37
	s_nop 1
	v_cndmask_b32_e64 v23, 0, v23, s[2:3]
; %bb.46:                               ;   in Loop: Header=BB204_44 Depth=1
	s_or_b64 exec, exec, s[14:15]
	global_load_dword v26, v[28:29], off offset:256
	s_waitcnt vmcnt(0)
	v_and_b32_e32 v27, 0xffff, v26
	v_lshrrev_b32_e32 v30, 16, v26
	v_cvt_pk_f32_fp8_e32 v[26:27], v27
	v_cvt_pk_f32_fp8_e32 v[32:33], v30
	v_pk_mul_f32 v[30:31], s[6:7], v[26:27]
	v_pk_mul_f32 v[26:27], s[6:7], v[32:33]
	s_and_saveexec_b64 s[14:15], s[0:1]
; %bb.47:                               ;   in Loop: Header=BB204_44 Depth=1
	v_cmp_gt_i32_e64 s[2:3], s29, v15
	v_add_u32_e32 v32, -2, v37
	s_nop 0
	v_cndmask_b32_e64 v30, 0, v30, s[2:3]
	v_cmp_gt_i32_e64 s[2:3], s29, v32
	v_add_u32_e32 v32, -1, v37
	s_nop 0
	v_cndmask_b32_e64 v31, 0, v31, s[2:3]
	v_cmp_gt_i32_e64 s[2:3], s29, v32
	s_nop 1
	v_cndmask_b32_e64 v26, 0, v26, s[2:3]
	v_cmp_gt_i32_e64 s[2:3], s29, v37
	s_nop 1
	v_cndmask_b32_e64 v27, 0, v27, s[2:3]
; %bb.48:                               ;   in Loop: Header=BB204_44 Depth=1
	s_or_b64 exec, exec, s[14:15]
	global_load_dword v28, v[28:29], off offset:512
	s_waitcnt vmcnt(0)
	v_and_b32_e32 v29, 0xffff, v28
	v_lshrrev_b32_e32 v32, 16, v28
	v_cvt_pk_f32_fp8_e32 v[28:29], v29
	v_cvt_pk_f32_fp8_e32 v[40:41], v32
	v_pk_mul_f32 v[32:33], s[6:7], v[28:29]
	v_pk_mul_f32 v[28:29], s[6:7], v[40:41]
	s_and_saveexec_b64 s[14:15], s[0:1]
; %bb.49:                               ;   in Loop: Header=BB204_44 Depth=1
	v_cmp_gt_i32_e64 s[2:3], s29, v15
	v_add_u32_e32 v39, -2, v37
	s_nop 0
	v_cndmask_b32_e64 v32, 0, v32, s[2:3]
	v_cmp_gt_i32_e64 s[2:3], s29, v39
	v_add_u32_e32 v39, -1, v37
	s_nop 0
	v_cndmask_b32_e64 v33, 0, v33, s[2:3]
	v_cmp_gt_i32_e64 s[2:3], s29, v39
	s_nop 1
	v_cndmask_b32_e64 v28, 0, v28, s[2:3]
	v_cmp_gt_i32_e64 s[2:3], s29, v37
	s_nop 1
	v_cndmask_b32_e64 v29, 0, v29, s[2:3]
; %bb.50:                               ;   in Loop: Header=BB204_44 Depth=1
	s_or_b64 exec, exec, s[14:15]
	s_waitcnt lgkmcnt(0)
	v_mul_f32_e32 v25, v3, v25
	v_fmac_f32_e32 v25, v2, v24
	v_fmac_f32_e32 v25, v4, v22
	v_mul_f32_e32 v22, v3, v31
	v_fmac_f32_e32 v22, v2, v30
	v_fmac_f32_e32 v22, v4, v26
	;; [unrolled: 1-line block ×3, first 2 shown]
	v_add_f32_e32 v9, v9, v22
	v_mul_f32_e32 v22, v3, v33
	v_fmac_f32_e32 v22, v2, v32
	v_fmac_f32_e32 v22, v4, v28
	;; [unrolled: 1-line block ×4, first 2 shown]
	v_add_f32_e32 v8, v8, v25
	v_add_f32_e32 v6, v6, v22
	s_and_saveexec_b64 s[2:3], vcc
	s_cbranch_execz .LBB204_43
; %bb.51:                               ;   in Loop: Header=BB204_44 Depth=1
	v_lshl_add_u64 v[20:21], v[20:21], 0, v[12:13]
	global_load_dword v20, v[20:21], off
	s_waitcnt vmcnt(0)
	v_and_b32_e32 v21, 0xffff, v20
	v_lshrrev_b32_e32 v22, 16, v20
	v_cvt_pk_f32_fp8_e32 v[20:21], v21
	v_cvt_pk_f32_fp8_e32 v[24:25], v22
	v_pk_mul_f32 v[22:23], s[6:7], v[20:21]
	v_pk_mul_f32 v[20:21], s[6:7], v[24:25]
	s_and_saveexec_b64 s[14:15], s[0:1]
	s_cbranch_execz .LBB204_42
; %bb.52:                               ;   in Loop: Header=BB204_44 Depth=1
	v_cmp_gt_i32_e64 s[0:1], s29, v15
	v_add_u32_e32 v15, -2, v37
	s_nop 0
	v_cndmask_b32_e64 v22, 0, v22, s[0:1]
	v_cmp_gt_i32_e64 s[0:1], s29, v15
	v_add_u32_e32 v15, -1, v37
	s_nop 0
	v_cndmask_b32_e64 v23, 0, v23, s[0:1]
	v_cmp_gt_i32_e64 s[0:1], s29, v15
	s_nop 1
	v_cndmask_b32_e64 v20, 0, v20, s[0:1]
	v_cmp_gt_i32_e64 s[0:1], s29, v37
	s_nop 1
	v_cndmask_b32_e64 v21, 0, v21, s[0:1]
	s_branch .LBB204_42
.LBB204_53:
	s_or_b64 exec, exec, s[12:13]
.LBB204_54:
	s_or_b64 exec, exec, s[10:11]
	ds_bpermute_b32 v2, v34, v8
	ds_bpermute_b32 v3, v34, v9
	;; [unrolled: 1-line block ×4, first 2 shown]
	s_waitcnt lgkmcnt(0)
	s_barrier
	v_pk_add_f32 v[4:5], v[8:9], v[2:3]
	v_pk_add_f32 v[2:3], v[6:7], v[10:11]
	v_and_b32_e32 v6, 0x3c0, v0
	v_cmp_eq_u32_e32 vcc, 64, v6
	s_and_saveexec_b64 s[2:3], vcc
	s_cbranch_execz .LBB204_59
; %bb.55:
	v_cmp_eq_u32_e32 vcc, 0, v35
	s_and_saveexec_b64 s[0:1], vcc
	s_cbranch_execz .LBB204_57
; %bb.56:
	v_mov_b32_e32 v6, 0x1d0
	v_lshl_add_u32 v6, v36, 2, v6
	ds_write2_b32 v6, v4, v5 offset1:32
	ds_write_b32 v6, v2 offset:256
.LBB204_57:
	s_or_b64 exec, exec, s[0:1]
	v_or_b32_e32 v6, 0x60, v36
	s_movk_i32 s0, 0x70
	v_cmp_gt_u32_e64 s[0:1], s0, v6
	s_and_b64 s[0:1], vcc, s[0:1]
	s_and_b64 exec, exec, s[0:1]
	s_cbranch_execz .LBB204_59
; %bb.58:
	v_mov_b32_e32 v6, 0x1d0
	v_lshl_add_u32 v6, v36, 2, v6
	ds_write_b32 v6, v3 offset:384
.LBB204_59:
	s_or_b64 exec, exec, s[2:3]
	v_cmp_gt_u32_e32 vcc, 64, v0
	s_waitcnt lgkmcnt(0)
	s_barrier
	s_and_saveexec_b64 s[6:7], vcc
	s_cbranch_execz .LBB204_67
; %bb.60:
	v_cmp_eq_u32_e64 s[0:1], 0, v35
	s_and_saveexec_b64 s[2:3], s[0:1]
	s_cbranch_execnz .LBB204_73
; %bb.61:
	s_or_b64 exec, exec, s[2:3]
	s_and_saveexec_b64 s[2:3], s[0:1]
	s_cbranch_execnz .LBB204_74
.LBB204_62:
	s_or_b64 exec, exec, s[2:3]
	s_and_saveexec_b64 s[2:3], s[0:1]
	s_cbranch_execz .LBB204_64
.LBB204_63:
	v_mov_b32_e32 v0, 0x1d0
	v_lshl_add_u32 v0, v1, 2, v0
	ds_read_b32 v0, v0 offset:256
	s_waitcnt lgkmcnt(0)
	v_add_f32_e32 v2, v2, v0
.LBB204_64:
	s_or_b64 exec, exec, s[2:3]
	v_or_b32_e32 v0, 0x60, v1
	s_movk_i32 s2, 0x70
	v_cmp_gt_u32_e64 s[2:3], s2, v0
	s_and_b64 s[2:3], s[0:1], s[2:3]
	s_and_saveexec_b64 s[0:1], s[2:3]
	s_cbranch_execz .LBB204_66
; %bb.65:
	v_mov_b32_e32 v0, 0x1d0
	v_lshl_add_u32 v0, v1, 2, v0
	ds_read_b32 v0, v0 offset:384
	s_waitcnt lgkmcnt(0)
	v_add_f32_e32 v3, v3, v0
.LBB204_66:
	s_or_b64 exec, exec, s[0:1]
.LBB204_67:
	s_or_b64 exec, exec, s[6:7]
	s_barrier
	s_and_saveexec_b64 s[0:1], vcc
	s_cbranch_execz .LBB204_72
; %bb.68:
	s_mul_i32 s0, s8, 0x70
	s_ashr_i32 s1, s0, 31
	s_lshl_b64 s[0:1], s[0:1], 2
	s_add_u32 s2, s26, s0
	s_mul_i32 s0, s25, s24
	s_addc_u32 s3, s27, s1
	s_ashr_i32 s1, s0, 31
	s_lshl_b64 s[0:1], s[0:1], 2
	s_add_u32 s2, s2, s0
	s_mul_i32 s0, s4, 0x70
	s_addc_u32 s3, s3, s1
	s_ashr_i32 s1, s0, 31
	s_lshl_b64 s[0:1], s[0:1], 2
	s_add_u32 s2, s2, s0
	s_movk_i32 s5, 0x70
	s_addc_u32 s3, s3, s1
	v_cmp_eq_u32_e32 vcc, 0, v35
	v_lshlrev_b32_e32 v0, 2, v1
	s_and_saveexec_b64 s[0:1], vcc
	s_cbranch_execz .LBB204_70
; %bb.69:
	global_store_dword v0, v4, s[2:3]
	global_store_dword v0, v5, s[2:3] offset:128
	global_store_dword v0, v2, s[2:3] offset:256
.LBB204_70:
	s_or_b64 exec, exec, s[0:1]
	v_or_b32_e32 v1, 0x60, v1
	v_cmp_gt_u32_e64 s[0:1], s5, v1
	s_and_b64 s[0:1], vcc, s[0:1]
	s_and_b64 exec, exec, s[0:1]
	s_cbranch_execz .LBB204_72
; %bb.71:
	global_store_dword v0, v3, s[2:3] offset:384
.LBB204_72:
	s_endpgm
.LBB204_73:
	v_mov_b32_e32 v0, 0x1d0
	v_lshl_add_u32 v0, v1, 2, v0
	ds_read_b32 v0, v0
	s_waitcnt lgkmcnt(0)
	v_add_f32_e32 v4, v4, v0
	s_or_b64 exec, exec, s[2:3]
	s_and_saveexec_b64 s[2:3], s[0:1]
	s_cbranch_execz .LBB204_62
.LBB204_74:
	v_mov_b32_e32 v0, 0x1d0
	v_lshl_add_u32 v0, v1, 2, v0
	ds_read_b32 v0, v0 offset:128
	s_waitcnt lgkmcnt(0)
	v_add_f32_e32 v5, v5, v0
	s_or_b64 exec, exec, s[2:3]
	s_and_saveexec_b64 s[2:3], s[0:1]
	s_cbranch_execnz .LBB204_63
	s_branch .LBB204_64
	.section	.rodata,"a",@progbits
	.p2align	6, 0x0
	.amdhsa_kernel _ZN4vllm25paged_attention_v2_kernelIfhLi112ELi8ELi128ELNS_18Fp8KVCacheDataTypeE1ELb0ELi512EEEvPfS2_PT_PKS3_PKT0_S9_ifPKiSB_iPKfiiiSD_SD_iiiii
		.amdhsa_group_segment_fixed_size 464
		.amdhsa_private_segment_fixed_size 0
		.amdhsa_kernarg_size 400
		.amdhsa_user_sgpr_count 2
		.amdhsa_user_sgpr_dispatch_ptr 0
		.amdhsa_user_sgpr_queue_ptr 0
		.amdhsa_user_sgpr_kernarg_segment_ptr 1
		.amdhsa_user_sgpr_dispatch_id 0
		.amdhsa_user_sgpr_kernarg_preload_length 0
		.amdhsa_user_sgpr_kernarg_preload_offset 0
		.amdhsa_user_sgpr_private_segment_size 0
		.amdhsa_uses_dynamic_stack 0
		.amdhsa_enable_private_segment 0
		.amdhsa_system_sgpr_workgroup_id_x 1
		.amdhsa_system_sgpr_workgroup_id_y 1
		.amdhsa_system_sgpr_workgroup_id_z 1
		.amdhsa_system_sgpr_workgroup_info 0
		.amdhsa_system_vgpr_workitem_id 0
		.amdhsa_next_free_vgpr 51
		.amdhsa_next_free_sgpr 45
		.amdhsa_accum_offset 52
		.amdhsa_reserve_vcc 1
		.amdhsa_float_round_mode_32 0
		.amdhsa_float_round_mode_16_64 0
		.amdhsa_float_denorm_mode_32 3
		.amdhsa_float_denorm_mode_16_64 3
		.amdhsa_dx10_clamp 1
		.amdhsa_ieee_mode 1
		.amdhsa_fp16_overflow 0
		.amdhsa_tg_split 0
		.amdhsa_exception_fp_ieee_invalid_op 0
		.amdhsa_exception_fp_denorm_src 0
		.amdhsa_exception_fp_ieee_div_zero 0
		.amdhsa_exception_fp_ieee_overflow 0
		.amdhsa_exception_fp_ieee_underflow 0
		.amdhsa_exception_fp_ieee_inexact 0
		.amdhsa_exception_int_div_zero 0
	.end_amdhsa_kernel
	.section	.text._ZN4vllm25paged_attention_v2_kernelIfhLi112ELi8ELi128ELNS_18Fp8KVCacheDataTypeE1ELb0ELi512EEEvPfS2_PT_PKS3_PKT0_S9_ifPKiSB_iPKfiiiSD_SD_iiiii,"axG",@progbits,_ZN4vllm25paged_attention_v2_kernelIfhLi112ELi8ELi128ELNS_18Fp8KVCacheDataTypeE1ELb0ELi512EEEvPfS2_PT_PKS3_PKT0_S9_ifPKiSB_iPKfiiiSD_SD_iiiii,comdat
.Lfunc_end204:
	.size	_ZN4vllm25paged_attention_v2_kernelIfhLi112ELi8ELi128ELNS_18Fp8KVCacheDataTypeE1ELb0ELi512EEEvPfS2_PT_PKS3_PKT0_S9_ifPKiSB_iPKfiiiSD_SD_iiiii, .Lfunc_end204-_ZN4vllm25paged_attention_v2_kernelIfhLi112ELi8ELi128ELNS_18Fp8KVCacheDataTypeE1ELb0ELi512EEEvPfS2_PT_PKS3_PKT0_S9_ifPKiSB_iPKfiiiSD_SD_iiiii
                                        ; -- End function
	.section	.AMDGPU.csdata,"",@progbits
; Kernel info:
; codeLenInByte = 4580
; NumSgprs: 51
; NumVgprs: 51
; NumAgprs: 0
; TotalNumVgprs: 51
; ScratchSize: 0
; MemoryBound: 0
; FloatMode: 240
; IeeeMode: 1
; LDSByteSize: 464 bytes/workgroup (compile time only)
; SGPRBlocks: 6
; VGPRBlocks: 6
; NumSGPRsForWavesPerEU: 51
; NumVGPRsForWavesPerEU: 51
; AccumOffset: 52
; Occupancy: 8
; WaveLimiterHint : 1
; COMPUTE_PGM_RSRC2:SCRATCH_EN: 0
; COMPUTE_PGM_RSRC2:USER_SGPR: 2
; COMPUTE_PGM_RSRC2:TRAP_HANDLER: 0
; COMPUTE_PGM_RSRC2:TGID_X_EN: 1
; COMPUTE_PGM_RSRC2:TGID_Y_EN: 1
; COMPUTE_PGM_RSRC2:TGID_Z_EN: 1
; COMPUTE_PGM_RSRC2:TIDIG_COMP_CNT: 0
; COMPUTE_PGM_RSRC3_GFX90A:ACCUM_OFFSET: 12
; COMPUTE_PGM_RSRC3_GFX90A:TG_SPLIT: 0
	.section	.text._ZN4vllm25paged_attention_v2_kernelIfhLi120ELi8ELi128ELNS_18Fp8KVCacheDataTypeE1ELb0ELi512EEEvPfS2_PT_PKS3_PKT0_S9_ifPKiSB_iPKfiiiSD_SD_iiiii,"axG",@progbits,_ZN4vllm25paged_attention_v2_kernelIfhLi120ELi8ELi128ELNS_18Fp8KVCacheDataTypeE1ELb0ELi512EEEvPfS2_PT_PKS3_PKT0_S9_ifPKiSB_iPKfiiiSD_SD_iiiii,comdat
	.protected	_ZN4vllm25paged_attention_v2_kernelIfhLi120ELi8ELi128ELNS_18Fp8KVCacheDataTypeE1ELb0ELi512EEEvPfS2_PT_PKS3_PKT0_S9_ifPKiSB_iPKfiiiSD_SD_iiiii ; -- Begin function _ZN4vllm25paged_attention_v2_kernelIfhLi120ELi8ELi128ELNS_18Fp8KVCacheDataTypeE1ELb0ELi512EEEvPfS2_PT_PKS3_PKT0_S9_ifPKiSB_iPKfiiiSD_SD_iiiii
	.globl	_ZN4vllm25paged_attention_v2_kernelIfhLi120ELi8ELi128ELNS_18Fp8KVCacheDataTypeE1ELb0ELi512EEEvPfS2_PT_PKS3_PKT0_S9_ifPKiSB_iPKfiiiSD_SD_iiiii
	.p2align	8
	.type	_ZN4vllm25paged_attention_v2_kernelIfhLi120ELi8ELi128ELNS_18Fp8KVCacheDataTypeE1ELb0ELi512EEEvPfS2_PT_PKS3_PKT0_S9_ifPKiSB_iPKfiiiSD_SD_iiiii,@function
_ZN4vllm25paged_attention_v2_kernelIfhLi120ELi8ELi128ELNS_18Fp8KVCacheDataTypeE1ELb0ELi512EEEvPfS2_PT_PKS3_PKT0_S9_ifPKiSB_iPKfiiiSD_SD_iiiii: ; @_ZN4vllm25paged_attention_v2_kernelIfhLi120ELi8ELi128ELNS_18Fp8KVCacheDataTypeE1ELb0ELi512EEEvPfS2_PT_PKS3_PKT0_S9_ifPKiSB_iPKfiiiSD_SD_iiiii
; %bb.0:
	s_load_dwordx2 s[6:7], s[0:1], 0x40
	s_mov_b32 s28, s3
	s_ashr_i32 s29, s3, 31
	s_lshl_b64 s[8:9], s[28:29], 2
	s_waitcnt lgkmcnt(0)
	s_add_u32 s6, s6, s8
	s_addc_u32 s7, s7, s9
	s_load_dword s29, s[6:7], 0x0
	s_lshl_b32 s40, s4, 9
	s_waitcnt lgkmcnt(0)
	s_cmp_ge_i32 s40, s29
	s_cbranch_scc1 .LBB205_72
; %bb.1:
	s_load_dword s5, s[0:1], 0x90
	s_load_dwordx2 s[10:11], s[0:1], 0x30
	s_mov_b32 s41, 0
	s_waitcnt lgkmcnt(0)
	s_abs_i32 s7, s5
	s_abs_i32 s3, s10
	v_cvt_f32_u32_e32 v1, s3
	s_sub_i32 s8, 0, s3
	s_xor_b32 s6, s5, s10
	s_ashr_i32 s6, s6, 31
	v_rcp_iflag_f32_e32 v1, v1
	s_nop 0
	v_mul_f32_e32 v1, 0x4f7ffffe, v1
	v_cvt_u32_f32_e32 v1, v1
	s_nop 0
	v_readfirstlane_b32 s9, v1
	s_mul_i32 s8, s8, s9
	s_mul_hi_u32 s8, s9, s8
	s_add_i32 s9, s9, s8
	s_mul_hi_u32 s8, s7, s9
	s_mul_i32 s9, s8, s3
	s_sub_i32 s7, s7, s9
	s_add_i32 s10, s8, 1
	s_sub_i32 s9, s7, s3
	s_cmp_ge_u32 s7, s3
	s_cselect_b32 s8, s10, s8
	s_cselect_b32 s7, s9, s7
	s_add_i32 s9, s8, 1
	s_cmp_ge_u32 s7, s3
	s_cselect_b32 s3, s9, s8
	s_xor_b32 s3, s3, s6
	s_sub_i32 s10, s3, s6
	s_abs_i32 s8, s10
	v_cvt_f32_u32_e32 v1, s8
	s_load_dwordx2 s[6:7], s[0:1], 0x50
	s_sub_i32 s3, 0, s8
	s_abs_i32 s9, s2
	v_rcp_iflag_f32_e32 v1, v1
	s_nop 0
	v_mul_f32_e32 v1, 0x4f7ffffe, v1
	v_cvt_u32_f32_e32 v1, v1
	s_nop 0
	v_readfirstlane_b32 s12, v1
	s_mul_i32 s3, s3, s12
	s_mul_hi_u32 s3, s12, s3
	s_add_i32 s12, s12, s3
	s_waitcnt lgkmcnt(0)
	s_cmp_eq_u64 s[6:7], 0
	s_mul_hi_u32 s16, s9, s12
	s_cbranch_scc1 .LBB205_3
; %bb.2:
	s_ashr_i32 s3, s2, 31
	s_lshl_b64 s[12:13], s[2:3], 2
	s_add_u32 s6, s6, s12
	s_addc_u32 s7, s7, s13
	s_load_dword s41, s[6:7], 0x0
.LBB205_3:
	s_load_dwordx4 s[12:15], s[0:1], 0x58
	s_movk_i32 s3, 0x78
	s_ashr_i32 s17, s2, 31
	s_ashr_i32 s18, s10, 31
	v_and_b32_e32 v2, 7, v0
	s_mul_i32 s24, s2, 0x78
	v_cmp_gt_u32_e32 vcc, s3, v0
	v_lshlrev_b32_e32 v24, 2, v0
	v_lshrrev_b32_e32 v1, 1, v0
	s_and_saveexec_b64 s[6:7], vcc
	s_cbranch_execz .LBB205_5
; %bb.4:
	s_load_dwordx2 s[20:21], s[0:1], 0x18
	s_waitcnt lgkmcnt(0)
	s_mul_i32 s22, s28, s12
	s_ashr_i32 s23, s22, 31
	s_lshl_b64 s[22:23], s[22:23], 2
	v_and_b32_e32 v4, 0x1fc, v1
	s_add_u32 s3, s20, s22
	s_addc_u32 s10, s21, s23
	s_ashr_i32 s25, s24, 31
	s_lshl_b64 s[20:21], s[24:25], 2
	s_add_u32 s20, s3, s20
	s_addc_u32 s21, s10, s21
	global_load_dword v3, v24, s[20:21]
	v_mad_u32_u24 v4, v2, 60, v4
	s_waitcnt vmcnt(0)
	ds_write_b32 v4, v3
.LBB205_5:
	s_or_b64 exec, exec, s[6:7]
	s_add_i32 s3, s29, 7
	s_ashr_i32 s6, s3, 31
	s_lshr_b32 s6, s6, 29
	s_add_i32 s3, s3, s6
	s_lshl_b32 s10, s4, 6
	s_mul_i32 s7, s16, s8
	s_ashr_i32 s3, s3, 3
	s_add_i32 s6, s10, 64
	s_sub_i32 s7, s9, s7
	s_min_i32 s33, s6, s3
	s_xor_b32 s6, s17, s18
	s_add_i32 s9, s16, 1
	s_waitcnt lgkmcnt(0)
	s_sub_i32 s12, s7, s8
	s_cmp_ge_u32 s7, s8
	s_cselect_b32 s9, s9, s16
	s_cselect_b32 s7, s12, s7
	s_add_i32 s12, s9, 1
	s_cmp_ge_u32 s7, s8
	s_load_dwordx2 s[30:31], s[0:1], 0x38
	s_load_dword s8, s[0:1], 0x48
	v_lshrrev_b32_e32 v25, 6, v0
	s_cselect_b32 s7, s12, s9
	s_xor_b32 s7, s7, s6
	v_or_b32_e32 v6, s10, v25
	s_waitcnt lgkmcnt(0)
	s_mul_i32 s34, s28, s8
	s_sub_i32 s12, s7, s6
	s_ashr_i32 s35, s34, 31
	v_cmp_gt_i32_e64 s[6:7], s33, v6
	v_cmp_le_i32_e32 vcc, s33, v6
	v_mbcnt_lo_u32_b32 v3, -1, 0
	s_barrier
	s_waitcnt lgkmcnt(0)
                                        ; implicit-def: $sgpr15
                                        ; implicit-def: $vgpr26
                                        ; implicit-def: $vgpr27
	s_and_saveexec_b64 s[8:9], vcc
	s_xor_b64 s[8:9], exec, s[8:9]
; %bb.6:
	v_mbcnt_hi_u32_b32 v26, -1, v3
	v_and_b32_e32 v2, 64, v26
	v_add_u32_e32 v27, 64, v2
	s_mov_b32 s15, 0xff7fffff
                                        ; implicit-def: $vgpr2
                                        ; implicit-def: $vgpr3
; %bb.7:
	s_or_saveexec_b64 s[38:39], s[8:9]
	s_load_dwordx4 s[20:23], s[0:1], 0x0
	s_load_dwordx2 s[26:27], s[0:1], 0x10
	s_load_dword s25, s[0:1], 0x98
	s_load_dwordx2 s[36:37], s[0:1], 0x28
	s_load_dwordx4 s[16:19], s[0:1], 0x68
	v_mov_b32_e32 v29, s15
	s_mul_i32 s12, s12, s14
	v_ashrrev_i32_e32 v7, 31, v6
	s_xor_b64 exec, exec, s[38:39]
	s_cbranch_execz .LBB205_13
; %bb.8:
	s_load_dwordx2 s[0:1], s[0:1], 0x20
	s_ashr_i32 s8, s12, 31
	v_bfe_u32 v29, v0, 3, 3
	v_lshlrev_b32_e32 v22, 4, v29
	v_mov_b32_e32 v23, 0
	s_waitcnt lgkmcnt(0)
	s_add_u32 s0, s0, s12
	s_addc_u32 s1, s1, s8
	v_lshl_add_u64 v[4:5], s[0:1], 0, v[22:23]
	v_mul_u32_u24_e32 v22, 60, v2
	v_mbcnt_hi_u32_b32 v26, -1, v3
	ds_read2_b32 v[8:9], v22 offset1:1
	ds_read2_b32 v[10:11], v22 offset0:2 offset1:3
	ds_read2_b32 v[12:13], v22 offset0:4 offset1:5
	;; [unrolled: 1-line block ×6, first 2 shown]
	ds_read_b32 v28, v22 offset:56
	v_and_b32_e32 v3, 64, v26
	v_add_u32_e32 v27, 64, v3
	v_xor_b32_e32 v3, 4, v26
	v_cmp_lt_i32_e32 vcc, v3, v27
	s_load_dword s43, s[16:17], 0x0
	s_sub_i32 s44, 1, s29
	v_cndmask_b32_e32 v3, v26, v3, vcc
	v_lshlrev_b32_e32 v30, 2, v3
	v_xor_b32_e32 v3, 2, v26
	v_cmp_lt_i32_e32 vcc, v3, v27
	v_lshlrev_b32_e32 v22, 3, v25
	s_lshl_b64 s[8:9], s[34:35], 2
	v_cndmask_b32_e32 v3, v26, v3, vcc
	v_lshlrev_b32_e32 v31, 2, v3
	v_xor_b32_e32 v3, 1, v26
	v_cmp_lt_i32_e32 vcc, v3, v27
	v_add3_u32 v33, s40, v22, v29
	v_lshlrev_b32_e32 v22, 2, v29
	s_add_u32 s8, s30, s8
	v_cndmask_b32_e32 v3, v26, v3, vcc
	v_lshl_or_b32 v22, v25, 5, v22
	s_addc_u32 s9, s31, s9
	s_mov_b32 s42, s13
	v_lshlrev_b32_e32 v32, 2, v3
	v_cmp_eq_u32_e32 vcc, 0, v2
	v_cmp_neq_f32_e64 s[0:1], s41, 0
	v_mov_b32_e32 v3, v23
	v_add_u32_e32 v34, 0x1f0, v22
	v_lshl_add_u64 v[22:23], v[6:7], 2, s[8:9]
	s_mov_b64 s[14:15], 0
	v_mov_b32_e32 v29, 0xff7fffff
	v_mov_b32_e32 v35, v6
	s_branch .LBB205_10
.LBB205_9:                              ;   in Loop: Header=BB205_10 Depth=1
	s_or_b64 exec, exec, s[16:17]
	v_add_u32_e32 v35, 2, v35
	v_cmp_le_i32_e64 s[8:9], s33, v35
	v_add_u32_e32 v33, 16, v33
	v_add_u32_e32 v34, 64, v34
	s_or_b64 s[14:15], s[8:9], s[14:15]
	v_lshl_add_u64 v[22:23], v[22:23], 0, 8
	s_andn2_b64 exec, exec, s[14:15]
	s_cbranch_execz .LBB205_12
.LBB205_10:                             ; =>This Inner Loop Header: Depth=1
	global_load_dword v36, v[22:23], off
	s_waitcnt vmcnt(0) lgkmcnt(0)
	v_mad_i64_i32 v[36:37], s[8:9], v36, s42, v[4:5]
	v_lshl_add_u64 v[36:37], v[36:37], 0, v[2:3]
	global_load_ubyte v38, v[36:37], off
	global_load_ubyte v39, v[36:37], off offset:8
	global_load_ubyte v40, v[36:37], off offset:128
	;; [unrolled: 1-line block ×14, first 2 shown]
	s_waitcnt vmcnt(14)
	v_cvt_f32_fp8_sdwa v36, v38 src0_sel:BYTE_0
	s_waitcnt vmcnt(13)
	v_cvt_f32_fp8_sdwa v37, v39 src0_sel:BYTE_0
	;; [unrolled: 2-line block ×5, first 2 shown]
	s_waitcnt lgkmcnt(0)
	v_mul_f32_e32 v37, s43, v37
	s_waitcnt vmcnt(9)
	v_cvt_f32_fp8_sdwa v41, v43 src0_sel:BYTE_0
	v_mul_f32_e32 v36, s43, v36
	v_mul_f32_e32 v37, v9, v37
	s_waitcnt vmcnt(8)
	v_cvt_f32_fp8_sdwa v42, v44 src0_sel:BYTE_0
	v_mul_f32_e32 v38, s43, v38
	v_fmac_f32_e32 v37, v8, v36
	s_waitcnt vmcnt(7)
	v_cvt_f32_fp8_sdwa v43, v45 src0_sel:BYTE_0
	v_mul_f32_e32 v39, s43, v39
	v_fmac_f32_e32 v37, v10, v38
	;; [unrolled: 4-line block ×9, first 2 shown]
	v_mul_f32_e32 v47, s43, v47
	v_fmac_f32_e32 v37, v18, v46
	v_mul_f32_e32 v48, s43, v48
	v_fmac_f32_e32 v37, v19, v47
	;; [unrolled: 2-line block ×4, first 2 shown]
	v_fmac_f32_e32 v37, v28, v50
	ds_bpermute_b32 v36, v30, v37
	s_waitcnt lgkmcnt(0)
	v_add_f32_e32 v36, v37, v36
	ds_bpermute_b32 v37, v31, v36
	s_waitcnt lgkmcnt(0)
	v_add_f32_e32 v36, v36, v37
	ds_bpermute_b32 v37, v32, v36
	s_and_saveexec_b64 s[16:17], vcc
	s_cbranch_execz .LBB205_9
; %bb.11:                               ;   in Loop: Header=BB205_10 Depth=1
	v_add_u32_e32 v38, s44, v33
	v_cvt_f32_i32_e32 v38, v38
	s_waitcnt lgkmcnt(0)
	v_add_f32_e32 v36, v36, v37
	v_cmp_gt_i32_e64 s[8:9], s29, v33
	v_max_f32_e32 v37, v29, v29
	v_mul_f32_e32 v38, s41, v38
	v_cndmask_b32_e64 v38, 0, v38, s[0:1]
	v_fmac_f32_e32 v38, s11, v36
	v_cndmask_b32_e64 v36, 0, v38, s[8:9]
	ds_write_b32 v34, v36
	v_max_f32_e32 v36, v37, v38
	v_cndmask_b32_e64 v29, v29, v36, s[8:9]
	s_branch .LBB205_9
.LBB205_12:
	s_or_b64 exec, exec, s[14:15]
.LBB205_13:
	s_or_b64 exec, exec, s[38:39]
	v_xor_b32_e32 v2, 32, v26
	v_cmp_lt_i32_e32 vcc, v2, v27
	v_xor_b32_e32 v5, 16, v26
	v_max_f32_e32 v4, v29, v29
	v_cndmask_b32_e32 v2, v26, v2, vcc
	v_lshlrev_b32_e32 v3, 2, v2
	ds_bpermute_b32 v2, v3, v29
	v_cmp_lt_i32_e32 vcc, v5, v27
	v_xor_b32_e32 v8, 8, v26
	s_waitcnt lgkmcnt(0)
	v_max_f32_e32 v2, v2, v2
	v_max_f32_e32 v2, v4, v2
	v_cndmask_b32_e32 v4, v26, v5, vcc
	v_lshlrev_b32_e32 v9, 2, v4
	ds_bpermute_b32 v4, v9, v2
	v_cmp_lt_i32_e32 vcc, v8, v27
	s_waitcnt lgkmcnt(0)
	v_max_f32_e32 v4, v4, v4
	v_max_f32_e32 v5, v2, v4
	v_cndmask_b32_e32 v2, v26, v8, vcc
	v_lshlrev_b32_e32 v10, 2, v2
	ds_bpermute_b32 v8, v10, v5
	v_and_b32_e32 v4, 63, v0
	v_cmp_eq_u32_e32 vcc, 0, v4
	v_lshlrev_b32_e32 v2, 2, v25
	s_and_saveexec_b64 s[0:1], vcc
	s_cbranch_execz .LBB205_15
; %bb.14:
	s_waitcnt lgkmcnt(0)
	v_max_f32_e32 v8, v8, v8
	v_max_f32_e32 v5, v5, v5
	;; [unrolled: 1-line block ×3, first 2 shown]
	ds_write_b32 v2, v5 offset:480
.LBB205_15:
	s_or_b64 exec, exec, s[0:1]
	v_cmp_gt_u32_e64 s[0:1], 2, v4
	v_mov_b32_e32 v5, 0xff7fffff
	s_waitcnt lgkmcnt(0)
	v_lshlrev_b32_e32 v8, 2, v4
	s_barrier
	s_and_saveexec_b64 s[8:9], s[0:1]
	s_cbranch_execz .LBB205_17
; %bb.16:
	ds_read_b32 v5, v8 offset:480
.LBB205_17:
	s_or_b64 exec, exec, s[8:9]
	v_xor_b32_e32 v11, 1, v26
	v_cmp_lt_i32_e64 s[8:9], v11, v27
	v_mov_b32_e32 v12, 0
	s_nop 0
	v_cndmask_b32_e64 v11, v26, v11, s[8:9]
	v_lshlrev_b32_e32 v34, 2, v11
	s_waitcnt lgkmcnt(0)
	ds_bpermute_b32 v11, v34, v5
	v_max_f32_e32 v5, v5, v5
	s_sub_i32 s8, s33, s10
	s_lshl_b32 s8, s8, 3
	s_add_i32 s8, s8, s40
	s_waitcnt lgkmcnt(0)
	v_max_f32_e32 v11, v11, v11
	v_max_f32_e32 v5, v5, v11
	v_lshlrev_b32_e32 v11, 2, v26
	v_and_b32_e32 v11, 0xffffff00, v11
	ds_bpermute_b32 v5, v11, v5
	s_min_i32 s39, s8, s29
	s_sub_i32 s38, s39, s40
	v_cmp_gt_i32_e64 s[8:9], s38, v0
	s_and_saveexec_b64 s[14:15], s[8:9]
	s_cbranch_execz .LBB205_21
; %bb.18:
	v_mov_b32_e32 v12, 0x1f0
	v_lshl_add_u32 v13, v0, 2, v12
	s_mov_b64 s[16:17], 0
	v_mov_b32_e32 v12, 0
	v_mov_b32_e32 v14, v0
.LBB205_19:                             ; =>This Inner Loop Header: Depth=1
	ds_read_b32 v15, v13
	v_add_u32_e32 v14, 0x80, v14
	v_cmp_le_i32_e64 s[10:11], s38, v14
	s_or_b64 s[16:17], s[10:11], s[16:17]
	s_waitcnt lgkmcnt(0)
	v_sub_f32_e32 v15, v15, v5
	v_mul_f32_e32 v15, 0x3fb8aa3b, v15
	v_exp_f32_e32 v15, v15
	ds_write_b32 v13, v15
	v_add_f32_e32 v12, v12, v15
	v_add_u32_e32 v13, 0x200, v13
	s_andn2_b64 exec, exec, s[16:17]
	s_cbranch_execnz .LBB205_19
; %bb.20:
	s_or_b64 exec, exec, s[16:17]
.LBB205_21:
	s_or_b64 exec, exec, s[14:15]
	ds_bpermute_b32 v3, v3, v12
	s_waitcnt lgkmcnt(0)
	v_add_f32_e32 v3, v12, v3
	ds_bpermute_b32 v9, v9, v3
	s_waitcnt lgkmcnt(0)
	v_add_f32_e32 v3, v3, v9
	ds_bpermute_b32 v9, v10, v3
	v_xor_b32_e32 v10, 4, v26
	v_cmp_lt_i32_e64 s[10:11], v10, v27
	s_waitcnt lgkmcnt(0)
	v_add_f32_e32 v3, v3, v9
	v_cndmask_b32_e64 v10, v26, v10, s[10:11]
	v_lshlrev_b32_e32 v10, 2, v10
	ds_bpermute_b32 v9, v10, v3
	v_xor_b32_e32 v10, 2, v26
	v_cmp_lt_i32_e64 s[10:11], v10, v27
	s_waitcnt lgkmcnt(0)
	v_add_f32_e32 v3, v3, v9
	v_cndmask_b32_e64 v10, v26, v10, s[10:11]
	v_lshlrev_b32_e32 v9, 2, v10
	ds_bpermute_b32 v9, v9, v3
	s_waitcnt lgkmcnt(0)
	v_add_f32_e32 v3, v3, v9
	ds_bpermute_b32 v9, v34, v3
	s_waitcnt lgkmcnt(0)
	v_add_f32_e32 v3, v3, v9
	s_and_saveexec_b64 s[10:11], vcc
	s_cbranch_execz .LBB205_23
; %bb.22:
	ds_write_b32 v2, v3 offset:488
.LBB205_23:
	s_or_b64 exec, exec, s[10:11]
	s_waitcnt lgkmcnt(0)
	s_barrier
	s_and_saveexec_b64 s[10:11], s[0:1]
	s_cbranch_execz .LBB205_25
; %bb.24:
	ds_read_b32 v3, v8 offset:488
.LBB205_25:
	s_or_b64 exec, exec, s[10:11]
	s_waitcnt lgkmcnt(0)
	ds_bpermute_b32 v2, v34, v3
	s_waitcnt lgkmcnt(0)
	v_add_f32_e32 v2, v3, v2
	ds_bpermute_b32 v8, v11, v2
	s_and_saveexec_b64 s[0:1], s[8:9]
	s_cbranch_execz .LBB205_38
; %bb.26:
	s_waitcnt lgkmcnt(0)
	v_add_f32_e32 v2, 0x358637bd, v8
	v_div_scale_f32 v3, s[8:9], v2, v2, 1.0
	v_rcp_f32_e32 v9, v3
	v_div_scale_f32 v10, vcc, 1.0, v2, 1.0
	s_movk_i32 s8, 0x7f
	v_fma_f32 v11, -v3, v9, 1.0
	v_fmac_f32_e32 v9, v11, v9
	v_mul_f32_e32 v11, v10, v9
	v_fma_f32 v12, -v3, v11, v10
	v_fmac_f32_e32 v11, v12, v9
	v_fma_f32 v3, -v3, v11, v10
	v_div_fmas_f32 v3, v3, v9, v11
	v_div_fixup_f32 v2, v3, v2, 1.0
	v_xad_u32 v3, v0, -1, s39
	v_subrev_u32_e32 v9, s40, v3
	v_cmp_lt_u32_e32 vcc, s8, v9
	s_mov_b64 s[10:11], -1
	v_mov_b32_e32 v3, v0
	s_and_saveexec_b64 s[8:9], vcc
	s_cbranch_execz .LBB205_35
; %bb.27:
	v_lshrrev_b32_e32 v9, 7, v9
	v_add_u32_e32 v11, -1, v9
	v_lshrrev_b32_e32 v10, 1, v11
	v_mov_b32_e32 v3, v2
	v_add_u32_e32 v10, 1, v10
	v_cmp_lt_u32_e32 vcc, 13, v11
	v_mov_b32_e32 v13, 0
	s_and_saveexec_b64 s[10:11], vcc
	s_cbranch_execz .LBB205_31
; %bb.28:
	v_mov_b32_e32 v12, 0x1f0
	v_and_b32_e32 v11, -8, v10
	v_lshl_add_u32 v12, v0, 2, v12
	s_mov_b32 s16, 0
	s_mov_b64 s[14:15], 0
.LBB205_29:                             ; =>This Inner Loop Header: Depth=1
	ds_read2st64_b32 v[14:15], v12 offset1:2
	ds_read2st64_b32 v[16:17], v12 offset0:4 offset1:6
	ds_read2st64_b32 v[18:19], v12 offset0:8 offset1:10
	ds_read2st64_b32 v[20:21], v12 offset0:12 offset1:14
	v_add_u32_e32 v11, -8, v11
	s_waitcnt lgkmcnt(3)
	v_pk_mul_f32 v[14:15], v[2:3], v[14:15]
	s_waitcnt lgkmcnt(2)
	v_pk_mul_f32 v[16:17], v[2:3], v[16:17]
	ds_write2st64_b32 v12, v14, v15 offset1:2
	ds_write2st64_b32 v12, v16, v17 offset0:4 offset1:6
	ds_read2st64_b32 v[16:17], v12 offset0:16 offset1:18
	s_waitcnt lgkmcnt(4)
	v_pk_mul_f32 v[14:15], v[2:3], v[18:19]
	ds_write2st64_b32 v12, v14, v15 offset0:8 offset1:10
	s_waitcnt lgkmcnt(4)
	v_pk_mul_f32 v[14:15], v[2:3], v[20:21]
	ds_write2st64_b32 v12, v14, v15 offset0:12 offset1:14
	ds_read2st64_b32 v[14:15], v12 offset0:20 offset1:22
	s_waitcnt lgkmcnt(3)
	v_pk_mul_f32 v[16:17], v[2:3], v[16:17]
	ds_read2st64_b32 v[18:19], v12 offset0:24 offset1:26
	ds_write2st64_b32 v12, v16, v17 offset0:16 offset1:18
	ds_read2st64_b32 v[16:17], v12 offset0:28 offset1:30
	s_waitcnt lgkmcnt(3)
	v_pk_mul_f32 v[14:15], v[2:3], v[14:15]
	ds_write2st64_b32 v12, v14, v15 offset0:20 offset1:22
	s_waitcnt lgkmcnt(3)
	v_pk_mul_f32 v[14:15], v[2:3], v[18:19]
	ds_write2st64_b32 v12, v14, v15 offset0:24 offset1:26
	s_waitcnt lgkmcnt(2)
	v_pk_mul_f32 v[14:15], v[2:3], v[16:17]
	s_add_i32 s16, s16, 16
	v_cmp_eq_u32_e32 vcc, 0, v11
	ds_write2st64_b32 v12, v14, v15 offset0:28 offset1:30
	v_add_u32_e32 v12, 0x2000, v12
	s_or_b64 s[14:15], vcc, s[14:15]
	v_mov_b32_e32 v13, s16
	s_andn2_b64 exec, exec, s[14:15]
	s_cbranch_execnz .LBB205_29
; %bb.30:
	s_or_b64 exec, exec, s[14:15]
.LBB205_31:
	s_or_b64 exec, exec, s[10:11]
	v_and_b32_e32 v10, 7, v10
	v_cmp_ne_u32_e32 vcc, 0, v10
	s_and_saveexec_b64 s[10:11], vcc
	s_cbranch_execz .LBB205_34
; %bb.32:
	v_lshlrev_b32_e32 v11, 9, v13
	s_movk_i32 s14, 0x1f0
	v_add3_u32 v11, v11, v24, s14
	s_mov_b64 s[14:15], 0
.LBB205_33:                             ; =>This Inner Loop Header: Depth=1
	ds_read2st64_b32 v[12:13], v11 offset1:2
	v_add_u32_e32 v10, -1, v10
	v_cmp_eq_u32_e32 vcc, 0, v10
	s_or_b64 s[14:15], vcc, s[14:15]
	s_waitcnt lgkmcnt(0)
	v_pk_mul_f32 v[12:13], v[2:3], v[12:13]
	ds_write2st64_b32 v11, v12, v13 offset1:2
	v_add_u32_e32 v11, 0x400, v11
	s_andn2_b64 exec, exec, s[14:15]
	s_cbranch_execnz .LBB205_33
.LBB205_34:
	s_or_b64 exec, exec, s[10:11]
	v_add_u32_e32 v9, 1, v9
	v_and_b32_e32 v10, 0x3fffffe, v9
	v_cmp_ne_u32_e32 vcc, v9, v10
	v_lshl_add_u32 v3, v10, 7, v0
	s_orn2_b64 s[10:11], vcc, exec
.LBB205_35:
	s_or_b64 exec, exec, s[8:9]
	s_and_b64 exec, exec, s[10:11]
	s_cbranch_execz .LBB205_38
; %bb.36:
	v_mov_b32_e32 v9, 0x1f0
	v_lshl_add_u32 v9, v3, 2, v9
	s_mov_b64 s[8:9], 0
.LBB205_37:                             ; =>This Inner Loop Header: Depth=1
	ds_read_b32 v10, v9
	v_add_u32_e32 v3, 0x80, v3
	v_cmp_le_i32_e32 vcc, s38, v3
	s_or_b64 s[8:9], vcc, s[8:9]
	s_waitcnt lgkmcnt(0)
	v_mul_f32_e32 v10, v2, v10
	ds_write_b32 v9, v10
	v_add_u32_e32 v9, 0x200, v9
	s_andn2_b64 exec, exec, s[8:9]
	s_cbranch_execnz .LBB205_37
.LBB205_38:
	s_or_b64 exec, exec, s[0:1]
	s_mul_i32 s0, s25, s28
	v_cmp_eq_u32_e32 vcc, 0, v0
	s_mul_i32 s8, s0, s5
	s_waitcnt lgkmcnt(0)
	s_barrier
	s_and_saveexec_b64 s[0:1], vcc
	s_cbranch_execz .LBB205_40
; %bb.39:
	s_ashr_i32 s9, s8, 31
	s_lshl_b64 s[10:11], s[8:9], 2
	s_add_u32 s5, s22, s10
	s_mul_i32 s14, s25, s2
	s_addc_u32 s9, s23, s11
	s_ashr_i32 s15, s14, 31
	s_lshl_b64 s[14:15], s[14:15], 2
	s_add_u32 s2, s5, s14
	s_addc_u32 s9, s9, s15
	s_ashr_i32 s5, s4, 31
	s_lshl_b64 s[16:17], s[4:5], 2
	s_add_u32 s22, s2, s16
	s_addc_u32 s23, s9, s17
	s_add_u32 s2, s20, s10
	s_addc_u32 s5, s21, s11
	;; [unrolled: 2-line block ×3, first 2 shown]
	s_add_u32 s10, s2, s16
	v_mov_b32_e32 v2, 0
	s_addc_u32 s11, s5, s17
	global_store_dword v2, v5, s[22:23]
	global_store_dword v2, v8, s[10:11]
.LBB205_40:
	s_or_b64 exec, exec, s[0:1]
	v_mov_b32_e32 v9, 0
	v_lshrrev_b32_e32 v36, 1, v4
	v_and_b32_e32 v35, 1, v0
	v_mov_b32_e32 v8, v9
	v_mov_b32_e32 v11, v9
	;; [unrolled: 1-line block ×3, first 2 shown]
	s_and_saveexec_b64 s[10:11], s[6:7]
	s_cbranch_execz .LBB205_54
; %bb.41:
	s_ashr_i32 s1, s12, 31
	s_load_dword s6, s[18:19], 0x0
	v_and_b32_e32 v2, 4, v24
	s_add_u32 s0, s36, s12
	v_or_b32_e32 v3, 0x60, v36
	s_movk_i32 s2, 0x78
	s_addc_u32 s1, s37, s1
	s_add_i32 s9, s3, -1
	v_cmp_gt_u32_e32 vcc, s2, v3
	v_lshl_or_b32 v14, v3, 3, v2
	v_lshl_add_u32 v3, v25, 3, s40
	s_lshl_b64 s[2:3], s[34:35], 2
	v_lshl_or_b32 v12, v36, 3, v2
	v_add3_u32 v37, v3, v2, 3
	v_lshlrev_b32_e32 v2, 4, v35
	s_add_u32 s2, s30, s2
	v_mov_b32_e32 v13, 0
	v_lshl_or_b32 v2, v25, 5, v2
	s_addc_u32 s3, s31, s3
	s_mov_b32 s5, s13
	s_waitcnt lgkmcnt(0)
	s_mov_b32 s7, s6
	v_mov_b32_e32 v15, v13
	v_add_u32_e32 v38, 0x1f0, v2
	v_lshl_add_u64 v[16:17], v[6:7], 2, s[2:3]
	s_mov_b64 s[12:13], 0
	v_mov_b64_e32 v[18:19], s[0:1]
	v_mov_b32_e32 v10, v13
	v_mov_b32_e32 v11, v13
	;; [unrolled: 1-line block ×4, first 2 shown]
	s_branch .LBB205_44
.LBB205_42:                             ;   in Loop: Header=BB205_44 Depth=1
	s_or_b64 exec, exec, s[14:15]
	v_mul_f32_e32 v3, v3, v23
	v_fmac_f32_e32 v3, v2, v22
	v_fmac_f32_e32 v3, v4, v20
	;; [unrolled: 1-line block ×3, first 2 shown]
	v_add_f32_e32 v9, v9, v3
.LBB205_43:                             ;   in Loop: Header=BB205_44 Depth=1
	s_or_b64 exec, exec, s[2:3]
	v_add_u32_e32 v6, 2, v6
	v_cmp_le_i32_e64 s[0:1], s33, v6
	v_add_u32_e32 v37, 16, v37
	v_add_u32_e32 v38, 64, v38
	s_or_b64 s[12:13], s[0:1], s[12:13]
	v_lshl_add_u64 v[16:17], v[16:17], 0, 8
	s_andn2_b64 exec, exec, s[12:13]
	s_cbranch_execz .LBB205_53
.LBB205_44:                             ; =>This Inner Loop Header: Depth=1
	global_load_dword v2, v[16:17], off
	s_waitcnt vmcnt(0)
	v_mad_i64_i32 v[20:21], s[0:1], v2, s5, v[18:19]
	v_lshl_add_u64 v[28:29], v[20:21], 0, v[12:13]
	global_load_dword v7, v[28:29], off
	ds_read_b128 v[2:5], v38
	v_cmp_eq_u32_e64 s[0:1], s9, v6
	s_waitcnt vmcnt(0)
	v_and_b32_e32 v22, 0xffff, v7
	v_lshrrev_b32_e32 v7, 16, v7
	v_cvt_pk_f32_fp8_e32 v[22:23], v22
	v_cvt_pk_f32_fp8_e32 v[26:27], v7
	v_add_u32_e32 v7, -3, v37
	v_pk_mul_f32 v[24:25], s[6:7], v[22:23]
	v_pk_mul_f32 v[22:23], s[6:7], v[26:27]
	s_and_saveexec_b64 s[14:15], s[0:1]
; %bb.45:                               ;   in Loop: Header=BB205_44 Depth=1
	v_cmp_gt_i32_e64 s[2:3], s29, v7
	v_add_u32_e32 v26, -2, v37
	s_nop 0
	v_cndmask_b32_e64 v24, 0, v24, s[2:3]
	v_cmp_gt_i32_e64 s[2:3], s29, v26
	v_add_u32_e32 v26, -1, v37
	s_nop 0
	v_cndmask_b32_e64 v25, 0, v25, s[2:3]
	v_cmp_gt_i32_e64 s[2:3], s29, v26
	s_nop 1
	v_cndmask_b32_e64 v22, 0, v22, s[2:3]
	v_cmp_gt_i32_e64 s[2:3], s29, v37
	s_nop 1
	v_cndmask_b32_e64 v23, 0, v23, s[2:3]
; %bb.46:                               ;   in Loop: Header=BB205_44 Depth=1
	s_or_b64 exec, exec, s[14:15]
	global_load_dword v26, v[28:29], off offset:256
	s_waitcnt vmcnt(0)
	v_and_b32_e32 v27, 0xffff, v26
	v_lshrrev_b32_e32 v30, 16, v26
	v_cvt_pk_f32_fp8_e32 v[26:27], v27
	v_cvt_pk_f32_fp8_e32 v[32:33], v30
	v_pk_mul_f32 v[30:31], s[6:7], v[26:27]
	v_pk_mul_f32 v[26:27], s[6:7], v[32:33]
	s_and_saveexec_b64 s[14:15], s[0:1]
; %bb.47:                               ;   in Loop: Header=BB205_44 Depth=1
	v_cmp_gt_i32_e64 s[2:3], s29, v7
	v_add_u32_e32 v32, -2, v37
	s_nop 0
	v_cndmask_b32_e64 v30, 0, v30, s[2:3]
	v_cmp_gt_i32_e64 s[2:3], s29, v32
	v_add_u32_e32 v32, -1, v37
	s_nop 0
	v_cndmask_b32_e64 v31, 0, v31, s[2:3]
	v_cmp_gt_i32_e64 s[2:3], s29, v32
	s_nop 1
	v_cndmask_b32_e64 v26, 0, v26, s[2:3]
	v_cmp_gt_i32_e64 s[2:3], s29, v37
	s_nop 1
	v_cndmask_b32_e64 v27, 0, v27, s[2:3]
; %bb.48:                               ;   in Loop: Header=BB205_44 Depth=1
	s_or_b64 exec, exec, s[14:15]
	global_load_dword v28, v[28:29], off offset:512
	s_waitcnt vmcnt(0)
	v_and_b32_e32 v29, 0xffff, v28
	v_lshrrev_b32_e32 v32, 16, v28
	v_cvt_pk_f32_fp8_e32 v[28:29], v29
	v_cvt_pk_f32_fp8_e32 v[40:41], v32
	v_pk_mul_f32 v[32:33], s[6:7], v[28:29]
	v_pk_mul_f32 v[28:29], s[6:7], v[40:41]
	s_and_saveexec_b64 s[14:15], s[0:1]
; %bb.49:                               ;   in Loop: Header=BB205_44 Depth=1
	v_cmp_gt_i32_e64 s[2:3], s29, v7
	v_add_u32_e32 v39, -2, v37
	s_nop 0
	v_cndmask_b32_e64 v32, 0, v32, s[2:3]
	v_cmp_gt_i32_e64 s[2:3], s29, v39
	v_add_u32_e32 v39, -1, v37
	s_nop 0
	v_cndmask_b32_e64 v33, 0, v33, s[2:3]
	v_cmp_gt_i32_e64 s[2:3], s29, v39
	s_nop 1
	v_cndmask_b32_e64 v28, 0, v28, s[2:3]
	v_cmp_gt_i32_e64 s[2:3], s29, v37
	s_nop 1
	v_cndmask_b32_e64 v29, 0, v29, s[2:3]
; %bb.50:                               ;   in Loop: Header=BB205_44 Depth=1
	s_or_b64 exec, exec, s[14:15]
	s_waitcnt lgkmcnt(0)
	v_mul_f32_e32 v25, v3, v25
	v_fmac_f32_e32 v25, v2, v24
	v_fmac_f32_e32 v25, v4, v22
	v_mul_f32_e32 v22, v3, v31
	v_fmac_f32_e32 v22, v2, v30
	v_fmac_f32_e32 v22, v4, v26
	;; [unrolled: 1-line block ×3, first 2 shown]
	v_add_f32_e32 v11, v11, v22
	v_mul_f32_e32 v22, v3, v33
	v_fmac_f32_e32 v22, v2, v32
	v_fmac_f32_e32 v22, v4, v28
	;; [unrolled: 1-line block ×4, first 2 shown]
	v_add_f32_e32 v10, v10, v25
	v_add_f32_e32 v8, v8, v22
	s_and_saveexec_b64 s[2:3], vcc
	s_cbranch_execz .LBB205_43
; %bb.51:                               ;   in Loop: Header=BB205_44 Depth=1
	v_lshl_add_u64 v[20:21], v[20:21], 0, v[14:15]
	global_load_dword v20, v[20:21], off
	s_waitcnt vmcnt(0)
	v_and_b32_e32 v21, 0xffff, v20
	v_lshrrev_b32_e32 v22, 16, v20
	v_cvt_pk_f32_fp8_e32 v[20:21], v21
	v_cvt_pk_f32_fp8_e32 v[24:25], v22
	v_pk_mul_f32 v[22:23], s[6:7], v[20:21]
	v_pk_mul_f32 v[20:21], s[6:7], v[24:25]
	s_and_saveexec_b64 s[14:15], s[0:1]
	s_cbranch_execz .LBB205_42
; %bb.52:                               ;   in Loop: Header=BB205_44 Depth=1
	v_cmp_gt_i32_e64 s[0:1], s29, v7
	v_add_u32_e32 v7, -2, v37
	s_nop 0
	v_cndmask_b32_e64 v22, 0, v22, s[0:1]
	v_cmp_gt_i32_e64 s[0:1], s29, v7
	v_add_u32_e32 v7, -1, v37
	s_nop 0
	v_cndmask_b32_e64 v23, 0, v23, s[0:1]
	v_cmp_gt_i32_e64 s[0:1], s29, v7
	s_nop 1
	v_cndmask_b32_e64 v20, 0, v20, s[0:1]
	v_cmp_gt_i32_e64 s[0:1], s29, v37
	s_nop 1
	v_cndmask_b32_e64 v21, 0, v21, s[0:1]
	s_branch .LBB205_42
.LBB205_53:
	s_or_b64 exec, exec, s[12:13]
.LBB205_54:
	s_or_b64 exec, exec, s[10:11]
	ds_bpermute_b32 v2, v34, v10
	ds_bpermute_b32 v3, v34, v11
	;; [unrolled: 1-line block ×4, first 2 shown]
	s_waitcnt lgkmcnt(0)
	s_barrier
	v_pk_add_f32 v[4:5], v[10:11], v[2:3]
	v_pk_add_f32 v[2:3], v[8:9], v[6:7]
	v_and_b32_e32 v6, 0x3c0, v0
	v_cmp_eq_u32_e32 vcc, 64, v6
	s_and_saveexec_b64 s[2:3], vcc
	s_cbranch_execz .LBB205_59
; %bb.55:
	v_cmp_eq_u32_e32 vcc, 0, v35
	s_and_saveexec_b64 s[0:1], vcc
	s_cbranch_execz .LBB205_57
; %bb.56:
	v_mov_b32_e32 v6, 0x1f0
	v_lshl_add_u32 v6, v36, 2, v6
	ds_write2_b32 v6, v4, v5 offset1:32
	ds_write_b32 v6, v2 offset:256
.LBB205_57:
	s_or_b64 exec, exec, s[0:1]
	v_or_b32_e32 v6, 0x60, v36
	s_movk_i32 s0, 0x78
	v_cmp_gt_u32_e64 s[0:1], s0, v6
	s_and_b64 s[0:1], vcc, s[0:1]
	s_and_b64 exec, exec, s[0:1]
	s_cbranch_execz .LBB205_59
; %bb.58:
	v_mov_b32_e32 v6, 0x1f0
	v_lshl_add_u32 v6, v36, 2, v6
	ds_write_b32 v6, v3 offset:384
.LBB205_59:
	s_or_b64 exec, exec, s[2:3]
	v_cmp_gt_u32_e32 vcc, 64, v0
	s_waitcnt lgkmcnt(0)
	s_barrier
	s_and_saveexec_b64 s[6:7], vcc
	s_cbranch_execz .LBB205_67
; %bb.60:
	v_cmp_eq_u32_e64 s[0:1], 0, v35
	s_and_saveexec_b64 s[2:3], s[0:1]
	s_cbranch_execnz .LBB205_73
; %bb.61:
	s_or_b64 exec, exec, s[2:3]
	s_and_saveexec_b64 s[2:3], s[0:1]
	s_cbranch_execnz .LBB205_74
.LBB205_62:
	s_or_b64 exec, exec, s[2:3]
	s_and_saveexec_b64 s[2:3], s[0:1]
	s_cbranch_execz .LBB205_64
.LBB205_63:
	v_mov_b32_e32 v0, 0x1f0
	v_lshl_add_u32 v0, v1, 2, v0
	ds_read_b32 v0, v0 offset:256
	s_waitcnt lgkmcnt(0)
	v_add_f32_e32 v2, v2, v0
.LBB205_64:
	s_or_b64 exec, exec, s[2:3]
	v_or_b32_e32 v0, 0x60, v1
	s_movk_i32 s2, 0x78
	v_cmp_gt_u32_e64 s[2:3], s2, v0
	s_and_b64 s[2:3], s[0:1], s[2:3]
	s_and_saveexec_b64 s[0:1], s[2:3]
	s_cbranch_execz .LBB205_66
; %bb.65:
	v_mov_b32_e32 v0, 0x1f0
	v_lshl_add_u32 v0, v1, 2, v0
	ds_read_b32 v0, v0 offset:384
	s_waitcnt lgkmcnt(0)
	v_add_f32_e32 v3, v3, v0
.LBB205_66:
	s_or_b64 exec, exec, s[0:1]
.LBB205_67:
	s_or_b64 exec, exec, s[6:7]
	s_barrier
	s_and_saveexec_b64 s[0:1], vcc
	s_cbranch_execz .LBB205_72
; %bb.68:
	s_mul_i32 s0, s8, 0x78
	s_ashr_i32 s1, s0, 31
	s_lshl_b64 s[0:1], s[0:1], 2
	s_add_u32 s2, s26, s0
	s_mul_i32 s0, s25, s24
	s_addc_u32 s3, s27, s1
	s_ashr_i32 s1, s0, 31
	s_lshl_b64 s[0:1], s[0:1], 2
	s_add_u32 s2, s2, s0
	s_mul_i32 s0, s4, 0x78
	s_addc_u32 s3, s3, s1
	s_ashr_i32 s1, s0, 31
	s_lshl_b64 s[0:1], s[0:1], 2
	s_add_u32 s2, s2, s0
	s_movk_i32 s5, 0x78
	s_addc_u32 s3, s3, s1
	v_cmp_eq_u32_e32 vcc, 0, v35
	v_lshlrev_b32_e32 v0, 2, v1
	s_and_saveexec_b64 s[0:1], vcc
	s_cbranch_execz .LBB205_70
; %bb.69:
	global_store_dword v0, v4, s[2:3]
	global_store_dword v0, v5, s[2:3] offset:128
	global_store_dword v0, v2, s[2:3] offset:256
.LBB205_70:
	s_or_b64 exec, exec, s[0:1]
	v_or_b32_e32 v1, 0x60, v1
	v_cmp_gt_u32_e64 s[0:1], s5, v1
	s_and_b64 s[0:1], vcc, s[0:1]
	s_and_b64 exec, exec, s[0:1]
	s_cbranch_execz .LBB205_72
; %bb.71:
	global_store_dword v0, v3, s[2:3] offset:384
.LBB205_72:
	s_endpgm
.LBB205_73:
	v_mov_b32_e32 v0, 0x1f0
	v_lshl_add_u32 v0, v1, 2, v0
	ds_read_b32 v0, v0
	s_waitcnt lgkmcnt(0)
	v_add_f32_e32 v4, v4, v0
	s_or_b64 exec, exec, s[2:3]
	s_and_saveexec_b64 s[2:3], s[0:1]
	s_cbranch_execz .LBB205_62
.LBB205_74:
	v_mov_b32_e32 v0, 0x1f0
	v_lshl_add_u32 v0, v1, 2, v0
	ds_read_b32 v0, v0 offset:128
	s_waitcnt lgkmcnt(0)
	v_add_f32_e32 v5, v5, v0
	s_or_b64 exec, exec, s[2:3]
	s_and_saveexec_b64 s[2:3], s[0:1]
	s_cbranch_execnz .LBB205_63
	s_branch .LBB205_64
	.section	.rodata,"a",@progbits
	.p2align	6, 0x0
	.amdhsa_kernel _ZN4vllm25paged_attention_v2_kernelIfhLi120ELi8ELi128ELNS_18Fp8KVCacheDataTypeE1ELb0ELi512EEEvPfS2_PT_PKS3_PKT0_S9_ifPKiSB_iPKfiiiSD_SD_iiiii
		.amdhsa_group_segment_fixed_size 496
		.amdhsa_private_segment_fixed_size 0
		.amdhsa_kernarg_size 400
		.amdhsa_user_sgpr_count 2
		.amdhsa_user_sgpr_dispatch_ptr 0
		.amdhsa_user_sgpr_queue_ptr 0
		.amdhsa_user_sgpr_kernarg_segment_ptr 1
		.amdhsa_user_sgpr_dispatch_id 0
		.amdhsa_user_sgpr_kernarg_preload_length 0
		.amdhsa_user_sgpr_kernarg_preload_offset 0
		.amdhsa_user_sgpr_private_segment_size 0
		.amdhsa_uses_dynamic_stack 0
		.amdhsa_enable_private_segment 0
		.amdhsa_system_sgpr_workgroup_id_x 1
		.amdhsa_system_sgpr_workgroup_id_y 1
		.amdhsa_system_sgpr_workgroup_id_z 1
		.amdhsa_system_sgpr_workgroup_info 0
		.amdhsa_system_vgpr_workitem_id 0
		.amdhsa_next_free_vgpr 53
		.amdhsa_next_free_sgpr 45
		.amdhsa_accum_offset 56
		.amdhsa_reserve_vcc 1
		.amdhsa_float_round_mode_32 0
		.amdhsa_float_round_mode_16_64 0
		.amdhsa_float_denorm_mode_32 3
		.amdhsa_float_denorm_mode_16_64 3
		.amdhsa_dx10_clamp 1
		.amdhsa_ieee_mode 1
		.amdhsa_fp16_overflow 0
		.amdhsa_tg_split 0
		.amdhsa_exception_fp_ieee_invalid_op 0
		.amdhsa_exception_fp_denorm_src 0
		.amdhsa_exception_fp_ieee_div_zero 0
		.amdhsa_exception_fp_ieee_overflow 0
		.amdhsa_exception_fp_ieee_underflow 0
		.amdhsa_exception_fp_ieee_inexact 0
		.amdhsa_exception_int_div_zero 0
	.end_amdhsa_kernel
	.section	.text._ZN4vllm25paged_attention_v2_kernelIfhLi120ELi8ELi128ELNS_18Fp8KVCacheDataTypeE1ELb0ELi512EEEvPfS2_PT_PKS3_PKT0_S9_ifPKiSB_iPKfiiiSD_SD_iiiii,"axG",@progbits,_ZN4vllm25paged_attention_v2_kernelIfhLi120ELi8ELi128ELNS_18Fp8KVCacheDataTypeE1ELb0ELi512EEEvPfS2_PT_PKS3_PKT0_S9_ifPKiSB_iPKfiiiSD_SD_iiiii,comdat
.Lfunc_end205:
	.size	_ZN4vllm25paged_attention_v2_kernelIfhLi120ELi8ELi128ELNS_18Fp8KVCacheDataTypeE1ELb0ELi512EEEvPfS2_PT_PKS3_PKT0_S9_ifPKiSB_iPKfiiiSD_SD_iiiii, .Lfunc_end205-_ZN4vllm25paged_attention_v2_kernelIfhLi120ELi8ELi128ELNS_18Fp8KVCacheDataTypeE1ELb0ELi512EEEvPfS2_PT_PKS3_PKT0_S9_ifPKiSB_iPKfiiiSD_SD_iiiii
                                        ; -- End function
	.section	.AMDGPU.csdata,"",@progbits
; Kernel info:
; codeLenInByte = 4640
; NumSgprs: 51
; NumVgprs: 53
; NumAgprs: 0
; TotalNumVgprs: 53
; ScratchSize: 0
; MemoryBound: 0
; FloatMode: 240
; IeeeMode: 1
; LDSByteSize: 496 bytes/workgroup (compile time only)
; SGPRBlocks: 6
; VGPRBlocks: 6
; NumSGPRsForWavesPerEU: 51
; NumVGPRsForWavesPerEU: 53
; AccumOffset: 56
; Occupancy: 8
; WaveLimiterHint : 1
; COMPUTE_PGM_RSRC2:SCRATCH_EN: 0
; COMPUTE_PGM_RSRC2:USER_SGPR: 2
; COMPUTE_PGM_RSRC2:TRAP_HANDLER: 0
; COMPUTE_PGM_RSRC2:TGID_X_EN: 1
; COMPUTE_PGM_RSRC2:TGID_Y_EN: 1
; COMPUTE_PGM_RSRC2:TGID_Z_EN: 1
; COMPUTE_PGM_RSRC2:TIDIG_COMP_CNT: 0
; COMPUTE_PGM_RSRC3_GFX90A:ACCUM_OFFSET: 13
; COMPUTE_PGM_RSRC3_GFX90A:TG_SPLIT: 0
	.section	.text._ZN4vllm25paged_attention_v2_kernelIfhLi128ELi8ELi128ELNS_18Fp8KVCacheDataTypeE1ELb0ELi512EEEvPfS2_PT_PKS3_PKT0_S9_ifPKiSB_iPKfiiiSD_SD_iiiii,"axG",@progbits,_ZN4vllm25paged_attention_v2_kernelIfhLi128ELi8ELi128ELNS_18Fp8KVCacheDataTypeE1ELb0ELi512EEEvPfS2_PT_PKS3_PKT0_S9_ifPKiSB_iPKfiiiSD_SD_iiiii,comdat
	.protected	_ZN4vllm25paged_attention_v2_kernelIfhLi128ELi8ELi128ELNS_18Fp8KVCacheDataTypeE1ELb0ELi512EEEvPfS2_PT_PKS3_PKT0_S9_ifPKiSB_iPKfiiiSD_SD_iiiii ; -- Begin function _ZN4vllm25paged_attention_v2_kernelIfhLi128ELi8ELi128ELNS_18Fp8KVCacheDataTypeE1ELb0ELi512EEEvPfS2_PT_PKS3_PKT0_S9_ifPKiSB_iPKfiiiSD_SD_iiiii
	.globl	_ZN4vllm25paged_attention_v2_kernelIfhLi128ELi8ELi128ELNS_18Fp8KVCacheDataTypeE1ELb0ELi512EEEvPfS2_PT_PKS3_PKT0_S9_ifPKiSB_iPKfiiiSD_SD_iiiii
	.p2align	8
	.type	_ZN4vllm25paged_attention_v2_kernelIfhLi128ELi8ELi128ELNS_18Fp8KVCacheDataTypeE1ELb0ELi512EEEvPfS2_PT_PKS3_PKT0_S9_ifPKiSB_iPKfiiiSD_SD_iiiii,@function
_ZN4vllm25paged_attention_v2_kernelIfhLi128ELi8ELi128ELNS_18Fp8KVCacheDataTypeE1ELb0ELi512EEEvPfS2_PT_PKS3_PKT0_S9_ifPKiSB_iPKfiiiSD_SD_iiiii: ; @_ZN4vllm25paged_attention_v2_kernelIfhLi128ELi8ELi128ELNS_18Fp8KVCacheDataTypeE1ELb0ELi512EEEvPfS2_PT_PKS3_PKT0_S9_ifPKiSB_iPKfiiiSD_SD_iiiii
; %bb.0:
	s_load_dwordx2 s[6:7], s[0:1], 0x40
	s_mov_b32 s28, s3
	s_ashr_i32 s29, s3, 31
	s_lshl_b64 s[8:9], s[28:29], 2
	s_waitcnt lgkmcnt(0)
	s_add_u32 s6, s6, s8
	s_addc_u32 s7, s7, s9
	s_load_dword s29, s[6:7], 0x0
	s_lshl_b32 s40, s4, 9
	s_waitcnt lgkmcnt(0)
	s_cmp_ge_i32 s40, s29
	s_cbranch_scc1 .LBB206_63
; %bb.1:
	s_load_dword s5, s[0:1], 0x90
	s_load_dwordx2 s[10:11], s[0:1], 0x30
	s_waitcnt lgkmcnt(0)
	s_abs_i32 s7, s5
	s_abs_i32 s3, s10
	v_cvt_f32_u32_e32 v1, s3
	s_sub_i32 s8, 0, s3
	s_xor_b32 s6, s5, s10
	s_ashr_i32 s6, s6, 31
	v_rcp_iflag_f32_e32 v1, v1
	s_nop 0
	v_mul_f32_e32 v1, 0x4f7ffffe, v1
	v_cvt_u32_f32_e32 v1, v1
	s_nop 0
	v_readfirstlane_b32 s9, v1
	s_mul_i32 s8, s8, s9
	s_mul_hi_u32 s8, s9, s8
	s_add_i32 s9, s9, s8
	s_mul_hi_u32 s8, s7, s9
	s_mul_i32 s9, s8, s3
	s_sub_i32 s7, s7, s9
	s_add_i32 s10, s8, 1
	s_sub_i32 s9, s7, s3
	s_cmp_ge_u32 s7, s3
	s_cselect_b32 s8, s10, s8
	s_cselect_b32 s7, s9, s7
	s_add_i32 s9, s8, 1
	s_cmp_ge_u32 s7, s3
	s_cselect_b32 s3, s9, s8
	s_xor_b32 s3, s3, s6
	s_sub_i32 s12, s3, s6
	s_abs_i32 s8, s12
	v_cvt_f32_u32_e32 v1, s8
	s_load_dwordx2 s[6:7], s[0:1], 0x50
	s_sub_i32 s3, 0, s8
	s_abs_i32 s9, s2
	v_rcp_iflag_f32_e32 v1, v1
	s_mov_b32 s10, 0
	v_mul_f32_e32 v1, 0x4f7ffffe, v1
	v_cvt_u32_f32_e32 v1, v1
	s_nop 0
	v_readfirstlane_b32 s13, v1
	s_mul_i32 s3, s3, s13
	s_mul_hi_u32 s3, s13, s3
	s_add_i32 s13, s13, s3
	s_waitcnt lgkmcnt(0)
	s_cmp_eq_u64 s[6:7], 0
	s_mul_hi_u32 s16, s9, s13
	s_cbranch_scc1 .LBB206_3
; %bb.2:
	s_ashr_i32 s3, s2, 31
	s_lshl_b64 s[14:15], s[2:3], 2
	s_add_u32 s6, s6, s14
	s_addc_u32 s7, s7, s15
	s_load_dword s10, s[6:7], 0x0
.LBB206_3:
	s_ashr_i32 s18, s12, 31
	s_load_dwordx4 s[12:15], s[0:1], 0x58
	s_movk_i32 s3, 0x80
	s_ashr_i32 s17, s2, 31
	v_and_b32_e32 v20, 7, v0
	s_lshl_b32 s24, s2, 7
	v_cmp_gt_u32_e32 vcc, s3, v0
	v_lshlrev_b32_e32 v26, 2, v0
	v_lshrrev_b32_e32 v1, 1, v0
	s_and_saveexec_b64 s[6:7], vcc
	s_cbranch_execz .LBB206_5
; %bb.4:
	s_load_dwordx2 s[20:21], s[0:1], 0x18
	s_waitcnt lgkmcnt(0)
	s_mul_i32 s22, s28, s12
	s_ashr_i32 s23, s22, 31
	s_lshl_b64 s[22:23], s[22:23], 2
	v_and_b32_e32 v3, 0x1fc, v1
	s_add_u32 s3, s20, s22
	s_addc_u32 s12, s21, s23
	s_ashr_i32 s25, s24, 31
	s_lshl_b64 s[20:21], s[24:25], 2
	s_add_u32 s20, s3, s20
	s_addc_u32 s21, s12, s21
	global_load_dword v2, v26, s[20:21]
	v_lshl_add_u32 v3, v20, 6, v3
	s_waitcnt vmcnt(0)
	ds_write_b32 v3, v2
.LBB206_5:
	s_or_b64 exec, exec, s[6:7]
	s_add_i32 s3, s29, 7
	s_ashr_i32 s6, s3, 31
	s_lshr_b32 s6, s6, 29
	s_add_i32 s3, s3, s6
	s_waitcnt lgkmcnt(0)
	s_ashr_i32 s12, s3, 3
	s_lshl_b32 s3, s4, 6
	s_mul_i32 s7, s16, s8
	s_add_i32 s6, s3, 64
	s_sub_i32 s7, s9, s7
	s_min_i32 s33, s6, s12
	s_xor_b32 s6, s17, s18
	s_add_i32 s9, s16, 1
	s_sub_i32 s15, s7, s8
	s_cmp_ge_u32 s7, s8
	s_cselect_b32 s9, s9, s16
	s_cselect_b32 s7, s15, s7
	s_add_i32 s15, s9, 1
	s_cmp_ge_u32 s7, s8
	s_load_dwordx2 s[30:31], s[0:1], 0x38
	s_load_dword s8, s[0:1], 0x48
	v_lshrrev_b32_e32 v27, 6, v0
	s_cselect_b32 s7, s15, s9
	s_xor_b32 s7, s7, s6
	v_or_b32_e32 v18, s3, v27
	s_waitcnt lgkmcnt(0)
	s_mul_i32 s34, s28, s8
	s_sub_i32 s41, s7, s6
	s_ashr_i32 s35, s34, 31
	v_cmp_gt_i32_e64 s[6:7], s33, v18
	v_cmp_le_i32_e32 vcc, s33, v18
	v_mbcnt_lo_u32_b32 v21, -1, 0
	s_barrier
	s_waitcnt lgkmcnt(0)
                                        ; implicit-def: $sgpr15
                                        ; implicit-def: $vgpr28
                                        ; implicit-def: $vgpr29
	s_and_saveexec_b64 s[8:9], vcc
	s_xor_b64 s[8:9], exec, s[8:9]
; %bb.6:
	v_mbcnt_hi_u32_b32 v28, -1, v21
	v_and_b32_e32 v2, 64, v28
	v_add_u32_e32 v29, 64, v2
	s_mov_b32 s15, 0xff7fffff
                                        ; implicit-def: $vgpr20
                                        ; implicit-def: $vgpr21
; %bb.7:
	s_or_saveexec_b64 s[38:39], s[8:9]
	s_load_dwordx4 s[20:23], s[0:1], 0x0
	s_load_dwordx2 s[26:27], s[0:1], 0x10
	s_load_dword s25, s[0:1], 0x98
	s_load_dwordx2 s[36:37], s[0:1], 0x28
	s_load_dwordx4 s[16:19], s[0:1], 0x68
	v_mov_b32_e32 v30, s15
	s_mul_i32 s41, s41, s14
	v_ashrrev_i32_e32 v19, 31, v18
	s_xor_b64 exec, exec, s[38:39]
	s_cbranch_execz .LBB206_13
; %bb.8:
	v_mbcnt_hi_u32_b32 v28, -1, v21
	s_load_dwordx2 s[0:1], s[0:1], 0x20
	v_and_b32_e32 v21, 64, v28
	v_add_u32_e32 v29, 64, v21
	v_xor_b32_e32 v21, 4, v28
	v_cmp_lt_i32_e32 vcc, v21, v29
	v_lshlrev_b32_e32 v14, 6, v20
	s_ashr_i32 s8, s41, 31
	v_cndmask_b32_e32 v21, v28, v21, vcc
	ds_read_b128 v[2:5], v14
	ds_read_b128 v[6:9], v14 offset:16
	ds_read_b128 v[10:13], v14 offset:32
	;; [unrolled: 1-line block ×3, first 2 shown]
	v_lshlrev_b32_e32 v31, 2, v21
	v_xor_b32_e32 v21, 2, v28
	v_bfe_u32 v30, v0, 3, 3
	s_waitcnt lgkmcnt(0)
	s_add_u32 s0, s0, s41
	v_cmp_lt_i32_e32 vcc, v21, v29
	v_lshlrev_b32_e32 v24, 4, v30
	s_addc_u32 s1, s1, s8
	v_mov_b32_e32 v25, 0
	v_cndmask_b32_e32 v21, v28, v21, vcc
	s_load_dword s43, s[16:17], 0x0
	v_lshl_add_u64 v[22:23], s[0:1], 0, v[24:25]
	v_lshlrev_b32_e32 v32, 2, v21
	v_xor_b32_e32 v21, 1, v28
	s_sub_i32 s44, 1, s29
	v_lshlrev_b32_e32 v24, 3, v27
	s_lshl_b64 s[8:9], s[34:35], 2
	v_cmp_lt_i32_e32 vcc, v21, v29
	v_add3_u32 v34, s40, v24, v30
	v_lshlrev_b32_e32 v24, 2, v30
	s_add_u32 s8, s30, s8
	v_cndmask_b32_e32 v21, v28, v21, vcc
	v_lshl_or_b32 v24, v27, 5, v24
	s_addc_u32 s9, s31, s9
	s_mov_b32 s42, s13
	v_lshlrev_b32_e32 v33, 2, v21
	v_cmp_eq_u32_e32 vcc, 0, v20
	v_cmp_neq_f32_e64 s[0:1], s10, 0
	v_mov_b32_e32 v21, v25
	v_add_u32_e32 v35, 0x210, v24
	v_lshl_add_u64 v[24:25], v[18:19], 2, s[8:9]
	s_mov_b64 s[14:15], 0
	v_mov_b32_e32 v30, 0xff7fffff
	v_mov_b32_e32 v36, v18
	s_branch .LBB206_10
.LBB206_9:                              ;   in Loop: Header=BB206_10 Depth=1
	s_or_b64 exec, exec, s[16:17]
	v_add_u32_e32 v36, 2, v36
	v_cmp_le_i32_e64 s[8:9], s33, v36
	v_add_u32_e32 v34, 16, v34
	v_add_u32_e32 v35, 64, v35
	s_or_b64 s[14:15], s[8:9], s[14:15]
	v_lshl_add_u64 v[24:25], v[24:25], 0, 8
	s_andn2_b64 exec, exec, s[14:15]
	s_cbranch_execz .LBB206_12
.LBB206_10:                             ; =>This Inner Loop Header: Depth=1
	global_load_dword v37, v[24:25], off
	s_waitcnt vmcnt(0) lgkmcnt(0)
	v_mad_i64_i32 v[38:39], s[8:9], v37, s42, v[22:23]
	v_lshl_add_u64 v[38:39], v[38:39], 0, v[20:21]
	global_load_ubyte v37, v[38:39], off
	global_load_ubyte v40, v[38:39], off offset:8
	global_load_ubyte v41, v[38:39], off offset:128
	;; [unrolled: 1-line block ×14, first 2 shown]
	s_nop 0
	global_load_ubyte v38, v[38:39], off offset:904
	s_waitcnt vmcnt(15)
	v_cvt_f32_fp8_sdwa v37, v37 src0_sel:BYTE_0
	s_waitcnt vmcnt(14)
	v_cvt_f32_fp8_sdwa v39, v40 src0_sel:BYTE_0
	;; [unrolled: 2-line block ×5, first 2 shown]
	s_waitcnt lgkmcnt(0)
	v_mul_f32_e32 v39, s43, v39
	s_waitcnt vmcnt(10)
	v_cvt_f32_fp8_sdwa v43, v44 src0_sel:BYTE_0
	v_mul_f32_e32 v37, s43, v37
	v_mul_f32_e32 v39, v3, v39
	s_waitcnt vmcnt(9)
	v_cvt_f32_fp8_sdwa v44, v45 src0_sel:BYTE_0
	v_mul_f32_e32 v40, s43, v40
	v_fmac_f32_e32 v39, v2, v37
	s_waitcnt vmcnt(8)
	v_cvt_f32_fp8_sdwa v45, v46 src0_sel:BYTE_0
	v_mul_f32_e32 v41, s43, v41
	v_fmac_f32_e32 v39, v4, v40
	;; [unrolled: 4-line block ×10, first 2 shown]
	v_mul_f32_e32 v50, s43, v50
	v_fmac_f32_e32 v39, v13, v49
	v_mul_f32_e32 v51, s43, v51
	v_fmac_f32_e32 v39, v14, v50
	;; [unrolled: 2-line block ×4, first 2 shown]
	v_fmac_f32_e32 v39, v17, v38
	ds_bpermute_b32 v37, v31, v39
	s_waitcnt lgkmcnt(0)
	v_add_f32_e32 v37, v39, v37
	ds_bpermute_b32 v38, v32, v37
	s_waitcnt lgkmcnt(0)
	v_add_f32_e32 v37, v37, v38
	ds_bpermute_b32 v38, v33, v37
	s_and_saveexec_b64 s[16:17], vcc
	s_cbranch_execz .LBB206_9
; %bb.11:                               ;   in Loop: Header=BB206_10 Depth=1
	v_add_u32_e32 v39, s44, v34
	v_cvt_f32_i32_e32 v39, v39
	s_waitcnt lgkmcnt(0)
	v_add_f32_e32 v37, v37, v38
	v_cmp_gt_i32_e64 s[8:9], s29, v34
	v_max_f32_e32 v38, v30, v30
	v_mul_f32_e32 v39, s10, v39
	v_cndmask_b32_e64 v39, 0, v39, s[0:1]
	v_fmac_f32_e32 v39, s11, v37
	v_cndmask_b32_e64 v37, 0, v39, s[8:9]
	ds_write_b32 v35, v37
	v_max_f32_e32 v37, v38, v39
	v_cndmask_b32_e64 v30, v30, v37, s[8:9]
	s_branch .LBB206_9
.LBB206_12:
	s_or_b64 exec, exec, s[14:15]
.LBB206_13:
	s_or_b64 exec, exec, s[38:39]
	v_xor_b32_e32 v2, 32, v28
	v_cmp_lt_i32_e32 vcc, v2, v29
	v_xor_b32_e32 v5, 16, v28
	v_max_f32_e32 v4, v30, v30
	v_cndmask_b32_e32 v2, v28, v2, vcc
	v_lshlrev_b32_e32 v3, 2, v2
	ds_bpermute_b32 v2, v3, v30
	v_cmp_lt_i32_e32 vcc, v5, v29
	v_and_b32_e32 v32, 63, v0
	s_waitcnt lgkmcnt(0)
	v_max_f32_e32 v2, v2, v2
	v_max_f32_e32 v2, v4, v2
	v_cndmask_b32_e32 v4, v28, v5, vcc
	v_lshlrev_b32_e32 v6, 2, v4
	ds_bpermute_b32 v4, v6, v2
	v_xor_b32_e32 v5, 8, v28
	v_cmp_lt_i32_e32 vcc, v5, v29
	s_waitcnt lgkmcnt(0)
	v_max_f32_e32 v4, v4, v4
	v_max_f32_e32 v4, v2, v4
	v_cndmask_b32_e32 v2, v28, v5, vcc
	v_lshlrev_b32_e32 v7, 2, v2
	ds_bpermute_b32 v5, v7, v4
	v_cmp_eq_u32_e32 vcc, 0, v32
	v_lshlrev_b32_e32 v2, 2, v27
	s_and_saveexec_b64 s[0:1], vcc
	s_cbranch_execz .LBB206_15
; %bb.14:
	s_waitcnt lgkmcnt(0)
	v_max_f32_e32 v5, v5, v5
	v_max_f32_e32 v4, v4, v4
	;; [unrolled: 1-line block ×3, first 2 shown]
	ds_write_b32 v2, v4 offset:512
.LBB206_15:
	s_or_b64 exec, exec, s[0:1]
	v_cmp_gt_u32_e64 s[0:1], 2, v32
	v_mov_b32_e32 v4, 0xff7fffff
	s_waitcnt lgkmcnt(0)
	v_lshlrev_b32_e32 v5, 2, v32
	s_barrier
	s_and_saveexec_b64 s[8:9], s[0:1]
	s_cbranch_execz .LBB206_17
; %bb.16:
	ds_read_b32 v4, v5 offset:512
.LBB206_17:
	s_or_b64 exec, exec, s[8:9]
	v_xor_b32_e32 v8, 1, v28
	v_cmp_lt_i32_e64 s[8:9], v8, v29
	s_sub_i32 s3, s33, s3
	s_lshl_b32 s3, s3, 3
	v_cndmask_b32_e64 v8, v28, v8, s[8:9]
	v_lshlrev_b32_e32 v33, 2, v8
	s_waitcnt lgkmcnt(0)
	ds_bpermute_b32 v8, v33, v4
	v_max_f32_e32 v4, v4, v4
	s_add_i32 s3, s3, s40
	s_min_i32 s38, s3, s29
	s_sub_i32 s3, s38, s40
	s_waitcnt lgkmcnt(0)
	v_max_f32_e32 v8, v8, v8
	v_max_f32_e32 v4, v4, v8
	v_lshlrev_b32_e32 v8, 2, v28
	v_and_b32_e32 v8, 0xffffff00, v8
	ds_bpermute_b32 v4, v8, v4
	v_cmp_gt_i32_e64 s[8:9], s3, v0
	v_mov_b32_e32 v9, 0
	s_and_saveexec_b64 s[14:15], s[8:9]
	s_cbranch_execz .LBB206_21
; %bb.18:
	v_mov_b32_e32 v9, 0x210
	v_lshl_add_u32 v10, v0, 2, v9
	s_mov_b64 s[16:17], 0
	v_mov_b32_e32 v9, 0
	v_mov_b32_e32 v11, v0
.LBB206_19:                             ; =>This Inner Loop Header: Depth=1
	ds_read_b32 v12, v10
	v_add_u32_e32 v11, 0x80, v11
	v_cmp_le_i32_e64 s[10:11], s3, v11
	s_or_b64 s[16:17], s[10:11], s[16:17]
	s_waitcnt lgkmcnt(0)
	v_sub_f32_e32 v12, v12, v4
	v_mul_f32_e32 v12, 0x3fb8aa3b, v12
	v_exp_f32_e32 v12, v12
	ds_write_b32 v10, v12
	v_add_f32_e32 v9, v9, v12
	v_add_u32_e32 v10, 0x200, v10
	s_andn2_b64 exec, exec, s[16:17]
	s_cbranch_execnz .LBB206_19
; %bb.20:
	s_or_b64 exec, exec, s[16:17]
.LBB206_21:
	s_or_b64 exec, exec, s[14:15]
	ds_bpermute_b32 v3, v3, v9
	s_waitcnt lgkmcnt(0)
	v_add_f32_e32 v3, v9, v3
	ds_bpermute_b32 v6, v6, v3
	s_waitcnt lgkmcnt(0)
	v_add_f32_e32 v3, v3, v6
	ds_bpermute_b32 v6, v7, v3
	v_xor_b32_e32 v7, 4, v28
	v_cmp_lt_i32_e64 s[10:11], v7, v29
	s_waitcnt lgkmcnt(0)
	v_add_f32_e32 v3, v3, v6
	v_cndmask_b32_e64 v7, v28, v7, s[10:11]
	v_lshlrev_b32_e32 v7, 2, v7
	ds_bpermute_b32 v6, v7, v3
	v_xor_b32_e32 v7, 2, v28
	v_cmp_lt_i32_e64 s[10:11], v7, v29
	s_waitcnt lgkmcnt(0)
	v_add_f32_e32 v3, v3, v6
	v_cndmask_b32_e64 v7, v28, v7, s[10:11]
	v_lshlrev_b32_e32 v6, 2, v7
	ds_bpermute_b32 v6, v6, v3
	s_waitcnt lgkmcnt(0)
	v_add_f32_e32 v3, v3, v6
	ds_bpermute_b32 v6, v33, v3
	s_waitcnt lgkmcnt(0)
	v_add_f32_e32 v3, v3, v6
	s_and_saveexec_b64 s[10:11], vcc
	s_cbranch_execz .LBB206_23
; %bb.22:
	ds_write_b32 v2, v3 offset:520
.LBB206_23:
	s_or_b64 exec, exec, s[10:11]
	s_waitcnt lgkmcnt(0)
	s_barrier
	s_and_saveexec_b64 s[10:11], s[0:1]
	s_cbranch_execz .LBB206_25
; %bb.24:
	ds_read_b32 v3, v5 offset:520
.LBB206_25:
	s_or_b64 exec, exec, s[10:11]
	s_waitcnt lgkmcnt(0)
	ds_bpermute_b32 v2, v33, v3
	s_waitcnt lgkmcnt(0)
	v_add_f32_e32 v2, v3, v2
	ds_bpermute_b32 v5, v8, v2
	s_and_saveexec_b64 s[0:1], s[8:9]
	s_cbranch_execz .LBB206_38
; %bb.26:
	s_waitcnt lgkmcnt(0)
	v_add_f32_e32 v2, 0x358637bd, v5
	v_div_scale_f32 v3, s[8:9], v2, v2, 1.0
	v_rcp_f32_e32 v6, v3
	v_div_scale_f32 v7, vcc, 1.0, v2, 1.0
	s_movk_i32 s8, 0x7f
	v_fma_f32 v8, -v3, v6, 1.0
	v_fmac_f32_e32 v6, v8, v6
	v_mul_f32_e32 v8, v7, v6
	v_fma_f32 v9, -v3, v8, v7
	v_fmac_f32_e32 v8, v9, v6
	v_fma_f32 v3, -v3, v8, v7
	v_div_fmas_f32 v3, v3, v6, v8
	v_div_fixup_f32 v2, v3, v2, 1.0
	v_xad_u32 v3, v0, -1, s38
	v_subrev_u32_e32 v6, s40, v3
	v_cmp_lt_u32_e32 vcc, s8, v6
	s_mov_b64 s[10:11], -1
	v_mov_b32_e32 v3, v0
	s_and_saveexec_b64 s[8:9], vcc
	s_cbranch_execz .LBB206_35
; %bb.27:
	v_lshrrev_b32_e32 v6, 7, v6
	v_add_u32_e32 v8, -1, v6
	v_lshrrev_b32_e32 v7, 1, v8
	v_mov_b32_e32 v3, v2
	v_add_u32_e32 v7, 1, v7
	v_cmp_lt_u32_e32 vcc, 13, v8
	v_mov_b32_e32 v10, 0
	s_and_saveexec_b64 s[10:11], vcc
	s_cbranch_execz .LBB206_31
; %bb.28:
	v_mov_b32_e32 v9, 0x210
	v_and_b32_e32 v8, -8, v7
	v_lshl_add_u32 v9, v0, 2, v9
	s_mov_b32 s16, 0
	s_mov_b64 s[14:15], 0
.LBB206_29:                             ; =>This Inner Loop Header: Depth=1
	ds_read2st64_b32 v[10:11], v9 offset1:2
	ds_read2st64_b32 v[12:13], v9 offset0:4 offset1:6
	ds_read2st64_b32 v[14:15], v9 offset0:8 offset1:10
	;; [unrolled: 1-line block ×3, first 2 shown]
	v_add_u32_e32 v8, -8, v8
	s_waitcnt lgkmcnt(3)
	v_pk_mul_f32 v[10:11], v[2:3], v[10:11]
	s_waitcnt lgkmcnt(2)
	v_pk_mul_f32 v[12:13], v[2:3], v[12:13]
	ds_write2st64_b32 v9, v10, v11 offset1:2
	ds_write2st64_b32 v9, v12, v13 offset0:4 offset1:6
	ds_read2st64_b32 v[12:13], v9 offset0:16 offset1:18
	s_waitcnt lgkmcnt(4)
	v_pk_mul_f32 v[10:11], v[2:3], v[14:15]
	ds_write2st64_b32 v9, v10, v11 offset0:8 offset1:10
	s_waitcnt lgkmcnt(4)
	v_pk_mul_f32 v[10:11], v[2:3], v[16:17]
	ds_write2st64_b32 v9, v10, v11 offset0:12 offset1:14
	ds_read2st64_b32 v[10:11], v9 offset0:20 offset1:22
	s_waitcnt lgkmcnt(3)
	v_pk_mul_f32 v[12:13], v[2:3], v[12:13]
	ds_read2st64_b32 v[14:15], v9 offset0:24 offset1:26
	ds_write2st64_b32 v9, v12, v13 offset0:16 offset1:18
	ds_read2st64_b32 v[12:13], v9 offset0:28 offset1:30
	s_waitcnt lgkmcnt(3)
	v_pk_mul_f32 v[10:11], v[2:3], v[10:11]
	ds_write2st64_b32 v9, v10, v11 offset0:20 offset1:22
	s_waitcnt lgkmcnt(3)
	v_pk_mul_f32 v[10:11], v[2:3], v[14:15]
	ds_write2st64_b32 v9, v10, v11 offset0:24 offset1:26
	s_waitcnt lgkmcnt(2)
	v_pk_mul_f32 v[10:11], v[2:3], v[12:13]
	s_add_i32 s16, s16, 16
	v_cmp_eq_u32_e32 vcc, 0, v8
	ds_write2st64_b32 v9, v10, v11 offset0:28 offset1:30
	v_add_u32_e32 v9, 0x2000, v9
	s_or_b64 s[14:15], vcc, s[14:15]
	v_mov_b32_e32 v10, s16
	s_andn2_b64 exec, exec, s[14:15]
	s_cbranch_execnz .LBB206_29
; %bb.30:
	s_or_b64 exec, exec, s[14:15]
.LBB206_31:
	s_or_b64 exec, exec, s[10:11]
	v_and_b32_e32 v7, 7, v7
	v_cmp_ne_u32_e32 vcc, 0, v7
	s_and_saveexec_b64 s[10:11], vcc
	s_cbranch_execz .LBB206_34
; %bb.32:
	v_lshlrev_b32_e32 v8, 9, v10
	s_movk_i32 s14, 0x210
	v_add3_u32 v8, v8, v26, s14
	s_mov_b64 s[14:15], 0
.LBB206_33:                             ; =>This Inner Loop Header: Depth=1
	ds_read2st64_b32 v[10:11], v8 offset1:2
	v_add_u32_e32 v7, -1, v7
	v_cmp_eq_u32_e32 vcc, 0, v7
	s_or_b64 s[14:15], vcc, s[14:15]
	s_waitcnt lgkmcnt(0)
	v_pk_mul_f32 v[10:11], v[2:3], v[10:11]
	ds_write2st64_b32 v8, v10, v11 offset1:2
	v_add_u32_e32 v8, 0x400, v8
	s_andn2_b64 exec, exec, s[14:15]
	s_cbranch_execnz .LBB206_33
.LBB206_34:
	s_or_b64 exec, exec, s[10:11]
	v_add_u32_e32 v6, 1, v6
	v_and_b32_e32 v7, 0x3fffffe, v6
	v_cmp_ne_u32_e32 vcc, v6, v7
	v_lshl_add_u32 v3, v7, 7, v0
	s_orn2_b64 s[10:11], vcc, exec
.LBB206_35:
	s_or_b64 exec, exec, s[8:9]
	s_and_b64 exec, exec, s[10:11]
	s_cbranch_execz .LBB206_38
; %bb.36:
	v_mov_b32_e32 v6, 0x210
	v_lshl_add_u32 v6, v3, 2, v6
	s_mov_b64 s[8:9], 0
.LBB206_37:                             ; =>This Inner Loop Header: Depth=1
	ds_read_b32 v7, v6
	v_add_u32_e32 v3, 0x80, v3
	v_cmp_le_i32_e32 vcc, s3, v3
	s_or_b64 s[8:9], vcc, s[8:9]
	s_waitcnt lgkmcnt(0)
	v_mul_f32_e32 v7, v2, v7
	ds_write_b32 v6, v7
	v_add_u32_e32 v6, 0x200, v6
	s_andn2_b64 exec, exec, s[8:9]
	s_cbranch_execnz .LBB206_37
.LBB206_38:
	s_or_b64 exec, exec, s[0:1]
	s_mul_i32 s0, s25, s28
	v_cmp_eq_u32_e32 vcc, 0, v0
	s_mul_i32 s8, s0, s5
	s_waitcnt lgkmcnt(0)
	s_barrier
	s_and_saveexec_b64 s[0:1], vcc
	s_cbranch_execz .LBB206_40
; %bb.39:
	s_ashr_i32 s9, s8, 31
	s_lshl_b64 s[10:11], s[8:9], 2
	s_add_u32 s5, s22, s10
	s_mul_i32 s2, s25, s2
	s_addc_u32 s9, s23, s11
	s_ashr_i32 s3, s2, 31
	s_lshl_b64 s[2:3], s[2:3], 2
	s_add_u32 s16, s5, s2
	s_addc_u32 s9, s9, s3
	s_ashr_i32 s5, s4, 31
	s_lshl_b64 s[14:15], s[4:5], 2
	s_add_u32 s16, s16, s14
	s_addc_u32 s17, s9, s15
	s_add_u32 s5, s20, s10
	s_addc_u32 s9, s21, s11
	s_add_u32 s2, s5, s2
	s_addc_u32 s3, s9, s3
	s_add_u32 s2, s2, s14
	v_mov_b32_e32 v2, 0
	s_addc_u32 s3, s3, s15
	global_store_dword v2, v4, s[16:17]
	global_store_dword v2, v5, s[2:3]
.LBB206_40:
	s_or_b64 exec, exec, s[0:1]
	v_mov_b32_e32 v9, 0
	v_and_b32_e32 v34, 1, v0
	v_mov_b32_e32 v8, 0
	v_mov_b32_e32 v7, 0
	;; [unrolled: 1-line block ×3, first 2 shown]
	s_and_saveexec_b64 s[2:3], s[6:7]
	s_cbranch_execz .LBB206_52
; %bb.41:
	s_ashr_i32 s1, s41, 31
	s_load_dword s6, s[18:19], 0x0
	s_add_u32 s0, s36, s41
	s_addc_u32 s1, s37, s1
	v_and_b32_e32 v6, 0xfc, v26
	v_mov_b32_e32 v7, 0
	v_and_b32_e32 v2, 4, v26
	s_add_i32 s9, s12, -1
	v_lshl_add_u64 v[10:11], s[0:1], 0, v[6:7]
	v_lshl_add_u32 v3, v27, 3, s40
	s_lshl_b64 s[0:1], s[34:35], 2
	v_add3_u32 v35, v3, v2, 3
	v_lshlrev_b32_e32 v2, 4, v34
	s_add_u32 s0, s30, s0
	v_lshl_or_b32 v2, v27, 5, v2
	s_addc_u32 s1, s31, s1
	s_mov_b32 s5, s13
	s_waitcnt lgkmcnt(0)
	s_mov_b32 s7, s6
	v_add_u32_e32 v36, 0x210, v2
	v_lshl_add_u64 v[12:13], v[18:19], 2, s[0:1]
	s_mov_b64 s[10:11], 0
	v_mov_b32_e32 v6, v7
	v_mov_b32_e32 v8, v7
	;; [unrolled: 1-line block ×3, first 2 shown]
	s_branch .LBB206_43
.LBB206_42:                             ;   in Loop: Header=BB206_43 Depth=1
	s_or_b64 exec, exec, s[0:1]
	s_waitcnt lgkmcnt(0)
	v_mul_f32_e32 v17, v3, v17
	v_fmac_f32_e32 v17, v2, v16
	v_fmac_f32_e32 v17, v4, v14
	v_mul_f32_e32 v14, v3, v25
	v_fmac_f32_e32 v14, v2, v24
	v_fmac_f32_e32 v14, v4, v22
	;; [unrolled: 1-line block ×3, first 2 shown]
	v_add_f32_e32 v7, v7, v14
	v_mul_f32_e32 v14, v3, v29
	v_mul_f32_e32 v3, v3, v31
	v_fmac_f32_e32 v14, v2, v28
	v_fmac_f32_e32 v3, v2, v30
	;; [unrolled: 1-line block ×4, first 2 shown]
	v_add_u32_e32 v18, 2, v18
	v_fmac_f32_e32 v17, v5, v15
	v_fmac_f32_e32 v14, v5, v27
	;; [unrolled: 1-line block ×3, first 2 shown]
	v_cmp_le_i32_e32 vcc, s33, v18
	v_add_f32_e32 v6, v6, v17
	v_add_f32_e32 v8, v8, v14
	;; [unrolled: 1-line block ×3, first 2 shown]
	v_add_u32_e32 v35, 16, v35
	v_add_u32_e32 v36, 64, v36
	s_or_b64 s[10:11], vcc, s[10:11]
	v_lshl_add_u64 v[12:13], v[12:13], 0, 8
	s_andn2_b64 exec, exec, s[10:11]
	s_cbranch_execz .LBB206_51
.LBB206_43:                             ; =>This Inner Loop Header: Depth=1
	global_load_dword v2, v[12:13], off
	v_add_u32_e32 v19, -3, v35
	v_cmp_eq_u32_e32 vcc, s9, v18
	v_add_u32_e32 v37, -2, v35
	v_add_u32_e32 v38, -1, v35
	s_waitcnt vmcnt(0)
	v_mad_i64_i32 v[20:21], s[0:1], v2, s5, v[10:11]
	global_load_dword v14, v[20:21], off
	ds_read_b128 v[2:5], v36
	s_waitcnt vmcnt(0)
	v_and_b32_e32 v15, 0xffff, v14
	v_lshrrev_b32_e32 v16, 16, v14
	v_cvt_pk_f32_fp8_e32 v[14:15], v15
	v_cvt_pk_f32_fp8_e32 v[22:23], v16
	v_pk_mul_f32 v[16:17], s[6:7], v[14:15]
	v_pk_mul_f32 v[14:15], s[6:7], v[22:23]
	s_and_saveexec_b64 s[12:13], vcc
; %bb.44:                               ;   in Loop: Header=BB206_43 Depth=1
	v_cmp_gt_i32_e64 s[0:1], s29, v19
	s_nop 1
	v_cndmask_b32_e64 v16, 0, v16, s[0:1]
	v_cmp_gt_i32_e64 s[0:1], s29, v37
	s_nop 1
	v_cndmask_b32_e64 v17, 0, v17, s[0:1]
	v_cmp_gt_i32_e64 s[0:1], s29, v38
	s_nop 1
	v_cndmask_b32_e64 v14, 0, v14, s[0:1]
	v_cmp_gt_i32_e64 s[0:1], s29, v35
	s_nop 1
	v_cndmask_b32_e64 v15, 0, v15, s[0:1]
; %bb.45:                               ;   in Loop: Header=BB206_43 Depth=1
	s_or_b64 exec, exec, s[12:13]
	global_load_dword v22, v[20:21], off offset:256
	s_waitcnt vmcnt(0)
	v_and_b32_e32 v23, 0xffff, v22
	v_lshrrev_b32_e32 v24, 16, v22
	v_cvt_pk_f32_fp8_e32 v[22:23], v23
	v_cvt_pk_f32_fp8_e32 v[26:27], v24
	v_pk_mul_f32 v[24:25], s[6:7], v[22:23]
	v_pk_mul_f32 v[22:23], s[6:7], v[26:27]
	s_and_saveexec_b64 s[12:13], vcc
; %bb.46:                               ;   in Loop: Header=BB206_43 Depth=1
	v_cmp_gt_i32_e64 s[0:1], s29, v19
	s_nop 1
	v_cndmask_b32_e64 v24, 0, v24, s[0:1]
	v_cmp_gt_i32_e64 s[0:1], s29, v37
	s_nop 1
	v_cndmask_b32_e64 v25, 0, v25, s[0:1]
	v_cmp_gt_i32_e64 s[0:1], s29, v38
	s_nop 1
	v_cndmask_b32_e64 v22, 0, v22, s[0:1]
	v_cmp_gt_i32_e64 s[0:1], s29, v35
	s_nop 1
	v_cndmask_b32_e64 v23, 0, v23, s[0:1]
; %bb.47:                               ;   in Loop: Header=BB206_43 Depth=1
	s_or_b64 exec, exec, s[12:13]
	global_load_dword v26, v[20:21], off offset:512
	;; [unrolled: 24-line block ×3, first 2 shown]
	s_waitcnt vmcnt(0)
	v_and_b32_e32 v21, 0xffff, v20
	v_lshrrev_b32_e32 v30, 16, v20
	v_cvt_pk_f32_fp8_e32 v[20:21], v21
	v_cvt_pk_f32_fp8_e32 v[40:41], v30
	v_pk_mul_f32 v[30:31], s[6:7], v[20:21]
	v_pk_mul_f32 v[20:21], s[6:7], v[40:41]
	s_and_saveexec_b64 s[0:1], vcc
	s_cbranch_execz .LBB206_42
; %bb.50:                               ;   in Loop: Header=BB206_43 Depth=1
	v_cmp_gt_i32_e32 vcc, s29, v19
	s_nop 1
	v_cndmask_b32_e32 v30, 0, v30, vcc
	v_cmp_gt_i32_e32 vcc, s29, v37
	s_nop 1
	v_cndmask_b32_e32 v31, 0, v31, vcc
	;; [unrolled: 3-line block ×4, first 2 shown]
	s_branch .LBB206_42
.LBB206_51:
	s_or_b64 exec, exec, s[10:11]
.LBB206_52:
	s_or_b64 exec, exec, s[2:3]
	ds_bpermute_b32 v2, v33, v6
	ds_bpermute_b32 v3, v33, v7
	;; [unrolled: 1-line block ×4, first 2 shown]
	s_waitcnt lgkmcnt(0)
	s_barrier
	v_pk_add_f32 v[2:3], v[6:7], v[2:3]
	v_and_b32_e32 v6, 0x3c1, v0
	v_pk_add_f32 v[4:5], v[8:9], v[4:5]
	v_cmp_eq_u32_e32 vcc, 64, v6
	s_and_saveexec_b64 s[0:1], vcc
	s_cbranch_execz .LBB206_54
; %bb.53:
	v_mov_b32_e32 v7, 0x210
	v_lshl_add_u32 v7, v32, 1, v7
	ds_write2_b32 v7, v2, v3 offset1:32
	ds_write2_b32 v7, v4, v5 offset0:64 offset1:96
.LBB206_54:
	s_or_b64 exec, exec, s[0:1]
	v_cmp_gt_u32_e32 vcc, 64, v0
	s_waitcnt lgkmcnt(0)
	s_barrier
	s_and_saveexec_b64 s[0:1], vcc
	s_cbranch_execz .LBB206_61
; %bb.55:
	v_cmp_eq_u32_e32 vcc, 0, v34
	s_and_saveexec_b64 s[2:3], vcc
	s_cbranch_execnz .LBB206_64
; %bb.56:
	s_or_b64 exec, exec, s[2:3]
	s_and_saveexec_b64 s[2:3], vcc
	s_cbranch_execnz .LBB206_65
.LBB206_57:
	s_or_b64 exec, exec, s[2:3]
	s_and_saveexec_b64 s[2:3], vcc
	s_cbranch_execnz .LBB206_66
.LBB206_58:
	s_or_b64 exec, exec, s[2:3]
	s_and_saveexec_b64 s[2:3], vcc
	s_cbranch_execz .LBB206_60
.LBB206_59:
	v_mov_b32_e32 v7, 0x210
	v_lshl_add_u32 v1, v1, 2, v7
	ds_read_b32 v1, v1 offset:384
	s_waitcnt lgkmcnt(0)
	v_add_f32_e32 v5, v5, v1
.LBB206_60:
	s_or_b64 exec, exec, s[2:3]
.LBB206_61:
	s_or_b64 exec, exec, s[0:1]
	v_cmp_eq_u32_e32 vcc, 0, v6
	s_barrier
	s_and_saveexec_b64 s[0:1], vcc
	s_cbranch_execz .LBB206_63
; %bb.62:
	s_lshl_b32 s0, s8, 7
	s_ashr_i32 s1, s0, 31
	s_lshl_b64 s[0:1], s[0:1], 2
	s_add_u32 s2, s26, s0
	s_mul_i32 s0, s25, s24
	s_addc_u32 s3, s27, s1
	s_ashr_i32 s1, s0, 31
	s_lshl_b64 s[0:1], s[0:1], 2
	s_add_u32 s2, s2, s0
	s_addc_u32 s3, s3, s1
	s_lshl_b32 s0, s4, 7
	s_ashr_i32 s1, s0, 31
	s_lshl_b64 s[0:1], s[0:1], 2
	s_add_u32 s0, s2, s0
	s_addc_u32 s1, s3, s1
	v_lshlrev_b32_e32 v0, 1, v0
	global_store_dword v0, v2, s[0:1]
	global_store_dword v0, v3, s[0:1] offset:128
	global_store_dword v0, v4, s[0:1] offset:256
	;; [unrolled: 1-line block ×3, first 2 shown]
.LBB206_63:
	s_endpgm
.LBB206_64:
	v_mov_b32_e32 v7, 0x210
	v_lshl_add_u32 v7, v1, 2, v7
	ds_read_b32 v7, v7
	s_waitcnt lgkmcnt(0)
	v_add_f32_e32 v2, v2, v7
	s_or_b64 exec, exec, s[2:3]
	s_and_saveexec_b64 s[2:3], vcc
	s_cbranch_execz .LBB206_57
.LBB206_65:
	v_mov_b32_e32 v7, 0x210
	v_lshl_add_u32 v7, v1, 2, v7
	ds_read_b32 v7, v7 offset:128
	s_waitcnt lgkmcnt(0)
	v_add_f32_e32 v3, v3, v7
	s_or_b64 exec, exec, s[2:3]
	s_and_saveexec_b64 s[2:3], vcc
	s_cbranch_execz .LBB206_58
.LBB206_66:
	v_mov_b32_e32 v7, 0x210
	v_lshl_add_u32 v7, v1, 2, v7
	ds_read_b32 v7, v7 offset:256
	s_waitcnt lgkmcnt(0)
	v_add_f32_e32 v4, v4, v7
	s_or_b64 exec, exec, s[2:3]
	s_and_saveexec_b64 s[2:3], vcc
	s_cbranch_execnz .LBB206_59
	s_branch .LBB206_60
	.section	.rodata,"a",@progbits
	.p2align	6, 0x0
	.amdhsa_kernel _ZN4vllm25paged_attention_v2_kernelIfhLi128ELi8ELi128ELNS_18Fp8KVCacheDataTypeE1ELb0ELi512EEEvPfS2_PT_PKS3_PKT0_S9_ifPKiSB_iPKfiiiSD_SD_iiiii
		.amdhsa_group_segment_fixed_size 528
		.amdhsa_private_segment_fixed_size 0
		.amdhsa_kernarg_size 400
		.amdhsa_user_sgpr_count 2
		.amdhsa_user_sgpr_dispatch_ptr 0
		.amdhsa_user_sgpr_queue_ptr 0
		.amdhsa_user_sgpr_kernarg_segment_ptr 1
		.amdhsa_user_sgpr_dispatch_id 0
		.amdhsa_user_sgpr_kernarg_preload_length 0
		.amdhsa_user_sgpr_kernarg_preload_offset 0
		.amdhsa_user_sgpr_private_segment_size 0
		.amdhsa_uses_dynamic_stack 0
		.amdhsa_enable_private_segment 0
		.amdhsa_system_sgpr_workgroup_id_x 1
		.amdhsa_system_sgpr_workgroup_id_y 1
		.amdhsa_system_sgpr_workgroup_id_z 1
		.amdhsa_system_sgpr_workgroup_info 0
		.amdhsa_system_vgpr_workitem_id 0
		.amdhsa_next_free_vgpr 54
		.amdhsa_next_free_sgpr 45
		.amdhsa_accum_offset 56
		.amdhsa_reserve_vcc 1
		.amdhsa_float_round_mode_32 0
		.amdhsa_float_round_mode_16_64 0
		.amdhsa_float_denorm_mode_32 3
		.amdhsa_float_denorm_mode_16_64 3
		.amdhsa_dx10_clamp 1
		.amdhsa_ieee_mode 1
		.amdhsa_fp16_overflow 0
		.amdhsa_tg_split 0
		.amdhsa_exception_fp_ieee_invalid_op 0
		.amdhsa_exception_fp_denorm_src 0
		.amdhsa_exception_fp_ieee_div_zero 0
		.amdhsa_exception_fp_ieee_overflow 0
		.amdhsa_exception_fp_ieee_underflow 0
		.amdhsa_exception_fp_ieee_inexact 0
		.amdhsa_exception_int_div_zero 0
	.end_amdhsa_kernel
	.section	.text._ZN4vllm25paged_attention_v2_kernelIfhLi128ELi8ELi128ELNS_18Fp8KVCacheDataTypeE1ELb0ELi512EEEvPfS2_PT_PKS3_PKT0_S9_ifPKiSB_iPKfiiiSD_SD_iiiii,"axG",@progbits,_ZN4vllm25paged_attention_v2_kernelIfhLi128ELi8ELi128ELNS_18Fp8KVCacheDataTypeE1ELb0ELi512EEEvPfS2_PT_PKS3_PKT0_S9_ifPKiSB_iPKfiiiSD_SD_iiiii,comdat
.Lfunc_end206:
	.size	_ZN4vllm25paged_attention_v2_kernelIfhLi128ELi8ELi128ELNS_18Fp8KVCacheDataTypeE1ELb0ELi512EEEvPfS2_PT_PKS3_PKT0_S9_ifPKiSB_iPKfiiiSD_SD_iiiii, .Lfunc_end206-_ZN4vllm25paged_attention_v2_kernelIfhLi128ELi8ELi128ELNS_18Fp8KVCacheDataTypeE1ELb0ELi512EEEvPfS2_PT_PKS3_PKT0_S9_ifPKiSB_iPKfiiiSD_SD_iiiii
                                        ; -- End function
	.section	.AMDGPU.csdata,"",@progbits
; Kernel info:
; codeLenInByte = 4364
; NumSgprs: 51
; NumVgprs: 54
; NumAgprs: 0
; TotalNumVgprs: 54
; ScratchSize: 0
; MemoryBound: 0
; FloatMode: 240
; IeeeMode: 1
; LDSByteSize: 528 bytes/workgroup (compile time only)
; SGPRBlocks: 6
; VGPRBlocks: 6
; NumSGPRsForWavesPerEU: 51
; NumVGPRsForWavesPerEU: 54
; AccumOffset: 56
; Occupancy: 8
; WaveLimiterHint : 1
; COMPUTE_PGM_RSRC2:SCRATCH_EN: 0
; COMPUTE_PGM_RSRC2:USER_SGPR: 2
; COMPUTE_PGM_RSRC2:TRAP_HANDLER: 0
; COMPUTE_PGM_RSRC2:TGID_X_EN: 1
; COMPUTE_PGM_RSRC2:TGID_Y_EN: 1
; COMPUTE_PGM_RSRC2:TGID_Z_EN: 1
; COMPUTE_PGM_RSRC2:TIDIG_COMP_CNT: 0
; COMPUTE_PGM_RSRC3_GFX90A:ACCUM_OFFSET: 13
; COMPUTE_PGM_RSRC3_GFX90A:TG_SPLIT: 0
	.section	.text._ZN4vllm25paged_attention_v2_kernelIfhLi192ELi8ELi128ELNS_18Fp8KVCacheDataTypeE1ELb0ELi512EEEvPfS2_PT_PKS3_PKT0_S9_ifPKiSB_iPKfiiiSD_SD_iiiii,"axG",@progbits,_ZN4vllm25paged_attention_v2_kernelIfhLi192ELi8ELi128ELNS_18Fp8KVCacheDataTypeE1ELb0ELi512EEEvPfS2_PT_PKS3_PKT0_S9_ifPKiSB_iPKfiiiSD_SD_iiiii,comdat
	.protected	_ZN4vllm25paged_attention_v2_kernelIfhLi192ELi8ELi128ELNS_18Fp8KVCacheDataTypeE1ELb0ELi512EEEvPfS2_PT_PKS3_PKT0_S9_ifPKiSB_iPKfiiiSD_SD_iiiii ; -- Begin function _ZN4vllm25paged_attention_v2_kernelIfhLi192ELi8ELi128ELNS_18Fp8KVCacheDataTypeE1ELb0ELi512EEEvPfS2_PT_PKS3_PKT0_S9_ifPKiSB_iPKfiiiSD_SD_iiiii
	.globl	_ZN4vllm25paged_attention_v2_kernelIfhLi192ELi8ELi128ELNS_18Fp8KVCacheDataTypeE1ELb0ELi512EEEvPfS2_PT_PKS3_PKT0_S9_ifPKiSB_iPKfiiiSD_SD_iiiii
	.p2align	8
	.type	_ZN4vllm25paged_attention_v2_kernelIfhLi192ELi8ELi128ELNS_18Fp8KVCacheDataTypeE1ELb0ELi512EEEvPfS2_PT_PKS3_PKT0_S9_ifPKiSB_iPKfiiiSD_SD_iiiii,@function
_ZN4vllm25paged_attention_v2_kernelIfhLi192ELi8ELi128ELNS_18Fp8KVCacheDataTypeE1ELb0ELi512EEEvPfS2_PT_PKS3_PKT0_S9_ifPKiSB_iPKfiiiSD_SD_iiiii: ; @_ZN4vllm25paged_attention_v2_kernelIfhLi192ELi8ELi128ELNS_18Fp8KVCacheDataTypeE1ELb0ELi512EEEvPfS2_PT_PKS3_PKT0_S9_ifPKiSB_iPKfiiiSD_SD_iiiii
; %bb.0:
	s_load_dwordx2 s[6:7], s[0:1], 0x40
	s_mov_b32 s34, s3
	s_ashr_i32 s35, s3, 31
	s_lshl_b64 s[8:9], s[34:35], 2
	s_waitcnt lgkmcnt(0)
	s_add_u32 s6, s6, s8
	s_addc_u32 s7, s7, s9
	s_load_dword s35, s[6:7], 0x0
	s_lshl_b32 s42, s4, 9
	s_waitcnt lgkmcnt(0)
	s_cmp_ge_i32 s42, s35
	s_cbranch_scc1 .LBB207_70
; %bb.1:
	s_load_dword s5, s[0:1], 0x90
	s_load_dwordx2 s[10:11], s[0:1], 0x30
	s_waitcnt lgkmcnt(0)
	s_abs_i32 s7, s5
	s_abs_i32 s3, s10
	v_cvt_f32_u32_e32 v1, s3
	s_sub_i32 s8, 0, s3
	s_xor_b32 s6, s5, s10
	s_ashr_i32 s6, s6, 31
	v_rcp_iflag_f32_e32 v1, v1
	s_nop 0
	v_mul_f32_e32 v1, 0x4f7ffffe, v1
	v_cvt_u32_f32_e32 v1, v1
	s_nop 0
	v_readfirstlane_b32 s9, v1
	s_mul_i32 s8, s8, s9
	s_mul_hi_u32 s8, s9, s8
	s_add_i32 s9, s9, s8
	s_mul_hi_u32 s8, s7, s9
	s_mul_i32 s9, s8, s3
	s_sub_i32 s7, s7, s9
	s_add_i32 s10, s8, 1
	s_sub_i32 s9, s7, s3
	s_cmp_ge_u32 s7, s3
	s_cselect_b32 s8, s10, s8
	s_cselect_b32 s7, s9, s7
	s_add_i32 s9, s8, 1
	s_cmp_ge_u32 s7, s3
	s_cselect_b32 s3, s9, s8
	s_xor_b32 s3, s3, s6
	s_sub_i32 s10, s3, s6
	s_abs_i32 s26, s10
	v_cvt_f32_u32_e32 v1, s26
	s_load_dwordx2 s[6:7], s[0:1], 0x50
	s_sub_i32 s3, 0, s26
	s_abs_i32 s27, s2
	v_rcp_iflag_f32_e32 v1, v1
	s_nop 0
	v_mul_f32_e32 v1, 0x4f7ffffe, v1
	v_cvt_u32_f32_e32 v1, v1
	s_nop 0
	v_readfirstlane_b32 s8, v1
	s_mul_i32 s3, s3, s8
	s_mul_hi_u32 s3, s8, s3
	s_add_i32 s8, s8, s3
	s_waitcnt lgkmcnt(0)
	s_cmp_eq_u64 s[6:7], 0
	s_mov_b32 s3, 0
	s_cbranch_scc1 .LBB207_3
; %bb.2:
	s_ashr_i32 s3, s2, 31
	s_lshl_b64 s[12:13], s[2:3], 2
	s_add_u32 s6, s6, s12
	s_addc_u32 s7, s7, s13
	s_load_dword s3, s[6:7], 0x0
.LBB207_3:
	s_load_dwordx4 s[20:23], s[0:1], 0x0
	s_load_dwordx2 s[28:29], s[0:1], 0x10
	s_load_dwordx4 s[12:15], s[0:1], 0x20
	s_load_dwordx2 s[36:37], s[0:1], 0x38
	s_load_dword s33, s[0:1], 0x98
	s_load_dwordx4 s[16:19], s[0:1], 0x58
	s_movk_i32 s6, 0xc0
	s_mul_i32 s30, s2, 0xc0
	s_mul_hi_u32 s38, s27, s8
	v_and_b32_e32 v28, 7, v0
	s_ashr_i32 s31, s30, 31
	v_cmp_gt_u32_e32 vcc, s6, v0
	s_and_saveexec_b64 s[6:7], vcc
	s_cbranch_execz .LBB207_6
; %bb.4:
	s_load_dwordx2 s[8:9], s[0:1], 0x18
	s_waitcnt lgkmcnt(0)
	s_mul_i32 s24, s34, s16
	v_lshrrev_b32_e32 v2, 3, v0
	s_ashr_i32 s25, s24, 31
	v_lshlrev_b32_e32 v3, 2, v2
	s_movk_i32 s16, 0x60
	s_lshl_b64 s[24:25], s[24:25], 2
	s_lshl_b64 s[40:41], s[30:31], 2
	v_mad_u32_u24 v4, v28, s16, v3
	s_add_u32 s16, s24, s40
	s_addc_u32 s19, s25, s41
	v_lshlrev_b32_e32 v3, 2, v28
	s_add_u32 s8, s8, s16
	v_add_u32_e32 v1, -16, v2
	v_lshl_or_b32 v2, v2, 5, v3
	v_mov_b32_e32 v3, 0
	s_addc_u32 s9, s9, s19
	v_lshl_add_u64 v[2:3], s[8:9], 0, v[2:3]
	s_mov_b64 s[8:9], 0
	s_mov_b64 s[24:25], 0x200
.LBB207_5:                              ; =>This Inner Loop Header: Depth=1
	global_load_dword v5, v[2:3], off
	v_add_u32_e32 v1, 16, v1
	v_cmp_lt_u32_e32 vcc, 7, v1
	v_lshl_add_u64 v[2:3], v[2:3], 0, s[24:25]
	s_or_b64 s[8:9], vcc, s[8:9]
	s_waitcnt vmcnt(0)
	ds_write_b32 v4, v5
	v_add_u32_e32 v4, 64, v4
	s_andn2_b64 exec, exec, s[8:9]
	s_cbranch_execnz .LBB207_5
.LBB207_6:
	s_or_b64 exec, exec, s[6:7]
	s_add_i32 s8, s35, 7
	s_ashr_i32 s9, s8, 31
	s_ashr_i32 s6, s2, 31
	;; [unrolled: 1-line block ×3, first 2 shown]
	s_lshr_b32 s9, s9, 29
	s_add_i32 s8, s8, s9
	s_lshl_b32 s10, s4, 6
	s_xor_b32 s6, s6, s7
	s_mul_i32 s7, s38, s26
	s_ashr_i32 s31, s8, 3
	s_add_i32 s8, s10, 64
	s_sub_i32 s7, s27, s7
	s_waitcnt lgkmcnt(0)
	s_min_i32 s16, s8, s31
	s_add_i32 s8, s38, 1
	s_sub_i32 s9, s7, s26
	s_cmp_ge_u32 s7, s26
	s_cselect_b32 s8, s8, s38
	s_cselect_b32 s7, s9, s7
	s_add_i32 s9, s8, 1
	s_cmp_ge_u32 s7, s26
	s_cselect_b32 s7, s9, s8
	s_load_dword s8, s[0:1], 0x48
	v_lshrrev_b32_e32 v34, 6, v0
	s_xor_b32 s7, s7, s6
	v_or_b32_e32 v26, s10, v34
	s_sub_i32 s43, s7, s6
	s_waitcnt lgkmcnt(0)
	s_mul_i32 s38, s34, s8
	s_ashr_i32 s39, s38, 31
	v_cmp_gt_i32_e64 s[8:9], s16, v26
	v_cmp_le_i32_e32 vcc, s16, v26
	v_mbcnt_lo_u32_b32 v29, -1, 0
	s_barrier
	s_waitcnt lgkmcnt(0)
                                        ; implicit-def: $sgpr19
                                        ; implicit-def: $vgpr35
                                        ; implicit-def: $vgpr36
	s_and_saveexec_b64 s[6:7], vcc
	s_xor_b64 s[6:7], exec, s[6:7]
; %bb.7:
	v_mbcnt_hi_u32_b32 v35, -1, v29
	v_and_b32_e32 v1, 64, v35
	v_add_u32_e32 v36, 64, v1
	s_mov_b32 s19, 0xff7fffff
                                        ; implicit-def: $vgpr28
                                        ; implicit-def: $vgpr29
; %bb.8:
	s_or_saveexec_b64 s[40:41], s[6:7]
	s_load_dwordx4 s[24:27], s[0:1], 0x68
	v_mov_b32_e32 v1, s19
	s_mul_i32 s43, s43, s18
	v_ashrrev_i32_e32 v27, 31, v26
	s_xor_b64 exec, exec, s[40:41]
	s_cbranch_execz .LBB207_14
; %bb.9:
	v_mbcnt_hi_u32_b32 v35, -1, v29
	v_and_b32_e32 v29, 64, v35
	v_mul_u32_u24_e32 v22, 0x60, v28
	v_add_u32_e32 v36, 64, v29
	v_xor_b32_e32 v29, 4, v35
	ds_read_b128 v[2:5], v22
	ds_read_b128 v[6:9], v22 offset:16
	ds_read_b128 v[10:13], v22 offset:32
	;; [unrolled: 1-line block ×5, first 2 shown]
	v_cmp_lt_i32_e32 vcc, v29, v36
	s_ashr_i32 s1, s43, 31
	v_bfe_u32 v1, v0, 3, 3
	v_cndmask_b32_e32 v29, v35, v29, vcc
	v_lshlrev_b32_e32 v37, 2, v29
	v_xor_b32_e32 v29, 2, v35
	s_add_u32 s0, s12, s43
	v_cmp_lt_i32_e32 vcc, v29, v36
	s_addc_u32 s1, s13, s1
	v_lshlrev_b32_e32 v32, 4, v1
	v_mov_b32_e32 v33, 0
	v_cndmask_b32_e32 v29, v35, v29, vcc
	s_waitcnt lgkmcnt(0)
	s_load_dword s24, s[24:25], 0x0
	v_lshl_add_u64 v[30:31], s[0:1], 0, v[32:33]
	v_lshlrev_b32_e32 v38, 2, v29
	v_xor_b32_e32 v29, 1, v35
	s_sub_i32 s25, 1, s35
	v_lshlrev_b32_e32 v32, 3, v34
	s_lshl_b64 s[0:1], s[38:39], 2
	v_cmp_lt_i32_e32 vcc, v29, v36
	v_add3_u32 v40, s42, v32, v1
	v_lshlrev_b32_e32 v1, 2, v1
	s_add_u32 s0, s36, s0
	v_cndmask_b32_e32 v29, v35, v29, vcc
	v_lshl_or_b32 v1, v34, 5, v1
	s_addc_u32 s1, s37, s1
	s_mov_b32 s44, s17
	v_lshlrev_b32_e32 v39, 2, v29
	v_cmp_eq_u32_e32 vcc, 0, v28
	v_cmp_neq_f32_e64 s[6:7], s3, 0
	v_mov_b32_e32 v29, v33
	v_add_u32_e32 v41, 0x310, v1
	v_lshl_add_u64 v[32:33], v[26:27], 2, s[0:1]
	s_mov_b64 s[12:13], 0
	v_mov_b32_e32 v1, 0xff7fffff
	v_mov_b32_e32 v42, v26
	s_branch .LBB207_11
.LBB207_10:                             ;   in Loop: Header=BB207_11 Depth=1
	s_or_b64 exec, exec, s[18:19]
	v_add_u32_e32 v42, 2, v42
	v_cmp_le_i32_e64 s[0:1], s16, v42
	v_add_u32_e32 v40, 16, v40
	v_add_u32_e32 v41, 64, v41
	s_or_b64 s[12:13], s[0:1], s[12:13]
	v_lshl_add_u64 v[32:33], v[32:33], 0, 8
	s_andn2_b64 exec, exec, s[12:13]
	s_cbranch_execz .LBB207_13
.LBB207_11:                             ; =>This Inner Loop Header: Depth=1
	global_load_dword v43, v[32:33], off
	s_waitcnt vmcnt(0) lgkmcnt(0)
	v_mad_i64_i32 v[44:45], s[0:1], v43, s44, v[30:31]
	v_lshl_add_u64 v[44:45], v[44:45], 0, v[28:29]
	global_load_ubyte v43, v[44:45], off
	global_load_ubyte v46, v[44:45], off offset:8
	global_load_ubyte v47, v[44:45], off offset:128
	;; [unrolled: 1-line block ×22, first 2 shown]
	s_nop 0
	global_load_ubyte v44, v[44:45], off offset:1416
	s_waitcnt vmcnt(23)
	v_cvt_f32_fp8_sdwa v43, v43 src0_sel:BYTE_0
	s_waitcnt vmcnt(22)
	v_cvt_f32_fp8_sdwa v45, v46 src0_sel:BYTE_0
	;; [unrolled: 2-line block ×5, first 2 shown]
	s_waitcnt lgkmcnt(0)
	v_mul_f32_e32 v45, s24, v45
	s_waitcnt vmcnt(18)
	v_cvt_f32_fp8_sdwa v49, v50 src0_sel:BYTE_0
	v_mul_f32_e32 v43, s24, v43
	v_mul_f32_e32 v45, v3, v45
	s_waitcnt vmcnt(17)
	v_cvt_f32_fp8_sdwa v50, v51 src0_sel:BYTE_0
	v_mul_f32_e32 v46, s24, v46
	v_fmac_f32_e32 v45, v2, v43
	s_waitcnt vmcnt(16)
	v_cvt_f32_fp8_sdwa v51, v52 src0_sel:BYTE_0
	v_mul_f32_e32 v47, s24, v47
	v_fmac_f32_e32 v45, v4, v46
	;; [unrolled: 4-line block ×18, first 2 shown]
	v_mul_f32_e32 v64, s24, v64
	v_fmac_f32_e32 v45, v21, v63
	v_mul_f32_e32 v65, s24, v65
	v_fmac_f32_e32 v45, v22, v64
	;; [unrolled: 2-line block ×4, first 2 shown]
	v_fmac_f32_e32 v45, v25, v44
	ds_bpermute_b32 v43, v37, v45
	s_waitcnt lgkmcnt(0)
	v_add_f32_e32 v43, v45, v43
	ds_bpermute_b32 v44, v38, v43
	s_waitcnt lgkmcnt(0)
	v_add_f32_e32 v43, v43, v44
	ds_bpermute_b32 v44, v39, v43
	s_and_saveexec_b64 s[18:19], vcc
	s_cbranch_execz .LBB207_10
; %bb.12:                               ;   in Loop: Header=BB207_11 Depth=1
	v_add_u32_e32 v45, s25, v40
	v_cvt_f32_i32_e32 v45, v45
	s_waitcnt lgkmcnt(0)
	v_add_f32_e32 v43, v43, v44
	v_cmp_gt_i32_e64 s[0:1], s35, v40
	v_max_f32_e32 v44, v1, v1
	v_mul_f32_e32 v45, s3, v45
	v_cndmask_b32_e64 v45, 0, v45, s[6:7]
	v_fmac_f32_e32 v45, s11, v43
	v_cndmask_b32_e64 v43, 0, v45, s[0:1]
	ds_write_b32 v41, v43
	v_max_f32_e32 v43, v44, v45
	v_cndmask_b32_e64 v1, v1, v43, s[0:1]
	s_branch .LBB207_10
.LBB207_13:
	s_or_b64 exec, exec, s[12:13]
.LBB207_14:
	s_or_b64 exec, exec, s[40:41]
	v_xor_b32_e32 v2, 32, v35
	v_cmp_lt_i32_e32 vcc, v2, v36
	v_xor_b32_e32 v4, 16, v35
	v_xor_b32_e32 v5, 8, v35
	v_cndmask_b32_e32 v2, v35, v2, vcc
	v_lshlrev_b32_e32 v3, 2, v2
	ds_bpermute_b32 v2, v3, v1
	v_max_f32_e32 v1, v1, v1
	v_cmp_lt_i32_e32 vcc, v4, v36
	s_waitcnt lgkmcnt(0)
	v_max_f32_e32 v2, v2, v2
	v_max_f32_e32 v1, v1, v2
	v_cndmask_b32_e32 v2, v35, v4, vcc
	v_lshlrev_b32_e32 v6, 2, v2
	ds_bpermute_b32 v2, v6, v1
	v_cmp_lt_i32_e32 vcc, v5, v36
	s_waitcnt lgkmcnt(0)
	v_max_f32_e32 v2, v2, v2
	v_max_f32_e32 v4, v1, v2
	v_cndmask_b32_e32 v1, v35, v5, vcc
	v_lshlrev_b32_e32 v7, 2, v1
	ds_bpermute_b32 v5, v7, v4
	v_and_b32_e32 v1, 63, v0
	v_cmp_eq_u32_e32 vcc, 0, v1
	v_lshlrev_b32_e32 v2, 2, v34
	s_and_saveexec_b64 s[0:1], vcc
	s_cbranch_execz .LBB207_16
; %bb.15:
	s_waitcnt lgkmcnt(0)
	v_max_f32_e32 v5, v5, v5
	v_max_f32_e32 v4, v4, v4
	;; [unrolled: 1-line block ×3, first 2 shown]
	ds_write_b32 v2, v4 offset:768
.LBB207_16:
	s_or_b64 exec, exec, s[0:1]
	v_cmp_gt_u32_e64 s[0:1], 2, v1
	v_mov_b32_e32 v4, 0xff7fffff
	s_waitcnt lgkmcnt(0)
	v_lshlrev_b32_e32 v5, 2, v1
	s_barrier
	s_and_saveexec_b64 s[6:7], s[0:1]
	s_cbranch_execz .LBB207_18
; %bb.17:
	ds_read_b32 v4, v5 offset:768
.LBB207_18:
	s_or_b64 exec, exec, s[6:7]
	v_xor_b32_e32 v8, 1, v35
	v_cmp_lt_i32_e64 s[6:7], v8, v36
	s_sub_i32 s3, s16, s10
	s_lshl_b32 s3, s3, 3
	v_cndmask_b32_e64 v8, v35, v8, s[6:7]
	v_lshlrev_b32_e32 v42, 2, v8
	s_waitcnt lgkmcnt(0)
	ds_bpermute_b32 v8, v42, v4
	v_max_f32_e32 v4, v4, v4
	s_add_i32 s3, s3, s42
	s_min_i32 s24, s3, s35
	s_sub_i32 s3, s24, s42
	s_waitcnt lgkmcnt(0)
	v_max_f32_e32 v8, v8, v8
	v_max_f32_e32 v4, v4, v8
	v_lshlrev_b32_e32 v8, 2, v35
	v_and_b32_e32 v8, 0xffffff00, v8
	ds_bpermute_b32 v4, v8, v4
	v_cmp_gt_i32_e64 s[6:7], s3, v0
	v_mov_b32_e32 v9, 0
	s_and_saveexec_b64 s[12:13], s[6:7]
	s_cbranch_execz .LBB207_22
; %bb.19:
	v_mov_b32_e32 v9, 0x310
	v_lshl_add_u32 v10, v0, 2, v9
	s_mov_b64 s[18:19], 0
	v_mov_b32_e32 v9, 0
	v_mov_b32_e32 v11, v0
.LBB207_20:                             ; =>This Inner Loop Header: Depth=1
	ds_read_b32 v12, v10
	v_add_u32_e32 v11, 0x80, v11
	v_cmp_le_i32_e64 s[10:11], s3, v11
	s_or_b64 s[18:19], s[10:11], s[18:19]
	s_waitcnt lgkmcnt(0)
	v_sub_f32_e32 v12, v12, v4
	v_mul_f32_e32 v12, 0x3fb8aa3b, v12
	v_exp_f32_e32 v12, v12
	ds_write_b32 v10, v12
	v_add_f32_e32 v9, v9, v12
	v_add_u32_e32 v10, 0x200, v10
	s_andn2_b64 exec, exec, s[18:19]
	s_cbranch_execnz .LBB207_20
; %bb.21:
	s_or_b64 exec, exec, s[18:19]
.LBB207_22:
	s_or_b64 exec, exec, s[12:13]
	ds_bpermute_b32 v3, v3, v9
	s_waitcnt lgkmcnt(0)
	v_add_f32_e32 v3, v9, v3
	ds_bpermute_b32 v6, v6, v3
	s_waitcnt lgkmcnt(0)
	v_add_f32_e32 v3, v3, v6
	ds_bpermute_b32 v6, v7, v3
	v_xor_b32_e32 v7, 4, v35
	v_cmp_lt_i32_e64 s[10:11], v7, v36
	s_waitcnt lgkmcnt(0)
	v_add_f32_e32 v3, v3, v6
	v_cndmask_b32_e64 v7, v35, v7, s[10:11]
	v_lshlrev_b32_e32 v7, 2, v7
	ds_bpermute_b32 v6, v7, v3
	v_xor_b32_e32 v7, 2, v35
	v_cmp_lt_i32_e64 s[10:11], v7, v36
	s_waitcnt lgkmcnt(0)
	v_add_f32_e32 v3, v3, v6
	v_cndmask_b32_e64 v7, v35, v7, s[10:11]
	v_lshlrev_b32_e32 v6, 2, v7
	ds_bpermute_b32 v6, v6, v3
	s_waitcnt lgkmcnt(0)
	v_add_f32_e32 v3, v3, v6
	ds_bpermute_b32 v6, v42, v3
	s_waitcnt lgkmcnt(0)
	v_add_f32_e32 v3, v3, v6
	s_and_saveexec_b64 s[10:11], vcc
	s_cbranch_execz .LBB207_24
; %bb.23:
	ds_write_b32 v2, v3 offset:776
.LBB207_24:
	s_or_b64 exec, exec, s[10:11]
	s_waitcnt lgkmcnt(0)
	s_barrier
	s_and_saveexec_b64 s[10:11], s[0:1]
	s_cbranch_execz .LBB207_26
; %bb.25:
	ds_read_b32 v3, v5 offset:776
.LBB207_26:
	s_or_b64 exec, exec, s[10:11]
	s_waitcnt lgkmcnt(0)
	ds_bpermute_b32 v2, v42, v3
	s_waitcnt lgkmcnt(0)
	v_add_f32_e32 v2, v3, v2
	ds_bpermute_b32 v5, v8, v2
	s_and_saveexec_b64 s[0:1], s[6:7]
	s_cbranch_execz .LBB207_39
; %bb.27:
	s_waitcnt lgkmcnt(0)
	v_add_f32_e32 v2, 0x358637bd, v5
	v_div_scale_f32 v3, s[6:7], v2, v2, 1.0
	v_rcp_f32_e32 v6, v3
	v_div_scale_f32 v7, vcc, 1.0, v2, 1.0
	s_movk_i32 s6, 0x7f
	v_fma_f32 v8, -v3, v6, 1.0
	v_fmac_f32_e32 v6, v8, v6
	v_mul_f32_e32 v8, v7, v6
	v_fma_f32 v9, -v3, v8, v7
	v_fmac_f32_e32 v8, v9, v6
	v_fma_f32 v3, -v3, v8, v7
	v_div_fmas_f32 v3, v3, v6, v8
	v_div_fixup_f32 v2, v3, v2, 1.0
	v_xad_u32 v3, v0, -1, s24
	v_subrev_u32_e32 v6, s42, v3
	v_cmp_lt_u32_e32 vcc, s6, v6
	s_mov_b64 s[10:11], -1
	v_mov_b32_e32 v3, v0
	s_and_saveexec_b64 s[6:7], vcc
	s_cbranch_execz .LBB207_36
; %bb.28:
	v_lshrrev_b32_e32 v6, 7, v6
	v_add_u32_e32 v8, -1, v6
	v_lshrrev_b32_e32 v7, 1, v8
	v_mov_b32_e32 v3, v2
	v_add_u32_e32 v7, 1, v7
	v_cmp_lt_u32_e32 vcc, 13, v8
	v_mov_b32_e32 v10, 0
	s_and_saveexec_b64 s[10:11], vcc
	s_cbranch_execz .LBB207_32
; %bb.29:
	v_mov_b32_e32 v9, 0x310
	v_and_b32_e32 v8, -8, v7
	v_lshl_add_u32 v9, v0, 2, v9
	s_mov_b32 s18, 0
	s_mov_b64 s[12:13], 0
.LBB207_30:                             ; =>This Inner Loop Header: Depth=1
	ds_read2st64_b32 v[10:11], v9 offset1:2
	ds_read2st64_b32 v[12:13], v9 offset0:4 offset1:6
	ds_read2st64_b32 v[14:15], v9 offset0:8 offset1:10
	;; [unrolled: 1-line block ×3, first 2 shown]
	v_add_u32_e32 v8, -8, v8
	s_waitcnt lgkmcnt(3)
	v_pk_mul_f32 v[10:11], v[2:3], v[10:11]
	s_waitcnt lgkmcnt(2)
	v_pk_mul_f32 v[12:13], v[2:3], v[12:13]
	ds_write2st64_b32 v9, v10, v11 offset1:2
	ds_write2st64_b32 v9, v12, v13 offset0:4 offset1:6
	ds_read2st64_b32 v[12:13], v9 offset0:16 offset1:18
	s_waitcnt lgkmcnt(4)
	v_pk_mul_f32 v[10:11], v[2:3], v[14:15]
	ds_write2st64_b32 v9, v10, v11 offset0:8 offset1:10
	s_waitcnt lgkmcnt(4)
	v_pk_mul_f32 v[10:11], v[2:3], v[16:17]
	ds_write2st64_b32 v9, v10, v11 offset0:12 offset1:14
	ds_read2st64_b32 v[10:11], v9 offset0:20 offset1:22
	s_waitcnt lgkmcnt(3)
	v_pk_mul_f32 v[12:13], v[2:3], v[12:13]
	ds_read2st64_b32 v[14:15], v9 offset0:24 offset1:26
	ds_write2st64_b32 v9, v12, v13 offset0:16 offset1:18
	ds_read2st64_b32 v[12:13], v9 offset0:28 offset1:30
	s_waitcnt lgkmcnt(3)
	v_pk_mul_f32 v[10:11], v[2:3], v[10:11]
	ds_write2st64_b32 v9, v10, v11 offset0:20 offset1:22
	s_waitcnt lgkmcnt(3)
	v_pk_mul_f32 v[10:11], v[2:3], v[14:15]
	ds_write2st64_b32 v9, v10, v11 offset0:24 offset1:26
	s_waitcnt lgkmcnt(2)
	v_pk_mul_f32 v[10:11], v[2:3], v[12:13]
	s_add_i32 s18, s18, 16
	v_cmp_eq_u32_e32 vcc, 0, v8
	ds_write2st64_b32 v9, v10, v11 offset0:28 offset1:30
	v_add_u32_e32 v9, 0x2000, v9
	s_or_b64 s[12:13], vcc, s[12:13]
	v_mov_b32_e32 v10, s18
	s_andn2_b64 exec, exec, s[12:13]
	s_cbranch_execnz .LBB207_30
; %bb.31:
	s_or_b64 exec, exec, s[12:13]
.LBB207_32:
	s_or_b64 exec, exec, s[10:11]
	v_and_b32_e32 v7, 7, v7
	v_cmp_ne_u32_e32 vcc, 0, v7
	s_and_saveexec_b64 s[10:11], vcc
	s_cbranch_execz .LBB207_35
; %bb.33:
	v_lshlrev_b32_e32 v8, 9, v10
	v_lshlrev_b32_e32 v9, 2, v0
	s_movk_i32 s12, 0x310
	v_add3_u32 v8, v8, v9, s12
	s_mov_b64 s[12:13], 0
.LBB207_34:                             ; =>This Inner Loop Header: Depth=1
	ds_read2st64_b32 v[10:11], v8 offset1:2
	v_add_u32_e32 v7, -1, v7
	v_cmp_eq_u32_e32 vcc, 0, v7
	s_or_b64 s[12:13], vcc, s[12:13]
	s_waitcnt lgkmcnt(0)
	v_pk_mul_f32 v[10:11], v[2:3], v[10:11]
	ds_write2st64_b32 v8, v10, v11 offset1:2
	v_add_u32_e32 v8, 0x400, v8
	s_andn2_b64 exec, exec, s[12:13]
	s_cbranch_execnz .LBB207_34
.LBB207_35:
	s_or_b64 exec, exec, s[10:11]
	v_add_u32_e32 v6, 1, v6
	v_and_b32_e32 v7, 0x3fffffe, v6
	v_cmp_ne_u32_e32 vcc, v6, v7
	v_lshl_add_u32 v3, v7, 7, v0
	s_orn2_b64 s[10:11], vcc, exec
.LBB207_36:
	s_or_b64 exec, exec, s[6:7]
	s_and_b64 exec, exec, s[10:11]
	s_cbranch_execz .LBB207_39
; %bb.37:
	v_mov_b32_e32 v6, 0x310
	v_lshl_add_u32 v6, v3, 2, v6
	s_mov_b64 s[6:7], 0
.LBB207_38:                             ; =>This Inner Loop Header: Depth=1
	ds_read_b32 v7, v6
	v_add_u32_e32 v3, 0x80, v3
	v_cmp_le_i32_e32 vcc, s3, v3
	s_or_b64 s[6:7], vcc, s[6:7]
	s_waitcnt lgkmcnt(0)
	v_mul_f32_e32 v7, v2, v7
	ds_write_b32 v6, v7
	v_add_u32_e32 v6, 0x200, v6
	s_andn2_b64 exec, exec, s[6:7]
	s_cbranch_execnz .LBB207_38
.LBB207_39:
	s_or_b64 exec, exec, s[0:1]
	s_mul_i32 s0, s33, s34
	v_cmp_eq_u32_e32 vcc, 0, v0
	s_mul_i32 s6, s0, s5
	s_waitcnt lgkmcnt(0)
	s_barrier
	s_and_saveexec_b64 s[0:1], vcc
	s_cbranch_execz .LBB207_41
; %bb.40:
	s_ashr_i32 s7, s6, 31
	s_lshl_b64 s[10:11], s[6:7], 2
	s_add_u32 s5, s22, s10
	s_mul_i32 s2, s33, s2
	s_addc_u32 s7, s23, s11
	s_ashr_i32 s3, s2, 31
	s_lshl_b64 s[2:3], s[2:3], 2
	s_add_u32 s18, s5, s2
	s_addc_u32 s7, s7, s3
	s_ashr_i32 s5, s4, 31
	s_lshl_b64 s[12:13], s[4:5], 2
	s_add_u32 s18, s18, s12
	s_addc_u32 s19, s7, s13
	s_add_u32 s5, s20, s10
	s_addc_u32 s7, s21, s11
	;; [unrolled: 2-line block ×3, first 2 shown]
	s_add_u32 s2, s2, s12
	v_mov_b32_e32 v2, 0
	s_addc_u32 s3, s3, s13
	global_store_dword v2, v4, s[18:19]
	global_store_dword v2, v5, s[2:3]
.LBB207_41:
	s_or_b64 exec, exec, s[0:1]
	v_mov_b32_e32 v9, 0
	v_and_b32_e32 v43, 1, v0
	v_mov_b32_e32 v8, 0
	v_mov_b32_e32 v11, 0
	;; [unrolled: 1-line block ×5, first 2 shown]
	s_and_saveexec_b64 s[2:3], s[8:9]
	s_cbranch_execz .LBB207_57
; %bb.42:
	s_ashr_i32 s1, s43, 31
	v_lshlrev_b32_e32 v2, 2, v0
	s_load_dword s8, s[26:27], 0x0
	s_add_u32 s0, s14, s43
	s_addc_u32 s1, s15, s1
	v_and_b32_e32 v6, 0xfc, v2
	v_mov_b32_e32 v7, 0
	v_and_b32_e32 v3, 4, v2
	s_add_i32 s31, s31, -1
	v_lshl_add_u64 v[12:13], s[0:1], 0, v[6:7]
	v_lshl_add_u32 v2, v34, 3, s42
	s_lshl_b64 s[0:1], s[38:39], 2
	v_add3_u32 v44, v2, v3, 3
	v_lshlrev_b32_e32 v2, 4, v43
	s_add_u32 s0, s36, s0
	v_lshl_or_b32 v2, v34, 5, v2
	s_addc_u32 s1, s37, s1
	s_mov_b32 s5, s17
	s_waitcnt lgkmcnt(0)
	s_mov_b32 s9, s8
	v_add_u32_e32 v45, 0x310, v2
	v_lshl_add_u64 v[14:15], v[26:27], 2, s[0:1]
	s_mov_b64 s[10:11], 0
	v_mov_b32_e32 v6, v7
	v_mov_b32_e32 v10, v7
	;; [unrolled: 1-line block ×5, first 2 shown]
	s_branch .LBB207_44
.LBB207_43:                             ;   in Loop: Header=BB207_44 Depth=1
	s_or_b64 exec, exec, s[0:1]
	s_waitcnt lgkmcnt(0)
	v_mul_f32_e32 v19, v3, v19
	v_fmac_f32_e32 v19, v2, v18
	v_fmac_f32_e32 v19, v4, v16
	v_mul_f32_e32 v16, v3, v25
	v_fmac_f32_e32 v16, v2, v24
	v_fmac_f32_e32 v16, v4, v22
	v_fmac_f32_e32 v16, v5, v23
	v_add_f32_e32 v7, v7, v16
	v_mul_f32_e32 v16, v3, v31
	v_fmac_f32_e32 v16, v2, v30
	v_fmac_f32_e32 v16, v4, v28
	v_fmac_f32_e32 v16, v5, v29
	v_add_f32_e32 v10, v10, v16
	;; [unrolled: 5-line block ×3, first 2 shown]
	v_mul_f32_e32 v16, v3, v39
	v_mul_f32_e32 v3, v3, v41
	v_fmac_f32_e32 v16, v2, v38
	v_fmac_f32_e32 v3, v2, v40
	;; [unrolled: 1-line block ×4, first 2 shown]
	v_add_u32_e32 v26, 2, v26
	v_fmac_f32_e32 v19, v5, v17
	v_fmac_f32_e32 v16, v5, v37
	;; [unrolled: 1-line block ×3, first 2 shown]
	v_cmp_le_i32_e32 vcc, s16, v26
	v_add_f32_e32 v6, v6, v19
	v_add_f32_e32 v8, v8, v16
	;; [unrolled: 1-line block ×3, first 2 shown]
	v_add_u32_e32 v44, 16, v44
	v_add_u32_e32 v45, 64, v45
	s_or_b64 s[10:11], vcc, s[10:11]
	v_lshl_add_u64 v[14:15], v[14:15], 0, 8
	s_andn2_b64 exec, exec, s[10:11]
	s_cbranch_execz .LBB207_56
.LBB207_44:                             ; =>This Inner Loop Header: Depth=1
	global_load_dword v2, v[14:15], off
	v_add_u32_e32 v27, -3, v44
	v_cmp_eq_u32_e32 vcc, s31, v26
	v_add_u32_e32 v46, -2, v44
	v_add_u32_e32 v47, -1, v44
	s_waitcnt vmcnt(0)
	v_mad_i64_i32 v[20:21], s[0:1], v2, s5, v[12:13]
	global_load_dword v16, v[20:21], off
	ds_read_b128 v[2:5], v45
	s_waitcnt vmcnt(0)
	v_and_b32_e32 v17, 0xffff, v16
	v_lshrrev_b32_e32 v18, 16, v16
	v_cvt_pk_f32_fp8_e32 v[16:17], v17
	v_cvt_pk_f32_fp8_e32 v[22:23], v18
	v_pk_mul_f32 v[18:19], s[8:9], v[16:17]
	v_pk_mul_f32 v[16:17], s[8:9], v[22:23]
	s_and_saveexec_b64 s[12:13], vcc
; %bb.45:                               ;   in Loop: Header=BB207_44 Depth=1
	v_cmp_gt_i32_e64 s[0:1], s35, v27
	s_nop 1
	v_cndmask_b32_e64 v18, 0, v18, s[0:1]
	v_cmp_gt_i32_e64 s[0:1], s35, v46
	s_nop 1
	v_cndmask_b32_e64 v19, 0, v19, s[0:1]
	v_cmp_gt_i32_e64 s[0:1], s35, v47
	s_nop 1
	v_cndmask_b32_e64 v16, 0, v16, s[0:1]
	v_cmp_gt_i32_e64 s[0:1], s35, v44
	s_nop 1
	v_cndmask_b32_e64 v17, 0, v17, s[0:1]
; %bb.46:                               ;   in Loop: Header=BB207_44 Depth=1
	s_or_b64 exec, exec, s[12:13]
	global_load_dword v22, v[20:21], off offset:256
	s_waitcnt vmcnt(0)
	v_and_b32_e32 v23, 0xffff, v22
	v_lshrrev_b32_e32 v24, 16, v22
	v_cvt_pk_f32_fp8_e32 v[22:23], v23
	v_cvt_pk_f32_fp8_e32 v[28:29], v24
	v_pk_mul_f32 v[24:25], s[8:9], v[22:23]
	v_pk_mul_f32 v[22:23], s[8:9], v[28:29]
	s_and_saveexec_b64 s[12:13], vcc
; %bb.47:                               ;   in Loop: Header=BB207_44 Depth=1
	v_cmp_gt_i32_e64 s[0:1], s35, v27
	s_nop 1
	v_cndmask_b32_e64 v24, 0, v24, s[0:1]
	v_cmp_gt_i32_e64 s[0:1], s35, v46
	s_nop 1
	v_cndmask_b32_e64 v25, 0, v25, s[0:1]
	v_cmp_gt_i32_e64 s[0:1], s35, v47
	s_nop 1
	v_cndmask_b32_e64 v22, 0, v22, s[0:1]
	v_cmp_gt_i32_e64 s[0:1], s35, v44
	s_nop 1
	v_cndmask_b32_e64 v23, 0, v23, s[0:1]
; %bb.48:                               ;   in Loop: Header=BB207_44 Depth=1
	s_or_b64 exec, exec, s[12:13]
	global_load_dword v28, v[20:21], off offset:512
	;; [unrolled: 24-line block ×5, first 2 shown]
	s_waitcnt vmcnt(0)
	v_and_b32_e32 v21, 0xffff, v20
	v_lshrrev_b32_e32 v40, 16, v20
	v_cvt_pk_f32_fp8_e32 v[20:21], v21
	v_cvt_pk_f32_fp8_e32 v[48:49], v40
	v_pk_mul_f32 v[40:41], s[8:9], v[20:21]
	v_pk_mul_f32 v[20:21], s[8:9], v[48:49]
	s_and_saveexec_b64 s[0:1], vcc
	s_cbranch_execz .LBB207_43
; %bb.55:                               ;   in Loop: Header=BB207_44 Depth=1
	v_cmp_gt_i32_e32 vcc, s35, v27
	s_nop 1
	v_cndmask_b32_e32 v40, 0, v40, vcc
	v_cmp_gt_i32_e32 vcc, s35, v46
	s_nop 1
	v_cndmask_b32_e32 v41, 0, v41, vcc
	;; [unrolled: 3-line block ×4, first 2 shown]
	s_branch .LBB207_43
.LBB207_56:
	s_or_b64 exec, exec, s[10:11]
.LBB207_57:
	s_or_b64 exec, exec, s[2:3]
	ds_bpermute_b32 v2, v42, v6
	ds_bpermute_b32 v3, v42, v7
	;; [unrolled: 1-line block ×6, first 2 shown]
	s_waitcnt lgkmcnt(4)
	v_pk_add_f32 v[4:5], v[6:7], v[2:3]
	s_waitcnt lgkmcnt(0)
	v_pk_add_f32 v[6:7], v[8:9], v[14:15]
	v_and_b32_e32 v8, 0x3c1, v0
	v_pk_add_f32 v[2:3], v[10:11], v[12:13]
	v_cmp_eq_u32_e32 vcc, 64, v8
	s_barrier
	s_and_saveexec_b64 s[0:1], vcc
	s_cbranch_execz .LBB207_59
; %bb.58:
	v_mov_b32_e32 v9, 0x310
	v_lshl_add_u32 v1, v1, 1, v9
	ds_write2_b32 v1, v4, v5 offset1:32
	ds_write2_b32 v1, v2, v3 offset0:64 offset1:96
	ds_write2_b32 v1, v6, v7 offset0:128 offset1:160
.LBB207_59:
	s_or_b64 exec, exec, s[0:1]
	v_cmp_gt_u32_e32 vcc, 64, v0
	s_waitcnt lgkmcnt(0)
	s_barrier
	s_and_saveexec_b64 s[0:1], vcc
	s_cbranch_execz .LBB207_68
; %bb.60:
	v_cmp_eq_u32_e32 vcc, 0, v43
	v_lshrrev_b32_e32 v1, 1, v0
	s_and_saveexec_b64 s[2:3], vcc
	s_cbranch_execnz .LBB207_71
; %bb.61:
	s_or_b64 exec, exec, s[2:3]
	s_and_saveexec_b64 s[2:3], vcc
	s_cbranch_execnz .LBB207_72
.LBB207_62:
	s_or_b64 exec, exec, s[2:3]
	s_and_saveexec_b64 s[2:3], vcc
	s_cbranch_execnz .LBB207_73
.LBB207_63:
	s_or_b64 exec, exec, s[2:3]
	s_and_saveexec_b64 s[2:3], vcc
	s_cbranch_execnz .LBB207_74
.LBB207_64:
	s_or_b64 exec, exec, s[2:3]
	s_and_saveexec_b64 s[2:3], vcc
	s_cbranch_execnz .LBB207_75
.LBB207_65:
	s_or_b64 exec, exec, s[2:3]
	s_and_saveexec_b64 s[2:3], vcc
	s_cbranch_execz .LBB207_67
.LBB207_66:
	v_mov_b32_e32 v9, 0x310
	v_lshl_add_u32 v1, v1, 2, v9
	ds_read_b32 v1, v1 offset:640
	s_waitcnt lgkmcnt(0)
	v_add_f32_e32 v7, v7, v1
.LBB207_67:
	s_or_b64 exec, exec, s[2:3]
.LBB207_68:
	s_or_b64 exec, exec, s[0:1]
	v_cmp_eq_u32_e32 vcc, 0, v8
	s_barrier
	s_and_saveexec_b64 s[0:1], vcc
	s_cbranch_execz .LBB207_70
; %bb.69:
	s_mul_i32 s0, s6, 0xc0
	s_ashr_i32 s1, s0, 31
	s_lshl_b64 s[0:1], s[0:1], 2
	s_add_u32 s2, s28, s0
	s_mul_i32 s0, s33, s30
	s_addc_u32 s3, s29, s1
	s_ashr_i32 s1, s0, 31
	s_lshl_b64 s[0:1], s[0:1], 2
	s_add_u32 s2, s2, s0
	s_mul_i32 s0, s4, 0xc0
	s_addc_u32 s3, s3, s1
	s_ashr_i32 s1, s0, 31
	s_lshl_b64 s[0:1], s[0:1], 2
	s_add_u32 s0, s2, s0
	s_addc_u32 s1, s3, s1
	v_lshlrev_b32_e32 v0, 1, v0
	global_store_dword v0, v4, s[0:1]
	global_store_dword v0, v5, s[0:1] offset:128
	global_store_dword v0, v2, s[0:1] offset:256
	;; [unrolled: 1-line block ×5, first 2 shown]
.LBB207_70:
	s_endpgm
.LBB207_71:
	v_mov_b32_e32 v9, 0x310
	v_lshl_add_u32 v9, v1, 2, v9
	ds_read_b32 v9, v9
	s_waitcnt lgkmcnt(0)
	v_add_f32_e32 v4, v4, v9
	s_or_b64 exec, exec, s[2:3]
	s_and_saveexec_b64 s[2:3], vcc
	s_cbranch_execz .LBB207_62
.LBB207_72:
	v_mov_b32_e32 v9, 0x310
	v_lshl_add_u32 v9, v1, 2, v9
	ds_read_b32 v9, v9 offset:128
	s_waitcnt lgkmcnt(0)
	v_add_f32_e32 v5, v5, v9
	s_or_b64 exec, exec, s[2:3]
	s_and_saveexec_b64 s[2:3], vcc
	s_cbranch_execz .LBB207_63
.LBB207_73:
	v_mov_b32_e32 v9, 0x310
	v_lshl_add_u32 v9, v1, 2, v9
	ds_read_b32 v9, v9 offset:256
	s_waitcnt lgkmcnt(0)
	v_add_f32_e32 v2, v2, v9
	s_or_b64 exec, exec, s[2:3]
	s_and_saveexec_b64 s[2:3], vcc
	s_cbranch_execz .LBB207_64
.LBB207_74:
	v_mov_b32_e32 v9, 0x310
	v_lshl_add_u32 v9, v1, 2, v9
	ds_read_b32 v9, v9 offset:384
	s_waitcnt lgkmcnt(0)
	v_add_f32_e32 v3, v3, v9
	s_or_b64 exec, exec, s[2:3]
	s_and_saveexec_b64 s[2:3], vcc
	s_cbranch_execz .LBB207_65
.LBB207_75:
	v_mov_b32_e32 v9, 0x310
	v_lshl_add_u32 v9, v1, 2, v9
	ds_read_b32 v9, v9 offset:512
	s_waitcnt lgkmcnt(0)
	v_add_f32_e32 v6, v6, v9
	s_or_b64 exec, exec, s[2:3]
	s_and_saveexec_b64 s[2:3], vcc
	s_cbranch_execnz .LBB207_66
	s_branch .LBB207_67
	.section	.rodata,"a",@progbits
	.p2align	6, 0x0
	.amdhsa_kernel _ZN4vllm25paged_attention_v2_kernelIfhLi192ELi8ELi128ELNS_18Fp8KVCacheDataTypeE1ELb0ELi512EEEvPfS2_PT_PKS3_PKT0_S9_ifPKiSB_iPKfiiiSD_SD_iiiii
		.amdhsa_group_segment_fixed_size 784
		.amdhsa_private_segment_fixed_size 0
		.amdhsa_kernarg_size 400
		.amdhsa_user_sgpr_count 2
		.amdhsa_user_sgpr_dispatch_ptr 0
		.amdhsa_user_sgpr_queue_ptr 0
		.amdhsa_user_sgpr_kernarg_segment_ptr 1
		.amdhsa_user_sgpr_dispatch_id 0
		.amdhsa_user_sgpr_kernarg_preload_length 0
		.amdhsa_user_sgpr_kernarg_preload_offset 0
		.amdhsa_user_sgpr_private_segment_size 0
		.amdhsa_uses_dynamic_stack 0
		.amdhsa_enable_private_segment 0
		.amdhsa_system_sgpr_workgroup_id_x 1
		.amdhsa_system_sgpr_workgroup_id_y 1
		.amdhsa_system_sgpr_workgroup_id_z 1
		.amdhsa_system_sgpr_workgroup_info 0
		.amdhsa_system_vgpr_workitem_id 0
		.amdhsa_next_free_vgpr 68
		.amdhsa_next_free_sgpr 45
		.amdhsa_accum_offset 68
		.amdhsa_reserve_vcc 1
		.amdhsa_float_round_mode_32 0
		.amdhsa_float_round_mode_16_64 0
		.amdhsa_float_denorm_mode_32 3
		.amdhsa_float_denorm_mode_16_64 3
		.amdhsa_dx10_clamp 1
		.amdhsa_ieee_mode 1
		.amdhsa_fp16_overflow 0
		.amdhsa_tg_split 0
		.amdhsa_exception_fp_ieee_invalid_op 0
		.amdhsa_exception_fp_denorm_src 0
		.amdhsa_exception_fp_ieee_div_zero 0
		.amdhsa_exception_fp_ieee_overflow 0
		.amdhsa_exception_fp_ieee_underflow 0
		.amdhsa_exception_fp_ieee_inexact 0
		.amdhsa_exception_int_div_zero 0
	.end_amdhsa_kernel
	.section	.text._ZN4vllm25paged_attention_v2_kernelIfhLi192ELi8ELi128ELNS_18Fp8KVCacheDataTypeE1ELb0ELi512EEEvPfS2_PT_PKS3_PKT0_S9_ifPKiSB_iPKfiiiSD_SD_iiiii,"axG",@progbits,_ZN4vllm25paged_attention_v2_kernelIfhLi192ELi8ELi128ELNS_18Fp8KVCacheDataTypeE1ELb0ELi512EEEvPfS2_PT_PKS3_PKT0_S9_ifPKiSB_iPKfiiiSD_SD_iiiii,comdat
.Lfunc_end207:
	.size	_ZN4vllm25paged_attention_v2_kernelIfhLi192ELi8ELi128ELNS_18Fp8KVCacheDataTypeE1ELb0ELi512EEEvPfS2_PT_PKS3_PKT0_S9_ifPKiSB_iPKfiiiSD_SD_iiiii, .Lfunc_end207-_ZN4vllm25paged_attention_v2_kernelIfhLi192ELi8ELi128ELNS_18Fp8KVCacheDataTypeE1ELb0ELi512EEEvPfS2_PT_PKS3_PKT0_S9_ifPKiSB_iPKfiiiSD_SD_iiiii
                                        ; -- End function
	.section	.AMDGPU.csdata,"",@progbits
; Kernel info:
; codeLenInByte = 5188
; NumSgprs: 51
; NumVgprs: 68
; NumAgprs: 0
; TotalNumVgprs: 68
; ScratchSize: 0
; MemoryBound: 0
; FloatMode: 240
; IeeeMode: 1
; LDSByteSize: 784 bytes/workgroup (compile time only)
; SGPRBlocks: 6
; VGPRBlocks: 8
; NumSGPRsForWavesPerEU: 51
; NumVGPRsForWavesPerEU: 68
; AccumOffset: 68
; Occupancy: 7
; WaveLimiterHint : 1
; COMPUTE_PGM_RSRC2:SCRATCH_EN: 0
; COMPUTE_PGM_RSRC2:USER_SGPR: 2
; COMPUTE_PGM_RSRC2:TRAP_HANDLER: 0
; COMPUTE_PGM_RSRC2:TGID_X_EN: 1
; COMPUTE_PGM_RSRC2:TGID_Y_EN: 1
; COMPUTE_PGM_RSRC2:TGID_Z_EN: 1
; COMPUTE_PGM_RSRC2:TIDIG_COMP_CNT: 0
; COMPUTE_PGM_RSRC3_GFX90A:ACCUM_OFFSET: 16
; COMPUTE_PGM_RSRC3_GFX90A:TG_SPLIT: 0
	.section	.text._ZN4vllm25paged_attention_v2_kernelIfhLi256ELi8ELi128ELNS_18Fp8KVCacheDataTypeE1ELb0ELi512EEEvPfS2_PT_PKS3_PKT0_S9_ifPKiSB_iPKfiiiSD_SD_iiiii,"axG",@progbits,_ZN4vllm25paged_attention_v2_kernelIfhLi256ELi8ELi128ELNS_18Fp8KVCacheDataTypeE1ELb0ELi512EEEvPfS2_PT_PKS3_PKT0_S9_ifPKiSB_iPKfiiiSD_SD_iiiii,comdat
	.protected	_ZN4vllm25paged_attention_v2_kernelIfhLi256ELi8ELi128ELNS_18Fp8KVCacheDataTypeE1ELb0ELi512EEEvPfS2_PT_PKS3_PKT0_S9_ifPKiSB_iPKfiiiSD_SD_iiiii ; -- Begin function _ZN4vllm25paged_attention_v2_kernelIfhLi256ELi8ELi128ELNS_18Fp8KVCacheDataTypeE1ELb0ELi512EEEvPfS2_PT_PKS3_PKT0_S9_ifPKiSB_iPKfiiiSD_SD_iiiii
	.globl	_ZN4vllm25paged_attention_v2_kernelIfhLi256ELi8ELi128ELNS_18Fp8KVCacheDataTypeE1ELb0ELi512EEEvPfS2_PT_PKS3_PKT0_S9_ifPKiSB_iPKfiiiSD_SD_iiiii
	.p2align	8
	.type	_ZN4vllm25paged_attention_v2_kernelIfhLi256ELi8ELi128ELNS_18Fp8KVCacheDataTypeE1ELb0ELi512EEEvPfS2_PT_PKS3_PKT0_S9_ifPKiSB_iPKfiiiSD_SD_iiiii,@function
_ZN4vllm25paged_attention_v2_kernelIfhLi256ELi8ELi128ELNS_18Fp8KVCacheDataTypeE1ELb0ELi512EEEvPfS2_PT_PKS3_PKT0_S9_ifPKiSB_iPKfiiiSD_SD_iiiii: ; @_ZN4vllm25paged_attention_v2_kernelIfhLi256ELi8ELi128ELNS_18Fp8KVCacheDataTypeE1ELb0ELi512EEEvPfS2_PT_PKS3_PKT0_S9_ifPKiSB_iPKfiiiSD_SD_iiiii
; %bb.0:
	s_load_dwordx2 s[6:7], s[0:1], 0x40
	s_mov_b32 s34, s3
	s_ashr_i32 s35, s3, 31
	s_lshl_b64 s[8:9], s[34:35], 2
	s_waitcnt lgkmcnt(0)
	s_add_u32 s6, s6, s8
	s_addc_u32 s7, s7, s9
	s_load_dword s35, s[6:7], 0x0
	s_lshl_b32 s42, s4, 9
	s_waitcnt lgkmcnt(0)
	s_cmp_ge_i32 s42, s35
	s_cbranch_scc1 .LBB208_76
; %bb.1:
	s_load_dword s5, s[0:1], 0x90
	s_load_dwordx2 s[10:11], s[0:1], 0x30
	s_waitcnt lgkmcnt(0)
	s_abs_i32 s7, s5
	s_abs_i32 s3, s10
	v_cvt_f32_u32_e32 v1, s3
	s_sub_i32 s8, 0, s3
	s_xor_b32 s6, s5, s10
	s_ashr_i32 s6, s6, 31
	v_rcp_iflag_f32_e32 v1, v1
	s_nop 0
	v_mul_f32_e32 v1, 0x4f7ffffe, v1
	v_cvt_u32_f32_e32 v1, v1
	s_nop 0
	v_readfirstlane_b32 s9, v1
	s_mul_i32 s8, s8, s9
	s_mul_hi_u32 s8, s9, s8
	s_add_i32 s9, s9, s8
	s_mul_hi_u32 s8, s7, s9
	s_mul_i32 s9, s8, s3
	s_sub_i32 s7, s7, s9
	s_add_i32 s10, s8, 1
	s_sub_i32 s9, s7, s3
	s_cmp_ge_u32 s7, s3
	s_cselect_b32 s8, s10, s8
	s_cselect_b32 s7, s9, s7
	s_add_i32 s9, s8, 1
	s_cmp_ge_u32 s7, s3
	s_cselect_b32 s3, s9, s8
	s_xor_b32 s3, s3, s6
	s_sub_i32 s10, s3, s6
	s_abs_i32 s26, s10
	v_cvt_f32_u32_e32 v1, s26
	s_load_dwordx2 s[6:7], s[0:1], 0x50
	s_sub_i32 s3, 0, s26
	s_abs_i32 s27, s2
	v_rcp_iflag_f32_e32 v1, v1
	s_nop 0
	v_mul_f32_e32 v1, 0x4f7ffffe, v1
	v_cvt_u32_f32_e32 v1, v1
	s_nop 0
	v_readfirstlane_b32 s8, v1
	s_mul_i32 s3, s3, s8
	s_mul_hi_u32 s3, s8, s3
	s_add_i32 s8, s8, s3
	s_waitcnt lgkmcnt(0)
	s_cmp_eq_u64 s[6:7], 0
	s_mov_b32 s3, 0
	s_cbranch_scc1 .LBB208_3
; %bb.2:
	s_ashr_i32 s3, s2, 31
	s_lshl_b64 s[12:13], s[2:3], 2
	s_add_u32 s6, s6, s12
	s_addc_u32 s7, s7, s13
	s_load_dword s3, s[6:7], 0x0
.LBB208_3:
	s_load_dwordx4 s[20:23], s[0:1], 0x0
	s_load_dwordx2 s[28:29], s[0:1], 0x10
	s_load_dwordx4 s[12:15], s[0:1], 0x20
	s_load_dwordx2 s[36:37], s[0:1], 0x38
	s_load_dword s33, s[0:1], 0x98
	s_load_dwordx4 s[16:19], s[0:1], 0x58
	s_lshl_b32 s30, s2, 8
	s_movk_i32 s6, 0x100
	s_mul_hi_u32 s38, s27, s8
	v_and_b32_e32 v36, 7, v0
	s_ashr_i32 s31, s30, 31
	v_cmp_gt_u32_e32 vcc, s6, v0
	s_and_saveexec_b64 s[6:7], vcc
	s_cbranch_execz .LBB208_6
; %bb.4:
	s_load_dwordx2 s[8:9], s[0:1], 0x18
	s_waitcnt lgkmcnt(0)
	s_mul_i32 s24, s34, s16
	s_ashr_i32 s25, s24, 31
	s_lshl_b64 s[24:25], s[24:25], 2
	s_lshl_b64 s[40:41], s[30:31], 2
	v_lshrrev_b32_e32 v2, 3, v0
	s_add_u32 s16, s24, s40
	v_lshlrev_b32_e32 v3, 2, v2
	s_addc_u32 s19, s25, s41
	v_lshl_add_u32 v4, v36, 7, v3
	v_lshlrev_b32_e32 v3, 2, v36
	s_add_u32 s8, s8, s16
	v_add_u32_e32 v1, -16, v2
	v_lshl_or_b32 v2, v2, 5, v3
	v_mov_b32_e32 v3, 0
	s_addc_u32 s9, s9, s19
	v_lshl_add_u64 v[2:3], s[8:9], 0, v[2:3]
	s_mov_b64 s[8:9], 0
	s_mov_b64 s[24:25], 0x200
.LBB208_5:                              ; =>This Inner Loop Header: Depth=1
	global_load_dword v5, v[2:3], off
	v_add_co_u32_e32 v1, vcc, 16, v1
	s_xor_b64 s[40:41], vcc, -1
	s_and_b64 s[40:41], exec, s[40:41]
	v_lshl_add_u64 v[2:3], v[2:3], 0, s[24:25]
	s_or_b64 s[8:9], s[40:41], s[8:9]
	s_waitcnt vmcnt(0)
	ds_write_b32 v4, v5
	v_add_u32_e32 v4, 64, v4
	s_andn2_b64 exec, exec, s[8:9]
	s_cbranch_execnz .LBB208_5
.LBB208_6:
	s_or_b64 exec, exec, s[6:7]
	s_add_i32 s8, s35, 7
	s_ashr_i32 s9, s8, 31
	s_ashr_i32 s6, s2, 31
	;; [unrolled: 1-line block ×3, first 2 shown]
	s_lshr_b32 s9, s9, 29
	s_add_i32 s8, s8, s9
	s_lshl_b32 s10, s4, 6
	s_xor_b32 s6, s6, s7
	s_mul_i32 s7, s38, s26
	s_ashr_i32 s31, s8, 3
	s_add_i32 s8, s10, 64
	s_sub_i32 s7, s27, s7
	s_waitcnt lgkmcnt(0)
	s_min_i32 s16, s8, s31
	s_add_i32 s8, s38, 1
	s_sub_i32 s9, s7, s26
	s_cmp_ge_u32 s7, s26
	s_cselect_b32 s8, s8, s38
	s_cselect_b32 s7, s9, s7
	s_add_i32 s9, s8, 1
	s_cmp_ge_u32 s7, s26
	s_cselect_b32 s7, s9, s8
	s_load_dword s8, s[0:1], 0x48
	v_lshrrev_b32_e32 v42, 6, v0
	s_xor_b32 s7, s7, s6
	v_or_b32_e32 v34, s10, v42
	s_sub_i32 s43, s7, s6
	s_waitcnt lgkmcnt(0)
	s_mul_i32 s38, s34, s8
	s_ashr_i32 s39, s38, 31
	v_cmp_gt_i32_e64 s[8:9], s16, v34
	v_cmp_le_i32_e32 vcc, s16, v34
	v_mbcnt_lo_u32_b32 v37, -1, 0
	s_barrier
	s_waitcnt lgkmcnt(0)
                                        ; implicit-def: $sgpr19
                                        ; implicit-def: $vgpr43
                                        ; implicit-def: $vgpr44
	s_and_saveexec_b64 s[6:7], vcc
	s_xor_b64 s[6:7], exec, s[6:7]
; %bb.7:
	v_mbcnt_hi_u32_b32 v43, -1, v37
	v_and_b32_e32 v1, 64, v43
	v_add_u32_e32 v44, 64, v1
	s_mov_b32 s19, 0xff7fffff
                                        ; implicit-def: $vgpr36
                                        ; implicit-def: $vgpr37
; %bb.8:
	s_or_saveexec_b64 s[40:41], s[6:7]
	s_load_dwordx4 s[24:27], s[0:1], 0x68
	v_mov_b32_e32 v1, s19
	s_mul_i32 s43, s43, s18
	v_ashrrev_i32_e32 v35, 31, v34
	s_xor_b64 exec, exec, s[40:41]
	s_cbranch_execz .LBB208_14
; %bb.9:
	v_lshlrev_b32_e32 v30, 7, v36
	v_mbcnt_hi_u32_b32 v43, -1, v37
	ds_read_b128 v[2:5], v30
	ds_read_b128 v[6:9], v30 offset:16
	ds_read_b128 v[10:13], v30 offset:32
	;; [unrolled: 1-line block ×7, first 2 shown]
	v_and_b32_e32 v37, 64, v43
	v_add_u32_e32 v44, 64, v37
	v_xor_b32_e32 v37, 4, v43
	v_cmp_lt_i32_e32 vcc, v37, v44
	s_ashr_i32 s1, s43, 31
	v_bfe_u32 v1, v0, 3, 3
	v_cndmask_b32_e32 v37, v43, v37, vcc
	v_lshlrev_b32_e32 v45, 2, v37
	v_xor_b32_e32 v37, 2, v43
	s_add_u32 s0, s12, s43
	v_cmp_lt_i32_e32 vcc, v37, v44
	s_addc_u32 s1, s13, s1
	v_lshlrev_b32_e32 v40, 4, v1
	v_mov_b32_e32 v41, 0
	v_cndmask_b32_e32 v37, v43, v37, vcc
	s_waitcnt lgkmcnt(0)
	s_load_dword s24, s[24:25], 0x0
	v_lshl_add_u64 v[38:39], s[0:1], 0, v[40:41]
	v_lshlrev_b32_e32 v46, 2, v37
	v_xor_b32_e32 v37, 1, v43
	s_sub_i32 s25, 1, s35
	v_lshlrev_b32_e32 v40, 3, v42
	s_lshl_b64 s[0:1], s[38:39], 2
	v_cmp_lt_i32_e32 vcc, v37, v44
	v_add3_u32 v48, s42, v40, v1
	v_lshlrev_b32_e32 v1, 2, v1
	s_add_u32 s0, s36, s0
	v_cndmask_b32_e32 v37, v43, v37, vcc
	v_lshl_or_b32 v1, v42, 5, v1
	s_addc_u32 s1, s37, s1
	s_mov_b32 s44, s17
	v_lshlrev_b32_e32 v47, 2, v37
	v_cmp_eq_u32_e32 vcc, 0, v36
	v_cmp_neq_f32_e64 s[6:7], s3, 0
	v_mov_b32_e32 v37, v41
	v_add_u32_e32 v49, 0x410, v1
	v_lshl_add_u64 v[40:41], v[34:35], 2, s[0:1]
	s_mov_b64 s[12:13], 0
	v_mov_b32_e32 v1, 0xff7fffff
	v_mov_b32_e32 v50, v34
	s_branch .LBB208_11
.LBB208_10:                             ;   in Loop: Header=BB208_11 Depth=1
	s_or_b64 exec, exec, s[18:19]
	v_add_u32_e32 v50, 2, v50
	v_cmp_le_i32_e64 s[0:1], s16, v50
	v_add_u32_e32 v48, 16, v48
	v_add_u32_e32 v49, 64, v49
	s_or_b64 s[12:13], s[0:1], s[12:13]
	v_lshl_add_u64 v[40:41], v[40:41], 0, 8
	s_andn2_b64 exec, exec, s[12:13]
	s_cbranch_execz .LBB208_13
.LBB208_11:                             ; =>This Inner Loop Header: Depth=1
	global_load_dword v51, v[40:41], off
	s_waitcnt vmcnt(0) lgkmcnt(0)
	v_mad_i64_i32 v[52:53], s[0:1], v51, s44, v[38:39]
	v_lshl_add_u64 v[52:53], v[52:53], 0, v[36:37]
	global_load_ubyte v51, v[52:53], off
	global_load_ubyte v54, v[52:53], off offset:8
	global_load_ubyte v55, v[52:53], off offset:128
	;; [unrolled: 1-line block ×30, first 2 shown]
	s_nop 0
	global_load_ubyte v52, v[52:53], off offset:1928
	s_waitcnt vmcnt(31)
	v_cvt_f32_fp8_sdwa v51, v51 src0_sel:BYTE_0
	s_waitcnt vmcnt(30)
	v_cvt_f32_fp8_sdwa v53, v54 src0_sel:BYTE_0
	;; [unrolled: 2-line block ×5, first 2 shown]
	s_waitcnt lgkmcnt(0)
	v_mul_f32_e32 v53, s24, v53
	s_waitcnt vmcnt(26)
	v_cvt_f32_fp8_sdwa v57, v58 src0_sel:BYTE_0
	v_mul_f32_e32 v51, s24, v51
	v_mul_f32_e32 v53, v3, v53
	s_waitcnt vmcnt(25)
	v_cvt_f32_fp8_sdwa v58, v59 src0_sel:BYTE_0
	v_mul_f32_e32 v54, s24, v54
	v_fmac_f32_e32 v53, v2, v51
	s_waitcnt vmcnt(24)
	v_cvt_f32_fp8_sdwa v59, v60 src0_sel:BYTE_0
	v_mul_f32_e32 v55, s24, v55
	v_fmac_f32_e32 v53, v4, v54
	;; [unrolled: 4-line block ×26, first 2 shown]
	v_mul_f32_e32 v80, s24, v80
	v_fmac_f32_e32 v53, v29, v79
	v_mul_f32_e32 v81, s24, v81
	v_fmac_f32_e32 v53, v30, v80
	;; [unrolled: 2-line block ×4, first 2 shown]
	v_fmac_f32_e32 v53, v33, v51
	ds_bpermute_b32 v51, v45, v53
	s_waitcnt lgkmcnt(0)
	v_add_f32_e32 v51, v53, v51
	ds_bpermute_b32 v52, v46, v51
	s_waitcnt lgkmcnt(0)
	v_add_f32_e32 v51, v51, v52
	ds_bpermute_b32 v52, v47, v51
	s_and_saveexec_b64 s[18:19], vcc
	s_cbranch_execz .LBB208_10
; %bb.12:                               ;   in Loop: Header=BB208_11 Depth=1
	v_add_u32_e32 v53, s25, v48
	v_cvt_f32_i32_e32 v53, v53
	s_waitcnt lgkmcnt(0)
	v_add_f32_e32 v51, v51, v52
	v_cmp_gt_i32_e64 s[0:1], s35, v48
	v_max_f32_e32 v52, v1, v1
	v_mul_f32_e32 v53, s3, v53
	v_cndmask_b32_e64 v53, 0, v53, s[6:7]
	v_fmac_f32_e32 v53, s11, v51
	v_cndmask_b32_e64 v51, 0, v53, s[0:1]
	ds_write_b32 v49, v51
	v_max_f32_e32 v51, v52, v53
	v_cndmask_b32_e64 v1, v1, v51, s[0:1]
	s_branch .LBB208_10
.LBB208_13:
	s_or_b64 exec, exec, s[12:13]
.LBB208_14:
	s_or_b64 exec, exec, s[40:41]
	v_xor_b32_e32 v2, 32, v43
	v_cmp_lt_i32_e32 vcc, v2, v44
	v_xor_b32_e32 v4, 16, v43
	v_xor_b32_e32 v5, 8, v43
	v_cndmask_b32_e32 v2, v43, v2, vcc
	v_lshlrev_b32_e32 v3, 2, v2
	ds_bpermute_b32 v2, v3, v1
	v_max_f32_e32 v1, v1, v1
	v_cmp_lt_i32_e32 vcc, v4, v44
	s_waitcnt lgkmcnt(0)
	v_max_f32_e32 v2, v2, v2
	v_max_f32_e32 v1, v1, v2
	v_cndmask_b32_e32 v2, v43, v4, vcc
	v_lshlrev_b32_e32 v6, 2, v2
	ds_bpermute_b32 v2, v6, v1
	v_cmp_lt_i32_e32 vcc, v5, v44
	s_waitcnt lgkmcnt(0)
	v_max_f32_e32 v2, v2, v2
	v_max_f32_e32 v4, v1, v2
	v_cndmask_b32_e32 v1, v43, v5, vcc
	v_lshlrev_b32_e32 v7, 2, v1
	ds_bpermute_b32 v5, v7, v4
	v_and_b32_e32 v1, 63, v0
	v_cmp_eq_u32_e32 vcc, 0, v1
	v_lshlrev_b32_e32 v2, 2, v42
	s_and_saveexec_b64 s[0:1], vcc
	s_cbranch_execz .LBB208_16
; %bb.15:
	s_waitcnt lgkmcnt(0)
	v_max_f32_e32 v5, v5, v5
	v_max_f32_e32 v4, v4, v4
	;; [unrolled: 1-line block ×3, first 2 shown]
	ds_write_b32 v2, v4 offset:1024
.LBB208_16:
	s_or_b64 exec, exec, s[0:1]
	v_cmp_gt_u32_e64 s[0:1], 2, v1
	v_mov_b32_e32 v4, 0xff7fffff
	s_waitcnt lgkmcnt(0)
	v_lshlrev_b32_e32 v5, 2, v1
	s_barrier
	s_and_saveexec_b64 s[6:7], s[0:1]
	s_cbranch_execz .LBB208_18
; %bb.17:
	ds_read_b32 v4, v5 offset:1024
.LBB208_18:
	s_or_b64 exec, exec, s[6:7]
	v_xor_b32_e32 v8, 1, v43
	v_cmp_lt_i32_e64 s[6:7], v8, v44
	s_sub_i32 s3, s16, s10
	s_lshl_b32 s3, s3, 3
	v_cndmask_b32_e64 v8, v43, v8, s[6:7]
	v_lshlrev_b32_e32 v52, 2, v8
	s_waitcnt lgkmcnt(0)
	ds_bpermute_b32 v8, v52, v4
	v_max_f32_e32 v4, v4, v4
	s_add_i32 s3, s3, s42
	s_min_i32 s24, s3, s35
	s_sub_i32 s3, s24, s42
	s_waitcnt lgkmcnt(0)
	v_max_f32_e32 v8, v8, v8
	v_max_f32_e32 v4, v4, v8
	v_lshlrev_b32_e32 v8, 2, v43
	v_and_b32_e32 v8, 0xffffff00, v8
	ds_bpermute_b32 v4, v8, v4
	v_cmp_gt_i32_e64 s[6:7], s3, v0
	v_mov_b32_e32 v9, 0
	s_and_saveexec_b64 s[12:13], s[6:7]
	s_cbranch_execz .LBB208_22
; %bb.19:
	v_mov_b32_e32 v9, 0x410
	v_lshl_add_u32 v10, v0, 2, v9
	s_mov_b64 s[18:19], 0
	v_mov_b32_e32 v9, 0
	v_mov_b32_e32 v11, v0
.LBB208_20:                             ; =>This Inner Loop Header: Depth=1
	ds_read_b32 v12, v10
	v_add_u32_e32 v11, 0x80, v11
	v_cmp_le_i32_e64 s[10:11], s3, v11
	s_or_b64 s[18:19], s[10:11], s[18:19]
	s_waitcnt lgkmcnt(0)
	v_sub_f32_e32 v12, v12, v4
	v_mul_f32_e32 v12, 0x3fb8aa3b, v12
	v_exp_f32_e32 v12, v12
	ds_write_b32 v10, v12
	v_add_f32_e32 v9, v9, v12
	v_add_u32_e32 v10, 0x200, v10
	s_andn2_b64 exec, exec, s[18:19]
	s_cbranch_execnz .LBB208_20
; %bb.21:
	s_or_b64 exec, exec, s[18:19]
.LBB208_22:
	s_or_b64 exec, exec, s[12:13]
	ds_bpermute_b32 v3, v3, v9
	s_waitcnt lgkmcnt(0)
	v_add_f32_e32 v3, v9, v3
	ds_bpermute_b32 v6, v6, v3
	s_waitcnt lgkmcnt(0)
	v_add_f32_e32 v3, v3, v6
	ds_bpermute_b32 v6, v7, v3
	v_xor_b32_e32 v7, 4, v43
	v_cmp_lt_i32_e64 s[10:11], v7, v44
	s_waitcnt lgkmcnt(0)
	v_add_f32_e32 v3, v3, v6
	v_cndmask_b32_e64 v7, v43, v7, s[10:11]
	v_lshlrev_b32_e32 v7, 2, v7
	ds_bpermute_b32 v6, v7, v3
	v_xor_b32_e32 v7, 2, v43
	v_cmp_lt_i32_e64 s[10:11], v7, v44
	s_waitcnt lgkmcnt(0)
	v_add_f32_e32 v3, v3, v6
	v_cndmask_b32_e64 v7, v43, v7, s[10:11]
	v_lshlrev_b32_e32 v6, 2, v7
	ds_bpermute_b32 v6, v6, v3
	s_waitcnt lgkmcnt(0)
	v_add_f32_e32 v3, v3, v6
	ds_bpermute_b32 v6, v52, v3
	s_waitcnt lgkmcnt(0)
	v_add_f32_e32 v3, v3, v6
	s_and_saveexec_b64 s[10:11], vcc
	s_cbranch_execz .LBB208_24
; %bb.23:
	ds_write_b32 v2, v3 offset:1032
.LBB208_24:
	s_or_b64 exec, exec, s[10:11]
	s_waitcnt lgkmcnt(0)
	s_barrier
	s_and_saveexec_b64 s[10:11], s[0:1]
	s_cbranch_execz .LBB208_26
; %bb.25:
	ds_read_b32 v3, v5 offset:1032
.LBB208_26:
	s_or_b64 exec, exec, s[10:11]
	s_waitcnt lgkmcnt(0)
	ds_bpermute_b32 v2, v52, v3
	s_waitcnt lgkmcnt(0)
	v_add_f32_e32 v2, v3, v2
	ds_bpermute_b32 v5, v8, v2
	s_and_saveexec_b64 s[0:1], s[6:7]
	s_cbranch_execz .LBB208_39
; %bb.27:
	s_waitcnt lgkmcnt(0)
	v_add_f32_e32 v2, 0x358637bd, v5
	v_div_scale_f32 v3, s[6:7], v2, v2, 1.0
	v_rcp_f32_e32 v6, v3
	v_div_scale_f32 v7, vcc, 1.0, v2, 1.0
	s_movk_i32 s6, 0x7f
	v_fma_f32 v8, -v3, v6, 1.0
	v_fmac_f32_e32 v6, v8, v6
	v_mul_f32_e32 v8, v7, v6
	v_fma_f32 v9, -v3, v8, v7
	v_fmac_f32_e32 v8, v9, v6
	v_fma_f32 v3, -v3, v8, v7
	v_div_fmas_f32 v3, v3, v6, v8
	v_div_fixup_f32 v2, v3, v2, 1.0
	v_xad_u32 v3, v0, -1, s24
	v_subrev_u32_e32 v6, s42, v3
	v_cmp_lt_u32_e32 vcc, s6, v6
	s_mov_b64 s[10:11], -1
	v_mov_b32_e32 v3, v0
	s_and_saveexec_b64 s[6:7], vcc
	s_cbranch_execz .LBB208_36
; %bb.28:
	v_lshrrev_b32_e32 v6, 7, v6
	v_add_u32_e32 v8, -1, v6
	v_lshrrev_b32_e32 v7, 1, v8
	v_mov_b32_e32 v3, v2
	v_add_u32_e32 v7, 1, v7
	v_cmp_lt_u32_e32 vcc, 13, v8
	v_mov_b32_e32 v10, 0
	s_and_saveexec_b64 s[10:11], vcc
	s_cbranch_execz .LBB208_32
; %bb.29:
	v_mov_b32_e32 v9, 0x410
	v_and_b32_e32 v8, -8, v7
	v_lshl_add_u32 v9, v0, 2, v9
	s_mov_b32 s18, 0
	s_mov_b64 s[12:13], 0
.LBB208_30:                             ; =>This Inner Loop Header: Depth=1
	ds_read2st64_b32 v[10:11], v9 offset1:2
	ds_read2st64_b32 v[12:13], v9 offset0:4 offset1:6
	ds_read2st64_b32 v[14:15], v9 offset0:8 offset1:10
	;; [unrolled: 1-line block ×3, first 2 shown]
	v_add_u32_e32 v8, -8, v8
	s_waitcnt lgkmcnt(3)
	v_pk_mul_f32 v[10:11], v[2:3], v[10:11]
	s_waitcnt lgkmcnt(2)
	v_pk_mul_f32 v[12:13], v[2:3], v[12:13]
	ds_write2st64_b32 v9, v10, v11 offset1:2
	ds_write2st64_b32 v9, v12, v13 offset0:4 offset1:6
	ds_read2st64_b32 v[12:13], v9 offset0:16 offset1:18
	s_waitcnt lgkmcnt(4)
	v_pk_mul_f32 v[10:11], v[2:3], v[14:15]
	ds_write2st64_b32 v9, v10, v11 offset0:8 offset1:10
	s_waitcnt lgkmcnt(4)
	v_pk_mul_f32 v[10:11], v[2:3], v[16:17]
	ds_write2st64_b32 v9, v10, v11 offset0:12 offset1:14
	ds_read2st64_b32 v[10:11], v9 offset0:20 offset1:22
	s_waitcnt lgkmcnt(3)
	v_pk_mul_f32 v[12:13], v[2:3], v[12:13]
	ds_read2st64_b32 v[14:15], v9 offset0:24 offset1:26
	ds_write2st64_b32 v9, v12, v13 offset0:16 offset1:18
	ds_read2st64_b32 v[12:13], v9 offset0:28 offset1:30
	s_waitcnt lgkmcnt(3)
	v_pk_mul_f32 v[10:11], v[2:3], v[10:11]
	ds_write2st64_b32 v9, v10, v11 offset0:20 offset1:22
	s_waitcnt lgkmcnt(3)
	v_pk_mul_f32 v[10:11], v[2:3], v[14:15]
	ds_write2st64_b32 v9, v10, v11 offset0:24 offset1:26
	s_waitcnt lgkmcnt(2)
	v_pk_mul_f32 v[10:11], v[2:3], v[12:13]
	s_add_i32 s18, s18, 16
	v_cmp_eq_u32_e32 vcc, 0, v8
	ds_write2st64_b32 v9, v10, v11 offset0:28 offset1:30
	v_add_u32_e32 v9, 0x2000, v9
	s_or_b64 s[12:13], vcc, s[12:13]
	v_mov_b32_e32 v10, s18
	s_andn2_b64 exec, exec, s[12:13]
	s_cbranch_execnz .LBB208_30
; %bb.31:
	s_or_b64 exec, exec, s[12:13]
.LBB208_32:
	s_or_b64 exec, exec, s[10:11]
	v_and_b32_e32 v7, 7, v7
	v_cmp_ne_u32_e32 vcc, 0, v7
	s_and_saveexec_b64 s[10:11], vcc
	s_cbranch_execz .LBB208_35
; %bb.33:
	v_lshlrev_b32_e32 v8, 9, v10
	v_lshlrev_b32_e32 v9, 2, v0
	s_movk_i32 s12, 0x410
	v_add3_u32 v8, v8, v9, s12
	s_mov_b64 s[12:13], 0
.LBB208_34:                             ; =>This Inner Loop Header: Depth=1
	ds_read2st64_b32 v[10:11], v8 offset1:2
	v_add_u32_e32 v7, -1, v7
	v_cmp_eq_u32_e32 vcc, 0, v7
	s_or_b64 s[12:13], vcc, s[12:13]
	s_waitcnt lgkmcnt(0)
	v_pk_mul_f32 v[10:11], v[2:3], v[10:11]
	ds_write2st64_b32 v8, v10, v11 offset1:2
	v_add_u32_e32 v8, 0x400, v8
	s_andn2_b64 exec, exec, s[12:13]
	s_cbranch_execnz .LBB208_34
.LBB208_35:
	s_or_b64 exec, exec, s[10:11]
	v_add_u32_e32 v6, 1, v6
	v_and_b32_e32 v7, 0x3fffffe, v6
	v_cmp_ne_u32_e32 vcc, v6, v7
	v_lshl_add_u32 v3, v7, 7, v0
	s_orn2_b64 s[10:11], vcc, exec
.LBB208_36:
	s_or_b64 exec, exec, s[6:7]
	s_and_b64 exec, exec, s[10:11]
	s_cbranch_execz .LBB208_39
; %bb.37:
	v_mov_b32_e32 v6, 0x410
	v_lshl_add_u32 v6, v3, 2, v6
	s_mov_b64 s[6:7], 0
.LBB208_38:                             ; =>This Inner Loop Header: Depth=1
	ds_read_b32 v7, v6
	v_add_u32_e32 v3, 0x80, v3
	v_cmp_le_i32_e32 vcc, s3, v3
	s_or_b64 s[6:7], vcc, s[6:7]
	s_waitcnt lgkmcnt(0)
	v_mul_f32_e32 v7, v2, v7
	ds_write_b32 v6, v7
	v_add_u32_e32 v6, 0x200, v6
	s_andn2_b64 exec, exec, s[6:7]
	s_cbranch_execnz .LBB208_38
.LBB208_39:
	s_or_b64 exec, exec, s[0:1]
	s_mul_i32 s0, s33, s34
	v_cmp_eq_u32_e32 vcc, 0, v0
	s_mul_i32 s6, s0, s5
	s_waitcnt lgkmcnt(0)
	s_barrier
	s_and_saveexec_b64 s[0:1], vcc
	s_cbranch_execz .LBB208_41
; %bb.40:
	s_ashr_i32 s7, s6, 31
	s_lshl_b64 s[10:11], s[6:7], 2
	s_add_u32 s5, s22, s10
	s_mul_i32 s2, s33, s2
	s_addc_u32 s7, s23, s11
	s_ashr_i32 s3, s2, 31
	s_lshl_b64 s[2:3], s[2:3], 2
	s_add_u32 s18, s5, s2
	s_addc_u32 s7, s7, s3
	s_ashr_i32 s5, s4, 31
	s_lshl_b64 s[12:13], s[4:5], 2
	s_add_u32 s18, s18, s12
	s_addc_u32 s19, s7, s13
	s_add_u32 s5, s20, s10
	s_addc_u32 s7, s21, s11
	;; [unrolled: 2-line block ×3, first 2 shown]
	s_add_u32 s2, s2, s12
	v_mov_b32_e32 v2, 0
	s_addc_u32 s3, s3, s13
	global_store_dword v2, v4, s[18:19]
	global_store_dword v2, v5, s[2:3]
.LBB208_41:
	s_or_b64 exec, exec, s[0:1]
	v_mov_b32_e32 v9, 0
	v_and_b32_e32 v53, 1, v0
	v_mov_b32_e32 v8, 0
	v_mov_b32_e32 v11, 0
	;; [unrolled: 1-line block ×7, first 2 shown]
	s_and_saveexec_b64 s[2:3], s[8:9]
	s_cbranch_execz .LBB208_61
; %bb.42:
	s_ashr_i32 s1, s43, 31
	v_lshlrev_b32_e32 v2, 2, v0
	s_load_dword s8, s[26:27], 0x0
	s_add_u32 s0, s14, s43
	s_addc_u32 s1, s15, s1
	v_and_b32_e32 v6, 0xfc, v2
	v_mov_b32_e32 v7, 0
	v_and_b32_e32 v3, 4, v2
	s_add_i32 s31, s31, -1
	v_lshl_add_u64 v[14:15], s[0:1], 0, v[6:7]
	v_lshl_add_u32 v2, v42, 3, s42
	s_lshl_b64 s[0:1], s[38:39], 2
	v_add3_u32 v54, v2, v3, 3
	v_lshlrev_b32_e32 v2, 4, v53
	s_add_u32 s0, s36, s0
	v_lshl_or_b32 v2, v42, 5, v2
	s_addc_u32 s1, s37, s1
	s_mov_b32 s5, s17
	s_waitcnt lgkmcnt(0)
	s_mov_b32 s9, s8
	v_add_u32_e32 v55, 0x410, v2
	v_lshl_add_u64 v[16:17], v[34:35], 2, s[0:1]
	s_mov_b64 s[10:11], 0
	v_mov_b32_e32 v6, v7
	v_mov_b32_e32 v12, v7
	;; [unrolled: 1-line block ×7, first 2 shown]
	s_branch .LBB208_44
.LBB208_43:                             ;   in Loop: Header=BB208_44 Depth=1
	s_or_b64 exec, exec, s[0:1]
	s_waitcnt lgkmcnt(0)
	v_mul_f32_e32 v21, v3, v21
	v_fmac_f32_e32 v21, v2, v20
	v_fmac_f32_e32 v21, v4, v18
	v_mul_f32_e32 v18, v3, v27
	v_fmac_f32_e32 v18, v2, v26
	v_fmac_f32_e32 v18, v4, v24
	v_fmac_f32_e32 v18, v5, v25
	v_add_f32_e32 v7, v7, v18
	v_mul_f32_e32 v18, v3, v31
	v_fmac_f32_e32 v18, v2, v30
	v_fmac_f32_e32 v18, v4, v28
	v_fmac_f32_e32 v18, v5, v29
	v_add_f32_e32 v12, v12, v18
	;; [unrolled: 5-line block ×5, first 2 shown]
	v_mul_f32_e32 v18, v3, v49
	v_mul_f32_e32 v3, v3, v51
	v_fmac_f32_e32 v18, v2, v48
	v_fmac_f32_e32 v3, v2, v50
	;; [unrolled: 1-line block ×4, first 2 shown]
	v_add_u32_e32 v34, 2, v34
	v_fmac_f32_e32 v21, v5, v19
	v_fmac_f32_e32 v18, v5, v47
	;; [unrolled: 1-line block ×3, first 2 shown]
	v_cmp_le_i32_e32 vcc, s16, v34
	v_add_f32_e32 v6, v6, v21
	v_add_f32_e32 v8, v8, v18
	;; [unrolled: 1-line block ×3, first 2 shown]
	v_add_u32_e32 v54, 16, v54
	v_add_u32_e32 v55, 64, v55
	s_or_b64 s[10:11], vcc, s[10:11]
	v_lshl_add_u64 v[16:17], v[16:17], 0, 8
	s_andn2_b64 exec, exec, s[10:11]
	s_cbranch_execz .LBB208_60
.LBB208_44:                             ; =>This Inner Loop Header: Depth=1
	global_load_dword v2, v[16:17], off
	v_add_u32_e32 v35, -3, v54
	v_cmp_eq_u32_e32 vcc, s31, v34
	v_add_u32_e32 v56, -2, v54
	v_add_u32_e32 v57, -1, v54
	s_waitcnt vmcnt(0)
	v_mad_i64_i32 v[22:23], s[0:1], v2, s5, v[14:15]
	global_load_dword v18, v[22:23], off
	ds_read_b128 v[2:5], v55
	s_waitcnt vmcnt(0)
	v_and_b32_e32 v19, 0xffff, v18
	v_lshrrev_b32_e32 v20, 16, v18
	v_cvt_pk_f32_fp8_e32 v[18:19], v19
	v_cvt_pk_f32_fp8_e32 v[24:25], v20
	v_pk_mul_f32 v[20:21], s[8:9], v[18:19]
	v_pk_mul_f32 v[18:19], s[8:9], v[24:25]
	s_and_saveexec_b64 s[12:13], vcc
; %bb.45:                               ;   in Loop: Header=BB208_44 Depth=1
	v_cmp_gt_i32_e64 s[0:1], s35, v35
	s_nop 1
	v_cndmask_b32_e64 v20, 0, v20, s[0:1]
	v_cmp_gt_i32_e64 s[0:1], s35, v56
	s_nop 1
	v_cndmask_b32_e64 v21, 0, v21, s[0:1]
	v_cmp_gt_i32_e64 s[0:1], s35, v57
	s_nop 1
	v_cndmask_b32_e64 v18, 0, v18, s[0:1]
	v_cmp_gt_i32_e64 s[0:1], s35, v54
	s_nop 1
	v_cndmask_b32_e64 v19, 0, v19, s[0:1]
; %bb.46:                               ;   in Loop: Header=BB208_44 Depth=1
	s_or_b64 exec, exec, s[12:13]
	global_load_dword v24, v[22:23], off offset:256
	s_waitcnt vmcnt(0)
	v_and_b32_e32 v25, 0xffff, v24
	v_lshrrev_b32_e32 v26, 16, v24
	v_cvt_pk_f32_fp8_e32 v[24:25], v25
	v_cvt_pk_f32_fp8_e32 v[28:29], v26
	v_pk_mul_f32 v[26:27], s[8:9], v[24:25]
	v_pk_mul_f32 v[24:25], s[8:9], v[28:29]
	s_and_saveexec_b64 s[12:13], vcc
; %bb.47:                               ;   in Loop: Header=BB208_44 Depth=1
	v_cmp_gt_i32_e64 s[0:1], s35, v35
	s_nop 1
	v_cndmask_b32_e64 v26, 0, v26, s[0:1]
	v_cmp_gt_i32_e64 s[0:1], s35, v56
	s_nop 1
	v_cndmask_b32_e64 v27, 0, v27, s[0:1]
	v_cmp_gt_i32_e64 s[0:1], s35, v57
	s_nop 1
	v_cndmask_b32_e64 v24, 0, v24, s[0:1]
	v_cmp_gt_i32_e64 s[0:1], s35, v54
	s_nop 1
	v_cndmask_b32_e64 v25, 0, v25, s[0:1]
; %bb.48:                               ;   in Loop: Header=BB208_44 Depth=1
	s_or_b64 exec, exec, s[12:13]
	global_load_dword v28, v[22:23], off offset:512
	;; [unrolled: 24-line block ×7, first 2 shown]
	s_waitcnt vmcnt(0)
	v_and_b32_e32 v23, 0xffff, v22
	v_lshrrev_b32_e32 v50, 16, v22
	v_cvt_pk_f32_fp8_e32 v[22:23], v23
	v_cvt_pk_f32_fp8_e32 v[58:59], v50
	v_pk_mul_f32 v[50:51], s[8:9], v[22:23]
	v_pk_mul_f32 v[22:23], s[8:9], v[58:59]
	s_and_saveexec_b64 s[0:1], vcc
	s_cbranch_execz .LBB208_43
; %bb.59:                               ;   in Loop: Header=BB208_44 Depth=1
	v_cmp_gt_i32_e32 vcc, s35, v35
	s_nop 1
	v_cndmask_b32_e32 v50, 0, v50, vcc
	v_cmp_gt_i32_e32 vcc, s35, v56
	s_nop 1
	v_cndmask_b32_e32 v51, 0, v51, vcc
	;; [unrolled: 3-line block ×4, first 2 shown]
	s_branch .LBB208_43
.LBB208_60:
	s_or_b64 exec, exec, s[10:11]
.LBB208_61:
	s_or_b64 exec, exec, s[2:3]
	ds_bpermute_b32 v2, v52, v6
	ds_bpermute_b32 v3, v52, v7
	;; [unrolled: 1-line block ×8, first 2 shown]
	s_waitcnt lgkmcnt(6)
	v_pk_add_f32 v[6:7], v[6:7], v[2:3]
	s_waitcnt lgkmcnt(4)
	v_pk_add_f32 v[2:3], v[10:11], v[14:15]
	v_and_b32_e32 v10, 0x3c1, v0
	s_waitcnt lgkmcnt(2)
	v_pk_add_f32 v[4:5], v[12:13], v[4:5]
	s_waitcnt lgkmcnt(0)
	v_pk_add_f32 v[8:9], v[8:9], v[16:17]
	v_cmp_eq_u32_e32 vcc, 64, v10
	s_barrier
	s_and_saveexec_b64 s[0:1], vcc
	s_cbranch_execz .LBB208_63
; %bb.62:
	v_mov_b32_e32 v11, 0x410
	v_lshl_add_u32 v1, v1, 1, v11
	ds_write2_b32 v1, v6, v7 offset1:32
	ds_write2_b32 v1, v4, v5 offset0:64 offset1:96
	ds_write2_b32 v1, v2, v3 offset0:128 offset1:160
	;; [unrolled: 1-line block ×3, first 2 shown]
.LBB208_63:
	s_or_b64 exec, exec, s[0:1]
	v_cmp_gt_u32_e32 vcc, 64, v0
	s_waitcnt lgkmcnt(0)
	s_barrier
	s_and_saveexec_b64 s[0:1], vcc
	s_cbranch_execz .LBB208_74
; %bb.64:
	v_cmp_eq_u32_e32 vcc, 0, v53
	v_lshrrev_b32_e32 v1, 1, v0
	s_and_saveexec_b64 s[2:3], vcc
	s_cbranch_execnz .LBB208_77
; %bb.65:
	s_or_b64 exec, exec, s[2:3]
	s_and_saveexec_b64 s[2:3], vcc
	s_cbranch_execnz .LBB208_78
.LBB208_66:
	s_or_b64 exec, exec, s[2:3]
	s_and_saveexec_b64 s[2:3], vcc
	s_cbranch_execnz .LBB208_79
.LBB208_67:
	s_or_b64 exec, exec, s[2:3]
	s_and_saveexec_b64 s[2:3], vcc
	s_cbranch_execnz .LBB208_80
.LBB208_68:
	s_or_b64 exec, exec, s[2:3]
	s_and_saveexec_b64 s[2:3], vcc
	s_cbranch_execnz .LBB208_81
.LBB208_69:
	s_or_b64 exec, exec, s[2:3]
	s_and_saveexec_b64 s[2:3], vcc
	s_cbranch_execnz .LBB208_82
.LBB208_70:
	s_or_b64 exec, exec, s[2:3]
	s_and_saveexec_b64 s[2:3], vcc
	s_cbranch_execnz .LBB208_83
.LBB208_71:
	s_or_b64 exec, exec, s[2:3]
	s_and_saveexec_b64 s[2:3], vcc
	s_cbranch_execz .LBB208_73
.LBB208_72:
	v_mov_b32_e32 v11, 0x410
	v_lshl_add_u32 v1, v1, 2, v11
	ds_read_b32 v1, v1 offset:896
	s_waitcnt lgkmcnt(0)
	v_add_f32_e32 v9, v9, v1
.LBB208_73:
	s_or_b64 exec, exec, s[2:3]
.LBB208_74:
	s_or_b64 exec, exec, s[0:1]
	v_cmp_eq_u32_e32 vcc, 0, v10
	s_barrier
	s_and_saveexec_b64 s[0:1], vcc
	s_cbranch_execz .LBB208_76
; %bb.75:
	s_lshl_b32 s0, s6, 8
	s_ashr_i32 s1, s0, 31
	s_lshl_b64 s[0:1], s[0:1], 2
	s_add_u32 s2, s28, s0
	s_mul_i32 s0, s33, s30
	s_addc_u32 s3, s29, s1
	s_ashr_i32 s1, s0, 31
	s_lshl_b64 s[0:1], s[0:1], 2
	s_add_u32 s2, s2, s0
	s_addc_u32 s3, s3, s1
	s_lshl_b32 s0, s4, 8
	s_ashr_i32 s1, s0, 31
	s_lshl_b64 s[0:1], s[0:1], 2
	s_add_u32 s0, s2, s0
	s_addc_u32 s1, s3, s1
	v_lshlrev_b32_e32 v0, 1, v0
	global_store_dword v0, v6, s[0:1]
	global_store_dword v0, v7, s[0:1] offset:128
	global_store_dword v0, v4, s[0:1] offset:256
	;; [unrolled: 1-line block ×7, first 2 shown]
.LBB208_76:
	s_endpgm
.LBB208_77:
	v_mov_b32_e32 v11, 0x410
	v_lshl_add_u32 v11, v1, 2, v11
	ds_read_b32 v11, v11
	s_waitcnt lgkmcnt(0)
	v_add_f32_e32 v6, v6, v11
	s_or_b64 exec, exec, s[2:3]
	s_and_saveexec_b64 s[2:3], vcc
	s_cbranch_execz .LBB208_66
.LBB208_78:
	v_mov_b32_e32 v11, 0x410
	v_lshl_add_u32 v11, v1, 2, v11
	ds_read_b32 v11, v11 offset:128
	s_waitcnt lgkmcnt(0)
	v_add_f32_e32 v7, v7, v11
	s_or_b64 exec, exec, s[2:3]
	s_and_saveexec_b64 s[2:3], vcc
	s_cbranch_execz .LBB208_67
.LBB208_79:
	v_mov_b32_e32 v11, 0x410
	v_lshl_add_u32 v11, v1, 2, v11
	ds_read_b32 v11, v11 offset:256
	s_waitcnt lgkmcnt(0)
	v_add_f32_e32 v4, v4, v11
	s_or_b64 exec, exec, s[2:3]
	s_and_saveexec_b64 s[2:3], vcc
	s_cbranch_execz .LBB208_68
.LBB208_80:
	v_mov_b32_e32 v11, 0x410
	v_lshl_add_u32 v11, v1, 2, v11
	ds_read_b32 v11, v11 offset:384
	s_waitcnt lgkmcnt(0)
	v_add_f32_e32 v5, v5, v11
	s_or_b64 exec, exec, s[2:3]
	s_and_saveexec_b64 s[2:3], vcc
	s_cbranch_execz .LBB208_69
.LBB208_81:
	v_mov_b32_e32 v11, 0x410
	v_lshl_add_u32 v11, v1, 2, v11
	ds_read_b32 v11, v11 offset:512
	s_waitcnt lgkmcnt(0)
	v_add_f32_e32 v2, v2, v11
	s_or_b64 exec, exec, s[2:3]
	s_and_saveexec_b64 s[2:3], vcc
	s_cbranch_execz .LBB208_70
.LBB208_82:
	v_mov_b32_e32 v11, 0x410
	v_lshl_add_u32 v11, v1, 2, v11
	ds_read_b32 v11, v11 offset:640
	s_waitcnt lgkmcnt(0)
	v_add_f32_e32 v3, v3, v11
	s_or_b64 exec, exec, s[2:3]
	s_and_saveexec_b64 s[2:3], vcc
	s_cbranch_execz .LBB208_71
.LBB208_83:
	v_mov_b32_e32 v11, 0x410
	v_lshl_add_u32 v11, v1, 2, v11
	ds_read_b32 v11, v11 offset:768
	s_waitcnt lgkmcnt(0)
	v_add_f32_e32 v8, v8, v11
	s_or_b64 exec, exec, s[2:3]
	s_and_saveexec_b64 s[2:3], vcc
	s_cbranch_execnz .LBB208_72
	s_branch .LBB208_73
	.section	.rodata,"a",@progbits
	.p2align	6, 0x0
	.amdhsa_kernel _ZN4vllm25paged_attention_v2_kernelIfhLi256ELi8ELi128ELNS_18Fp8KVCacheDataTypeE1ELb0ELi512EEEvPfS2_PT_PKS3_PKT0_S9_ifPKiSB_iPKfiiiSD_SD_iiiii
		.amdhsa_group_segment_fixed_size 1040
		.amdhsa_private_segment_fixed_size 0
		.amdhsa_kernarg_size 400
		.amdhsa_user_sgpr_count 2
		.amdhsa_user_sgpr_dispatch_ptr 0
		.amdhsa_user_sgpr_queue_ptr 0
		.amdhsa_user_sgpr_kernarg_segment_ptr 1
		.amdhsa_user_sgpr_dispatch_id 0
		.amdhsa_user_sgpr_kernarg_preload_length 0
		.amdhsa_user_sgpr_kernarg_preload_offset 0
		.amdhsa_user_sgpr_private_segment_size 0
		.amdhsa_uses_dynamic_stack 0
		.amdhsa_enable_private_segment 0
		.amdhsa_system_sgpr_workgroup_id_x 1
		.amdhsa_system_sgpr_workgroup_id_y 1
		.amdhsa_system_sgpr_workgroup_id_z 1
		.amdhsa_system_sgpr_workgroup_info 0
		.amdhsa_system_vgpr_workitem_id 0
		.amdhsa_next_free_vgpr 84
		.amdhsa_next_free_sgpr 45
		.amdhsa_accum_offset 84
		.amdhsa_reserve_vcc 1
		.amdhsa_float_round_mode_32 0
		.amdhsa_float_round_mode_16_64 0
		.amdhsa_float_denorm_mode_32 3
		.amdhsa_float_denorm_mode_16_64 3
		.amdhsa_dx10_clamp 1
		.amdhsa_ieee_mode 1
		.amdhsa_fp16_overflow 0
		.amdhsa_tg_split 0
		.amdhsa_exception_fp_ieee_invalid_op 0
		.amdhsa_exception_fp_denorm_src 0
		.amdhsa_exception_fp_ieee_div_zero 0
		.amdhsa_exception_fp_ieee_overflow 0
		.amdhsa_exception_fp_ieee_underflow 0
		.amdhsa_exception_fp_ieee_inexact 0
		.amdhsa_exception_int_div_zero 0
	.end_amdhsa_kernel
	.section	.text._ZN4vllm25paged_attention_v2_kernelIfhLi256ELi8ELi128ELNS_18Fp8KVCacheDataTypeE1ELb0ELi512EEEvPfS2_PT_PKS3_PKT0_S9_ifPKiSB_iPKfiiiSD_SD_iiiii,"axG",@progbits,_ZN4vllm25paged_attention_v2_kernelIfhLi256ELi8ELi128ELNS_18Fp8KVCacheDataTypeE1ELb0ELi512EEEvPfS2_PT_PKS3_PKT0_S9_ifPKiSB_iPKfiiiSD_SD_iiiii,comdat
.Lfunc_end208:
	.size	_ZN4vllm25paged_attention_v2_kernelIfhLi256ELi8ELi128ELNS_18Fp8KVCacheDataTypeE1ELb0ELi512EEEvPfS2_PT_PKS3_PKT0_S9_ifPKiSB_iPKfiiiSD_SD_iiiii, .Lfunc_end208-_ZN4vllm25paged_attention_v2_kernelIfhLi256ELi8ELi128ELNS_18Fp8KVCacheDataTypeE1ELb0ELi512EEEvPfS2_PT_PKS3_PKT0_S9_ifPKiSB_iPKfiiiSD_SD_iiiii
                                        ; -- End function
	.section	.AMDGPU.csdata,"",@progbits
; Kernel info:
; codeLenInByte = 5908
; NumSgprs: 51
; NumVgprs: 84
; NumAgprs: 0
; TotalNumVgprs: 84
; ScratchSize: 0
; MemoryBound: 0
; FloatMode: 240
; IeeeMode: 1
; LDSByteSize: 1040 bytes/workgroup (compile time only)
; SGPRBlocks: 6
; VGPRBlocks: 10
; NumSGPRsForWavesPerEU: 51
; NumVGPRsForWavesPerEU: 84
; AccumOffset: 84
; Occupancy: 5
; WaveLimiterHint : 1
; COMPUTE_PGM_RSRC2:SCRATCH_EN: 0
; COMPUTE_PGM_RSRC2:USER_SGPR: 2
; COMPUTE_PGM_RSRC2:TRAP_HANDLER: 0
; COMPUTE_PGM_RSRC2:TGID_X_EN: 1
; COMPUTE_PGM_RSRC2:TGID_Y_EN: 1
; COMPUTE_PGM_RSRC2:TGID_Z_EN: 1
; COMPUTE_PGM_RSRC2:TIDIG_COMP_CNT: 0
; COMPUTE_PGM_RSRC3_GFX90A:ACCUM_OFFSET: 20
; COMPUTE_PGM_RSRC3_GFX90A:TG_SPLIT: 0
	.section	.text._ZN4vllm25paged_attention_v2_kernelIfhLi32ELi16ELi128ELNS_18Fp8KVCacheDataTypeE1ELb1ELi512EEEvPfS2_PT_PKS3_PKT0_S9_ifPKiSB_iPKfiiiSD_SD_iiiii,"axG",@progbits,_ZN4vllm25paged_attention_v2_kernelIfhLi32ELi16ELi128ELNS_18Fp8KVCacheDataTypeE1ELb1ELi512EEEvPfS2_PT_PKS3_PKT0_S9_ifPKiSB_iPKfiiiSD_SD_iiiii,comdat
	.protected	_ZN4vllm25paged_attention_v2_kernelIfhLi32ELi16ELi128ELNS_18Fp8KVCacheDataTypeE1ELb1ELi512EEEvPfS2_PT_PKS3_PKT0_S9_ifPKiSB_iPKfiiiSD_SD_iiiii ; -- Begin function _ZN4vllm25paged_attention_v2_kernelIfhLi32ELi16ELi128ELNS_18Fp8KVCacheDataTypeE1ELb1ELi512EEEvPfS2_PT_PKS3_PKT0_S9_ifPKiSB_iPKfiiiSD_SD_iiiii
	.globl	_ZN4vllm25paged_attention_v2_kernelIfhLi32ELi16ELi128ELNS_18Fp8KVCacheDataTypeE1ELb1ELi512EEEvPfS2_PT_PKS3_PKT0_S9_ifPKiSB_iPKfiiiSD_SD_iiiii
	.p2align	8
	.type	_ZN4vllm25paged_attention_v2_kernelIfhLi32ELi16ELi128ELNS_18Fp8KVCacheDataTypeE1ELb1ELi512EEEvPfS2_PT_PKS3_PKT0_S9_ifPKiSB_iPKfiiiSD_SD_iiiii,@function
_ZN4vllm25paged_attention_v2_kernelIfhLi32ELi16ELi128ELNS_18Fp8KVCacheDataTypeE1ELb1ELi512EEEvPfS2_PT_PKS3_PKT0_S9_ifPKiSB_iPKfiiiSD_SD_iiiii: ; @_ZN4vllm25paged_attention_v2_kernelIfhLi32ELi16ELi128ELNS_18Fp8KVCacheDataTypeE1ELb1ELi512EEEvPfS2_PT_PKS3_PKT0_S9_ifPKiSB_iPKfiiiSD_SD_iiiii
; %bb.0:
	s_load_dwordx2 s[6:7], s[0:1], 0x40
	s_mov_b32 s34, s3
	s_ashr_i32 s35, s3, 31
	s_lshl_b64 s[8:9], s[34:35], 2
	s_waitcnt lgkmcnt(0)
	s_add_u32 s6, s6, s8
	s_addc_u32 s7, s7, s9
	s_load_dword s33, s[6:7], 0x0
	s_lshl_b32 s52, s4, 9
	s_waitcnt lgkmcnt(0)
	s_cmp_ge_i32 s52, s33
	s_cbranch_scc1 .LBB209_67
; %bb.1:
	s_load_dword s5, s[0:1], 0x90
	s_load_dwordx2 s[42:43], s[0:1], 0x30
	s_waitcnt lgkmcnt(0)
	s_abs_i32 s7, s5
	s_abs_i32 s3, s42
	v_cvt_f32_u32_e32 v1, s3
	s_sub_i32 s8, 0, s3
	s_xor_b32 s6, s5, s42
	s_ashr_i32 s6, s6, 31
	v_rcp_iflag_f32_e32 v1, v1
	s_nop 0
	v_mul_f32_e32 v1, 0x4f7ffffe, v1
	v_cvt_u32_f32_e32 v1, v1
	s_nop 0
	v_readfirstlane_b32 s9, v1
	s_mul_i32 s8, s8, s9
	s_mul_hi_u32 s8, s9, s8
	s_add_i32 s9, s9, s8
	s_mul_hi_u32 s8, s7, s9
	s_mul_i32 s9, s8, s3
	s_sub_i32 s7, s7, s9
	s_add_i32 s10, s8, 1
	s_sub_i32 s9, s7, s3
	s_cmp_ge_u32 s7, s3
	s_cselect_b32 s8, s10, s8
	s_cselect_b32 s7, s9, s7
	s_add_i32 s9, s8, 1
	s_cmp_ge_u32 s7, s3
	s_cselect_b32 s3, s9, s8
	s_xor_b32 s3, s3, s6
	s_sub_i32 s11, s3, s6
	s_abs_i32 s8, s11
	v_cvt_f32_u32_e32 v1, s8
	s_load_dwordx2 s[6:7], s[0:1], 0x50
	s_sub_i32 s10, 0, s8
	s_abs_i32 s9, s2
	v_rcp_iflag_f32_e32 v1, v1
	s_mov_b32 s3, 0
	v_mul_f32_e32 v1, 0x4f7ffffe, v1
	v_cvt_u32_f32_e32 v1, v1
	s_nop 0
	v_readfirstlane_b32 s12, v1
	s_mul_i32 s10, s10, s12
	s_mul_hi_u32 s10, s12, s10
	s_add_i32 s12, s12, s10
	s_waitcnt lgkmcnt(0)
	s_cmp_eq_u64 s[6:7], 0
	s_mul_hi_u32 s10, s9, s12
	s_cbranch_scc1 .LBB209_3
; %bb.2:
	s_ashr_i32 s3, s2, 31
	s_lshl_b64 s[12:13], s[2:3], 2
	s_add_u32 s6, s6, s12
	s_addc_u32 s7, s7, s13
	s_load_dword s3, s[6:7], 0x0
.LBB209_3:
	s_load_dwordx4 s[16:19], s[0:1], 0x58
	v_lshrrev_b32_e32 v24, 2, v0
	s_ashr_i32 s12, s2, 31
	s_ashr_i32 s11, s11, 31
	v_and_b32_e32 v6, 3, v0
	s_lshl_b32 s28, s2, 5
	v_cmp_gt_u32_e32 vcc, 32, v0
	v_lshlrev_b32_e32 v12, 2, v0
	v_lshlrev_b32_e32 v1, 2, v24
	s_and_saveexec_b64 s[6:7], vcc
	s_cbranch_execz .LBB209_5
; %bb.4:
	s_load_dwordx2 s[14:15], s[0:1], 0x18
	s_waitcnt lgkmcnt(0)
	s_mul_i32 s20, s34, s16
	s_ashr_i32 s21, s20, 31
	s_lshl_b64 s[20:21], s[20:21], 2
	v_lshl_add_u32 v3, v6, 5, v1
	s_add_u32 s13, s14, s20
	s_addc_u32 s16, s15, s21
	s_ashr_i32 s29, s28, 31
	s_lshl_b64 s[14:15], s[28:29], 2
	s_add_u32 s14, s13, s14
	s_addc_u32 s15, s16, s15
	global_load_dword v2, v12, s[14:15]
	s_waitcnt vmcnt(0)
	ds_write_b32 v3, v2
.LBB209_5:
	s_or_b64 exec, exec, s[6:7]
	s_mul_i32 s7, s10, s8
	s_sub_i32 s7, s9, s7
	s_xor_b32 s6, s12, s11
	s_add_i32 s9, s10, 1
	s_sub_i32 s11, s7, s8
	s_load_dwordx4 s[20:23], s[0:1], 0x78
	s_cmp_ge_u32 s7, s8
	s_cselect_b32 s9, s9, s10
	s_cselect_b32 s7, s11, s7
	s_add_i32 s10, s9, 1
	s_cmp_ge_u32 s7, s8
	s_cselect_b32 s7, s10, s9
	s_load_dword s10, s[0:1], 0x88
	s_waitcnt lgkmcnt(0)
	s_abs_i32 s29, s23
	v_cvt_f32_u32_e32 v2, s29
	s_xor_b32 s7, s7, s6
	s_sub_i32 s51, s7, s6
	s_sub_i32 s6, 0, s29
	v_rcp_iflag_f32_e32 v2, v2
	s_add_i32 s11, s33, -1
	s_abs_i32 s8, s11
	v_mul_f32_e32 v2, 0x4f7ffffe, v2
	v_cvt_u32_f32_e32 v2, v2
	s_barrier
	v_readfirstlane_b32 s35, v2
	s_mul_i32 s6, s6, s35
	s_mul_hi_u32 s6, s35, s6
	s_add_i32 s35, s35, s6
	s_cmp_lt_i32 s10, 0
	s_mul_hi_u32 s9, s8, s35
	s_cbranch_scc0 .LBB209_7
; %bb.6:
	s_mul_i32 s6, s20, s42
	s_add_i32 s6, s51, s6
	s_mul_i32 s6, s6, s10
	s_sub_i32 s42, 1, s6
	s_mov_b64 s[6:7], 0
	s_branch .LBB209_8
.LBB209_7:
	s_mov_b64 s[6:7], -1
                                        ; implicit-def: $sgpr42
.LBB209_8:
	s_load_dwordx2 s[36:37], s[0:1], 0x38
	s_ashr_i32 s11, s11, 31
	s_andn2_b64 vcc, exec, s[6:7]
	s_ashr_i32 s23, s23, 31
	s_cbranch_vccnz .LBB209_10
; %bb.9:
	s_mul_i32 s6, s5, s20
	s_add_i32 s6, s6, s2
	s_mul_i32 s6, s6, s10
	s_add_i32 s42, s6, 1
.LBB209_10:
	s_load_dwordx2 s[40:41], s[0:1], 0x28
	s_load_dword s6, s[0:1], 0x48
	s_load_dwordx4 s[24:27], s[0:1], 0x0
	s_load_dwordx2 s[30:31], s[0:1], 0x10
	s_load_dword s20, s[0:1], 0x98
	s_load_dwordx4 s[12:15], s[0:1], 0x68
	s_mul_i32 s7, s9, s29
	s_waitcnt lgkmcnt(0)
	s_mul_i32 s38, s34, s6
	s_sub_i32 s7, s8, s7
	s_ashr_i32 s39, s38, 31
	s_xor_b32 s6, s11, s23
	s_add_i32 s8, s9, 1
	s_sub_i32 s10, s7, s29
	s_cmp_ge_u32 s7, s29
	s_cselect_b32 s8, s8, s9
	s_cselect_b32 s7, s10, s7
	s_add_i32 s9, s8, 1
	s_cmp_ge_u32 s7, s29
	s_cselect_b32 s7, s9, s8
	s_xor_b32 s7, s7, s6
	s_sub_i32 s50, s7, s6
	s_add_i32 s6, s33, 15
	s_ashr_i32 s7, s6, 31
	s_lshr_b32 s7, s7, 28
	s_add_i32 s6, s6, s7
	s_lshl_b32 s16, s4, 5
	s_ashr_i32 s49, s6, 4
	s_add_i32 s6, s16, 32
	v_lshrrev_b32_e32 v16, 6, v0
	s_min_i32 s48, s6, s49
	v_or_b32_e32 v8, s16, v16
	v_cmp_gt_i32_e64 s[6:7], s48, v8
	v_mov_b32_e32 v14, 0xff7fffff
	s_mul_i32 s51, s51, s18
	v_ashrrev_i32_e32 v9, 31, v8
	v_lshl_add_u32 v25, v16, 4, s52
	v_mbcnt_lo_u32_b32 v10, -1, 0
	s_and_saveexec_b64 s[18:19], s[6:7]
	s_cbranch_execz .LBB209_20
; %bb.11:
	s_load_dwordx2 s[0:1], s[0:1], 0x20
	s_sub_i32 s53, s50, s21
	s_ashr_i32 s9, s51, 31
	v_bfe_u32 v11, v0, 2, 4
	v_mov_b32_e32 v3, 0
	s_waitcnt lgkmcnt(0)
	s_add_u32 s8, s0, s51
	s_addc_u32 s9, s1, s9
	s_abs_i32 s54, s22
	v_cvt_f32_u32_e32 v2, s54
	v_mov_b32_e32 v7, v3
	v_lshlrev_b32_e32 v14, 2, v11
	v_lshl_or_b32 v14, v16, 6, v14
	v_rcp_iflag_f32_e32 v4, v2
	v_lshlrev_b32_e32 v2, 4, v11
	v_lshl_add_u64 v[2:3], s[8:9], 0, v[2:3]
	s_sub_i32 s8, 0, s54
	v_mul_f32_e32 v4, 0x4f7ffffe, v4
	v_cvt_u32_f32_e32 v4, v4
	v_add_u32_e32 v18, 0x90, v14
	v_subrev_u32_e32 v14, s33, v11
	v_mbcnt_hi_u32_b32 v21, -1, v10
	v_mul_lo_u32 v5, s8, v4
	s_lshl_b64 s[8:9], s[38:39], 2
	s_add_u32 s8, s36, s8
	v_mul_hi_u32 v5, v4, v5
	s_addc_u32 s9, s37, s9
	v_add_u32_e32 v19, 1, v14
	v_and_b32_e32 v14, 64, v21
	v_cmp_eq_u32_e32 vcc, 0, v6
	s_mov_b32 s55, s17
	v_lshlrev_b32_e32 v13, 5, v6
	v_cmp_neq_f32_e64 s[0:1], s3, 0
	v_add_u32_e32 v15, v4, v5
	v_lshl_add_u64 v[4:5], v[8:9], 2, s[8:9]
	v_lshl_add_u32 v17, v16, 4, s52
	s_mov_b64 s[44:45], 0
	v_mov_b32_e32 v20, 0xff7fffff
	v_add_u32_e32 v22, 64, v14
	v_xor_b32_e32 v23, 2, v21
	v_xor_b32_e32 v26, 1, v21
	v_mov_b32_e32 v14, 0xff7fffff
	v_mov_b32_e32 v27, v8
	s_branch .LBB209_14
.LBB209_12:                             ;   in Loop: Header=BB209_14 Depth=1
	s_or_b64 exec, exec, s[46:47]
.LBB209_13:                             ;   in Loop: Header=BB209_14 Depth=1
	s_or_b64 exec, exec, s[10:11]
	v_add_u32_e32 v27, 2, v27
	v_cmp_le_i32_e64 s[8:9], s48, v27
	v_lshl_add_u64 v[4:5], v[4:5], 0, 8
	v_add_u32_e32 v17, 32, v17
	s_or_b64 s[44:45], s[8:9], s[44:45]
	v_add_u32_e32 v18, 0x80, v18
	s_andn2_b64 exec, exec, s[44:45]
	s_cbranch_execz .LBB209_19
.LBB209_14:                             ; =>This Inner Loop Header: Depth=1
	s_waitcnt lgkmcnt(0)
	v_sub_u32_e32 v29, 0, v17
	v_max_i32_e32 v29, v17, v29
	v_mul_hi_u32 v30, v29, s35
	v_mul_lo_u32 v31, v30, s29
	v_sub_u32_e32 v29, v29, v31
	v_add_u32_e32 v31, 1, v30
	v_cmp_le_u32_e64 s[8:9], s29, v29
	v_ashrrev_i32_e32 v28, 31, v17
	v_xor_b32_e32 v28, s23, v28
	v_cndmask_b32_e64 v30, v30, v31, s[8:9]
	v_subrev_u32_e32 v31, s29, v29
	v_cndmask_b32_e64 v29, v29, v31, s[8:9]
	v_add_u32_e32 v31, 1, v30
	v_cmp_le_u32_e64 s[8:9], s29, v29
	s_nop 1
	v_cndmask_b32_e64 v29, v30, v31, s[8:9]
	v_xor_b32_e32 v29, v29, v28
	v_sub_u32_e32 v28, v29, v28
	v_add_u32_e32 v29, s42, v28
	v_sub_u32_e32 v31, 0, v29
	v_ashrrev_i32_e32 v30, 31, v29
	v_max_i32_e32 v29, v29, v31
	v_mul_hi_u32 v31, v29, v15
	v_mul_lo_u32 v31, v31, s54
	v_sub_u32_e32 v29, v29, v31
	v_subrev_u32_e32 v31, s54, v29
	v_cmp_le_u32_e64 s[8:9], s54, v29
	v_cmp_ge_i32_e64 s[10:11], s53, v28
	s_nop 0
	v_cndmask_b32_e64 v29, v29, v31, s[8:9]
	v_subrev_u32_e32 v31, s54, v29
	v_cmp_le_u32_e64 s[8:9], s54, v29
	s_nop 1
	v_cndmask_b32_e64 v29, v29, v31, s[8:9]
	v_xor_b32_e32 v29, v29, v30
	v_sub_u32_e32 v29, v29, v30
	v_cmp_ne_u32_e64 s[8:9], 0, v29
	s_and_b64 s[8:9], s[8:9], s[10:11]
	s_and_b64 s[46:47], vcc, s[8:9]
	s_and_saveexec_b64 s[10:11], s[46:47]
	s_cbranch_execz .LBB209_16
; %bb.15:                               ;   in Loop: Header=BB209_14 Depth=1
	ds_write_b32 v18, v20
.LBB209_16:                             ;   in Loop: Header=BB209_14 Depth=1
	s_or_b64 exec, exec, s[10:11]
	s_xor_b64 s[8:9], s[8:9], -1
	s_and_saveexec_b64 s[10:11], s[8:9]
	s_cbranch_execz .LBB209_13
; %bb.17:                               ;   in Loop: Header=BB209_14 Depth=1
	global_load_dword v28, v[4:5], off
	s_waitcnt vmcnt(0)
	v_mad_i64_i32 v[28:29], s[8:9], v28, s55, v[2:3]
	v_lshl_add_u64 v[28:29], v[28:29], 0, v[6:7]
	global_load_ubyte v36, v[28:29], off
	global_load_ubyte v37, v[28:29], off offset:4
	global_load_ubyte v38, v[28:29], off offset:8
	;; [unrolled: 1-line block ×7, first 2 shown]
	v_cmp_lt_i32_e64 s[8:9], v23, v22
	ds_read_b128 v[28:31], v13
	ds_read_b128 v[32:35], v13 offset:16
	v_cndmask_b32_e64 v44, v21, v23, s[8:9]
	s_load_dword s8, s[12:13], 0x0
	v_lshlrev_b32_e32 v44, 2, v44
	s_waitcnt vmcnt(7)
	v_cvt_f32_fp8_sdwa v36, v36 src0_sel:BYTE_0
	s_waitcnt vmcnt(6)
	v_cvt_f32_fp8_sdwa v37, v37 src0_sel:BYTE_0
	;; [unrolled: 2-line block ×5, first 2 shown]
	s_waitcnt lgkmcnt(0)
	v_mul_f32_e32 v37, s8, v37
	s_waitcnt vmcnt(2)
	v_cvt_f32_fp8_sdwa v41, v41 src0_sel:BYTE_0
	v_mul_f32_e32 v36, s8, v36
	v_mul_f32_e32 v29, v29, v37
	s_waitcnt vmcnt(1)
	v_cvt_f32_fp8_sdwa v42, v42 src0_sel:BYTE_0
	v_mul_f32_e32 v38, s8, v38
	v_fmac_f32_e32 v29, v28, v36
	s_waitcnt vmcnt(0)
	v_cvt_f32_fp8_sdwa v43, v43 src0_sel:BYTE_0
	v_mul_f32_e32 v39, s8, v39
	v_fmac_f32_e32 v29, v30, v38
	v_mul_f32_e32 v40, s8, v40
	v_fmac_f32_e32 v29, v31, v39
	;; [unrolled: 2-line block ×5, first 2 shown]
	v_fmac_f32_e32 v29, v35, v43
	ds_bpermute_b32 v28, v44, v29
	v_cmp_lt_i32_e64 s[8:9], v26, v22
	s_waitcnt lgkmcnt(0)
	v_add_f32_e32 v28, v29, v28
	v_cndmask_b32_e64 v30, v21, v26, s[8:9]
	v_lshlrev_b32_e32 v30, 2, v30
	ds_bpermute_b32 v29, v30, v28
	s_and_saveexec_b64 s[46:47], vcc
	s_cbranch_execz .LBB209_12
; %bb.18:                               ;   in Loop: Header=BB209_14 Depth=1
	v_add_u32_e32 v30, v19, v17
	v_cvt_f32_i32_e32 v30, v30
	s_waitcnt lgkmcnt(0)
	v_add_f32_e32 v28, v28, v29
	v_add_u32_e32 v31, v11, v17
	v_cmp_gt_i32_e64 s[8:9], s33, v31
	v_mul_f32_e32 v29, s3, v30
	v_cndmask_b32_e64 v29, 0, v29, s[0:1]
	v_fmac_f32_e32 v29, s43, v28
	v_cndmask_b32_e64 v28, 0, v29, s[8:9]
	ds_write_b32 v18, v28
	v_max_f32_e32 v28, v14, v14
	v_max_f32_e32 v28, v28, v29
	v_cndmask_b32_e64 v14, v14, v28, s[8:9]
	s_branch .LBB209_12
.LBB209_19:
	s_or_b64 exec, exec, s[44:45]
.LBB209_20:
	s_or_b64 exec, exec, s[18:19]
	v_mbcnt_hi_u32_b32 v2, -1, v10
	v_and_b32_e32 v3, 64, v2
	v_add_u32_e32 v3, 64, v3
	v_xor_b32_e32 v4, 32, v2
	v_cmp_lt_i32_e32 vcc, v4, v3
	v_xor_b32_e32 v10, 16, v2
	v_max_f32_e32 v7, v14, v14
	v_cndmask_b32_e32 v4, v2, v4, vcc
	v_lshlrev_b32_e32 v5, 2, v4
	ds_bpermute_b32 v4, v5, v14
	v_cmp_lt_i32_e32 vcc, v10, v3
	v_xor_b32_e32 v11, 8, v2
	s_waitcnt lgkmcnt(0)
	v_max_f32_e32 v4, v4, v4
	v_max_f32_e32 v4, v7, v4
	v_cndmask_b32_e32 v7, v2, v10, vcc
	v_lshlrev_b32_e32 v10, 2, v7
	ds_bpermute_b32 v7, v10, v4
	v_cmp_lt_i32_e32 vcc, v11, v3
	s_waitcnt lgkmcnt(0)
	v_max_f32_e32 v7, v7, v7
	v_max_f32_e32 v4, v4, v7
	v_cndmask_b32_e32 v7, v2, v11, vcc
	v_lshlrev_b32_e32 v14, 2, v7
	ds_bpermute_b32 v7, v14, v4
	v_xor_b32_e32 v11, 4, v2
	v_cmp_lt_i32_e32 vcc, v11, v3
	s_waitcnt lgkmcnt(0)
	v_max_f32_e32 v7, v7, v7
	v_max_f32_e32 v4, v4, v7
	v_cndmask_b32_e32 v7, v2, v11, vcc
	v_lshlrev_b32_e32 v15, 2, v7
	ds_bpermute_b32 v13, v15, v4
	v_and_b32_e32 v7, 63, v0
	v_cmp_eq_u32_e32 vcc, 0, v7
	v_lshlrev_b32_e32 v11, 2, v16
	s_and_saveexec_b64 s[0:1], vcc
	s_cbranch_execz .LBB209_22
; %bb.21:
	s_waitcnt lgkmcnt(0)
	v_max_f32_e32 v13, v13, v13
	v_max_f32_e32 v4, v4, v4
	;; [unrolled: 1-line block ×3, first 2 shown]
	ds_write_b32 v11, v4 offset:128
.LBB209_22:
	s_or_b64 exec, exec, s[0:1]
	v_cmp_gt_u32_e64 s[0:1], 2, v7
	v_mov_b32_e32 v4, 0xff7fffff
	s_waitcnt lgkmcnt(0)
	v_lshlrev_b32_e32 v13, 2, v7
	s_barrier
	s_and_saveexec_b64 s[8:9], s[0:1]
	s_cbranch_execz .LBB209_24
; %bb.23:
	ds_read_b32 v4, v13 offset:128
.LBB209_24:
	s_or_b64 exec, exec, s[8:9]
	v_xor_b32_e32 v17, 1, v2
	v_cmp_lt_i32_e64 s[8:9], v17, v3
	s_sub_i32 s3, s48, s16
	s_lshl_b32 s3, s3, 4
	v_cndmask_b32_e64 v17, v2, v17, s[8:9]
	v_lshlrev_b32_e32 v26, 2, v17
	s_waitcnt lgkmcnt(0)
	ds_bpermute_b32 v17, v26, v4
	v_max_f32_e32 v4, v4, v4
	s_add_i32 s3, s3, s52
	s_min_i32 s43, s3, s33
	s_sub_i32 s3, s43, s52
	s_waitcnt lgkmcnt(0)
	v_max_f32_e32 v17, v17, v17
	v_max_f32_e32 v4, v4, v17
	v_lshlrev_b32_e32 v17, 2, v2
	v_and_b32_e32 v17, 0x100, v17
	ds_bpermute_b32 v4, v17, v4
	v_cmp_gt_i32_e64 s[8:9], s3, v0
	v_mov_b32_e32 v18, 0
	s_and_saveexec_b64 s[12:13], s[8:9]
	s_cbranch_execz .LBB209_28
; %bb.25:
	v_mov_b32_e32 v18, 0x90
	v_lshl_add_u32 v19, v0, 2, v18
	s_mov_b64 s[18:19], 0
	v_mov_b32_e32 v18, 0
	v_mov_b32_e32 v20, v0
.LBB209_26:                             ; =>This Inner Loop Header: Depth=1
	ds_read_b32 v21, v19
	v_add_u32_e32 v20, 0x80, v20
	v_cmp_le_i32_e64 s[10:11], s3, v20
	s_or_b64 s[18:19], s[10:11], s[18:19]
	s_waitcnt lgkmcnt(0)
	v_sub_f32_e32 v21, v21, v4
	v_mul_f32_e32 v21, 0x3fb8aa3b, v21
	v_exp_f32_e32 v21, v21
	ds_write_b32 v19, v21
	v_add_f32_e32 v18, v18, v21
	v_add_u32_e32 v19, 0x200, v19
	s_andn2_b64 exec, exec, s[18:19]
	s_cbranch_execnz .LBB209_26
; %bb.27:
	s_or_b64 exec, exec, s[18:19]
.LBB209_28:
	s_or_b64 exec, exec, s[12:13]
	ds_bpermute_b32 v5, v5, v18
	s_waitcnt lgkmcnt(0)
	v_add_f32_e32 v5, v18, v5
	ds_bpermute_b32 v10, v10, v5
	s_waitcnt lgkmcnt(0)
	v_add_f32_e32 v5, v5, v10
	ds_bpermute_b32 v10, v14, v5
	v_xor_b32_e32 v14, 2, v2
	v_cmp_lt_i32_e64 s[10:11], v14, v3
	s_waitcnt lgkmcnt(0)
	v_add_f32_e32 v5, v5, v10
	ds_bpermute_b32 v10, v15, v5
	v_cndmask_b32_e64 v2, v2, v14, s[10:11]
	v_lshlrev_b32_e32 v27, 2, v2
	s_waitcnt lgkmcnt(0)
	v_add_f32_e32 v3, v5, v10
	ds_bpermute_b32 v2, v27, v3
	s_waitcnt lgkmcnt(0)
	v_add_f32_e32 v2, v3, v2
	ds_bpermute_b32 v3, v26, v2
	s_waitcnt lgkmcnt(0)
	v_add_f32_e32 v2, v2, v3
	s_and_saveexec_b64 s[10:11], vcc
	s_cbranch_execz .LBB209_30
; %bb.29:
	ds_write_b32 v11, v2 offset:136
.LBB209_30:
	s_or_b64 exec, exec, s[10:11]
	s_waitcnt lgkmcnt(0)
	s_barrier
	s_and_saveexec_b64 s[10:11], s[0:1]
	s_cbranch_execz .LBB209_32
; %bb.31:
	ds_read_b32 v2, v13 offset:136
.LBB209_32:
	s_or_b64 exec, exec, s[10:11]
	s_waitcnt lgkmcnt(0)
	ds_bpermute_b32 v3, v26, v2
	s_waitcnt lgkmcnt(0)
	v_add_f32_e32 v2, v2, v3
	ds_bpermute_b32 v5, v17, v2
	s_and_saveexec_b64 s[0:1], s[8:9]
	s_cbranch_execz .LBB209_45
; %bb.33:
	s_waitcnt lgkmcnt(0)
	v_add_f32_e32 v2, 0x358637bd, v5
	v_div_scale_f32 v3, s[8:9], v2, v2, 1.0
	v_rcp_f32_e32 v10, v3
	v_div_scale_f32 v11, vcc, 1.0, v2, 1.0
	s_movk_i32 s8, 0x7f
	v_fma_f32 v13, -v3, v10, 1.0
	v_fmac_f32_e32 v10, v13, v10
	v_mul_f32_e32 v13, v11, v10
	v_fma_f32 v14, -v3, v13, v11
	v_fmac_f32_e32 v13, v14, v10
	v_fma_f32 v3, -v3, v13, v11
	v_div_fmas_f32 v3, v3, v10, v13
	v_div_fixup_f32 v2, v3, v2, 1.0
	v_xad_u32 v3, v0, -1, s43
	v_subrev_u32_e32 v10, s52, v3
	v_cmp_lt_u32_e32 vcc, s8, v10
	s_mov_b64 s[10:11], -1
	v_mov_b32_e32 v3, v0
	s_and_saveexec_b64 s[8:9], vcc
	s_cbranch_execz .LBB209_42
; %bb.34:
	v_lshrrev_b32_e32 v10, 7, v10
	v_add_u32_e32 v13, -1, v10
	v_lshrrev_b32_e32 v11, 1, v13
	v_mov_b32_e32 v3, v2
	v_add_u32_e32 v11, 1, v11
	v_cmp_lt_u32_e32 vcc, 13, v13
	v_mov_b32_e32 v15, 0
	s_and_saveexec_b64 s[10:11], vcc
	s_cbranch_execz .LBB209_38
; %bb.35:
	v_mov_b32_e32 v14, 0x90
	v_and_b32_e32 v13, -8, v11
	v_lshl_add_u32 v14, v0, 2, v14
	s_mov_b32 s18, 0
	s_mov_b64 s[12:13], 0
.LBB209_36:                             ; =>This Inner Loop Header: Depth=1
	ds_read2st64_b32 v[18:19], v14 offset1:2
	ds_read2st64_b32 v[20:21], v14 offset0:4 offset1:6
	ds_read2st64_b32 v[22:23], v14 offset0:8 offset1:10
	;; [unrolled: 1-line block ×3, first 2 shown]
	v_add_u32_e32 v13, -8, v13
	s_waitcnt lgkmcnt(3)
	v_pk_mul_f32 v[18:19], v[2:3], v[18:19]
	s_waitcnt lgkmcnt(2)
	v_pk_mul_f32 v[20:21], v[2:3], v[20:21]
	ds_write2st64_b32 v14, v18, v19 offset1:2
	ds_write2st64_b32 v14, v20, v21 offset0:4 offset1:6
	ds_read2st64_b32 v[20:21], v14 offset0:16 offset1:18
	s_waitcnt lgkmcnt(4)
	v_pk_mul_f32 v[18:19], v[2:3], v[22:23]
	ds_write2st64_b32 v14, v18, v19 offset0:8 offset1:10
	s_waitcnt lgkmcnt(4)
	v_pk_mul_f32 v[18:19], v[2:3], v[28:29]
	ds_write2st64_b32 v14, v18, v19 offset0:12 offset1:14
	ds_read2st64_b32 v[18:19], v14 offset0:20 offset1:22
	s_waitcnt lgkmcnt(3)
	v_pk_mul_f32 v[20:21], v[2:3], v[20:21]
	ds_read2st64_b32 v[22:23], v14 offset0:24 offset1:26
	ds_write2st64_b32 v14, v20, v21 offset0:16 offset1:18
	ds_read2st64_b32 v[20:21], v14 offset0:28 offset1:30
	s_waitcnt lgkmcnt(3)
	v_pk_mul_f32 v[18:19], v[2:3], v[18:19]
	ds_write2st64_b32 v14, v18, v19 offset0:20 offset1:22
	s_waitcnt lgkmcnt(3)
	v_pk_mul_f32 v[18:19], v[2:3], v[22:23]
	ds_write2st64_b32 v14, v18, v19 offset0:24 offset1:26
	s_waitcnt lgkmcnt(2)
	v_pk_mul_f32 v[18:19], v[2:3], v[20:21]
	s_add_i32 s18, s18, 16
	v_cmp_eq_u32_e32 vcc, 0, v13
	ds_write2st64_b32 v14, v18, v19 offset0:28 offset1:30
	v_add_u32_e32 v14, 0x2000, v14
	s_or_b64 s[12:13], vcc, s[12:13]
	v_mov_b32_e32 v15, s18
	s_andn2_b64 exec, exec, s[12:13]
	s_cbranch_execnz .LBB209_36
; %bb.37:
	s_or_b64 exec, exec, s[12:13]
.LBB209_38:
	s_or_b64 exec, exec, s[10:11]
	v_and_b32_e32 v11, 7, v11
	v_cmp_ne_u32_e32 vcc, 0, v11
	s_and_saveexec_b64 s[10:11], vcc
	s_cbranch_execz .LBB209_41
; %bb.39:
	v_lshlrev_b32_e32 v13, 9, v15
	s_movk_i32 s12, 0x90
	v_add3_u32 v13, v13, v12, s12
	s_mov_b64 s[12:13], 0
.LBB209_40:                             ; =>This Inner Loop Header: Depth=1
	ds_read2st64_b32 v[14:15], v13 offset1:2
	v_add_u32_e32 v11, -1, v11
	v_cmp_eq_u32_e32 vcc, 0, v11
	s_or_b64 s[12:13], vcc, s[12:13]
	s_waitcnt lgkmcnt(0)
	v_pk_mul_f32 v[14:15], v[2:3], v[14:15]
	ds_write2st64_b32 v13, v14, v15 offset1:2
	v_add_u32_e32 v13, 0x400, v13
	s_andn2_b64 exec, exec, s[12:13]
	s_cbranch_execnz .LBB209_40
.LBB209_41:
	s_or_b64 exec, exec, s[10:11]
	v_add_u32_e32 v10, 1, v10
	v_and_b32_e32 v11, 0x3fffffe, v10
	v_cmp_ne_u32_e32 vcc, v10, v11
	v_lshl_add_u32 v3, v11, 7, v0
	s_orn2_b64 s[10:11], vcc, exec
.LBB209_42:
	s_or_b64 exec, exec, s[8:9]
	s_and_b64 exec, exec, s[10:11]
	s_cbranch_execz .LBB209_45
; %bb.43:
	v_mov_b32_e32 v10, 0x90
	v_lshl_add_u32 v10, v3, 2, v10
	s_mov_b64 s[8:9], 0
.LBB209_44:                             ; =>This Inner Loop Header: Depth=1
	ds_read_b32 v11, v10
	v_add_u32_e32 v3, 0x80, v3
	v_cmp_le_i32_e32 vcc, s3, v3
	s_or_b64 s[8:9], vcc, s[8:9]
	s_waitcnt lgkmcnt(0)
	v_mul_f32_e32 v11, v2, v11
	ds_write_b32 v10, v11
	v_add_u32_e32 v10, 0x200, v10
	s_andn2_b64 exec, exec, s[8:9]
	s_cbranch_execnz .LBB209_44
.LBB209_45:
	s_or_b64 exec, exec, s[0:1]
	s_mul_i32 s0, s20, s34
	v_cmp_eq_u32_e32 vcc, 0, v0
	s_mul_i32 s8, s0, s5
	s_waitcnt lgkmcnt(0)
	s_barrier
	s_and_saveexec_b64 s[0:1], vcc
	s_cbranch_execz .LBB209_47
; %bb.46:
	s_ashr_i32 s9, s8, 31
	s_lshl_b64 s[10:11], s[8:9], 2
	s_add_u32 s5, s26, s10
	s_mul_i32 s2, s20, s2
	s_addc_u32 s9, s27, s11
	s_ashr_i32 s3, s2, 31
	s_lshl_b64 s[2:3], s[2:3], 2
	s_add_u32 s12, s5, s2
	s_addc_u32 s9, s9, s3
	s_ashr_i32 s5, s4, 31
	s_lshl_b64 s[4:5], s[4:5], 2
	s_add_u32 s12, s12, s4
	s_addc_u32 s13, s9, s5
	s_add_u32 s9, s24, s10
	s_addc_u32 s10, s25, s11
	;; [unrolled: 2-line block ×3, first 2 shown]
	s_add_u32 s2, s2, s4
	v_mov_b32_e32 v2, 0
	s_addc_u32 s3, s3, s5
	global_store_dword v2, v4, s[12:13]
	global_store_dword v2, v5, s[2:3]
.LBB209_47:
	s_or_b64 exec, exec, s[0:1]
	v_mov_b32_e32 v11, 0
	v_mov_b32_e32 v10, 0
	s_and_saveexec_b64 s[2:3], s[6:7]
	s_cbranch_execz .LBB209_57
; %bb.48:
	s_sub_i32 s9, s50, s21
	s_ashr_i32 s1, s51, 31
	s_add_u32 s0, s40, s51
	s_addc_u32 s1, s41, s1
	s_abs_i32 s18, s22
	v_cvt_f32_u32_e32 v2, s18
	s_sub_i32 s4, 0, s18
	v_and_b32_e32 v10, 0xfc, v12
	v_mov_b32_e32 v11, 0
	v_rcp_iflag_f32_e32 v2, v2
	v_and_b32_e32 v28, 12, v12
	s_add_i32 s49, s49, -1
	v_lshl_add_u64 v[12:13], s[0:1], 0, v[10:11]
	v_mul_f32_e32 v2, 0x4f7ffffe, v2
	v_cvt_u32_f32_e32 v2, v2
	s_lshl_b64 s[0:1], s[38:39], 2
	s_add_u32 s0, s36, s0
	s_addc_u32 s1, s37, s1
	v_mul_lo_u32 v3, s4, v2
	v_mul_hi_u32 v3, v2, v3
	v_add_u32_e32 v29, v2, v3
	v_lshlrev_b32_e32 v2, 4, v6
	v_lshl_or_b32 v2, v16, 6, v2
	v_lshl_add_u64 v[14:15], v[8:9], 2, s[0:1]
	v_add_u32_e32 v9, 0x90, v2
	s_mov_b64 s[4:5], 0
	v_mov_b32_e32 v10, v11
	s_branch .LBB209_51
.LBB209_49:                             ;   in Loop: Header=BB209_51 Depth=1
	s_or_b64 exec, exec, s[0:1]
	v_mul_f32_e32 v19, v3, v19
	v_mul_f32_e32 v3, v3, v23
	v_fmac_f32_e32 v19, v2, v18
	v_fmac_f32_e32 v3, v2, v22
	;; [unrolled: 1-line block ×6, first 2 shown]
	v_add_f32_e32 v10, v10, v19
	v_add_f32_e32 v11, v11, v3
.LBB209_50:                             ;   in Loop: Header=BB209_51 Depth=1
	s_or_b64 exec, exec, s[6:7]
	v_add_u32_e32 v8, 2, v8
	v_cmp_le_i32_e32 vcc, s48, v8
	v_lshl_add_u64 v[14:15], v[14:15], 0, 8
	v_add_u32_e32 v25, 32, v25
	s_or_b64 s[4:5], vcc, s[4:5]
	v_add_u32_e32 v9, 0x80, v9
	s_andn2_b64 exec, exec, s[4:5]
	s_cbranch_execz .LBB209_56
.LBB209_51:                             ; =>This Inner Loop Header: Depth=1
	v_sub_u32_e32 v3, 0, v25
	v_max_i32_e32 v3, v25, v3
	v_mul_hi_u32 v4, v3, s35
	v_mul_lo_u32 v5, v4, s29
	v_sub_u32_e32 v3, v3, v5
	v_add_u32_e32 v5, 1, v4
	v_cmp_le_u32_e32 vcc, s29, v3
	v_ashrrev_i32_e32 v2, 31, v25
	v_xor_b32_e32 v2, s23, v2
	v_cndmask_b32_e32 v4, v4, v5, vcc
	v_subrev_u32_e32 v5, s29, v3
	v_cndmask_b32_e32 v3, v3, v5, vcc
	v_add_u32_e32 v5, 1, v4
	v_cmp_le_u32_e32 vcc, s29, v3
	s_nop 1
	v_cndmask_b32_e32 v3, v4, v5, vcc
	v_xor_b32_e32 v3, v3, v2
	v_sub_u32_e32 v2, v3, v2
	v_add_u32_e32 v3, s42, v2
	v_sub_u32_e32 v5, 0, v3
	v_ashrrev_i32_e32 v4, 31, v3
	v_max_i32_e32 v3, v3, v5
	v_mul_hi_u32 v5, v3, v29
	v_mul_lo_u32 v5, v5, s18
	v_sub_u32_e32 v3, v3, v5
	v_subrev_u32_e32 v5, s18, v3
	v_cmp_le_u32_e32 vcc, s18, v3
	v_cmp_lt_i32_e64 s[0:1], s9, v2
	s_nop 0
	v_cndmask_b32_e32 v3, v3, v5, vcc
	v_subrev_u32_e32 v5, s18, v3
	v_cmp_le_u32_e32 vcc, s18, v3
	s_nop 1
	v_cndmask_b32_e32 v3, v3, v5, vcc
	v_xor_b32_e32 v3, v3, v4
	v_sub_u32_e32 v3, v3, v4
	v_cmp_eq_u32_e32 vcc, 0, v3
	s_or_b64 s[0:1], vcc, s[0:1]
	s_and_saveexec_b64 s[6:7], s[0:1]
	s_cbranch_execz .LBB209_50
; %bb.52:                               ;   in Loop: Header=BB209_51 Depth=1
	global_load_dword v2, v[14:15], off
	s_load_dword s10, s[14:15], 0x0
	v_add_u32_e32 v30, v28, v25
	v_cmp_eq_u32_e32 vcc, s49, v8
	v_add_u32_e32 v32, 1, v30
	v_add_u32_e32 v31, 2, v30
	;; [unrolled: 1-line block ×3, first 2 shown]
	s_waitcnt vmcnt(0)
	v_mad_i64_i32 v[20:21], s[0:1], v2, s17, v[12:13]
	global_load_dword v16, v[20:21], off
	ds_read_b128 v[2:5], v9
	s_waitcnt vmcnt(0)
	v_and_b32_e32 v17, 0xffff, v16
	v_lshrrev_b32_e32 v18, 16, v16
	v_cvt_pk_f32_fp8_e32 v[16:17], v17
	v_cvt_pk_f32_fp8_e32 v[22:23], v18
	s_waitcnt lgkmcnt(0)
	v_pk_mul_f32 v[18:19], s[10:11], v[16:17] op_sel_hi:[0,1]
	v_pk_mul_f32 v[16:17], s[10:11], v[22:23] op_sel_hi:[0,1]
	s_and_saveexec_b64 s[12:13], vcc
; %bb.53:                               ;   in Loop: Header=BB209_51 Depth=1
	v_cmp_gt_i32_e64 s[0:1], s33, v30
	s_nop 1
	v_cndmask_b32_e64 v18, 0, v18, s[0:1]
	v_cmp_gt_i32_e64 s[0:1], s33, v32
	s_nop 1
	v_cndmask_b32_e64 v19, 0, v19, s[0:1]
	;; [unrolled: 3-line block ×4, first 2 shown]
; %bb.54:                               ;   in Loop: Header=BB209_51 Depth=1
	s_or_b64 exec, exec, s[12:13]
	global_load_dword v20, v[20:21], off offset:256
	s_mov_b32 s11, s10
	s_waitcnt vmcnt(0)
	v_and_b32_e32 v21, 0xffff, v20
	v_lshrrev_b32_e32 v22, 16, v20
	v_cvt_pk_f32_fp8_e32 v[20:21], v21
	v_cvt_pk_f32_fp8_e32 v[34:35], v22
	v_pk_mul_f32 v[22:23], s[10:11], v[20:21]
	v_pk_mul_f32 v[20:21], s[10:11], v[34:35]
	s_and_saveexec_b64 s[0:1], vcc
	s_cbranch_execz .LBB209_49
; %bb.55:                               ;   in Loop: Header=BB209_51 Depth=1
	v_cmp_gt_i32_e32 vcc, s33, v30
	s_nop 1
	v_cndmask_b32_e32 v22, 0, v22, vcc
	v_cmp_gt_i32_e32 vcc, s33, v32
	s_nop 1
	v_cndmask_b32_e32 v23, 0, v23, vcc
	;; [unrolled: 3-line block ×4, first 2 shown]
	s_branch .LBB209_49
.LBB209_56:
	s_or_b64 exec, exec, s[4:5]
.LBB209_57:
	s_or_b64 exec, exec, s[2:3]
	ds_bpermute_b32 v2, v27, v10
	ds_bpermute_b32 v3, v27, v11
	v_and_b32_e32 v4, 0x3c3, v0
	v_cmp_eq_u32_e32 vcc, 64, v4
	s_waitcnt lgkmcnt(0)
	s_barrier
	v_pk_add_f32 v[2:3], v[10:11], v[2:3]
	ds_bpermute_b32 v8, v26, v2
	ds_bpermute_b32 v9, v26, v3
	s_waitcnt lgkmcnt(0)
	v_pk_add_f32 v[2:3], v[2:3], v[8:9]
	s_and_saveexec_b64 s[0:1], vcc
	s_cbranch_execz .LBB209_59
; %bb.58:
	v_add_u32_e32 v7, 0x90, v7
	v_add_u32_e32 v5, 0x90, v0
	ds_write_b32 v7, v2
	ds_write_b32 v5, v3
.LBB209_59:
	s_or_b64 exec, exec, s[0:1]
	v_cmp_gt_u32_e32 vcc, 64, v0
	s_waitcnt lgkmcnt(0)
	s_barrier
	s_and_saveexec_b64 s[0:1], vcc
	s_cbranch_execz .LBB209_65
; %bb.60:
	v_cmp_eq_u32_e32 vcc, 0, v6
	s_and_saveexec_b64 s[2:3], vcc
	s_cbranch_execz .LBB209_62
; %bb.61:
	v_mov_b32_e32 v0, 0x90
	v_lshl_add_u32 v0, v24, 2, v0
	ds_read_b32 v0, v0
	s_waitcnt lgkmcnt(0)
	v_add_f32_e32 v2, v2, v0
.LBB209_62:
	s_or_b64 exec, exec, s[2:3]
	s_and_saveexec_b64 s[2:3], vcc
	s_cbranch_execz .LBB209_64
; %bb.63:
	v_mov_b32_e32 v0, 0x90
	v_lshl_add_u32 v0, v24, 2, v0
	ds_read_b32 v0, v0 offset:64
	s_waitcnt lgkmcnt(0)
	v_add_f32_e32 v3, v3, v0
.LBB209_64:
	s_or_b64 exec, exec, s[2:3]
.LBB209_65:
	s_or_b64 exec, exec, s[0:1]
	v_cmp_eq_u32_e32 vcc, 0, v4
	s_barrier
	s_and_saveexec_b64 s[0:1], vcc
	s_cbranch_execz .LBB209_67
; %bb.66:
	s_lshl_b32 s0, s8, 5
	s_ashr_i32 s1, s0, 31
	s_lshl_b64 s[0:1], s[0:1], 2
	s_add_u32 s2, s30, s0
	s_mul_i32 s0, s20, s28
	s_addc_u32 s3, s31, s1
	s_ashr_i32 s1, s0, 31
	s_lshl_b64 s[0:1], s[0:1], 2
	s_add_u32 s2, s2, s0
	s_addc_u32 s3, s3, s1
	s_ashr_i32 s17, s16, 31
	s_lshl_b64 s[0:1], s[16:17], 2
	s_add_u32 s0, s2, s0
	s_addc_u32 s1, s3, s1
	global_store_dword v1, v2, s[0:1]
	global_store_dword v1, v3, s[0:1] offset:64
.LBB209_67:
	s_endpgm
	.section	.rodata,"a",@progbits
	.p2align	6, 0x0
	.amdhsa_kernel _ZN4vllm25paged_attention_v2_kernelIfhLi32ELi16ELi128ELNS_18Fp8KVCacheDataTypeE1ELb1ELi512EEEvPfS2_PT_PKS3_PKT0_S9_ifPKiSB_iPKfiiiSD_SD_iiiii
		.amdhsa_group_segment_fixed_size 144
		.amdhsa_private_segment_fixed_size 0
		.amdhsa_kernarg_size 400
		.amdhsa_user_sgpr_count 2
		.amdhsa_user_sgpr_dispatch_ptr 0
		.amdhsa_user_sgpr_queue_ptr 0
		.amdhsa_user_sgpr_kernarg_segment_ptr 1
		.amdhsa_user_sgpr_dispatch_id 0
		.amdhsa_user_sgpr_kernarg_preload_length 0
		.amdhsa_user_sgpr_kernarg_preload_offset 0
		.amdhsa_user_sgpr_private_segment_size 0
		.amdhsa_uses_dynamic_stack 0
		.amdhsa_enable_private_segment 0
		.amdhsa_system_sgpr_workgroup_id_x 1
		.amdhsa_system_sgpr_workgroup_id_y 1
		.amdhsa_system_sgpr_workgroup_id_z 1
		.amdhsa_system_sgpr_workgroup_info 0
		.amdhsa_system_vgpr_workitem_id 0
		.amdhsa_next_free_vgpr 45
		.amdhsa_next_free_sgpr 56
		.amdhsa_accum_offset 48
		.amdhsa_reserve_vcc 1
		.amdhsa_float_round_mode_32 0
		.amdhsa_float_round_mode_16_64 0
		.amdhsa_float_denorm_mode_32 3
		.amdhsa_float_denorm_mode_16_64 3
		.amdhsa_dx10_clamp 1
		.amdhsa_ieee_mode 1
		.amdhsa_fp16_overflow 0
		.amdhsa_tg_split 0
		.amdhsa_exception_fp_ieee_invalid_op 0
		.amdhsa_exception_fp_denorm_src 0
		.amdhsa_exception_fp_ieee_div_zero 0
		.amdhsa_exception_fp_ieee_overflow 0
		.amdhsa_exception_fp_ieee_underflow 0
		.amdhsa_exception_fp_ieee_inexact 0
		.amdhsa_exception_int_div_zero 0
	.end_amdhsa_kernel
	.section	.text._ZN4vllm25paged_attention_v2_kernelIfhLi32ELi16ELi128ELNS_18Fp8KVCacheDataTypeE1ELb1ELi512EEEvPfS2_PT_PKS3_PKT0_S9_ifPKiSB_iPKfiiiSD_SD_iiiii,"axG",@progbits,_ZN4vllm25paged_attention_v2_kernelIfhLi32ELi16ELi128ELNS_18Fp8KVCacheDataTypeE1ELb1ELi512EEEvPfS2_PT_PKS3_PKT0_S9_ifPKiSB_iPKfiiiSD_SD_iiiii,comdat
.Lfunc_end209:
	.size	_ZN4vllm25paged_attention_v2_kernelIfhLi32ELi16ELi128ELNS_18Fp8KVCacheDataTypeE1ELb1ELi512EEEvPfS2_PT_PKS3_PKT0_S9_ifPKiSB_iPKfiiiSD_SD_iiiii, .Lfunc_end209-_ZN4vllm25paged_attention_v2_kernelIfhLi32ELi16ELi128ELNS_18Fp8KVCacheDataTypeE1ELb1ELi512EEEvPfS2_PT_PKS3_PKT0_S9_ifPKiSB_iPKfiiiSD_SD_iiiii
                                        ; -- End function
	.section	.AMDGPU.csdata,"",@progbits
; Kernel info:
; codeLenInByte = 4348
; NumSgprs: 62
; NumVgprs: 45
; NumAgprs: 0
; TotalNumVgprs: 45
; ScratchSize: 0
; MemoryBound: 0
; FloatMode: 240
; IeeeMode: 1
; LDSByteSize: 144 bytes/workgroup (compile time only)
; SGPRBlocks: 7
; VGPRBlocks: 5
; NumSGPRsForWavesPerEU: 62
; NumVGPRsForWavesPerEU: 45
; AccumOffset: 48
; Occupancy: 8
; WaveLimiterHint : 1
; COMPUTE_PGM_RSRC2:SCRATCH_EN: 0
; COMPUTE_PGM_RSRC2:USER_SGPR: 2
; COMPUTE_PGM_RSRC2:TRAP_HANDLER: 0
; COMPUTE_PGM_RSRC2:TGID_X_EN: 1
; COMPUTE_PGM_RSRC2:TGID_Y_EN: 1
; COMPUTE_PGM_RSRC2:TGID_Z_EN: 1
; COMPUTE_PGM_RSRC2:TIDIG_COMP_CNT: 0
; COMPUTE_PGM_RSRC3_GFX90A:ACCUM_OFFSET: 11
; COMPUTE_PGM_RSRC3_GFX90A:TG_SPLIT: 0
	.section	.text._ZN4vllm25paged_attention_v2_kernelIfhLi64ELi16ELi128ELNS_18Fp8KVCacheDataTypeE1ELb1ELi512EEEvPfS2_PT_PKS3_PKT0_S9_ifPKiSB_iPKfiiiSD_SD_iiiii,"axG",@progbits,_ZN4vllm25paged_attention_v2_kernelIfhLi64ELi16ELi128ELNS_18Fp8KVCacheDataTypeE1ELb1ELi512EEEvPfS2_PT_PKS3_PKT0_S9_ifPKiSB_iPKfiiiSD_SD_iiiii,comdat
	.protected	_ZN4vllm25paged_attention_v2_kernelIfhLi64ELi16ELi128ELNS_18Fp8KVCacheDataTypeE1ELb1ELi512EEEvPfS2_PT_PKS3_PKT0_S9_ifPKiSB_iPKfiiiSD_SD_iiiii ; -- Begin function _ZN4vllm25paged_attention_v2_kernelIfhLi64ELi16ELi128ELNS_18Fp8KVCacheDataTypeE1ELb1ELi512EEEvPfS2_PT_PKS3_PKT0_S9_ifPKiSB_iPKfiiiSD_SD_iiiii
	.globl	_ZN4vllm25paged_attention_v2_kernelIfhLi64ELi16ELi128ELNS_18Fp8KVCacheDataTypeE1ELb1ELi512EEEvPfS2_PT_PKS3_PKT0_S9_ifPKiSB_iPKfiiiSD_SD_iiiii
	.p2align	8
	.type	_ZN4vllm25paged_attention_v2_kernelIfhLi64ELi16ELi128ELNS_18Fp8KVCacheDataTypeE1ELb1ELi512EEEvPfS2_PT_PKS3_PKT0_S9_ifPKiSB_iPKfiiiSD_SD_iiiii,@function
_ZN4vllm25paged_attention_v2_kernelIfhLi64ELi16ELi128ELNS_18Fp8KVCacheDataTypeE1ELb1ELi512EEEvPfS2_PT_PKS3_PKT0_S9_ifPKiSB_iPKfiiiSD_SD_iiiii: ; @_ZN4vllm25paged_attention_v2_kernelIfhLi64ELi16ELi128ELNS_18Fp8KVCacheDataTypeE1ELb1ELi512EEEvPfS2_PT_PKS3_PKT0_S9_ifPKiSB_iPKfiiiSD_SD_iiiii
; %bb.0:
	s_load_dwordx2 s[6:7], s[0:1], 0x40
	s_mov_b32 s36, s3
	s_ashr_i32 s37, s3, 31
	s_lshl_b64 s[8:9], s[36:37], 2
	s_waitcnt lgkmcnt(0)
	s_add_u32 s6, s6, s8
	s_addc_u32 s7, s7, s9
	s_load_dword s33, s[6:7], 0x0
	s_lshl_b32 s52, s4, 9
	s_waitcnt lgkmcnt(0)
	s_cmp_ge_i32 s52, s33
	s_cbranch_scc1 .LBB210_72
; %bb.1:
	s_load_dword s5, s[0:1], 0x90
	s_load_dwordx2 s[44:45], s[0:1], 0x30
	s_mov_b32 s53, 0
	s_waitcnt lgkmcnt(0)
	s_abs_i32 s7, s5
	s_abs_i32 s3, s44
	v_cvt_f32_u32_e32 v1, s3
	s_sub_i32 s8, 0, s3
	s_xor_b32 s6, s5, s44
	s_ashr_i32 s6, s6, 31
	v_rcp_iflag_f32_e32 v1, v1
	s_nop 0
	v_mul_f32_e32 v1, 0x4f7ffffe, v1
	v_cvt_u32_f32_e32 v1, v1
	s_nop 0
	v_readfirstlane_b32 s9, v1
	s_mul_i32 s8, s8, s9
	s_mul_hi_u32 s8, s9, s8
	s_add_i32 s9, s9, s8
	s_mul_hi_u32 s8, s7, s9
	s_mul_i32 s9, s8, s3
	s_sub_i32 s7, s7, s9
	s_add_i32 s10, s8, 1
	s_sub_i32 s9, s7, s3
	s_cmp_ge_u32 s7, s3
	s_cselect_b32 s8, s10, s8
	s_cselect_b32 s7, s9, s7
	s_add_i32 s9, s8, 1
	s_cmp_ge_u32 s7, s3
	s_cselect_b32 s3, s9, s8
	s_xor_b32 s3, s3, s6
	s_sub_i32 s10, s3, s6
	s_abs_i32 s8, s10
	v_cvt_f32_u32_e32 v1, s8
	s_load_dwordx2 s[6:7], s[0:1], 0x50
	s_sub_i32 s3, 0, s8
	s_abs_i32 s9, s2
	v_rcp_iflag_f32_e32 v1, v1
	s_nop 0
	v_mul_f32_e32 v1, 0x4f7ffffe, v1
	v_cvt_u32_f32_e32 v1, v1
	s_nop 0
	v_readfirstlane_b32 s11, v1
	s_mul_i32 s3, s3, s11
	s_mul_hi_u32 s3, s11, s3
	s_add_i32 s11, s11, s3
	s_waitcnt lgkmcnt(0)
	s_cmp_eq_u64 s[6:7], 0
	s_mul_hi_u32 s12, s9, s11
	s_cbranch_scc1 .LBB210_3
; %bb.2:
	s_ashr_i32 s3, s2, 31
	s_lshl_b64 s[14:15], s[2:3], 2
	s_add_u32 s6, s6, s14
	s_addc_u32 s7, s7, s15
	s_load_dword s53, s[6:7], 0x0
.LBB210_3:
	s_load_dwordx4 s[20:23], s[0:1], 0x58
	v_lshrrev_b32_e32 v34, 2, v0
	s_ashr_i32 s3, s2, 31
	s_ashr_i32 s13, s10, 31
	v_and_b32_e32 v10, 3, v0
	s_lshl_b32 s14, s2, 6
	v_cmp_gt_u32_e64 s[10:11], 64, v0
	v_lshlrev_b32_e32 v6, 2, v0
	v_lshlrev_b32_e32 v1, 2, v34
	s_and_saveexec_b64 s[6:7], s[10:11]
	s_cbranch_execz .LBB210_5
; %bb.4:
	s_load_dwordx2 s[16:17], s[0:1], 0x18
	s_waitcnt lgkmcnt(0)
	s_mul_i32 s18, s36, s20
	s_ashr_i32 s19, s18, 31
	s_lshl_b64 s[18:19], s[18:19], 2
	v_lshl_add_u32 v3, v10, 6, v1
	s_add_u32 s18, s16, s18
	s_addc_u32 s19, s17, s19
	s_ashr_i32 s15, s14, 31
	s_lshl_b64 s[16:17], s[14:15], 2
	s_add_u32 s16, s18, s16
	s_addc_u32 s17, s19, s17
	global_load_dword v2, v6, s[16:17]
	s_waitcnt vmcnt(0)
	ds_write_b32 v3, v2
.LBB210_5:
	s_or_b64 exec, exec, s[6:7]
	s_mul_i32 s6, s12, s8
	s_sub_i32 s6, s9, s6
	s_xor_b32 s3, s3, s13
	s_add_i32 s7, s12, 1
	s_sub_i32 s9, s6, s8
	s_load_dwordx4 s[24:27], s[0:1], 0x78
	s_cmp_ge_u32 s6, s8
	s_cselect_b32 s7, s7, s12
	s_cselect_b32 s6, s9, s6
	s_add_i32 s9, s7, 1
	s_cmp_ge_u32 s6, s8
	s_cselect_b32 s6, s9, s7
	s_load_dword s9, s[0:1], 0x88
	s_waitcnt lgkmcnt(0)
	s_abs_i32 s37, s27
	v_cvt_f32_u32_e32 v2, s37
	s_xor_b32 s6, s6, s3
	s_sub_i32 s51, s6, s3
	s_sub_i32 s6, 0, s37
	v_rcp_iflag_f32_e32 v2, v2
	s_add_i32 s12, s33, -1
	s_abs_i32 s3, s12
	v_mul_f32_e32 v2, 0x4f7ffffe, v2
	v_cvt_u32_f32_e32 v2, v2
	s_barrier
	v_readfirstlane_b32 s50, v2
	s_mul_i32 s6, s6, s50
	s_mul_hi_u32 s6, s50, s6
	s_add_i32 s50, s50, s6
	s_cmp_lt_i32 s9, 0
	s_mul_hi_u32 s8, s3, s50
	s_cbranch_scc0 .LBB210_7
; %bb.6:
	s_mul_i32 s6, s24, s44
	s_add_i32 s6, s51, s6
	s_mul_i32 s6, s6, s9
	s_sub_i32 s44, 1, s6
	s_mov_b64 s[6:7], 0
	s_branch .LBB210_8
.LBB210_7:
	s_mov_b64 s[6:7], -1
                                        ; implicit-def: $sgpr44
.LBB210_8:
	s_load_dwordx2 s[38:39], s[0:1], 0x38
	s_ashr_i32 s12, s12, 31
	s_andn2_b64 vcc, exec, s[6:7]
	s_ashr_i32 s27, s27, 31
	s_cbranch_vccnz .LBB210_10
; %bb.9:
	s_mul_i32 s6, s5, s24
	s_add_i32 s6, s6, s2
	s_mul_i32 s6, s6, s9
	s_add_i32 s44, s6, 1
.LBB210_10:
	s_load_dwordx2 s[42:43], s[0:1], 0x28
	s_load_dword s6, s[0:1], 0x48
	s_load_dwordx4 s[28:31], s[0:1], 0x0
	s_load_dwordx2 s[34:35], s[0:1], 0x10
	s_load_dword s15, s[0:1], 0x98
	s_load_dwordx4 s[16:19], s[0:1], 0x68
	s_mul_i32 s7, s8, s37
	s_waitcnt lgkmcnt(0)
	s_mul_i32 s40, s36, s6
	s_sub_i32 s3, s3, s7
	s_ashr_i32 s41, s40, 31
	s_xor_b32 s6, s12, s27
	s_add_i32 s7, s8, 1
	s_sub_i32 s9, s3, s37
	s_cmp_ge_u32 s3, s37
	s_cselect_b32 s7, s7, s8
	s_cselect_b32 s3, s9, s3
	s_add_i32 s8, s7, 1
	s_cmp_ge_u32 s3, s37
	s_cselect_b32 s3, s8, s7
	s_xor_b32 s3, s3, s6
	s_sub_i32 s20, s3, s6
	s_add_i32 s3, s33, 15
	s_ashr_i32 s6, s3, 31
	s_lshr_b32 s6, s6, 28
	s_add_i32 s3, s3, s6
	s_lshl_b32 s54, s4, 5
	s_ashr_i32 s3, s3, 4
	s_add_i32 s6, s54, 32
	v_lshrrev_b32_e32 v7, 6, v0
	s_min_i32 s24, s6, s3
	v_or_b32_e32 v12, s54, v7
	v_cmp_gt_i32_e64 s[6:7], s24, v12
	v_mov_b32_e32 v15, 0xff7fffff
	s_mul_i32 s51, s51, s22
	v_ashrrev_i32_e32 v13, 31, v12
	v_lshl_add_u32 v35, v7, 4, s52
	v_mbcnt_lo_u32_b32 v8, -1, 0
	s_and_saveexec_b64 s[22:23], s[6:7]
	s_cbranch_execz .LBB210_20
; %bb.11:
	s_load_dwordx2 s[0:1], s[0:1], 0x20
	s_sub_i32 s55, s20, s25
	s_ashr_i32 s8, s51, 31
	v_bfe_u32 v9, v0, 2, 4
	v_mov_b32_e32 v3, 0
	s_waitcnt lgkmcnt(0)
	s_add_u32 s0, s0, s51
	s_addc_u32 s1, s1, s8
	s_abs_i32 s56, s26
	v_cvt_f32_u32_e32 v2, s56
	v_mov_b32_e32 v11, v3
	v_lshlrev_b32_e32 v15, 2, v9
	v_lshl_or_b32 v15, v7, 6, v15
	v_rcp_iflag_f32_e32 v4, v2
	v_lshlrev_b32_e32 v2, 4, v9
	v_lshl_add_u64 v[2:3], s[0:1], 0, v[2:3]
	s_sub_i32 s0, 0, s56
	v_mul_f32_e32 v4, 0x4f7ffffe, v4
	v_cvt_u32_f32_e32 v4, v4
	v_add_u32_e32 v18, 0x110, v15
	v_subrev_u32_e32 v15, s33, v9
	v_mbcnt_hi_u32_b32 v21, -1, v8
	v_mul_lo_u32 v5, s0, v4
	s_lshl_b64 s[0:1], s[40:41], 2
	s_add_u32 s0, s38, s0
	v_mul_hi_u32 v5, v4, v5
	s_addc_u32 s1, s39, s1
	v_add_u32_e32 v19, 1, v15
	v_and_b32_e32 v15, 64, v21
	v_cmp_eq_u32_e32 vcc, 0, v10
	s_mov_b32 s57, s21
	v_lshlrev_b32_e32 v14, 6, v10
	v_cmp_neq_f32_e64 s[8:9], s53, 0
	v_add_u32_e32 v16, v4, v5
	v_lshl_add_u64 v[4:5], v[12:13], 2, s[0:1]
	v_lshl_add_u32 v17, v7, 4, s52
	s_mov_b64 s[46:47], 0
	v_mov_b32_e32 v20, 0xff7fffff
	v_add_u32_e32 v22, 64, v15
	v_xor_b32_e32 v23, 2, v21
	v_xor_b32_e32 v24, 1, v21
	v_mov_b32_e32 v15, 0xff7fffff
	v_mov_b32_e32 v25, v12
	s_branch .LBB210_14
.LBB210_12:                             ;   in Loop: Header=BB210_14 Depth=1
	s_or_b64 exec, exec, s[48:49]
.LBB210_13:                             ;   in Loop: Header=BB210_14 Depth=1
	s_or_b64 exec, exec, s[12:13]
	v_add_u32_e32 v25, 2, v25
	v_cmp_le_i32_e64 s[0:1], s24, v25
	v_lshl_add_u64 v[4:5], v[4:5], 0, 8
	v_add_u32_e32 v17, 32, v17
	s_or_b64 s[46:47], s[0:1], s[46:47]
	v_add_u32_e32 v18, 0x80, v18
	s_andn2_b64 exec, exec, s[46:47]
	s_cbranch_execz .LBB210_19
.LBB210_14:                             ; =>This Inner Loop Header: Depth=1
	s_waitcnt lgkmcnt(0)
	v_sub_u32_e32 v27, 0, v17
	v_max_i32_e32 v27, v17, v27
	v_mul_hi_u32 v28, v27, s50
	v_mul_lo_u32 v29, v28, s37
	v_sub_u32_e32 v27, v27, v29
	v_add_u32_e32 v29, 1, v28
	v_cmp_le_u32_e64 s[0:1], s37, v27
	v_ashrrev_i32_e32 v26, 31, v17
	v_xor_b32_e32 v26, s27, v26
	v_cndmask_b32_e64 v28, v28, v29, s[0:1]
	v_subrev_u32_e32 v29, s37, v27
	v_cndmask_b32_e64 v27, v27, v29, s[0:1]
	v_add_u32_e32 v29, 1, v28
	v_cmp_le_u32_e64 s[0:1], s37, v27
	s_nop 1
	v_cndmask_b32_e64 v27, v28, v29, s[0:1]
	v_xor_b32_e32 v27, v27, v26
	v_sub_u32_e32 v26, v27, v26
	v_add_u32_e32 v27, s44, v26
	v_sub_u32_e32 v29, 0, v27
	v_ashrrev_i32_e32 v28, 31, v27
	v_max_i32_e32 v27, v27, v29
	v_mul_hi_u32 v29, v27, v16
	v_mul_lo_u32 v29, v29, s56
	v_sub_u32_e32 v27, v27, v29
	v_subrev_u32_e32 v29, s56, v27
	v_cmp_le_u32_e64 s[0:1], s56, v27
	v_cmp_ge_i32_e64 s[12:13], s55, v26
	s_nop 0
	v_cndmask_b32_e64 v27, v27, v29, s[0:1]
	v_subrev_u32_e32 v29, s56, v27
	v_cmp_le_u32_e64 s[0:1], s56, v27
	s_nop 1
	v_cndmask_b32_e64 v27, v27, v29, s[0:1]
	v_xor_b32_e32 v27, v27, v28
	v_sub_u32_e32 v27, v27, v28
	v_cmp_ne_u32_e64 s[0:1], 0, v27
	s_and_b64 s[0:1], s[0:1], s[12:13]
	s_and_b64 s[48:49], vcc, s[0:1]
	s_and_saveexec_b64 s[12:13], s[48:49]
	s_cbranch_execz .LBB210_16
; %bb.15:                               ;   in Loop: Header=BB210_14 Depth=1
	ds_write_b32 v18, v20
.LBB210_16:                             ;   in Loop: Header=BB210_14 Depth=1
	s_or_b64 exec, exec, s[12:13]
	s_xor_b64 s[0:1], s[0:1], -1
	s_and_saveexec_b64 s[12:13], s[0:1]
	s_cbranch_execz .LBB210_13
; %bb.17:                               ;   in Loop: Header=BB210_14 Depth=1
	global_load_dword v26, v[4:5], off
	s_waitcnt vmcnt(0)
	v_mad_i64_i32 v[26:27], s[0:1], v26, s57, v[2:3]
	v_lshl_add_u64 v[26:27], v[26:27], 0, v[10:11]
	global_load_ubyte v44, v[26:27], off
	global_load_ubyte v45, v[26:27], off offset:4
	global_load_ubyte v46, v[26:27], off offset:8
	;; [unrolled: 1-line block ×15, first 2 shown]
	v_cmp_lt_i32_e64 s[0:1], v23, v22
	ds_read_b128 v[26:29], v14
	ds_read_b128 v[30:33], v14 offset:16
	ds_read_b128 v[36:39], v14 offset:32
	;; [unrolled: 1-line block ×3, first 2 shown]
	v_cndmask_b32_e64 v60, v21, v23, s[0:1]
	s_load_dword s0, s[16:17], 0x0
	v_lshlrev_b32_e32 v60, 2, v60
	s_waitcnt vmcnt(15)
	v_cvt_f32_fp8_sdwa v44, v44 src0_sel:BYTE_0
	s_waitcnt vmcnt(14)
	v_cvt_f32_fp8_sdwa v45, v45 src0_sel:BYTE_0
	;; [unrolled: 2-line block ×5, first 2 shown]
	s_waitcnt lgkmcnt(0)
	v_mul_f32_e32 v45, s0, v45
	s_waitcnt vmcnt(10)
	v_cvt_f32_fp8_sdwa v49, v49 src0_sel:BYTE_0
	v_mul_f32_e32 v44, s0, v44
	v_mul_f32_e32 v27, v27, v45
	s_waitcnt vmcnt(9)
	v_cvt_f32_fp8_sdwa v50, v50 src0_sel:BYTE_0
	v_mul_f32_e32 v46, s0, v46
	v_fmac_f32_e32 v27, v26, v44
	s_waitcnt vmcnt(8)
	v_cvt_f32_fp8_sdwa v51, v51 src0_sel:BYTE_0
	v_mul_f32_e32 v47, s0, v47
	v_fmac_f32_e32 v27, v28, v46
	;; [unrolled: 4-line block ×10, first 2 shown]
	v_mul_f32_e32 v56, s0, v56
	v_fmac_f32_e32 v27, v39, v55
	v_mul_f32_e32 v57, s0, v57
	v_fmac_f32_e32 v27, v40, v56
	;; [unrolled: 2-line block ×4, first 2 shown]
	v_fmac_f32_e32 v27, v43, v59
	ds_bpermute_b32 v26, v60, v27
	v_cmp_lt_i32_e64 s[0:1], v24, v22
	s_waitcnt lgkmcnt(0)
	v_add_f32_e32 v26, v27, v26
	v_cndmask_b32_e64 v28, v21, v24, s[0:1]
	v_lshlrev_b32_e32 v28, 2, v28
	ds_bpermute_b32 v27, v28, v26
	s_and_saveexec_b64 s[48:49], vcc
	s_cbranch_execz .LBB210_12
; %bb.18:                               ;   in Loop: Header=BB210_14 Depth=1
	v_add_u32_e32 v28, v19, v17
	v_cvt_f32_i32_e32 v28, v28
	s_waitcnt lgkmcnt(0)
	v_add_f32_e32 v26, v26, v27
	v_add_u32_e32 v29, v9, v17
	v_cmp_gt_i32_e64 s[0:1], s33, v29
	v_mul_f32_e32 v27, s53, v28
	v_cndmask_b32_e64 v27, 0, v27, s[8:9]
	v_fmac_f32_e32 v27, s45, v26
	v_cndmask_b32_e64 v26, 0, v27, s[0:1]
	ds_write_b32 v18, v26
	v_max_f32_e32 v26, v15, v15
	v_max_f32_e32 v26, v26, v27
	v_cndmask_b32_e64 v15, v15, v26, s[0:1]
	s_branch .LBB210_12
.LBB210_19:
	s_or_b64 exec, exec, s[46:47]
.LBB210_20:
	s_or_b64 exec, exec, s[22:23]
	v_mbcnt_hi_u32_b32 v2, -1, v8
	v_and_b32_e32 v3, 64, v2
	v_add_u32_e32 v3, 64, v3
	v_xor_b32_e32 v4, 32, v2
	v_cmp_lt_i32_e32 vcc, v4, v3
	v_xor_b32_e32 v9, 16, v2
	v_max_f32_e32 v8, v15, v15
	v_cndmask_b32_e32 v4, v2, v4, vcc
	v_lshlrev_b32_e32 v5, 2, v4
	ds_bpermute_b32 v4, v5, v15
	v_cmp_lt_i32_e32 vcc, v9, v3
	v_xor_b32_e32 v11, 8, v2
	s_waitcnt lgkmcnt(0)
	v_max_f32_e32 v4, v4, v4
	v_max_f32_e32 v4, v8, v4
	v_cndmask_b32_e32 v8, v2, v9, vcc
	v_lshlrev_b32_e32 v8, 2, v8
	ds_bpermute_b32 v9, v8, v4
	v_cmp_lt_i32_e32 vcc, v11, v3
	s_waitcnt lgkmcnt(0)
	v_max_f32_e32 v9, v9, v9
	v_max_f32_e32 v4, v4, v9
	v_cndmask_b32_e32 v9, v2, v11, vcc
	v_lshlrev_b32_e32 v15, 2, v9
	ds_bpermute_b32 v9, v15, v4
	v_xor_b32_e32 v11, 4, v2
	v_cmp_lt_i32_e32 vcc, v11, v3
	s_waitcnt lgkmcnt(0)
	v_max_f32_e32 v9, v9, v9
	v_max_f32_e32 v4, v4, v9
	v_cndmask_b32_e32 v9, v2, v11, vcc
	v_lshlrev_b32_e32 v16, 2, v9
	ds_bpermute_b32 v14, v16, v4
	v_and_b32_e32 v11, 63, v0
	v_cmp_eq_u32_e32 vcc, 0, v11
	v_lshlrev_b32_e32 v9, 2, v7
	s_and_saveexec_b64 s[0:1], vcc
	s_cbranch_execz .LBB210_22
; %bb.21:
	s_waitcnt lgkmcnt(0)
	v_max_f32_e32 v14, v14, v14
	v_max_f32_e32 v4, v4, v4
	v_max_f32_e32 v4, v4, v14
	ds_write_b32 v9, v4 offset:256
.LBB210_22:
	s_or_b64 exec, exec, s[0:1]
	v_cmp_gt_u32_e64 s[0:1], 2, v11
	v_mov_b32_e32 v4, 0xff7fffff
	s_waitcnt lgkmcnt(0)
	v_lshlrev_b32_e32 v14, 2, v11
	s_barrier
	s_and_saveexec_b64 s[8:9], s[0:1]
	s_cbranch_execz .LBB210_24
; %bb.23:
	ds_read_b32 v4, v14 offset:256
.LBB210_24:
	s_or_b64 exec, exec, s[8:9]
	v_xor_b32_e32 v17, 1, v2
	v_cmp_lt_i32_e64 s[8:9], v17, v3
	v_mov_b32_e32 v18, 0
	s_nop 0
	v_cndmask_b32_e64 v17, v2, v17, s[8:9]
	v_lshlrev_b32_e32 v36, 2, v17
	s_waitcnt lgkmcnt(0)
	ds_bpermute_b32 v17, v36, v4
	v_max_f32_e32 v4, v4, v4
	s_sub_i32 s8, s24, s54
	s_lshl_b32 s8, s8, 4
	s_add_i32 s8, s8, s52
	s_waitcnt lgkmcnt(0)
	v_max_f32_e32 v17, v17, v17
	v_max_f32_e32 v4, v4, v17
	v_lshlrev_b32_e32 v17, 2, v2
	v_and_b32_e32 v17, 0x100, v17
	ds_bpermute_b32 v4, v17, v4
	s_min_i32 s46, s8, s33
	s_sub_i32 s45, s46, s52
	v_cmp_gt_i32_e64 s[8:9], s45, v0
	s_and_saveexec_b64 s[16:17], s[8:9]
	s_cbranch_execz .LBB210_28
; %bb.25:
	v_mov_b32_e32 v18, 0x110
	v_lshl_add_u32 v19, v0, 2, v18
	s_mov_b64 s[22:23], 0
	v_mov_b32_e32 v18, 0
	v_mov_b32_e32 v20, v0
.LBB210_26:                             ; =>This Inner Loop Header: Depth=1
	ds_read_b32 v21, v19
	v_add_u32_e32 v20, 0x80, v20
	v_cmp_le_i32_e64 s[12:13], s45, v20
	s_or_b64 s[22:23], s[12:13], s[22:23]
	s_waitcnt lgkmcnt(0)
	v_sub_f32_e32 v21, v21, v4
	v_mul_f32_e32 v21, 0x3fb8aa3b, v21
	v_exp_f32_e32 v21, v21
	ds_write_b32 v19, v21
	v_add_f32_e32 v18, v18, v21
	v_add_u32_e32 v19, 0x200, v19
	s_andn2_b64 exec, exec, s[22:23]
	s_cbranch_execnz .LBB210_26
; %bb.27:
	s_or_b64 exec, exec, s[22:23]
.LBB210_28:
	s_or_b64 exec, exec, s[16:17]
	ds_bpermute_b32 v5, v5, v18
	s_waitcnt lgkmcnt(0)
	v_add_f32_e32 v5, v18, v5
	ds_bpermute_b32 v8, v8, v5
	s_waitcnt lgkmcnt(0)
	v_add_f32_e32 v5, v5, v8
	ds_bpermute_b32 v8, v15, v5
	v_xor_b32_e32 v15, 2, v2
	v_cmp_lt_i32_e64 s[12:13], v15, v3
	s_waitcnt lgkmcnt(0)
	v_add_f32_e32 v5, v5, v8
	ds_bpermute_b32 v8, v16, v5
	v_cndmask_b32_e64 v2, v2, v15, s[12:13]
	v_lshlrev_b32_e32 v37, 2, v2
	s_waitcnt lgkmcnt(0)
	v_add_f32_e32 v3, v5, v8
	ds_bpermute_b32 v2, v37, v3
	s_waitcnt lgkmcnt(0)
	v_add_f32_e32 v2, v3, v2
	ds_bpermute_b32 v3, v36, v2
	s_waitcnt lgkmcnt(0)
	v_add_f32_e32 v2, v2, v3
	s_and_saveexec_b64 s[12:13], vcc
	s_cbranch_execz .LBB210_30
; %bb.29:
	ds_write_b32 v9, v2 offset:264
.LBB210_30:
	s_or_b64 exec, exec, s[12:13]
	s_waitcnt lgkmcnt(0)
	s_barrier
	s_and_saveexec_b64 s[12:13], s[0:1]
	s_cbranch_execz .LBB210_32
; %bb.31:
	ds_read_b32 v2, v14 offset:264
.LBB210_32:
	s_or_b64 exec, exec, s[12:13]
	s_waitcnt lgkmcnt(0)
	ds_bpermute_b32 v3, v36, v2
	s_waitcnt lgkmcnt(0)
	v_add_f32_e32 v2, v2, v3
	ds_bpermute_b32 v5, v17, v2
	s_and_saveexec_b64 s[0:1], s[8:9]
	s_cbranch_execz .LBB210_45
; %bb.33:
	s_waitcnt lgkmcnt(0)
	v_add_f32_e32 v2, 0x358637bd, v5
	v_div_scale_f32 v3, s[8:9], v2, v2, 1.0
	v_rcp_f32_e32 v8, v3
	v_div_scale_f32 v9, vcc, 1.0, v2, 1.0
	s_movk_i32 s8, 0x7f
	v_fma_f32 v14, -v3, v8, 1.0
	v_fmac_f32_e32 v8, v14, v8
	v_mul_f32_e32 v14, v9, v8
	v_fma_f32 v15, -v3, v14, v9
	v_fmac_f32_e32 v14, v15, v8
	v_fma_f32 v3, -v3, v14, v9
	v_div_fmas_f32 v3, v3, v8, v14
	v_div_fixup_f32 v2, v3, v2, 1.0
	v_xad_u32 v3, v0, -1, s46
	v_subrev_u32_e32 v8, s52, v3
	v_cmp_lt_u32_e32 vcc, s8, v8
	s_mov_b64 s[12:13], -1
	v_mov_b32_e32 v3, v0
	s_and_saveexec_b64 s[8:9], vcc
	s_cbranch_execz .LBB210_42
; %bb.34:
	v_lshrrev_b32_e32 v8, 7, v8
	v_add_u32_e32 v14, -1, v8
	v_lshrrev_b32_e32 v9, 1, v14
	v_mov_b32_e32 v3, v2
	v_add_u32_e32 v9, 1, v9
	v_cmp_lt_u32_e32 vcc, 13, v14
	v_mov_b32_e32 v16, 0
	s_and_saveexec_b64 s[12:13], vcc
	s_cbranch_execz .LBB210_38
; %bb.35:
	v_mov_b32_e32 v15, 0x110
	v_and_b32_e32 v14, -8, v9
	v_lshl_add_u32 v15, v0, 2, v15
	s_mov_b32 s22, 0
	s_mov_b64 s[16:17], 0
.LBB210_36:                             ; =>This Inner Loop Header: Depth=1
	ds_read2st64_b32 v[16:17], v15 offset1:2
	ds_read2st64_b32 v[18:19], v15 offset0:4 offset1:6
	ds_read2st64_b32 v[20:21], v15 offset0:8 offset1:10
	;; [unrolled: 1-line block ×3, first 2 shown]
	v_add_u32_e32 v14, -8, v14
	s_waitcnt lgkmcnt(3)
	v_pk_mul_f32 v[16:17], v[2:3], v[16:17]
	s_waitcnt lgkmcnt(2)
	v_pk_mul_f32 v[18:19], v[2:3], v[18:19]
	ds_write2st64_b32 v15, v16, v17 offset1:2
	ds_write2st64_b32 v15, v18, v19 offset0:4 offset1:6
	ds_read2st64_b32 v[18:19], v15 offset0:16 offset1:18
	s_waitcnt lgkmcnt(4)
	v_pk_mul_f32 v[16:17], v[2:3], v[20:21]
	ds_write2st64_b32 v15, v16, v17 offset0:8 offset1:10
	s_waitcnt lgkmcnt(4)
	v_pk_mul_f32 v[16:17], v[2:3], v[22:23]
	ds_write2st64_b32 v15, v16, v17 offset0:12 offset1:14
	ds_read2st64_b32 v[16:17], v15 offset0:20 offset1:22
	s_waitcnt lgkmcnt(3)
	v_pk_mul_f32 v[18:19], v[2:3], v[18:19]
	ds_read2st64_b32 v[20:21], v15 offset0:24 offset1:26
	ds_write2st64_b32 v15, v18, v19 offset0:16 offset1:18
	ds_read2st64_b32 v[18:19], v15 offset0:28 offset1:30
	s_waitcnt lgkmcnt(3)
	v_pk_mul_f32 v[16:17], v[2:3], v[16:17]
	ds_write2st64_b32 v15, v16, v17 offset0:20 offset1:22
	s_waitcnt lgkmcnt(3)
	v_pk_mul_f32 v[16:17], v[2:3], v[20:21]
	ds_write2st64_b32 v15, v16, v17 offset0:24 offset1:26
	s_waitcnt lgkmcnt(2)
	v_pk_mul_f32 v[16:17], v[2:3], v[18:19]
	s_add_i32 s22, s22, 16
	v_cmp_eq_u32_e32 vcc, 0, v14
	ds_write2st64_b32 v15, v16, v17 offset0:28 offset1:30
	v_add_u32_e32 v15, 0x2000, v15
	s_or_b64 s[16:17], vcc, s[16:17]
	v_mov_b32_e32 v16, s22
	s_andn2_b64 exec, exec, s[16:17]
	s_cbranch_execnz .LBB210_36
; %bb.37:
	s_or_b64 exec, exec, s[16:17]
.LBB210_38:
	s_or_b64 exec, exec, s[12:13]
	v_and_b32_e32 v9, 7, v9
	v_cmp_ne_u32_e32 vcc, 0, v9
	s_and_saveexec_b64 s[12:13], vcc
	s_cbranch_execz .LBB210_41
; %bb.39:
	v_lshlrev_b32_e32 v14, 9, v16
	s_movk_i32 s16, 0x110
	v_add3_u32 v14, v14, v6, s16
	s_mov_b64 s[16:17], 0
.LBB210_40:                             ; =>This Inner Loop Header: Depth=1
	ds_read2st64_b32 v[16:17], v14 offset1:2
	v_add_u32_e32 v9, -1, v9
	v_cmp_eq_u32_e32 vcc, 0, v9
	s_or_b64 s[16:17], vcc, s[16:17]
	s_waitcnt lgkmcnt(0)
	v_pk_mul_f32 v[16:17], v[2:3], v[16:17]
	ds_write2st64_b32 v14, v16, v17 offset1:2
	v_add_u32_e32 v14, 0x400, v14
	s_andn2_b64 exec, exec, s[16:17]
	s_cbranch_execnz .LBB210_40
.LBB210_41:
	s_or_b64 exec, exec, s[12:13]
	v_add_u32_e32 v8, 1, v8
	v_and_b32_e32 v9, 0x3fffffe, v8
	v_cmp_ne_u32_e32 vcc, v8, v9
	v_lshl_add_u32 v3, v9, 7, v0
	s_orn2_b64 s[12:13], vcc, exec
.LBB210_42:
	s_or_b64 exec, exec, s[8:9]
	s_and_b64 exec, exec, s[12:13]
	s_cbranch_execz .LBB210_45
; %bb.43:
	v_mov_b32_e32 v8, 0x110
	v_lshl_add_u32 v8, v3, 2, v8
	s_mov_b64 s[8:9], 0
.LBB210_44:                             ; =>This Inner Loop Header: Depth=1
	ds_read_b32 v9, v8
	v_add_u32_e32 v3, 0x80, v3
	v_cmp_le_i32_e32 vcc, s45, v3
	s_or_b64 s[8:9], vcc, s[8:9]
	s_waitcnt lgkmcnt(0)
	v_mul_f32_e32 v9, v2, v9
	ds_write_b32 v8, v9
	v_add_u32_e32 v8, 0x200, v8
	s_andn2_b64 exec, exec, s[8:9]
	s_cbranch_execnz .LBB210_44
.LBB210_45:
	s_or_b64 exec, exec, s[0:1]
	s_mul_i32 s0, s15, s36
	v_cmp_eq_u32_e32 vcc, 0, v0
	s_mul_i32 s8, s0, s5
	s_waitcnt lgkmcnt(0)
	s_barrier
	s_and_saveexec_b64 s[0:1], vcc
	s_cbranch_execz .LBB210_47
; %bb.46:
	s_ashr_i32 s9, s8, 31
	s_lshl_b64 s[12:13], s[8:9], 2
	s_add_u32 s5, s30, s12
	s_mul_i32 s16, s15, s2
	s_addc_u32 s9, s31, s13
	s_ashr_i32 s17, s16, 31
	s_lshl_b64 s[16:17], s[16:17], 2
	s_add_u32 s2, s5, s16
	s_addc_u32 s9, s9, s17
	s_ashr_i32 s5, s4, 31
	s_lshl_b64 s[22:23], s[4:5], 2
	s_add_u32 s30, s2, s22
	s_addc_u32 s31, s9, s23
	s_add_u32 s2, s28, s12
	s_addc_u32 s5, s29, s13
	;; [unrolled: 2-line block ×3, first 2 shown]
	s_add_u32 s12, s2, s22
	v_mov_b32_e32 v2, 0
	s_addc_u32 s13, s5, s23
	global_store_dword v2, v4, s[30:31]
	global_store_dword v2, v5, s[12:13]
.LBB210_47:
	s_or_b64 exec, exec, s[0:1]
	s_mov_b32 s0, 0
	v_mov_b32_e32 v5, 0
	v_mov_b32_e32 v4, 0
	;; [unrolled: 1-line block ×4, first 2 shown]
	s_and_saveexec_b64 s[12:13], s[6:7]
	s_cbranch_execz .LBB210_61
; %bb.48:
	s_sub_i32 s5, s20, s25
	s_ashr_i32 s1, s51, 31
	s_add_u32 s6, s42, s51
	s_addc_u32 s7, s43, s1
	s_abs_i32 s9, s26
	v_cvt_f32_u32_e32 v2, s9
	v_mov_b32_e32 v3, 0
	s_sub_i32 s1, 0, s9
	s_add_i32 s23, s3, -1
	v_rcp_iflag_f32_e32 v4, v2
	v_and_b32_e32 v2, 0xfc, v6
	v_lshl_add_u64 v[14:15], s[6:7], 0, v[2:3]
	s_lshl_b64 s[2:3], s[40:41], 2
	v_mul_f32_e32 v4, 0x4f7ffffe, v4
	v_cvt_u32_f32_e32 v4, v4
	s_add_u32 s2, s38, s2
	s_addc_u32 s3, s39, s3
	v_lshl_add_u64 v[16:17], v[12:13], 2, s[2:3]
	v_mul_lo_u32 v2, s1, v4
	v_mul_hi_u32 v2, v4, v2
	v_add_u32_e32 v39, v4, v2
	v_lshlrev_b32_e32 v2, 4, v10
	v_lshl_or_b32 v2, v7, 6, v2
	s_mov_b32 s2, s0
	s_mov_b32 s3, s0
	v_add_u32_e32 v13, 0x110, v2
	s_mov_b32 s1, s0
	v_mov_b64_e32 v[4:5], s[2:3]
	v_and_b32_e32 v38, 12, v6
	s_mov_b32 s22, s21
	s_mov_b64 s[6:7], 0
	v_mov_b64_e32 v[2:3], s[0:1]
	s_branch .LBB210_51
.LBB210_49:                             ;   in Loop: Header=BB210_51 Depth=1
	s_or_b64 exec, exec, s[0:1]
	v_mul_f32_e32 v21, v7, v21
	v_fmac_f32_e32 v21, v6, v20
	v_fmac_f32_e32 v21, v8, v18
	v_mul_f32_e32 v18, v7, v27
	v_fmac_f32_e32 v18, v6, v26
	v_fmac_f32_e32 v18, v8, v24
	;; [unrolled: 1-line block ×3, first 2 shown]
	v_add_f32_e32 v3, v3, v18
	v_mul_f32_e32 v18, v7, v31
	v_mul_f32_e32 v7, v7, v33
	v_fmac_f32_e32 v18, v6, v30
	v_fmac_f32_e32 v7, v6, v32
	;; [unrolled: 1-line block ×7, first 2 shown]
	v_add_f32_e32 v2, v2, v21
	v_add_f32_e32 v4, v4, v18
	;; [unrolled: 1-line block ×3, first 2 shown]
.LBB210_50:                             ;   in Loop: Header=BB210_51 Depth=1
	s_or_b64 exec, exec, s[2:3]
	v_add_u32_e32 v12, 2, v12
	v_cmp_le_i32_e32 vcc, s24, v12
	v_lshl_add_u64 v[16:17], v[16:17], 0, 8
	v_add_u32_e32 v35, 32, v35
	s_or_b64 s[6:7], vcc, s[6:7]
	v_add_u32_e32 v13, 0x80, v13
	s_andn2_b64 exec, exec, s[6:7]
	s_cbranch_execz .LBB210_60
.LBB210_51:                             ; =>This Inner Loop Header: Depth=1
	v_sub_u32_e32 v7, 0, v35
	v_max_i32_e32 v7, v35, v7
	v_mul_hi_u32 v8, v7, s50
	v_mul_lo_u32 v9, v8, s37
	v_sub_u32_e32 v7, v7, v9
	v_add_u32_e32 v9, 1, v8
	v_cmp_le_u32_e32 vcc, s37, v7
	v_ashrrev_i32_e32 v6, 31, v35
	v_xor_b32_e32 v6, s27, v6
	v_cndmask_b32_e32 v8, v8, v9, vcc
	v_subrev_u32_e32 v9, s37, v7
	v_cndmask_b32_e32 v7, v7, v9, vcc
	v_add_u32_e32 v9, 1, v8
	v_cmp_le_u32_e32 vcc, s37, v7
	s_nop 1
	v_cndmask_b32_e32 v7, v8, v9, vcc
	v_xor_b32_e32 v7, v7, v6
	v_sub_u32_e32 v6, v7, v6
	v_add_u32_e32 v7, s44, v6
	v_sub_u32_e32 v9, 0, v7
	v_ashrrev_i32_e32 v8, 31, v7
	v_max_i32_e32 v7, v7, v9
	v_mul_hi_u32 v9, v7, v39
	v_mul_lo_u32 v9, v9, s9
	v_sub_u32_e32 v7, v7, v9
	v_subrev_u32_e32 v9, s9, v7
	v_cmp_le_u32_e32 vcc, s9, v7
	v_cmp_lt_i32_e64 s[0:1], s5, v6
	s_nop 0
	v_cndmask_b32_e32 v7, v7, v9, vcc
	v_subrev_u32_e32 v9, s9, v7
	v_cmp_le_u32_e32 vcc, s9, v7
	s_nop 1
	v_cndmask_b32_e32 v7, v7, v9, vcc
	v_xor_b32_e32 v7, v7, v8
	v_sub_u32_e32 v7, v7, v8
	v_cmp_eq_u32_e32 vcc, 0, v7
	s_or_b64 s[0:1], vcc, s[0:1]
	s_and_saveexec_b64 s[2:3], s[0:1]
	s_cbranch_execz .LBB210_50
; %bb.52:                               ;   in Loop: Header=BB210_51 Depth=1
	global_load_dword v6, v[16:17], off
	s_load_dword s16, s[18:19], 0x0
	v_add_u32_e32 v40, v38, v35
	v_cmp_eq_u32_e32 vcc, s23, v12
	v_add_u32_e32 v42, 1, v40
	v_add_u32_e32 v41, 2, v40
	v_add_u32_e32 v43, 3, v40
	s_waitcnt vmcnt(0)
	v_mad_i64_i32 v[22:23], s[0:1], v6, s22, v[14:15]
	global_load_dword v18, v[22:23], off
	ds_read_b128 v[6:9], v13
	s_waitcnt vmcnt(0)
	v_and_b32_e32 v19, 0xffff, v18
	v_lshrrev_b32_e32 v20, 16, v18
	v_cvt_pk_f32_fp8_e32 v[18:19], v19
	v_cvt_pk_f32_fp8_e32 v[24:25], v20
	s_waitcnt lgkmcnt(0)
	v_pk_mul_f32 v[20:21], s[16:17], v[18:19] op_sel_hi:[0,1]
	v_pk_mul_f32 v[18:19], s[16:17], v[24:25] op_sel_hi:[0,1]
	s_and_saveexec_b64 s[20:21], vcc
; %bb.53:                               ;   in Loop: Header=BB210_51 Depth=1
	v_cmp_gt_i32_e64 s[0:1], s33, v40
	s_nop 1
	v_cndmask_b32_e64 v20, 0, v20, s[0:1]
	v_cmp_gt_i32_e64 s[0:1], s33, v42
	s_nop 1
	v_cndmask_b32_e64 v21, 0, v21, s[0:1]
	;; [unrolled: 3-line block ×4, first 2 shown]
; %bb.54:                               ;   in Loop: Header=BB210_51 Depth=1
	s_or_b64 exec, exec, s[20:21]
	global_load_dword v24, v[22:23], off offset:256
	s_mov_b32 s17, s16
	s_waitcnt vmcnt(0)
	v_and_b32_e32 v25, 0xffff, v24
	v_lshrrev_b32_e32 v26, 16, v24
	v_cvt_pk_f32_fp8_e32 v[24:25], v25
	v_cvt_pk_f32_fp8_e32 v[28:29], v26
	v_pk_mul_f32 v[26:27], s[16:17], v[24:25]
	v_pk_mul_f32 v[24:25], s[16:17], v[28:29]
	s_and_saveexec_b64 s[20:21], vcc
; %bb.55:                               ;   in Loop: Header=BB210_51 Depth=1
	v_cmp_gt_i32_e64 s[0:1], s33, v40
	s_nop 1
	v_cndmask_b32_e64 v26, 0, v26, s[0:1]
	v_cmp_gt_i32_e64 s[0:1], s33, v42
	s_nop 1
	v_cndmask_b32_e64 v27, 0, v27, s[0:1]
	;; [unrolled: 3-line block ×4, first 2 shown]
; %bb.56:                               ;   in Loop: Header=BB210_51 Depth=1
	s_or_b64 exec, exec, s[20:21]
	global_load_dword v28, v[22:23], off offset:512
	s_waitcnt vmcnt(0)
	v_and_b32_e32 v29, 0xffff, v28
	v_lshrrev_b32_e32 v30, 16, v28
	v_cvt_pk_f32_fp8_e32 v[28:29], v29
	v_cvt_pk_f32_fp8_e32 v[32:33], v30
	v_pk_mul_f32 v[30:31], s[16:17], v[28:29]
	v_pk_mul_f32 v[28:29], s[16:17], v[32:33]
	s_and_saveexec_b64 s[20:21], vcc
; %bb.57:                               ;   in Loop: Header=BB210_51 Depth=1
	v_cmp_gt_i32_e64 s[0:1], s33, v40
	s_nop 1
	v_cndmask_b32_e64 v30, 0, v30, s[0:1]
	v_cmp_gt_i32_e64 s[0:1], s33, v42
	s_nop 1
	v_cndmask_b32_e64 v31, 0, v31, s[0:1]
	;; [unrolled: 3-line block ×4, first 2 shown]
; %bb.58:                               ;   in Loop: Header=BB210_51 Depth=1
	s_or_b64 exec, exec, s[20:21]
	global_load_dword v22, v[22:23], off offset:768
	s_waitcnt vmcnt(0)
	v_and_b32_e32 v23, 0xffff, v22
	v_lshrrev_b32_e32 v32, 16, v22
	v_cvt_pk_f32_fp8_e32 v[22:23], v23
	v_cvt_pk_f32_fp8_e32 v[44:45], v32
	v_pk_mul_f32 v[32:33], s[16:17], v[22:23]
	v_pk_mul_f32 v[22:23], s[16:17], v[44:45]
	s_and_saveexec_b64 s[0:1], vcc
	s_cbranch_execz .LBB210_49
; %bb.59:                               ;   in Loop: Header=BB210_51 Depth=1
	v_cmp_gt_i32_e32 vcc, s33, v40
	s_nop 1
	v_cndmask_b32_e32 v32, 0, v32, vcc
	v_cmp_gt_i32_e32 vcc, s33, v42
	s_nop 1
	v_cndmask_b32_e32 v33, 0, v33, vcc
	;; [unrolled: 3-line block ×4, first 2 shown]
	s_branch .LBB210_49
.LBB210_60:
	s_or_b64 exec, exec, s[6:7]
.LBB210_61:
	s_or_b64 exec, exec, s[12:13]
	ds_bpermute_b32 v6, v37, v2
	ds_bpermute_b32 v7, v37, v3
	;; [unrolled: 1-line block ×4, first 2 shown]
	v_and_b32_e32 v0, 0x3c3, v0
	v_cmp_eq_u32_e32 vcc, 64, v0
	s_waitcnt lgkmcnt(2)
	v_pk_add_f32 v[2:3], v[2:3], v[6:7]
	ds_bpermute_b32 v6, v36, v2
	s_waitcnt lgkmcnt(1)
	v_pk_add_f32 v[4:5], v[4:5], v[8:9]
	ds_bpermute_b32 v7, v36, v3
	ds_bpermute_b32 v8, v36, v4
	;; [unrolled: 1-line block ×3, first 2 shown]
	s_waitcnt lgkmcnt(0)
	s_barrier
	v_pk_add_f32 v[2:3], v[2:3], v[6:7]
	v_pk_add_f32 v[4:5], v[4:5], v[8:9]
	s_and_saveexec_b64 s[0:1], vcc
	s_cbranch_execz .LBB210_63
; %bb.62:
	v_add_u32_e32 v6, 0x110, v11
	ds_write2_b32 v6, v2, v3 offset1:16
	ds_write2_b32 v6, v4, v5 offset0:32 offset1:48
.LBB210_63:
	s_or_b64 exec, exec, s[0:1]
	s_waitcnt lgkmcnt(0)
	s_barrier
	s_and_saveexec_b64 s[0:1], s[10:11]
	s_cbranch_execz .LBB210_70
; %bb.64:
	v_cmp_eq_u32_e32 vcc, 0, v10
	s_and_saveexec_b64 s[2:3], vcc
	s_cbranch_execnz .LBB210_73
; %bb.65:
	s_or_b64 exec, exec, s[2:3]
	s_and_saveexec_b64 s[2:3], vcc
	s_cbranch_execnz .LBB210_74
.LBB210_66:
	s_or_b64 exec, exec, s[2:3]
	s_and_saveexec_b64 s[2:3], vcc
	s_cbranch_execnz .LBB210_75
.LBB210_67:
	s_or_b64 exec, exec, s[2:3]
	s_and_saveexec_b64 s[2:3], vcc
	s_cbranch_execz .LBB210_69
.LBB210_68:
	v_mov_b32_e32 v6, 0x110
	v_lshl_add_u32 v6, v34, 2, v6
	ds_read_b32 v6, v6 offset:192
	s_waitcnt lgkmcnt(0)
	v_add_f32_e32 v5, v5, v6
.LBB210_69:
	s_or_b64 exec, exec, s[2:3]
.LBB210_70:
	s_or_b64 exec, exec, s[0:1]
	v_cmp_eq_u32_e32 vcc, 0, v0
	s_barrier
	s_and_saveexec_b64 s[0:1], vcc
	s_cbranch_execz .LBB210_72
; %bb.71:
	s_lshl_b32 s0, s8, 6
	s_ashr_i32 s1, s0, 31
	s_lshl_b64 s[0:1], s[0:1], 2
	s_add_u32 s2, s34, s0
	s_mul_i32 s0, s15, s14
	s_addc_u32 s3, s35, s1
	s_ashr_i32 s1, s0, 31
	s_lshl_b64 s[0:1], s[0:1], 2
	s_add_u32 s2, s2, s0
	s_addc_u32 s3, s3, s1
	s_lshl_b32 s0, s4, 6
	s_ashr_i32 s1, s0, 31
	s_lshl_b64 s[0:1], s[0:1], 2
	s_add_u32 s0, s2, s0
	s_addc_u32 s1, s3, s1
	global_store_dword v1, v2, s[0:1]
	global_store_dword v1, v3, s[0:1] offset:64
	global_store_dword v1, v4, s[0:1] offset:128
	;; [unrolled: 1-line block ×3, first 2 shown]
.LBB210_72:
	s_endpgm
.LBB210_73:
	v_mov_b32_e32 v6, 0x110
	v_lshl_add_u32 v6, v34, 2, v6
	ds_read_b32 v6, v6
	s_waitcnt lgkmcnt(0)
	v_add_f32_e32 v2, v2, v6
	s_or_b64 exec, exec, s[2:3]
	s_and_saveexec_b64 s[2:3], vcc
	s_cbranch_execz .LBB210_66
.LBB210_74:
	v_mov_b32_e32 v6, 0x110
	v_lshl_add_u32 v6, v34, 2, v6
	ds_read_b32 v6, v6 offset:64
	s_waitcnt lgkmcnt(0)
	v_add_f32_e32 v3, v3, v6
	s_or_b64 exec, exec, s[2:3]
	s_and_saveexec_b64 s[2:3], vcc
	s_cbranch_execz .LBB210_67
.LBB210_75:
	v_mov_b32_e32 v6, 0x110
	v_lshl_add_u32 v6, v34, 2, v6
	ds_read_b32 v6, v6 offset:128
	s_waitcnt lgkmcnt(0)
	v_add_f32_e32 v4, v4, v6
	s_or_b64 exec, exec, s[2:3]
	s_and_saveexec_b64 s[2:3], vcc
	s_cbranch_execnz .LBB210_68
	s_branch .LBB210_69
	.section	.rodata,"a",@progbits
	.p2align	6, 0x0
	.amdhsa_kernel _ZN4vllm25paged_attention_v2_kernelIfhLi64ELi16ELi128ELNS_18Fp8KVCacheDataTypeE1ELb1ELi512EEEvPfS2_PT_PKS3_PKT0_S9_ifPKiSB_iPKfiiiSD_SD_iiiii
		.amdhsa_group_segment_fixed_size 272
		.amdhsa_private_segment_fixed_size 0
		.amdhsa_kernarg_size 400
		.amdhsa_user_sgpr_count 2
		.amdhsa_user_sgpr_dispatch_ptr 0
		.amdhsa_user_sgpr_queue_ptr 0
		.amdhsa_user_sgpr_kernarg_segment_ptr 1
		.amdhsa_user_sgpr_dispatch_id 0
		.amdhsa_user_sgpr_kernarg_preload_length 0
		.amdhsa_user_sgpr_kernarg_preload_offset 0
		.amdhsa_user_sgpr_private_segment_size 0
		.amdhsa_uses_dynamic_stack 0
		.amdhsa_enable_private_segment 0
		.amdhsa_system_sgpr_workgroup_id_x 1
		.amdhsa_system_sgpr_workgroup_id_y 1
		.amdhsa_system_sgpr_workgroup_id_z 1
		.amdhsa_system_sgpr_workgroup_info 0
		.amdhsa_system_vgpr_workitem_id 0
		.amdhsa_next_free_vgpr 61
		.amdhsa_next_free_sgpr 58
		.amdhsa_accum_offset 64
		.amdhsa_reserve_vcc 1
		.amdhsa_float_round_mode_32 0
		.amdhsa_float_round_mode_16_64 0
		.amdhsa_float_denorm_mode_32 3
		.amdhsa_float_denorm_mode_16_64 3
		.amdhsa_dx10_clamp 1
		.amdhsa_ieee_mode 1
		.amdhsa_fp16_overflow 0
		.amdhsa_tg_split 0
		.amdhsa_exception_fp_ieee_invalid_op 0
		.amdhsa_exception_fp_denorm_src 0
		.amdhsa_exception_fp_ieee_div_zero 0
		.amdhsa_exception_fp_ieee_overflow 0
		.amdhsa_exception_fp_ieee_underflow 0
		.amdhsa_exception_fp_ieee_inexact 0
		.amdhsa_exception_int_div_zero 0
	.end_amdhsa_kernel
	.section	.text._ZN4vllm25paged_attention_v2_kernelIfhLi64ELi16ELi128ELNS_18Fp8KVCacheDataTypeE1ELb1ELi512EEEvPfS2_PT_PKS3_PKT0_S9_ifPKiSB_iPKfiiiSD_SD_iiiii,"axG",@progbits,_ZN4vllm25paged_attention_v2_kernelIfhLi64ELi16ELi128ELNS_18Fp8KVCacheDataTypeE1ELb1ELi512EEEvPfS2_PT_PKS3_PKT0_S9_ifPKiSB_iPKfiiiSD_SD_iiiii,comdat
.Lfunc_end210:
	.size	_ZN4vllm25paged_attention_v2_kernelIfhLi64ELi16ELi128ELNS_18Fp8KVCacheDataTypeE1ELb1ELi512EEEvPfS2_PT_PKS3_PKT0_S9_ifPKiSB_iPKfiiiSD_SD_iiiii, .Lfunc_end210-_ZN4vllm25paged_attention_v2_kernelIfhLi64ELi16ELi128ELNS_18Fp8KVCacheDataTypeE1ELb1ELi512EEEvPfS2_PT_PKS3_PKT0_S9_ifPKiSB_iPKfiiiSD_SD_iiiii
                                        ; -- End function
	.section	.AMDGPU.csdata,"",@progbits
; Kernel info:
; codeLenInByte = 5132
; NumSgprs: 64
; NumVgprs: 61
; NumAgprs: 0
; TotalNumVgprs: 61
; ScratchSize: 0
; MemoryBound: 0
; FloatMode: 240
; IeeeMode: 1
; LDSByteSize: 272 bytes/workgroup (compile time only)
; SGPRBlocks: 7
; VGPRBlocks: 7
; NumSGPRsForWavesPerEU: 64
; NumVGPRsForWavesPerEU: 61
; AccumOffset: 64
; Occupancy: 8
; WaveLimiterHint : 1
; COMPUTE_PGM_RSRC2:SCRATCH_EN: 0
; COMPUTE_PGM_RSRC2:USER_SGPR: 2
; COMPUTE_PGM_RSRC2:TRAP_HANDLER: 0
; COMPUTE_PGM_RSRC2:TGID_X_EN: 1
; COMPUTE_PGM_RSRC2:TGID_Y_EN: 1
; COMPUTE_PGM_RSRC2:TGID_Z_EN: 1
; COMPUTE_PGM_RSRC2:TIDIG_COMP_CNT: 0
; COMPUTE_PGM_RSRC3_GFX90A:ACCUM_OFFSET: 15
; COMPUTE_PGM_RSRC3_GFX90A:TG_SPLIT: 0
	.section	.text._ZN4vllm25paged_attention_v2_kernelIfhLi80ELi16ELi128ELNS_18Fp8KVCacheDataTypeE1ELb1ELi512EEEvPfS2_PT_PKS3_PKT0_S9_ifPKiSB_iPKfiiiSD_SD_iiiii,"axG",@progbits,_ZN4vllm25paged_attention_v2_kernelIfhLi80ELi16ELi128ELNS_18Fp8KVCacheDataTypeE1ELb1ELi512EEEvPfS2_PT_PKS3_PKT0_S9_ifPKiSB_iPKfiiiSD_SD_iiiii,comdat
	.protected	_ZN4vllm25paged_attention_v2_kernelIfhLi80ELi16ELi128ELNS_18Fp8KVCacheDataTypeE1ELb1ELi512EEEvPfS2_PT_PKS3_PKT0_S9_ifPKiSB_iPKfiiiSD_SD_iiiii ; -- Begin function _ZN4vllm25paged_attention_v2_kernelIfhLi80ELi16ELi128ELNS_18Fp8KVCacheDataTypeE1ELb1ELi512EEEvPfS2_PT_PKS3_PKT0_S9_ifPKiSB_iPKfiiiSD_SD_iiiii
	.globl	_ZN4vllm25paged_attention_v2_kernelIfhLi80ELi16ELi128ELNS_18Fp8KVCacheDataTypeE1ELb1ELi512EEEvPfS2_PT_PKS3_PKT0_S9_ifPKiSB_iPKfiiiSD_SD_iiiii
	.p2align	8
	.type	_ZN4vllm25paged_attention_v2_kernelIfhLi80ELi16ELi128ELNS_18Fp8KVCacheDataTypeE1ELb1ELi512EEEvPfS2_PT_PKS3_PKT0_S9_ifPKiSB_iPKfiiiSD_SD_iiiii,@function
_ZN4vllm25paged_attention_v2_kernelIfhLi80ELi16ELi128ELNS_18Fp8KVCacheDataTypeE1ELb1ELi512EEEvPfS2_PT_PKS3_PKT0_S9_ifPKiSB_iPKfiiiSD_SD_iiiii: ; @_ZN4vllm25paged_attention_v2_kernelIfhLi80ELi16ELi128ELNS_18Fp8KVCacheDataTypeE1ELb1ELi512EEEvPfS2_PT_PKS3_PKT0_S9_ifPKiSB_iPKfiiiSD_SD_iiiii
; %bb.0:
	s_load_dwordx2 s[6:7], s[0:1], 0x40
	s_mov_b32 s34, s3
	s_ashr_i32 s35, s3, 31
	s_lshl_b64 s[8:9], s[34:35], 2
	s_waitcnt lgkmcnt(0)
	s_add_u32 s6, s6, s8
	s_addc_u32 s7, s7, s9
	s_load_dword s33, s[6:7], 0x0
	s_lshl_b32 s52, s4, 9
	s_waitcnt lgkmcnt(0)
	s_cmp_ge_i32 s52, s33
	s_cbranch_scc1 .LBB211_75
; %bb.1:
	s_load_dword s5, s[0:1], 0x90
	s_load_dwordx2 s[42:43], s[0:1], 0x30
	s_waitcnt lgkmcnt(0)
	s_abs_i32 s7, s5
	s_abs_i32 s3, s42
	v_cvt_f32_u32_e32 v1, s3
	s_sub_i32 s8, 0, s3
	s_xor_b32 s6, s5, s42
	s_ashr_i32 s6, s6, 31
	v_rcp_iflag_f32_e32 v1, v1
	s_nop 0
	v_mul_f32_e32 v1, 0x4f7ffffe, v1
	v_cvt_u32_f32_e32 v1, v1
	s_nop 0
	v_readfirstlane_b32 s9, v1
	s_mul_i32 s8, s8, s9
	s_mul_hi_u32 s8, s9, s8
	s_add_i32 s9, s9, s8
	s_mul_hi_u32 s8, s7, s9
	s_mul_i32 s9, s8, s3
	s_sub_i32 s7, s7, s9
	s_add_i32 s10, s8, 1
	s_sub_i32 s9, s7, s3
	s_cmp_ge_u32 s7, s3
	s_cselect_b32 s8, s10, s8
	s_cselect_b32 s7, s9, s7
	s_add_i32 s9, s8, 1
	s_cmp_ge_u32 s7, s3
	s_cselect_b32 s3, s9, s8
	s_xor_b32 s3, s3, s6
	s_sub_i32 s12, s3, s6
	s_abs_i32 s8, s12
	v_cvt_f32_u32_e32 v1, s8
	s_load_dwordx2 s[6:7], s[0:1], 0x50
	s_sub_i32 s10, 0, s8
	s_abs_i32 s9, s2
	v_rcp_iflag_f32_e32 v1, v1
	s_mov_b32 s3, 0
	v_mul_f32_e32 v1, 0x4f7ffffe, v1
	v_cvt_u32_f32_e32 v1, v1
	s_nop 0
	v_readfirstlane_b32 s11, v1
	s_mul_i32 s10, s10, s11
	s_mul_hi_u32 s10, s11, s10
	s_add_i32 s11, s11, s10
	s_waitcnt lgkmcnt(0)
	s_cmp_eq_u64 s[6:7], 0
	s_mul_hi_u32 s10, s9, s11
	s_cbranch_scc1 .LBB211_3
; %bb.2:
	s_ashr_i32 s3, s2, 31
	s_lshl_b64 s[14:15], s[2:3], 2
	s_add_u32 s6, s6, s14
	s_addc_u32 s7, s7, s15
	s_load_dword s3, s[6:7], 0x0
.LBB211_3:
	s_ashr_i32 s16, s12, 31
	s_load_dwordx4 s[12:15], s[0:1], 0x58
	v_lshrrev_b32_e32 v40, 2, v0
	s_waitcnt lgkmcnt(0)
	s_movk_i32 s15, 0x50
	s_ashr_i32 s11, s2, 31
	v_and_b32_e32 v12, 3, v0
	s_mul_i32 s28, s2, 0x50
	v_cmp_gt_u32_e32 vcc, s15, v0
	v_lshlrev_b32_e32 v8, 2, v0
	v_lshlrev_b32_e32 v1, 2, v40
	s_and_saveexec_b64 s[6:7], vcc
	s_cbranch_execz .LBB211_5
; %bb.4:
	s_load_dwordx2 s[18:19], s[0:1], 0x18
	s_mul_i32 s20, s34, s12
	s_ashr_i32 s21, s20, 31
	s_lshl_b64 s[20:21], s[20:21], 2
	v_mad_u32_u24 v3, v12, s15, v1
	s_waitcnt lgkmcnt(0)
	s_add_u32 s12, s18, s20
	s_addc_u32 s17, s19, s21
	s_ashr_i32 s29, s28, 31
	s_lshl_b64 s[18:19], s[28:29], 2
	s_add_u32 s18, s12, s18
	s_addc_u32 s19, s17, s19
	global_load_dword v2, v8, s[18:19]
	s_waitcnt vmcnt(0)
	ds_write_b32 v3, v2
.LBB211_5:
	s_or_b64 exec, exec, s[6:7]
	s_mul_i32 s7, s10, s8
	s_sub_i32 s7, s9, s7
	s_xor_b32 s6, s11, s16
	s_add_i32 s9, s10, 1
	s_sub_i32 s11, s7, s8
	s_load_dwordx4 s[20:23], s[0:1], 0x78
	s_cmp_ge_u32 s7, s8
	s_cselect_b32 s9, s9, s10
	s_cselect_b32 s7, s11, s7
	s_add_i32 s10, s9, 1
	s_cmp_ge_u32 s7, s8
	s_cselect_b32 s7, s10, s9
	s_load_dword s10, s[0:1], 0x88
	s_waitcnt lgkmcnt(0)
	s_abs_i32 s29, s23
	v_cvt_f32_u32_e32 v2, s29
	s_xor_b32 s7, s7, s6
	s_sub_i32 s51, s7, s6
	s_sub_i32 s6, 0, s29
	v_rcp_iflag_f32_e32 v2, v2
	s_add_i32 s11, s33, -1
	s_abs_i32 s8, s11
	v_mul_f32_e32 v2, 0x4f7ffffe, v2
	v_cvt_u32_f32_e32 v2, v2
	s_barrier
	v_readfirstlane_b32 s35, v2
	s_mul_i32 s6, s6, s35
	s_mul_hi_u32 s6, s35, s6
	s_add_i32 s35, s35, s6
	s_cmp_lt_i32 s10, 0
	s_mul_hi_u32 s9, s8, s35
	s_cbranch_scc0 .LBB211_7
; %bb.6:
	s_mul_i32 s6, s20, s42
	s_add_i32 s6, s51, s6
	s_mul_i32 s6, s6, s10
	s_sub_i32 s42, 1, s6
	s_mov_b64 s[6:7], 0
	s_branch .LBB211_8
.LBB211_7:
	s_mov_b64 s[6:7], -1
                                        ; implicit-def: $sgpr42
.LBB211_8:
	s_load_dwordx2 s[36:37], s[0:1], 0x38
	s_ashr_i32 s11, s11, 31
	s_andn2_b64 vcc, exec, s[6:7]
	s_ashr_i32 s23, s23, 31
	s_cbranch_vccnz .LBB211_10
; %bb.9:
	s_mul_i32 s6, s5, s20
	s_add_i32 s6, s6, s2
	s_mul_i32 s6, s6, s10
	s_add_i32 s42, s6, 1
.LBB211_10:
	s_load_dwordx2 s[40:41], s[0:1], 0x28
	s_load_dword s6, s[0:1], 0x48
	s_load_dwordx4 s[24:27], s[0:1], 0x0
	s_load_dwordx2 s[30:31], s[0:1], 0x10
	s_load_dword s20, s[0:1], 0x98
	s_load_dwordx4 s[16:19], s[0:1], 0x68
	s_mul_i32 s7, s9, s29
	s_waitcnt lgkmcnt(0)
	s_mul_i32 s38, s34, s6
	s_sub_i32 s7, s8, s7
	s_ashr_i32 s39, s38, 31
	s_xor_b32 s6, s11, s23
	s_add_i32 s8, s9, 1
	s_sub_i32 s10, s7, s29
	s_cmp_ge_u32 s7, s29
	s_cselect_b32 s8, s8, s9
	s_cselect_b32 s7, s10, s7
	s_add_i32 s9, s8, 1
	s_cmp_ge_u32 s7, s29
	s_cselect_b32 s7, s9, s8
	s_xor_b32 s7, s7, s6
	s_sub_i32 s50, s7, s6
	s_add_i32 s6, s33, 15
	s_ashr_i32 s7, s6, 31
	s_lshr_b32 s7, s7, 28
	s_add_i32 s6, s6, s7
	s_lshl_b32 s12, s4, 5
	s_ashr_i32 s49, s6, 4
	s_add_i32 s6, s12, 32
	v_lshrrev_b32_e32 v9, 6, v0
	s_min_i32 s48, s6, s49
	v_or_b32_e32 v14, s12, v9
	v_cmp_gt_i32_e64 s[8:9], s48, v14
	v_mov_b32_e32 v16, 0xff7fffff
	s_mul_i32 s51, s51, s14
	v_ashrrev_i32_e32 v15, 31, v14
	v_lshl_add_u32 v7, v9, 4, s52
	v_mbcnt_lo_u32_b32 v6, -1, 0
	s_and_saveexec_b64 s[14:15], s[8:9]
	s_cbranch_execz .LBB211_20
; %bb.11:
	s_load_dwordx2 s[0:1], s[0:1], 0x20
	s_sub_i32 s53, s50, s21
	s_ashr_i32 s6, s51, 31
	v_bfe_u32 v10, v0, 2, 4
	v_mov_b32_e32 v3, 0
	s_waitcnt lgkmcnt(0)
	s_add_u32 s0, s0, s51
	s_addc_u32 s1, s1, s6
	s_abs_i32 s54, s22
	v_cvt_f32_u32_e32 v2, s54
	v_mov_b32_e32 v13, v3
	v_lshlrev_b32_e32 v16, 2, v10
	v_lshl_or_b32 v16, v9, 6, v16
	v_rcp_iflag_f32_e32 v4, v2
	v_lshlrev_b32_e32 v2, 4, v10
	v_lshl_add_u64 v[2:3], s[0:1], 0, v[2:3]
	s_sub_i32 s0, 0, s54
	v_mul_f32_e32 v4, 0x4f7ffffe, v4
	v_cvt_u32_f32_e32 v4, v4
	v_add_u32_e32 v19, 0x150, v16
	v_subrev_u32_e32 v16, s33, v10
	v_mbcnt_hi_u32_b32 v22, -1, v6
	v_mul_lo_u32 v5, s0, v4
	s_lshl_b64 s[0:1], s[38:39], 2
	s_add_u32 s0, s36, s0
	v_mul_hi_u32 v5, v4, v5
	s_addc_u32 s1, s37, s1
	v_add_u32_e32 v20, 1, v16
	v_and_b32_e32 v16, 64, v22
	v_cmp_eq_u32_e32 vcc, 0, v12
	s_mov_b32 s55, s13
	v_mul_u32_u24_e32 v11, 0x50, v12
	v_cmp_neq_f32_e64 s[6:7], s3, 0
	v_add_u32_e32 v17, v4, v5
	v_lshl_add_u64 v[4:5], v[14:15], 2, s[0:1]
	v_lshl_add_u32 v18, v9, 4, s52
	s_mov_b64 s[44:45], 0
	v_mov_b32_e32 v21, 0xff7fffff
	v_add_u32_e32 v23, 64, v16
	v_xor_b32_e32 v24, 2, v22
	v_xor_b32_e32 v25, 1, v22
	v_mov_b32_e32 v16, 0xff7fffff
	v_mov_b32_e32 v26, v14
	s_branch .LBB211_14
.LBB211_12:                             ;   in Loop: Header=BB211_14 Depth=1
	s_or_b64 exec, exec, s[46:47]
.LBB211_13:                             ;   in Loop: Header=BB211_14 Depth=1
	s_or_b64 exec, exec, s[10:11]
	v_add_u32_e32 v26, 2, v26
	v_cmp_le_i32_e64 s[0:1], s48, v26
	v_lshl_add_u64 v[4:5], v[4:5], 0, 8
	v_add_u32_e32 v18, 32, v18
	s_or_b64 s[44:45], s[0:1], s[44:45]
	v_add_u32_e32 v19, 0x80, v19
	s_andn2_b64 exec, exec, s[44:45]
	s_cbranch_execz .LBB211_19
.LBB211_14:                             ; =>This Inner Loop Header: Depth=1
	s_waitcnt lgkmcnt(0)
	v_sub_u32_e32 v28, 0, v18
	v_max_i32_e32 v28, v18, v28
	v_mul_hi_u32 v29, v28, s35
	v_mul_lo_u32 v30, v29, s29
	v_sub_u32_e32 v28, v28, v30
	v_add_u32_e32 v30, 1, v29
	v_cmp_le_u32_e64 s[0:1], s29, v28
	v_ashrrev_i32_e32 v27, 31, v18
	v_xor_b32_e32 v27, s23, v27
	v_cndmask_b32_e64 v29, v29, v30, s[0:1]
	v_subrev_u32_e32 v30, s29, v28
	v_cndmask_b32_e64 v28, v28, v30, s[0:1]
	v_add_u32_e32 v30, 1, v29
	v_cmp_le_u32_e64 s[0:1], s29, v28
	s_nop 1
	v_cndmask_b32_e64 v28, v29, v30, s[0:1]
	v_xor_b32_e32 v28, v28, v27
	v_sub_u32_e32 v27, v28, v27
	v_add_u32_e32 v28, s42, v27
	v_sub_u32_e32 v30, 0, v28
	v_ashrrev_i32_e32 v29, 31, v28
	v_max_i32_e32 v28, v28, v30
	v_mul_hi_u32 v30, v28, v17
	v_mul_lo_u32 v30, v30, s54
	v_sub_u32_e32 v28, v28, v30
	v_subrev_u32_e32 v30, s54, v28
	v_cmp_le_u32_e64 s[0:1], s54, v28
	v_cmp_ge_i32_e64 s[10:11], s53, v27
	s_nop 0
	v_cndmask_b32_e64 v28, v28, v30, s[0:1]
	v_subrev_u32_e32 v30, s54, v28
	v_cmp_le_u32_e64 s[0:1], s54, v28
	s_nop 1
	v_cndmask_b32_e64 v28, v28, v30, s[0:1]
	v_xor_b32_e32 v28, v28, v29
	v_sub_u32_e32 v28, v28, v29
	v_cmp_ne_u32_e64 s[0:1], 0, v28
	s_and_b64 s[0:1], s[0:1], s[10:11]
	s_and_b64 s[46:47], vcc, s[0:1]
	s_and_saveexec_b64 s[10:11], s[46:47]
	s_cbranch_execz .LBB211_16
; %bb.15:                               ;   in Loop: Header=BB211_14 Depth=1
	ds_write_b32 v19, v21
.LBB211_16:                             ;   in Loop: Header=BB211_14 Depth=1
	s_or_b64 exec, exec, s[10:11]
	s_xor_b64 s[0:1], s[0:1], -1
	s_and_saveexec_b64 s[10:11], s[0:1]
	s_cbranch_execz .LBB211_13
; %bb.17:                               ;   in Loop: Header=BB211_14 Depth=1
	global_load_dword v27, v[4:5], off
	s_waitcnt vmcnt(0)
	v_mad_i64_i32 v[28:29], s[0:1], v27, s55, v[2:3]
	v_lshl_add_u64 v[28:29], v[28:29], 0, v[12:13]
	global_load_ubyte v27, v[28:29], off
	global_load_ubyte v41, v[28:29], off offset:4
	global_load_ubyte v50, v[28:29], off offset:8
	global_load_ubyte v51, v[28:29], off offset:12
	global_load_ubyte v52, v[28:29], off offset:256
	global_load_ubyte v53, v[28:29], off offset:260
	global_load_ubyte v54, v[28:29], off offset:264
	global_load_ubyte v55, v[28:29], off offset:268
	global_load_ubyte v56, v[28:29], off offset:512
	global_load_ubyte v57, v[28:29], off offset:516
	global_load_ubyte v58, v[28:29], off offset:520
	global_load_ubyte v59, v[28:29], off offset:524
	global_load_ubyte v60, v[28:29], off offset:768
	global_load_ubyte v61, v[28:29], off offset:772
	global_load_ubyte v62, v[28:29], off offset:776
	global_load_ubyte v63, v[28:29], off offset:780
	global_load_ubyte v64, v[28:29], off offset:1024
	global_load_ubyte v65, v[28:29], off offset:1028
	global_load_ubyte v66, v[28:29], off offset:1032
	global_load_ubyte v67, v[28:29], off offset:1036
	v_cmp_lt_i32_e64 s[0:1], v24, v23
	ds_read_b128 v[28:31], v11
	ds_read_b128 v[32:35], v11 offset:16
	ds_read_b128 v[36:39], v11 offset:32
	;; [unrolled: 1-line block ×4, first 2 shown]
	v_cndmask_b32_e64 v68, v22, v24, s[0:1]
	s_load_dword s0, s[16:17], 0x0
	v_lshlrev_b32_e32 v68, 2, v68
	s_waitcnt vmcnt(19)
	v_cvt_f32_fp8_sdwa v27, v27 src0_sel:BYTE_0
	s_waitcnt vmcnt(18)
	v_cvt_f32_fp8_sdwa v41, v41 src0_sel:BYTE_0
	;; [unrolled: 2-line block ×5, first 2 shown]
	s_waitcnt lgkmcnt(0)
	v_mul_f32_e32 v41, s0, v41
	s_waitcnt vmcnt(14)
	v_cvt_f32_fp8_sdwa v53, v53 src0_sel:BYTE_0
	v_mul_f32_e32 v27, s0, v27
	v_mul_f32_e32 v29, v29, v41
	s_waitcnt vmcnt(13)
	v_cvt_f32_fp8_sdwa v54, v54 src0_sel:BYTE_0
	v_mul_f32_e32 v50, s0, v50
	v_fmac_f32_e32 v29, v28, v27
	s_waitcnt vmcnt(12)
	v_cvt_f32_fp8_sdwa v55, v55 src0_sel:BYTE_0
	v_mul_f32_e32 v51, s0, v51
	v_fmac_f32_e32 v29, v30, v50
	s_waitcnt vmcnt(11)
	v_cvt_f32_fp8_sdwa v56, v56 src0_sel:BYTE_0
	v_mul_f32_e32 v52, s0, v52
	v_fmac_f32_e32 v29, v31, v51
	s_waitcnt vmcnt(10)
	v_cvt_f32_fp8_sdwa v57, v57 src0_sel:BYTE_0
	v_mul_f32_e32 v53, s0, v53
	v_fmac_f32_e32 v29, v32, v52
	s_waitcnt vmcnt(9)
	v_cvt_f32_fp8_sdwa v58, v58 src0_sel:BYTE_0
	v_mul_f32_e32 v54, s0, v54
	v_fmac_f32_e32 v29, v33, v53
	s_waitcnt vmcnt(8)
	v_cvt_f32_fp8_sdwa v59, v59 src0_sel:BYTE_0
	v_mul_f32_e32 v55, s0, v55
	v_fmac_f32_e32 v29, v34, v54
	s_waitcnt vmcnt(7)
	v_cvt_f32_fp8_sdwa v60, v60 src0_sel:BYTE_0
	v_mul_f32_e32 v56, s0, v56
	v_fmac_f32_e32 v29, v35, v55
	s_waitcnt vmcnt(6)
	v_cvt_f32_fp8_sdwa v61, v61 src0_sel:BYTE_0
	v_mul_f32_e32 v57, s0, v57
	v_fmac_f32_e32 v29, v36, v56
	s_waitcnt vmcnt(5)
	v_cvt_f32_fp8_sdwa v62, v62 src0_sel:BYTE_0
	v_mul_f32_e32 v58, s0, v58
	v_fmac_f32_e32 v29, v37, v57
	s_waitcnt vmcnt(4)
	v_cvt_f32_fp8_sdwa v63, v63 src0_sel:BYTE_0
	v_mul_f32_e32 v59, s0, v59
	v_fmac_f32_e32 v29, v38, v58
	s_waitcnt vmcnt(3)
	v_cvt_f32_fp8_sdwa v64, v64 src0_sel:BYTE_0
	v_mul_f32_e32 v60, s0, v60
	v_fmac_f32_e32 v29, v39, v59
	s_waitcnt vmcnt(2)
	v_cvt_f32_fp8_sdwa v65, v65 src0_sel:BYTE_0
	v_mul_f32_e32 v61, s0, v61
	v_fmac_f32_e32 v29, v42, v60
	s_waitcnt vmcnt(1)
	v_cvt_f32_fp8_sdwa v66, v66 src0_sel:BYTE_0
	v_mul_f32_e32 v62, s0, v62
	v_fmac_f32_e32 v29, v43, v61
	s_waitcnt vmcnt(0)
	v_cvt_f32_fp8_sdwa v67, v67 src0_sel:BYTE_0
	v_mul_f32_e32 v63, s0, v63
	v_fmac_f32_e32 v29, v44, v62
	v_mul_f32_e32 v64, s0, v64
	v_fmac_f32_e32 v29, v45, v63
	v_mul_f32_e32 v65, s0, v65
	v_fmac_f32_e32 v29, v46, v64
	;; [unrolled: 2-line block ×4, first 2 shown]
	v_fmac_f32_e32 v29, v49, v67
	ds_bpermute_b32 v27, v68, v29
	v_cmp_lt_i32_e64 s[0:1], v25, v23
	s_waitcnt lgkmcnt(0)
	v_add_f32_e32 v27, v29, v27
	v_cndmask_b32_e64 v28, v22, v25, s[0:1]
	v_lshlrev_b32_e32 v28, 2, v28
	ds_bpermute_b32 v28, v28, v27
	s_and_saveexec_b64 s[46:47], vcc
	s_cbranch_execz .LBB211_12
; %bb.18:                               ;   in Loop: Header=BB211_14 Depth=1
	v_add_u32_e32 v29, v20, v18
	v_cvt_f32_i32_e32 v29, v29
	s_waitcnt lgkmcnt(0)
	v_add_f32_e32 v27, v27, v28
	v_add_u32_e32 v30, v10, v18
	v_cmp_gt_i32_e64 s[0:1], s33, v30
	v_mul_f32_e32 v28, s3, v29
	v_cndmask_b32_e64 v28, 0, v28, s[6:7]
	v_fmac_f32_e32 v28, s43, v27
	v_cndmask_b32_e64 v27, 0, v28, s[0:1]
	ds_write_b32 v19, v27
	v_max_f32_e32 v27, v16, v16
	v_max_f32_e32 v27, v27, v28
	v_cndmask_b32_e64 v16, v16, v27, s[0:1]
	s_branch .LBB211_12
.LBB211_19:
	s_or_b64 exec, exec, s[44:45]
.LBB211_20:
	s_or_b64 exec, exec, s[14:15]
	v_mbcnt_hi_u32_b32 v2, -1, v6
	v_and_b32_e32 v3, 64, v2
	v_add_u32_e32 v3, 64, v3
	v_xor_b32_e32 v4, 32, v2
	v_cmp_lt_i32_e32 vcc, v4, v3
	v_xor_b32_e32 v10, 16, v2
	v_max_f32_e32 v6, v16, v16
	v_cndmask_b32_e32 v4, v2, v4, vcc
	v_lshlrev_b32_e32 v5, 2, v4
	ds_bpermute_b32 v4, v5, v16
	v_cmp_lt_i32_e32 vcc, v10, v3
	v_xor_b32_e32 v11, 8, v2
	v_and_b32_e32 v13, 63, v0
	s_waitcnt lgkmcnt(0)
	v_max_f32_e32 v4, v4, v4
	v_max_f32_e32 v4, v6, v4
	v_cndmask_b32_e32 v6, v2, v10, vcc
	v_lshlrev_b32_e32 v6, 2, v6
	ds_bpermute_b32 v10, v6, v4
	v_cmp_lt_i32_e32 vcc, v11, v3
	s_waitcnt lgkmcnt(0)
	v_max_f32_e32 v10, v10, v10
	v_max_f32_e32 v4, v4, v10
	v_cndmask_b32_e32 v10, v2, v11, vcc
	v_lshlrev_b32_e32 v16, 2, v10
	ds_bpermute_b32 v10, v16, v4
	v_xor_b32_e32 v11, 4, v2
	v_cmp_lt_i32_e32 vcc, v11, v3
	s_waitcnt lgkmcnt(0)
	v_max_f32_e32 v10, v10, v10
	v_max_f32_e32 v4, v4, v10
	v_cndmask_b32_e32 v10, v2, v11, vcc
	v_lshlrev_b32_e32 v17, 2, v10
	ds_bpermute_b32 v11, v17, v4
	v_cmp_eq_u32_e32 vcc, 0, v13
	v_lshlrev_b32_e32 v10, 2, v9
	s_and_saveexec_b64 s[0:1], vcc
	s_cbranch_execz .LBB211_22
; %bb.21:
	s_waitcnt lgkmcnt(0)
	v_max_f32_e32 v11, v11, v11
	v_max_f32_e32 v4, v4, v4
	;; [unrolled: 1-line block ×3, first 2 shown]
	ds_write_b32 v10, v4 offset:320
.LBB211_22:
	s_or_b64 exec, exec, s[0:1]
	v_cmp_gt_u32_e64 s[0:1], 2, v13
	v_mov_b32_e32 v4, 0xff7fffff
	s_waitcnt lgkmcnt(0)
	v_lshlrev_b32_e32 v11, 2, v13
	s_barrier
	s_and_saveexec_b64 s[6:7], s[0:1]
	s_cbranch_execz .LBB211_24
; %bb.23:
	ds_read_b32 v4, v11 offset:320
.LBB211_24:
	s_or_b64 exec, exec, s[6:7]
	v_xor_b32_e32 v18, 1, v2
	v_cmp_lt_i32_e64 s[6:7], v18, v3
	s_sub_i32 s3, s48, s12
	s_lshl_b32 s3, s3, 4
	v_cndmask_b32_e64 v18, v2, v18, s[6:7]
	v_lshlrev_b32_e32 v41, 2, v18
	s_waitcnt lgkmcnt(0)
	ds_bpermute_b32 v18, v41, v4
	v_max_f32_e32 v4, v4, v4
	s_add_i32 s3, s3, s52
	s_min_i32 s12, s3, s33
	s_sub_i32 s3, s12, s52
	s_waitcnt lgkmcnt(0)
	v_max_f32_e32 v18, v18, v18
	v_max_f32_e32 v4, v4, v18
	v_lshlrev_b32_e32 v18, 2, v2
	v_and_b32_e32 v18, 0x100, v18
	ds_bpermute_b32 v4, v18, v4
	v_cmp_gt_i32_e64 s[6:7], s3, v0
	v_mov_b32_e32 v19, 0
	s_and_saveexec_b64 s[14:15], s[6:7]
	s_cbranch_execz .LBB211_28
; %bb.25:
	v_mov_b32_e32 v19, 0x150
	v_lshl_add_u32 v20, v0, 2, v19
	s_mov_b64 s[16:17], 0
	v_mov_b32_e32 v19, 0
	v_mov_b32_e32 v21, v0
.LBB211_26:                             ; =>This Inner Loop Header: Depth=1
	ds_read_b32 v22, v20
	v_add_u32_e32 v21, 0x80, v21
	v_cmp_le_i32_e64 s[10:11], s3, v21
	s_or_b64 s[16:17], s[10:11], s[16:17]
	s_waitcnt lgkmcnt(0)
	v_sub_f32_e32 v22, v22, v4
	v_mul_f32_e32 v22, 0x3fb8aa3b, v22
	v_exp_f32_e32 v22, v22
	ds_write_b32 v20, v22
	v_add_f32_e32 v19, v19, v22
	v_add_u32_e32 v20, 0x200, v20
	s_andn2_b64 exec, exec, s[16:17]
	s_cbranch_execnz .LBB211_26
; %bb.27:
	s_or_b64 exec, exec, s[16:17]
.LBB211_28:
	s_or_b64 exec, exec, s[14:15]
	ds_bpermute_b32 v5, v5, v19
	s_waitcnt lgkmcnt(0)
	v_add_f32_e32 v5, v19, v5
	ds_bpermute_b32 v6, v6, v5
	s_waitcnt lgkmcnt(0)
	v_add_f32_e32 v5, v5, v6
	ds_bpermute_b32 v6, v16, v5
	v_xor_b32_e32 v16, 2, v2
	v_cmp_lt_i32_e64 s[10:11], v16, v3
	s_waitcnt lgkmcnt(0)
	v_add_f32_e32 v5, v5, v6
	ds_bpermute_b32 v6, v17, v5
	v_cndmask_b32_e64 v2, v2, v16, s[10:11]
	v_lshlrev_b32_e32 v42, 2, v2
	s_waitcnt lgkmcnt(0)
	v_add_f32_e32 v3, v5, v6
	ds_bpermute_b32 v2, v42, v3
	s_waitcnt lgkmcnt(0)
	v_add_f32_e32 v2, v3, v2
	ds_bpermute_b32 v3, v41, v2
	s_waitcnt lgkmcnt(0)
	v_add_f32_e32 v2, v2, v3
	s_and_saveexec_b64 s[10:11], vcc
	s_cbranch_execz .LBB211_30
; %bb.29:
	ds_write_b32 v10, v2 offset:328
.LBB211_30:
	s_or_b64 exec, exec, s[10:11]
	s_waitcnt lgkmcnt(0)
	s_barrier
	s_and_saveexec_b64 s[10:11], s[0:1]
	s_cbranch_execz .LBB211_32
; %bb.31:
	ds_read_b32 v2, v11 offset:328
.LBB211_32:
	s_or_b64 exec, exec, s[10:11]
	s_waitcnt lgkmcnt(0)
	ds_bpermute_b32 v3, v41, v2
	s_waitcnt lgkmcnt(0)
	v_add_f32_e32 v2, v2, v3
	ds_bpermute_b32 v5, v18, v2
	s_and_saveexec_b64 s[0:1], s[6:7]
	s_cbranch_execz .LBB211_45
; %bb.33:
	s_waitcnt lgkmcnt(0)
	v_add_f32_e32 v2, 0x358637bd, v5
	v_div_scale_f32 v3, s[6:7], v2, v2, 1.0
	v_rcp_f32_e32 v6, v3
	v_div_scale_f32 v10, vcc, 1.0, v2, 1.0
	s_movk_i32 s6, 0x7f
	v_fma_f32 v11, -v3, v6, 1.0
	v_fmac_f32_e32 v6, v11, v6
	v_mul_f32_e32 v11, v10, v6
	v_fma_f32 v16, -v3, v11, v10
	v_fmac_f32_e32 v11, v16, v6
	v_fma_f32 v3, -v3, v11, v10
	v_div_fmas_f32 v3, v3, v6, v11
	v_div_fixup_f32 v2, v3, v2, 1.0
	v_xad_u32 v3, v0, -1, s12
	v_subrev_u32_e32 v6, s52, v3
	v_cmp_lt_u32_e32 vcc, s6, v6
	s_mov_b64 s[10:11], -1
	v_mov_b32_e32 v3, v0
	s_and_saveexec_b64 s[6:7], vcc
	s_cbranch_execz .LBB211_42
; %bb.34:
	v_lshrrev_b32_e32 v6, 7, v6
	v_add_u32_e32 v11, -1, v6
	v_lshrrev_b32_e32 v10, 1, v11
	v_mov_b32_e32 v3, v2
	v_add_u32_e32 v10, 1, v10
	v_cmp_lt_u32_e32 vcc, 13, v11
	v_mov_b32_e32 v17, 0
	s_and_saveexec_b64 s[10:11], vcc
	s_cbranch_execz .LBB211_38
; %bb.35:
	v_mov_b32_e32 v16, 0x150
	v_and_b32_e32 v11, -8, v10
	v_lshl_add_u32 v16, v0, 2, v16
	s_mov_b32 s12, 0
	s_mov_b64 s[14:15], 0
.LBB211_36:                             ; =>This Inner Loop Header: Depth=1
	ds_read2st64_b32 v[18:19], v16 offset1:2
	ds_read2st64_b32 v[20:21], v16 offset0:4 offset1:6
	ds_read2st64_b32 v[22:23], v16 offset0:8 offset1:10
	;; [unrolled: 1-line block ×3, first 2 shown]
	v_add_u32_e32 v11, -8, v11
	s_waitcnt lgkmcnt(3)
	v_pk_mul_f32 v[18:19], v[2:3], v[18:19]
	s_waitcnt lgkmcnt(2)
	v_pk_mul_f32 v[20:21], v[2:3], v[20:21]
	ds_write2st64_b32 v16, v18, v19 offset1:2
	ds_write2st64_b32 v16, v20, v21 offset0:4 offset1:6
	ds_read2st64_b32 v[20:21], v16 offset0:16 offset1:18
	s_waitcnt lgkmcnt(4)
	v_pk_mul_f32 v[18:19], v[2:3], v[22:23]
	ds_write2st64_b32 v16, v18, v19 offset0:8 offset1:10
	s_waitcnt lgkmcnt(4)
	v_pk_mul_f32 v[18:19], v[2:3], v[24:25]
	ds_write2st64_b32 v16, v18, v19 offset0:12 offset1:14
	ds_read2st64_b32 v[18:19], v16 offset0:20 offset1:22
	s_waitcnt lgkmcnt(3)
	v_pk_mul_f32 v[20:21], v[2:3], v[20:21]
	ds_read2st64_b32 v[22:23], v16 offset0:24 offset1:26
	ds_write2st64_b32 v16, v20, v21 offset0:16 offset1:18
	ds_read2st64_b32 v[20:21], v16 offset0:28 offset1:30
	s_waitcnt lgkmcnt(3)
	v_pk_mul_f32 v[18:19], v[2:3], v[18:19]
	ds_write2st64_b32 v16, v18, v19 offset0:20 offset1:22
	s_waitcnt lgkmcnt(3)
	v_pk_mul_f32 v[18:19], v[2:3], v[22:23]
	ds_write2st64_b32 v16, v18, v19 offset0:24 offset1:26
	s_waitcnt lgkmcnt(2)
	v_pk_mul_f32 v[18:19], v[2:3], v[20:21]
	s_add_i32 s12, s12, 16
	v_cmp_eq_u32_e32 vcc, 0, v11
	ds_write2st64_b32 v16, v18, v19 offset0:28 offset1:30
	v_add_u32_e32 v16, 0x2000, v16
	s_or_b64 s[14:15], vcc, s[14:15]
	v_mov_b32_e32 v17, s12
	s_andn2_b64 exec, exec, s[14:15]
	s_cbranch_execnz .LBB211_36
; %bb.37:
	s_or_b64 exec, exec, s[14:15]
.LBB211_38:
	s_or_b64 exec, exec, s[10:11]
	v_and_b32_e32 v10, 7, v10
	v_cmp_ne_u32_e32 vcc, 0, v10
	s_and_saveexec_b64 s[10:11], vcc
	s_cbranch_execz .LBB211_41
; %bb.39:
	v_lshlrev_b32_e32 v11, 9, v17
	s_movk_i32 s12, 0x150
	v_add3_u32 v11, v11, v8, s12
	s_mov_b64 s[14:15], 0
.LBB211_40:                             ; =>This Inner Loop Header: Depth=1
	ds_read2st64_b32 v[16:17], v11 offset1:2
	v_add_u32_e32 v10, -1, v10
	v_cmp_eq_u32_e32 vcc, 0, v10
	s_or_b64 s[14:15], vcc, s[14:15]
	s_waitcnt lgkmcnt(0)
	v_pk_mul_f32 v[16:17], v[2:3], v[16:17]
	ds_write2st64_b32 v11, v16, v17 offset1:2
	v_add_u32_e32 v11, 0x400, v11
	s_andn2_b64 exec, exec, s[14:15]
	s_cbranch_execnz .LBB211_40
.LBB211_41:
	s_or_b64 exec, exec, s[10:11]
	v_add_u32_e32 v6, 1, v6
	v_and_b32_e32 v10, 0x3fffffe, v6
	v_cmp_ne_u32_e32 vcc, v6, v10
	v_lshl_add_u32 v3, v10, 7, v0
	s_orn2_b64 s[10:11], vcc, exec
.LBB211_42:
	s_or_b64 exec, exec, s[6:7]
	s_and_b64 exec, exec, s[10:11]
	s_cbranch_execz .LBB211_45
; %bb.43:
	v_mov_b32_e32 v6, 0x150
	v_lshl_add_u32 v6, v3, 2, v6
	s_mov_b64 s[6:7], 0
.LBB211_44:                             ; =>This Inner Loop Header: Depth=1
	ds_read_b32 v10, v6
	v_add_u32_e32 v3, 0x80, v3
	v_cmp_le_i32_e32 vcc, s3, v3
	s_or_b64 s[6:7], vcc, s[6:7]
	s_waitcnt lgkmcnt(0)
	v_mul_f32_e32 v10, v2, v10
	ds_write_b32 v6, v10
	v_add_u32_e32 v6, 0x200, v6
	s_andn2_b64 exec, exec, s[6:7]
	s_cbranch_execnz .LBB211_44
.LBB211_45:
	s_or_b64 exec, exec, s[0:1]
	s_mul_i32 s0, s20, s34
	v_cmp_eq_u32_e32 vcc, 0, v0
	s_mul_i32 s6, s0, s5
	s_waitcnt lgkmcnt(0)
	s_barrier
	s_and_saveexec_b64 s[0:1], vcc
	s_cbranch_execz .LBB211_47
; %bb.46:
	s_ashr_i32 s7, s6, 31
	s_lshl_b64 s[10:11], s[6:7], 2
	s_add_u32 s5, s26, s10
	s_mul_i32 s2, s20, s2
	s_addc_u32 s7, s27, s11
	s_ashr_i32 s3, s2, 31
	s_lshl_b64 s[2:3], s[2:3], 2
	s_add_u32 s12, s5, s2
	s_addc_u32 s7, s7, s3
	s_ashr_i32 s5, s4, 31
	s_lshl_b64 s[14:15], s[4:5], 2
	s_add_u32 s16, s12, s14
	s_addc_u32 s17, s7, s15
	s_add_u32 s5, s24, s10
	s_addc_u32 s7, s25, s11
	;; [unrolled: 2-line block ×3, first 2 shown]
	s_add_u32 s2, s2, s14
	v_mov_b32_e32 v2, 0
	s_addc_u32 s3, s3, s15
	global_store_dword v2, v4, s[16:17]
	global_store_dword v2, v5, s[2:3]
.LBB211_47:
	s_or_b64 exec, exec, s[0:1]
	s_mov_b32 s12, 0
	v_mov_b32_e32 v6, 0
	v_mov_b32_e32 v5, 0
	v_mov_b32_e32 v4, 0
	v_mov_b32_e32 v3, 0
	v_mov_b32_e32 v2, 0
	s_and_saveexec_b64 s[2:3], s[8:9]
	s_cbranch_execz .LBB211_63
; %bb.48:
	s_sub_i32 s5, s50, s21
	s_ashr_i32 s1, s51, 31
	s_add_u32 s0, s40, s51
	s_addc_u32 s1, s41, s1
	s_abs_i32 s7, s22
	v_cvt_f32_u32_e32 v2, s7
	v_mov_b32_e32 v3, 0
	s_sub_i32 s8, 0, s7
	s_add_i32 s49, s49, -1
	v_rcp_iflag_f32_e32 v4, v2
	v_and_b32_e32 v2, 0xfc, v8
	v_lshl_add_u64 v[16:17], s[0:1], 0, v[2:3]
	s_lshl_b64 s[0:1], s[38:39], 2
	v_mul_f32_e32 v4, 0x4f7ffffe, v4
	v_cvt_u32_f32_e32 v4, v4
	s_add_u32 s0, s36, s0
	s_addc_u32 s1, s37, s1
	s_mov_b32 s17, s13
	v_mul_lo_u32 v2, s8, v4
	v_mul_hi_u32 v2, v4, v2
	v_add_u32_e32 v44, v4, v2
	v_lshlrev_b32_e32 v2, 4, v12
	v_lshl_or_b32 v2, v9, 6, v2
	v_lshl_add_u64 v[18:19], v[14:15], 2, s[0:1]
	v_add_u32_e32 v15, 0x150, v2
	s_mov_b32 s13, s12
	s_mov_b32 s14, s12
	;; [unrolled: 1-line block ×4, first 2 shown]
	v_mov_b32_e32 v2, s12
	v_and_b32_e32 v43, 12, v8
	s_mov_b64 s[8:9], 0
	v_mov_b32_e32 v3, s13
	v_mov_b32_e32 v4, s14
	;; [unrolled: 1-line block ×4, first 2 shown]
	s_branch .LBB211_51
.LBB211_49:                             ;   in Loop: Header=BB211_51 Depth=1
	s_or_b64 exec, exec, s[0:1]
	v_mul_f32_e32 v23, v9, v23
	v_fmac_f32_e32 v23, v8, v22
	v_fmac_f32_e32 v23, v10, v20
	v_mul_f32_e32 v20, v9, v29
	v_fmac_f32_e32 v20, v8, v28
	v_fmac_f32_e32 v20, v10, v26
	;; [unrolled: 1-line block ×3, first 2 shown]
	v_add_f32_e32 v3, v3, v20
	v_mul_f32_e32 v20, v9, v33
	v_fmac_f32_e32 v20, v8, v32
	v_fmac_f32_e32 v20, v10, v30
	;; [unrolled: 1-line block ×3, first 2 shown]
	v_add_f32_e32 v4, v4, v20
	v_mul_f32_e32 v20, v9, v37
	v_mul_f32_e32 v9, v9, v39
	v_fmac_f32_e32 v20, v8, v36
	v_fmac_f32_e32 v9, v8, v38
	;; [unrolled: 1-line block ×7, first 2 shown]
	v_add_f32_e32 v2, v2, v23
	v_add_f32_e32 v5, v5, v20
	v_add_f32_e32 v6, v6, v9
.LBB211_50:                             ;   in Loop: Header=BB211_51 Depth=1
	s_or_b64 exec, exec, s[10:11]
	v_add_u32_e32 v14, 2, v14
	v_cmp_le_i32_e32 vcc, s48, v14
	v_lshl_add_u64 v[18:19], v[18:19], 0, 8
	v_add_u32_e32 v7, 32, v7
	s_or_b64 s[8:9], vcc, s[8:9]
	v_add_u32_e32 v15, 0x80, v15
	s_andn2_b64 exec, exec, s[8:9]
	s_cbranch_execz .LBB211_62
.LBB211_51:                             ; =>This Inner Loop Header: Depth=1
	v_sub_u32_e32 v9, 0, v7
	v_max_i32_e32 v9, v7, v9
	v_mul_hi_u32 v10, v9, s35
	v_mul_lo_u32 v11, v10, s29
	v_sub_u32_e32 v9, v9, v11
	v_add_u32_e32 v11, 1, v10
	v_cmp_le_u32_e32 vcc, s29, v9
	v_ashrrev_i32_e32 v8, 31, v7
	v_xor_b32_e32 v8, s23, v8
	v_cndmask_b32_e32 v10, v10, v11, vcc
	v_subrev_u32_e32 v11, s29, v9
	v_cndmask_b32_e32 v9, v9, v11, vcc
	v_add_u32_e32 v11, 1, v10
	v_cmp_le_u32_e32 vcc, s29, v9
	s_nop 1
	v_cndmask_b32_e32 v9, v10, v11, vcc
	v_xor_b32_e32 v9, v9, v8
	v_sub_u32_e32 v8, v9, v8
	v_add_u32_e32 v9, s42, v8
	v_sub_u32_e32 v11, 0, v9
	v_ashrrev_i32_e32 v10, 31, v9
	v_max_i32_e32 v9, v9, v11
	v_mul_hi_u32 v11, v9, v44
	v_mul_lo_u32 v11, v11, s7
	v_sub_u32_e32 v9, v9, v11
	v_subrev_u32_e32 v11, s7, v9
	v_cmp_le_u32_e32 vcc, s7, v9
	v_cmp_lt_i32_e64 s[0:1], s5, v8
	s_nop 0
	v_cndmask_b32_e32 v9, v9, v11, vcc
	v_subrev_u32_e32 v11, s7, v9
	v_cmp_le_u32_e32 vcc, s7, v9
	s_nop 1
	v_cndmask_b32_e32 v9, v9, v11, vcc
	v_xor_b32_e32 v9, v9, v10
	v_sub_u32_e32 v9, v9, v10
	v_cmp_eq_u32_e32 vcc, 0, v9
	s_or_b64 s[0:1], vcc, s[0:1]
	s_and_saveexec_b64 s[10:11], s[0:1]
	s_cbranch_execz .LBB211_50
; %bb.52:                               ;   in Loop: Header=BB211_51 Depth=1
	global_load_dword v8, v[18:19], off
	s_load_dword s12, s[18:19], 0x0
	v_add_u32_e32 v45, v43, v7
	v_cmp_eq_u32_e32 vcc, s49, v14
	v_add_u32_e32 v47, 1, v45
	v_add_u32_e32 v46, 2, v45
	;; [unrolled: 1-line block ×3, first 2 shown]
	s_waitcnt vmcnt(0)
	v_mad_i64_i32 v[24:25], s[0:1], v8, s17, v[16:17]
	global_load_dword v20, v[24:25], off
	ds_read_b128 v[8:11], v15
	s_waitcnt vmcnt(0)
	v_and_b32_e32 v21, 0xffff, v20
	v_lshrrev_b32_e32 v22, 16, v20
	v_cvt_pk_f32_fp8_e32 v[20:21], v21
	v_cvt_pk_f32_fp8_e32 v[26:27], v22
	s_waitcnt lgkmcnt(0)
	v_pk_mul_f32 v[22:23], s[12:13], v[20:21] op_sel_hi:[0,1]
	v_pk_mul_f32 v[20:21], s[12:13], v[26:27] op_sel_hi:[0,1]
	s_and_saveexec_b64 s[14:15], vcc
; %bb.53:                               ;   in Loop: Header=BB211_51 Depth=1
	v_cmp_gt_i32_e64 s[0:1], s33, v45
	s_nop 1
	v_cndmask_b32_e64 v22, 0, v22, s[0:1]
	v_cmp_gt_i32_e64 s[0:1], s33, v47
	s_nop 1
	v_cndmask_b32_e64 v23, 0, v23, s[0:1]
	;; [unrolled: 3-line block ×4, first 2 shown]
; %bb.54:                               ;   in Loop: Header=BB211_51 Depth=1
	s_or_b64 exec, exec, s[14:15]
	global_load_dword v26, v[24:25], off offset:256
	s_mov_b32 s13, s12
	s_waitcnt vmcnt(0)
	v_and_b32_e32 v27, 0xffff, v26
	v_lshrrev_b32_e32 v28, 16, v26
	v_cvt_pk_f32_fp8_e32 v[26:27], v27
	v_cvt_pk_f32_fp8_e32 v[30:31], v28
	v_pk_mul_f32 v[28:29], s[12:13], v[26:27]
	v_pk_mul_f32 v[26:27], s[12:13], v[30:31]
	s_and_saveexec_b64 s[14:15], vcc
; %bb.55:                               ;   in Loop: Header=BB211_51 Depth=1
	v_cmp_gt_i32_e64 s[0:1], s33, v45
	s_nop 1
	v_cndmask_b32_e64 v28, 0, v28, s[0:1]
	v_cmp_gt_i32_e64 s[0:1], s33, v47
	s_nop 1
	v_cndmask_b32_e64 v29, 0, v29, s[0:1]
	v_cmp_gt_i32_e64 s[0:1], s33, v46
	s_nop 1
	v_cndmask_b32_e64 v26, 0, v26, s[0:1]
	v_cmp_gt_i32_e64 s[0:1], s33, v48
	s_nop 1
	v_cndmask_b32_e64 v27, 0, v27, s[0:1]
; %bb.56:                               ;   in Loop: Header=BB211_51 Depth=1
	s_or_b64 exec, exec, s[14:15]
	global_load_dword v30, v[24:25], off offset:512
	s_waitcnt vmcnt(0)
	v_and_b32_e32 v31, 0xffff, v30
	v_lshrrev_b32_e32 v32, 16, v30
	v_cvt_pk_f32_fp8_e32 v[30:31], v31
	v_cvt_pk_f32_fp8_e32 v[34:35], v32
	v_pk_mul_f32 v[32:33], s[12:13], v[30:31]
	v_pk_mul_f32 v[30:31], s[12:13], v[34:35]
	s_and_saveexec_b64 s[14:15], vcc
; %bb.57:                               ;   in Loop: Header=BB211_51 Depth=1
	v_cmp_gt_i32_e64 s[0:1], s33, v45
	s_nop 1
	v_cndmask_b32_e64 v32, 0, v32, s[0:1]
	v_cmp_gt_i32_e64 s[0:1], s33, v47
	s_nop 1
	v_cndmask_b32_e64 v33, 0, v33, s[0:1]
	v_cmp_gt_i32_e64 s[0:1], s33, v46
	s_nop 1
	v_cndmask_b32_e64 v30, 0, v30, s[0:1]
	v_cmp_gt_i32_e64 s[0:1], s33, v48
	s_nop 1
	v_cndmask_b32_e64 v31, 0, v31, s[0:1]
; %bb.58:                               ;   in Loop: Header=BB211_51 Depth=1
	s_or_b64 exec, exec, s[14:15]
	global_load_dword v34, v[24:25], off offset:768
	;; [unrolled: 24-line block ×3, first 2 shown]
	s_waitcnt vmcnt(0)
	v_and_b32_e32 v25, 0xffff, v24
	v_lshrrev_b32_e32 v38, 16, v24
	v_cvt_pk_f32_fp8_e32 v[24:25], v25
	v_cvt_pk_f32_fp8_e32 v[50:51], v38
	v_pk_mul_f32 v[38:39], s[12:13], v[24:25]
	v_pk_mul_f32 v[24:25], s[12:13], v[50:51]
	s_and_saveexec_b64 s[0:1], vcc
	s_cbranch_execz .LBB211_49
; %bb.61:                               ;   in Loop: Header=BB211_51 Depth=1
	v_cmp_gt_i32_e32 vcc, s33, v45
	s_nop 1
	v_cndmask_b32_e32 v38, 0, v38, vcc
	v_cmp_gt_i32_e32 vcc, s33, v47
	s_nop 1
	v_cndmask_b32_e32 v39, 0, v39, vcc
	;; [unrolled: 3-line block ×4, first 2 shown]
	s_branch .LBB211_49
.LBB211_62:
	s_or_b64 exec, exec, s[8:9]
.LBB211_63:
	s_or_b64 exec, exec, s[2:3]
	ds_bpermute_b32 v8, v42, v2
	ds_bpermute_b32 v9, v42, v3
	;; [unrolled: 1-line block ×5, first 2 shown]
	s_waitcnt lgkmcnt(0)
	v_pk_add_f32 v[2:3], v[2:3], v[8:9]
	ds_bpermute_b32 v8, v41, v2
	v_pk_add_f32 v[4:5], v[4:5], v[10:11]
	ds_bpermute_b32 v9, v41, v3
	ds_bpermute_b32 v10, v41, v4
	;; [unrolled: 1-line block ×3, first 2 shown]
	v_add_f32_e32 v14, v6, v7
	ds_bpermute_b32 v15, v41, v14
	s_waitcnt lgkmcnt(3)
	v_pk_add_f32 v[6:7], v[2:3], v[8:9]
	s_barrier
	s_waitcnt lgkmcnt(1)
	v_pk_add_f32 v[2:3], v[4:5], v[10:11]
	v_and_b32_e32 v5, 0x3c3, v0
	s_waitcnt lgkmcnt(0)
	v_add_f32_e32 v4, v14, v15
	v_cmp_eq_u32_e32 vcc, 64, v5
	s_and_saveexec_b64 s[0:1], vcc
	s_cbranch_execz .LBB211_65
; %bb.64:
	v_add_u32_e32 v8, 0x150, v13
	ds_write2_b32 v8, v6, v7 offset1:16
	ds_write2_b32 v8, v2, v3 offset0:32 offset1:48
	ds_write_b32 v8, v4 offset:256
.LBB211_65:
	s_or_b64 exec, exec, s[0:1]
	v_cmp_gt_u32_e32 vcc, 64, v0
	s_waitcnt lgkmcnt(0)
	s_barrier
	s_and_saveexec_b64 s[0:1], vcc
	s_cbranch_execz .LBB211_73
; %bb.66:
	v_cmp_eq_u32_e32 vcc, 0, v12
	s_and_saveexec_b64 s[2:3], vcc
	s_cbranch_execnz .LBB211_76
; %bb.67:
	s_or_b64 exec, exec, s[2:3]
	s_and_saveexec_b64 s[2:3], vcc
	s_cbranch_execnz .LBB211_77
.LBB211_68:
	s_or_b64 exec, exec, s[2:3]
	s_and_saveexec_b64 s[2:3], vcc
	s_cbranch_execnz .LBB211_78
.LBB211_69:
	s_or_b64 exec, exec, s[2:3]
	s_and_saveexec_b64 s[2:3], vcc
	s_cbranch_execnz .LBB211_79
.LBB211_70:
	s_or_b64 exec, exec, s[2:3]
	s_and_saveexec_b64 s[2:3], vcc
	s_cbranch_execz .LBB211_72
.LBB211_71:
	v_mov_b32_e32 v0, 0x150
	v_lshl_add_u32 v0, v40, 2, v0
	ds_read_b32 v0, v0 offset:256
	s_waitcnt lgkmcnt(0)
	v_add_f32_e32 v4, v4, v0
.LBB211_72:
	s_or_b64 exec, exec, s[2:3]
.LBB211_73:
	s_or_b64 exec, exec, s[0:1]
	v_cmp_eq_u32_e32 vcc, 0, v5
	s_barrier
	s_and_saveexec_b64 s[0:1], vcc
	s_cbranch_execz .LBB211_75
; %bb.74:
	s_mul_i32 s0, s6, 0x50
	s_ashr_i32 s1, s0, 31
	s_lshl_b64 s[0:1], s[0:1], 2
	s_add_u32 s2, s30, s0
	s_mul_i32 s0, s20, s28
	s_addc_u32 s3, s31, s1
	s_ashr_i32 s1, s0, 31
	s_lshl_b64 s[0:1], s[0:1], 2
	s_add_u32 s2, s2, s0
	s_mul_i32 s0, s4, 0x50
	s_addc_u32 s3, s3, s1
	s_ashr_i32 s1, s0, 31
	s_lshl_b64 s[0:1], s[0:1], 2
	s_add_u32 s0, s2, s0
	s_addc_u32 s1, s3, s1
	global_store_dword v1, v6, s[0:1]
	global_store_dword v1, v7, s[0:1] offset:64
	global_store_dword v1, v2, s[0:1] offset:128
	;; [unrolled: 1-line block ×4, first 2 shown]
.LBB211_75:
	s_endpgm
.LBB211_76:
	v_mov_b32_e32 v0, 0x150
	v_lshl_add_u32 v0, v40, 2, v0
	ds_read_b32 v0, v0
	s_waitcnt lgkmcnt(0)
	v_add_f32_e32 v6, v6, v0
	s_or_b64 exec, exec, s[2:3]
	s_and_saveexec_b64 s[2:3], vcc
	s_cbranch_execz .LBB211_68
.LBB211_77:
	v_mov_b32_e32 v0, 0x150
	v_lshl_add_u32 v0, v40, 2, v0
	ds_read_b32 v0, v0 offset:64
	s_waitcnt lgkmcnt(0)
	v_add_f32_e32 v7, v7, v0
	s_or_b64 exec, exec, s[2:3]
	s_and_saveexec_b64 s[2:3], vcc
	s_cbranch_execz .LBB211_69
.LBB211_78:
	v_mov_b32_e32 v0, 0x150
	v_lshl_add_u32 v0, v40, 2, v0
	ds_read_b32 v0, v0 offset:128
	s_waitcnt lgkmcnt(0)
	v_add_f32_e32 v2, v2, v0
	s_or_b64 exec, exec, s[2:3]
	s_and_saveexec_b64 s[2:3], vcc
	s_cbranch_execz .LBB211_70
.LBB211_79:
	v_mov_b32_e32 v0, 0x150
	v_lshl_add_u32 v0, v40, 2, v0
	ds_read_b32 v0, v0 offset:192
	s_waitcnt lgkmcnt(0)
	v_add_f32_e32 v3, v3, v0
	s_or_b64 exec, exec, s[2:3]
	s_and_saveexec_b64 s[2:3], vcc
	s_cbranch_execnz .LBB211_71
	s_branch .LBB211_72
	.section	.rodata,"a",@progbits
	.p2align	6, 0x0
	.amdhsa_kernel _ZN4vllm25paged_attention_v2_kernelIfhLi80ELi16ELi128ELNS_18Fp8KVCacheDataTypeE1ELb1ELi512EEEvPfS2_PT_PKS3_PKT0_S9_ifPKiSB_iPKfiiiSD_SD_iiiii
		.amdhsa_group_segment_fixed_size 336
		.amdhsa_private_segment_fixed_size 0
		.amdhsa_kernarg_size 400
		.amdhsa_user_sgpr_count 2
		.amdhsa_user_sgpr_dispatch_ptr 0
		.amdhsa_user_sgpr_queue_ptr 0
		.amdhsa_user_sgpr_kernarg_segment_ptr 1
		.amdhsa_user_sgpr_dispatch_id 0
		.amdhsa_user_sgpr_kernarg_preload_length 0
		.amdhsa_user_sgpr_kernarg_preload_offset 0
		.amdhsa_user_sgpr_private_segment_size 0
		.amdhsa_uses_dynamic_stack 0
		.amdhsa_enable_private_segment 0
		.amdhsa_system_sgpr_workgroup_id_x 1
		.amdhsa_system_sgpr_workgroup_id_y 1
		.amdhsa_system_sgpr_workgroup_id_z 1
		.amdhsa_system_sgpr_workgroup_info 0
		.amdhsa_system_vgpr_workitem_id 0
		.amdhsa_next_free_vgpr 69
		.amdhsa_next_free_sgpr 56
		.amdhsa_accum_offset 72
		.amdhsa_reserve_vcc 1
		.amdhsa_float_round_mode_32 0
		.amdhsa_float_round_mode_16_64 0
		.amdhsa_float_denorm_mode_32 3
		.amdhsa_float_denorm_mode_16_64 3
		.amdhsa_dx10_clamp 1
		.amdhsa_ieee_mode 1
		.amdhsa_fp16_overflow 0
		.amdhsa_tg_split 0
		.amdhsa_exception_fp_ieee_invalid_op 0
		.amdhsa_exception_fp_denorm_src 0
		.amdhsa_exception_fp_ieee_div_zero 0
		.amdhsa_exception_fp_ieee_overflow 0
		.amdhsa_exception_fp_ieee_underflow 0
		.amdhsa_exception_fp_ieee_inexact 0
		.amdhsa_exception_int_div_zero 0
	.end_amdhsa_kernel
	.section	.text._ZN4vllm25paged_attention_v2_kernelIfhLi80ELi16ELi128ELNS_18Fp8KVCacheDataTypeE1ELb1ELi512EEEvPfS2_PT_PKS3_PKT0_S9_ifPKiSB_iPKfiiiSD_SD_iiiii,"axG",@progbits,_ZN4vllm25paged_attention_v2_kernelIfhLi80ELi16ELi128ELNS_18Fp8KVCacheDataTypeE1ELb1ELi512EEEvPfS2_PT_PKS3_PKT0_S9_ifPKiSB_iPKfiiiSD_SD_iiiii,comdat
.Lfunc_end211:
	.size	_ZN4vllm25paged_attention_v2_kernelIfhLi80ELi16ELi128ELNS_18Fp8KVCacheDataTypeE1ELb1ELi512EEEvPfS2_PT_PKS3_PKT0_S9_ifPKiSB_iPKfiiiSD_SD_iiiii, .Lfunc_end211-_ZN4vllm25paged_attention_v2_kernelIfhLi80ELi16ELi128ELNS_18Fp8KVCacheDataTypeE1ELb1ELi512EEEvPfS2_PT_PKS3_PKT0_S9_ifPKiSB_iPKfiiiSD_SD_iiiii
                                        ; -- End function
	.section	.AMDGPU.csdata,"",@progbits
; Kernel info:
; codeLenInByte = 5544
; NumSgprs: 62
; NumVgprs: 69
; NumAgprs: 0
; TotalNumVgprs: 69
; ScratchSize: 0
; MemoryBound: 0
; FloatMode: 240
; IeeeMode: 1
; LDSByteSize: 336 bytes/workgroup (compile time only)
; SGPRBlocks: 7
; VGPRBlocks: 8
; NumSGPRsForWavesPerEU: 62
; NumVGPRsForWavesPerEU: 69
; AccumOffset: 72
; Occupancy: 7
; WaveLimiterHint : 1
; COMPUTE_PGM_RSRC2:SCRATCH_EN: 0
; COMPUTE_PGM_RSRC2:USER_SGPR: 2
; COMPUTE_PGM_RSRC2:TRAP_HANDLER: 0
; COMPUTE_PGM_RSRC2:TGID_X_EN: 1
; COMPUTE_PGM_RSRC2:TGID_Y_EN: 1
; COMPUTE_PGM_RSRC2:TGID_Z_EN: 1
; COMPUTE_PGM_RSRC2:TIDIG_COMP_CNT: 0
; COMPUTE_PGM_RSRC3_GFX90A:ACCUM_OFFSET: 17
; COMPUTE_PGM_RSRC3_GFX90A:TG_SPLIT: 0
	.section	.text._ZN4vllm25paged_attention_v2_kernelIfhLi96ELi16ELi128ELNS_18Fp8KVCacheDataTypeE1ELb1ELi512EEEvPfS2_PT_PKS3_PKT0_S9_ifPKiSB_iPKfiiiSD_SD_iiiii,"axG",@progbits,_ZN4vllm25paged_attention_v2_kernelIfhLi96ELi16ELi128ELNS_18Fp8KVCacheDataTypeE1ELb1ELi512EEEvPfS2_PT_PKS3_PKT0_S9_ifPKiSB_iPKfiiiSD_SD_iiiii,comdat
	.protected	_ZN4vllm25paged_attention_v2_kernelIfhLi96ELi16ELi128ELNS_18Fp8KVCacheDataTypeE1ELb1ELi512EEEvPfS2_PT_PKS3_PKT0_S9_ifPKiSB_iPKfiiiSD_SD_iiiii ; -- Begin function _ZN4vllm25paged_attention_v2_kernelIfhLi96ELi16ELi128ELNS_18Fp8KVCacheDataTypeE1ELb1ELi512EEEvPfS2_PT_PKS3_PKT0_S9_ifPKiSB_iPKfiiiSD_SD_iiiii
	.globl	_ZN4vllm25paged_attention_v2_kernelIfhLi96ELi16ELi128ELNS_18Fp8KVCacheDataTypeE1ELb1ELi512EEEvPfS2_PT_PKS3_PKT0_S9_ifPKiSB_iPKfiiiSD_SD_iiiii
	.p2align	8
	.type	_ZN4vllm25paged_attention_v2_kernelIfhLi96ELi16ELi128ELNS_18Fp8KVCacheDataTypeE1ELb1ELi512EEEvPfS2_PT_PKS3_PKT0_S9_ifPKiSB_iPKfiiiSD_SD_iiiii,@function
_ZN4vllm25paged_attention_v2_kernelIfhLi96ELi16ELi128ELNS_18Fp8KVCacheDataTypeE1ELb1ELi512EEEvPfS2_PT_PKS3_PKT0_S9_ifPKiSB_iPKfiiiSD_SD_iiiii: ; @_ZN4vllm25paged_attention_v2_kernelIfhLi96ELi16ELi128ELNS_18Fp8KVCacheDataTypeE1ELb1ELi512EEEvPfS2_PT_PKS3_PKT0_S9_ifPKiSB_iPKfiiiSD_SD_iiiii
; %bb.0:
	s_load_dwordx2 s[6:7], s[0:1], 0x40
	s_mov_b32 s34, s3
	s_ashr_i32 s35, s3, 31
	s_lshl_b64 s[8:9], s[34:35], 2
	s_waitcnt lgkmcnt(0)
	s_add_u32 s6, s6, s8
	s_addc_u32 s7, s7, s9
	s_load_dword s33, s[6:7], 0x0
	s_lshl_b32 s52, s4, 9
	s_waitcnt lgkmcnt(0)
	s_cmp_ge_i32 s52, s33
	s_cbranch_scc1 .LBB212_78
; %bb.1:
	s_load_dword s5, s[0:1], 0x90
	s_load_dwordx2 s[42:43], s[0:1], 0x30
	s_waitcnt lgkmcnt(0)
	s_abs_i32 s7, s5
	s_abs_i32 s3, s42
	v_cvt_f32_u32_e32 v1, s3
	s_sub_i32 s8, 0, s3
	s_xor_b32 s6, s5, s42
	s_ashr_i32 s6, s6, 31
	v_rcp_iflag_f32_e32 v1, v1
	s_nop 0
	v_mul_f32_e32 v1, 0x4f7ffffe, v1
	v_cvt_u32_f32_e32 v1, v1
	s_nop 0
	v_readfirstlane_b32 s9, v1
	s_mul_i32 s8, s8, s9
	s_mul_hi_u32 s8, s9, s8
	s_add_i32 s9, s9, s8
	s_mul_hi_u32 s8, s7, s9
	s_mul_i32 s9, s8, s3
	s_sub_i32 s7, s7, s9
	s_add_i32 s10, s8, 1
	s_sub_i32 s9, s7, s3
	s_cmp_ge_u32 s7, s3
	s_cselect_b32 s8, s10, s8
	s_cselect_b32 s7, s9, s7
	s_add_i32 s9, s8, 1
	s_cmp_ge_u32 s7, s3
	s_cselect_b32 s3, s9, s8
	s_xor_b32 s3, s3, s6
	s_sub_i32 s12, s3, s6
	s_abs_i32 s8, s12
	v_cvt_f32_u32_e32 v1, s8
	s_load_dwordx2 s[6:7], s[0:1], 0x50
	s_sub_i32 s10, 0, s8
	s_abs_i32 s9, s2
	v_rcp_iflag_f32_e32 v1, v1
	s_mov_b32 s3, 0
	v_mul_f32_e32 v1, 0x4f7ffffe, v1
	v_cvt_u32_f32_e32 v1, v1
	s_nop 0
	v_readfirstlane_b32 s11, v1
	s_mul_i32 s10, s10, s11
	s_mul_hi_u32 s10, s11, s10
	s_add_i32 s11, s11, s10
	s_waitcnt lgkmcnt(0)
	s_cmp_eq_u64 s[6:7], 0
	s_mul_hi_u32 s10, s9, s11
	s_cbranch_scc1 .LBB212_3
; %bb.2:
	s_ashr_i32 s3, s2, 31
	s_lshl_b64 s[14:15], s[2:3], 2
	s_add_u32 s6, s6, s14
	s_addc_u32 s7, s7, s15
	s_load_dword s3, s[6:7], 0x0
.LBB212_3:
	s_ashr_i32 s16, s12, 31
	s_load_dwordx4 s[12:15], s[0:1], 0x58
	v_lshrrev_b32_e32 v44, 2, v0
	s_waitcnt lgkmcnt(0)
	s_movk_i32 s15, 0x60
	s_ashr_i32 s11, s2, 31
	v_and_b32_e32 v12, 3, v0
	s_mul_i32 s28, s2, 0x60
	v_cmp_gt_u32_e32 vcc, s15, v0
	v_lshlrev_b32_e32 v8, 2, v0
	v_lshlrev_b32_e32 v1, 2, v44
	s_and_saveexec_b64 s[6:7], vcc
	s_cbranch_execz .LBB212_5
; %bb.4:
	s_load_dwordx2 s[18:19], s[0:1], 0x18
	s_mul_i32 s20, s34, s12
	s_ashr_i32 s21, s20, 31
	s_lshl_b64 s[20:21], s[20:21], 2
	v_mad_u32_u24 v3, v12, s15, v1
	s_waitcnt lgkmcnt(0)
	s_add_u32 s12, s18, s20
	s_addc_u32 s17, s19, s21
	s_ashr_i32 s29, s28, 31
	s_lshl_b64 s[18:19], s[28:29], 2
	s_add_u32 s18, s12, s18
	s_addc_u32 s19, s17, s19
	global_load_dword v2, v8, s[18:19]
	s_waitcnt vmcnt(0)
	ds_write_b32 v3, v2
.LBB212_5:
	s_or_b64 exec, exec, s[6:7]
	s_mul_i32 s7, s10, s8
	s_sub_i32 s7, s9, s7
	s_xor_b32 s6, s11, s16
	s_add_i32 s9, s10, 1
	s_sub_i32 s11, s7, s8
	s_load_dwordx4 s[20:23], s[0:1], 0x78
	s_cmp_ge_u32 s7, s8
	s_cselect_b32 s9, s9, s10
	s_cselect_b32 s7, s11, s7
	s_add_i32 s10, s9, 1
	s_cmp_ge_u32 s7, s8
	s_cselect_b32 s7, s10, s9
	s_load_dword s10, s[0:1], 0x88
	s_waitcnt lgkmcnt(0)
	s_abs_i32 s29, s23
	v_cvt_f32_u32_e32 v2, s29
	s_xor_b32 s7, s7, s6
	s_sub_i32 s51, s7, s6
	s_sub_i32 s6, 0, s29
	v_rcp_iflag_f32_e32 v2, v2
	s_add_i32 s11, s33, -1
	s_abs_i32 s8, s11
	v_mul_f32_e32 v2, 0x4f7ffffe, v2
	v_cvt_u32_f32_e32 v2, v2
	s_barrier
	v_readfirstlane_b32 s35, v2
	s_mul_i32 s6, s6, s35
	s_mul_hi_u32 s6, s35, s6
	s_add_i32 s35, s35, s6
	s_cmp_lt_i32 s10, 0
	s_mul_hi_u32 s9, s8, s35
	s_cbranch_scc0 .LBB212_7
; %bb.6:
	s_mul_i32 s6, s20, s42
	s_add_i32 s6, s51, s6
	s_mul_i32 s6, s6, s10
	s_sub_i32 s42, 1, s6
	s_mov_b64 s[6:7], 0
	s_branch .LBB212_8
.LBB212_7:
	s_mov_b64 s[6:7], -1
                                        ; implicit-def: $sgpr42
.LBB212_8:
	s_load_dwordx2 s[36:37], s[0:1], 0x38
	s_ashr_i32 s11, s11, 31
	s_andn2_b64 vcc, exec, s[6:7]
	s_ashr_i32 s23, s23, 31
	s_cbranch_vccnz .LBB212_10
; %bb.9:
	s_mul_i32 s6, s5, s20
	s_add_i32 s6, s6, s2
	s_mul_i32 s6, s6, s10
	s_add_i32 s42, s6, 1
.LBB212_10:
	s_load_dwordx2 s[40:41], s[0:1], 0x28
	s_load_dword s6, s[0:1], 0x48
	s_load_dwordx4 s[24:27], s[0:1], 0x0
	s_load_dwordx2 s[30:31], s[0:1], 0x10
	s_load_dword s20, s[0:1], 0x98
	s_load_dwordx4 s[16:19], s[0:1], 0x68
	s_mul_i32 s7, s9, s29
	s_waitcnt lgkmcnt(0)
	s_mul_i32 s38, s34, s6
	s_sub_i32 s7, s8, s7
	s_ashr_i32 s39, s38, 31
	s_xor_b32 s6, s11, s23
	s_add_i32 s8, s9, 1
	s_sub_i32 s10, s7, s29
	s_cmp_ge_u32 s7, s29
	s_cselect_b32 s8, s8, s9
	s_cselect_b32 s7, s10, s7
	s_add_i32 s9, s8, 1
	s_cmp_ge_u32 s7, s29
	s_cselect_b32 s7, s9, s8
	s_xor_b32 s7, s7, s6
	s_sub_i32 s50, s7, s6
	s_add_i32 s6, s33, 15
	s_ashr_i32 s7, s6, 31
	s_lshr_b32 s7, s7, 28
	s_add_i32 s6, s6, s7
	s_lshl_b32 s12, s4, 5
	s_ashr_i32 s49, s6, 4
	s_add_i32 s6, s12, 32
	v_lshrrev_b32_e32 v9, 6, v0
	s_min_i32 s48, s6, s49
	v_or_b32_e32 v14, s12, v9
	v_cmp_gt_i32_e64 s[8:9], s48, v14
	v_mov_b32_e32 v11, 0xff7fffff
	s_mul_i32 s51, s51, s14
	v_ashrrev_i32_e32 v15, 31, v14
	v_lshl_add_u32 v45, v9, 4, s52
	v_mbcnt_lo_u32_b32 v6, -1, 0
	s_and_saveexec_b64 s[14:15], s[8:9]
	s_cbranch_execz .LBB212_20
; %bb.11:
	s_load_dwordx2 s[0:1], s[0:1], 0x20
	s_sub_i32 s53, s50, s21
	s_ashr_i32 s6, s51, 31
	v_bfe_u32 v7, v0, 2, 4
	v_mov_b32_e32 v3, 0
	s_waitcnt lgkmcnt(0)
	s_add_u32 s0, s0, s51
	s_addc_u32 s1, s1, s6
	s_abs_i32 s54, s22
	v_cvt_f32_u32_e32 v2, s54
	v_mov_b32_e32 v13, v3
	v_lshlrev_b32_e32 v11, 2, v7
	v_lshl_or_b32 v11, v9, 6, v11
	v_rcp_iflag_f32_e32 v4, v2
	v_lshlrev_b32_e32 v2, 4, v7
	v_lshl_add_u64 v[2:3], s[0:1], 0, v[2:3]
	s_sub_i32 s0, 0, s54
	v_mul_f32_e32 v4, 0x4f7ffffe, v4
	v_cvt_u32_f32_e32 v4, v4
	v_add_u32_e32 v18, 0x190, v11
	v_subrev_u32_e32 v11, s33, v7
	v_mbcnt_hi_u32_b32 v21, -1, v6
	v_mul_lo_u32 v5, s0, v4
	s_lshl_b64 s[0:1], s[38:39], 2
	s_add_u32 s0, s36, s0
	v_mul_hi_u32 v5, v4, v5
	s_addc_u32 s1, s37, s1
	v_add_u32_e32 v19, 1, v11
	v_and_b32_e32 v11, 64, v21
	v_cmp_eq_u32_e32 vcc, 0, v12
	s_mov_b32 s55, s13
	v_mul_u32_u24_e32 v10, 0x60, v12
	v_cmp_neq_f32_e64 s[6:7], s3, 0
	v_add_u32_e32 v16, v4, v5
	v_lshl_add_u64 v[4:5], v[14:15], 2, s[0:1]
	v_lshl_add_u32 v17, v9, 4, s52
	s_mov_b64 s[44:45], 0
	v_mov_b32_e32 v20, 0xff7fffff
	v_add_u32_e32 v22, 64, v11
	v_xor_b32_e32 v23, 2, v21
	v_xor_b32_e32 v24, 1, v21
	v_mov_b32_e32 v11, 0xff7fffff
	v_mov_b32_e32 v25, v14
	s_branch .LBB212_14
.LBB212_12:                             ;   in Loop: Header=BB212_14 Depth=1
	s_or_b64 exec, exec, s[46:47]
.LBB212_13:                             ;   in Loop: Header=BB212_14 Depth=1
	s_or_b64 exec, exec, s[10:11]
	v_add_u32_e32 v25, 2, v25
	v_cmp_le_i32_e64 s[0:1], s48, v25
	v_lshl_add_u64 v[4:5], v[4:5], 0, 8
	v_add_u32_e32 v17, 32, v17
	s_or_b64 s[44:45], s[0:1], s[44:45]
	v_add_u32_e32 v18, 0x80, v18
	s_andn2_b64 exec, exec, s[44:45]
	s_cbranch_execz .LBB212_19
.LBB212_14:                             ; =>This Inner Loop Header: Depth=1
	s_waitcnt lgkmcnt(0)
	v_sub_u32_e32 v27, 0, v17
	v_max_i32_e32 v27, v17, v27
	v_mul_hi_u32 v28, v27, s35
	v_mul_lo_u32 v29, v28, s29
	v_sub_u32_e32 v27, v27, v29
	v_add_u32_e32 v29, 1, v28
	v_cmp_le_u32_e64 s[0:1], s29, v27
	v_ashrrev_i32_e32 v26, 31, v17
	v_xor_b32_e32 v26, s23, v26
	v_cndmask_b32_e64 v28, v28, v29, s[0:1]
	v_subrev_u32_e32 v29, s29, v27
	v_cndmask_b32_e64 v27, v27, v29, s[0:1]
	v_add_u32_e32 v29, 1, v28
	v_cmp_le_u32_e64 s[0:1], s29, v27
	s_nop 1
	v_cndmask_b32_e64 v27, v28, v29, s[0:1]
	v_xor_b32_e32 v27, v27, v26
	v_sub_u32_e32 v26, v27, v26
	v_add_u32_e32 v27, s42, v26
	v_sub_u32_e32 v29, 0, v27
	v_ashrrev_i32_e32 v28, 31, v27
	v_max_i32_e32 v27, v27, v29
	v_mul_hi_u32 v29, v27, v16
	v_mul_lo_u32 v29, v29, s54
	v_sub_u32_e32 v27, v27, v29
	v_subrev_u32_e32 v29, s54, v27
	v_cmp_le_u32_e64 s[0:1], s54, v27
	v_cmp_ge_i32_e64 s[10:11], s53, v26
	s_nop 0
	v_cndmask_b32_e64 v27, v27, v29, s[0:1]
	v_subrev_u32_e32 v29, s54, v27
	v_cmp_le_u32_e64 s[0:1], s54, v27
	s_nop 1
	v_cndmask_b32_e64 v27, v27, v29, s[0:1]
	v_xor_b32_e32 v27, v27, v28
	v_sub_u32_e32 v27, v27, v28
	v_cmp_ne_u32_e64 s[0:1], 0, v27
	s_and_b64 s[0:1], s[0:1], s[10:11]
	s_and_b64 s[46:47], vcc, s[0:1]
	s_and_saveexec_b64 s[10:11], s[46:47]
	s_cbranch_execz .LBB212_16
; %bb.15:                               ;   in Loop: Header=BB212_14 Depth=1
	ds_write_b32 v18, v20
.LBB212_16:                             ;   in Loop: Header=BB212_14 Depth=1
	s_or_b64 exec, exec, s[10:11]
	s_xor_b64 s[0:1], s[0:1], -1
	s_and_saveexec_b64 s[10:11], s[0:1]
	s_cbranch_execz .LBB212_13
; %bb.17:                               ;   in Loop: Header=BB212_14 Depth=1
	global_load_dword v26, v[4:5], off
	s_waitcnt vmcnt(0)
	v_mad_i64_i32 v[26:27], s[0:1], v26, s55, v[2:3]
	v_lshl_add_u64 v[26:27], v[26:27], 0, v[12:13]
	global_load_ubyte v42, v[26:27], off
	global_load_ubyte v43, v[26:27], off offset:4
	global_load_ubyte v54, v[26:27], off offset:8
	;; [unrolled: 1-line block ×23, first 2 shown]
	ds_read_b128 v[26:29], v10
	ds_read_b128 v[30:33], v10 offset:16
	ds_read_b128 v[34:37], v10 offset:32
	;; [unrolled: 1-line block ×5, first 2 shown]
	s_load_dword s46, s[16:17], 0x0
	v_cmp_lt_i32_e64 s[0:1], v23, v22
	s_waitcnt vmcnt(23)
	v_cvt_f32_fp8_sdwa v42, v42 src0_sel:BYTE_0
	s_waitcnt vmcnt(22)
	v_cvt_f32_fp8_sdwa v43, v43 src0_sel:BYTE_0
	;; [unrolled: 2-line block ×5, first 2 shown]
	s_waitcnt lgkmcnt(0)
	v_mul_f32_e32 v43, s46, v43
	s_waitcnt vmcnt(18)
	v_cvt_f32_fp8_sdwa v57, v57 src0_sel:BYTE_0
	v_mul_f32_e32 v42, s46, v42
	v_mul_f32_e32 v27, v27, v43
	s_waitcnt vmcnt(17)
	v_cvt_f32_fp8_sdwa v58, v58 src0_sel:BYTE_0
	v_mul_f32_e32 v54, s46, v54
	v_fmac_f32_e32 v27, v26, v42
	s_waitcnt vmcnt(16)
	v_cvt_f32_fp8_sdwa v59, v59 src0_sel:BYTE_0
	v_mul_f32_e32 v55, s46, v55
	v_fmac_f32_e32 v27, v28, v54
	;; [unrolled: 4-line block ×18, first 2 shown]
	v_mul_f32_e32 v72, s46, v72
	v_fmac_f32_e32 v27, v49, v71
	v_mul_f32_e32 v73, s46, v73
	v_fmac_f32_e32 v27, v50, v72
	;; [unrolled: 2-line block ×3, first 2 shown]
	v_cndmask_b32_e64 v76, v21, v23, s[0:1]
	v_mul_f32_e32 v75, s46, v75
	v_fmac_f32_e32 v27, v52, v74
	v_lshlrev_b32_e32 v76, 2, v76
	v_fmac_f32_e32 v27, v53, v75
	ds_bpermute_b32 v26, v76, v27
	v_cmp_lt_i32_e64 s[0:1], v24, v22
	s_waitcnt lgkmcnt(0)
	v_add_f32_e32 v26, v27, v26
	v_cndmask_b32_e64 v28, v21, v24, s[0:1]
	v_lshlrev_b32_e32 v28, 2, v28
	ds_bpermute_b32 v27, v28, v26
	s_and_saveexec_b64 s[46:47], vcc
	s_cbranch_execz .LBB212_12
; %bb.18:                               ;   in Loop: Header=BB212_14 Depth=1
	v_add_u32_e32 v28, v19, v17
	v_cvt_f32_i32_e32 v28, v28
	s_waitcnt lgkmcnt(0)
	v_add_f32_e32 v26, v26, v27
	v_add_u32_e32 v29, v7, v17
	v_cmp_gt_i32_e64 s[0:1], s33, v29
	v_mul_f32_e32 v27, s3, v28
	v_cndmask_b32_e64 v27, 0, v27, s[6:7]
	v_fmac_f32_e32 v27, s43, v26
	v_cndmask_b32_e64 v26, 0, v27, s[0:1]
	ds_write_b32 v18, v26
	v_max_f32_e32 v26, v11, v11
	v_max_f32_e32 v26, v26, v27
	v_cndmask_b32_e64 v11, v11, v26, s[0:1]
	s_branch .LBB212_12
.LBB212_19:
	s_or_b64 exec, exec, s[44:45]
.LBB212_20:
	s_or_b64 exec, exec, s[14:15]
	v_mbcnt_hi_u32_b32 v2, -1, v6
	v_and_b32_e32 v3, 64, v2
	v_add_u32_e32 v3, 64, v3
	v_xor_b32_e32 v4, 32, v2
	v_cmp_lt_i32_e32 vcc, v4, v3
	v_xor_b32_e32 v7, 16, v2
	v_max_f32_e32 v6, v11, v11
	v_cndmask_b32_e32 v4, v2, v4, vcc
	v_lshlrev_b32_e32 v5, 2, v4
	ds_bpermute_b32 v4, v5, v11
	v_cmp_lt_i32_e32 vcc, v7, v3
	v_xor_b32_e32 v10, 8, v2
	v_and_b32_e32 v13, 63, v0
	s_waitcnt lgkmcnt(0)
	v_max_f32_e32 v4, v4, v4
	v_max_f32_e32 v4, v6, v4
	v_cndmask_b32_e32 v6, v2, v7, vcc
	v_lshlrev_b32_e32 v6, 2, v6
	ds_bpermute_b32 v7, v6, v4
	v_cmp_lt_i32_e32 vcc, v10, v3
	s_waitcnt lgkmcnt(0)
	v_max_f32_e32 v7, v7, v7
	v_max_f32_e32 v4, v4, v7
	v_cndmask_b32_e32 v7, v2, v10, vcc
	v_lshlrev_b32_e32 v11, 2, v7
	ds_bpermute_b32 v7, v11, v4
	v_xor_b32_e32 v10, 4, v2
	v_cmp_lt_i32_e32 vcc, v10, v3
	s_waitcnt lgkmcnt(0)
	v_max_f32_e32 v7, v7, v7
	v_max_f32_e32 v4, v4, v7
	v_cndmask_b32_e32 v7, v2, v10, vcc
	v_lshlrev_b32_e32 v16, 2, v7
	ds_bpermute_b32 v10, v16, v4
	v_cmp_eq_u32_e32 vcc, 0, v13
	v_lshlrev_b32_e32 v7, 2, v9
	s_and_saveexec_b64 s[0:1], vcc
	s_cbranch_execz .LBB212_22
; %bb.21:
	s_waitcnt lgkmcnt(0)
	v_max_f32_e32 v10, v10, v10
	v_max_f32_e32 v4, v4, v4
	;; [unrolled: 1-line block ×3, first 2 shown]
	ds_write_b32 v7, v4 offset:384
.LBB212_22:
	s_or_b64 exec, exec, s[0:1]
	v_cmp_gt_u32_e64 s[0:1], 2, v13
	v_mov_b32_e32 v4, 0xff7fffff
	s_waitcnt lgkmcnt(0)
	v_lshlrev_b32_e32 v10, 2, v13
	s_barrier
	s_and_saveexec_b64 s[6:7], s[0:1]
	s_cbranch_execz .LBB212_24
; %bb.23:
	ds_read_b32 v4, v10 offset:384
.LBB212_24:
	s_or_b64 exec, exec, s[6:7]
	v_xor_b32_e32 v17, 1, v2
	v_cmp_lt_i32_e64 s[6:7], v17, v3
	s_sub_i32 s3, s48, s12
	s_lshl_b32 s3, s3, 4
	v_cndmask_b32_e64 v17, v2, v17, s[6:7]
	v_lshlrev_b32_e32 v46, 2, v17
	s_waitcnt lgkmcnt(0)
	ds_bpermute_b32 v17, v46, v4
	v_max_f32_e32 v4, v4, v4
	s_add_i32 s3, s3, s52
	s_min_i32 s12, s3, s33
	s_sub_i32 s3, s12, s52
	s_waitcnt lgkmcnt(0)
	v_max_f32_e32 v17, v17, v17
	v_max_f32_e32 v4, v4, v17
	v_lshlrev_b32_e32 v17, 2, v2
	v_and_b32_e32 v17, 0x100, v17
	ds_bpermute_b32 v4, v17, v4
	v_cmp_gt_i32_e64 s[6:7], s3, v0
	v_mov_b32_e32 v18, 0
	s_and_saveexec_b64 s[14:15], s[6:7]
	s_cbranch_execz .LBB212_28
; %bb.25:
	v_mov_b32_e32 v18, 0x190
	v_lshl_add_u32 v19, v0, 2, v18
	s_mov_b64 s[16:17], 0
	v_mov_b32_e32 v18, 0
	v_mov_b32_e32 v20, v0
.LBB212_26:                             ; =>This Inner Loop Header: Depth=1
	ds_read_b32 v21, v19
	v_add_u32_e32 v20, 0x80, v20
	v_cmp_le_i32_e64 s[10:11], s3, v20
	s_or_b64 s[16:17], s[10:11], s[16:17]
	s_waitcnt lgkmcnt(0)
	v_sub_f32_e32 v21, v21, v4
	v_mul_f32_e32 v21, 0x3fb8aa3b, v21
	v_exp_f32_e32 v21, v21
	ds_write_b32 v19, v21
	v_add_f32_e32 v18, v18, v21
	v_add_u32_e32 v19, 0x200, v19
	s_andn2_b64 exec, exec, s[16:17]
	s_cbranch_execnz .LBB212_26
; %bb.27:
	s_or_b64 exec, exec, s[16:17]
.LBB212_28:
	s_or_b64 exec, exec, s[14:15]
	ds_bpermute_b32 v5, v5, v18
	s_waitcnt lgkmcnt(0)
	v_add_f32_e32 v5, v18, v5
	ds_bpermute_b32 v6, v6, v5
	s_waitcnt lgkmcnt(0)
	v_add_f32_e32 v5, v5, v6
	ds_bpermute_b32 v6, v11, v5
	v_xor_b32_e32 v11, 2, v2
	v_cmp_lt_i32_e64 s[10:11], v11, v3
	s_waitcnt lgkmcnt(0)
	v_add_f32_e32 v5, v5, v6
	ds_bpermute_b32 v6, v16, v5
	v_cndmask_b32_e64 v2, v2, v11, s[10:11]
	v_lshlrev_b32_e32 v47, 2, v2
	s_waitcnt lgkmcnt(0)
	v_add_f32_e32 v3, v5, v6
	ds_bpermute_b32 v2, v47, v3
	s_waitcnt lgkmcnt(0)
	v_add_f32_e32 v2, v3, v2
	ds_bpermute_b32 v3, v46, v2
	s_waitcnt lgkmcnt(0)
	v_add_f32_e32 v2, v2, v3
	s_and_saveexec_b64 s[10:11], vcc
	s_cbranch_execz .LBB212_30
; %bb.29:
	ds_write_b32 v7, v2 offset:392
.LBB212_30:
	s_or_b64 exec, exec, s[10:11]
	s_waitcnt lgkmcnt(0)
	s_barrier
	s_and_saveexec_b64 s[10:11], s[0:1]
	s_cbranch_execz .LBB212_32
; %bb.31:
	ds_read_b32 v2, v10 offset:392
.LBB212_32:
	s_or_b64 exec, exec, s[10:11]
	s_waitcnt lgkmcnt(0)
	ds_bpermute_b32 v3, v46, v2
	s_waitcnt lgkmcnt(0)
	v_add_f32_e32 v2, v2, v3
	ds_bpermute_b32 v5, v17, v2
	s_and_saveexec_b64 s[0:1], s[6:7]
	s_cbranch_execz .LBB212_45
; %bb.33:
	s_waitcnt lgkmcnt(0)
	v_add_f32_e32 v2, 0x358637bd, v5
	v_div_scale_f32 v3, s[6:7], v2, v2, 1.0
	v_rcp_f32_e32 v6, v3
	v_div_scale_f32 v7, vcc, 1.0, v2, 1.0
	s_movk_i32 s6, 0x7f
	v_fma_f32 v10, -v3, v6, 1.0
	v_fmac_f32_e32 v6, v10, v6
	v_mul_f32_e32 v10, v7, v6
	v_fma_f32 v11, -v3, v10, v7
	v_fmac_f32_e32 v10, v11, v6
	v_fma_f32 v3, -v3, v10, v7
	v_div_fmas_f32 v3, v3, v6, v10
	v_div_fixup_f32 v2, v3, v2, 1.0
	v_xad_u32 v3, v0, -1, s12
	v_subrev_u32_e32 v6, s52, v3
	v_cmp_lt_u32_e32 vcc, s6, v6
	s_mov_b64 s[10:11], -1
	v_mov_b32_e32 v3, v0
	s_and_saveexec_b64 s[6:7], vcc
	s_cbranch_execz .LBB212_42
; %bb.34:
	v_lshrrev_b32_e32 v6, 7, v6
	v_add_u32_e32 v10, -1, v6
	v_lshrrev_b32_e32 v7, 1, v10
	v_mov_b32_e32 v3, v2
	v_add_u32_e32 v7, 1, v7
	v_cmp_lt_u32_e32 vcc, 13, v10
	v_mov_b32_e32 v16, 0
	s_and_saveexec_b64 s[10:11], vcc
	s_cbranch_execz .LBB212_38
; %bb.35:
	v_mov_b32_e32 v11, 0x190
	v_and_b32_e32 v10, -8, v7
	v_lshl_add_u32 v11, v0, 2, v11
	s_mov_b32 s12, 0
	s_mov_b64 s[14:15], 0
.LBB212_36:                             ; =>This Inner Loop Header: Depth=1
	ds_read2st64_b32 v[16:17], v11 offset1:2
	ds_read2st64_b32 v[18:19], v11 offset0:4 offset1:6
	ds_read2st64_b32 v[20:21], v11 offset0:8 offset1:10
	;; [unrolled: 1-line block ×3, first 2 shown]
	v_add_u32_e32 v10, -8, v10
	s_waitcnt lgkmcnt(3)
	v_pk_mul_f32 v[16:17], v[2:3], v[16:17]
	s_waitcnt lgkmcnt(2)
	v_pk_mul_f32 v[18:19], v[2:3], v[18:19]
	ds_write2st64_b32 v11, v16, v17 offset1:2
	ds_write2st64_b32 v11, v18, v19 offset0:4 offset1:6
	ds_read2st64_b32 v[18:19], v11 offset0:16 offset1:18
	s_waitcnt lgkmcnt(4)
	v_pk_mul_f32 v[16:17], v[2:3], v[20:21]
	ds_write2st64_b32 v11, v16, v17 offset0:8 offset1:10
	s_waitcnt lgkmcnt(4)
	v_pk_mul_f32 v[16:17], v[2:3], v[22:23]
	ds_write2st64_b32 v11, v16, v17 offset0:12 offset1:14
	ds_read2st64_b32 v[16:17], v11 offset0:20 offset1:22
	s_waitcnt lgkmcnt(3)
	v_pk_mul_f32 v[18:19], v[2:3], v[18:19]
	ds_read2st64_b32 v[20:21], v11 offset0:24 offset1:26
	ds_write2st64_b32 v11, v18, v19 offset0:16 offset1:18
	ds_read2st64_b32 v[18:19], v11 offset0:28 offset1:30
	s_waitcnt lgkmcnt(3)
	v_pk_mul_f32 v[16:17], v[2:3], v[16:17]
	ds_write2st64_b32 v11, v16, v17 offset0:20 offset1:22
	s_waitcnt lgkmcnt(3)
	v_pk_mul_f32 v[16:17], v[2:3], v[20:21]
	ds_write2st64_b32 v11, v16, v17 offset0:24 offset1:26
	s_waitcnt lgkmcnt(2)
	v_pk_mul_f32 v[16:17], v[2:3], v[18:19]
	s_add_i32 s12, s12, 16
	v_cmp_eq_u32_e32 vcc, 0, v10
	ds_write2st64_b32 v11, v16, v17 offset0:28 offset1:30
	v_add_u32_e32 v11, 0x2000, v11
	s_or_b64 s[14:15], vcc, s[14:15]
	v_mov_b32_e32 v16, s12
	s_andn2_b64 exec, exec, s[14:15]
	s_cbranch_execnz .LBB212_36
; %bb.37:
	s_or_b64 exec, exec, s[14:15]
.LBB212_38:
	s_or_b64 exec, exec, s[10:11]
	v_and_b32_e32 v7, 7, v7
	v_cmp_ne_u32_e32 vcc, 0, v7
	s_and_saveexec_b64 s[10:11], vcc
	s_cbranch_execz .LBB212_41
; %bb.39:
	v_lshlrev_b32_e32 v10, 9, v16
	s_movk_i32 s12, 0x190
	v_add3_u32 v10, v10, v8, s12
	s_mov_b64 s[14:15], 0
.LBB212_40:                             ; =>This Inner Loop Header: Depth=1
	ds_read2st64_b32 v[16:17], v10 offset1:2
	v_add_u32_e32 v7, -1, v7
	v_cmp_eq_u32_e32 vcc, 0, v7
	s_or_b64 s[14:15], vcc, s[14:15]
	s_waitcnt lgkmcnt(0)
	v_pk_mul_f32 v[16:17], v[2:3], v[16:17]
	ds_write2st64_b32 v10, v16, v17 offset1:2
	v_add_u32_e32 v10, 0x400, v10
	s_andn2_b64 exec, exec, s[14:15]
	s_cbranch_execnz .LBB212_40
.LBB212_41:
	s_or_b64 exec, exec, s[10:11]
	v_add_u32_e32 v6, 1, v6
	v_and_b32_e32 v7, 0x3fffffe, v6
	v_cmp_ne_u32_e32 vcc, v6, v7
	v_lshl_add_u32 v3, v7, 7, v0
	s_orn2_b64 s[10:11], vcc, exec
.LBB212_42:
	s_or_b64 exec, exec, s[6:7]
	s_and_b64 exec, exec, s[10:11]
	s_cbranch_execz .LBB212_45
; %bb.43:
	v_mov_b32_e32 v6, 0x190
	v_lshl_add_u32 v6, v3, 2, v6
	s_mov_b64 s[6:7], 0
.LBB212_44:                             ; =>This Inner Loop Header: Depth=1
	ds_read_b32 v7, v6
	v_add_u32_e32 v3, 0x80, v3
	v_cmp_le_i32_e32 vcc, s3, v3
	s_or_b64 s[6:7], vcc, s[6:7]
	s_waitcnt lgkmcnt(0)
	v_mul_f32_e32 v7, v2, v7
	ds_write_b32 v6, v7
	v_add_u32_e32 v6, 0x200, v6
	s_andn2_b64 exec, exec, s[6:7]
	s_cbranch_execnz .LBB212_44
.LBB212_45:
	s_or_b64 exec, exec, s[0:1]
	s_mul_i32 s0, s20, s34
	v_cmp_eq_u32_e32 vcc, 0, v0
	s_mul_i32 s6, s0, s5
	s_waitcnt lgkmcnt(0)
	s_barrier
	s_and_saveexec_b64 s[0:1], vcc
	s_cbranch_execz .LBB212_47
; %bb.46:
	s_ashr_i32 s7, s6, 31
	s_lshl_b64 s[10:11], s[6:7], 2
	s_add_u32 s5, s26, s10
	s_mul_i32 s2, s20, s2
	s_addc_u32 s7, s27, s11
	s_ashr_i32 s3, s2, 31
	s_lshl_b64 s[2:3], s[2:3], 2
	s_add_u32 s12, s5, s2
	s_addc_u32 s7, s7, s3
	s_ashr_i32 s5, s4, 31
	s_lshl_b64 s[14:15], s[4:5], 2
	s_add_u32 s16, s12, s14
	s_addc_u32 s17, s7, s15
	s_add_u32 s5, s24, s10
	s_addc_u32 s7, s25, s11
	;; [unrolled: 2-line block ×3, first 2 shown]
	s_add_u32 s2, s2, s14
	v_mov_b32_e32 v2, 0
	s_addc_u32 s3, s3, s15
	global_store_dword v2, v4, s[16:17]
	global_store_dword v2, v5, s[2:3]
.LBB212_47:
	s_or_b64 exec, exec, s[0:1]
	s_mov_b32 s12, 0
	v_mov_b32_e32 v7, 0
	v_mov_b32_e32 v6, 0
	;; [unrolled: 1-line block ×6, first 2 shown]
	s_and_saveexec_b64 s[2:3], s[8:9]
	s_cbranch_execz .LBB212_65
; %bb.48:
	s_sub_i32 s5, s50, s21
	s_ashr_i32 s1, s51, 31
	s_add_u32 s0, s40, s51
	s_addc_u32 s1, s41, s1
	s_abs_i32 s7, s22
	v_cvt_f32_u32_e32 v2, s7
	v_mov_b32_e32 v3, 0
	s_sub_i32 s8, 0, s7
	s_add_i32 s49, s49, -1
	v_rcp_iflag_f32_e32 v4, v2
	v_and_b32_e32 v2, 0xfc, v8
	v_lshl_add_u64 v[16:17], s[0:1], 0, v[2:3]
	s_lshl_b64 s[0:1], s[38:39], 2
	v_mul_f32_e32 v4, 0x4f7ffffe, v4
	v_cvt_u32_f32_e32 v4, v4
	s_add_u32 s0, s36, s0
	s_mov_b32 s21, s13
	s_addc_u32 s1, s37, s1
	v_mul_lo_u32 v2, s8, v4
	v_mul_hi_u32 v2, v4, v2
	v_add_u32_e32 v49, v4, v2
	v_lshlrev_b32_e32 v2, 4, v12
	v_lshl_or_b32 v2, v9, 6, v2
	s_mov_b32 s13, s12
	v_lshl_add_u64 v[18:19], v[14:15], 2, s[0:1]
	v_add_u32_e32 v15, 0x190, v2
	s_mov_b32 s14, s12
	s_mov_b32 s15, s12
	;; [unrolled: 1-line block ×4, first 2 shown]
	v_mov_b64_e32 v[2:3], s[12:13]
	v_and_b32_e32 v48, 12, v8
	s_mov_b64 s[8:9], 0
	v_mov_b64_e32 v[4:5], s[14:15]
	v_mov_b64_e32 v[6:7], s[16:17]
	s_branch .LBB212_51
.LBB212_49:                             ;   in Loop: Header=BB212_51 Depth=1
	s_or_b64 exec, exec, s[0:1]
	v_mul_f32_e32 v23, v9, v23
	v_fmac_f32_e32 v23, v8, v22
	v_fmac_f32_e32 v23, v10, v20
	v_mul_f32_e32 v20, v9, v29
	v_fmac_f32_e32 v20, v8, v28
	v_fmac_f32_e32 v20, v10, v26
	v_fmac_f32_e32 v20, v11, v27
	v_add_f32_e32 v3, v3, v20
	v_mul_f32_e32 v20, v9, v33
	v_fmac_f32_e32 v20, v8, v32
	v_fmac_f32_e32 v20, v10, v30
	v_fmac_f32_e32 v20, v11, v31
	v_add_f32_e32 v4, v4, v20
	;; [unrolled: 5-line block ×3, first 2 shown]
	v_mul_f32_e32 v20, v9, v41
	v_mul_f32_e32 v9, v9, v43
	v_fmac_f32_e32 v20, v8, v40
	v_fmac_f32_e32 v9, v8, v42
	;; [unrolled: 1-line block ×7, first 2 shown]
	v_add_f32_e32 v2, v2, v23
	v_add_f32_e32 v6, v6, v20
	;; [unrolled: 1-line block ×3, first 2 shown]
.LBB212_50:                             ;   in Loop: Header=BB212_51 Depth=1
	s_or_b64 exec, exec, s[10:11]
	v_add_u32_e32 v14, 2, v14
	v_cmp_le_i32_e32 vcc, s48, v14
	v_lshl_add_u64 v[18:19], v[18:19], 0, 8
	v_add_u32_e32 v45, 32, v45
	s_or_b64 s[8:9], vcc, s[8:9]
	v_add_u32_e32 v15, 0x80, v15
	s_andn2_b64 exec, exec, s[8:9]
	s_cbranch_execz .LBB212_64
.LBB212_51:                             ; =>This Inner Loop Header: Depth=1
	v_sub_u32_e32 v9, 0, v45
	v_max_i32_e32 v9, v45, v9
	v_mul_hi_u32 v10, v9, s35
	v_mul_lo_u32 v11, v10, s29
	v_sub_u32_e32 v9, v9, v11
	v_add_u32_e32 v11, 1, v10
	v_cmp_le_u32_e32 vcc, s29, v9
	v_ashrrev_i32_e32 v8, 31, v45
	v_xor_b32_e32 v8, s23, v8
	v_cndmask_b32_e32 v10, v10, v11, vcc
	v_subrev_u32_e32 v11, s29, v9
	v_cndmask_b32_e32 v9, v9, v11, vcc
	v_add_u32_e32 v11, 1, v10
	v_cmp_le_u32_e32 vcc, s29, v9
	s_nop 1
	v_cndmask_b32_e32 v9, v10, v11, vcc
	v_xor_b32_e32 v9, v9, v8
	v_sub_u32_e32 v8, v9, v8
	v_add_u32_e32 v9, s42, v8
	v_sub_u32_e32 v11, 0, v9
	v_ashrrev_i32_e32 v10, 31, v9
	v_max_i32_e32 v9, v9, v11
	v_mul_hi_u32 v11, v9, v49
	v_mul_lo_u32 v11, v11, s7
	v_sub_u32_e32 v9, v9, v11
	v_subrev_u32_e32 v11, s7, v9
	v_cmp_le_u32_e32 vcc, s7, v9
	v_cmp_lt_i32_e64 s[0:1], s5, v8
	s_nop 0
	v_cndmask_b32_e32 v9, v9, v11, vcc
	v_subrev_u32_e32 v11, s7, v9
	v_cmp_le_u32_e32 vcc, s7, v9
	s_nop 1
	v_cndmask_b32_e32 v9, v9, v11, vcc
	v_xor_b32_e32 v9, v9, v10
	v_sub_u32_e32 v9, v9, v10
	v_cmp_eq_u32_e32 vcc, 0, v9
	s_or_b64 s[0:1], vcc, s[0:1]
	s_and_saveexec_b64 s[10:11], s[0:1]
	s_cbranch_execz .LBB212_50
; %bb.52:                               ;   in Loop: Header=BB212_51 Depth=1
	global_load_dword v8, v[18:19], off
	s_load_dword s12, s[18:19], 0x0
	v_add_u32_e32 v50, v48, v45
	v_cmp_eq_u32_e32 vcc, s49, v14
	v_add_u32_e32 v52, 1, v50
	v_add_u32_e32 v51, 2, v50
	v_add_u32_e32 v53, 3, v50
	s_waitcnt vmcnt(0)
	v_mad_i64_i32 v[24:25], s[0:1], v8, s21, v[16:17]
	global_load_dword v20, v[24:25], off
	ds_read_b128 v[8:11], v15
	s_waitcnt vmcnt(0)
	v_and_b32_e32 v21, 0xffff, v20
	v_lshrrev_b32_e32 v22, 16, v20
	v_cvt_pk_f32_fp8_e32 v[20:21], v21
	v_cvt_pk_f32_fp8_e32 v[26:27], v22
	s_waitcnt lgkmcnt(0)
	v_pk_mul_f32 v[22:23], s[12:13], v[20:21] op_sel_hi:[0,1]
	v_pk_mul_f32 v[20:21], s[12:13], v[26:27] op_sel_hi:[0,1]
	s_and_saveexec_b64 s[14:15], vcc
; %bb.53:                               ;   in Loop: Header=BB212_51 Depth=1
	v_cmp_gt_i32_e64 s[0:1], s33, v50
	s_nop 1
	v_cndmask_b32_e64 v22, 0, v22, s[0:1]
	v_cmp_gt_i32_e64 s[0:1], s33, v52
	s_nop 1
	v_cndmask_b32_e64 v23, 0, v23, s[0:1]
	;; [unrolled: 3-line block ×4, first 2 shown]
; %bb.54:                               ;   in Loop: Header=BB212_51 Depth=1
	s_or_b64 exec, exec, s[14:15]
	global_load_dword v26, v[24:25], off offset:256
	s_mov_b32 s13, s12
	s_waitcnt vmcnt(0)
	v_and_b32_e32 v27, 0xffff, v26
	v_lshrrev_b32_e32 v28, 16, v26
	v_cvt_pk_f32_fp8_e32 v[26:27], v27
	v_cvt_pk_f32_fp8_e32 v[30:31], v28
	v_pk_mul_f32 v[28:29], s[12:13], v[26:27]
	v_pk_mul_f32 v[26:27], s[12:13], v[30:31]
	s_and_saveexec_b64 s[14:15], vcc
; %bb.55:                               ;   in Loop: Header=BB212_51 Depth=1
	v_cmp_gt_i32_e64 s[0:1], s33, v50
	s_nop 1
	v_cndmask_b32_e64 v28, 0, v28, s[0:1]
	v_cmp_gt_i32_e64 s[0:1], s33, v52
	s_nop 1
	v_cndmask_b32_e64 v29, 0, v29, s[0:1]
	v_cmp_gt_i32_e64 s[0:1], s33, v51
	s_nop 1
	v_cndmask_b32_e64 v26, 0, v26, s[0:1]
	v_cmp_gt_i32_e64 s[0:1], s33, v53
	s_nop 1
	v_cndmask_b32_e64 v27, 0, v27, s[0:1]
; %bb.56:                               ;   in Loop: Header=BB212_51 Depth=1
	s_or_b64 exec, exec, s[14:15]
	global_load_dword v30, v[24:25], off offset:512
	s_waitcnt vmcnt(0)
	v_and_b32_e32 v31, 0xffff, v30
	v_lshrrev_b32_e32 v32, 16, v30
	v_cvt_pk_f32_fp8_e32 v[30:31], v31
	v_cvt_pk_f32_fp8_e32 v[34:35], v32
	v_pk_mul_f32 v[32:33], s[12:13], v[30:31]
	v_pk_mul_f32 v[30:31], s[12:13], v[34:35]
	s_and_saveexec_b64 s[14:15], vcc
; %bb.57:                               ;   in Loop: Header=BB212_51 Depth=1
	v_cmp_gt_i32_e64 s[0:1], s33, v50
	s_nop 1
	v_cndmask_b32_e64 v32, 0, v32, s[0:1]
	v_cmp_gt_i32_e64 s[0:1], s33, v52
	s_nop 1
	v_cndmask_b32_e64 v33, 0, v33, s[0:1]
	v_cmp_gt_i32_e64 s[0:1], s33, v51
	s_nop 1
	v_cndmask_b32_e64 v30, 0, v30, s[0:1]
	v_cmp_gt_i32_e64 s[0:1], s33, v53
	s_nop 1
	v_cndmask_b32_e64 v31, 0, v31, s[0:1]
; %bb.58:                               ;   in Loop: Header=BB212_51 Depth=1
	s_or_b64 exec, exec, s[14:15]
	global_load_dword v34, v[24:25], off offset:768
	;; [unrolled: 24-line block ×4, first 2 shown]
	s_waitcnt vmcnt(0)
	v_and_b32_e32 v25, 0xffff, v24
	v_lshrrev_b32_e32 v42, 16, v24
	v_cvt_pk_f32_fp8_e32 v[24:25], v25
	v_cvt_pk_f32_fp8_e32 v[54:55], v42
	v_pk_mul_f32 v[42:43], s[12:13], v[24:25]
	v_pk_mul_f32 v[24:25], s[12:13], v[54:55]
	s_and_saveexec_b64 s[0:1], vcc
	s_cbranch_execz .LBB212_49
; %bb.63:                               ;   in Loop: Header=BB212_51 Depth=1
	v_cmp_gt_i32_e32 vcc, s33, v50
	s_nop 1
	v_cndmask_b32_e32 v42, 0, v42, vcc
	v_cmp_gt_i32_e32 vcc, s33, v52
	s_nop 1
	v_cndmask_b32_e32 v43, 0, v43, vcc
	v_cmp_gt_i32_e32 vcc, s33, v51
	s_nop 1
	v_cndmask_b32_e32 v24, 0, v24, vcc
	v_cmp_gt_i32_e32 vcc, s33, v53
	s_nop 1
	v_cndmask_b32_e32 v25, 0, v25, vcc
	s_branch .LBB212_49
.LBB212_64:
	s_or_b64 exec, exec, s[8:9]
.LBB212_65:
	s_or_b64 exec, exec, s[2:3]
	ds_bpermute_b32 v8, v47, v2
	ds_bpermute_b32 v9, v47, v3
	;; [unrolled: 1-line block ×6, first 2 shown]
	s_waitcnt lgkmcnt(4)
	v_pk_add_f32 v[2:3], v[2:3], v[8:9]
	ds_bpermute_b32 v8, v46, v2
	ds_bpermute_b32 v9, v46, v3
	s_waitcnt lgkmcnt(4)
	v_pk_add_f32 v[4:5], v[4:5], v[10:11]
	s_waitcnt lgkmcnt(2)
	v_pk_add_f32 v[14:15], v[6:7], v[14:15]
	ds_bpermute_b32 v10, v46, v4
	ds_bpermute_b32 v11, v46, v5
	;; [unrolled: 1-line block ×4, first 2 shown]
	s_waitcnt lgkmcnt(4)
	v_pk_add_f32 v[6:7], v[2:3], v[8:9]
	v_and_b32_e32 v8, 0x3c3, v0
	s_waitcnt lgkmcnt(2)
	v_pk_add_f32 v[2:3], v[4:5], v[10:11]
	v_cmp_eq_u32_e32 vcc, 64, v8
	s_waitcnt lgkmcnt(0)
	v_pk_add_f32 v[4:5], v[14:15], v[16:17]
	s_barrier
	s_and_saveexec_b64 s[0:1], vcc
	s_cbranch_execz .LBB212_67
; %bb.66:
	v_add_u32_e32 v9, 0x190, v13
	ds_write2_b32 v9, v6, v7 offset1:16
	ds_write2_b32 v9, v2, v3 offset0:32 offset1:48
	ds_write2_b32 v9, v4, v5 offset0:64 offset1:80
.LBB212_67:
	s_or_b64 exec, exec, s[0:1]
	v_cmp_gt_u32_e32 vcc, 64, v0
	s_waitcnt lgkmcnt(0)
	s_barrier
	s_and_saveexec_b64 s[0:1], vcc
	s_cbranch_execz .LBB212_76
; %bb.68:
	v_cmp_eq_u32_e32 vcc, 0, v12
	s_and_saveexec_b64 s[2:3], vcc
	s_cbranch_execnz .LBB212_79
; %bb.69:
	s_or_b64 exec, exec, s[2:3]
	s_and_saveexec_b64 s[2:3], vcc
	s_cbranch_execnz .LBB212_80
.LBB212_70:
	s_or_b64 exec, exec, s[2:3]
	s_and_saveexec_b64 s[2:3], vcc
	s_cbranch_execnz .LBB212_81
.LBB212_71:
	s_or_b64 exec, exec, s[2:3]
	s_and_saveexec_b64 s[2:3], vcc
	s_cbranch_execnz .LBB212_82
.LBB212_72:
	s_or_b64 exec, exec, s[2:3]
	s_and_saveexec_b64 s[2:3], vcc
	s_cbranch_execnz .LBB212_83
.LBB212_73:
	s_or_b64 exec, exec, s[2:3]
	s_and_saveexec_b64 s[2:3], vcc
	s_cbranch_execz .LBB212_75
.LBB212_74:
	v_mov_b32_e32 v0, 0x190
	v_lshl_add_u32 v0, v44, 2, v0
	ds_read_b32 v0, v0 offset:320
	s_waitcnt lgkmcnt(0)
	v_add_f32_e32 v5, v5, v0
.LBB212_75:
	s_or_b64 exec, exec, s[2:3]
.LBB212_76:
	s_or_b64 exec, exec, s[0:1]
	v_cmp_eq_u32_e32 vcc, 0, v8
	s_barrier
	s_and_saveexec_b64 s[0:1], vcc
	s_cbranch_execz .LBB212_78
; %bb.77:
	s_mul_i32 s0, s6, 0x60
	s_ashr_i32 s1, s0, 31
	s_lshl_b64 s[0:1], s[0:1], 2
	s_add_u32 s2, s30, s0
	s_mul_i32 s0, s20, s28
	s_addc_u32 s3, s31, s1
	s_ashr_i32 s1, s0, 31
	s_lshl_b64 s[0:1], s[0:1], 2
	s_add_u32 s2, s2, s0
	s_mul_i32 s0, s4, 0x60
	s_addc_u32 s3, s3, s1
	s_ashr_i32 s1, s0, 31
	s_lshl_b64 s[0:1], s[0:1], 2
	s_add_u32 s0, s2, s0
	s_addc_u32 s1, s3, s1
	global_store_dword v1, v6, s[0:1]
	global_store_dword v1, v7, s[0:1] offset:64
	global_store_dword v1, v2, s[0:1] offset:128
	;; [unrolled: 1-line block ×5, first 2 shown]
.LBB212_78:
	s_endpgm
.LBB212_79:
	v_mov_b32_e32 v0, 0x190
	v_lshl_add_u32 v0, v44, 2, v0
	ds_read_b32 v0, v0
	s_waitcnt lgkmcnt(0)
	v_add_f32_e32 v6, v6, v0
	s_or_b64 exec, exec, s[2:3]
	s_and_saveexec_b64 s[2:3], vcc
	s_cbranch_execz .LBB212_70
.LBB212_80:
	v_mov_b32_e32 v0, 0x190
	v_lshl_add_u32 v0, v44, 2, v0
	ds_read_b32 v0, v0 offset:64
	s_waitcnt lgkmcnt(0)
	v_add_f32_e32 v7, v7, v0
	s_or_b64 exec, exec, s[2:3]
	s_and_saveexec_b64 s[2:3], vcc
	s_cbranch_execz .LBB212_71
.LBB212_81:
	v_mov_b32_e32 v0, 0x190
	v_lshl_add_u32 v0, v44, 2, v0
	ds_read_b32 v0, v0 offset:128
	s_waitcnt lgkmcnt(0)
	v_add_f32_e32 v2, v2, v0
	s_or_b64 exec, exec, s[2:3]
	s_and_saveexec_b64 s[2:3], vcc
	s_cbranch_execz .LBB212_72
.LBB212_82:
	v_mov_b32_e32 v0, 0x190
	v_lshl_add_u32 v0, v44, 2, v0
	ds_read_b32 v0, v0 offset:192
	s_waitcnt lgkmcnt(0)
	v_add_f32_e32 v3, v3, v0
	s_or_b64 exec, exec, s[2:3]
	s_and_saveexec_b64 s[2:3], vcc
	s_cbranch_execz .LBB212_73
.LBB212_83:
	v_mov_b32_e32 v0, 0x190
	v_lshl_add_u32 v0, v44, 2, v0
	ds_read_b32 v0, v0 offset:256
	s_waitcnt lgkmcnt(0)
	v_add_f32_e32 v4, v4, v0
	s_or_b64 exec, exec, s[2:3]
	s_and_saveexec_b64 s[2:3], vcc
	s_cbranch_execnz .LBB212_74
	s_branch .LBB212_75
	.section	.rodata,"a",@progbits
	.p2align	6, 0x0
	.amdhsa_kernel _ZN4vllm25paged_attention_v2_kernelIfhLi96ELi16ELi128ELNS_18Fp8KVCacheDataTypeE1ELb1ELi512EEEvPfS2_PT_PKS3_PKT0_S9_ifPKiSB_iPKfiiiSD_SD_iiiii
		.amdhsa_group_segment_fixed_size 400
		.amdhsa_private_segment_fixed_size 0
		.amdhsa_kernarg_size 400
		.amdhsa_user_sgpr_count 2
		.amdhsa_user_sgpr_dispatch_ptr 0
		.amdhsa_user_sgpr_queue_ptr 0
		.amdhsa_user_sgpr_kernarg_segment_ptr 1
		.amdhsa_user_sgpr_dispatch_id 0
		.amdhsa_user_sgpr_kernarg_preload_length 0
		.amdhsa_user_sgpr_kernarg_preload_offset 0
		.amdhsa_user_sgpr_private_segment_size 0
		.amdhsa_uses_dynamic_stack 0
		.amdhsa_enable_private_segment 0
		.amdhsa_system_sgpr_workgroup_id_x 1
		.amdhsa_system_sgpr_workgroup_id_y 1
		.amdhsa_system_sgpr_workgroup_id_z 1
		.amdhsa_system_sgpr_workgroup_info 0
		.amdhsa_system_vgpr_workitem_id 0
		.amdhsa_next_free_vgpr 77
		.amdhsa_next_free_sgpr 56
		.amdhsa_accum_offset 80
		.amdhsa_reserve_vcc 1
		.amdhsa_float_round_mode_32 0
		.amdhsa_float_round_mode_16_64 0
		.amdhsa_float_denorm_mode_32 3
		.amdhsa_float_denorm_mode_16_64 3
		.amdhsa_dx10_clamp 1
		.amdhsa_ieee_mode 1
		.amdhsa_fp16_overflow 0
		.amdhsa_tg_split 0
		.amdhsa_exception_fp_ieee_invalid_op 0
		.amdhsa_exception_fp_denorm_src 0
		.amdhsa_exception_fp_ieee_div_zero 0
		.amdhsa_exception_fp_ieee_overflow 0
		.amdhsa_exception_fp_ieee_underflow 0
		.amdhsa_exception_fp_ieee_inexact 0
		.amdhsa_exception_int_div_zero 0
	.end_amdhsa_kernel
	.section	.text._ZN4vllm25paged_attention_v2_kernelIfhLi96ELi16ELi128ELNS_18Fp8KVCacheDataTypeE1ELb1ELi512EEEvPfS2_PT_PKS3_PKT0_S9_ifPKiSB_iPKfiiiSD_SD_iiiii,"axG",@progbits,_ZN4vllm25paged_attention_v2_kernelIfhLi96ELi16ELi128ELNS_18Fp8KVCacheDataTypeE1ELb1ELi512EEEvPfS2_PT_PKS3_PKT0_S9_ifPKiSB_iPKfiiiSD_SD_iiiii,comdat
.Lfunc_end212:
	.size	_ZN4vllm25paged_attention_v2_kernelIfhLi96ELi16ELi128ELNS_18Fp8KVCacheDataTypeE1ELb1ELi512EEEvPfS2_PT_PKS3_PKT0_S9_ifPKiSB_iPKfiiiSD_SD_iiiii, .Lfunc_end212-_ZN4vllm25paged_attention_v2_kernelIfhLi96ELi16ELi128ELNS_18Fp8KVCacheDataTypeE1ELb1ELi512EEEvPfS2_PT_PKS3_PKT0_S9_ifPKiSB_iPKfiiiSD_SD_iiiii
                                        ; -- End function
	.section	.AMDGPU.csdata,"",@progbits
; Kernel info:
; codeLenInByte = 5916
; NumSgprs: 62
; NumVgprs: 77
; NumAgprs: 0
; TotalNumVgprs: 77
; ScratchSize: 0
; MemoryBound: 0
; FloatMode: 240
; IeeeMode: 1
; LDSByteSize: 400 bytes/workgroup (compile time only)
; SGPRBlocks: 7
; VGPRBlocks: 9
; NumSGPRsForWavesPerEU: 62
; NumVGPRsForWavesPerEU: 77
; AccumOffset: 80
; Occupancy: 6
; WaveLimiterHint : 1
; COMPUTE_PGM_RSRC2:SCRATCH_EN: 0
; COMPUTE_PGM_RSRC2:USER_SGPR: 2
; COMPUTE_PGM_RSRC2:TRAP_HANDLER: 0
; COMPUTE_PGM_RSRC2:TGID_X_EN: 1
; COMPUTE_PGM_RSRC2:TGID_Y_EN: 1
; COMPUTE_PGM_RSRC2:TGID_Z_EN: 1
; COMPUTE_PGM_RSRC2:TIDIG_COMP_CNT: 0
; COMPUTE_PGM_RSRC3_GFX90A:ACCUM_OFFSET: 19
; COMPUTE_PGM_RSRC3_GFX90A:TG_SPLIT: 0
	.section	.text._ZN4vllm25paged_attention_v2_kernelIfhLi112ELi16ELi128ELNS_18Fp8KVCacheDataTypeE1ELb1ELi512EEEvPfS2_PT_PKS3_PKT0_S9_ifPKiSB_iPKfiiiSD_SD_iiiii,"axG",@progbits,_ZN4vllm25paged_attention_v2_kernelIfhLi112ELi16ELi128ELNS_18Fp8KVCacheDataTypeE1ELb1ELi512EEEvPfS2_PT_PKS3_PKT0_S9_ifPKiSB_iPKfiiiSD_SD_iiiii,comdat
	.protected	_ZN4vllm25paged_attention_v2_kernelIfhLi112ELi16ELi128ELNS_18Fp8KVCacheDataTypeE1ELb1ELi512EEEvPfS2_PT_PKS3_PKT0_S9_ifPKiSB_iPKfiiiSD_SD_iiiii ; -- Begin function _ZN4vllm25paged_attention_v2_kernelIfhLi112ELi16ELi128ELNS_18Fp8KVCacheDataTypeE1ELb1ELi512EEEvPfS2_PT_PKS3_PKT0_S9_ifPKiSB_iPKfiiiSD_SD_iiiii
	.globl	_ZN4vllm25paged_attention_v2_kernelIfhLi112ELi16ELi128ELNS_18Fp8KVCacheDataTypeE1ELb1ELi512EEEvPfS2_PT_PKS3_PKT0_S9_ifPKiSB_iPKfiiiSD_SD_iiiii
	.p2align	8
	.type	_ZN4vllm25paged_attention_v2_kernelIfhLi112ELi16ELi128ELNS_18Fp8KVCacheDataTypeE1ELb1ELi512EEEvPfS2_PT_PKS3_PKT0_S9_ifPKiSB_iPKfiiiSD_SD_iiiii,@function
_ZN4vllm25paged_attention_v2_kernelIfhLi112ELi16ELi128ELNS_18Fp8KVCacheDataTypeE1ELb1ELi512EEEvPfS2_PT_PKS3_PKT0_S9_ifPKiSB_iPKfiiiSD_SD_iiiii: ; @_ZN4vllm25paged_attention_v2_kernelIfhLi112ELi16ELi128ELNS_18Fp8KVCacheDataTypeE1ELb1ELi512EEEvPfS2_PT_PKS3_PKT0_S9_ifPKiSB_iPKfiiiSD_SD_iiiii
; %bb.0:
	s_load_dwordx2 s[6:7], s[0:1], 0x40
	s_mov_b32 s34, s3
	s_ashr_i32 s35, s3, 31
	s_lshl_b64 s[8:9], s[34:35], 2
	s_waitcnt lgkmcnt(0)
	s_add_u32 s6, s6, s8
	s_addc_u32 s7, s7, s9
	s_load_dword s33, s[6:7], 0x0
	s_lshl_b32 s52, s4, 9
	s_waitcnt lgkmcnt(0)
	s_cmp_ge_i32 s52, s33
	s_cbranch_scc1 .LBB213_81
; %bb.1:
	s_load_dword s5, s[0:1], 0x90
	s_load_dwordx2 s[42:43], s[0:1], 0x30
	s_waitcnt lgkmcnt(0)
	s_abs_i32 s7, s5
	s_abs_i32 s3, s42
	v_cvt_f32_u32_e32 v1, s3
	s_sub_i32 s8, 0, s3
	s_xor_b32 s6, s5, s42
	s_ashr_i32 s6, s6, 31
	v_rcp_iflag_f32_e32 v1, v1
	s_nop 0
	v_mul_f32_e32 v1, 0x4f7ffffe, v1
	v_cvt_u32_f32_e32 v1, v1
	s_nop 0
	v_readfirstlane_b32 s9, v1
	s_mul_i32 s8, s8, s9
	s_mul_hi_u32 s8, s9, s8
	s_add_i32 s9, s9, s8
	s_mul_hi_u32 s8, s7, s9
	s_mul_i32 s9, s8, s3
	s_sub_i32 s7, s7, s9
	s_add_i32 s10, s8, 1
	s_sub_i32 s9, s7, s3
	s_cmp_ge_u32 s7, s3
	s_cselect_b32 s8, s10, s8
	s_cselect_b32 s7, s9, s7
	s_add_i32 s9, s8, 1
	s_cmp_ge_u32 s7, s3
	s_cselect_b32 s3, s9, s8
	s_xor_b32 s3, s3, s6
	s_sub_i32 s12, s3, s6
	s_abs_i32 s8, s12
	v_cvt_f32_u32_e32 v1, s8
	s_load_dwordx2 s[6:7], s[0:1], 0x50
	s_sub_i32 s10, 0, s8
	s_abs_i32 s9, s2
	v_rcp_iflag_f32_e32 v1, v1
	s_mov_b32 s3, 0
	v_mul_f32_e32 v1, 0x4f7ffffe, v1
	v_cvt_u32_f32_e32 v1, v1
	s_nop 0
	v_readfirstlane_b32 s11, v1
	s_mul_i32 s10, s10, s11
	s_mul_hi_u32 s10, s11, s10
	s_add_i32 s11, s11, s10
	s_waitcnt lgkmcnt(0)
	s_cmp_eq_u64 s[6:7], 0
	s_mul_hi_u32 s10, s9, s11
	s_cbranch_scc1 .LBB213_3
; %bb.2:
	s_ashr_i32 s3, s2, 31
	s_lshl_b64 s[14:15], s[2:3], 2
	s_add_u32 s6, s6, s14
	s_addc_u32 s7, s7, s15
	s_load_dword s3, s[6:7], 0x0
.LBB213_3:
	s_ashr_i32 s16, s12, 31
	s_load_dwordx4 s[12:15], s[0:1], 0x58
	v_lshrrev_b32_e32 v50, 2, v0
	s_waitcnt lgkmcnt(0)
	s_movk_i32 s15, 0x70
	s_ashr_i32 s11, s2, 31
	v_and_b32_e32 v14, 3, v0
	s_mul_i32 s28, s2, 0x70
	v_cmp_gt_u32_e32 vcc, s15, v0
	v_lshlrev_b32_e32 v10, 2, v0
	v_lshlrev_b32_e32 v1, 2, v50
	s_and_saveexec_b64 s[6:7], vcc
	s_cbranch_execz .LBB213_5
; %bb.4:
	s_load_dwordx2 s[18:19], s[0:1], 0x18
	s_mul_i32 s20, s34, s12
	s_ashr_i32 s21, s20, 31
	s_lshl_b64 s[20:21], s[20:21], 2
	v_mad_u32_u24 v3, v14, s15, v1
	s_waitcnt lgkmcnt(0)
	s_add_u32 s12, s18, s20
	s_addc_u32 s17, s19, s21
	s_ashr_i32 s29, s28, 31
	s_lshl_b64 s[18:19], s[28:29], 2
	s_add_u32 s18, s12, s18
	s_addc_u32 s19, s17, s19
	global_load_dword v2, v10, s[18:19]
	s_waitcnt vmcnt(0)
	ds_write_b32 v3, v2
.LBB213_5:
	s_or_b64 exec, exec, s[6:7]
	s_mul_i32 s7, s10, s8
	s_sub_i32 s7, s9, s7
	s_xor_b32 s6, s11, s16
	s_add_i32 s9, s10, 1
	s_sub_i32 s11, s7, s8
	s_load_dwordx4 s[16:19], s[0:1], 0x78
	s_cmp_ge_u32 s7, s8
	s_cselect_b32 s9, s9, s10
	s_cselect_b32 s7, s11, s7
	s_add_i32 s10, s9, 1
	s_cmp_ge_u32 s7, s8
	s_cselect_b32 s7, s10, s9
	s_load_dword s10, s[0:1], 0x88
	s_waitcnt lgkmcnt(0)
	s_abs_i32 s29, s19
	v_cvt_f32_u32_e32 v2, s29
	s_xor_b32 s7, s7, s6
	s_sub_i32 s51, s7, s6
	s_sub_i32 s6, 0, s29
	v_rcp_iflag_f32_e32 v2, v2
	s_add_i32 s11, s33, -1
	s_abs_i32 s8, s11
	v_mul_f32_e32 v2, 0x4f7ffffe, v2
	v_cvt_u32_f32_e32 v2, v2
	s_barrier
	v_readfirstlane_b32 s35, v2
	s_mul_i32 s6, s6, s35
	s_mul_hi_u32 s6, s35, s6
	s_add_i32 s35, s35, s6
	s_cmp_lt_i32 s10, 0
	s_mul_hi_u32 s9, s8, s35
	s_cbranch_scc0 .LBB213_7
; %bb.6:
	s_mul_i32 s6, s16, s42
	s_add_i32 s6, s51, s6
	s_mul_i32 s6, s6, s10
	s_sub_i32 s42, 1, s6
	s_mov_b64 s[6:7], 0
	s_branch .LBB213_8
.LBB213_7:
	s_mov_b64 s[6:7], -1
                                        ; implicit-def: $sgpr42
.LBB213_8:
	s_load_dwordx2 s[36:37], s[0:1], 0x38
	s_ashr_i32 s11, s11, 31
	s_andn2_b64 vcc, exec, s[6:7]
	s_ashr_i32 s48, s19, 31
	s_cbranch_vccnz .LBB213_10
; %bb.9:
	s_mul_i32 s6, s5, s16
	s_add_i32 s6, s6, s2
	s_mul_i32 s6, s6, s10
	s_add_i32 s42, s6, 1
.LBB213_10:
	s_load_dwordx2 s[40:41], s[0:1], 0x28
	s_load_dword s6, s[0:1], 0x48
	s_load_dwordx4 s[24:27], s[0:1], 0x0
	s_load_dwordx2 s[30:31], s[0:1], 0x10
	s_load_dword s19, s[0:1], 0x98
	s_load_dwordx4 s[20:23], s[0:1], 0x68
	s_mul_i32 s7, s9, s29
	s_waitcnt lgkmcnt(0)
	s_mul_i32 s38, s34, s6
	s_sub_i32 s7, s8, s7
	s_ashr_i32 s39, s38, 31
	s_xor_b32 s6, s11, s48
	s_add_i32 s8, s9, 1
	s_sub_i32 s10, s7, s29
	s_cmp_ge_u32 s7, s29
	s_cselect_b32 s8, s8, s9
	s_cselect_b32 s7, s10, s7
	s_add_i32 s9, s8, 1
	s_cmp_ge_u32 s7, s29
	s_cselect_b32 s7, s9, s8
	s_xor_b32 s7, s7, s6
	s_sub_i32 s50, s7, s6
	s_add_i32 s6, s33, 15
	s_ashr_i32 s7, s6, 31
	s_lshr_b32 s7, s7, 28
	s_add_i32 s6, s6, s7
	s_lshl_b32 s12, s4, 5
	s_ashr_i32 s16, s6, 4
	s_add_i32 s6, s12, 32
	v_lshrrev_b32_e32 v11, 6, v0
	s_min_i32 s49, s6, s16
	v_or_b32_e32 v16, s12, v11
	v_cmp_gt_i32_e64 s[8:9], s49, v16
	v_mov_b32_e32 v12, 0xff7fffff
	s_mul_i32 s51, s51, s14
	v_ashrrev_i32_e32 v17, 31, v16
	v_lshl_add_u32 v9, v11, 4, s52
	v_mbcnt_lo_u32_b32 v6, -1, 0
	s_and_saveexec_b64 s[14:15], s[8:9]
	s_cbranch_execz .LBB213_20
; %bb.11:
	s_load_dwordx2 s[0:1], s[0:1], 0x20
	s_sub_i32 s53, s50, s17
	s_ashr_i32 s6, s51, 31
	v_bfe_u32 v7, v0, 2, 4
	v_mov_b32_e32 v3, 0
	s_waitcnt lgkmcnt(0)
	s_add_u32 s0, s0, s51
	s_addc_u32 s1, s1, s6
	s_abs_i32 s54, s18
	v_cvt_f32_u32_e32 v2, s54
	v_mov_b32_e32 v15, v3
	v_lshlrev_b32_e32 v12, 2, v7
	v_lshl_or_b32 v12, v11, 6, v12
	v_rcp_iflag_f32_e32 v4, v2
	v_lshlrev_b32_e32 v2, 4, v7
	v_lshl_add_u64 v[2:3], s[0:1], 0, v[2:3]
	s_sub_i32 s0, 0, s54
	v_mul_f32_e32 v4, 0x4f7ffffe, v4
	v_cvt_u32_f32_e32 v4, v4
	v_add_u32_e32 v19, 0x1d0, v12
	v_subrev_u32_e32 v12, s33, v7
	v_mbcnt_hi_u32_b32 v22, -1, v6
	v_mul_lo_u32 v5, s0, v4
	s_lshl_b64 s[0:1], s[38:39], 2
	s_add_u32 s0, s36, s0
	v_mul_hi_u32 v5, v4, v5
	s_addc_u32 s1, s37, s1
	v_add_u32_e32 v20, 1, v12
	v_and_b32_e32 v12, 64, v22
	v_cmp_eq_u32_e32 vcc, 0, v14
	s_mov_b32 s55, s13
	v_mul_u32_u24_e32 v8, 0x70, v14
	v_cmp_neq_f32_e64 s[6:7], s3, 0
	v_add_u32_e32 v13, v4, v5
	v_lshl_add_u64 v[4:5], v[16:17], 2, s[0:1]
	v_lshl_add_u32 v18, v11, 4, s52
	s_mov_b64 s[44:45], 0
	v_mov_b32_e32 v21, 0xff7fffff
	v_add_u32_e32 v23, 64, v12
	v_xor_b32_e32 v24, 2, v22
	v_xor_b32_e32 v25, 1, v22
	v_mov_b32_e32 v12, 0xff7fffff
	v_mov_b32_e32 v26, v16
	s_branch .LBB213_14
.LBB213_12:                             ;   in Loop: Header=BB213_14 Depth=1
	s_or_b64 exec, exec, s[46:47]
.LBB213_13:                             ;   in Loop: Header=BB213_14 Depth=1
	s_or_b64 exec, exec, s[10:11]
	v_add_u32_e32 v26, 2, v26
	v_cmp_le_i32_e64 s[0:1], s49, v26
	v_lshl_add_u64 v[4:5], v[4:5], 0, 8
	v_add_u32_e32 v18, 32, v18
	s_or_b64 s[44:45], s[0:1], s[44:45]
	v_add_u32_e32 v19, 0x80, v19
	s_andn2_b64 exec, exec, s[44:45]
	s_cbranch_execz .LBB213_19
.LBB213_14:                             ; =>This Inner Loop Header: Depth=1
	s_waitcnt lgkmcnt(0)
	v_sub_u32_e32 v28, 0, v18
	v_max_i32_e32 v28, v18, v28
	v_mul_hi_u32 v29, v28, s35
	v_mul_lo_u32 v30, v29, s29
	v_sub_u32_e32 v28, v28, v30
	v_add_u32_e32 v30, 1, v29
	v_cmp_le_u32_e64 s[0:1], s29, v28
	v_ashrrev_i32_e32 v27, 31, v18
	v_xor_b32_e32 v27, s48, v27
	v_cndmask_b32_e64 v29, v29, v30, s[0:1]
	v_subrev_u32_e32 v30, s29, v28
	v_cndmask_b32_e64 v28, v28, v30, s[0:1]
	v_add_u32_e32 v30, 1, v29
	v_cmp_le_u32_e64 s[0:1], s29, v28
	s_nop 1
	v_cndmask_b32_e64 v28, v29, v30, s[0:1]
	v_xor_b32_e32 v28, v28, v27
	v_sub_u32_e32 v27, v28, v27
	v_add_u32_e32 v28, s42, v27
	v_sub_u32_e32 v30, 0, v28
	v_ashrrev_i32_e32 v29, 31, v28
	v_max_i32_e32 v28, v28, v30
	v_mul_hi_u32 v30, v28, v13
	v_mul_lo_u32 v30, v30, s54
	v_sub_u32_e32 v28, v28, v30
	v_subrev_u32_e32 v30, s54, v28
	v_cmp_le_u32_e64 s[0:1], s54, v28
	v_cmp_ge_i32_e64 s[10:11], s53, v27
	s_nop 0
	v_cndmask_b32_e64 v28, v28, v30, s[0:1]
	v_subrev_u32_e32 v30, s54, v28
	v_cmp_le_u32_e64 s[0:1], s54, v28
	s_nop 1
	v_cndmask_b32_e64 v28, v28, v30, s[0:1]
	v_xor_b32_e32 v28, v28, v29
	v_sub_u32_e32 v28, v28, v29
	v_cmp_ne_u32_e64 s[0:1], 0, v28
	s_and_b64 s[0:1], s[0:1], s[10:11]
	s_and_b64 s[46:47], vcc, s[0:1]
	s_and_saveexec_b64 s[10:11], s[46:47]
	s_cbranch_execz .LBB213_16
; %bb.15:                               ;   in Loop: Header=BB213_14 Depth=1
	ds_write_b32 v19, v21
.LBB213_16:                             ;   in Loop: Header=BB213_14 Depth=1
	s_or_b64 exec, exec, s[10:11]
	s_xor_b64 s[0:1], s[0:1], -1
	s_and_saveexec_b64 s[10:11], s[0:1]
	s_cbranch_execz .LBB213_13
; %bb.17:                               ;   in Loop: Header=BB213_14 Depth=1
	global_load_dword v27, v[4:5], off
	s_waitcnt vmcnt(0)
	v_mad_i64_i32 v[28:29], s[0:1], v27, s55, v[2:3]
	v_lshl_add_u64 v[28:29], v[28:29], 0, v[14:15]
	global_load_ubyte v27, v[28:29], off
	global_load_ubyte v48, v[28:29], off offset:4
	global_load_ubyte v49, v[28:29], off offset:8
	;; [unrolled: 1-line block ×27, first 2 shown]
	ds_read_b128 v[28:31], v8
	ds_read_b128 v[32:35], v8 offset:16
	ds_read_b128 v[36:39], v8 offset:32
	;; [unrolled: 1-line block ×3, first 2 shown]
	s_load_dword s46, s[20:21], 0x0
	ds_read_b128 v[44:47], v8 offset:64
	ds_read_b128 v[52:55], v8 offset:80
	;; [unrolled: 1-line block ×3, first 2 shown]
	v_cmp_lt_i32_e64 s[0:1], v24, v23
	s_waitcnt vmcnt(27)
	v_cvt_f32_fp8_sdwa v27, v27 src0_sel:BYTE_0
	s_waitcnt vmcnt(26)
	v_cvt_f32_fp8_sdwa v48, v48 src0_sel:BYTE_0
	;; [unrolled: 2-line block ×5, first 2 shown]
	s_waitcnt lgkmcnt(0)
	v_mul_f32_e32 v48, s46, v48
	s_waitcnt vmcnt(22)
	v_cvt_f32_fp8_sdwa v61, v61 src0_sel:BYTE_0
	v_mul_f32_e32 v27, s46, v27
	v_mul_f32_e32 v29, v29, v48
	s_waitcnt vmcnt(21)
	v_cvt_f32_fp8_sdwa v62, v62 src0_sel:BYTE_0
	v_mul_f32_e32 v49, s46, v49
	v_fmac_f32_e32 v29, v28, v27
	s_waitcnt vmcnt(20)
	v_cvt_f32_fp8_sdwa v63, v63 src0_sel:BYTE_0
	v_mul_f32_e32 v51, s46, v51
	v_fmac_f32_e32 v29, v30, v49
	;; [unrolled: 4-line block ×22, first 2 shown]
	v_mul_f32_e32 v80, s46, v80
	v_fmac_f32_e32 v29, v55, v79
	v_mul_f32_e32 v81, s46, v81
	v_fmac_f32_e32 v29, v56, v80
	;; [unrolled: 2-line block ×3, first 2 shown]
	v_cndmask_b32_e64 v84, v22, v24, s[0:1]
	v_mul_f32_e32 v83, s46, v83
	v_fmac_f32_e32 v29, v58, v82
	v_lshlrev_b32_e32 v27, 2, v84
	v_fmac_f32_e32 v29, v59, v83
	ds_bpermute_b32 v27, v27, v29
	v_cmp_lt_i32_e64 s[0:1], v25, v23
	s_waitcnt lgkmcnt(0)
	v_add_f32_e32 v27, v29, v27
	v_cndmask_b32_e64 v28, v22, v25, s[0:1]
	v_lshlrev_b32_e32 v28, 2, v28
	ds_bpermute_b32 v28, v28, v27
	s_and_saveexec_b64 s[46:47], vcc
	s_cbranch_execz .LBB213_12
; %bb.18:                               ;   in Loop: Header=BB213_14 Depth=1
	v_add_u32_e32 v29, v20, v18
	v_cvt_f32_i32_e32 v29, v29
	s_waitcnt lgkmcnt(0)
	v_add_f32_e32 v27, v27, v28
	v_add_u32_e32 v30, v7, v18
	v_cmp_gt_i32_e64 s[0:1], s33, v30
	v_mul_f32_e32 v28, s3, v29
	v_cndmask_b32_e64 v28, 0, v28, s[6:7]
	v_fmac_f32_e32 v28, s43, v27
	v_cndmask_b32_e64 v27, 0, v28, s[0:1]
	ds_write_b32 v19, v27
	v_max_f32_e32 v27, v12, v12
	v_max_f32_e32 v27, v27, v28
	v_cndmask_b32_e64 v12, v12, v27, s[0:1]
	s_branch .LBB213_12
.LBB213_19:
	s_or_b64 exec, exec, s[44:45]
.LBB213_20:
	s_or_b64 exec, exec, s[14:15]
	v_mbcnt_hi_u32_b32 v2, -1, v6
	v_and_b32_e32 v3, 64, v2
	v_add_u32_e32 v3, 64, v3
	v_xor_b32_e32 v4, 32, v2
	v_cmp_lt_i32_e32 vcc, v4, v3
	v_xor_b32_e32 v7, 16, v2
	v_max_f32_e32 v6, v12, v12
	v_cndmask_b32_e32 v4, v2, v4, vcc
	v_lshlrev_b32_e32 v5, 2, v4
	ds_bpermute_b32 v4, v5, v12
	v_cmp_lt_i32_e32 vcc, v7, v3
	v_xor_b32_e32 v8, 8, v2
	v_and_b32_e32 v15, 63, v0
	s_waitcnt lgkmcnt(0)
	v_max_f32_e32 v4, v4, v4
	v_max_f32_e32 v4, v6, v4
	v_cndmask_b32_e32 v6, v2, v7, vcc
	v_lshlrev_b32_e32 v6, 2, v6
	ds_bpermute_b32 v7, v6, v4
	v_cmp_lt_i32_e32 vcc, v8, v3
	s_waitcnt lgkmcnt(0)
	v_max_f32_e32 v7, v7, v7
	v_max_f32_e32 v4, v4, v7
	v_cndmask_b32_e32 v7, v2, v8, vcc
	v_lshlrev_b32_e32 v12, 2, v7
	ds_bpermute_b32 v7, v12, v4
	v_xor_b32_e32 v8, 4, v2
	v_cmp_lt_i32_e32 vcc, v8, v3
	s_waitcnt lgkmcnt(0)
	v_max_f32_e32 v7, v7, v7
	v_max_f32_e32 v4, v4, v7
	v_cndmask_b32_e32 v7, v2, v8, vcc
	v_lshlrev_b32_e32 v13, 2, v7
	ds_bpermute_b32 v8, v13, v4
	v_cmp_eq_u32_e32 vcc, 0, v15
	v_lshlrev_b32_e32 v7, 2, v11
	s_and_saveexec_b64 s[0:1], vcc
	s_cbranch_execz .LBB213_22
; %bb.21:
	s_waitcnt lgkmcnt(0)
	v_max_f32_e32 v8, v8, v8
	v_max_f32_e32 v4, v4, v4
	;; [unrolled: 1-line block ×3, first 2 shown]
	ds_write_b32 v7, v4 offset:448
.LBB213_22:
	s_or_b64 exec, exec, s[0:1]
	v_cmp_gt_u32_e64 s[0:1], 2, v15
	v_mov_b32_e32 v4, 0xff7fffff
	s_waitcnt lgkmcnt(0)
	v_lshlrev_b32_e32 v8, 2, v15
	s_barrier
	s_and_saveexec_b64 s[6:7], s[0:1]
	s_cbranch_execz .LBB213_24
; %bb.23:
	ds_read_b32 v4, v8 offset:448
.LBB213_24:
	s_or_b64 exec, exec, s[6:7]
	v_xor_b32_e32 v18, 1, v2
	v_cmp_lt_i32_e64 s[6:7], v18, v3
	s_sub_i32 s3, s49, s12
	s_lshl_b32 s3, s3, 4
	v_cndmask_b32_e64 v18, v2, v18, s[6:7]
	v_lshlrev_b32_e32 v51, 2, v18
	s_waitcnt lgkmcnt(0)
	ds_bpermute_b32 v18, v51, v4
	v_max_f32_e32 v4, v4, v4
	s_add_i32 s3, s3, s52
	s_min_i32 s12, s3, s33
	s_sub_i32 s3, s12, s52
	s_waitcnt lgkmcnt(0)
	v_max_f32_e32 v18, v18, v18
	v_max_f32_e32 v4, v4, v18
	v_lshlrev_b32_e32 v18, 2, v2
	v_and_b32_e32 v18, 0x100, v18
	ds_bpermute_b32 v4, v18, v4
	v_cmp_gt_i32_e64 s[6:7], s3, v0
	v_mov_b32_e32 v19, 0
	s_and_saveexec_b64 s[14:15], s[6:7]
	s_cbranch_execz .LBB213_28
; %bb.25:
	v_mov_b32_e32 v19, 0x1d0
	v_lshl_add_u32 v20, v0, 2, v19
	s_mov_b64 s[20:21], 0
	v_mov_b32_e32 v19, 0
	v_mov_b32_e32 v21, v0
.LBB213_26:                             ; =>This Inner Loop Header: Depth=1
	ds_read_b32 v22, v20
	v_add_u32_e32 v21, 0x80, v21
	v_cmp_le_i32_e64 s[10:11], s3, v21
	s_or_b64 s[20:21], s[10:11], s[20:21]
	s_waitcnt lgkmcnt(0)
	v_sub_f32_e32 v22, v22, v4
	v_mul_f32_e32 v22, 0x3fb8aa3b, v22
	v_exp_f32_e32 v22, v22
	ds_write_b32 v20, v22
	v_add_f32_e32 v19, v19, v22
	v_add_u32_e32 v20, 0x200, v20
	s_andn2_b64 exec, exec, s[20:21]
	s_cbranch_execnz .LBB213_26
; %bb.27:
	s_or_b64 exec, exec, s[20:21]
.LBB213_28:
	s_or_b64 exec, exec, s[14:15]
	ds_bpermute_b32 v5, v5, v19
	s_waitcnt lgkmcnt(0)
	v_add_f32_e32 v5, v19, v5
	ds_bpermute_b32 v6, v6, v5
	s_waitcnt lgkmcnt(0)
	v_add_f32_e32 v5, v5, v6
	ds_bpermute_b32 v6, v12, v5
	v_xor_b32_e32 v12, 2, v2
	v_cmp_lt_i32_e64 s[10:11], v12, v3
	s_waitcnt lgkmcnt(0)
	v_add_f32_e32 v5, v5, v6
	ds_bpermute_b32 v6, v13, v5
	v_cndmask_b32_e64 v2, v2, v12, s[10:11]
	v_lshlrev_b32_e32 v52, 2, v2
	s_waitcnt lgkmcnt(0)
	v_add_f32_e32 v3, v5, v6
	ds_bpermute_b32 v2, v52, v3
	s_waitcnt lgkmcnt(0)
	v_add_f32_e32 v2, v3, v2
	ds_bpermute_b32 v3, v51, v2
	s_waitcnt lgkmcnt(0)
	v_add_f32_e32 v2, v2, v3
	s_and_saveexec_b64 s[10:11], vcc
	s_cbranch_execz .LBB213_30
; %bb.29:
	ds_write_b32 v7, v2 offset:456
.LBB213_30:
	s_or_b64 exec, exec, s[10:11]
	s_waitcnt lgkmcnt(0)
	s_barrier
	s_and_saveexec_b64 s[10:11], s[0:1]
	s_cbranch_execz .LBB213_32
; %bb.31:
	ds_read_b32 v2, v8 offset:456
.LBB213_32:
	s_or_b64 exec, exec, s[10:11]
	s_waitcnt lgkmcnt(0)
	ds_bpermute_b32 v3, v51, v2
	s_waitcnt lgkmcnt(0)
	v_add_f32_e32 v2, v2, v3
	ds_bpermute_b32 v5, v18, v2
	s_and_saveexec_b64 s[0:1], s[6:7]
	s_cbranch_execz .LBB213_45
; %bb.33:
	s_waitcnt lgkmcnt(0)
	v_add_f32_e32 v2, 0x358637bd, v5
	v_div_scale_f32 v3, s[6:7], v2, v2, 1.0
	v_rcp_f32_e32 v6, v3
	v_div_scale_f32 v7, vcc, 1.0, v2, 1.0
	s_movk_i32 s6, 0x7f
	v_fma_f32 v8, -v3, v6, 1.0
	v_fmac_f32_e32 v6, v8, v6
	v_mul_f32_e32 v8, v7, v6
	v_fma_f32 v12, -v3, v8, v7
	v_fmac_f32_e32 v8, v12, v6
	v_fma_f32 v3, -v3, v8, v7
	v_div_fmas_f32 v3, v3, v6, v8
	v_div_fixup_f32 v2, v3, v2, 1.0
	v_xad_u32 v3, v0, -1, s12
	v_subrev_u32_e32 v6, s52, v3
	v_cmp_lt_u32_e32 vcc, s6, v6
	s_mov_b64 s[10:11], -1
	v_mov_b32_e32 v3, v0
	s_and_saveexec_b64 s[6:7], vcc
	s_cbranch_execz .LBB213_42
; %bb.34:
	v_lshrrev_b32_e32 v6, 7, v6
	v_add_u32_e32 v8, -1, v6
	v_lshrrev_b32_e32 v7, 1, v8
	v_mov_b32_e32 v3, v2
	v_add_u32_e32 v7, 1, v7
	v_cmp_lt_u32_e32 vcc, 13, v8
	v_mov_b32_e32 v13, 0
	s_and_saveexec_b64 s[10:11], vcc
	s_cbranch_execz .LBB213_38
; %bb.35:
	v_mov_b32_e32 v12, 0x1d0
	v_and_b32_e32 v8, -8, v7
	v_lshl_add_u32 v12, v0, 2, v12
	s_mov_b32 s12, 0
	s_mov_b64 s[14:15], 0
.LBB213_36:                             ; =>This Inner Loop Header: Depth=1
	ds_read2st64_b32 v[18:19], v12 offset1:2
	ds_read2st64_b32 v[20:21], v12 offset0:4 offset1:6
	ds_read2st64_b32 v[22:23], v12 offset0:8 offset1:10
	;; [unrolled: 1-line block ×3, first 2 shown]
	v_add_u32_e32 v8, -8, v8
	s_waitcnt lgkmcnt(3)
	v_pk_mul_f32 v[18:19], v[2:3], v[18:19]
	s_waitcnt lgkmcnt(2)
	v_pk_mul_f32 v[20:21], v[2:3], v[20:21]
	ds_write2st64_b32 v12, v18, v19 offset1:2
	ds_write2st64_b32 v12, v20, v21 offset0:4 offset1:6
	ds_read2st64_b32 v[20:21], v12 offset0:16 offset1:18
	s_waitcnt lgkmcnt(4)
	v_pk_mul_f32 v[18:19], v[2:3], v[22:23]
	ds_write2st64_b32 v12, v18, v19 offset0:8 offset1:10
	s_waitcnt lgkmcnt(4)
	v_pk_mul_f32 v[18:19], v[2:3], v[24:25]
	ds_write2st64_b32 v12, v18, v19 offset0:12 offset1:14
	ds_read2st64_b32 v[18:19], v12 offset0:20 offset1:22
	s_waitcnt lgkmcnt(3)
	v_pk_mul_f32 v[20:21], v[2:3], v[20:21]
	ds_read2st64_b32 v[22:23], v12 offset0:24 offset1:26
	ds_write2st64_b32 v12, v20, v21 offset0:16 offset1:18
	ds_read2st64_b32 v[20:21], v12 offset0:28 offset1:30
	s_waitcnt lgkmcnt(3)
	v_pk_mul_f32 v[18:19], v[2:3], v[18:19]
	ds_write2st64_b32 v12, v18, v19 offset0:20 offset1:22
	s_waitcnt lgkmcnt(3)
	v_pk_mul_f32 v[18:19], v[2:3], v[22:23]
	ds_write2st64_b32 v12, v18, v19 offset0:24 offset1:26
	s_waitcnt lgkmcnt(2)
	v_pk_mul_f32 v[18:19], v[2:3], v[20:21]
	s_add_i32 s12, s12, 16
	v_cmp_eq_u32_e32 vcc, 0, v8
	ds_write2st64_b32 v12, v18, v19 offset0:28 offset1:30
	v_add_u32_e32 v12, 0x2000, v12
	s_or_b64 s[14:15], vcc, s[14:15]
	v_mov_b32_e32 v13, s12
	s_andn2_b64 exec, exec, s[14:15]
	s_cbranch_execnz .LBB213_36
; %bb.37:
	s_or_b64 exec, exec, s[14:15]
.LBB213_38:
	s_or_b64 exec, exec, s[10:11]
	v_and_b32_e32 v7, 7, v7
	v_cmp_ne_u32_e32 vcc, 0, v7
	s_and_saveexec_b64 s[10:11], vcc
	s_cbranch_execz .LBB213_41
; %bb.39:
	v_lshlrev_b32_e32 v8, 9, v13
	s_movk_i32 s12, 0x1d0
	v_add3_u32 v8, v8, v10, s12
	s_mov_b64 s[14:15], 0
.LBB213_40:                             ; =>This Inner Loop Header: Depth=1
	ds_read2st64_b32 v[12:13], v8 offset1:2
	v_add_u32_e32 v7, -1, v7
	v_cmp_eq_u32_e32 vcc, 0, v7
	s_or_b64 s[14:15], vcc, s[14:15]
	s_waitcnt lgkmcnt(0)
	v_pk_mul_f32 v[12:13], v[2:3], v[12:13]
	ds_write2st64_b32 v8, v12, v13 offset1:2
	v_add_u32_e32 v8, 0x400, v8
	s_andn2_b64 exec, exec, s[14:15]
	s_cbranch_execnz .LBB213_40
.LBB213_41:
	s_or_b64 exec, exec, s[10:11]
	v_add_u32_e32 v6, 1, v6
	v_and_b32_e32 v7, 0x3fffffe, v6
	v_cmp_ne_u32_e32 vcc, v6, v7
	v_lshl_add_u32 v3, v7, 7, v0
	s_orn2_b64 s[10:11], vcc, exec
.LBB213_42:
	s_or_b64 exec, exec, s[6:7]
	s_and_b64 exec, exec, s[10:11]
	s_cbranch_execz .LBB213_45
; %bb.43:
	v_mov_b32_e32 v6, 0x1d0
	v_lshl_add_u32 v6, v3, 2, v6
	s_mov_b64 s[6:7], 0
.LBB213_44:                             ; =>This Inner Loop Header: Depth=1
	ds_read_b32 v7, v6
	v_add_u32_e32 v3, 0x80, v3
	v_cmp_le_i32_e32 vcc, s3, v3
	s_or_b64 s[6:7], vcc, s[6:7]
	s_waitcnt lgkmcnt(0)
	v_mul_f32_e32 v7, v2, v7
	ds_write_b32 v6, v7
	v_add_u32_e32 v6, 0x200, v6
	s_andn2_b64 exec, exec, s[6:7]
	s_cbranch_execnz .LBB213_44
.LBB213_45:
	s_or_b64 exec, exec, s[0:1]
	s_mul_i32 s0, s19, s34
	v_cmp_eq_u32_e32 vcc, 0, v0
	s_mul_i32 s6, s0, s5
	s_waitcnt lgkmcnt(0)
	s_barrier
	s_and_saveexec_b64 s[0:1], vcc
	s_cbranch_execz .LBB213_47
; %bb.46:
	s_ashr_i32 s7, s6, 31
	s_lshl_b64 s[10:11], s[6:7], 2
	s_add_u32 s5, s26, s10
	s_mul_i32 s2, s19, s2
	s_addc_u32 s7, s27, s11
	s_ashr_i32 s3, s2, 31
	s_lshl_b64 s[2:3], s[2:3], 2
	s_add_u32 s12, s5, s2
	s_addc_u32 s7, s7, s3
	s_ashr_i32 s5, s4, 31
	s_lshl_b64 s[14:15], s[4:5], 2
	s_add_u32 s20, s12, s14
	s_addc_u32 s21, s7, s15
	s_add_u32 s5, s24, s10
	s_addc_u32 s7, s25, s11
	;; [unrolled: 2-line block ×3, first 2 shown]
	s_add_u32 s2, s2, s14
	v_mov_b32_e32 v2, 0
	s_addc_u32 s3, s3, s15
	global_store_dword v2, v4, s[20:21]
	global_store_dword v2, v5, s[2:3]
.LBB213_47:
	s_or_b64 exec, exec, s[0:1]
	s_mov_b32 s12, 0
	v_mov_b32_e32 v8, 0
	v_mov_b32_e32 v7, 0
	;; [unrolled: 1-line block ×7, first 2 shown]
	s_and_saveexec_b64 s[2:3], s[8:9]
	s_cbranch_execz .LBB213_67
; %bb.48:
	s_sub_i32 s5, s50, s17
	s_ashr_i32 s1, s51, 31
	s_add_u32 s0, s40, s51
	s_addc_u32 s1, s41, s1
	s_abs_i32 s7, s18
	v_cvt_f32_u32_e32 v2, s7
	v_mov_b32_e32 v3, 0
	s_sub_i32 s8, 0, s7
	s_add_i32 s21, s16, -1
	v_rcp_iflag_f32_e32 v4, v2
	v_and_b32_e32 v2, 0xfc, v10
	v_lshl_add_u64 v[18:19], s[0:1], 0, v[2:3]
	s_lshl_b64 s[0:1], s[38:39], 2
	v_mul_f32_e32 v4, 0x4f7ffffe, v4
	v_cvt_u32_f32_e32 v4, v4
	s_add_u32 s0, s36, s0
	s_addc_u32 s1, s37, s1
	s_mov_b32 s20, s13
	v_mul_lo_u32 v2, s8, v4
	v_mul_hi_u32 v2, v4, v2
	v_add_u32_e32 v54, v4, v2
	v_lshlrev_b32_e32 v2, 4, v14
	v_lshl_or_b32 v2, v11, 6, v2
	v_lshl_add_u64 v[20:21], v[16:17], 2, s[0:1]
	v_add_u32_e32 v17, 0x1d0, v2
	s_mov_b32 s13, s12
	s_mov_b32 s14, s12
	;; [unrolled: 1-line block ×6, first 2 shown]
	v_mov_b32_e32 v2, s12
	v_and_b32_e32 v53, 12, v10
	s_mov_b64 s[8:9], 0
	v_mov_b32_e32 v3, s13
	v_mov_b32_e32 v4, s14
	;; [unrolled: 1-line block ×6, first 2 shown]
	s_branch .LBB213_51
.LBB213_49:                             ;   in Loop: Header=BB213_51 Depth=1
	s_or_b64 exec, exec, s[0:1]
	v_mul_f32_e32 v25, v11, v25
	v_fmac_f32_e32 v25, v10, v24
	v_fmac_f32_e32 v25, v12, v22
	v_mul_f32_e32 v22, v11, v31
	v_fmac_f32_e32 v22, v10, v30
	v_fmac_f32_e32 v22, v12, v28
	v_fmac_f32_e32 v22, v13, v29
	v_add_f32_e32 v3, v3, v22
	v_mul_f32_e32 v22, v11, v35
	v_fmac_f32_e32 v22, v10, v34
	v_fmac_f32_e32 v22, v12, v32
	v_fmac_f32_e32 v22, v13, v33
	v_add_f32_e32 v4, v4, v22
	;; [unrolled: 5-line block ×4, first 2 shown]
	v_mul_f32_e32 v22, v11, v47
	v_mul_f32_e32 v11, v11, v49
	v_fmac_f32_e32 v22, v10, v46
	v_fmac_f32_e32 v11, v10, v48
	;; [unrolled: 1-line block ×7, first 2 shown]
	v_add_f32_e32 v2, v2, v25
	v_add_f32_e32 v7, v7, v22
	;; [unrolled: 1-line block ×3, first 2 shown]
.LBB213_50:                             ;   in Loop: Header=BB213_51 Depth=1
	s_or_b64 exec, exec, s[10:11]
	v_add_u32_e32 v16, 2, v16
	v_cmp_le_i32_e32 vcc, s49, v16
	v_lshl_add_u64 v[20:21], v[20:21], 0, 8
	v_add_u32_e32 v9, 32, v9
	s_or_b64 s[8:9], vcc, s[8:9]
	v_add_u32_e32 v17, 0x80, v17
	s_andn2_b64 exec, exec, s[8:9]
	s_cbranch_execz .LBB213_66
.LBB213_51:                             ; =>This Inner Loop Header: Depth=1
	v_sub_u32_e32 v11, 0, v9
	v_max_i32_e32 v11, v9, v11
	v_mul_hi_u32 v12, v11, s35
	v_mul_lo_u32 v13, v12, s29
	v_sub_u32_e32 v11, v11, v13
	v_add_u32_e32 v13, 1, v12
	v_cmp_le_u32_e32 vcc, s29, v11
	v_ashrrev_i32_e32 v10, 31, v9
	v_xor_b32_e32 v10, s48, v10
	v_cndmask_b32_e32 v12, v12, v13, vcc
	v_subrev_u32_e32 v13, s29, v11
	v_cndmask_b32_e32 v11, v11, v13, vcc
	v_add_u32_e32 v13, 1, v12
	v_cmp_le_u32_e32 vcc, s29, v11
	s_nop 1
	v_cndmask_b32_e32 v11, v12, v13, vcc
	v_xor_b32_e32 v11, v11, v10
	v_sub_u32_e32 v10, v11, v10
	v_add_u32_e32 v11, s42, v10
	v_sub_u32_e32 v13, 0, v11
	v_ashrrev_i32_e32 v12, 31, v11
	v_max_i32_e32 v11, v11, v13
	v_mul_hi_u32 v13, v11, v54
	v_mul_lo_u32 v13, v13, s7
	v_sub_u32_e32 v11, v11, v13
	v_subrev_u32_e32 v13, s7, v11
	v_cmp_le_u32_e32 vcc, s7, v11
	v_cmp_lt_i32_e64 s[0:1], s5, v10
	s_nop 0
	v_cndmask_b32_e32 v11, v11, v13, vcc
	v_subrev_u32_e32 v13, s7, v11
	v_cmp_le_u32_e32 vcc, s7, v11
	s_nop 1
	v_cndmask_b32_e32 v11, v11, v13, vcc
	v_xor_b32_e32 v11, v11, v12
	v_sub_u32_e32 v11, v11, v12
	v_cmp_eq_u32_e32 vcc, 0, v11
	s_or_b64 s[0:1], vcc, s[0:1]
	s_and_saveexec_b64 s[10:11], s[0:1]
	s_cbranch_execz .LBB213_50
; %bb.52:                               ;   in Loop: Header=BB213_51 Depth=1
	global_load_dword v10, v[20:21], off
	s_load_dword s12, s[22:23], 0x0
	v_add_u32_e32 v55, v53, v9
	v_cmp_eq_u32_e32 vcc, s21, v16
	v_add_u32_e32 v57, 1, v55
	v_add_u32_e32 v56, 2, v55
	;; [unrolled: 1-line block ×3, first 2 shown]
	s_waitcnt vmcnt(0)
	v_mad_i64_i32 v[26:27], s[0:1], v10, s20, v[18:19]
	global_load_dword v22, v[26:27], off
	ds_read_b128 v[10:13], v17
	s_waitcnt vmcnt(0)
	v_and_b32_e32 v23, 0xffff, v22
	v_lshrrev_b32_e32 v24, 16, v22
	v_cvt_pk_f32_fp8_e32 v[22:23], v23
	v_cvt_pk_f32_fp8_e32 v[28:29], v24
	s_waitcnt lgkmcnt(0)
	v_pk_mul_f32 v[24:25], s[12:13], v[22:23] op_sel_hi:[0,1]
	v_pk_mul_f32 v[22:23], s[12:13], v[28:29] op_sel_hi:[0,1]
	s_and_saveexec_b64 s[14:15], vcc
; %bb.53:                               ;   in Loop: Header=BB213_51 Depth=1
	v_cmp_gt_i32_e64 s[0:1], s33, v55
	s_nop 1
	v_cndmask_b32_e64 v24, 0, v24, s[0:1]
	v_cmp_gt_i32_e64 s[0:1], s33, v57
	s_nop 1
	v_cndmask_b32_e64 v25, 0, v25, s[0:1]
	v_cmp_gt_i32_e64 s[0:1], s33, v56
	s_nop 1
	v_cndmask_b32_e64 v22, 0, v22, s[0:1]
	v_cmp_gt_i32_e64 s[0:1], s33, v58
	s_nop 1
	v_cndmask_b32_e64 v23, 0, v23, s[0:1]
; %bb.54:                               ;   in Loop: Header=BB213_51 Depth=1
	s_or_b64 exec, exec, s[14:15]
	global_load_dword v28, v[26:27], off offset:256
	s_mov_b32 s13, s12
	s_waitcnt vmcnt(0)
	v_and_b32_e32 v29, 0xffff, v28
	v_lshrrev_b32_e32 v30, 16, v28
	v_cvt_pk_f32_fp8_e32 v[28:29], v29
	v_cvt_pk_f32_fp8_e32 v[32:33], v30
	v_pk_mul_f32 v[30:31], s[12:13], v[28:29]
	v_pk_mul_f32 v[28:29], s[12:13], v[32:33]
	s_and_saveexec_b64 s[14:15], vcc
; %bb.55:                               ;   in Loop: Header=BB213_51 Depth=1
	v_cmp_gt_i32_e64 s[0:1], s33, v55
	s_nop 1
	v_cndmask_b32_e64 v30, 0, v30, s[0:1]
	v_cmp_gt_i32_e64 s[0:1], s33, v57
	s_nop 1
	v_cndmask_b32_e64 v31, 0, v31, s[0:1]
	v_cmp_gt_i32_e64 s[0:1], s33, v56
	s_nop 1
	v_cndmask_b32_e64 v28, 0, v28, s[0:1]
	v_cmp_gt_i32_e64 s[0:1], s33, v58
	s_nop 1
	v_cndmask_b32_e64 v29, 0, v29, s[0:1]
; %bb.56:                               ;   in Loop: Header=BB213_51 Depth=1
	s_or_b64 exec, exec, s[14:15]
	global_load_dword v32, v[26:27], off offset:512
	s_waitcnt vmcnt(0)
	v_and_b32_e32 v33, 0xffff, v32
	v_lshrrev_b32_e32 v34, 16, v32
	v_cvt_pk_f32_fp8_e32 v[32:33], v33
	v_cvt_pk_f32_fp8_e32 v[36:37], v34
	v_pk_mul_f32 v[34:35], s[12:13], v[32:33]
	v_pk_mul_f32 v[32:33], s[12:13], v[36:37]
	s_and_saveexec_b64 s[14:15], vcc
; %bb.57:                               ;   in Loop: Header=BB213_51 Depth=1
	v_cmp_gt_i32_e64 s[0:1], s33, v55
	s_nop 1
	v_cndmask_b32_e64 v34, 0, v34, s[0:1]
	v_cmp_gt_i32_e64 s[0:1], s33, v57
	s_nop 1
	v_cndmask_b32_e64 v35, 0, v35, s[0:1]
	v_cmp_gt_i32_e64 s[0:1], s33, v56
	s_nop 1
	v_cndmask_b32_e64 v32, 0, v32, s[0:1]
	v_cmp_gt_i32_e64 s[0:1], s33, v58
	s_nop 1
	v_cndmask_b32_e64 v33, 0, v33, s[0:1]
; %bb.58:                               ;   in Loop: Header=BB213_51 Depth=1
	s_or_b64 exec, exec, s[14:15]
	global_load_dword v36, v[26:27], off offset:768
	;; [unrolled: 24-line block ×5, first 2 shown]
	s_waitcnt vmcnt(0)
	v_and_b32_e32 v27, 0xffff, v26
	v_lshrrev_b32_e32 v48, 16, v26
	v_cvt_pk_f32_fp8_e32 v[26:27], v27
	v_cvt_pk_f32_fp8_e32 v[60:61], v48
	v_pk_mul_f32 v[48:49], s[12:13], v[26:27]
	v_pk_mul_f32 v[26:27], s[12:13], v[60:61]
	s_and_saveexec_b64 s[0:1], vcc
	s_cbranch_execz .LBB213_49
; %bb.65:                               ;   in Loop: Header=BB213_51 Depth=1
	v_cmp_gt_i32_e32 vcc, s33, v55
	s_nop 1
	v_cndmask_b32_e32 v48, 0, v48, vcc
	v_cmp_gt_i32_e32 vcc, s33, v57
	s_nop 1
	v_cndmask_b32_e32 v49, 0, v49, vcc
	;; [unrolled: 3-line block ×4, first 2 shown]
	s_branch .LBB213_49
.LBB213_66:
	s_or_b64 exec, exec, s[8:9]
.LBB213_67:
	s_or_b64 exec, exec, s[2:3]
	ds_bpermute_b32 v10, v52, v2
	ds_bpermute_b32 v11, v52, v3
	;; [unrolled: 1-line block ×7, first 2 shown]
	s_waitcnt lgkmcnt(5)
	v_pk_add_f32 v[2:3], v[2:3], v[10:11]
	s_waitcnt lgkmcnt(3)
	v_pk_add_f32 v[6:7], v[6:7], v[16:17]
	ds_bpermute_b32 v10, v51, v2
	ds_bpermute_b32 v11, v51, v3
	s_waitcnt lgkmcnt(3)
	v_pk_add_f32 v[4:5], v[4:5], v[12:13]
	ds_bpermute_b32 v16, v51, v6
	ds_bpermute_b32 v17, v51, v7
	s_waitcnt lgkmcnt(4)
	v_add_f32_e32 v18, v8, v9
	ds_bpermute_b32 v12, v51, v4
	ds_bpermute_b32 v13, v51, v5
	ds_bpermute_b32 v19, v51, v18
	s_waitcnt lgkmcnt(5)
	v_pk_add_f32 v[8:9], v[2:3], v[10:11]
	s_waitcnt lgkmcnt(3)
	v_pk_add_f32 v[2:3], v[6:7], v[16:17]
	v_and_b32_e32 v7, 0x3c3, v0
	s_waitcnt lgkmcnt(1)
	v_pk_add_f32 v[4:5], v[4:5], v[12:13]
	s_waitcnt lgkmcnt(0)
	v_add_f32_e32 v6, v18, v19
	v_cmp_eq_u32_e32 vcc, 64, v7
	s_barrier
	s_and_saveexec_b64 s[0:1], vcc
	s_cbranch_execz .LBB213_69
; %bb.68:
	v_add_u32_e32 v10, 0x1d0, v15
	ds_write2_b32 v10, v8, v9 offset1:16
	ds_write2_b32 v10, v4, v5 offset0:32 offset1:48
	ds_write2_b32 v10, v2, v3 offset0:64 offset1:80
	ds_write_b32 v10, v6 offset:384
.LBB213_69:
	s_or_b64 exec, exec, s[0:1]
	v_cmp_gt_u32_e32 vcc, 64, v0
	s_waitcnt lgkmcnt(0)
	s_barrier
	s_and_saveexec_b64 s[0:1], vcc
	s_cbranch_execz .LBB213_79
; %bb.70:
	v_cmp_eq_u32_e32 vcc, 0, v14
	s_and_saveexec_b64 s[2:3], vcc
	s_cbranch_execnz .LBB213_82
; %bb.71:
	s_or_b64 exec, exec, s[2:3]
	s_and_saveexec_b64 s[2:3], vcc
	s_cbranch_execnz .LBB213_83
.LBB213_72:
	s_or_b64 exec, exec, s[2:3]
	s_and_saveexec_b64 s[2:3], vcc
	s_cbranch_execnz .LBB213_84
.LBB213_73:
	s_or_b64 exec, exec, s[2:3]
	s_and_saveexec_b64 s[2:3], vcc
	s_cbranch_execnz .LBB213_85
.LBB213_74:
	s_or_b64 exec, exec, s[2:3]
	s_and_saveexec_b64 s[2:3], vcc
	s_cbranch_execnz .LBB213_86
.LBB213_75:
	s_or_b64 exec, exec, s[2:3]
	s_and_saveexec_b64 s[2:3], vcc
	s_cbranch_execnz .LBB213_87
.LBB213_76:
	s_or_b64 exec, exec, s[2:3]
	s_and_saveexec_b64 s[2:3], vcc
	s_cbranch_execz .LBB213_78
.LBB213_77:
	v_mov_b32_e32 v0, 0x1d0
	v_lshl_add_u32 v0, v50, 2, v0
	ds_read_b32 v0, v0 offset:384
	s_waitcnt lgkmcnt(0)
	v_add_f32_e32 v6, v6, v0
.LBB213_78:
	s_or_b64 exec, exec, s[2:3]
.LBB213_79:
	s_or_b64 exec, exec, s[0:1]
	v_cmp_eq_u32_e32 vcc, 0, v7
	s_barrier
	s_and_saveexec_b64 s[0:1], vcc
	s_cbranch_execz .LBB213_81
; %bb.80:
	s_mul_i32 s0, s6, 0x70
	s_ashr_i32 s1, s0, 31
	s_lshl_b64 s[0:1], s[0:1], 2
	s_add_u32 s2, s30, s0
	s_mul_i32 s0, s19, s28
	s_addc_u32 s3, s31, s1
	s_ashr_i32 s1, s0, 31
	s_lshl_b64 s[0:1], s[0:1], 2
	s_add_u32 s2, s2, s0
	s_mul_i32 s0, s4, 0x70
	s_addc_u32 s3, s3, s1
	s_ashr_i32 s1, s0, 31
	s_lshl_b64 s[0:1], s[0:1], 2
	s_add_u32 s0, s2, s0
	s_addc_u32 s1, s3, s1
	global_store_dword v1, v8, s[0:1]
	global_store_dword v1, v9, s[0:1] offset:64
	global_store_dword v1, v4, s[0:1] offset:128
	;; [unrolled: 1-line block ×6, first 2 shown]
.LBB213_81:
	s_endpgm
.LBB213_82:
	v_mov_b32_e32 v0, 0x1d0
	v_lshl_add_u32 v0, v50, 2, v0
	ds_read_b32 v0, v0
	s_waitcnt lgkmcnt(0)
	v_add_f32_e32 v8, v8, v0
	s_or_b64 exec, exec, s[2:3]
	s_and_saveexec_b64 s[2:3], vcc
	s_cbranch_execz .LBB213_72
.LBB213_83:
	v_mov_b32_e32 v0, 0x1d0
	v_lshl_add_u32 v0, v50, 2, v0
	ds_read_b32 v0, v0 offset:64
	s_waitcnt lgkmcnt(0)
	v_add_f32_e32 v9, v9, v0
	s_or_b64 exec, exec, s[2:3]
	s_and_saveexec_b64 s[2:3], vcc
	s_cbranch_execz .LBB213_73
.LBB213_84:
	v_mov_b32_e32 v0, 0x1d0
	v_lshl_add_u32 v0, v50, 2, v0
	ds_read_b32 v0, v0 offset:128
	s_waitcnt lgkmcnt(0)
	v_add_f32_e32 v4, v4, v0
	s_or_b64 exec, exec, s[2:3]
	s_and_saveexec_b64 s[2:3], vcc
	s_cbranch_execz .LBB213_74
.LBB213_85:
	v_mov_b32_e32 v0, 0x1d0
	v_lshl_add_u32 v0, v50, 2, v0
	ds_read_b32 v0, v0 offset:192
	s_waitcnt lgkmcnt(0)
	v_add_f32_e32 v5, v5, v0
	s_or_b64 exec, exec, s[2:3]
	s_and_saveexec_b64 s[2:3], vcc
	s_cbranch_execz .LBB213_75
.LBB213_86:
	v_mov_b32_e32 v0, 0x1d0
	v_lshl_add_u32 v0, v50, 2, v0
	ds_read_b32 v0, v0 offset:256
	s_waitcnt lgkmcnt(0)
	v_add_f32_e32 v2, v2, v0
	s_or_b64 exec, exec, s[2:3]
	s_and_saveexec_b64 s[2:3], vcc
	s_cbranch_execz .LBB213_76
.LBB213_87:
	v_mov_b32_e32 v0, 0x1d0
	v_lshl_add_u32 v0, v50, 2, v0
	ds_read_b32 v0, v0 offset:320
	s_waitcnt lgkmcnt(0)
	v_add_f32_e32 v3, v3, v0
	s_or_b64 exec, exec, s[2:3]
	s_and_saveexec_b64 s[2:3], vcc
	s_cbranch_execnz .LBB213_77
	s_branch .LBB213_78
	.section	.rodata,"a",@progbits
	.p2align	6, 0x0
	.amdhsa_kernel _ZN4vllm25paged_attention_v2_kernelIfhLi112ELi16ELi128ELNS_18Fp8KVCacheDataTypeE1ELb1ELi512EEEvPfS2_PT_PKS3_PKT0_S9_ifPKiSB_iPKfiiiSD_SD_iiiii
		.amdhsa_group_segment_fixed_size 464
		.amdhsa_private_segment_fixed_size 0
		.amdhsa_kernarg_size 400
		.amdhsa_user_sgpr_count 2
		.amdhsa_user_sgpr_dispatch_ptr 0
		.amdhsa_user_sgpr_queue_ptr 0
		.amdhsa_user_sgpr_kernarg_segment_ptr 1
		.amdhsa_user_sgpr_dispatch_id 0
		.amdhsa_user_sgpr_kernarg_preload_length 0
		.amdhsa_user_sgpr_kernarg_preload_offset 0
		.amdhsa_user_sgpr_private_segment_size 0
		.amdhsa_uses_dynamic_stack 0
		.amdhsa_enable_private_segment 0
		.amdhsa_system_sgpr_workgroup_id_x 1
		.amdhsa_system_sgpr_workgroup_id_y 1
		.amdhsa_system_sgpr_workgroup_id_z 1
		.amdhsa_system_sgpr_workgroup_info 0
		.amdhsa_system_vgpr_workitem_id 0
		.amdhsa_next_free_vgpr 85
		.amdhsa_next_free_sgpr 56
		.amdhsa_accum_offset 88
		.amdhsa_reserve_vcc 1
		.amdhsa_float_round_mode_32 0
		.amdhsa_float_round_mode_16_64 0
		.amdhsa_float_denorm_mode_32 3
		.amdhsa_float_denorm_mode_16_64 3
		.amdhsa_dx10_clamp 1
		.amdhsa_ieee_mode 1
		.amdhsa_fp16_overflow 0
		.amdhsa_tg_split 0
		.amdhsa_exception_fp_ieee_invalid_op 0
		.amdhsa_exception_fp_denorm_src 0
		.amdhsa_exception_fp_ieee_div_zero 0
		.amdhsa_exception_fp_ieee_overflow 0
		.amdhsa_exception_fp_ieee_underflow 0
		.amdhsa_exception_fp_ieee_inexact 0
		.amdhsa_exception_int_div_zero 0
	.end_amdhsa_kernel
	.section	.text._ZN4vllm25paged_attention_v2_kernelIfhLi112ELi16ELi128ELNS_18Fp8KVCacheDataTypeE1ELb1ELi512EEEvPfS2_PT_PKS3_PKT0_S9_ifPKiSB_iPKfiiiSD_SD_iiiii,"axG",@progbits,_ZN4vllm25paged_attention_v2_kernelIfhLi112ELi16ELi128ELNS_18Fp8KVCacheDataTypeE1ELb1ELi512EEEvPfS2_PT_PKS3_PKT0_S9_ifPKiSB_iPKfiiiSD_SD_iiiii,comdat
.Lfunc_end213:
	.size	_ZN4vllm25paged_attention_v2_kernelIfhLi112ELi16ELi128ELNS_18Fp8KVCacheDataTypeE1ELb1ELi512EEEvPfS2_PT_PKS3_PKT0_S9_ifPKiSB_iPKfiiiSD_SD_iiiii, .Lfunc_end213-_ZN4vllm25paged_attention_v2_kernelIfhLi112ELi16ELi128ELNS_18Fp8KVCacheDataTypeE1ELb1ELi512EEEvPfS2_PT_PKS3_PKT0_S9_ifPKiSB_iPKfiiiSD_SD_iiiii
                                        ; -- End function
	.section	.AMDGPU.csdata,"",@progbits
; Kernel info:
; codeLenInByte = 6320
; NumSgprs: 62
; NumVgprs: 85
; NumAgprs: 0
; TotalNumVgprs: 85
; ScratchSize: 0
; MemoryBound: 0
; FloatMode: 240
; IeeeMode: 1
; LDSByteSize: 464 bytes/workgroup (compile time only)
; SGPRBlocks: 7
; VGPRBlocks: 10
; NumSGPRsForWavesPerEU: 62
; NumVGPRsForWavesPerEU: 85
; AccumOffset: 88
; Occupancy: 5
; WaveLimiterHint : 1
; COMPUTE_PGM_RSRC2:SCRATCH_EN: 0
; COMPUTE_PGM_RSRC2:USER_SGPR: 2
; COMPUTE_PGM_RSRC2:TRAP_HANDLER: 0
; COMPUTE_PGM_RSRC2:TGID_X_EN: 1
; COMPUTE_PGM_RSRC2:TGID_Y_EN: 1
; COMPUTE_PGM_RSRC2:TGID_Z_EN: 1
; COMPUTE_PGM_RSRC2:TIDIG_COMP_CNT: 0
; COMPUTE_PGM_RSRC3_GFX90A:ACCUM_OFFSET: 21
; COMPUTE_PGM_RSRC3_GFX90A:TG_SPLIT: 0
	.section	.text._ZN4vllm25paged_attention_v2_kernelIfhLi120ELi16ELi128ELNS_18Fp8KVCacheDataTypeE1ELb1ELi512EEEvPfS2_PT_PKS3_PKT0_S9_ifPKiSB_iPKfiiiSD_SD_iiiii,"axG",@progbits,_ZN4vllm25paged_attention_v2_kernelIfhLi120ELi16ELi128ELNS_18Fp8KVCacheDataTypeE1ELb1ELi512EEEvPfS2_PT_PKS3_PKT0_S9_ifPKiSB_iPKfiiiSD_SD_iiiii,comdat
	.protected	_ZN4vllm25paged_attention_v2_kernelIfhLi120ELi16ELi128ELNS_18Fp8KVCacheDataTypeE1ELb1ELi512EEEvPfS2_PT_PKS3_PKT0_S9_ifPKiSB_iPKfiiiSD_SD_iiiii ; -- Begin function _ZN4vllm25paged_attention_v2_kernelIfhLi120ELi16ELi128ELNS_18Fp8KVCacheDataTypeE1ELb1ELi512EEEvPfS2_PT_PKS3_PKT0_S9_ifPKiSB_iPKfiiiSD_SD_iiiii
	.globl	_ZN4vllm25paged_attention_v2_kernelIfhLi120ELi16ELi128ELNS_18Fp8KVCacheDataTypeE1ELb1ELi512EEEvPfS2_PT_PKS3_PKT0_S9_ifPKiSB_iPKfiiiSD_SD_iiiii
	.p2align	8
	.type	_ZN4vllm25paged_attention_v2_kernelIfhLi120ELi16ELi128ELNS_18Fp8KVCacheDataTypeE1ELb1ELi512EEEvPfS2_PT_PKS3_PKT0_S9_ifPKiSB_iPKfiiiSD_SD_iiiii,@function
_ZN4vllm25paged_attention_v2_kernelIfhLi120ELi16ELi128ELNS_18Fp8KVCacheDataTypeE1ELb1ELi512EEEvPfS2_PT_PKS3_PKT0_S9_ifPKiSB_iPKfiiiSD_SD_iiiii: ; @_ZN4vllm25paged_attention_v2_kernelIfhLi120ELi16ELi128ELNS_18Fp8KVCacheDataTypeE1ELb1ELi512EEEvPfS2_PT_PKS3_PKT0_S9_ifPKiSB_iPKfiiiSD_SD_iiiii
; %bb.0:
	s_load_dwordx2 s[6:7], s[0:1], 0x40
	s_mov_b32 s34, s3
	s_ashr_i32 s35, s3, 31
	s_lshl_b64 s[8:9], s[34:35], 2
	s_waitcnt lgkmcnt(0)
	s_add_u32 s6, s6, s8
	s_addc_u32 s7, s7, s9
	s_load_dword s33, s[6:7], 0x0
	s_lshl_b32 s50, s4, 9
	s_waitcnt lgkmcnt(0)
	s_cmp_ge_i32 s50, s33
	s_cbranch_scc1 .LBB214_111
; %bb.1:
	s_load_dword s5, s[0:1], 0x90
	s_load_dwordx2 s[42:43], s[0:1], 0x30
	s_mov_b32 s51, 0
	s_waitcnt lgkmcnt(0)
	s_abs_i32 s7, s5
	s_abs_i32 s3, s42
	v_cvt_f32_u32_e32 v1, s3
	s_sub_i32 s8, 0, s3
	s_xor_b32 s6, s5, s42
	s_ashr_i32 s6, s6, 31
	v_rcp_iflag_f32_e32 v1, v1
	s_nop 0
	v_mul_f32_e32 v1, 0x4f7ffffe, v1
	v_cvt_u32_f32_e32 v1, v1
	s_nop 0
	v_readfirstlane_b32 s9, v1
	s_mul_i32 s8, s8, s9
	s_mul_hi_u32 s8, s9, s8
	s_add_i32 s9, s9, s8
	s_mul_hi_u32 s8, s7, s9
	s_mul_i32 s9, s8, s3
	s_sub_i32 s7, s7, s9
	s_add_i32 s10, s8, 1
	s_sub_i32 s9, s7, s3
	s_cmp_ge_u32 s7, s3
	s_cselect_b32 s8, s10, s8
	s_cselect_b32 s7, s9, s7
	s_add_i32 s9, s8, 1
	s_cmp_ge_u32 s7, s3
	s_cselect_b32 s3, s9, s8
	s_xor_b32 s3, s3, s6
	s_sub_i32 s11, s3, s6
	s_abs_i32 s8, s11
	v_cvt_f32_u32_e32 v1, s8
	s_load_dwordx2 s[6:7], s[0:1], 0x50
	s_sub_i32 s3, 0, s8
	s_abs_i32 s9, s2
	v_rcp_iflag_f32_e32 v1, v1
	s_nop 0
	v_mul_f32_e32 v1, 0x4f7ffffe, v1
	v_cvt_u32_f32_e32 v1, v1
	s_nop 0
	v_readfirstlane_b32 s10, v1
	s_mul_i32 s3, s3, s10
	s_mul_hi_u32 s3, s10, s3
	s_add_i32 s10, s10, s3
	s_waitcnt lgkmcnt(0)
	s_cmp_eq_u64 s[6:7], 0
	s_mul_hi_u32 s10, s9, s10
	s_cbranch_scc1 .LBB214_3
; %bb.2:
	s_ashr_i32 s3, s2, 31
	s_lshl_b64 s[12:13], s[2:3], 2
	s_add_u32 s6, s6, s12
	s_addc_u32 s7, s7, s13
	s_load_dword s51, s[6:7], 0x0
.LBB214_3:
	s_load_dwordx4 s[16:19], s[0:1], 0x58
	v_lshrrev_b32_e32 v56, 2, v0
	s_movk_i32 s12, 0x78
	s_ashr_i32 s3, s2, 31
	s_ashr_i32 s11, s11, 31
	v_and_b32_e32 v26, 3, v0
	s_mul_i32 s28, s2, 0x78
	v_cmp_gt_u32_e32 vcc, s12, v0
	v_lshlrev_b32_e32 v34, 2, v0
	v_lshlrev_b32_e32 v1, 2, v56
	s_and_saveexec_b64 s[6:7], vcc
	s_cbranch_execz .LBB214_5
; %bb.4:
	s_load_dwordx2 s[14:15], s[0:1], 0x18
	s_waitcnt lgkmcnt(0)
	s_mul_i32 s20, s34, s16
	s_ashr_i32 s21, s20, 31
	s_lshl_b64 s[20:21], s[20:21], 2
	v_mad_u32_u24 v3, v26, s12, v1
	s_add_u32 s13, s14, s20
	s_addc_u32 s16, s15, s21
	s_ashr_i32 s29, s28, 31
	s_lshl_b64 s[14:15], s[28:29], 2
	s_add_u32 s14, s13, s14
	s_addc_u32 s15, s16, s15
	global_load_dword v2, v34, s[14:15]
	s_waitcnt vmcnt(0)
	ds_write_b32 v3, v2
.LBB214_5:
	s_or_b64 exec, exec, s[6:7]
	s_mul_i32 s6, s10, s8
	s_sub_i32 s6, s9, s6
	s_xor_b32 s3, s3, s11
	s_add_i32 s7, s10, 1
	s_sub_i32 s9, s6, s8
	s_load_dwordx4 s[20:23], s[0:1], 0x78
	s_cmp_ge_u32 s6, s8
	s_cselect_b32 s7, s7, s10
	s_cselect_b32 s6, s9, s6
	s_add_i32 s9, s7, 1
	s_cmp_ge_u32 s6, s8
	s_cselect_b32 s6, s9, s7
	s_load_dword s9, s[0:1], 0x88
	s_waitcnt lgkmcnt(0)
	s_abs_i32 s29, s23
	v_cvt_f32_u32_e32 v2, s29
	s_xor_b32 s6, s6, s3
	s_sub_i32 s10, s6, s3
	s_sub_i32 s6, 0, s29
	v_rcp_iflag_f32_e32 v2, v2
	s_add_i32 s11, s33, -1
	s_abs_i32 s3, s11
	v_mul_f32_e32 v2, 0x4f7ffffe, v2
	v_cvt_u32_f32_e32 v2, v2
	s_barrier
	v_readfirstlane_b32 s35, v2
	s_mul_i32 s6, s6, s35
	s_mul_hi_u32 s6, s35, s6
	s_add_i32 s35, s35, s6
	s_cmp_lt_i32 s9, 0
	s_mul_hi_u32 s8, s3, s35
	s_cbranch_scc0 .LBB214_7
; %bb.6:
	s_mul_i32 s6, s20, s42
	s_add_i32 s6, s10, s6
	s_mul_i32 s6, s6, s9
	s_sub_i32 s42, 1, s6
	s_mov_b64 s[6:7], 0
	s_branch .LBB214_8
.LBB214_7:
	s_mov_b64 s[6:7], -1
                                        ; implicit-def: $sgpr42
.LBB214_8:
	s_load_dwordx2 s[36:37], s[0:1], 0x38
	s_ashr_i32 s11, s11, 31
	s_andn2_b64 vcc, exec, s[6:7]
	s_ashr_i32 s48, s23, 31
	s_cbranch_vccnz .LBB214_10
; %bb.9:
	s_mul_i32 s6, s5, s20
	s_add_i32 s6, s6, s2
	s_mul_i32 s6, s6, s9
	s_add_i32 s42, s6, 1
.LBB214_10:
	s_load_dwordx2 s[40:41], s[0:1], 0x28
	s_load_dword s6, s[0:1], 0x48
	s_load_dwordx4 s[24:27], s[0:1], 0x0
	s_load_dwordx2 s[30:31], s[0:1], 0x10
	s_load_dword s23, s[0:1], 0x98
	s_load_dwordx4 s[12:15], s[0:1], 0x68
	s_mul_i32 s7, s8, s29
	s_waitcnt lgkmcnt(0)
	s_mul_i32 s38, s34, s6
	s_sub_i32 s3, s3, s7
	s_ashr_i32 s39, s38, 31
	s_xor_b32 s6, s11, s48
	s_add_i32 s7, s8, 1
	s_sub_i32 s9, s3, s29
	s_cmp_ge_u32 s3, s29
	s_cselect_b32 s7, s7, s8
	s_cselect_b32 s3, s9, s3
	s_add_i32 s8, s7, 1
	s_cmp_ge_u32 s3, s29
	s_cselect_b32 s3, s8, s7
	s_xor_b32 s3, s3, s6
	s_sub_i32 s16, s3, s6
	s_add_i32 s3, s33, 15
	s_ashr_i32 s6, s3, 31
	s_lshr_b32 s6, s6, 28
	s_add_i32 s3, s3, s6
	s_lshl_b32 s52, s4, 5
	s_ashr_i32 s3, s3, 4
	s_add_i32 s6, s52, 32
	v_lshrrev_b32_e32 v35, 6, v0
	s_min_i32 s49, s6, s3
	v_or_b32_e32 v28, s52, v35
	v_cmp_gt_i32_e64 s[8:9], s49, v28
	v_mov_b32_e32 v39, 0xff7fffff
	s_mul_i32 s20, s10, s18
	v_ashrrev_i32_e32 v29, 31, v28
	v_lshl_add_u32 v57, v35, 4, s50
	v_mbcnt_lo_u32_b32 v36, -1, 0
	s_and_saveexec_b64 s[18:19], s[8:9]
	s_cbranch_execz .LBB214_20
; %bb.11:
	s_load_dwordx2 s[0:1], s[0:1], 0x20
	s_sub_i32 s53, s16, s21
	s_ashr_i32 s6, s20, 31
	v_bfe_u32 v37, v0, 2, 4
	v_mov_b32_e32 v3, 0
	s_waitcnt lgkmcnt(0)
	s_add_u32 s0, s0, s20
	s_addc_u32 s1, s1, s6
	s_abs_i32 s54, s22
	v_cvt_f32_u32_e32 v2, s54
	v_mbcnt_hi_u32_b32 v45, -1, v36
	v_cmp_eq_u32_e32 vcc, 0, v26
	s_mov_b32 s55, s17
	v_rcp_iflag_f32_e32 v4, v2
	v_lshlrev_b32_e32 v2, 4, v37
	v_lshl_add_u64 v[30:31], s[0:1], 0, v[2:3]
	s_sub_i32 s0, 0, s54
	v_mul_f32_e32 v4, 0x4f7ffffe, v4
	v_cvt_u32_f32_e32 v4, v4
	v_mul_u32_u24_e32 v38, 0x78, v26
	v_cmp_neq_f32_e64 s[6:7], s51, 0
	v_mov_b32_e32 v27, v3
	v_mul_lo_u32 v2, s0, v4
	v_mul_hi_u32 v2, v4, v2
	v_add_u32_e32 v40, v4, v2
	v_lshlrev_b32_e32 v2, 2, v37
	s_lshl_b64 s[0:1], s[38:39], 2
	v_lshl_or_b32 v2, v35, 6, v2
	s_add_u32 s0, s36, s0
	v_add_u32_e32 v42, 0x1f0, v2
	v_subrev_u32_e32 v2, s33, v37
	s_addc_u32 s1, s37, s1
	v_add_u32_e32 v43, 1, v2
	v_and_b32_e32 v2, 64, v45
	v_lshl_add_u64 v[32:33], v[28:29], 2, s[0:1]
	v_lshl_add_u32 v41, v35, 4, s50
	s_mov_b64 s[44:45], 0
	v_mov_b32_e32 v44, 0xff7fffff
	v_add_u32_e32 v46, 64, v2
	v_xor_b32_e32 v47, 2, v45
	v_xor_b32_e32 v48, 1, v45
	v_mov_b32_e32 v39, 0xff7fffff
	v_mov_b32_e32 v49, v28
	s_branch .LBB214_14
.LBB214_12:                             ;   in Loop: Header=BB214_14 Depth=1
	s_or_b64 exec, exec, s[46:47]
.LBB214_13:                             ;   in Loop: Header=BB214_14 Depth=1
	s_or_b64 exec, exec, s[10:11]
	v_add_u32_e32 v49, 2, v49
	v_cmp_le_i32_e64 s[0:1], s49, v49
	v_lshl_add_u64 v[32:33], v[32:33], 0, 8
	v_add_u32_e32 v41, 32, v41
	s_or_b64 s[44:45], s[0:1], s[44:45]
	v_add_u32_e32 v42, 0x80, v42
	s_andn2_b64 exec, exec, s[44:45]
	s_cbranch_execz .LBB214_19
.LBB214_14:                             ; =>This Inner Loop Header: Depth=1
	s_waitcnt lgkmcnt(0)
	v_sub_u32_e32 v3, 0, v41
	v_max_i32_e32 v3, v41, v3
	v_mul_hi_u32 v4, v3, s35
	v_mul_lo_u32 v5, v4, s29
	v_sub_u32_e32 v3, v3, v5
	v_add_u32_e32 v5, 1, v4
	v_cmp_le_u32_e64 s[0:1], s29, v3
	v_ashrrev_i32_e32 v2, 31, v41
	v_xor_b32_e32 v2, s48, v2
	v_cndmask_b32_e64 v4, v4, v5, s[0:1]
	v_subrev_u32_e32 v5, s29, v3
	v_cndmask_b32_e64 v3, v3, v5, s[0:1]
	v_add_u32_e32 v5, 1, v4
	v_cmp_le_u32_e64 s[0:1], s29, v3
	s_nop 1
	v_cndmask_b32_e64 v3, v4, v5, s[0:1]
	v_xor_b32_e32 v3, v3, v2
	v_sub_u32_e32 v2, v3, v2
	v_add_u32_e32 v3, s42, v2
	v_sub_u32_e32 v5, 0, v3
	v_ashrrev_i32_e32 v4, 31, v3
	v_max_i32_e32 v3, v3, v5
	v_mul_hi_u32 v5, v3, v40
	v_mul_lo_u32 v5, v5, s54
	v_sub_u32_e32 v3, v3, v5
	v_subrev_u32_e32 v5, s54, v3
	v_cmp_le_u32_e64 s[0:1], s54, v3
	v_cmp_ge_i32_e64 s[10:11], s53, v2
	s_nop 0
	v_cndmask_b32_e64 v3, v3, v5, s[0:1]
	v_subrev_u32_e32 v5, s54, v3
	v_cmp_le_u32_e64 s[0:1], s54, v3
	s_nop 1
	v_cndmask_b32_e64 v3, v3, v5, s[0:1]
	v_xor_b32_e32 v3, v3, v4
	v_sub_u32_e32 v3, v3, v4
	v_cmp_ne_u32_e64 s[0:1], 0, v3
	s_and_b64 s[0:1], s[0:1], s[10:11]
	s_and_b64 s[46:47], vcc, s[0:1]
	s_and_saveexec_b64 s[10:11], s[46:47]
	s_cbranch_execz .LBB214_16
; %bb.15:                               ;   in Loop: Header=BB214_14 Depth=1
	ds_write_b32 v42, v44
.LBB214_16:                             ;   in Loop: Header=BB214_14 Depth=1
	s_or_b64 exec, exec, s[10:11]
	s_xor_b64 s[0:1], s[0:1], -1
	s_and_saveexec_b64 s[10:11], s[0:1]
	s_cbranch_execz .LBB214_13
; %bb.17:                               ;   in Loop: Header=BB214_14 Depth=1
	global_load_dword v2, v[32:33], off
	s_waitcnt vmcnt(0)
	v_mad_i64_i32 v[2:3], s[0:1], v2, s55, v[30:31]
	v_lshl_add_u64 v[2:3], v[2:3], 0, v[26:27]
	global_load_ubyte v58, v[2:3], off
	global_load_ubyte v59, v[2:3], off offset:4
	global_load_ubyte v60, v[2:3], off offset:8
	;; [unrolled: 1-line block ×29, first 2 shown]
	ds_read2_b64 v[18:21], v38 offset1:1
	ds_read2_b64 v[14:17], v38 offset0:2 offset1:3
	ds_read2_b64 v[6:9], v38 offset0:4 offset1:5
	ds_read2_b64 v[2:5], v38 offset0:6 offset1:7
	s_load_dword s46, s[12:13], 0x0
	ds_read2_b64 v[10:13], v38 offset0:8 offset1:9
	ds_read2_b64 v[22:25], v38 offset0:10 offset1:11
	;; [unrolled: 1-line block ×3, first 2 shown]
	ds_read_b64 v[54:55], v38 offset:112
	v_cmp_lt_i32_e64 s[0:1], v47, v46
	s_waitcnt vmcnt(29)
	v_cvt_f32_fp8_sdwa v58, v58 src0_sel:BYTE_0
	s_waitcnt vmcnt(28)
	v_cvt_f32_fp8_sdwa v59, v59 src0_sel:BYTE_0
	;; [unrolled: 2-line block ×5, first 2 shown]
	s_waitcnt lgkmcnt(0)
	v_mul_f32_e32 v59, s46, v59
	s_waitcnt vmcnt(24)
	v_cvt_f32_fp8_sdwa v63, v63 src0_sel:BYTE_0
	v_mul_f32_e32 v58, s46, v58
	v_mul_f32_e32 v19, v19, v59
	s_waitcnt vmcnt(23)
	v_cvt_f32_fp8_sdwa v64, v64 src0_sel:BYTE_0
	v_mul_f32_e32 v60, s46, v60
	v_fmac_f32_e32 v19, v18, v58
	s_waitcnt vmcnt(22)
	v_cvt_f32_fp8_sdwa v65, v65 src0_sel:BYTE_0
	v_mul_f32_e32 v61, s46, v61
	v_fmac_f32_e32 v19, v20, v60
	;; [unrolled: 4-line block ×24, first 2 shown]
	v_mul_f32_e32 v84, s46, v84
	v_fmac_f32_e32 v19, v51, v83
	v_mul_f32_e32 v85, s46, v85
	v_fmac_f32_e32 v19, v52, v84
	;; [unrolled: 2-line block ×3, first 2 shown]
	v_cndmask_b32_e64 v88, v45, v47, s[0:1]
	v_mul_f32_e32 v87, s46, v87
	v_fmac_f32_e32 v19, v54, v86
	v_lshlrev_b32_e32 v14, 2, v88
	v_fmac_f32_e32 v19, v55, v87
	ds_bpermute_b32 v2, v14, v19
	v_cmp_lt_i32_e64 s[0:1], v48, v46
	s_waitcnt lgkmcnt(0)
	v_add_f32_e32 v2, v19, v2
	v_cndmask_b32_e64 v3, v45, v48, s[0:1]
	v_lshlrev_b32_e32 v3, 2, v3
	ds_bpermute_b32 v3, v3, v2
	s_and_saveexec_b64 s[46:47], vcc
	s_cbranch_execz .LBB214_12
; %bb.18:                               ;   in Loop: Header=BB214_14 Depth=1
	v_add_u32_e32 v4, v43, v41
	v_cvt_f32_i32_e32 v4, v4
	s_waitcnt lgkmcnt(0)
	v_add_f32_e32 v2, v2, v3
	v_add_u32_e32 v5, v37, v41
	v_cmp_gt_i32_e64 s[0:1], s33, v5
	v_mul_f32_e32 v3, s51, v4
	v_cndmask_b32_e64 v3, 0, v3, s[6:7]
	v_fmac_f32_e32 v3, s43, v2
	v_cndmask_b32_e64 v2, 0, v3, s[0:1]
	ds_write_b32 v42, v2
	v_max_f32_e32 v2, v39, v39
	v_max_f32_e32 v2, v2, v3
	v_cndmask_b32_e64 v39, v39, v2, s[0:1]
	s_branch .LBB214_12
.LBB214_19:
	s_or_b64 exec, exec, s[44:45]
.LBB214_20:
	s_or_b64 exec, exec, s[18:19]
	v_mbcnt_hi_u32_b32 v2, -1, v36
	s_waitcnt lgkmcnt(0)
	v_and_b32_e32 v3, 64, v2
	v_add_u32_e32 v3, 64, v3
	v_xor_b32_e32 v4, 32, v2
	v_cmp_lt_i32_e32 vcc, v4, v3
	v_xor_b32_e32 v7, 16, v2
	v_max_f32_e32 v5, v39, v39
	v_cndmask_b32_e32 v4, v2, v4, vcc
	v_lshlrev_b32_e32 v6, 2, v4
	ds_bpermute_b32 v4, v6, v39
	v_cmp_lt_i32_e32 vcc, v7, v3
	v_xor_b32_e32 v8, 8, v2
	s_waitcnt lgkmcnt(0)
	v_max_f32_e32 v4, v4, v4
	v_max_f32_e32 v4, v5, v4
	v_cndmask_b32_e32 v5, v2, v7, vcc
	v_lshlrev_b32_e32 v7, 2, v5
	ds_bpermute_b32 v5, v7, v4
	v_cmp_lt_i32_e32 vcc, v8, v3
	s_waitcnt lgkmcnt(0)
	v_max_f32_e32 v5, v5, v5
	v_max_f32_e32 v4, v4, v5
	v_cndmask_b32_e32 v5, v2, v8, vcc
	v_lshlrev_b32_e32 v10, 2, v5
	ds_bpermute_b32 v5, v10, v4
	v_xor_b32_e32 v8, 4, v2
	v_cmp_lt_i32_e32 vcc, v8, v3
	s_waitcnt lgkmcnt(0)
	v_max_f32_e32 v5, v5, v5
	v_max_f32_e32 v5, v4, v5
	v_cndmask_b32_e32 v4, v2, v8, vcc
	v_lshlrev_b32_e32 v11, 2, v4
	ds_bpermute_b32 v9, v11, v5
	v_and_b32_e32 v4, 63, v0
	v_cmp_eq_u32_e32 vcc, 0, v4
	v_lshlrev_b32_e32 v8, 2, v35
	s_and_saveexec_b64 s[0:1], vcc
	s_cbranch_execz .LBB214_22
; %bb.21:
	s_waitcnt lgkmcnt(0)
	v_max_f32_e32 v9, v9, v9
	v_max_f32_e32 v5, v5, v5
	;; [unrolled: 1-line block ×3, first 2 shown]
	ds_write_b32 v8, v5 offset:480
.LBB214_22:
	s_or_b64 exec, exec, s[0:1]
	v_cmp_gt_u32_e64 s[0:1], 2, v4
	v_mov_b32_e32 v5, 0xff7fffff
	s_waitcnt lgkmcnt(0)
	v_lshlrev_b32_e32 v9, 2, v4
	s_barrier
	s_and_saveexec_b64 s[6:7], s[0:1]
	s_cbranch_execz .LBB214_24
; %bb.23:
	ds_read_b32 v5, v9 offset:480
.LBB214_24:
	s_or_b64 exec, exec, s[6:7]
	v_xor_b32_e32 v12, 1, v2
	v_cmp_lt_i32_e64 s[6:7], v12, v3
	v_mov_b32_e32 v13, 0
	s_nop 0
	v_cndmask_b32_e64 v12, v2, v12, s[6:7]
	v_lshlrev_b32_e32 v27, 2, v12
	s_waitcnt lgkmcnt(0)
	ds_bpermute_b32 v12, v27, v5
	v_max_f32_e32 v5, v5, v5
	s_sub_i32 s6, s49, s52
	s_lshl_b32 s6, s6, 4
	s_add_i32 s6, s6, s50
	s_waitcnt lgkmcnt(0)
	v_max_f32_e32 v12, v12, v12
	v_max_f32_e32 v5, v5, v12
	v_lshlrev_b32_e32 v12, 2, v2
	v_and_b32_e32 v12, 0x100, v12
	ds_bpermute_b32 v5, v12, v5
	s_min_i32 s44, s6, s33
	s_sub_i32 s43, s44, s50
	v_cmp_gt_i32_e64 s[6:7], s43, v0
	s_and_saveexec_b64 s[12:13], s[6:7]
	s_cbranch_execz .LBB214_28
; %bb.25:
	v_mov_b32_e32 v13, 0x1f0
	v_lshl_add_u32 v14, v0, 2, v13
	s_mov_b64 s[18:19], 0
	v_mov_b32_e32 v13, 0
	v_mov_b32_e32 v15, v0
.LBB214_26:                             ; =>This Inner Loop Header: Depth=1
	ds_read_b32 v16, v14
	v_add_u32_e32 v15, 0x80, v15
	v_cmp_le_i32_e64 s[10:11], s43, v15
	s_or_b64 s[18:19], s[10:11], s[18:19]
	s_waitcnt lgkmcnt(0)
	v_sub_f32_e32 v16, v16, v5
	v_mul_f32_e32 v16, 0x3fb8aa3b, v16
	v_exp_f32_e32 v16, v16
	ds_write_b32 v14, v16
	v_add_f32_e32 v13, v13, v16
	v_add_u32_e32 v14, 0x200, v14
	s_andn2_b64 exec, exec, s[18:19]
	s_cbranch_execnz .LBB214_26
; %bb.27:
	s_or_b64 exec, exec, s[18:19]
.LBB214_28:
	s_or_b64 exec, exec, s[12:13]
	ds_bpermute_b32 v6, v6, v13
	s_waitcnt lgkmcnt(0)
	v_add_f32_e32 v6, v13, v6
	ds_bpermute_b32 v7, v7, v6
	s_waitcnt lgkmcnt(0)
	v_add_f32_e32 v6, v6, v7
	ds_bpermute_b32 v7, v10, v6
	v_xor_b32_e32 v10, 2, v2
	v_cmp_lt_i32_e64 s[10:11], v10, v3
	s_waitcnt lgkmcnt(0)
	v_add_f32_e32 v6, v6, v7
	ds_bpermute_b32 v7, v11, v6
	v_cndmask_b32_e64 v2, v2, v10, s[10:11]
	v_lshlrev_b32_e32 v58, 2, v2
	s_waitcnt lgkmcnt(0)
	v_add_f32_e32 v3, v6, v7
	ds_bpermute_b32 v2, v58, v3
	s_waitcnt lgkmcnt(0)
	v_add_f32_e32 v2, v3, v2
	ds_bpermute_b32 v3, v27, v2
	s_waitcnt lgkmcnt(0)
	v_add_f32_e32 v2, v2, v3
	s_and_saveexec_b64 s[10:11], vcc
	s_cbranch_execz .LBB214_30
; %bb.29:
	ds_write_b32 v8, v2 offset:488
.LBB214_30:
	s_or_b64 exec, exec, s[10:11]
	s_waitcnt lgkmcnt(0)
	s_barrier
	s_and_saveexec_b64 s[10:11], s[0:1]
	s_cbranch_execz .LBB214_32
; %bb.31:
	ds_read_b32 v2, v9 offset:488
.LBB214_32:
	s_or_b64 exec, exec, s[10:11]
	s_waitcnt lgkmcnt(0)
	ds_bpermute_b32 v3, v27, v2
	s_waitcnt lgkmcnt(0)
	v_add_f32_e32 v2, v2, v3
	ds_bpermute_b32 v6, v12, v2
	s_and_saveexec_b64 s[0:1], s[6:7]
	s_cbranch_execz .LBB214_45
; %bb.33:
	s_waitcnt lgkmcnt(0)
	v_add_f32_e32 v2, 0x358637bd, v6
	v_div_scale_f32 v3, s[6:7], v2, v2, 1.0
	v_rcp_f32_e32 v7, v3
	v_div_scale_f32 v8, vcc, 1.0, v2, 1.0
	s_movk_i32 s6, 0x7f
	v_fma_f32 v9, -v3, v7, 1.0
	v_fmac_f32_e32 v7, v9, v7
	v_mul_f32_e32 v9, v8, v7
	v_fma_f32 v10, -v3, v9, v8
	v_fmac_f32_e32 v9, v10, v7
	v_fma_f32 v3, -v3, v9, v8
	v_div_fmas_f32 v3, v3, v7, v9
	v_div_fixup_f32 v2, v3, v2, 1.0
	v_xad_u32 v3, v0, -1, s44
	v_subrev_u32_e32 v7, s50, v3
	v_cmp_lt_u32_e32 vcc, s6, v7
	s_mov_b64 s[10:11], -1
	v_mov_b32_e32 v3, v0
	s_and_saveexec_b64 s[6:7], vcc
	s_cbranch_execz .LBB214_42
; %bb.34:
	v_lshrrev_b32_e32 v7, 7, v7
	v_add_u32_e32 v9, -1, v7
	v_lshrrev_b32_e32 v8, 1, v9
	v_mov_b32_e32 v3, v2
	v_add_u32_e32 v8, 1, v8
	v_cmp_lt_u32_e32 vcc, 13, v9
	v_mov_b32_e32 v11, 0
	s_and_saveexec_b64 s[10:11], vcc
	s_cbranch_execz .LBB214_38
; %bb.35:
	v_mov_b32_e32 v10, 0x1f0
	v_and_b32_e32 v9, -8, v8
	v_lshl_add_u32 v10, v0, 2, v10
	s_mov_b32 s18, 0
	s_mov_b64 s[12:13], 0
.LBB214_36:                             ; =>This Inner Loop Header: Depth=1
	ds_read2st64_b32 v[12:13], v10 offset1:2
	ds_read2st64_b32 v[14:15], v10 offset0:4 offset1:6
	ds_read2st64_b32 v[16:17], v10 offset0:8 offset1:10
	;; [unrolled: 1-line block ×3, first 2 shown]
	v_add_u32_e32 v9, -8, v9
	s_waitcnt lgkmcnt(3)
	v_pk_mul_f32 v[12:13], v[2:3], v[12:13]
	s_waitcnt lgkmcnt(2)
	v_pk_mul_f32 v[14:15], v[2:3], v[14:15]
	ds_write2st64_b32 v10, v12, v13 offset1:2
	ds_write2st64_b32 v10, v14, v15 offset0:4 offset1:6
	ds_read2st64_b32 v[14:15], v10 offset0:16 offset1:18
	s_waitcnt lgkmcnt(4)
	v_pk_mul_f32 v[12:13], v[2:3], v[16:17]
	ds_write2st64_b32 v10, v12, v13 offset0:8 offset1:10
	s_waitcnt lgkmcnt(4)
	v_pk_mul_f32 v[12:13], v[2:3], v[18:19]
	ds_write2st64_b32 v10, v12, v13 offset0:12 offset1:14
	ds_read2st64_b32 v[12:13], v10 offset0:20 offset1:22
	s_waitcnt lgkmcnt(3)
	v_pk_mul_f32 v[14:15], v[2:3], v[14:15]
	ds_read2st64_b32 v[16:17], v10 offset0:24 offset1:26
	ds_write2st64_b32 v10, v14, v15 offset0:16 offset1:18
	ds_read2st64_b32 v[14:15], v10 offset0:28 offset1:30
	s_waitcnt lgkmcnt(3)
	v_pk_mul_f32 v[12:13], v[2:3], v[12:13]
	ds_write2st64_b32 v10, v12, v13 offset0:20 offset1:22
	s_waitcnt lgkmcnt(3)
	v_pk_mul_f32 v[12:13], v[2:3], v[16:17]
	ds_write2st64_b32 v10, v12, v13 offset0:24 offset1:26
	s_waitcnt lgkmcnt(2)
	v_pk_mul_f32 v[12:13], v[2:3], v[14:15]
	s_add_i32 s18, s18, 16
	v_cmp_eq_u32_e32 vcc, 0, v9
	ds_write2st64_b32 v10, v12, v13 offset0:28 offset1:30
	v_add_u32_e32 v10, 0x2000, v10
	s_or_b64 s[12:13], vcc, s[12:13]
	v_mov_b32_e32 v11, s18
	s_andn2_b64 exec, exec, s[12:13]
	s_cbranch_execnz .LBB214_36
; %bb.37:
	s_or_b64 exec, exec, s[12:13]
.LBB214_38:
	s_or_b64 exec, exec, s[10:11]
	v_and_b32_e32 v8, 7, v8
	v_cmp_ne_u32_e32 vcc, 0, v8
	s_and_saveexec_b64 s[10:11], vcc
	s_cbranch_execz .LBB214_41
; %bb.39:
	v_lshlrev_b32_e32 v9, 9, v11
	s_movk_i32 s12, 0x1f0
	v_add3_u32 v9, v9, v34, s12
	s_mov_b64 s[12:13], 0
.LBB214_40:                             ; =>This Inner Loop Header: Depth=1
	ds_read2st64_b32 v[10:11], v9 offset1:2
	v_add_u32_e32 v8, -1, v8
	v_cmp_eq_u32_e32 vcc, 0, v8
	s_or_b64 s[12:13], vcc, s[12:13]
	s_waitcnt lgkmcnt(0)
	v_pk_mul_f32 v[10:11], v[2:3], v[10:11]
	ds_write2st64_b32 v9, v10, v11 offset1:2
	v_add_u32_e32 v9, 0x400, v9
	s_andn2_b64 exec, exec, s[12:13]
	s_cbranch_execnz .LBB214_40
.LBB214_41:
	s_or_b64 exec, exec, s[10:11]
	v_add_u32_e32 v7, 1, v7
	v_and_b32_e32 v8, 0x3fffffe, v7
	v_cmp_ne_u32_e32 vcc, v7, v8
	v_lshl_add_u32 v3, v8, 7, v0
	s_orn2_b64 s[10:11], vcc, exec
.LBB214_42:
	s_or_b64 exec, exec, s[6:7]
	s_and_b64 exec, exec, s[10:11]
	s_cbranch_execz .LBB214_45
; %bb.43:
	v_mov_b32_e32 v7, 0x1f0
	v_lshl_add_u32 v7, v3, 2, v7
	s_mov_b64 s[6:7], 0
.LBB214_44:                             ; =>This Inner Loop Header: Depth=1
	ds_read_b32 v8, v7
	v_add_u32_e32 v3, 0x80, v3
	v_cmp_le_i32_e32 vcc, s43, v3
	s_or_b64 s[6:7], vcc, s[6:7]
	s_waitcnt lgkmcnt(0)
	v_mul_f32_e32 v8, v2, v8
	ds_write_b32 v7, v8
	v_add_u32_e32 v7, 0x200, v7
	s_andn2_b64 exec, exec, s[6:7]
	s_cbranch_execnz .LBB214_44
.LBB214_45:
	s_or_b64 exec, exec, s[0:1]
	s_mul_i32 s0, s23, s34
	v_cmp_eq_u32_e32 vcc, 0, v0
	s_mul_i32 s6, s0, s5
	s_waitcnt lgkmcnt(0)
	s_barrier
	s_and_saveexec_b64 s[0:1], vcc
	s_cbranch_execz .LBB214_47
; %bb.46:
	s_ashr_i32 s7, s6, 31
	s_lshl_b64 s[10:11], s[6:7], 2
	s_add_u32 s5, s26, s10
	s_mul_i32 s12, s23, s2
	s_addc_u32 s7, s27, s11
	s_ashr_i32 s13, s12, 31
	s_lshl_b64 s[12:13], s[12:13], 2
	s_add_u32 s2, s5, s12
	s_addc_u32 s7, s7, s13
	s_ashr_i32 s5, s4, 31
	s_lshl_b64 s[18:19], s[4:5], 2
	s_add_u32 s26, s2, s18
	s_addc_u32 s27, s7, s19
	s_add_u32 s2, s24, s10
	s_addc_u32 s5, s25, s11
	;; [unrolled: 2-line block ×3, first 2 shown]
	s_add_u32 s10, s2, s18
	v_mov_b32_e32 v2, 0
	s_addc_u32 s11, s5, s19
	global_store_dword v2, v5, s[26:27]
	global_store_dword v2, v6, s[10:11]
.LBB214_47:
	s_or_b64 exec, exec, s[0:1]
	v_mov_b32_e32 v7, 0
	v_lshrrev_b32_e32 v59, 2, v4
	v_mov_b32_e32 v6, 0
	v_mov_b32_e32 v9, 0
	;; [unrolled: 1-line block ×7, first 2 shown]
	s_and_saveexec_b64 s[10:11], s[8:9]
	s_cbranch_execz .LBB214_71
; %bb.48:
	s_sub_i32 s5, s16, s21
	s_ashr_i32 s0, s20, 31
	s_add_u32 s8, s40, s20
	s_addc_u32 s9, s41, s0
	s_abs_i32 s22, s22
	v_cvt_f32_u32_e32 v2, s22
	v_or_b32_e32 v3, 0x70, v59
	s_movk_i32 s0, 0x78
	v_and_b32_e32 v60, 12, v34
	v_rcp_iflag_f32_e32 v2, v2
	v_cmp_gt_u32_e32 vcc, s0, v3
	s_sub_i32 s0, 0, s22
	v_lshl_or_b32 v16, v3, 4, v60
	v_mul_f32_e32 v2, 0x4f7ffffe, v2
	v_cvt_u32_f32_e32 v2, v2
	s_add_i32 s24, s3, -1
	v_mov_b32_e32 v15, 0
	s_mov_b32 s7, s17
	v_mul_lo_u32 v3, s0, v2
	v_mul_hi_u32 v3, v2, v3
	s_lshl_b64 s[0:1], s[38:39], 2
	v_add_u32_e32 v61, v2, v3
	s_add_u32 s0, s36, s0
	v_lshlrev_b32_e32 v2, 4, v26
	s_addc_u32 s1, s37, s1
	v_lshl_or_b32 v2, v35, 6, v2
	v_lshl_or_b32 v14, v59, 4, v60
	v_mov_b32_e32 v17, v15
	v_lshl_add_u64 v[18:19], v[28:29], 2, s[0:1]
	v_add_u32_e32 v29, 0x1f0, v2
	s_mov_b64 s[12:13], 0
	v_mov_b32_e32 v12, v15
	v_mov_b32_e32 v13, v15
	;; [unrolled: 1-line block ×8, first 2 shown]
	s_branch .LBB214_52
.LBB214_49:                             ;   in Loop: Header=BB214_52 Depth=1
	s_or_b64 exec, exec, s[18:19]
	v_mul_f32_e32 v55, v3, v55
	v_fmac_f32_e32 v55, v2, v54
	v_fmac_f32_e32 v55, v4, v32
	v_fmac_f32_e32 v55, v5, v33
	v_add_f32_e32 v7, v7, v55
.LBB214_50:                             ;   in Loop: Header=BB214_52 Depth=1
	s_or_b64 exec, exec, s[2:3]
	v_mul_f32_e32 v23, v3, v23
	v_fmac_f32_e32 v23, v2, v22
	v_fmac_f32_e32 v23, v4, v20
	v_mul_f32_e32 v20, v3, v31
	v_fmac_f32_e32 v20, v2, v30
	v_fmac_f32_e32 v20, v4, v24
	v_fmac_f32_e32 v20, v5, v25
	v_add_f32_e32 v13, v13, v20
	v_mul_f32_e32 v20, v3, v37
	v_fmac_f32_e32 v20, v2, v36
	v_fmac_f32_e32 v20, v4, v34
	v_fmac_f32_e32 v20, v5, v35
	v_add_f32_e32 v10, v10, v20
	;; [unrolled: 5-line block ×4, first 2 shown]
	v_mul_f32_e32 v20, v3, v51
	v_mul_f32_e32 v3, v3, v53
	v_fmac_f32_e32 v20, v2, v50
	v_fmac_f32_e32 v3, v2, v52
	;; [unrolled: 1-line block ×7, first 2 shown]
	v_add_f32_e32 v12, v12, v23
	v_add_f32_e32 v9, v9, v20
	;; [unrolled: 1-line block ×3, first 2 shown]
.LBB214_51:                             ;   in Loop: Header=BB214_52 Depth=1
	s_or_b64 exec, exec, s[16:17]
	v_add_u32_e32 v28, 2, v28
	v_cmp_le_i32_e64 s[0:1], s49, v28
	v_lshl_add_u64 v[18:19], v[18:19], 0, 8
	v_add_u32_e32 v57, 32, v57
	s_or_b64 s[12:13], s[0:1], s[12:13]
	v_add_u32_e32 v29, 0x80, v29
	s_andn2_b64 exec, exec, s[12:13]
	s_cbranch_execz .LBB214_70
.LBB214_52:                             ; =>This Inner Loop Header: Depth=1
	v_sub_u32_e32 v3, 0, v57
	v_max_i32_e32 v3, v57, v3
	v_mul_hi_u32 v4, v3, s35
	v_mul_lo_u32 v5, v4, s29
	v_sub_u32_e32 v3, v3, v5
	v_add_u32_e32 v5, 1, v4
	v_cmp_le_u32_e64 s[0:1], s29, v3
	v_ashrrev_i32_e32 v2, 31, v57
	v_xor_b32_e32 v2, s48, v2
	v_cndmask_b32_e64 v4, v4, v5, s[0:1]
	v_subrev_u32_e32 v5, s29, v3
	v_cndmask_b32_e64 v3, v3, v5, s[0:1]
	v_add_u32_e32 v5, 1, v4
	v_cmp_le_u32_e64 s[0:1], s29, v3
	s_nop 1
	v_cndmask_b32_e64 v3, v4, v5, s[0:1]
	v_xor_b32_e32 v3, v3, v2
	v_sub_u32_e32 v2, v3, v2
	v_add_u32_e32 v3, s42, v2
	v_sub_u32_e32 v5, 0, v3
	v_ashrrev_i32_e32 v4, 31, v3
	v_max_i32_e32 v3, v3, v5
	v_mul_hi_u32 v5, v3, v61
	v_mul_lo_u32 v5, v5, s22
	v_sub_u32_e32 v3, v3, v5
	v_subrev_u32_e32 v5, s22, v3
	v_cmp_le_u32_e64 s[0:1], s22, v3
	v_cmp_lt_i32_e64 s[2:3], s5, v2
	s_nop 0
	v_cndmask_b32_e64 v3, v3, v5, s[0:1]
	v_subrev_u32_e32 v5, s22, v3
	v_cmp_le_u32_e64 s[0:1], s22, v3
	s_nop 1
	v_cndmask_b32_e64 v3, v3, v5, s[0:1]
	v_xor_b32_e32 v3, v3, v4
	v_sub_u32_e32 v3, v3, v4
	v_cmp_eq_u32_e64 s[0:1], 0, v3
	s_or_b64 s[0:1], s[0:1], s[2:3]
	s_and_saveexec_b64 s[16:17], s[0:1]
	s_cbranch_execz .LBB214_51
; %bb.53:                               ;   in Loop: Header=BB214_52 Depth=1
	global_load_dword v4, v[18:19], off
	v_mov_b64_e32 v[2:3], s[8:9]
	s_load_dword s18, s[14:15], 0x0
	v_add_u32_e32 v62, v60, v57
	s_waitcnt vmcnt(0)
	v_mad_i64_i32 v[32:33], s[0:1], v4, s7, v[2:3]
	v_lshl_add_u64 v[38:39], v[32:33], 0, v[14:15]
	global_load_dword v20, v[38:39], off
	ds_read_b128 v[2:5], v29
	v_cmp_eq_u32_e64 s[0:1], s24, v28
	s_waitcnt vmcnt(0)
	v_and_b32_e32 v21, 0xffff, v20
	v_lshrrev_b32_e32 v22, 16, v20
	v_cvt_pk_f32_fp8_e32 v[20:21], v21
	v_cvt_pk_f32_fp8_e32 v[24:25], v22
	s_waitcnt lgkmcnt(0)
	v_pk_mul_f32 v[22:23], s[18:19], v[20:21] op_sel_hi:[0,1]
	v_pk_mul_f32 v[20:21], s[18:19], v[24:25] op_sel_hi:[0,1]
	s_and_saveexec_b64 s[20:21], s[0:1]
; %bb.54:                               ;   in Loop: Header=BB214_52 Depth=1
	v_cmp_gt_i32_e64 s[2:3], s33, v62
	v_add_u32_e32 v24, 1, v62
	s_nop 0
	v_cndmask_b32_e64 v22, 0, v22, s[2:3]
	v_cmp_gt_i32_e64 s[2:3], s33, v24
	v_add_u32_e32 v24, 2, v62
	s_nop 0
	v_cndmask_b32_e64 v23, 0, v23, s[2:3]
	;; [unrolled: 4-line block ×3, first 2 shown]
	v_cmp_gt_i32_e64 s[2:3], s33, v24
	s_nop 1
	v_cndmask_b32_e64 v21, 0, v21, s[2:3]
; %bb.55:                               ;   in Loop: Header=BB214_52 Depth=1
	s_or_b64 exec, exec, s[20:21]
	global_load_dword v24, v[38:39], off offset:256
	s_mov_b32 s19, s18
	s_waitcnt vmcnt(0)
	v_and_b32_e32 v25, 0xffff, v24
	v_lshrrev_b32_e32 v30, 16, v24
	v_cvt_pk_f32_fp8_e32 v[24:25], v25
	v_cvt_pk_f32_fp8_e32 v[34:35], v30
	v_pk_mul_f32 v[30:31], s[18:19], v[24:25]
	v_pk_mul_f32 v[24:25], s[18:19], v[34:35]
	s_and_saveexec_b64 s[20:21], s[0:1]
; %bb.56:                               ;   in Loop: Header=BB214_52 Depth=1
	v_cmp_gt_i32_e64 s[2:3], s33, v62
	v_add_u32_e32 v34, 1, v62
	s_nop 0
	v_cndmask_b32_e64 v30, 0, v30, s[2:3]
	v_cmp_gt_i32_e64 s[2:3], s33, v34
	v_add_u32_e32 v34, 2, v62
	s_nop 0
	v_cndmask_b32_e64 v31, 0, v31, s[2:3]
	v_cmp_gt_i32_e64 s[2:3], s33, v34
	v_add_u32_e32 v34, 3, v62
	s_nop 0
	v_cndmask_b32_e64 v24, 0, v24, s[2:3]
	v_cmp_gt_i32_e64 s[2:3], s33, v34
	s_nop 1
	v_cndmask_b32_e64 v25, 0, v25, s[2:3]
; %bb.57:                               ;   in Loop: Header=BB214_52 Depth=1
	s_or_b64 exec, exec, s[20:21]
	global_load_dword v34, v[38:39], off offset:512
	s_waitcnt vmcnt(0)
	v_and_b32_e32 v35, 0xffff, v34
	v_lshrrev_b32_e32 v36, 16, v34
	v_cvt_pk_f32_fp8_e32 v[34:35], v35
	v_cvt_pk_f32_fp8_e32 v[40:41], v36
	v_pk_mul_f32 v[36:37], s[18:19], v[34:35]
	v_pk_mul_f32 v[34:35], s[18:19], v[40:41]
	s_and_saveexec_b64 s[20:21], s[0:1]
; %bb.58:                               ;   in Loop: Header=BB214_52 Depth=1
	v_cmp_gt_i32_e64 s[2:3], s33, v62
	v_add_u32_e32 v40, 1, v62
	s_nop 0
	v_cndmask_b32_e64 v36, 0, v36, s[2:3]
	v_cmp_gt_i32_e64 s[2:3], s33, v40
	v_add_u32_e32 v40, 2, v62
	s_nop 0
	v_cndmask_b32_e64 v37, 0, v37, s[2:3]
	v_cmp_gt_i32_e64 s[2:3], s33, v40
	v_add_u32_e32 v40, 3, v62
	s_nop 0
	v_cndmask_b32_e64 v34, 0, v34, s[2:3]
	v_cmp_gt_i32_e64 s[2:3], s33, v40
	s_nop 1
	v_cndmask_b32_e64 v35, 0, v35, s[2:3]
; %bb.59:                               ;   in Loop: Header=BB214_52 Depth=1
	s_or_b64 exec, exec, s[20:21]
	global_load_dword v40, v[38:39], off offset:768
	s_waitcnt vmcnt(0)
	v_and_b32_e32 v41, 0xffff, v40
	v_lshrrev_b32_e32 v42, 16, v40
	v_cvt_pk_f32_fp8_e32 v[40:41], v41
	v_cvt_pk_f32_fp8_e32 v[44:45], v42
	v_pk_mul_f32 v[42:43], s[18:19], v[40:41]
	v_pk_mul_f32 v[40:41], s[18:19], v[44:45]
	s_and_saveexec_b64 s[20:21], s[0:1]
; %bb.60:                               ;   in Loop: Header=BB214_52 Depth=1
	v_cmp_gt_i32_e64 s[2:3], s33, v62
	v_add_u32_e32 v44, 1, v62
	s_nop 0
	v_cndmask_b32_e64 v42, 0, v42, s[2:3]
	v_cmp_gt_i32_e64 s[2:3], s33, v44
	v_add_u32_e32 v44, 2, v62
	s_nop 0
	v_cndmask_b32_e64 v43, 0, v43, s[2:3]
	v_cmp_gt_i32_e64 s[2:3], s33, v44
	v_add_u32_e32 v44, 3, v62
	s_nop 0
	v_cndmask_b32_e64 v40, 0, v40, s[2:3]
	v_cmp_gt_i32_e64 s[2:3], s33, v44
	s_nop 1
	v_cndmask_b32_e64 v41, 0, v41, s[2:3]
; %bb.61:                               ;   in Loop: Header=BB214_52 Depth=1
	s_or_b64 exec, exec, s[20:21]
	global_load_dword v44, v[38:39], off offset:1024
	s_waitcnt vmcnt(0)
	v_and_b32_e32 v45, 0xffff, v44
	v_lshrrev_b32_e32 v46, 16, v44
	v_cvt_pk_f32_fp8_e32 v[44:45], v45
	v_cvt_pk_f32_fp8_e32 v[48:49], v46
	v_pk_mul_f32 v[46:47], s[18:19], v[44:45]
	v_pk_mul_f32 v[44:45], s[18:19], v[48:49]
	s_and_saveexec_b64 s[20:21], s[0:1]
; %bb.62:                               ;   in Loop: Header=BB214_52 Depth=1
	v_cmp_gt_i32_e64 s[2:3], s33, v62
	v_add_u32_e32 v48, 1, v62
	s_nop 0
	v_cndmask_b32_e64 v46, 0, v46, s[2:3]
	v_cmp_gt_i32_e64 s[2:3], s33, v48
	v_add_u32_e32 v48, 2, v62
	s_nop 0
	v_cndmask_b32_e64 v47, 0, v47, s[2:3]
	v_cmp_gt_i32_e64 s[2:3], s33, v48
	v_add_u32_e32 v48, 3, v62
	s_nop 0
	v_cndmask_b32_e64 v44, 0, v44, s[2:3]
	v_cmp_gt_i32_e64 s[2:3], s33, v48
	s_nop 1
	v_cndmask_b32_e64 v45, 0, v45, s[2:3]
; %bb.63:                               ;   in Loop: Header=BB214_52 Depth=1
	s_or_b64 exec, exec, s[20:21]
	global_load_dword v48, v[38:39], off offset:1280
	s_waitcnt vmcnt(0)
	v_and_b32_e32 v49, 0xffff, v48
	v_lshrrev_b32_e32 v50, 16, v48
	v_cvt_pk_f32_fp8_e32 v[48:49], v49
	v_cvt_pk_f32_fp8_e32 v[52:53], v50
	v_pk_mul_f32 v[50:51], s[18:19], v[48:49]
	v_pk_mul_f32 v[48:49], s[18:19], v[52:53]
	s_and_saveexec_b64 s[20:21], s[0:1]
; %bb.64:                               ;   in Loop: Header=BB214_52 Depth=1
	v_cmp_gt_i32_e64 s[2:3], s33, v62
	v_add_u32_e32 v52, 1, v62
	s_nop 0
	v_cndmask_b32_e64 v50, 0, v50, s[2:3]
	v_cmp_gt_i32_e64 s[2:3], s33, v52
	v_add_u32_e32 v52, 2, v62
	s_nop 0
	v_cndmask_b32_e64 v51, 0, v51, s[2:3]
	v_cmp_gt_i32_e64 s[2:3], s33, v52
	v_add_u32_e32 v52, 3, v62
	s_nop 0
	v_cndmask_b32_e64 v48, 0, v48, s[2:3]
	v_cmp_gt_i32_e64 s[2:3], s33, v52
	s_nop 1
	v_cndmask_b32_e64 v49, 0, v49, s[2:3]
; %bb.65:                               ;   in Loop: Header=BB214_52 Depth=1
	s_or_b64 exec, exec, s[20:21]
	global_load_dword v38, v[38:39], off offset:1536
	s_waitcnt vmcnt(0)
	v_and_b32_e32 v39, 0xffff, v38
	v_lshrrev_b32_e32 v52, 16, v38
	v_cvt_pk_f32_fp8_e32 v[38:39], v39
	v_cvt_pk_f32_fp8_e32 v[54:55], v52
	v_pk_mul_f32 v[52:53], s[18:19], v[38:39]
	v_pk_mul_f32 v[38:39], s[18:19], v[54:55]
	s_and_saveexec_b64 s[20:21], s[0:1]
; %bb.66:                               ;   in Loop: Header=BB214_52 Depth=1
	v_cmp_gt_i32_e64 s[2:3], s33, v62
	v_add_u32_e32 v54, 1, v62
	s_nop 0
	v_cndmask_b32_e64 v52, 0, v52, s[2:3]
	v_cmp_gt_i32_e64 s[2:3], s33, v54
	v_add_u32_e32 v54, 2, v62
	s_nop 0
	v_cndmask_b32_e64 v53, 0, v53, s[2:3]
	;; [unrolled: 4-line block ×3, first 2 shown]
	v_cmp_gt_i32_e64 s[2:3], s33, v54
	s_nop 1
	v_cndmask_b32_e64 v39, 0, v39, s[2:3]
; %bb.67:                               ;   in Loop: Header=BB214_52 Depth=1
	s_or_b64 exec, exec, s[20:21]
	s_and_saveexec_b64 s[2:3], vcc
	s_cbranch_execz .LBB214_50
; %bb.68:                               ;   in Loop: Header=BB214_52 Depth=1
	v_lshl_add_u64 v[32:33], v[32:33], 0, v[16:17]
	global_load_dword v32, v[32:33], off
	s_waitcnt vmcnt(0)
	v_and_b32_e32 v33, 0xffff, v32
	v_lshrrev_b32_e32 v54, 16, v32
	v_cvt_pk_f32_fp8_e32 v[32:33], v33
	v_cvt_pk_f32_fp8_e32 v[64:65], v54
	v_pk_mul_f32 v[54:55], s[18:19], v[32:33]
	v_pk_mul_f32 v[32:33], s[18:19], v[64:65]
	s_and_saveexec_b64 s[18:19], s[0:1]
	s_cbranch_execz .LBB214_49
; %bb.69:                               ;   in Loop: Header=BB214_52 Depth=1
	v_cmp_gt_i32_e64 s[0:1], s33, v62
	v_add_u32_e32 v63, 1, v62
	s_nop 0
	v_cndmask_b32_e64 v54, 0, v54, s[0:1]
	v_cmp_gt_i32_e64 s[0:1], s33, v63
	v_add_u32_e32 v63, 2, v62
	v_add_u32_e32 v62, 3, v62
	v_cndmask_b32_e64 v55, 0, v55, s[0:1]
	v_cmp_gt_i32_e64 s[0:1], s33, v63
	s_nop 1
	v_cndmask_b32_e64 v32, 0, v32, s[0:1]
	v_cmp_gt_i32_e64 s[0:1], s33, v62
	s_nop 1
	v_cndmask_b32_e64 v33, 0, v33, s[0:1]
	s_branch .LBB214_49
.LBB214_70:
	s_or_b64 exec, exec, s[12:13]
.LBB214_71:
	s_or_b64 exec, exec, s[10:11]
	ds_bpermute_b32 v4, v58, v10
	ds_bpermute_b32 v5, v58, v11
	;; [unrolled: 1-line block ×6, first 2 shown]
	s_waitcnt lgkmcnt(4)
	v_pk_add_f32 v[4:5], v[10:11], v[4:5]
	ds_bpermute_b32 v10, v58, v8
	ds_bpermute_b32 v11, v58, v9
	s_waitcnt lgkmcnt(4)
	v_pk_add_f32 v[2:3], v[12:13], v[2:3]
	ds_bpermute_b32 v14, v27, v4
	ds_bpermute_b32 v15, v27, v5
	s_waitcnt lgkmcnt(4)
	v_pk_add_f32 v[16:17], v[6:7], v[16:17]
	s_waitcnt lgkmcnt(2)
	v_pk_add_f32 v[10:11], v[8:9], v[10:11]
	ds_bpermute_b32 v18, v27, v10
	ds_bpermute_b32 v19, v27, v11
	;; [unrolled: 1-line block ×6, first 2 shown]
	s_waitcnt lgkmcnt(6)
	v_pk_add_f32 v[6:7], v[4:5], v[14:15]
	s_waitcnt lgkmcnt(4)
	v_pk_add_f32 v[4:5], v[10:11], v[18:19]
	v_and_b32_e32 v10, 0x3c0, v0
	s_waitcnt lgkmcnt(2)
	v_pk_add_f32 v[8:9], v[2:3], v[12:13]
	s_waitcnt lgkmcnt(0)
	v_pk_add_f32 v[2:3], v[16:17], v[20:21]
	v_cmp_eq_u32_e32 vcc, 64, v10
	s_barrier
	s_and_saveexec_b64 s[2:3], vcc
	s_cbranch_execz .LBB214_76
; %bb.72:
	v_cmp_eq_u32_e32 vcc, 0, v26
	s_and_saveexec_b64 s[0:1], vcc
	s_cbranch_execz .LBB214_74
; %bb.73:
	v_mov_b32_e32 v10, 0x1f0
	v_lshl_add_u32 v10, v59, 2, v10
	ds_write2_b32 v10, v8, v9 offset1:16
	ds_write2_b32 v10, v6, v7 offset0:32 offset1:48
	ds_write2_b32 v10, v4, v5 offset0:64 offset1:80
	ds_write_b32 v10, v2 offset:384
.LBB214_74:
	s_or_b64 exec, exec, s[0:1]
	v_or_b32_e32 v10, 0x70, v59
	s_movk_i32 s0, 0x78
	v_cmp_gt_u32_e64 s[0:1], s0, v10
	s_and_b64 s[0:1], vcc, s[0:1]
	s_and_b64 exec, exec, s[0:1]
	s_cbranch_execz .LBB214_76
; %bb.75:
	v_mov_b32_e32 v10, 0x1f0
	v_lshl_add_u32 v10, v59, 2, v10
	ds_write_b32 v10, v3 offset:448
.LBB214_76:
	s_or_b64 exec, exec, s[2:3]
	v_cmp_gt_u32_e32 vcc, 64, v0
	s_waitcnt lgkmcnt(0)
	s_barrier
	s_and_saveexec_b64 s[8:9], vcc
	s_cbranch_execz .LBB214_94
; %bb.77:
	v_cmp_eq_u32_e64 s[0:1], 0, v26
	s_and_saveexec_b64 s[2:3], s[0:1]
	s_cbranch_execz .LBB214_79
; %bb.78:
	v_mov_b32_e32 v0, 0x1f0
	v_lshl_add_u32 v0, v56, 2, v0
	ds_read_b32 v0, v0
	s_waitcnt lgkmcnt(0)
	v_add_f32_e32 v8, v8, v0
.LBB214_79:
	s_or_b64 exec, exec, s[2:3]
	v_or_b32_e32 v0, 16, v56
	s_movk_i32 s5, 0x78
	v_cmp_gt_u32_e64 s[2:3], s5, v0
	s_and_b64 s[10:11], s[0:1], s[2:3]
	s_and_saveexec_b64 s[2:3], s[10:11]
	s_cbranch_execz .LBB214_81
; %bb.80:
	v_mov_b32_e32 v0, 0x1f0
	v_lshl_add_u32 v0, v56, 2, v0
	ds_read_b32 v0, v0 offset:64
	s_waitcnt lgkmcnt(0)
	v_add_f32_e32 v9, v9, v0
.LBB214_81:
	s_or_b64 exec, exec, s[2:3]
	v_or_b32_e32 v0, 32, v56
	v_cmp_gt_u32_e64 s[2:3], s5, v0
	s_and_b64 s[10:11], s[0:1], s[2:3]
	s_and_saveexec_b64 s[2:3], s[10:11]
	s_cbranch_execz .LBB214_83
; %bb.82:
	v_mov_b32_e32 v0, 0x1f0
	v_lshl_add_u32 v0, v56, 2, v0
	ds_read_b32 v0, v0 offset:128
	s_waitcnt lgkmcnt(0)
	v_add_f32_e32 v6, v6, v0
.LBB214_83:
	s_or_b64 exec, exec, s[2:3]
	v_or_b32_e32 v0, 48, v56
	;; [unrolled: 13-line block ×6, first 2 shown]
	s_movk_i32 s2, 0x78
	v_cmp_gt_u32_e64 s[2:3], s2, v0
	s_and_b64 s[2:3], s[0:1], s[2:3]
	s_and_saveexec_b64 s[0:1], s[2:3]
	s_cbranch_execz .LBB214_93
; %bb.92:
	v_mov_b32_e32 v0, 0x1f0
	v_lshl_add_u32 v0, v56, 2, v0
	ds_read_b32 v0, v0 offset:448
	s_waitcnt lgkmcnt(0)
	v_add_f32_e32 v3, v3, v0
.LBB214_93:
	s_or_b64 exec, exec, s[0:1]
.LBB214_94:
	s_or_b64 exec, exec, s[8:9]
	s_barrier
	s_and_saveexec_b64 s[0:1], vcc
	s_cbranch_execz .LBB214_111
; %bb.95:
	s_mul_i32 s0, s6, 0x78
	s_ashr_i32 s1, s0, 31
	s_lshl_b64 s[0:1], s[0:1], 2
	s_add_u32 s2, s30, s0
	s_mul_i32 s0, s23, s28
	s_addc_u32 s3, s31, s1
	s_ashr_i32 s1, s0, 31
	s_lshl_b64 s[0:1], s[0:1], 2
	s_add_u32 s2, s2, s0
	s_mul_i32 s0, s4, 0x78
	s_addc_u32 s3, s3, s1
	s_ashr_i32 s1, s0, 31
	s_lshl_b64 s[0:1], s[0:1], 2
	s_add_u32 s2, s2, s0
	s_movk_i32 s5, 0x78
	s_addc_u32 s3, s3, s1
	v_cmp_eq_u32_e32 vcc, 0, v26
	s_and_saveexec_b64 s[0:1], vcc
	s_cbranch_execz .LBB214_97
; %bb.96:
	global_store_dword v1, v8, s[2:3]
.LBB214_97:
	s_or_b64 exec, exec, s[0:1]
	v_or_b32_e32 v0, 16, v56
	v_cmp_gt_u32_e64 s[0:1], s5, v0
	s_and_b64 s[4:5], vcc, s[0:1]
	s_and_saveexec_b64 s[0:1], s[4:5]
	s_cbranch_execz .LBB214_99
; %bb.98:
	global_store_dword v1, v9, s[2:3] offset:64
.LBB214_99:
	s_or_b64 exec, exec, s[0:1]
	v_or_b32_e32 v0, 32, v56
	s_movk_i32 s4, 0x78
	v_cmp_gt_u32_e64 s[0:1], s4, v0
	s_and_b64 s[6:7], vcc, s[0:1]
	s_and_saveexec_b64 s[0:1], s[6:7]
	s_cbranch_execz .LBB214_101
; %bb.100:
	global_store_dword v1, v6, s[2:3] offset:128
.LBB214_101:
	s_or_b64 exec, exec, s[0:1]
	v_or_b32_e32 v0, 48, v56
	v_cmp_gt_u32_e64 s[0:1], s4, v0
	s_and_b64 s[4:5], vcc, s[0:1]
	s_and_saveexec_b64 s[0:1], s[4:5]
	s_cbranch_execz .LBB214_103
; %bb.102:
	global_store_dword v1, v7, s[2:3] offset:192
.LBB214_103:
	s_or_b64 exec, exec, s[0:1]
	v_or_b32_e32 v0, 64, v56
	s_movk_i32 s4, 0x78
	v_cmp_gt_u32_e64 s[0:1], s4, v0
	s_and_b64 s[6:7], vcc, s[0:1]
	s_and_saveexec_b64 s[0:1], s[6:7]
	s_cbranch_execz .LBB214_105
; %bb.104:
	global_store_dword v1, v4, s[2:3] offset:256
.LBB214_105:
	;; [unrolled: 19-line block ×3, first 2 shown]
	s_or_b64 exec, exec, s[0:1]
	v_or_b32_e32 v0, 0x70, v56
	v_cmp_gt_u32_e64 s[0:1], s4, v0
	s_and_b64 s[0:1], vcc, s[0:1]
	s_and_b64 exec, exec, s[0:1]
	s_cbranch_execz .LBB214_111
; %bb.110:
	global_store_dword v1, v3, s[2:3] offset:448
.LBB214_111:
	s_endpgm
	.section	.rodata,"a",@progbits
	.p2align	6, 0x0
	.amdhsa_kernel _ZN4vllm25paged_attention_v2_kernelIfhLi120ELi16ELi128ELNS_18Fp8KVCacheDataTypeE1ELb1ELi512EEEvPfS2_PT_PKS3_PKT0_S9_ifPKiSB_iPKfiiiSD_SD_iiiii
		.amdhsa_group_segment_fixed_size 496
		.amdhsa_private_segment_fixed_size 0
		.amdhsa_kernarg_size 400
		.amdhsa_user_sgpr_count 2
		.amdhsa_user_sgpr_dispatch_ptr 0
		.amdhsa_user_sgpr_queue_ptr 0
		.amdhsa_user_sgpr_kernarg_segment_ptr 1
		.amdhsa_user_sgpr_dispatch_id 0
		.amdhsa_user_sgpr_kernarg_preload_length 0
		.amdhsa_user_sgpr_kernarg_preload_offset 0
		.amdhsa_user_sgpr_private_segment_size 0
		.amdhsa_uses_dynamic_stack 0
		.amdhsa_enable_private_segment 0
		.amdhsa_system_sgpr_workgroup_id_x 1
		.amdhsa_system_sgpr_workgroup_id_y 1
		.amdhsa_system_sgpr_workgroup_id_z 1
		.amdhsa_system_sgpr_workgroup_info 0
		.amdhsa_system_vgpr_workitem_id 0
		.amdhsa_next_free_vgpr 89
		.amdhsa_next_free_sgpr 56
		.amdhsa_accum_offset 92
		.amdhsa_reserve_vcc 1
		.amdhsa_float_round_mode_32 0
		.amdhsa_float_round_mode_16_64 0
		.amdhsa_float_denorm_mode_32 3
		.amdhsa_float_denorm_mode_16_64 3
		.amdhsa_dx10_clamp 1
		.amdhsa_ieee_mode 1
		.amdhsa_fp16_overflow 0
		.amdhsa_tg_split 0
		.amdhsa_exception_fp_ieee_invalid_op 0
		.amdhsa_exception_fp_denorm_src 0
		.amdhsa_exception_fp_ieee_div_zero 0
		.amdhsa_exception_fp_ieee_overflow 0
		.amdhsa_exception_fp_ieee_underflow 0
		.amdhsa_exception_fp_ieee_inexact 0
		.amdhsa_exception_int_div_zero 0
	.end_amdhsa_kernel
	.section	.text._ZN4vllm25paged_attention_v2_kernelIfhLi120ELi16ELi128ELNS_18Fp8KVCacheDataTypeE1ELb1ELi512EEEvPfS2_PT_PKS3_PKT0_S9_ifPKiSB_iPKfiiiSD_SD_iiiii,"axG",@progbits,_ZN4vllm25paged_attention_v2_kernelIfhLi120ELi16ELi128ELNS_18Fp8KVCacheDataTypeE1ELb1ELi512EEEvPfS2_PT_PKS3_PKT0_S9_ifPKiSB_iPKfiiiSD_SD_iiiii,comdat
.Lfunc_end214:
	.size	_ZN4vllm25paged_attention_v2_kernelIfhLi120ELi16ELi128ELNS_18Fp8KVCacheDataTypeE1ELb1ELi512EEEvPfS2_PT_PKS3_PKT0_S9_ifPKiSB_iPKfiiiSD_SD_iiiii, .Lfunc_end214-_ZN4vllm25paged_attention_v2_kernelIfhLi120ELi16ELi128ELNS_18Fp8KVCacheDataTypeE1ELb1ELi512EEEvPfS2_PT_PKS3_PKT0_S9_ifPKiSB_iPKfiiiSD_SD_iiiii
                                        ; -- End function
	.section	.AMDGPU.csdata,"",@progbits
; Kernel info:
; codeLenInByte = 7192
; NumSgprs: 62
; NumVgprs: 89
; NumAgprs: 0
; TotalNumVgprs: 89
; ScratchSize: 0
; MemoryBound: 0
; FloatMode: 240
; IeeeMode: 1
; LDSByteSize: 496 bytes/workgroup (compile time only)
; SGPRBlocks: 7
; VGPRBlocks: 11
; NumSGPRsForWavesPerEU: 62
; NumVGPRsForWavesPerEU: 89
; AccumOffset: 92
; Occupancy: 5
; WaveLimiterHint : 1
; COMPUTE_PGM_RSRC2:SCRATCH_EN: 0
; COMPUTE_PGM_RSRC2:USER_SGPR: 2
; COMPUTE_PGM_RSRC2:TRAP_HANDLER: 0
; COMPUTE_PGM_RSRC2:TGID_X_EN: 1
; COMPUTE_PGM_RSRC2:TGID_Y_EN: 1
; COMPUTE_PGM_RSRC2:TGID_Z_EN: 1
; COMPUTE_PGM_RSRC2:TIDIG_COMP_CNT: 0
; COMPUTE_PGM_RSRC3_GFX90A:ACCUM_OFFSET: 22
; COMPUTE_PGM_RSRC3_GFX90A:TG_SPLIT: 0
	.section	.text._ZN4vllm25paged_attention_v2_kernelIfhLi128ELi16ELi128ELNS_18Fp8KVCacheDataTypeE1ELb1ELi512EEEvPfS2_PT_PKS3_PKT0_S9_ifPKiSB_iPKfiiiSD_SD_iiiii,"axG",@progbits,_ZN4vllm25paged_attention_v2_kernelIfhLi128ELi16ELi128ELNS_18Fp8KVCacheDataTypeE1ELb1ELi512EEEvPfS2_PT_PKS3_PKT0_S9_ifPKiSB_iPKfiiiSD_SD_iiiii,comdat
	.protected	_ZN4vllm25paged_attention_v2_kernelIfhLi128ELi16ELi128ELNS_18Fp8KVCacheDataTypeE1ELb1ELi512EEEvPfS2_PT_PKS3_PKT0_S9_ifPKiSB_iPKfiiiSD_SD_iiiii ; -- Begin function _ZN4vllm25paged_attention_v2_kernelIfhLi128ELi16ELi128ELNS_18Fp8KVCacheDataTypeE1ELb1ELi512EEEvPfS2_PT_PKS3_PKT0_S9_ifPKiSB_iPKfiiiSD_SD_iiiii
	.globl	_ZN4vllm25paged_attention_v2_kernelIfhLi128ELi16ELi128ELNS_18Fp8KVCacheDataTypeE1ELb1ELi512EEEvPfS2_PT_PKS3_PKT0_S9_ifPKiSB_iPKfiiiSD_SD_iiiii
	.p2align	8
	.type	_ZN4vllm25paged_attention_v2_kernelIfhLi128ELi16ELi128ELNS_18Fp8KVCacheDataTypeE1ELb1ELi512EEEvPfS2_PT_PKS3_PKT0_S9_ifPKiSB_iPKfiiiSD_SD_iiiii,@function
_ZN4vllm25paged_attention_v2_kernelIfhLi128ELi16ELi128ELNS_18Fp8KVCacheDataTypeE1ELb1ELi512EEEvPfS2_PT_PKS3_PKT0_S9_ifPKiSB_iPKfiiiSD_SD_iiiii: ; @_ZN4vllm25paged_attention_v2_kernelIfhLi128ELi16ELi128ELNS_18Fp8KVCacheDataTypeE1ELb1ELi512EEEvPfS2_PT_PKS3_PKT0_S9_ifPKiSB_iPKfiiiSD_SD_iiiii
; %bb.0:
	s_load_dwordx2 s[6:7], s[0:1], 0x40
	s_mov_b32 s34, s3
	s_ashr_i32 s35, s3, 31
	s_lshl_b64 s[8:9], s[34:35], 2
	s_waitcnt lgkmcnt(0)
	s_add_u32 s6, s6, s8
	s_addc_u32 s7, s7, s9
	s_load_dword s33, s[6:7], 0x0
	s_lshl_b32 s52, s4, 9
	s_waitcnt lgkmcnt(0)
	s_cmp_ge_i32 s52, s33
	s_cbranch_scc1 .LBB215_84
; %bb.1:
	s_load_dword s5, s[0:1], 0x90
	s_load_dwordx2 s[42:43], s[0:1], 0x30
	s_waitcnt lgkmcnt(0)
	s_abs_i32 s7, s5
	s_abs_i32 s3, s42
	v_cvt_f32_u32_e32 v1, s3
	s_sub_i32 s8, 0, s3
	s_xor_b32 s6, s5, s42
	s_ashr_i32 s6, s6, 31
	v_rcp_iflag_f32_e32 v1, v1
	s_nop 0
	v_mul_f32_e32 v1, 0x4f7ffffe, v1
	v_cvt_u32_f32_e32 v1, v1
	s_nop 0
	v_readfirstlane_b32 s9, v1
	s_mul_i32 s8, s8, s9
	s_mul_hi_u32 s8, s9, s8
	s_add_i32 s9, s9, s8
	s_mul_hi_u32 s8, s7, s9
	s_mul_i32 s9, s8, s3
	s_sub_i32 s7, s7, s9
	s_add_i32 s10, s8, 1
	s_sub_i32 s9, s7, s3
	s_cmp_ge_u32 s7, s3
	s_cselect_b32 s8, s10, s8
	s_cselect_b32 s7, s9, s7
	s_add_i32 s9, s8, 1
	s_cmp_ge_u32 s7, s3
	s_cselect_b32 s3, s9, s8
	s_xor_b32 s3, s3, s6
	s_sub_i32 s12, s3, s6
	s_abs_i32 s8, s12
	v_cvt_f32_u32_e32 v1, s8
	s_load_dwordx2 s[6:7], s[0:1], 0x50
	s_sub_i32 s10, 0, s8
	s_abs_i32 s9, s2
	v_rcp_iflag_f32_e32 v1, v1
	s_mov_b32 s3, 0
	v_mul_f32_e32 v1, 0x4f7ffffe, v1
	v_cvt_u32_f32_e32 v1, v1
	s_nop 0
	v_readfirstlane_b32 s11, v1
	s_mul_i32 s10, s10, s11
	s_mul_hi_u32 s10, s11, s10
	s_add_i32 s11, s11, s10
	s_waitcnt lgkmcnt(0)
	s_cmp_eq_u64 s[6:7], 0
	s_mul_hi_u32 s10, s9, s11
	s_cbranch_scc1 .LBB215_3
; %bb.2:
	s_ashr_i32 s3, s2, 31
	s_lshl_b64 s[14:15], s[2:3], 2
	s_add_u32 s6, s6, s14
	s_addc_u32 s7, s7, s15
	s_load_dword s3, s[6:7], 0x0
.LBB215_3:
	s_ashr_i32 s16, s12, 31
	s_load_dwordx4 s[12:15], s[0:1], 0x58
	v_lshrrev_b32_e32 v54, 2, v0
	s_movk_i32 s6, 0x80
	s_ashr_i32 s11, s2, 31
	v_and_b32_e32 v14, 3, v0
	s_lshl_b32 s28, s2, 7
	v_cmp_gt_u32_e32 vcc, s6, v0
	v_lshlrev_b32_e32 v22, 2, v0
	v_lshlrev_b32_e32 v1, 2, v54
	s_and_saveexec_b64 s[6:7], vcc
	s_cbranch_execz .LBB215_5
; %bb.4:
	s_load_dwordx2 s[18:19], s[0:1], 0x18
	s_waitcnt lgkmcnt(0)
	s_mul_i32 s20, s34, s12
	s_ashr_i32 s21, s20, 31
	s_lshl_b64 s[20:21], s[20:21], 2
	v_lshl_add_u32 v3, v14, 7, v1
	s_add_u32 s12, s18, s20
	s_addc_u32 s15, s19, s21
	s_ashr_i32 s29, s28, 31
	s_lshl_b64 s[18:19], s[28:29], 2
	s_add_u32 s18, s12, s18
	s_addc_u32 s19, s15, s19
	global_load_dword v2, v22, s[18:19]
	s_waitcnt vmcnt(0)
	ds_write_b32 v3, v2
.LBB215_5:
	s_or_b64 exec, exec, s[6:7]
	s_mul_i32 s7, s10, s8
	s_sub_i32 s7, s9, s7
	s_xor_b32 s6, s11, s16
	s_add_i32 s9, s10, 1
	s_sub_i32 s11, s7, s8
	s_load_dwordx4 s[16:19], s[0:1], 0x78
	s_cmp_ge_u32 s7, s8
	s_cselect_b32 s9, s9, s10
	s_cselect_b32 s7, s11, s7
	s_add_i32 s10, s9, 1
	s_cmp_ge_u32 s7, s8
	s_cselect_b32 s7, s10, s9
	s_load_dword s10, s[0:1], 0x88
	s_waitcnt lgkmcnt(0)
	s_abs_i32 s35, s19
	v_cvt_f32_u32_e32 v2, s35
	s_xor_b32 s7, s7, s6
	s_sub_i32 s51, s7, s6
	s_sub_i32 s6, 0, s35
	v_rcp_iflag_f32_e32 v2, v2
	s_add_i32 s11, s33, -1
	s_abs_i32 s8, s11
	v_mul_f32_e32 v2, 0x4f7ffffe, v2
	v_cvt_u32_f32_e32 v2, v2
	s_barrier
	v_readfirstlane_b32 s48, v2
	s_mul_i32 s6, s6, s48
	s_mul_hi_u32 s6, s48, s6
	s_add_i32 s48, s48, s6
	s_cmp_lt_i32 s10, 0
	s_mul_hi_u32 s9, s8, s48
	s_cbranch_scc0 .LBB215_7
; %bb.6:
	s_mul_i32 s6, s16, s42
	s_add_i32 s6, s51, s6
	s_mul_i32 s6, s6, s10
	s_sub_i32 s42, 1, s6
	s_mov_b64 s[6:7], 0
	s_branch .LBB215_8
.LBB215_7:
	s_mov_b64 s[6:7], -1
                                        ; implicit-def: $sgpr42
.LBB215_8:
	s_load_dwordx2 s[36:37], s[0:1], 0x38
	s_ashr_i32 s11, s11, 31
	s_andn2_b64 vcc, exec, s[6:7]
	s_ashr_i32 s49, s19, 31
	s_cbranch_vccnz .LBB215_10
; %bb.9:
	s_mul_i32 s6, s5, s16
	s_add_i32 s6, s6, s2
	s_mul_i32 s6, s6, s10
	s_add_i32 s42, s6, 1
.LBB215_10:
	s_load_dwordx2 s[40:41], s[0:1], 0x28
	s_load_dword s6, s[0:1], 0x48
	s_load_dwordx4 s[24:27], s[0:1], 0x0
	s_load_dwordx2 s[30:31], s[0:1], 0x10
	s_load_dword s29, s[0:1], 0x98
	s_load_dwordx4 s[20:23], s[0:1], 0x68
	s_mul_i32 s7, s9, s35
	s_waitcnt lgkmcnt(0)
	s_mul_i32 s38, s34, s6
	s_sub_i32 s7, s8, s7
	s_ashr_i32 s39, s38, 31
	s_xor_b32 s6, s11, s49
	s_add_i32 s8, s9, 1
	s_sub_i32 s10, s7, s35
	s_cmp_ge_u32 s7, s35
	s_cselect_b32 s8, s8, s9
	s_cselect_b32 s7, s10, s7
	s_add_i32 s9, s8, 1
	s_cmp_ge_u32 s7, s35
	s_cselect_b32 s7, s9, s8
	s_xor_b32 s7, s7, s6
	s_sub_i32 s19, s7, s6
	s_add_i32 s6, s33, 15
	s_ashr_i32 s7, s6, 31
	s_lshr_b32 s7, s7, 28
	s_add_i32 s6, s6, s7
	s_lshl_b32 s12, s4, 5
	s_ashr_i32 s16, s6, 4
	s_add_i32 s6, s12, 32
	v_lshrrev_b32_e32 v23, 6, v0
	s_min_i32 s50, s6, s16
	v_or_b32_e32 v16, s12, v23
	v_cmp_gt_i32_e64 s[8:9], s50, v16
	v_mov_b32_e32 v27, 0xff7fffff
	s_mul_i32 s51, s51, s14
	v_ashrrev_i32_e32 v17, 31, v16
	v_lshl_add_u32 v55, v23, 4, s52
	v_mbcnt_lo_u32_b32 v24, -1, 0
	s_and_saveexec_b64 s[14:15], s[8:9]
	s_cbranch_execz .LBB215_20
; %bb.11:
	s_load_dwordx2 s[0:1], s[0:1], 0x20
	s_sub_i32 s53, s19, s17
	s_ashr_i32 s6, s51, 31
	v_bfe_u32 v25, v0, 2, 4
	v_mov_b32_e32 v3, 0
	s_waitcnt lgkmcnt(0)
	s_add_u32 s0, s0, s51
	s_addc_u32 s1, s1, s6
	s_abs_i32 s54, s18
	v_cvt_f32_u32_e32 v2, s54
	v_mbcnt_hi_u32_b32 v33, -1, v24
	v_cmp_eq_u32_e32 vcc, 0, v14
	s_mov_b32 s55, s13
	v_rcp_iflag_f32_e32 v4, v2
	v_lshlrev_b32_e32 v2, 4, v25
	v_lshl_add_u64 v[18:19], s[0:1], 0, v[2:3]
	s_sub_i32 s0, 0, s54
	v_mul_f32_e32 v4, 0x4f7ffffe, v4
	v_cvt_u32_f32_e32 v4, v4
	v_lshlrev_b32_e32 v26, 7, v14
	v_cmp_neq_f32_e64 s[6:7], s3, 0
	v_mov_b32_e32 v15, v3
	v_mul_lo_u32 v2, s0, v4
	v_mul_hi_u32 v2, v4, v2
	v_add_u32_e32 v28, v4, v2
	v_lshlrev_b32_e32 v2, 2, v25
	s_lshl_b64 s[0:1], s[38:39], 2
	v_lshl_or_b32 v2, v23, 6, v2
	s_add_u32 s0, s36, s0
	v_add_u32_e32 v30, 0x210, v2
	v_subrev_u32_e32 v2, s33, v25
	s_addc_u32 s1, s37, s1
	v_add_u32_e32 v31, 1, v2
	v_and_b32_e32 v2, 64, v33
	v_lshl_add_u64 v[20:21], v[16:17], 2, s[0:1]
	v_lshl_add_u32 v29, v23, 4, s52
	s_mov_b64 s[44:45], 0
	v_mov_b32_e32 v32, 0xff7fffff
	v_add_u32_e32 v34, 64, v2
	v_xor_b32_e32 v35, 2, v33
	v_xor_b32_e32 v36, 1, v33
	v_mov_b32_e32 v27, 0xff7fffff
	v_mov_b32_e32 v37, v16
	s_branch .LBB215_14
.LBB215_12:                             ;   in Loop: Header=BB215_14 Depth=1
	s_or_b64 exec, exec, s[46:47]
.LBB215_13:                             ;   in Loop: Header=BB215_14 Depth=1
	s_or_b64 exec, exec, s[10:11]
	v_add_u32_e32 v37, 2, v37
	v_cmp_le_i32_e64 s[0:1], s50, v37
	v_lshl_add_u64 v[20:21], v[20:21], 0, 8
	v_add_u32_e32 v29, 32, v29
	s_or_b64 s[44:45], s[0:1], s[44:45]
	v_add_u32_e32 v30, 0x80, v30
	s_andn2_b64 exec, exec, s[44:45]
	s_cbranch_execz .LBB215_19
.LBB215_14:                             ; =>This Inner Loop Header: Depth=1
	s_waitcnt lgkmcnt(0)
	v_sub_u32_e32 v3, 0, v29
	v_max_i32_e32 v3, v29, v3
	v_mul_hi_u32 v4, v3, s48
	v_mul_lo_u32 v5, v4, s35
	v_sub_u32_e32 v3, v3, v5
	v_add_u32_e32 v5, 1, v4
	v_cmp_le_u32_e64 s[0:1], s35, v3
	v_ashrrev_i32_e32 v2, 31, v29
	v_xor_b32_e32 v2, s49, v2
	v_cndmask_b32_e64 v4, v4, v5, s[0:1]
	v_subrev_u32_e32 v5, s35, v3
	v_cndmask_b32_e64 v3, v3, v5, s[0:1]
	v_add_u32_e32 v5, 1, v4
	v_cmp_le_u32_e64 s[0:1], s35, v3
	s_nop 1
	v_cndmask_b32_e64 v3, v4, v5, s[0:1]
	v_xor_b32_e32 v3, v3, v2
	v_sub_u32_e32 v2, v3, v2
	v_add_u32_e32 v3, s42, v2
	v_sub_u32_e32 v5, 0, v3
	v_ashrrev_i32_e32 v4, 31, v3
	v_max_i32_e32 v3, v3, v5
	v_mul_hi_u32 v5, v3, v28
	v_mul_lo_u32 v5, v5, s54
	v_sub_u32_e32 v3, v3, v5
	v_subrev_u32_e32 v5, s54, v3
	v_cmp_le_u32_e64 s[0:1], s54, v3
	v_cmp_ge_i32_e64 s[10:11], s53, v2
	s_nop 0
	v_cndmask_b32_e64 v3, v3, v5, s[0:1]
	v_subrev_u32_e32 v5, s54, v3
	v_cmp_le_u32_e64 s[0:1], s54, v3
	s_nop 1
	v_cndmask_b32_e64 v3, v3, v5, s[0:1]
	v_xor_b32_e32 v3, v3, v4
	v_sub_u32_e32 v3, v3, v4
	v_cmp_ne_u32_e64 s[0:1], 0, v3
	s_and_b64 s[0:1], s[0:1], s[10:11]
	s_and_b64 s[46:47], vcc, s[0:1]
	s_and_saveexec_b64 s[10:11], s[46:47]
	s_cbranch_execz .LBB215_16
; %bb.15:                               ;   in Loop: Header=BB215_14 Depth=1
	ds_write_b32 v30, v32
.LBB215_16:                             ;   in Loop: Header=BB215_14 Depth=1
	s_or_b64 exec, exec, s[10:11]
	s_xor_b64 s[0:1], s[0:1], -1
	s_and_saveexec_b64 s[10:11], s[0:1]
	s_cbranch_execz .LBB215_13
; %bb.17:                               ;   in Loop: Header=BB215_14 Depth=1
	global_load_dword v2, v[20:21], off
	s_waitcnt vmcnt(0)
	v_mad_i64_i32 v[2:3], s[0:1], v2, s55, v[18:19]
	v_lshl_add_u64 v[2:3], v[2:3], 0, v[14:15]
	global_load_ubyte v60, v[2:3], off
	global_load_ubyte v61, v[2:3], off offset:4
	global_load_ubyte v62, v[2:3], off offset:8
	;; [unrolled: 1-line block ×31, first 2 shown]
	ds_read_b128 v[38:41], v26
	ds_read_b128 v[42:45], v26 offset:16
	ds_read_b128 v[6:9], v26 offset:32
	;; [unrolled: 1-line block ×3, first 2 shown]
	s_load_dword s46, s[20:21], 0x0
	ds_read_b128 v[46:49], v26 offset:64
	ds_read_b128 v[10:13], v26 offset:80
	;; [unrolled: 1-line block ×4, first 2 shown]
	v_cmp_lt_i32_e64 s[0:1], v35, v34
	s_waitcnt vmcnt(31)
	v_cvt_f32_fp8_sdwa v60, v60 src0_sel:BYTE_0
	s_waitcnt vmcnt(30)
	v_cvt_f32_fp8_sdwa v61, v61 src0_sel:BYTE_0
	;; [unrolled: 2-line block ×5, first 2 shown]
	s_waitcnt lgkmcnt(0)
	v_mul_f32_e32 v61, s46, v61
	s_waitcnt vmcnt(26)
	v_cvt_f32_fp8_sdwa v65, v65 src0_sel:BYTE_0
	v_mul_f32_e32 v60, s46, v60
	v_mul_f32_e32 v39, v39, v61
	s_waitcnt vmcnt(25)
	v_cvt_f32_fp8_sdwa v66, v66 src0_sel:BYTE_0
	v_mul_f32_e32 v62, s46, v62
	v_fmac_f32_e32 v39, v38, v60
	s_waitcnt vmcnt(24)
	v_cvt_f32_fp8_sdwa v67, v67 src0_sel:BYTE_0
	v_mul_f32_e32 v63, s46, v63
	v_fmac_f32_e32 v39, v40, v62
	s_waitcnt vmcnt(23)
	v_cvt_f32_fp8_sdwa v68, v68 src0_sel:BYTE_0
	v_mul_f32_e32 v64, s46, v64
	v_fmac_f32_e32 v39, v41, v63
	s_waitcnt vmcnt(22)
	v_cvt_f32_fp8_sdwa v69, v69 src0_sel:BYTE_0
	v_mul_f32_e32 v65, s46, v65
	v_fmac_f32_e32 v39, v42, v64
	s_waitcnt vmcnt(21)
	v_cvt_f32_fp8_sdwa v70, v70 src0_sel:BYTE_0
	v_mul_f32_e32 v66, s46, v66
	v_fmac_f32_e32 v39, v43, v65
	s_waitcnt vmcnt(20)
	v_cvt_f32_fp8_sdwa v71, v71 src0_sel:BYTE_0
	v_mul_f32_e32 v67, s46, v67
	v_fmac_f32_e32 v39, v44, v66
	s_waitcnt vmcnt(19)
	v_cvt_f32_fp8_sdwa v72, v72 src0_sel:BYTE_0
	v_mul_f32_e32 v68, s46, v68
	v_fmac_f32_e32 v39, v45, v67
	s_waitcnt vmcnt(18)
	v_cvt_f32_fp8_sdwa v73, v73 src0_sel:BYTE_0
	v_mul_f32_e32 v69, s46, v69
	v_fmac_f32_e32 v39, v6, v68
	s_waitcnt vmcnt(17)
	v_cvt_f32_fp8_sdwa v74, v74 src0_sel:BYTE_0
	v_mul_f32_e32 v70, s46, v70
	v_fmac_f32_e32 v39, v7, v69
	s_waitcnt vmcnt(16)
	v_cvt_f32_fp8_sdwa v75, v75 src0_sel:BYTE_0
	v_mul_f32_e32 v71, s46, v71
	v_fmac_f32_e32 v39, v8, v70
	s_waitcnt vmcnt(15)
	v_cvt_f32_fp8_sdwa v76, v76 src0_sel:BYTE_0
	v_mul_f32_e32 v72, s46, v72
	v_fmac_f32_e32 v39, v9, v71
	s_waitcnt vmcnt(14)
	v_cvt_f32_fp8_sdwa v77, v77 src0_sel:BYTE_0
	v_mul_f32_e32 v73, s46, v73
	v_fmac_f32_e32 v39, v2, v72
	s_waitcnt vmcnt(13)
	v_cvt_f32_fp8_sdwa v78, v78 src0_sel:BYTE_0
	v_mul_f32_e32 v74, s46, v74
	v_fmac_f32_e32 v39, v3, v73
	s_waitcnt vmcnt(12)
	v_cvt_f32_fp8_sdwa v79, v79 src0_sel:BYTE_0
	v_mul_f32_e32 v75, s46, v75
	v_fmac_f32_e32 v39, v4, v74
	s_waitcnt vmcnt(11)
	v_cvt_f32_fp8_sdwa v80, v80 src0_sel:BYTE_0
	v_mul_f32_e32 v76, s46, v76
	v_fmac_f32_e32 v39, v5, v75
	s_waitcnt vmcnt(10)
	v_cvt_f32_fp8_sdwa v81, v81 src0_sel:BYTE_0
	v_mul_f32_e32 v77, s46, v77
	v_fmac_f32_e32 v39, v46, v76
	s_waitcnt vmcnt(9)
	v_cvt_f32_fp8_sdwa v82, v82 src0_sel:BYTE_0
	v_mul_f32_e32 v78, s46, v78
	v_fmac_f32_e32 v39, v47, v77
	s_waitcnt vmcnt(8)
	v_cvt_f32_fp8_sdwa v83, v83 src0_sel:BYTE_0
	v_mul_f32_e32 v79, s46, v79
	v_fmac_f32_e32 v39, v48, v78
	s_waitcnt vmcnt(7)
	v_cvt_f32_fp8_sdwa v84, v84 src0_sel:BYTE_0
	v_mul_f32_e32 v80, s46, v80
	v_fmac_f32_e32 v39, v49, v79
	s_waitcnt vmcnt(6)
	v_cvt_f32_fp8_sdwa v85, v85 src0_sel:BYTE_0
	v_mul_f32_e32 v81, s46, v81
	v_fmac_f32_e32 v39, v10, v80
	s_waitcnt vmcnt(5)
	v_cvt_f32_fp8_sdwa v86, v86 src0_sel:BYTE_0
	v_mul_f32_e32 v82, s46, v82
	v_fmac_f32_e32 v39, v11, v81
	s_waitcnt vmcnt(4)
	v_cvt_f32_fp8_sdwa v87, v87 src0_sel:BYTE_0
	v_mul_f32_e32 v83, s46, v83
	v_fmac_f32_e32 v39, v12, v82
	s_waitcnt vmcnt(3)
	v_cvt_f32_fp8_sdwa v88, v88 src0_sel:BYTE_0
	v_mul_f32_e32 v84, s46, v84
	v_fmac_f32_e32 v39, v13, v83
	s_waitcnt vmcnt(2)
	v_cvt_f32_fp8_sdwa v89, v89 src0_sel:BYTE_0
	v_mul_f32_e32 v85, s46, v85
	v_fmac_f32_e32 v39, v50, v84
	s_waitcnt vmcnt(1)
	v_cvt_f32_fp8_sdwa v90, v90 src0_sel:BYTE_0
	v_mul_f32_e32 v86, s46, v86
	v_fmac_f32_e32 v39, v51, v85
	s_waitcnt vmcnt(0)
	v_cvt_f32_fp8_sdwa v91, v91 src0_sel:BYTE_0
	v_mul_f32_e32 v87, s46, v87
	v_fmac_f32_e32 v39, v52, v86
	v_mul_f32_e32 v88, s46, v88
	v_fmac_f32_e32 v39, v53, v87
	v_mul_f32_e32 v89, s46, v89
	v_fmac_f32_e32 v39, v56, v88
	;; [unrolled: 2-line block ×3, first 2 shown]
	v_cndmask_b32_e64 v92, v33, v35, s[0:1]
	v_mul_f32_e32 v91, s46, v91
	v_fmac_f32_e32 v39, v58, v90
	v_lshlrev_b32_e32 v6, 2, v92
	v_fmac_f32_e32 v39, v59, v91
	ds_bpermute_b32 v2, v6, v39
	v_cmp_lt_i32_e64 s[0:1], v36, v34
	s_waitcnt lgkmcnt(0)
	v_add_f32_e32 v2, v39, v2
	v_cndmask_b32_e64 v3, v33, v36, s[0:1]
	v_lshlrev_b32_e32 v3, 2, v3
	ds_bpermute_b32 v3, v3, v2
	s_and_saveexec_b64 s[46:47], vcc
	s_cbranch_execz .LBB215_12
; %bb.18:                               ;   in Loop: Header=BB215_14 Depth=1
	v_add_u32_e32 v4, v31, v29
	v_cvt_f32_i32_e32 v4, v4
	s_waitcnt lgkmcnt(0)
	v_add_f32_e32 v2, v2, v3
	v_add_u32_e32 v5, v25, v29
	v_cmp_gt_i32_e64 s[0:1], s33, v5
	v_mul_f32_e32 v3, s3, v4
	v_cndmask_b32_e64 v3, 0, v3, s[6:7]
	v_fmac_f32_e32 v3, s43, v2
	v_cndmask_b32_e64 v2, 0, v3, s[0:1]
	ds_write_b32 v30, v2
	v_max_f32_e32 v2, v27, v27
	v_max_f32_e32 v2, v2, v3
	v_cndmask_b32_e64 v27, v27, v2, s[0:1]
	s_branch .LBB215_12
.LBB215_19:
	s_or_b64 exec, exec, s[44:45]
.LBB215_20:
	s_or_b64 exec, exec, s[14:15]
	v_mbcnt_hi_u32_b32 v2, -1, v24
	s_waitcnt lgkmcnt(0)
	v_and_b32_e32 v3, 64, v2
	v_add_u32_e32 v3, 64, v3
	v_xor_b32_e32 v4, 32, v2
	v_cmp_lt_i32_e32 vcc, v4, v3
	v_xor_b32_e32 v7, 16, v2
	v_max_f32_e32 v6, v27, v27
	v_cndmask_b32_e32 v4, v2, v4, vcc
	v_lshlrev_b32_e32 v5, 2, v4
	ds_bpermute_b32 v4, v5, v27
	v_cmp_lt_i32_e32 vcc, v7, v3
	v_xor_b32_e32 v8, 8, v2
	v_and_b32_e32 v15, 63, v0
	s_waitcnt lgkmcnt(0)
	v_max_f32_e32 v4, v4, v4
	v_max_f32_e32 v4, v6, v4
	v_cndmask_b32_e32 v6, v2, v7, vcc
	v_lshlrev_b32_e32 v6, 2, v6
	ds_bpermute_b32 v7, v6, v4
	v_cmp_lt_i32_e32 vcc, v8, v3
	s_waitcnt lgkmcnt(0)
	v_max_f32_e32 v7, v7, v7
	v_max_f32_e32 v4, v4, v7
	v_cndmask_b32_e32 v7, v2, v8, vcc
	v_lshlrev_b32_e32 v9, 2, v7
	ds_bpermute_b32 v7, v9, v4
	v_xor_b32_e32 v8, 4, v2
	v_cmp_lt_i32_e32 vcc, v8, v3
	s_waitcnt lgkmcnt(0)
	v_max_f32_e32 v7, v7, v7
	v_max_f32_e32 v4, v4, v7
	v_cndmask_b32_e32 v7, v2, v8, vcc
	v_lshlrev_b32_e32 v10, 2, v7
	ds_bpermute_b32 v8, v10, v4
	v_cmp_eq_u32_e32 vcc, 0, v15
	v_lshlrev_b32_e32 v7, 2, v23
	s_and_saveexec_b64 s[0:1], vcc
	s_cbranch_execz .LBB215_22
; %bb.21:
	s_waitcnt lgkmcnt(0)
	v_max_f32_e32 v8, v8, v8
	v_max_f32_e32 v4, v4, v4
	;; [unrolled: 1-line block ×3, first 2 shown]
	ds_write_b32 v7, v4 offset:512
.LBB215_22:
	s_or_b64 exec, exec, s[0:1]
	v_cmp_gt_u32_e64 s[0:1], 2, v15
	v_mov_b32_e32 v4, 0xff7fffff
	s_waitcnt lgkmcnt(0)
	v_lshlrev_b32_e32 v8, 2, v15
	s_barrier
	s_and_saveexec_b64 s[6:7], s[0:1]
	s_cbranch_execz .LBB215_24
; %bb.23:
	ds_read_b32 v4, v8 offset:512
.LBB215_24:
	s_or_b64 exec, exec, s[6:7]
	v_xor_b32_e32 v11, 1, v2
	v_cmp_lt_i32_e64 s[6:7], v11, v3
	s_sub_i32 s3, s50, s12
	s_lshl_b32 s3, s3, 4
	v_cndmask_b32_e64 v11, v2, v11, s[6:7]
	v_lshlrev_b32_e32 v56, 2, v11
	s_waitcnt lgkmcnt(0)
	ds_bpermute_b32 v11, v56, v4
	v_max_f32_e32 v4, v4, v4
	s_add_i32 s3, s3, s52
	s_min_i32 s12, s3, s33
	s_sub_i32 s3, s12, s52
	s_waitcnt lgkmcnt(0)
	v_max_f32_e32 v11, v11, v11
	v_max_f32_e32 v4, v4, v11
	v_lshlrev_b32_e32 v11, 2, v2
	v_and_b32_e32 v11, 0x100, v11
	ds_bpermute_b32 v4, v11, v4
	v_cmp_gt_i32_e64 s[6:7], s3, v0
	v_mov_b32_e32 v12, 0
	s_and_saveexec_b64 s[14:15], s[6:7]
	s_cbranch_execz .LBB215_28
; %bb.25:
	v_mov_b32_e32 v12, 0x210
	v_lshl_add_u32 v13, v0, 2, v12
	s_mov_b64 s[20:21], 0
	v_mov_b32_e32 v12, 0
	v_mov_b32_e32 v18, v0
.LBB215_26:                             ; =>This Inner Loop Header: Depth=1
	ds_read_b32 v19, v13
	v_add_u32_e32 v18, 0x80, v18
	v_cmp_le_i32_e64 s[10:11], s3, v18
	s_or_b64 s[20:21], s[10:11], s[20:21]
	s_waitcnt lgkmcnt(0)
	v_sub_f32_e32 v19, v19, v4
	v_mul_f32_e32 v19, 0x3fb8aa3b, v19
	v_exp_f32_e32 v19, v19
	ds_write_b32 v13, v19
	v_add_f32_e32 v12, v12, v19
	v_add_u32_e32 v13, 0x200, v13
	s_andn2_b64 exec, exec, s[20:21]
	s_cbranch_execnz .LBB215_26
; %bb.27:
	s_or_b64 exec, exec, s[20:21]
.LBB215_28:
	s_or_b64 exec, exec, s[14:15]
	ds_bpermute_b32 v5, v5, v12
	s_waitcnt lgkmcnt(0)
	v_add_f32_e32 v5, v12, v5
	ds_bpermute_b32 v6, v6, v5
	s_waitcnt lgkmcnt(0)
	v_add_f32_e32 v5, v5, v6
	ds_bpermute_b32 v6, v9, v5
	v_xor_b32_e32 v9, 2, v2
	v_cmp_lt_i32_e64 s[10:11], v9, v3
	s_waitcnt lgkmcnt(0)
	v_add_f32_e32 v5, v5, v6
	ds_bpermute_b32 v6, v10, v5
	v_cndmask_b32_e64 v2, v2, v9, s[10:11]
	v_lshlrev_b32_e32 v57, 2, v2
	s_waitcnt lgkmcnt(0)
	v_add_f32_e32 v3, v5, v6
	ds_bpermute_b32 v2, v57, v3
	s_waitcnt lgkmcnt(0)
	v_add_f32_e32 v2, v3, v2
	ds_bpermute_b32 v3, v56, v2
	s_waitcnt lgkmcnt(0)
	v_add_f32_e32 v2, v2, v3
	s_and_saveexec_b64 s[10:11], vcc
	s_cbranch_execz .LBB215_30
; %bb.29:
	ds_write_b32 v7, v2 offset:520
.LBB215_30:
	s_or_b64 exec, exec, s[10:11]
	s_waitcnt lgkmcnt(0)
	s_barrier
	s_and_saveexec_b64 s[10:11], s[0:1]
	s_cbranch_execz .LBB215_32
; %bb.31:
	ds_read_b32 v2, v8 offset:520
.LBB215_32:
	s_or_b64 exec, exec, s[10:11]
	s_waitcnt lgkmcnt(0)
	ds_bpermute_b32 v3, v56, v2
	s_waitcnt lgkmcnt(0)
	v_add_f32_e32 v2, v2, v3
	ds_bpermute_b32 v5, v11, v2
	s_and_saveexec_b64 s[0:1], s[6:7]
	s_cbranch_execz .LBB215_45
; %bb.33:
	s_waitcnt lgkmcnt(0)
	v_add_f32_e32 v2, 0x358637bd, v5
	v_div_scale_f32 v3, s[6:7], v2, v2, 1.0
	v_rcp_f32_e32 v6, v3
	v_div_scale_f32 v7, vcc, 1.0, v2, 1.0
	s_movk_i32 s6, 0x7f
	v_fma_f32 v8, -v3, v6, 1.0
	v_fmac_f32_e32 v6, v8, v6
	v_mul_f32_e32 v8, v7, v6
	v_fma_f32 v9, -v3, v8, v7
	v_fmac_f32_e32 v8, v9, v6
	v_fma_f32 v3, -v3, v8, v7
	v_div_fmas_f32 v3, v3, v6, v8
	v_div_fixup_f32 v2, v3, v2, 1.0
	v_xad_u32 v3, v0, -1, s12
	v_subrev_u32_e32 v6, s52, v3
	v_cmp_lt_u32_e32 vcc, s6, v6
	s_mov_b64 s[10:11], -1
	v_mov_b32_e32 v3, v0
	s_and_saveexec_b64 s[6:7], vcc
	s_cbranch_execz .LBB215_42
; %bb.34:
	v_lshrrev_b32_e32 v6, 7, v6
	v_add_u32_e32 v8, -1, v6
	v_lshrrev_b32_e32 v7, 1, v8
	v_mov_b32_e32 v3, v2
	v_add_u32_e32 v7, 1, v7
	v_cmp_lt_u32_e32 vcc, 13, v8
	v_mov_b32_e32 v10, 0
	s_and_saveexec_b64 s[10:11], vcc
	s_cbranch_execz .LBB215_38
; %bb.35:
	v_mov_b32_e32 v9, 0x210
	v_and_b32_e32 v8, -8, v7
	v_lshl_add_u32 v9, v0, 2, v9
	s_mov_b32 s12, 0
	s_mov_b64 s[14:15], 0
.LBB215_36:                             ; =>This Inner Loop Header: Depth=1
	ds_read2st64_b32 v[10:11], v9 offset1:2
	ds_read2st64_b32 v[12:13], v9 offset0:4 offset1:6
	ds_read2st64_b32 v[18:19], v9 offset0:8 offset1:10
	;; [unrolled: 1-line block ×3, first 2 shown]
	v_add_u32_e32 v8, -8, v8
	s_waitcnt lgkmcnt(3)
	v_pk_mul_f32 v[10:11], v[2:3], v[10:11]
	s_waitcnt lgkmcnt(2)
	v_pk_mul_f32 v[12:13], v[2:3], v[12:13]
	ds_write2st64_b32 v9, v10, v11 offset1:2
	ds_write2st64_b32 v9, v12, v13 offset0:4 offset1:6
	ds_read2st64_b32 v[12:13], v9 offset0:16 offset1:18
	s_waitcnt lgkmcnt(4)
	v_pk_mul_f32 v[10:11], v[2:3], v[18:19]
	ds_write2st64_b32 v9, v10, v11 offset0:8 offset1:10
	s_waitcnt lgkmcnt(4)
	v_pk_mul_f32 v[10:11], v[2:3], v[20:21]
	ds_write2st64_b32 v9, v10, v11 offset0:12 offset1:14
	ds_read2st64_b32 v[10:11], v9 offset0:20 offset1:22
	s_waitcnt lgkmcnt(3)
	v_pk_mul_f32 v[12:13], v[2:3], v[12:13]
	ds_read2st64_b32 v[18:19], v9 offset0:24 offset1:26
	ds_write2st64_b32 v9, v12, v13 offset0:16 offset1:18
	ds_read2st64_b32 v[12:13], v9 offset0:28 offset1:30
	s_waitcnt lgkmcnt(3)
	v_pk_mul_f32 v[10:11], v[2:3], v[10:11]
	ds_write2st64_b32 v9, v10, v11 offset0:20 offset1:22
	s_waitcnt lgkmcnt(3)
	v_pk_mul_f32 v[10:11], v[2:3], v[18:19]
	ds_write2st64_b32 v9, v10, v11 offset0:24 offset1:26
	s_waitcnt lgkmcnt(2)
	v_pk_mul_f32 v[10:11], v[2:3], v[12:13]
	s_add_i32 s12, s12, 16
	v_cmp_eq_u32_e32 vcc, 0, v8
	ds_write2st64_b32 v9, v10, v11 offset0:28 offset1:30
	v_add_u32_e32 v9, 0x2000, v9
	s_or_b64 s[14:15], vcc, s[14:15]
	v_mov_b32_e32 v10, s12
	s_andn2_b64 exec, exec, s[14:15]
	s_cbranch_execnz .LBB215_36
; %bb.37:
	s_or_b64 exec, exec, s[14:15]
.LBB215_38:
	s_or_b64 exec, exec, s[10:11]
	v_and_b32_e32 v7, 7, v7
	v_cmp_ne_u32_e32 vcc, 0, v7
	s_and_saveexec_b64 s[10:11], vcc
	s_cbranch_execz .LBB215_41
; %bb.39:
	v_lshlrev_b32_e32 v8, 9, v10
	s_movk_i32 s12, 0x210
	v_add3_u32 v8, v8, v22, s12
	s_mov_b64 s[14:15], 0
.LBB215_40:                             ; =>This Inner Loop Header: Depth=1
	ds_read2st64_b32 v[10:11], v8 offset1:2
	v_add_u32_e32 v7, -1, v7
	v_cmp_eq_u32_e32 vcc, 0, v7
	s_or_b64 s[14:15], vcc, s[14:15]
	s_waitcnt lgkmcnt(0)
	v_pk_mul_f32 v[10:11], v[2:3], v[10:11]
	ds_write2st64_b32 v8, v10, v11 offset1:2
	v_add_u32_e32 v8, 0x400, v8
	s_andn2_b64 exec, exec, s[14:15]
	s_cbranch_execnz .LBB215_40
.LBB215_41:
	s_or_b64 exec, exec, s[10:11]
	v_add_u32_e32 v6, 1, v6
	v_and_b32_e32 v7, 0x3fffffe, v6
	v_cmp_ne_u32_e32 vcc, v6, v7
	v_lshl_add_u32 v3, v7, 7, v0
	s_orn2_b64 s[10:11], vcc, exec
.LBB215_42:
	s_or_b64 exec, exec, s[6:7]
	s_and_b64 exec, exec, s[10:11]
	s_cbranch_execz .LBB215_45
; %bb.43:
	v_mov_b32_e32 v6, 0x210
	v_lshl_add_u32 v6, v3, 2, v6
	s_mov_b64 s[6:7], 0
.LBB215_44:                             ; =>This Inner Loop Header: Depth=1
	ds_read_b32 v7, v6
	v_add_u32_e32 v3, 0x80, v3
	v_cmp_le_i32_e32 vcc, s3, v3
	s_or_b64 s[6:7], vcc, s[6:7]
	s_waitcnt lgkmcnt(0)
	v_mul_f32_e32 v7, v2, v7
	ds_write_b32 v6, v7
	v_add_u32_e32 v6, 0x200, v6
	s_andn2_b64 exec, exec, s[6:7]
	s_cbranch_execnz .LBB215_44
.LBB215_45:
	s_or_b64 exec, exec, s[0:1]
	s_mul_i32 s0, s29, s34
	v_cmp_eq_u32_e32 vcc, 0, v0
	s_mul_i32 s6, s0, s5
	s_waitcnt lgkmcnt(0)
	s_barrier
	s_and_saveexec_b64 s[0:1], vcc
	s_cbranch_execz .LBB215_47
; %bb.46:
	s_ashr_i32 s7, s6, 31
	s_lshl_b64 s[10:11], s[6:7], 2
	s_add_u32 s5, s26, s10
	s_mul_i32 s2, s29, s2
	s_addc_u32 s7, s27, s11
	s_ashr_i32 s3, s2, 31
	s_lshl_b64 s[2:3], s[2:3], 2
	s_add_u32 s12, s5, s2
	s_addc_u32 s7, s7, s3
	s_ashr_i32 s5, s4, 31
	s_lshl_b64 s[14:15], s[4:5], 2
	s_add_u32 s20, s12, s14
	s_addc_u32 s21, s7, s15
	s_add_u32 s5, s24, s10
	s_addc_u32 s7, s25, s11
	;; [unrolled: 2-line block ×3, first 2 shown]
	s_add_u32 s2, s2, s14
	v_mov_b32_e32 v2, 0
	s_addc_u32 s3, s3, s15
	global_store_dword v2, v4, s[20:21]
	global_store_dword v2, v5, s[2:3]
.LBB215_47:
	s_or_b64 exec, exec, s[0:1]
	s_mov_b32 s12, 0
	v_mov_b32_e32 v9, 0
	v_mov_b32_e32 v8, 0
	;; [unrolled: 1-line block ×8, first 2 shown]
	s_and_saveexec_b64 s[2:3], s[8:9]
	s_cbranch_execz .LBB215_69
; %bb.48:
	s_sub_i32 s5, s19, s17
	s_ashr_i32 s1, s51, 31
	s_add_u32 s0, s40, s51
	s_addc_u32 s1, s41, s1
	s_abs_i32 s7, s18
	v_cvt_f32_u32_e32 v2, s7
	v_mov_b32_e32 v3, 0
	s_sub_i32 s8, 0, s7
	s_add_i32 s21, s16, -1
	v_rcp_iflag_f32_e32 v4, v2
	v_and_b32_e32 v2, 0xfc, v22
	v_lshl_add_u64 v[18:19], s[0:1], 0, v[2:3]
	s_lshl_b64 s[0:1], s[38:39], 2
	v_mul_f32_e32 v4, 0x4f7ffffe, v4
	v_cvt_u32_f32_e32 v4, v4
	s_add_u32 s0, s36, s0
	s_mov_b32 s20, s13
	s_addc_u32 s1, s37, s1
	v_mul_lo_u32 v2, s8, v4
	v_mul_hi_u32 v2, v4, v2
	v_add_u32_e32 v59, v4, v2
	v_lshlrev_b32_e32 v2, 4, v14
	v_lshl_or_b32 v2, v23, 6, v2
	s_mov_b32 s13, s12
	v_lshl_add_u64 v[20:21], v[16:17], 2, s[0:1]
	v_add_u32_e32 v17, 0x210, v2
	s_mov_b32 s14, s12
	s_mov_b32 s15, s12
	;; [unrolled: 1-line block ×6, first 2 shown]
	v_mov_b64_e32 v[2:3], s[12:13]
	v_and_b32_e32 v58, 12, v22
	s_mov_b64 s[8:9], 0
	v_mov_b64_e32 v[4:5], s[14:15]
	v_mov_b64_e32 v[6:7], s[16:17]
	;; [unrolled: 1-line block ×3, first 2 shown]
	s_branch .LBB215_51
.LBB215_49:                             ;   in Loop: Header=BB215_51 Depth=1
	s_or_b64 exec, exec, s[0:1]
	v_mul_f32_e32 v25, v11, v25
	v_fmac_f32_e32 v25, v10, v24
	v_fmac_f32_e32 v25, v12, v22
	v_mul_f32_e32 v22, v11, v31
	v_fmac_f32_e32 v22, v10, v30
	v_fmac_f32_e32 v22, v12, v28
	v_fmac_f32_e32 v22, v13, v29
	v_add_f32_e32 v3, v3, v22
	v_mul_f32_e32 v22, v11, v35
	v_fmac_f32_e32 v22, v10, v34
	v_fmac_f32_e32 v22, v12, v32
	v_fmac_f32_e32 v22, v13, v33
	v_add_f32_e32 v4, v4, v22
	;; [unrolled: 5-line block ×5, first 2 shown]
	v_mul_f32_e32 v22, v11, v51
	v_mul_f32_e32 v11, v11, v53
	v_fmac_f32_e32 v22, v10, v50
	v_fmac_f32_e32 v11, v10, v52
	;; [unrolled: 1-line block ×7, first 2 shown]
	v_add_f32_e32 v2, v2, v25
	v_add_f32_e32 v8, v8, v22
	;; [unrolled: 1-line block ×3, first 2 shown]
.LBB215_50:                             ;   in Loop: Header=BB215_51 Depth=1
	s_or_b64 exec, exec, s[10:11]
	v_add_u32_e32 v16, 2, v16
	v_cmp_le_i32_e32 vcc, s50, v16
	v_lshl_add_u64 v[20:21], v[20:21], 0, 8
	v_add_u32_e32 v55, 32, v55
	s_or_b64 s[8:9], vcc, s[8:9]
	v_add_u32_e32 v17, 0x80, v17
	s_andn2_b64 exec, exec, s[8:9]
	s_cbranch_execz .LBB215_68
.LBB215_51:                             ; =>This Inner Loop Header: Depth=1
	v_sub_u32_e32 v11, 0, v55
	v_max_i32_e32 v11, v55, v11
	v_mul_hi_u32 v12, v11, s48
	v_mul_lo_u32 v13, v12, s35
	v_sub_u32_e32 v11, v11, v13
	v_add_u32_e32 v13, 1, v12
	v_cmp_le_u32_e32 vcc, s35, v11
	v_ashrrev_i32_e32 v10, 31, v55
	v_xor_b32_e32 v10, s49, v10
	v_cndmask_b32_e32 v12, v12, v13, vcc
	v_subrev_u32_e32 v13, s35, v11
	v_cndmask_b32_e32 v11, v11, v13, vcc
	v_add_u32_e32 v13, 1, v12
	v_cmp_le_u32_e32 vcc, s35, v11
	s_nop 1
	v_cndmask_b32_e32 v11, v12, v13, vcc
	v_xor_b32_e32 v11, v11, v10
	v_sub_u32_e32 v10, v11, v10
	v_add_u32_e32 v11, s42, v10
	v_sub_u32_e32 v13, 0, v11
	v_ashrrev_i32_e32 v12, 31, v11
	v_max_i32_e32 v11, v11, v13
	v_mul_hi_u32 v13, v11, v59
	v_mul_lo_u32 v13, v13, s7
	v_sub_u32_e32 v11, v11, v13
	v_subrev_u32_e32 v13, s7, v11
	v_cmp_le_u32_e32 vcc, s7, v11
	v_cmp_lt_i32_e64 s[0:1], s5, v10
	s_nop 0
	v_cndmask_b32_e32 v11, v11, v13, vcc
	v_subrev_u32_e32 v13, s7, v11
	v_cmp_le_u32_e32 vcc, s7, v11
	s_nop 1
	v_cndmask_b32_e32 v11, v11, v13, vcc
	v_xor_b32_e32 v11, v11, v12
	v_sub_u32_e32 v11, v11, v12
	v_cmp_eq_u32_e32 vcc, 0, v11
	s_or_b64 s[0:1], vcc, s[0:1]
	s_and_saveexec_b64 s[10:11], s[0:1]
	s_cbranch_execz .LBB215_50
; %bb.52:                               ;   in Loop: Header=BB215_51 Depth=1
	global_load_dword v10, v[20:21], off
	s_load_dword s12, s[22:23], 0x0
	v_add_u32_e32 v60, v58, v55
	v_cmp_eq_u32_e32 vcc, s21, v16
	v_add_u32_e32 v62, 1, v60
	v_add_u32_e32 v61, 2, v60
	;; [unrolled: 1-line block ×3, first 2 shown]
	s_waitcnt vmcnt(0)
	v_mad_i64_i32 v[26:27], s[0:1], v10, s20, v[18:19]
	global_load_dword v22, v[26:27], off
	ds_read_b128 v[10:13], v17
	s_waitcnt vmcnt(0)
	v_and_b32_e32 v23, 0xffff, v22
	v_lshrrev_b32_e32 v24, 16, v22
	v_cvt_pk_f32_fp8_e32 v[22:23], v23
	v_cvt_pk_f32_fp8_e32 v[28:29], v24
	s_waitcnt lgkmcnt(0)
	v_pk_mul_f32 v[24:25], s[12:13], v[22:23] op_sel_hi:[0,1]
	v_pk_mul_f32 v[22:23], s[12:13], v[28:29] op_sel_hi:[0,1]
	s_and_saveexec_b64 s[14:15], vcc
; %bb.53:                               ;   in Loop: Header=BB215_51 Depth=1
	v_cmp_gt_i32_e64 s[0:1], s33, v60
	s_nop 1
	v_cndmask_b32_e64 v24, 0, v24, s[0:1]
	v_cmp_gt_i32_e64 s[0:1], s33, v62
	s_nop 1
	v_cndmask_b32_e64 v25, 0, v25, s[0:1]
	;; [unrolled: 3-line block ×4, first 2 shown]
; %bb.54:                               ;   in Loop: Header=BB215_51 Depth=1
	s_or_b64 exec, exec, s[14:15]
	global_load_dword v28, v[26:27], off offset:256
	s_mov_b32 s13, s12
	s_waitcnt vmcnt(0)
	v_and_b32_e32 v29, 0xffff, v28
	v_lshrrev_b32_e32 v30, 16, v28
	v_cvt_pk_f32_fp8_e32 v[28:29], v29
	v_cvt_pk_f32_fp8_e32 v[32:33], v30
	v_pk_mul_f32 v[30:31], s[12:13], v[28:29]
	v_pk_mul_f32 v[28:29], s[12:13], v[32:33]
	s_and_saveexec_b64 s[14:15], vcc
; %bb.55:                               ;   in Loop: Header=BB215_51 Depth=1
	v_cmp_gt_i32_e64 s[0:1], s33, v60
	s_nop 1
	v_cndmask_b32_e64 v30, 0, v30, s[0:1]
	v_cmp_gt_i32_e64 s[0:1], s33, v62
	s_nop 1
	v_cndmask_b32_e64 v31, 0, v31, s[0:1]
	v_cmp_gt_i32_e64 s[0:1], s33, v61
	s_nop 1
	v_cndmask_b32_e64 v28, 0, v28, s[0:1]
	v_cmp_gt_i32_e64 s[0:1], s33, v63
	s_nop 1
	v_cndmask_b32_e64 v29, 0, v29, s[0:1]
; %bb.56:                               ;   in Loop: Header=BB215_51 Depth=1
	s_or_b64 exec, exec, s[14:15]
	global_load_dword v32, v[26:27], off offset:512
	s_waitcnt vmcnt(0)
	v_and_b32_e32 v33, 0xffff, v32
	v_lshrrev_b32_e32 v34, 16, v32
	v_cvt_pk_f32_fp8_e32 v[32:33], v33
	v_cvt_pk_f32_fp8_e32 v[36:37], v34
	v_pk_mul_f32 v[34:35], s[12:13], v[32:33]
	v_pk_mul_f32 v[32:33], s[12:13], v[36:37]
	s_and_saveexec_b64 s[14:15], vcc
; %bb.57:                               ;   in Loop: Header=BB215_51 Depth=1
	v_cmp_gt_i32_e64 s[0:1], s33, v60
	s_nop 1
	v_cndmask_b32_e64 v34, 0, v34, s[0:1]
	v_cmp_gt_i32_e64 s[0:1], s33, v62
	s_nop 1
	v_cndmask_b32_e64 v35, 0, v35, s[0:1]
	v_cmp_gt_i32_e64 s[0:1], s33, v61
	s_nop 1
	v_cndmask_b32_e64 v32, 0, v32, s[0:1]
	v_cmp_gt_i32_e64 s[0:1], s33, v63
	s_nop 1
	v_cndmask_b32_e64 v33, 0, v33, s[0:1]
; %bb.58:                               ;   in Loop: Header=BB215_51 Depth=1
	s_or_b64 exec, exec, s[14:15]
	global_load_dword v36, v[26:27], off offset:768
	;; [unrolled: 24-line block ×6, first 2 shown]
	s_waitcnt vmcnt(0)
	v_and_b32_e32 v27, 0xffff, v26
	v_lshrrev_b32_e32 v52, 16, v26
	v_cvt_pk_f32_fp8_e32 v[26:27], v27
	v_cvt_pk_f32_fp8_e32 v[64:65], v52
	v_pk_mul_f32 v[52:53], s[12:13], v[26:27]
	v_pk_mul_f32 v[26:27], s[12:13], v[64:65]
	s_and_saveexec_b64 s[0:1], vcc
	s_cbranch_execz .LBB215_49
; %bb.67:                               ;   in Loop: Header=BB215_51 Depth=1
	v_cmp_gt_i32_e32 vcc, s33, v60
	s_nop 1
	v_cndmask_b32_e32 v52, 0, v52, vcc
	v_cmp_gt_i32_e32 vcc, s33, v62
	s_nop 1
	v_cndmask_b32_e32 v53, 0, v53, vcc
	;; [unrolled: 3-line block ×4, first 2 shown]
	s_branch .LBB215_49
.LBB215_68:
	s_or_b64 exec, exec, s[8:9]
.LBB215_69:
	s_or_b64 exec, exec, s[2:3]
	ds_bpermute_b32 v12, v57, v4
	ds_bpermute_b32 v13, v57, v5
	;; [unrolled: 1-line block ×6, first 2 shown]
	s_waitcnt lgkmcnt(4)
	v_pk_add_f32 v[4:5], v[4:5], v[12:13]
	ds_bpermute_b32 v12, v57, v6
	ds_bpermute_b32 v13, v57, v7
	s_waitcnt lgkmcnt(4)
	v_pk_add_f32 v[2:3], v[2:3], v[10:11]
	ds_bpermute_b32 v10, v56, v2
	ds_bpermute_b32 v11, v56, v3
	s_waitcnt lgkmcnt(4)
	v_pk_add_f32 v[18:19], v[8:9], v[18:19]
	s_waitcnt lgkmcnt(2)
	v_pk_add_f32 v[12:13], v[6:7], v[12:13]
	ds_bpermute_b32 v16, v56, v4
	ds_bpermute_b32 v17, v56, v5
	;; [unrolled: 1-line block ×6, first 2 shown]
	s_waitcnt lgkmcnt(6)
	v_pk_add_f32 v[8:9], v[2:3], v[10:11]
	v_and_b32_e32 v10, 0x3c3, v0
	s_waitcnt lgkmcnt(4)
	v_pk_add_f32 v[6:7], v[4:5], v[16:17]
	s_waitcnt lgkmcnt(2)
	v_pk_add_f32 v[2:3], v[12:13], v[20:21]
	;; [unrolled: 2-line block ×3, first 2 shown]
	v_cmp_eq_u32_e32 vcc, 64, v10
	s_barrier
	s_and_saveexec_b64 s[0:1], vcc
	s_cbranch_execz .LBB215_71
; %bb.70:
	v_add_u32_e32 v11, 0x210, v15
	ds_write2_b32 v11, v8, v9 offset1:16
	ds_write2_b32 v11, v6, v7 offset0:32 offset1:48
	ds_write2_b32 v11, v2, v3 offset0:64 offset1:80
	;; [unrolled: 1-line block ×3, first 2 shown]
.LBB215_71:
	s_or_b64 exec, exec, s[0:1]
	v_cmp_gt_u32_e32 vcc, 64, v0
	s_waitcnt lgkmcnt(0)
	s_barrier
	s_and_saveexec_b64 s[0:1], vcc
	s_cbranch_execz .LBB215_82
; %bb.72:
	v_cmp_eq_u32_e32 vcc, 0, v14
	s_and_saveexec_b64 s[2:3], vcc
	s_cbranch_execnz .LBB215_85
; %bb.73:
	s_or_b64 exec, exec, s[2:3]
	s_and_saveexec_b64 s[2:3], vcc
	s_cbranch_execnz .LBB215_86
.LBB215_74:
	s_or_b64 exec, exec, s[2:3]
	s_and_saveexec_b64 s[2:3], vcc
	s_cbranch_execnz .LBB215_87
.LBB215_75:
	s_or_b64 exec, exec, s[2:3]
	s_and_saveexec_b64 s[2:3], vcc
	s_cbranch_execnz .LBB215_88
.LBB215_76:
	s_or_b64 exec, exec, s[2:3]
	s_and_saveexec_b64 s[2:3], vcc
	s_cbranch_execnz .LBB215_89
.LBB215_77:
	s_or_b64 exec, exec, s[2:3]
	s_and_saveexec_b64 s[2:3], vcc
	s_cbranch_execnz .LBB215_90
.LBB215_78:
	s_or_b64 exec, exec, s[2:3]
	s_and_saveexec_b64 s[2:3], vcc
	s_cbranch_execnz .LBB215_91
.LBB215_79:
	s_or_b64 exec, exec, s[2:3]
	s_and_saveexec_b64 s[2:3], vcc
	s_cbranch_execz .LBB215_81
.LBB215_80:
	v_mov_b32_e32 v0, 0x210
	v_lshl_add_u32 v0, v54, 2, v0
	ds_read_b32 v0, v0 offset:448
	s_waitcnt lgkmcnt(0)
	v_add_f32_e32 v5, v5, v0
.LBB215_81:
	s_or_b64 exec, exec, s[2:3]
.LBB215_82:
	s_or_b64 exec, exec, s[0:1]
	v_cmp_eq_u32_e32 vcc, 0, v10
	s_barrier
	s_and_saveexec_b64 s[0:1], vcc
	s_cbranch_execz .LBB215_84
; %bb.83:
	s_lshl_b32 s0, s6, 7
	s_ashr_i32 s1, s0, 31
	s_lshl_b64 s[0:1], s[0:1], 2
	s_add_u32 s2, s30, s0
	s_mul_i32 s0, s29, s28
	s_addc_u32 s3, s31, s1
	s_ashr_i32 s1, s0, 31
	s_lshl_b64 s[0:1], s[0:1], 2
	s_add_u32 s2, s2, s0
	s_addc_u32 s3, s3, s1
	s_lshl_b32 s0, s4, 7
	s_ashr_i32 s1, s0, 31
	s_lshl_b64 s[0:1], s[0:1], 2
	s_add_u32 s0, s2, s0
	s_addc_u32 s1, s3, s1
	global_store_dword v1, v8, s[0:1]
	global_store_dword v1, v9, s[0:1] offset:64
	global_store_dword v1, v6, s[0:1] offset:128
	;; [unrolled: 1-line block ×7, first 2 shown]
.LBB215_84:
	s_endpgm
.LBB215_85:
	v_mov_b32_e32 v0, 0x210
	v_lshl_add_u32 v0, v54, 2, v0
	ds_read_b32 v0, v0
	s_waitcnt lgkmcnt(0)
	v_add_f32_e32 v8, v8, v0
	s_or_b64 exec, exec, s[2:3]
	s_and_saveexec_b64 s[2:3], vcc
	s_cbranch_execz .LBB215_74
.LBB215_86:
	v_mov_b32_e32 v0, 0x210
	v_lshl_add_u32 v0, v54, 2, v0
	ds_read_b32 v0, v0 offset:64
	s_waitcnt lgkmcnt(0)
	v_add_f32_e32 v9, v9, v0
	s_or_b64 exec, exec, s[2:3]
	s_and_saveexec_b64 s[2:3], vcc
	s_cbranch_execz .LBB215_75
.LBB215_87:
	v_mov_b32_e32 v0, 0x210
	v_lshl_add_u32 v0, v54, 2, v0
	ds_read_b32 v0, v0 offset:128
	s_waitcnt lgkmcnt(0)
	v_add_f32_e32 v6, v6, v0
	s_or_b64 exec, exec, s[2:3]
	s_and_saveexec_b64 s[2:3], vcc
	s_cbranch_execz .LBB215_76
.LBB215_88:
	v_mov_b32_e32 v0, 0x210
	v_lshl_add_u32 v0, v54, 2, v0
	ds_read_b32 v0, v0 offset:192
	s_waitcnt lgkmcnt(0)
	v_add_f32_e32 v7, v7, v0
	s_or_b64 exec, exec, s[2:3]
	s_and_saveexec_b64 s[2:3], vcc
	s_cbranch_execz .LBB215_77
.LBB215_89:
	v_mov_b32_e32 v0, 0x210
	v_lshl_add_u32 v0, v54, 2, v0
	ds_read_b32 v0, v0 offset:256
	s_waitcnt lgkmcnt(0)
	v_add_f32_e32 v2, v2, v0
	s_or_b64 exec, exec, s[2:3]
	s_and_saveexec_b64 s[2:3], vcc
	s_cbranch_execz .LBB215_78
.LBB215_90:
	v_mov_b32_e32 v0, 0x210
	v_lshl_add_u32 v0, v54, 2, v0
	ds_read_b32 v0, v0 offset:320
	s_waitcnt lgkmcnt(0)
	v_add_f32_e32 v3, v3, v0
	s_or_b64 exec, exec, s[2:3]
	s_and_saveexec_b64 s[2:3], vcc
	s_cbranch_execz .LBB215_79
.LBB215_91:
	v_mov_b32_e32 v0, 0x210
	v_lshl_add_u32 v0, v54, 2, v0
	ds_read_b32 v0, v0 offset:384
	s_waitcnt lgkmcnt(0)
	v_add_f32_e32 v4, v4, v0
	s_or_b64 exec, exec, s[2:3]
	s_and_saveexec_b64 s[2:3], vcc
	s_cbranch_execnz .LBB215_80
	s_branch .LBB215_81
	.section	.rodata,"a",@progbits
	.p2align	6, 0x0
	.amdhsa_kernel _ZN4vllm25paged_attention_v2_kernelIfhLi128ELi16ELi128ELNS_18Fp8KVCacheDataTypeE1ELb1ELi512EEEvPfS2_PT_PKS3_PKT0_S9_ifPKiSB_iPKfiiiSD_SD_iiiii
		.amdhsa_group_segment_fixed_size 528
		.amdhsa_private_segment_fixed_size 0
		.amdhsa_kernarg_size 400
		.amdhsa_user_sgpr_count 2
		.amdhsa_user_sgpr_dispatch_ptr 0
		.amdhsa_user_sgpr_queue_ptr 0
		.amdhsa_user_sgpr_kernarg_segment_ptr 1
		.amdhsa_user_sgpr_dispatch_id 0
		.amdhsa_user_sgpr_kernarg_preload_length 0
		.amdhsa_user_sgpr_kernarg_preload_offset 0
		.amdhsa_user_sgpr_private_segment_size 0
		.amdhsa_uses_dynamic_stack 0
		.amdhsa_enable_private_segment 0
		.amdhsa_system_sgpr_workgroup_id_x 1
		.amdhsa_system_sgpr_workgroup_id_y 1
		.amdhsa_system_sgpr_workgroup_id_z 1
		.amdhsa_system_sgpr_workgroup_info 0
		.amdhsa_system_vgpr_workitem_id 0
		.amdhsa_next_free_vgpr 93
		.amdhsa_next_free_sgpr 56
		.amdhsa_accum_offset 96
		.amdhsa_reserve_vcc 1
		.amdhsa_float_round_mode_32 0
		.amdhsa_float_round_mode_16_64 0
		.amdhsa_float_denorm_mode_32 3
		.amdhsa_float_denorm_mode_16_64 3
		.amdhsa_dx10_clamp 1
		.amdhsa_ieee_mode 1
		.amdhsa_fp16_overflow 0
		.amdhsa_tg_split 0
		.amdhsa_exception_fp_ieee_invalid_op 0
		.amdhsa_exception_fp_denorm_src 0
		.amdhsa_exception_fp_ieee_div_zero 0
		.amdhsa_exception_fp_ieee_overflow 0
		.amdhsa_exception_fp_ieee_underflow 0
		.amdhsa_exception_fp_ieee_inexact 0
		.amdhsa_exception_int_div_zero 0
	.end_amdhsa_kernel
	.section	.text._ZN4vllm25paged_attention_v2_kernelIfhLi128ELi16ELi128ELNS_18Fp8KVCacheDataTypeE1ELb1ELi512EEEvPfS2_PT_PKS3_PKT0_S9_ifPKiSB_iPKfiiiSD_SD_iiiii,"axG",@progbits,_ZN4vllm25paged_attention_v2_kernelIfhLi128ELi16ELi128ELNS_18Fp8KVCacheDataTypeE1ELb1ELi512EEEvPfS2_PT_PKS3_PKT0_S9_ifPKiSB_iPKfiiiSD_SD_iiiii,comdat
.Lfunc_end215:
	.size	_ZN4vllm25paged_attention_v2_kernelIfhLi128ELi16ELi128ELNS_18Fp8KVCacheDataTypeE1ELb1ELi512EEEvPfS2_PT_PKS3_PKT0_S9_ifPKiSB_iPKfiiiSD_SD_iiiii, .Lfunc_end215-_ZN4vllm25paged_attention_v2_kernelIfhLi128ELi16ELi128ELNS_18Fp8KVCacheDataTypeE1ELb1ELi512EEEvPfS2_PT_PKS3_PKT0_S9_ifPKiSB_iPKfiiiSD_SD_iiiii
                                        ; -- End function
	.section	.AMDGPU.csdata,"",@progbits
; Kernel info:
; codeLenInByte = 6664
; NumSgprs: 62
; NumVgprs: 93
; NumAgprs: 0
; TotalNumVgprs: 93
; ScratchSize: 0
; MemoryBound: 0
; FloatMode: 240
; IeeeMode: 1
; LDSByteSize: 528 bytes/workgroup (compile time only)
; SGPRBlocks: 7
; VGPRBlocks: 11
; NumSGPRsForWavesPerEU: 62
; NumVGPRsForWavesPerEU: 93
; AccumOffset: 96
; Occupancy: 5
; WaveLimiterHint : 1
; COMPUTE_PGM_RSRC2:SCRATCH_EN: 0
; COMPUTE_PGM_RSRC2:USER_SGPR: 2
; COMPUTE_PGM_RSRC2:TRAP_HANDLER: 0
; COMPUTE_PGM_RSRC2:TGID_X_EN: 1
; COMPUTE_PGM_RSRC2:TGID_Y_EN: 1
; COMPUTE_PGM_RSRC2:TGID_Z_EN: 1
; COMPUTE_PGM_RSRC2:TIDIG_COMP_CNT: 0
; COMPUTE_PGM_RSRC3_GFX90A:ACCUM_OFFSET: 23
; COMPUTE_PGM_RSRC3_GFX90A:TG_SPLIT: 0
	.section	.text._ZN4vllm25paged_attention_v2_kernelIfhLi192ELi16ELi128ELNS_18Fp8KVCacheDataTypeE1ELb1ELi512EEEvPfS2_PT_PKS3_PKT0_S9_ifPKiSB_iPKfiiiSD_SD_iiiii,"axG",@progbits,_ZN4vllm25paged_attention_v2_kernelIfhLi192ELi16ELi128ELNS_18Fp8KVCacheDataTypeE1ELb1ELi512EEEvPfS2_PT_PKS3_PKT0_S9_ifPKiSB_iPKfiiiSD_SD_iiiii,comdat
	.protected	_ZN4vllm25paged_attention_v2_kernelIfhLi192ELi16ELi128ELNS_18Fp8KVCacheDataTypeE1ELb1ELi512EEEvPfS2_PT_PKS3_PKT0_S9_ifPKiSB_iPKfiiiSD_SD_iiiii ; -- Begin function _ZN4vllm25paged_attention_v2_kernelIfhLi192ELi16ELi128ELNS_18Fp8KVCacheDataTypeE1ELb1ELi512EEEvPfS2_PT_PKS3_PKT0_S9_ifPKiSB_iPKfiiiSD_SD_iiiii
	.globl	_ZN4vllm25paged_attention_v2_kernelIfhLi192ELi16ELi128ELNS_18Fp8KVCacheDataTypeE1ELb1ELi512EEEvPfS2_PT_PKS3_PKT0_S9_ifPKiSB_iPKfiiiSD_SD_iiiii
	.p2align	8
	.type	_ZN4vllm25paged_attention_v2_kernelIfhLi192ELi16ELi128ELNS_18Fp8KVCacheDataTypeE1ELb1ELi512EEEvPfS2_PT_PKS3_PKT0_S9_ifPKiSB_iPKfiiiSD_SD_iiiii,@function
_ZN4vllm25paged_attention_v2_kernelIfhLi192ELi16ELi128ELNS_18Fp8KVCacheDataTypeE1ELb1ELi512EEEvPfS2_PT_PKS3_PKT0_S9_ifPKiSB_iPKfiiiSD_SD_iiiii: ; @_ZN4vllm25paged_attention_v2_kernelIfhLi192ELi16ELi128ELNS_18Fp8KVCacheDataTypeE1ELb1ELi512EEEvPfS2_PT_PKS3_PKT0_S9_ifPKiSB_iPKfiiiSD_SD_iiiii
; %bb.0:
	s_load_dwordx2 s[6:7], s[0:1], 0x40
	s_mov_b32 s40, s3
	s_ashr_i32 s41, s3, 31
	s_lshl_b64 s[8:9], s[40:41], 2
	s_waitcnt lgkmcnt(0)
	s_add_u32 s6, s6, s8
	s_addc_u32 s7, s7, s9
	s_load_dword s41, s[6:7], 0x0
	s_lshl_b32 s51, s4, 9
	s_waitcnt lgkmcnt(0)
	s_cmp_ge_i32 s51, s41
	s_cbranch_scc1 .LBB216_98
; %bb.1:
	s_load_dword s5, s[0:1], 0x90
	s_load_dwordx2 s[44:45], s[0:1], 0x30
	s_waitcnt lgkmcnt(0)
	s_abs_i32 s7, s5
	s_abs_i32 s3, s44
	v_cvt_f32_u32_e32 v1, s3
	s_sub_i32 s8, 0, s3
	s_xor_b32 s6, s5, s44
	s_ashr_i32 s6, s6, 31
	v_rcp_iflag_f32_e32 v1, v1
	s_nop 0
	v_mul_f32_e32 v1, 0x4f7ffffe, v1
	v_cvt_u32_f32_e32 v1, v1
	s_nop 0
	v_readfirstlane_b32 s9, v1
	s_mul_i32 s8, s8, s9
	s_mul_hi_u32 s8, s9, s8
	s_add_i32 s9, s9, s8
	s_mul_hi_u32 s8, s7, s9
	s_mul_i32 s9, s8, s3
	s_sub_i32 s7, s7, s9
	s_add_i32 s10, s8, 1
	s_sub_i32 s9, s7, s3
	s_cmp_ge_u32 s7, s3
	s_cselect_b32 s8, s10, s8
	s_cselect_b32 s7, s9, s7
	s_add_i32 s9, s8, 1
	s_cmp_ge_u32 s7, s3
	s_cselect_b32 s3, s9, s8
	s_xor_b32 s3, s3, s6
	s_sub_i32 s13, s3, s6
	s_abs_i32 s12, s13
	v_cvt_f32_u32_e32 v1, s12
	s_load_dwordx2 s[6:7], s[0:1], 0x50
	s_sub_i32 s3, 0, s12
	s_abs_i32 s14, s2
	v_rcp_iflag_f32_e32 v1, v1
	s_nop 0
	v_mul_f32_e32 v1, 0x4f7ffffe, v1
	v_cvt_u32_f32_e32 v1, v1
	s_nop 0
	v_readfirstlane_b32 s8, v1
	s_mul_i32 s3, s3, s8
	s_mul_hi_u32 s3, s8, s3
	s_add_i32 s8, s8, s3
	s_waitcnt lgkmcnt(0)
	s_cmp_eq_u64 s[6:7], 0
	s_mov_b32 s3, 0
	s_cbranch_scc1 .LBB216_3
; %bb.2:
	s_ashr_i32 s3, s2, 31
	s_lshl_b64 s[10:11], s[2:3], 2
	s_add_u32 s6, s6, s10
	s_addc_u32 s7, s7, s11
	s_load_dword s3, s[6:7], 0x0
.LBB216_3:
	s_load_dwordx4 s[24:27], s[0:1], 0x0
	s_load_dwordx2 s[34:35], s[0:1], 0x10
	s_load_dwordx4 s[20:23], s[0:1], 0x20
	s_load_dwordx2 s[38:39], s[0:1], 0x38
	s_load_dword s33, s[0:1], 0x98
	s_load_dwordx4 s[16:19], s[0:1], 0x58
	s_mul_hi_u32 s15, s14, s8
	v_lshrrev_b32_e32 v74, 2, v0
	s_movk_i32 s8, 0xc0
	s_mul_i32 s36, s2, 0xc0
	v_and_b32_e32 v42, 3, v0
	s_ashr_i32 s37, s36, 31
	v_cmp_gt_u32_e32 vcc, s8, v0
	v_lshlrev_b32_e32 v1, 2, v74
	s_and_saveexec_b64 s[6:7], vcc
	s_cbranch_execz .LBB216_6
; %bb.4:
	s_load_dwordx2 s[10:11], s[0:1], 0x18
	s_waitcnt lgkmcnt(0)
	s_mul_i32 s28, s40, s16
	s_ashr_i32 s29, s28, 31
	v_mad_u32_u24 v5, v42, s8, v1
	s_lshl_b64 s[8:9], s[28:29], 2
	s_lshl_b64 s[28:29], s[36:37], 2
	s_add_u32 s8, s8, s28
	s_addc_u32 s9, s9, s29
	v_or_b32_e32 v2, v1, v42
	s_add_u32 s8, s10, s8
	v_lshlrev_b32_e32 v2, 2, v2
	v_mov_b32_e32 v3, 0
	s_addc_u32 s9, s11, s9
	v_subrev_u32_e32 v4, 32, v74
	v_lshl_add_u64 v[2:3], s[8:9], 0, v[2:3]
	s_mov_b64 s[8:9], 0
	s_mov_b64 s[10:11], 0x200
.LBB216_5:                              ; =>This Inner Loop Header: Depth=1
	global_load_dword v6, v[2:3], off
	v_add_u32_e32 v4, 32, v4
	v_cmp_lt_u32_e32 vcc, 15, v4
	v_lshl_add_u64 v[2:3], v[2:3], 0, s[10:11]
	s_or_b64 s[8:9], vcc, s[8:9]
	s_waitcnt vmcnt(0)
	ds_write_b32 v5, v6
	v_add_u32_e32 v5, 0x80, v5
	s_andn2_b64 exec, exec, s[8:9]
	s_cbranch_execnz .LBB216_5
.LBB216_6:
	s_or_b64 exec, exec, s[6:7]
	s_ashr_i32 s6, s2, 31
	s_ashr_i32 s7, s13, 31
	s_xor_b32 s6, s6, s7
	s_mul_i32 s7, s15, s12
	s_sub_i32 s7, s14, s7
	s_add_i32 s8, s15, 1
	s_sub_i32 s9, s7, s12
	s_load_dwordx4 s[28:31], s[0:1], 0x78
	s_cmp_ge_u32 s7, s12
	s_cselect_b32 s8, s8, s15
	s_cselect_b32 s7, s9, s7
	s_add_i32 s9, s8, 1
	s_cmp_ge_u32 s7, s12
	s_cselect_b32 s7, s9, s8
	s_load_dword s8, s[0:1], 0x88
	s_waitcnt lgkmcnt(0)
	s_abs_i32 s37, s31
	v_cvt_f32_u32_e32 v2, s37
	s_xor_b32 s7, s7, s6
	s_sub_i32 s50, s7, s6
	s_sub_i32 s6, 0, s37
	v_rcp_iflag_f32_e32 v2, v2
	s_add_i32 s11, s41, -1
	s_abs_i32 s9, s11
	v_mul_f32_e32 v2, 0x4f7ffffe, v2
	v_cvt_u32_f32_e32 v2, v2
	s_barrier
	v_readfirstlane_b32 s48, v2
	s_mul_i32 s6, s6, s48
	s_mul_hi_u32 s6, s48, s6
	s_add_i32 s48, s48, s6
	s_cmp_lt_i32 s8, 0
	s_mul_hi_u32 s10, s9, s48
	s_cbranch_scc0 .LBB216_8
; %bb.7:
	s_mul_i32 s6, s28, s44
	s_add_i32 s6, s50, s6
	s_mul_i32 s6, s6, s8
	s_sub_i32 s44, 1, s6
	s_ashr_i32 s11, s11, 31
	s_ashr_i32 s31, s31, 31
	s_cbranch_execz .LBB216_9
	s_branch .LBB216_10
.LBB216_8:
                                        ; implicit-def: $sgpr44
	s_ashr_i32 s11, s11, 31
	s_ashr_i32 s31, s31, 31
.LBB216_9:
	s_mul_i32 s6, s5, s28
	s_add_i32 s6, s6, s2
	s_mul_i32 s6, s6, s8
	s_add_i32 s44, s6, 1
.LBB216_10:
	s_load_dword s6, s[0:1], 0x48
	s_load_dwordx4 s[12:15], s[0:1], 0x68
	s_mul_i32 s1, s10, s37
	s_sub_i32 s1, s9, s1
	s_xor_b32 s0, s11, s31
	s_waitcnt lgkmcnt(0)
	s_mul_i32 s42, s40, s6
	s_ashr_i32 s43, s42, 31
	s_add_i32 s6, s10, 1
	s_sub_i32 s7, s1, s37
	s_cmp_ge_u32 s1, s37
	s_cselect_b32 s6, s6, s10
	s_cselect_b32 s1, s7, s1
	s_add_i32 s7, s6, 1
	s_cmp_ge_u32 s1, s37
	s_cselect_b32 s1, s7, s6
	s_xor_b32 s1, s1, s0
	s_sub_i32 s49, s1, s0
	s_add_i32 s0, s41, 15
	s_ashr_i32 s1, s0, 31
	s_lshr_b32 s1, s1, 28
	s_add_i32 s0, s0, s1
	s_lshl_b32 s52, s4, 5
	s_ashr_i32 s16, s0, 4
	s_add_i32 s0, s52, 32
	v_lshrrev_b32_e32 v50, 6, v0
	s_min_i32 s28, s0, s16
	v_or_b32_e32 v44, s52, v50
	v_cmp_gt_i32_e64 s[0:1], s28, v44
	v_mov_b32_e32 v54, 0xff7fffff
	s_mul_i32 s50, s50, s18
	v_ashrrev_i32_e32 v45, 31, v44
	v_lshl_add_u32 v75, v50, 4, s51
	v_mbcnt_lo_u32_b32 v51, -1, 0
	s_and_saveexec_b64 s[18:19], s[0:1]
	s_cbranch_execz .LBB216_20
; %bb.11:
	s_sub_i32 s53, s49, s29
	s_ashr_i32 s7, s50, 31
	s_add_u32 s6, s20, s50
	s_addc_u32 s7, s21, s7
	s_abs_i32 s54, s30
	v_cvt_f32_u32_e32 v3, s54
	v_bfe_u32 v52, v0, 2, 4
	v_lshlrev_b32_e32 v2, 4, v52
	s_sub_i32 s8, 0, s54
	v_rcp_iflag_f32_e32 v4, v3
	v_mov_b32_e32 v3, 0
	v_lshl_add_u64 v[46:47], s[6:7], 0, v[2:3]
	v_mov_b32_e32 v43, v3
	v_mul_f32_e32 v2, 0x4f7ffffe, v4
	v_cvt_u32_f32_e32 v2, v2
	v_mbcnt_hi_u32_b32 v60, -1, v51
	v_cmp_eq_u32_e32 vcc, 0, v42
	s_mov_b32 s55, s17
	v_mul_lo_u32 v3, s8, v2
	v_mul_hi_u32 v3, v2, v3
	v_add_u32_e32 v55, v2, v3
	v_lshlrev_b32_e32 v2, 2, v52
	s_lshl_b64 s[8:9], s[42:43], 2
	v_lshl_or_b32 v2, v50, 6, v2
	s_add_u32 s8, s38, s8
	v_add_u32_e32 v57, 0x310, v2
	v_subrev_u32_e32 v2, s41, v52
	s_addc_u32 s9, s39, s9
	v_add_u32_e32 v58, 1, v2
	v_and_b32_e32 v2, 64, v60
	v_mul_u32_u24_e32 v53, 0xc0, v42
	v_cmp_neq_f32_e64 s[6:7], s3, 0
	v_lshl_add_u64 v[48:49], v[44:45], 2, s[8:9]
	v_lshl_add_u32 v56, v50, 4, s51
	s_mov_b64 s[20:21], 0
	v_mov_b32_e32 v59, 0xff7fffff
	v_add_u32_e32 v61, 64, v2
	v_xor_b32_e32 v62, 2, v60
	v_xor_b32_e32 v63, 1, v60
	v_mov_b32_e32 v54, 0xff7fffff
	v_mov_b32_e32 v64, v44
	s_branch .LBB216_14
.LBB216_12:                             ;   in Loop: Header=BB216_14 Depth=1
	s_or_b64 exec, exec, s[46:47]
.LBB216_13:                             ;   in Loop: Header=BB216_14 Depth=1
	s_or_b64 exec, exec, s[10:11]
	v_add_u32_e32 v64, 2, v64
	v_cmp_le_i32_e64 s[8:9], s28, v64
	v_lshl_add_u64 v[48:49], v[48:49], 0, 8
	v_add_u32_e32 v56, 32, v56
	s_or_b64 s[20:21], s[8:9], s[20:21]
	v_add_u32_e32 v57, 0x80, v57
	s_andn2_b64 exec, exec, s[20:21]
	s_cbranch_execz .LBB216_19
.LBB216_14:                             ; =>This Inner Loop Header: Depth=1
	s_waitcnt lgkmcnt(0)
	v_sub_u32_e32 v3, 0, v56
	v_max_i32_e32 v3, v56, v3
	v_mul_hi_u32 v4, v3, s48
	v_mul_lo_u32 v5, v4, s37
	v_sub_u32_e32 v3, v3, v5
	v_add_u32_e32 v5, 1, v4
	v_cmp_le_u32_e64 s[8:9], s37, v3
	v_ashrrev_i32_e32 v2, 31, v56
	v_xor_b32_e32 v2, s31, v2
	v_cndmask_b32_e64 v4, v4, v5, s[8:9]
	v_subrev_u32_e32 v5, s37, v3
	v_cndmask_b32_e64 v3, v3, v5, s[8:9]
	v_add_u32_e32 v5, 1, v4
	v_cmp_le_u32_e64 s[8:9], s37, v3
	s_nop 1
	v_cndmask_b32_e64 v3, v4, v5, s[8:9]
	v_xor_b32_e32 v3, v3, v2
	v_sub_u32_e32 v2, v3, v2
	v_add_u32_e32 v3, s44, v2
	v_sub_u32_e32 v5, 0, v3
	v_ashrrev_i32_e32 v4, 31, v3
	v_max_i32_e32 v3, v3, v5
	v_mul_hi_u32 v5, v3, v55
	v_mul_lo_u32 v5, v5, s54
	v_sub_u32_e32 v3, v3, v5
	v_subrev_u32_e32 v5, s54, v3
	v_cmp_le_u32_e64 s[8:9], s54, v3
	v_cmp_ge_i32_e64 s[10:11], s53, v2
	s_nop 0
	v_cndmask_b32_e64 v3, v3, v5, s[8:9]
	v_subrev_u32_e32 v5, s54, v3
	v_cmp_le_u32_e64 s[8:9], s54, v3
	s_nop 1
	v_cndmask_b32_e64 v3, v3, v5, s[8:9]
	v_xor_b32_e32 v3, v3, v4
	v_sub_u32_e32 v3, v3, v4
	v_cmp_ne_u32_e64 s[8:9], 0, v3
	s_and_b64 s[8:9], s[8:9], s[10:11]
	s_and_b64 s[46:47], vcc, s[8:9]
	s_and_saveexec_b64 s[10:11], s[46:47]
	s_cbranch_execz .LBB216_16
; %bb.15:                               ;   in Loop: Header=BB216_14 Depth=1
	ds_write_b32 v57, v59
.LBB216_16:                             ;   in Loop: Header=BB216_14 Depth=1
	s_or_b64 exec, exec, s[10:11]
	s_xor_b64 s[8:9], s[8:9], -1
	s_and_saveexec_b64 s[10:11], s[8:9]
	s_cbranch_execz .LBB216_13
; %bb.17:                               ;   in Loop: Header=BB216_14 Depth=1
	global_load_dword v2, v[48:49], off
	s_waitcnt vmcnt(0)
	v_mad_i64_i32 v[2:3], s[8:9], v2, s55, v[46:47]
	v_lshl_add_u64 v[2:3], v[2:3], 0, v[42:43]
	global_load_ubyte v30, v[2:3], off
	global_load_ubyte v31, v[2:3], off offset:4
	global_load_ubyte v32, v[2:3], off offset:8
	;; [unrolled: 1-line block ×47, first 2 shown]
	ds_read_b128 v[26:29], v53
	ds_read_b128 v[34:37], v53 offset:16
	s_load_dword s46, s[12:13], 0x0
	ds_read_b128 v[6:9], v53 offset:32
	ds_read_b128 v[2:5], v53 offset:48
	;; [unrolled: 1-line block ×6, first 2 shown]
	v_cmp_lt_i32_e64 s[8:9], v62, v61
	s_waitcnt vmcnt(47)
	v_cvt_f32_fp8_sdwa v30, v30 src0_sel:BYTE_0
	s_waitcnt vmcnt(46)
	v_cvt_f32_fp8_sdwa v31, v31 src0_sel:BYTE_0
	;; [unrolled: 2-line block ×5, first 2 shown]
	s_waitcnt lgkmcnt(0)
	v_mul_f32_e32 v31, s46, v31
	v_mul_f32_e32 v30, s46, v30
	;; [unrolled: 1-line block ×3, first 2 shown]
	s_waitcnt vmcnt(42)
	v_cvt_f32_fp8_sdwa v39, v39 src0_sel:BYTE_0
	v_mul_f32_e32 v32, s46, v32
	v_fmac_f32_e32 v107, v26, v30
	s_waitcnt vmcnt(41)
	v_cvt_f32_fp8_sdwa v40, v40 src0_sel:BYTE_0
	v_mul_f32_e32 v33, s46, v33
	v_fmac_f32_e32 v107, v28, v32
	s_waitcnt vmcnt(40)
	v_cvt_f32_fp8_sdwa v41, v41 src0_sel:BYTE_0
	v_fmac_f32_e32 v107, v29, v33
	s_waitcnt vmcnt(39)
	v_cvt_f32_fp8_sdwa v77, v77 src0_sel:BYTE_0
	v_mul_f32_e32 v38, s46, v38
	v_mul_f32_e32 v39, s46, v39
	v_fmac_f32_e32 v107, v34, v38
	s_waitcnt vmcnt(38)
	v_cvt_f32_fp8_sdwa v65, v65 src0_sel:BYTE_0
	v_mul_f32_e32 v40, s46, v40
	v_fmac_f32_e32 v107, v35, v39
	s_waitcnt vmcnt(37)
	v_cvt_f32_fp8_sdwa v66, v66 src0_sel:BYTE_0
	;; [unrolled: 4-line block ×3, first 2 shown]
	v_fmac_f32_e32 v107, v37, v41
	v_mul_f32_e32 v77, s46, v77
	s_waitcnt vmcnt(35)
	v_cvt_f32_fp8_sdwa v68, v68 src0_sel:BYTE_0
	v_fmac_f32_e32 v107, v6, v77
	s_waitcnt vmcnt(34)
	v_cvt_f32_fp8_sdwa v69, v69 src0_sel:BYTE_0
	v_mul_f32_e32 v65, s46, v65
	s_waitcnt vmcnt(33)
	v_cvt_f32_fp8_sdwa v70, v70 src0_sel:BYTE_0
	v_mul_f32_e32 v66, s46, v66
	v_fmac_f32_e32 v107, v7, v65
	s_waitcnt vmcnt(32)
	v_cvt_f32_fp8_sdwa v71, v71 src0_sel:BYTE_0
	v_mul_f32_e32 v67, s46, v67
	v_fmac_f32_e32 v107, v8, v66
	;; [unrolled: 4-line block ×19, first 2 shown]
	ds_read_b128 v[30:33], v53 offset:128
	ds_read_b128 v[26:29], v53 offset:144
	s_waitcnt vmcnt(14)
	v_cvt_f32_fp8_sdwa v91, v92 src0_sel:BYTE_0
	v_mul_f32_e32 v87, s46, v87
	v_fmac_f32_e32 v107, v14, v86
	s_waitcnt vmcnt(13)
	v_cvt_f32_fp8_sdwa v92, v93 src0_sel:BYTE_0
	v_mul_f32_e32 v88, s46, v88
	v_fmac_f32_e32 v107, v15, v87
	;; [unrolled: 4-line block ×4, first 2 shown]
	s_waitcnt vmcnt(10)
	v_cvt_f32_fp8_sdwa v95, v96 src0_sel:BYTE_0
	v_mul_f32_e32 v91, s46, v91
	s_waitcnt lgkmcnt(1)
	v_fmac_f32_e32 v107, v30, v90
	s_waitcnt vmcnt(9)
	v_cvt_f32_fp8_sdwa v96, v97 src0_sel:BYTE_0
	v_mul_f32_e32 v92, s46, v92
	v_fmac_f32_e32 v107, v31, v91
	s_waitcnt vmcnt(8)
	v_cvt_f32_fp8_sdwa v97, v98 src0_sel:BYTE_0
	v_mul_f32_e32 v93, s46, v93
	;; [unrolled: 4-line block ×3, first 2 shown]
	v_fmac_f32_e32 v107, v33, v93
	ds_read_b128 v[38:41], v53 offset:160
	ds_read_b128 v[34:37], v53 offset:176
	s_waitcnt vmcnt(6)
	v_cvt_f32_fp8_sdwa v99, v100 src0_sel:BYTE_0
	v_mul_f32_e32 v95, s46, v95
	s_waitcnt lgkmcnt(2)
	v_fmac_f32_e32 v107, v26, v94
	s_waitcnt vmcnt(5)
	v_cvt_f32_fp8_sdwa v100, v101 src0_sel:BYTE_0
	v_mul_f32_e32 v96, s46, v96
	v_fmac_f32_e32 v107, v27, v95
	s_waitcnt vmcnt(4)
	v_cvt_f32_fp8_sdwa v101, v102 src0_sel:BYTE_0
	v_mul_f32_e32 v97, s46, v97
	;; [unrolled: 4-line block ×4, first 2 shown]
	s_waitcnt lgkmcnt(1)
	v_fmac_f32_e32 v107, v38, v98
	s_waitcnt vmcnt(1)
	v_cvt_f32_fp8_sdwa v104, v105 src0_sel:BYTE_0
	v_mul_f32_e32 v100, s46, v100
	v_fmac_f32_e32 v107, v39, v99
	s_waitcnt vmcnt(0)
	v_cvt_f32_fp8_sdwa v105, v106 src0_sel:BYTE_0
	v_mul_f32_e32 v101, s46, v101
	v_fmac_f32_e32 v107, v40, v100
	v_mul_f32_e32 v102, s46, v102
	v_fmac_f32_e32 v107, v41, v101
	v_mul_f32_e32 v103, s46, v103
	s_waitcnt lgkmcnt(0)
	v_fmac_f32_e32 v107, v34, v102
	v_mul_f32_e32 v104, s46, v104
	v_fmac_f32_e32 v107, v35, v103
	v_cndmask_b32_e64 v6, v60, v62, s[8:9]
	v_mul_f32_e32 v105, s46, v105
	v_fmac_f32_e32 v107, v36, v104
	v_lshlrev_b32_e32 v2, 2, v6
	v_fmac_f32_e32 v107, v37, v105
	ds_bpermute_b32 v2, v2, v107
	v_cmp_lt_i32_e64 s[8:9], v63, v61
	s_waitcnt lgkmcnt(0)
	v_add_f32_e32 v2, v107, v2
	v_cndmask_b32_e64 v3, v60, v63, s[8:9]
	v_lshlrev_b32_e32 v3, 2, v3
	ds_bpermute_b32 v3, v3, v2
	s_and_saveexec_b64 s[46:47], vcc
	s_cbranch_execz .LBB216_12
; %bb.18:                               ;   in Loop: Header=BB216_14 Depth=1
	v_add_u32_e32 v4, v58, v56
	v_cvt_f32_i32_e32 v4, v4
	s_waitcnt lgkmcnt(0)
	v_add_f32_e32 v2, v2, v3
	v_add_u32_e32 v5, v52, v56
	v_cmp_gt_i32_e64 s[8:9], s41, v5
	v_mul_f32_e32 v3, s3, v4
	v_cndmask_b32_e64 v3, 0, v3, s[6:7]
	v_fmac_f32_e32 v3, s45, v2
	v_cndmask_b32_e64 v2, 0, v3, s[8:9]
	ds_write_b32 v57, v2
	v_max_f32_e32 v2, v54, v54
	v_max_f32_e32 v2, v2, v3
	v_cndmask_b32_e64 v54, v54, v2, s[8:9]
	s_branch .LBB216_12
.LBB216_19:
	s_or_b64 exec, exec, s[20:21]
.LBB216_20:
	s_or_b64 exec, exec, s[18:19]
	v_mbcnt_hi_u32_b32 v2, -1, v51
	s_waitcnt lgkmcnt(0)
	v_and_b32_e32 v3, 64, v2
	v_add_u32_e32 v3, 64, v3
	v_xor_b32_e32 v4, 32, v2
	v_cmp_lt_i32_e32 vcc, v4, v3
	v_xor_b32_e32 v7, 16, v2
	v_max_f32_e32 v6, v54, v54
	v_cndmask_b32_e32 v4, v2, v4, vcc
	v_lshlrev_b32_e32 v5, 2, v4
	ds_bpermute_b32 v4, v5, v54
	v_cmp_lt_i32_e32 vcc, v7, v3
	v_xor_b32_e32 v8, 8, v2
	v_and_b32_e32 v43, 63, v0
	s_waitcnt lgkmcnt(0)
	v_max_f32_e32 v4, v4, v4
	v_max_f32_e32 v4, v6, v4
	v_cndmask_b32_e32 v6, v2, v7, vcc
	v_lshlrev_b32_e32 v6, 2, v6
	ds_bpermute_b32 v7, v6, v4
	v_cmp_lt_i32_e32 vcc, v8, v3
	s_waitcnt lgkmcnt(0)
	v_max_f32_e32 v7, v7, v7
	v_max_f32_e32 v4, v4, v7
	v_cndmask_b32_e32 v7, v2, v8, vcc
	v_lshlrev_b32_e32 v9, 2, v7
	ds_bpermute_b32 v7, v9, v4
	v_xor_b32_e32 v8, 4, v2
	v_cmp_lt_i32_e32 vcc, v8, v3
	s_waitcnt lgkmcnt(0)
	v_max_f32_e32 v7, v7, v7
	v_max_f32_e32 v4, v4, v7
	v_cndmask_b32_e32 v7, v2, v8, vcc
	v_lshlrev_b32_e32 v10, 2, v7
	ds_bpermute_b32 v8, v10, v4
	v_cmp_eq_u32_e32 vcc, 0, v43
	v_lshlrev_b32_e32 v7, 2, v50
	s_and_saveexec_b64 s[6:7], vcc
	s_cbranch_execz .LBB216_22
; %bb.21:
	s_waitcnt lgkmcnt(0)
	v_max_f32_e32 v8, v8, v8
	v_max_f32_e32 v4, v4, v4
	;; [unrolled: 1-line block ×3, first 2 shown]
	ds_write_b32 v7, v4 offset:768
.LBB216_22:
	s_or_b64 exec, exec, s[6:7]
	v_cmp_gt_u32_e64 s[6:7], 2, v43
	v_mov_b32_e32 v4, 0xff7fffff
	s_waitcnt lgkmcnt(0)
	v_lshlrev_b32_e32 v8, 2, v43
	s_barrier
	s_and_saveexec_b64 s[8:9], s[6:7]
	s_cbranch_execz .LBB216_24
; %bb.23:
	ds_read_b32 v4, v8 offset:768
.LBB216_24:
	s_or_b64 exec, exec, s[8:9]
	v_xor_b32_e32 v11, 1, v2
	v_cmp_lt_i32_e64 s[8:9], v11, v3
	s_sub_i32 s3, s28, s52
	s_lshl_b32 s3, s3, 4
	v_cndmask_b32_e64 v11, v2, v11, s[8:9]
	v_lshlrev_b32_e32 v76, 2, v11
	s_waitcnt lgkmcnt(0)
	ds_bpermute_b32 v11, v76, v4
	v_max_f32_e32 v4, v4, v4
	s_add_i32 s3, s3, s51
	s_min_i32 s20, s3, s41
	s_sub_i32 s3, s20, s51
	s_waitcnt lgkmcnt(0)
	v_max_f32_e32 v11, v11, v11
	v_max_f32_e32 v4, v4, v11
	v_lshlrev_b32_e32 v11, 2, v2
	v_and_b32_e32 v11, 0x100, v11
	ds_bpermute_b32 v4, v11, v4
	v_cmp_gt_i32_e64 s[8:9], s3, v0
	v_mov_b32_e32 v12, 0
	s_and_saveexec_b64 s[12:13], s[8:9]
	s_cbranch_execz .LBB216_28
; %bb.25:
	v_mov_b32_e32 v12, 0x310
	v_lshl_add_u32 v13, v0, 2, v12
	s_mov_b64 s[18:19], 0
	v_mov_b32_e32 v12, 0
	v_mov_b32_e32 v14, v0
.LBB216_26:                             ; =>This Inner Loop Header: Depth=1
	ds_read_b32 v15, v13
	v_add_u32_e32 v14, 0x80, v14
	v_cmp_le_i32_e64 s[10:11], s3, v14
	s_or_b64 s[18:19], s[10:11], s[18:19]
	s_waitcnt lgkmcnt(0)
	v_sub_f32_e32 v15, v15, v4
	v_mul_f32_e32 v15, 0x3fb8aa3b, v15
	v_exp_f32_e32 v15, v15
	ds_write_b32 v13, v15
	v_add_f32_e32 v12, v12, v15
	v_add_u32_e32 v13, 0x200, v13
	s_andn2_b64 exec, exec, s[18:19]
	s_cbranch_execnz .LBB216_26
; %bb.27:
	s_or_b64 exec, exec, s[18:19]
.LBB216_28:
	s_or_b64 exec, exec, s[12:13]
	ds_bpermute_b32 v5, v5, v12
	s_waitcnt lgkmcnt(0)
	v_add_f32_e32 v5, v12, v5
	ds_bpermute_b32 v6, v6, v5
	s_waitcnt lgkmcnt(0)
	v_add_f32_e32 v5, v5, v6
	ds_bpermute_b32 v6, v9, v5
	v_xor_b32_e32 v9, 2, v2
	v_cmp_lt_i32_e64 s[10:11], v9, v3
	s_waitcnt lgkmcnt(0)
	v_add_f32_e32 v5, v5, v6
	ds_bpermute_b32 v6, v10, v5
	v_cndmask_b32_e64 v2, v2, v9, s[10:11]
	v_lshlrev_b32_e32 v77, 2, v2
	s_waitcnt lgkmcnt(0)
	v_add_f32_e32 v3, v5, v6
	ds_bpermute_b32 v2, v77, v3
	s_waitcnt lgkmcnt(0)
	v_add_f32_e32 v2, v3, v2
	ds_bpermute_b32 v3, v76, v2
	s_waitcnt lgkmcnt(0)
	v_add_f32_e32 v2, v2, v3
	s_and_saveexec_b64 s[10:11], vcc
	s_cbranch_execz .LBB216_30
; %bb.29:
	ds_write_b32 v7, v2 offset:776
.LBB216_30:
	s_or_b64 exec, exec, s[10:11]
	s_waitcnt lgkmcnt(0)
	s_barrier
	s_and_saveexec_b64 s[10:11], s[6:7]
	s_cbranch_execz .LBB216_32
; %bb.31:
	ds_read_b32 v2, v8 offset:776
.LBB216_32:
	s_or_b64 exec, exec, s[10:11]
	s_waitcnt lgkmcnt(0)
	ds_bpermute_b32 v3, v76, v2
	s_waitcnt lgkmcnt(0)
	v_add_f32_e32 v2, v2, v3
	ds_bpermute_b32 v5, v11, v2
	s_and_saveexec_b64 s[6:7], s[8:9]
	s_cbranch_execz .LBB216_45
; %bb.33:
	s_waitcnt lgkmcnt(0)
	v_add_f32_e32 v2, 0x358637bd, v5
	v_div_scale_f32 v3, s[8:9], v2, v2, 1.0
	v_rcp_f32_e32 v6, v3
	v_div_scale_f32 v7, vcc, 1.0, v2, 1.0
	s_movk_i32 s8, 0x7f
	v_fma_f32 v8, -v3, v6, 1.0
	v_fmac_f32_e32 v6, v8, v6
	v_mul_f32_e32 v8, v7, v6
	v_fma_f32 v9, -v3, v8, v7
	v_fmac_f32_e32 v8, v9, v6
	v_fma_f32 v3, -v3, v8, v7
	v_div_fmas_f32 v3, v3, v6, v8
	v_div_fixup_f32 v2, v3, v2, 1.0
	v_xad_u32 v3, v0, -1, s20
	v_subrev_u32_e32 v6, s51, v3
	v_cmp_lt_u32_e32 vcc, s8, v6
	s_mov_b64 s[10:11], -1
	v_mov_b32_e32 v3, v0
	s_and_saveexec_b64 s[8:9], vcc
	s_cbranch_execz .LBB216_42
; %bb.34:
	v_lshrrev_b32_e32 v6, 7, v6
	v_add_u32_e32 v8, -1, v6
	v_lshrrev_b32_e32 v7, 1, v8
	v_mov_b32_e32 v3, v2
	v_add_u32_e32 v7, 1, v7
	v_cmp_lt_u32_e32 vcc, 13, v8
	v_mov_b32_e32 v10, 0
	s_and_saveexec_b64 s[10:11], vcc
	s_cbranch_execz .LBB216_38
; %bb.35:
	v_mov_b32_e32 v9, 0x310
	v_and_b32_e32 v8, -8, v7
	v_lshl_add_u32 v9, v0, 2, v9
	s_mov_b32 s18, 0
	s_mov_b64 s[12:13], 0
.LBB216_36:                             ; =>This Inner Loop Header: Depth=1
	ds_read2st64_b32 v[10:11], v9 offset1:2
	ds_read2st64_b32 v[12:13], v9 offset0:4 offset1:6
	ds_read2st64_b32 v[14:15], v9 offset0:8 offset1:10
	;; [unrolled: 1-line block ×3, first 2 shown]
	v_add_u32_e32 v8, -8, v8
	s_waitcnt lgkmcnt(3)
	v_pk_mul_f32 v[10:11], v[2:3], v[10:11]
	s_waitcnt lgkmcnt(2)
	v_pk_mul_f32 v[12:13], v[2:3], v[12:13]
	ds_write2st64_b32 v9, v10, v11 offset1:2
	ds_write2st64_b32 v9, v12, v13 offset0:4 offset1:6
	ds_read2st64_b32 v[12:13], v9 offset0:16 offset1:18
	s_waitcnt lgkmcnt(4)
	v_pk_mul_f32 v[10:11], v[2:3], v[14:15]
	ds_write2st64_b32 v9, v10, v11 offset0:8 offset1:10
	s_waitcnt lgkmcnt(4)
	v_pk_mul_f32 v[10:11], v[2:3], v[16:17]
	ds_write2st64_b32 v9, v10, v11 offset0:12 offset1:14
	ds_read2st64_b32 v[10:11], v9 offset0:20 offset1:22
	s_waitcnt lgkmcnt(3)
	v_pk_mul_f32 v[12:13], v[2:3], v[12:13]
	ds_read2st64_b32 v[14:15], v9 offset0:24 offset1:26
	ds_write2st64_b32 v9, v12, v13 offset0:16 offset1:18
	ds_read2st64_b32 v[12:13], v9 offset0:28 offset1:30
	s_waitcnt lgkmcnt(3)
	v_pk_mul_f32 v[10:11], v[2:3], v[10:11]
	ds_write2st64_b32 v9, v10, v11 offset0:20 offset1:22
	s_waitcnt lgkmcnt(3)
	v_pk_mul_f32 v[10:11], v[2:3], v[14:15]
	ds_write2st64_b32 v9, v10, v11 offset0:24 offset1:26
	s_waitcnt lgkmcnt(2)
	v_pk_mul_f32 v[10:11], v[2:3], v[12:13]
	s_add_i32 s18, s18, 16
	v_cmp_eq_u32_e32 vcc, 0, v8
	ds_write2st64_b32 v9, v10, v11 offset0:28 offset1:30
	v_add_u32_e32 v9, 0x2000, v9
	s_or_b64 s[12:13], vcc, s[12:13]
	v_mov_b32_e32 v10, s18
	s_andn2_b64 exec, exec, s[12:13]
	s_cbranch_execnz .LBB216_36
; %bb.37:
	s_or_b64 exec, exec, s[12:13]
.LBB216_38:
	s_or_b64 exec, exec, s[10:11]
	v_and_b32_e32 v7, 7, v7
	v_cmp_ne_u32_e32 vcc, 0, v7
	s_and_saveexec_b64 s[10:11], vcc
	s_cbranch_execz .LBB216_41
; %bb.39:
	v_lshlrev_b32_e32 v8, 9, v10
	v_lshlrev_b32_e32 v9, 2, v0
	s_movk_i32 s12, 0x310
	v_add3_u32 v8, v8, v9, s12
	s_mov_b64 s[12:13], 0
.LBB216_40:                             ; =>This Inner Loop Header: Depth=1
	ds_read2st64_b32 v[10:11], v8 offset1:2
	v_add_u32_e32 v7, -1, v7
	v_cmp_eq_u32_e32 vcc, 0, v7
	s_or_b64 s[12:13], vcc, s[12:13]
	s_waitcnt lgkmcnt(0)
	v_pk_mul_f32 v[10:11], v[2:3], v[10:11]
	ds_write2st64_b32 v8, v10, v11 offset1:2
	v_add_u32_e32 v8, 0x400, v8
	s_andn2_b64 exec, exec, s[12:13]
	s_cbranch_execnz .LBB216_40
.LBB216_41:
	s_or_b64 exec, exec, s[10:11]
	v_add_u32_e32 v6, 1, v6
	v_and_b32_e32 v7, 0x3fffffe, v6
	v_cmp_ne_u32_e32 vcc, v6, v7
	v_lshl_add_u32 v3, v7, 7, v0
	s_orn2_b64 s[10:11], vcc, exec
.LBB216_42:
	s_or_b64 exec, exec, s[8:9]
	s_and_b64 exec, exec, s[10:11]
	s_cbranch_execz .LBB216_45
; %bb.43:
	v_mov_b32_e32 v6, 0x310
	v_lshl_add_u32 v6, v3, 2, v6
	s_mov_b64 s[8:9], 0
.LBB216_44:                             ; =>This Inner Loop Header: Depth=1
	ds_read_b32 v7, v6
	v_add_u32_e32 v3, 0x80, v3
	v_cmp_le_i32_e32 vcc, s3, v3
	s_or_b64 s[8:9], vcc, s[8:9]
	s_waitcnt lgkmcnt(0)
	v_mul_f32_e32 v7, v2, v7
	ds_write_b32 v6, v7
	v_add_u32_e32 v6, 0x200, v6
	s_andn2_b64 exec, exec, s[8:9]
	s_cbranch_execnz .LBB216_44
.LBB216_45:
	s_or_b64 exec, exec, s[6:7]
	s_mul_i32 s3, s33, s40
	v_cmp_eq_u32_e32 vcc, 0, v0
	s_mul_i32 s6, s3, s5
	s_waitcnt lgkmcnt(0)
	s_barrier
	s_and_saveexec_b64 s[8:9], vcc
	s_cbranch_execz .LBB216_47
; %bb.46:
	s_ashr_i32 s7, s6, 31
	s_lshl_b64 s[10:11], s[6:7], 2
	s_add_u32 s5, s26, s10
	s_mul_i32 s2, s33, s2
	s_addc_u32 s7, s27, s11
	s_ashr_i32 s3, s2, 31
	s_lshl_b64 s[2:3], s[2:3], 2
	s_add_u32 s18, s5, s2
	s_addc_u32 s7, s7, s3
	s_ashr_i32 s5, s4, 31
	s_lshl_b64 s[12:13], s[4:5], 2
	s_add_u32 s18, s18, s12
	s_addc_u32 s19, s7, s13
	s_add_u32 s5, s24, s10
	s_addc_u32 s7, s25, s11
	;; [unrolled: 2-line block ×3, first 2 shown]
	s_add_u32 s2, s2, s12
	v_mov_b32_e32 v2, 0
	s_addc_u32 s3, s3, s13
	global_store_dword v2, v4, s[18:19]
	global_store_dword v2, v5, s[2:3]
.LBB216_47:
	s_or_b64 exec, exec, s[8:9]
	v_mov_b32_e32 v7, 0
	v_mov_b32_e32 v6, 0
	;; [unrolled: 1-line block ×12, first 2 shown]
	s_and_saveexec_b64 s[2:3], s[0:1]
	s_cbranch_execz .LBB216_77
; %bb.48:
	s_sub_i32 s5, s49, s29
	s_ashr_i32 s1, s50, 31
	s_add_u32 s0, s22, s50
	s_addc_u32 s1, s23, s1
	s_abs_i32 s7, s30
	v_cvt_f32_u32_e32 v2, s7
	v_lshlrev_b32_e32 v3, 2, v0
	s_sub_i32 s8, 0, s7
	v_mov_b32_e32 v7, 0
	v_rcp_iflag_f32_e32 v2, v2
	v_and_b32_e32 v78, 12, v3
	v_and_b32_e32 v6, 0xfc, v3
	s_add_i32 s19, s16, -1
	v_mul_f32_e32 v2, 0x4f7ffffe, v2
	v_cvt_u32_f32_e32 v2, v2
	v_lshl_add_u64 v[18:19], s[0:1], 0, v[6:7]
	s_lshl_b64 s[0:1], s[42:43], 2
	s_add_u32 s0, s38, s0
	v_mul_lo_u32 v3, s8, v2
	v_mul_hi_u32 v3, v2, v3
	v_add_u32_e32 v79, v2, v3
	v_lshlrev_b32_e32 v2, 4, v42
	s_addc_u32 s1, s39, s1
	v_lshl_or_b32 v2, v50, 6, v2
	s_mov_b32 s18, s17
	v_lshl_add_u64 v[20:21], v[44:45], 2, s[0:1]
	v_add_u32_e32 v45, 0x310, v2
	s_mov_b64 s[8:9], 0
	v_mov_b32_e32 v6, v7
	v_mov_b32_e32 v9, v7
	;; [unrolled: 1-line block ×11, first 2 shown]
	s_branch .LBB216_51
.LBB216_49:                             ;   in Loop: Header=BB216_51 Depth=1
	s_or_b64 exec, exec, s[0:1]
	v_mul_f32_e32 v73, v3, v73
	v_mul_f32_e32 v67, v3, v67
	;; [unrolled: 1-line block ×12, first 2 shown]
	v_fmac_f32_e32 v73, v2, v72
	v_fmac_f32_e32 v67, v2, v66
	;; [unrolled: 1-line block ×36, first 2 shown]
	v_add_f32_e32 v6, v6, v73
	v_add_f32_e32 v9, v9, v67
	;; [unrolled: 1-line block ×12, first 2 shown]
.LBB216_50:                             ;   in Loop: Header=BB216_51 Depth=1
	s_or_b64 exec, exec, s[10:11]
	v_add_u32_e32 v44, 2, v44
	v_cmp_le_i32_e32 vcc, s28, v44
	v_lshl_add_u64 v[20:21], v[20:21], 0, 8
	v_add_u32_e32 v75, 32, v75
	s_or_b64 s[8:9], vcc, s[8:9]
	v_add_u32_e32 v45, 0x80, v45
	s_andn2_b64 exec, exec, s[8:9]
	s_cbranch_execz .LBB216_76
.LBB216_51:                             ; =>This Inner Loop Header: Depth=1
	v_sub_u32_e32 v3, 0, v75
	v_max_i32_e32 v3, v75, v3
	v_mul_hi_u32 v4, v3, s48
	v_mul_lo_u32 v5, v4, s37
	v_sub_u32_e32 v3, v3, v5
	v_add_u32_e32 v5, 1, v4
	v_cmp_le_u32_e32 vcc, s37, v3
	v_ashrrev_i32_e32 v2, 31, v75
	v_xor_b32_e32 v2, s31, v2
	v_cndmask_b32_e32 v4, v4, v5, vcc
	v_subrev_u32_e32 v5, s37, v3
	v_cndmask_b32_e32 v3, v3, v5, vcc
	v_add_u32_e32 v5, 1, v4
	v_cmp_le_u32_e32 vcc, s37, v3
	s_nop 1
	v_cndmask_b32_e32 v3, v4, v5, vcc
	v_xor_b32_e32 v3, v3, v2
	v_sub_u32_e32 v2, v3, v2
	v_add_u32_e32 v3, s44, v2
	v_sub_u32_e32 v5, 0, v3
	v_ashrrev_i32_e32 v4, 31, v3
	v_max_i32_e32 v3, v3, v5
	v_mul_hi_u32 v5, v3, v79
	v_mul_lo_u32 v5, v5, s7
	v_sub_u32_e32 v3, v3, v5
	v_subrev_u32_e32 v5, s7, v3
	v_cmp_le_u32_e32 vcc, s7, v3
	v_cmp_lt_i32_e64 s[0:1], s5, v2
	s_nop 0
	v_cndmask_b32_e32 v3, v3, v5, vcc
	v_subrev_u32_e32 v5, s7, v3
	v_cmp_le_u32_e32 vcc, s7, v3
	s_nop 1
	v_cndmask_b32_e32 v3, v3, v5, vcc
	v_xor_b32_e32 v3, v3, v4
	v_sub_u32_e32 v3, v3, v4
	v_cmp_eq_u32_e32 vcc, 0, v3
	s_or_b64 s[0:1], vcc, s[0:1]
	s_and_saveexec_b64 s[10:11], s[0:1]
	s_cbranch_execz .LBB216_50
; %bb.52:                               ;   in Loop: Header=BB216_51 Depth=1
	global_load_dword v2, v[20:21], off
	s_load_dword s12, s[14:15], 0x0
	v_add_u32_e32 v80, v78, v75
	v_cmp_eq_u32_e32 vcc, s19, v44
	v_add_u32_e32 v82, 1, v80
	v_add_u32_e32 v81, 2, v80
	;; [unrolled: 1-line block ×3, first 2 shown]
	s_waitcnt vmcnt(0)
	v_mad_i64_i32 v[34:35], s[0:1], v2, s18, v[18:19]
	global_load_dword v22, v[34:35], off
	ds_read_b128 v[2:5], v45
	s_waitcnt vmcnt(0)
	v_and_b32_e32 v23, 0xffff, v22
	v_lshrrev_b32_e32 v24, 16, v22
	v_cvt_pk_f32_fp8_e32 v[22:23], v23
	v_cvt_pk_f32_fp8_e32 v[26:27], v24
	s_waitcnt lgkmcnt(0)
	v_pk_mul_f32 v[24:25], s[12:13], v[22:23] op_sel_hi:[0,1]
	v_pk_mul_f32 v[22:23], s[12:13], v[26:27] op_sel_hi:[0,1]
	s_and_saveexec_b64 s[16:17], vcc
; %bb.53:                               ;   in Loop: Header=BB216_51 Depth=1
	v_cmp_gt_i32_e64 s[0:1], s41, v80
	s_nop 1
	v_cndmask_b32_e64 v24, 0, v24, s[0:1]
	v_cmp_gt_i32_e64 s[0:1], s41, v82
	s_nop 1
	v_cndmask_b32_e64 v25, 0, v25, s[0:1]
	;; [unrolled: 3-line block ×4, first 2 shown]
; %bb.54:                               ;   in Loop: Header=BB216_51 Depth=1
	s_or_b64 exec, exec, s[16:17]
	global_load_dword v26, v[34:35], off offset:256
	s_mov_b32 s13, s12
	s_waitcnt vmcnt(0)
	v_and_b32_e32 v27, 0xffff, v26
	v_lshrrev_b32_e32 v28, 16, v26
	v_cvt_pk_f32_fp8_e32 v[26:27], v27
	v_cvt_pk_f32_fp8_e32 v[30:31], v28
	v_pk_mul_f32 v[28:29], s[12:13], v[26:27]
	v_pk_mul_f32 v[26:27], s[12:13], v[30:31]
	s_and_saveexec_b64 s[16:17], vcc
; %bb.55:                               ;   in Loop: Header=BB216_51 Depth=1
	v_cmp_gt_i32_e64 s[0:1], s41, v80
	s_nop 1
	v_cndmask_b32_e64 v28, 0, v28, s[0:1]
	v_cmp_gt_i32_e64 s[0:1], s41, v82
	s_nop 1
	v_cndmask_b32_e64 v29, 0, v29, s[0:1]
	v_cmp_gt_i32_e64 s[0:1], s41, v81
	s_nop 1
	v_cndmask_b32_e64 v26, 0, v26, s[0:1]
	v_cmp_gt_i32_e64 s[0:1], s41, v83
	s_nop 1
	v_cndmask_b32_e64 v27, 0, v27, s[0:1]
; %bb.56:                               ;   in Loop: Header=BB216_51 Depth=1
	s_or_b64 exec, exec, s[16:17]
	global_load_dword v30, v[34:35], off offset:512
	s_waitcnt vmcnt(0)
	v_and_b32_e32 v31, 0xffff, v30
	v_lshrrev_b32_e32 v32, 16, v30
	v_cvt_pk_f32_fp8_e32 v[30:31], v31
	v_cvt_pk_f32_fp8_e32 v[36:37], v32
	v_pk_mul_f32 v[32:33], s[12:13], v[30:31]
	v_pk_mul_f32 v[30:31], s[12:13], v[36:37]
	s_and_saveexec_b64 s[16:17], vcc
; %bb.57:                               ;   in Loop: Header=BB216_51 Depth=1
	v_cmp_gt_i32_e64 s[0:1], s41, v80
	s_nop 1
	v_cndmask_b32_e64 v32, 0, v32, s[0:1]
	v_cmp_gt_i32_e64 s[0:1], s41, v82
	s_nop 1
	v_cndmask_b32_e64 v33, 0, v33, s[0:1]
	v_cmp_gt_i32_e64 s[0:1], s41, v81
	s_nop 1
	v_cndmask_b32_e64 v30, 0, v30, s[0:1]
	v_cmp_gt_i32_e64 s[0:1], s41, v83
	s_nop 1
	v_cndmask_b32_e64 v31, 0, v31, s[0:1]
; %bb.58:                               ;   in Loop: Header=BB216_51 Depth=1
	s_or_b64 exec, exec, s[16:17]
	global_load_dword v36, v[34:35], off offset:768
	;; [unrolled: 24-line block ×10, first 2 shown]
	s_waitcnt vmcnt(0)
	v_and_b32_e32 v35, 0xffff, v34
	v_lshrrev_b32_e32 v68, 16, v34
	v_cvt_pk_f32_fp8_e32 v[34:35], v35
	v_cvt_pk_f32_fp8_e32 v[84:85], v68
	v_pk_mul_f32 v[68:69], s[12:13], v[34:35]
	v_pk_mul_f32 v[34:35], s[12:13], v[84:85]
	s_and_saveexec_b64 s[0:1], vcc
	s_cbranch_execz .LBB216_49
; %bb.75:                               ;   in Loop: Header=BB216_51 Depth=1
	v_cmp_gt_i32_e32 vcc, s41, v80
	s_nop 1
	v_cndmask_b32_e32 v68, 0, v68, vcc
	v_cmp_gt_i32_e32 vcc, s41, v82
	s_nop 1
	v_cndmask_b32_e32 v69, 0, v69, vcc
	v_cmp_gt_i32_e32 vcc, s41, v81
	s_nop 1
	v_cndmask_b32_e32 v34, 0, v34, vcc
	v_cmp_gt_i32_e32 vcc, s41, v83
	s_nop 1
	v_cndmask_b32_e32 v35, 0, v35, vcc
	s_branch .LBB216_49
.LBB216_76:
	s_or_b64 exec, exec, s[8:9]
.LBB216_77:
	s_or_b64 exec, exec, s[2:3]
	ds_bpermute_b32 v2, v77, v16
	ds_bpermute_b32 v3, v77, v17
	;; [unrolled: 1-line block ×6, first 2 shown]
	s_waitcnt lgkmcnt(4)
	v_pk_add_f32 v[2:3], v[16:17], v[2:3]
	ds_bpermute_b32 v16, v76, v2
	ds_bpermute_b32 v17, v76, v3
	ds_bpermute_b32 v20, v77, v8
	ds_bpermute_b32 v21, v77, v9
	s_waitcnt lgkmcnt(4)
	v_pk_add_f32 v[4:5], v[14:15], v[4:5]
	ds_bpermute_b32 v28, v77, v6
	s_waitcnt lgkmcnt(3)
	v_pk_add_f32 v[2:3], v[2:3], v[16:17]
	v_pk_add_f32 v[16:17], v[12:13], v[18:19]
	ds_bpermute_b32 v12, v77, v10
	ds_bpermute_b32 v13, v77, v11
	ds_bpermute_b32 v29, v77, v7
	ds_bpermute_b32 v14, v76, v4
	ds_bpermute_b32 v15, v76, v5
	ds_bpermute_b32 v18, v76, v16
	ds_bpermute_b32 v19, v76, v17
	s_waitcnt lgkmcnt(5)
	v_pk_add_f32 v[22:23], v[10:11], v[12:13]
	v_pk_add_f32 v[20:21], v[8:9], v[20:21]
	ds_bpermute_b32 v24, v76, v22
	ds_bpermute_b32 v25, v76, v23
	;; [unrolled: 1-line block ×4, first 2 shown]
	s_waitcnt lgkmcnt(8)
	v_pk_add_f32 v[6:7], v[6:7], v[28:29]
	s_waitcnt lgkmcnt(6)
	v_pk_add_f32 v[12:13], v[4:5], v[14:15]
	ds_bpermute_b32 v14, v76, v6
	ds_bpermute_b32 v15, v76, v7
	s_waitcnt lgkmcnt(6)
	v_pk_add_f32 v[10:11], v[16:17], v[18:19]
	v_and_b32_e32 v16, 0x3c3, v0
	s_waitcnt lgkmcnt(4)
	v_pk_add_f32 v[8:9], v[22:23], v[24:25]
	s_waitcnt lgkmcnt(2)
	v_pk_add_f32 v[4:5], v[20:21], v[26:27]
	v_cmp_ne_u32_e32 vcc, 64, v16
	s_waitcnt lgkmcnt(0)
	s_barrier
	s_and_saveexec_b64 s[0:1], vcc
	s_xor_b64 s[0:1], exec, s[0:1]
; %bb.78:
                                        ; implicit-def: $vgpr43
; %bb.79:
	s_or_saveexec_b64 s[0:1], s[0:1]
	v_pk_add_f32 v[6:7], v[6:7], v[14:15]
	s_xor_b64 exec, exec, s[0:1]
	s_cbranch_execz .LBB216_81
; %bb.80:
	v_add_u32_e32 v14, 0x310, v43
	ds_write2_b32 v14, v2, v3 offset1:16
	ds_write2_b32 v14, v12, v13 offset0:32 offset1:48
	ds_write2_b32 v14, v10, v11 offset0:64 offset1:80
	;; [unrolled: 1-line block ×5, first 2 shown]
.LBB216_81:
	s_or_b64 exec, exec, s[0:1]
	v_cmp_gt_u32_e32 vcc, 64, v0
	s_waitcnt lgkmcnt(0)
	s_barrier
	s_and_saveexec_b64 s[0:1], vcc
	s_cbranch_execz .LBB216_96
; %bb.82:
	v_cmp_eq_u32_e32 vcc, 0, v42
	s_and_saveexec_b64 s[2:3], vcc
	s_cbranch_execnz .LBB216_99
; %bb.83:
	s_or_b64 exec, exec, s[2:3]
	s_and_saveexec_b64 s[2:3], vcc
	s_cbranch_execnz .LBB216_100
.LBB216_84:
	s_or_b64 exec, exec, s[2:3]
	s_and_saveexec_b64 s[2:3], vcc
	s_cbranch_execnz .LBB216_101
.LBB216_85:
	s_or_b64 exec, exec, s[2:3]
	s_and_saveexec_b64 s[2:3], vcc
	s_cbranch_execnz .LBB216_102
.LBB216_86:
	s_or_b64 exec, exec, s[2:3]
	s_and_saveexec_b64 s[2:3], vcc
	s_cbranch_execnz .LBB216_103
.LBB216_87:
	s_or_b64 exec, exec, s[2:3]
	s_and_saveexec_b64 s[2:3], vcc
	s_cbranch_execnz .LBB216_104
.LBB216_88:
	s_or_b64 exec, exec, s[2:3]
	s_and_saveexec_b64 s[2:3], vcc
	s_cbranch_execnz .LBB216_105
.LBB216_89:
	s_or_b64 exec, exec, s[2:3]
	s_and_saveexec_b64 s[2:3], vcc
	s_cbranch_execnz .LBB216_106
.LBB216_90:
	s_or_b64 exec, exec, s[2:3]
	s_and_saveexec_b64 s[2:3], vcc
	s_cbranch_execnz .LBB216_107
.LBB216_91:
	s_or_b64 exec, exec, s[2:3]
	s_and_saveexec_b64 s[2:3], vcc
	s_cbranch_execnz .LBB216_108
.LBB216_92:
	s_or_b64 exec, exec, s[2:3]
	s_and_saveexec_b64 s[2:3], vcc
	s_cbranch_execnz .LBB216_109
.LBB216_93:
	s_or_b64 exec, exec, s[2:3]
	s_and_saveexec_b64 s[2:3], vcc
	s_cbranch_execz .LBB216_95
.LBB216_94:
	v_mov_b32_e32 v0, 0x310
	v_lshl_add_u32 v0, v74, 2, v0
	ds_read_b32 v0, v0 offset:704
	s_waitcnt lgkmcnt(0)
	v_add_f32_e32 v7, v7, v0
.LBB216_95:
	s_or_b64 exec, exec, s[2:3]
.LBB216_96:
	s_or_b64 exec, exec, s[0:1]
	v_cmp_eq_u32_e32 vcc, 0, v16
	s_barrier
	s_and_saveexec_b64 s[0:1], vcc
	s_cbranch_execz .LBB216_98
; %bb.97:
	s_mul_i32 s0, s6, 0xc0
	s_ashr_i32 s1, s0, 31
	s_lshl_b64 s[0:1], s[0:1], 2
	s_add_u32 s2, s34, s0
	s_mul_i32 s0, s33, s36
	s_addc_u32 s3, s35, s1
	s_ashr_i32 s1, s0, 31
	s_lshl_b64 s[0:1], s[0:1], 2
	s_add_u32 s2, s2, s0
	s_mul_i32 s0, s4, 0xc0
	s_addc_u32 s3, s3, s1
	s_ashr_i32 s1, s0, 31
	s_lshl_b64 s[0:1], s[0:1], 2
	s_add_u32 s0, s2, s0
	s_addc_u32 s1, s3, s1
	global_store_dword v1, v2, s[0:1]
	global_store_dword v1, v3, s[0:1] offset:64
	global_store_dword v1, v12, s[0:1] offset:128
	global_store_dword v1, v13, s[0:1] offset:192
	global_store_dword v1, v10, s[0:1] offset:256
	global_store_dword v1, v11, s[0:1] offset:320
	global_store_dword v1, v8, s[0:1] offset:384
	global_store_dword v1, v9, s[0:1] offset:448
	global_store_dword v1, v4, s[0:1] offset:512
	global_store_dword v1, v5, s[0:1] offset:576
	global_store_dword v1, v6, s[0:1] offset:640
	global_store_dword v1, v7, s[0:1] offset:704
.LBB216_98:
	s_endpgm
.LBB216_99:
	v_mov_b32_e32 v0, 0x310
	v_lshl_add_u32 v0, v74, 2, v0
	ds_read_b32 v0, v0
	s_waitcnt lgkmcnt(0)
	v_add_f32_e32 v2, v2, v0
	s_or_b64 exec, exec, s[2:3]
	s_and_saveexec_b64 s[2:3], vcc
	s_cbranch_execz .LBB216_84
.LBB216_100:
	v_mov_b32_e32 v0, 0x310
	v_lshl_add_u32 v0, v74, 2, v0
	ds_read_b32 v0, v0 offset:64
	s_waitcnt lgkmcnt(0)
	v_add_f32_e32 v3, v3, v0
	s_or_b64 exec, exec, s[2:3]
	s_and_saveexec_b64 s[2:3], vcc
	s_cbranch_execz .LBB216_85
.LBB216_101:
	v_mov_b32_e32 v0, 0x310
	v_lshl_add_u32 v0, v74, 2, v0
	ds_read_b32 v0, v0 offset:128
	s_waitcnt lgkmcnt(0)
	v_add_f32_e32 v12, v12, v0
	s_or_b64 exec, exec, s[2:3]
	s_and_saveexec_b64 s[2:3], vcc
	s_cbranch_execz .LBB216_86
.LBB216_102:
	v_mov_b32_e32 v0, 0x310
	v_lshl_add_u32 v0, v74, 2, v0
	ds_read_b32 v0, v0 offset:192
	s_waitcnt lgkmcnt(0)
	v_add_f32_e32 v13, v13, v0
	s_or_b64 exec, exec, s[2:3]
	s_and_saveexec_b64 s[2:3], vcc
	s_cbranch_execz .LBB216_87
.LBB216_103:
	v_mov_b32_e32 v0, 0x310
	v_lshl_add_u32 v0, v74, 2, v0
	ds_read_b32 v0, v0 offset:256
	s_waitcnt lgkmcnt(0)
	v_add_f32_e32 v10, v10, v0
	s_or_b64 exec, exec, s[2:3]
	s_and_saveexec_b64 s[2:3], vcc
	s_cbranch_execz .LBB216_88
.LBB216_104:
	v_mov_b32_e32 v0, 0x310
	v_lshl_add_u32 v0, v74, 2, v0
	ds_read_b32 v0, v0 offset:320
	s_waitcnt lgkmcnt(0)
	v_add_f32_e32 v11, v11, v0
	s_or_b64 exec, exec, s[2:3]
	s_and_saveexec_b64 s[2:3], vcc
	s_cbranch_execz .LBB216_89
.LBB216_105:
	v_mov_b32_e32 v0, 0x310
	v_lshl_add_u32 v0, v74, 2, v0
	ds_read_b32 v0, v0 offset:384
	s_waitcnt lgkmcnt(0)
	v_add_f32_e32 v8, v8, v0
	s_or_b64 exec, exec, s[2:3]
	s_and_saveexec_b64 s[2:3], vcc
	s_cbranch_execz .LBB216_90
.LBB216_106:
	v_mov_b32_e32 v0, 0x310
	v_lshl_add_u32 v0, v74, 2, v0
	ds_read_b32 v0, v0 offset:448
	s_waitcnt lgkmcnt(0)
	v_add_f32_e32 v9, v9, v0
	s_or_b64 exec, exec, s[2:3]
	s_and_saveexec_b64 s[2:3], vcc
	s_cbranch_execz .LBB216_91
.LBB216_107:
	v_mov_b32_e32 v0, 0x310
	v_lshl_add_u32 v0, v74, 2, v0
	ds_read_b32 v0, v0 offset:512
	s_waitcnt lgkmcnt(0)
	v_add_f32_e32 v4, v4, v0
	s_or_b64 exec, exec, s[2:3]
	s_and_saveexec_b64 s[2:3], vcc
	s_cbranch_execz .LBB216_92
.LBB216_108:
	v_mov_b32_e32 v0, 0x310
	v_lshl_add_u32 v0, v74, 2, v0
	ds_read_b32 v0, v0 offset:576
	s_waitcnt lgkmcnt(0)
	v_add_f32_e32 v5, v5, v0
	s_or_b64 exec, exec, s[2:3]
	s_and_saveexec_b64 s[2:3], vcc
	s_cbranch_execz .LBB216_93
.LBB216_109:
	v_mov_b32_e32 v0, 0x310
	v_lshl_add_u32 v0, v74, 2, v0
	ds_read_b32 v0, v0 offset:640
	s_waitcnt lgkmcnt(0)
	v_add_f32_e32 v6, v6, v0
	s_or_b64 exec, exec, s[2:3]
	s_and_saveexec_b64 s[2:3], vcc
	s_cbranch_execnz .LBB216_94
	s_branch .LBB216_95
	.section	.rodata,"a",@progbits
	.p2align	6, 0x0
	.amdhsa_kernel _ZN4vllm25paged_attention_v2_kernelIfhLi192ELi16ELi128ELNS_18Fp8KVCacheDataTypeE1ELb1ELi512EEEvPfS2_PT_PKS3_PKT0_S9_ifPKiSB_iPKfiiiSD_SD_iiiii
		.amdhsa_group_segment_fixed_size 784
		.amdhsa_private_segment_fixed_size 0
		.amdhsa_kernarg_size 400
		.amdhsa_user_sgpr_count 2
		.amdhsa_user_sgpr_dispatch_ptr 0
		.amdhsa_user_sgpr_queue_ptr 0
		.amdhsa_user_sgpr_kernarg_segment_ptr 1
		.amdhsa_user_sgpr_dispatch_id 0
		.amdhsa_user_sgpr_kernarg_preload_length 0
		.amdhsa_user_sgpr_kernarg_preload_offset 0
		.amdhsa_user_sgpr_private_segment_size 0
		.amdhsa_uses_dynamic_stack 0
		.amdhsa_enable_private_segment 0
		.amdhsa_system_sgpr_workgroup_id_x 1
		.amdhsa_system_sgpr_workgroup_id_y 1
		.amdhsa_system_sgpr_workgroup_id_z 1
		.amdhsa_system_sgpr_workgroup_info 0
		.amdhsa_system_vgpr_workitem_id 0
		.amdhsa_next_free_vgpr 108
		.amdhsa_next_free_sgpr 56
		.amdhsa_accum_offset 108
		.amdhsa_reserve_vcc 1
		.amdhsa_float_round_mode_32 0
		.amdhsa_float_round_mode_16_64 0
		.amdhsa_float_denorm_mode_32 3
		.amdhsa_float_denorm_mode_16_64 3
		.amdhsa_dx10_clamp 1
		.amdhsa_ieee_mode 1
		.amdhsa_fp16_overflow 0
		.amdhsa_tg_split 0
		.amdhsa_exception_fp_ieee_invalid_op 0
		.amdhsa_exception_fp_denorm_src 0
		.amdhsa_exception_fp_ieee_div_zero 0
		.amdhsa_exception_fp_ieee_overflow 0
		.amdhsa_exception_fp_ieee_underflow 0
		.amdhsa_exception_fp_ieee_inexact 0
		.amdhsa_exception_int_div_zero 0
	.end_amdhsa_kernel
	.section	.text._ZN4vllm25paged_attention_v2_kernelIfhLi192ELi16ELi128ELNS_18Fp8KVCacheDataTypeE1ELb1ELi512EEEvPfS2_PT_PKS3_PKT0_S9_ifPKiSB_iPKfiiiSD_SD_iiiii,"axG",@progbits,_ZN4vllm25paged_attention_v2_kernelIfhLi192ELi16ELi128ELNS_18Fp8KVCacheDataTypeE1ELb1ELi512EEEvPfS2_PT_PKS3_PKT0_S9_ifPKiSB_iPKfiiiSD_SD_iiiii,comdat
.Lfunc_end216:
	.size	_ZN4vllm25paged_attention_v2_kernelIfhLi192ELi16ELi128ELNS_18Fp8KVCacheDataTypeE1ELb1ELi512EEEvPfS2_PT_PKS3_PKT0_S9_ifPKiSB_iPKfiiiSD_SD_iiiii, .Lfunc_end216-_ZN4vllm25paged_attention_v2_kernelIfhLi192ELi16ELi128ELNS_18Fp8KVCacheDataTypeE1ELb1ELi512EEEvPfS2_PT_PKS3_PKT0_S9_ifPKiSB_iPKfiiiSD_SD_iiiii
                                        ; -- End function
	.section	.AMDGPU.csdata,"",@progbits
; Kernel info:
; codeLenInByte = 8264
; NumSgprs: 62
; NumVgprs: 108
; NumAgprs: 0
; TotalNumVgprs: 108
; ScratchSize: 0
; MemoryBound: 0
; FloatMode: 240
; IeeeMode: 1
; LDSByteSize: 784 bytes/workgroup (compile time only)
; SGPRBlocks: 7
; VGPRBlocks: 13
; NumSGPRsForWavesPerEU: 62
; NumVGPRsForWavesPerEU: 108
; AccumOffset: 108
; Occupancy: 4
; WaveLimiterHint : 1
; COMPUTE_PGM_RSRC2:SCRATCH_EN: 0
; COMPUTE_PGM_RSRC2:USER_SGPR: 2
; COMPUTE_PGM_RSRC2:TRAP_HANDLER: 0
; COMPUTE_PGM_RSRC2:TGID_X_EN: 1
; COMPUTE_PGM_RSRC2:TGID_Y_EN: 1
; COMPUTE_PGM_RSRC2:TGID_Z_EN: 1
; COMPUTE_PGM_RSRC2:TIDIG_COMP_CNT: 0
; COMPUTE_PGM_RSRC3_GFX90A:ACCUM_OFFSET: 26
; COMPUTE_PGM_RSRC3_GFX90A:TG_SPLIT: 0
	.section	.text._ZN4vllm25paged_attention_v2_kernelIfhLi256ELi16ELi128ELNS_18Fp8KVCacheDataTypeE1ELb1ELi512EEEvPfS2_PT_PKS3_PKT0_S9_ifPKiSB_iPKfiiiSD_SD_iiiii,"axG",@progbits,_ZN4vllm25paged_attention_v2_kernelIfhLi256ELi16ELi128ELNS_18Fp8KVCacheDataTypeE1ELb1ELi512EEEvPfS2_PT_PKS3_PKT0_S9_ifPKiSB_iPKfiiiSD_SD_iiiii,comdat
	.protected	_ZN4vllm25paged_attention_v2_kernelIfhLi256ELi16ELi128ELNS_18Fp8KVCacheDataTypeE1ELb1ELi512EEEvPfS2_PT_PKS3_PKT0_S9_ifPKiSB_iPKfiiiSD_SD_iiiii ; -- Begin function _ZN4vllm25paged_attention_v2_kernelIfhLi256ELi16ELi128ELNS_18Fp8KVCacheDataTypeE1ELb1ELi512EEEvPfS2_PT_PKS3_PKT0_S9_ifPKiSB_iPKfiiiSD_SD_iiiii
	.globl	_ZN4vllm25paged_attention_v2_kernelIfhLi256ELi16ELi128ELNS_18Fp8KVCacheDataTypeE1ELb1ELi512EEEvPfS2_PT_PKS3_PKT0_S9_ifPKiSB_iPKfiiiSD_SD_iiiii
	.p2align	8
	.type	_ZN4vllm25paged_attention_v2_kernelIfhLi256ELi16ELi128ELNS_18Fp8KVCacheDataTypeE1ELb1ELi512EEEvPfS2_PT_PKS3_PKT0_S9_ifPKiSB_iPKfiiiSD_SD_iiiii,@function
_ZN4vllm25paged_attention_v2_kernelIfhLi256ELi16ELi128ELNS_18Fp8KVCacheDataTypeE1ELb1ELi512EEEvPfS2_PT_PKS3_PKT0_S9_ifPKiSB_iPKfiiiSD_SD_iiiii: ; @_ZN4vllm25paged_attention_v2_kernelIfhLi256ELi16ELi128ELNS_18Fp8KVCacheDataTypeE1ELb1ELi512EEEvPfS2_PT_PKS3_PKT0_S9_ifPKiSB_iPKfiiiSD_SD_iiiii
; %bb.0:
	s_load_dwordx2 s[6:7], s[0:1], 0x40
	s_mov_b32 s40, s3
	s_ashr_i32 s41, s3, 31
	s_lshl_b64 s[8:9], s[40:41], 2
	s_waitcnt lgkmcnt(0)
	s_add_u32 s6, s6, s8
	s_addc_u32 s7, s7, s9
	s_load_dword s41, s[6:7], 0x0
	s_lshl_b32 s51, s4, 9
	s_waitcnt lgkmcnt(0)
	s_cmp_ge_i32 s51, s41
	s_cbranch_scc1 .LBB217_110
; %bb.1:
	s_load_dword s5, s[0:1], 0x90
	s_load_dwordx2 s[44:45], s[0:1], 0x30
	s_waitcnt lgkmcnt(0)
	s_abs_i32 s7, s5
	s_abs_i32 s3, s44
	v_cvt_f32_u32_e32 v1, s3
	s_sub_i32 s8, 0, s3
	s_xor_b32 s6, s5, s44
	s_ashr_i32 s6, s6, 31
	v_rcp_iflag_f32_e32 v1, v1
	s_nop 0
	v_mul_f32_e32 v1, 0x4f7ffffe, v1
	v_cvt_u32_f32_e32 v1, v1
	s_nop 0
	v_readfirstlane_b32 s9, v1
	s_mul_i32 s8, s8, s9
	s_mul_hi_u32 s8, s9, s8
	s_add_i32 s9, s9, s8
	s_mul_hi_u32 s8, s7, s9
	s_mul_i32 s9, s8, s3
	s_sub_i32 s7, s7, s9
	s_add_i32 s10, s8, 1
	s_sub_i32 s9, s7, s3
	s_cmp_ge_u32 s7, s3
	s_cselect_b32 s8, s10, s8
	s_cselect_b32 s7, s9, s7
	s_add_i32 s9, s8, 1
	s_cmp_ge_u32 s7, s3
	s_cselect_b32 s3, s9, s8
	s_xor_b32 s3, s3, s6
	s_sub_i32 s13, s3, s6
	s_abs_i32 s12, s13
	v_cvt_f32_u32_e32 v1, s12
	s_load_dwordx2 s[6:7], s[0:1], 0x50
	s_sub_i32 s3, 0, s12
	s_abs_i32 s14, s2
	v_rcp_iflag_f32_e32 v1, v1
	s_nop 0
	v_mul_f32_e32 v1, 0x4f7ffffe, v1
	v_cvt_u32_f32_e32 v1, v1
	s_nop 0
	v_readfirstlane_b32 s8, v1
	s_mul_i32 s3, s3, s8
	s_mul_hi_u32 s3, s8, s3
	s_add_i32 s8, s8, s3
	s_waitcnt lgkmcnt(0)
	s_cmp_eq_u64 s[6:7], 0
	s_mov_b32 s3, 0
	s_cbranch_scc1 .LBB217_3
; %bb.2:
	s_ashr_i32 s3, s2, 31
	s_lshl_b64 s[10:11], s[2:3], 2
	s_add_u32 s6, s6, s10
	s_addc_u32 s7, s7, s11
	s_load_dword s3, s[6:7], 0x0
.LBB217_3:
	s_load_dwordx4 s[24:27], s[0:1], 0x0
	s_load_dwordx2 s[34:35], s[0:1], 0x10
	s_load_dwordx4 s[20:23], s[0:1], 0x20
	s_load_dwordx2 s[38:39], s[0:1], 0x38
	s_load_dword s33, s[0:1], 0x98
	s_load_dwordx4 s[16:19], s[0:1], 0x58
	v_lshrrev_b32_e32 v96, 2, v0
	s_lshl_b32 s36, s2, 8
	s_movk_i32 s6, 0x100
	s_mul_hi_u32 s15, s14, s8
	v_and_b32_e32 v26, 3, v0
	s_ashr_i32 s37, s36, 31
	v_cmp_gt_u32_e32 vcc, s6, v0
	v_lshlrev_b32_e32 v1, 2, v96
	s_and_saveexec_b64 s[6:7], vcc
	s_cbranch_execz .LBB217_6
; %bb.4:
	s_load_dwordx2 s[8:9], s[0:1], 0x18
	s_waitcnt lgkmcnt(0)
	s_mul_i32 s10, s40, s16
	s_ashr_i32 s11, s10, 31
	s_lshl_b64 s[10:11], s[10:11], 2
	s_lshl_b64 s[28:29], s[36:37], 2
	s_add_u32 s10, s10, s28
	s_addc_u32 s11, s11, s29
	v_or_b32_e32 v2, v1, v26
	s_add_u32 s8, s8, s10
	v_lshlrev_b32_e32 v2, 2, v2
	v_mov_b32_e32 v3, 0
	s_addc_u32 s9, s9, s11
	v_subrev_u32_e32 v4, 32, v96
	v_lshl_add_u32 v5, v26, 8, v1
	v_lshl_add_u64 v[2:3], s[8:9], 0, v[2:3]
	s_mov_b64 s[8:9], 0
	s_mov_b64 s[10:11], 0x200
.LBB217_5:                              ; =>This Inner Loop Header: Depth=1
	global_load_dword v6, v[2:3], off
	v_add_co_u32_e32 v4, vcc, 32, v4
	s_xor_b64 s[28:29], vcc, -1
	s_and_b64 s[28:29], exec, s[28:29]
	v_lshl_add_u64 v[2:3], v[2:3], 0, s[10:11]
	s_or_b64 s[8:9], s[28:29], s[8:9]
	s_waitcnt vmcnt(0)
	ds_write_b32 v5, v6
	v_add_u32_e32 v5, 0x80, v5
	s_andn2_b64 exec, exec, s[8:9]
	s_cbranch_execnz .LBB217_5
.LBB217_6:
	s_or_b64 exec, exec, s[6:7]
	s_ashr_i32 s6, s2, 31
	s_ashr_i32 s7, s13, 31
	s_xor_b32 s6, s6, s7
	s_mul_i32 s7, s15, s12
	s_sub_i32 s7, s14, s7
	s_add_i32 s8, s15, 1
	s_sub_i32 s9, s7, s12
	s_load_dwordx4 s[28:31], s[0:1], 0x78
	s_cmp_ge_u32 s7, s12
	s_cselect_b32 s8, s8, s15
	s_cselect_b32 s7, s9, s7
	s_add_i32 s9, s8, 1
	s_cmp_ge_u32 s7, s12
	s_cselect_b32 s7, s9, s8
	s_load_dword s8, s[0:1], 0x88
	s_waitcnt lgkmcnt(0)
	s_abs_i32 s37, s31
	v_cvt_f32_u32_e32 v2, s37
	s_xor_b32 s7, s7, s6
	s_sub_i32 s50, s7, s6
	s_sub_i32 s6, 0, s37
	v_rcp_iflag_f32_e32 v2, v2
	s_add_i32 s11, s41, -1
	s_abs_i32 s9, s11
	v_mul_f32_e32 v2, 0x4f7ffffe, v2
	v_cvt_u32_f32_e32 v2, v2
	s_barrier
	v_readfirstlane_b32 s48, v2
	s_mul_i32 s6, s6, s48
	s_mul_hi_u32 s6, s48, s6
	s_add_i32 s48, s48, s6
	s_cmp_lt_i32 s8, 0
	s_mul_hi_u32 s10, s9, s48
	s_cbranch_scc0 .LBB217_8
; %bb.7:
	s_mul_i32 s6, s28, s44
	s_add_i32 s6, s50, s6
	s_mul_i32 s6, s6, s8
	s_sub_i32 s44, 1, s6
	s_ashr_i32 s11, s11, 31
	s_ashr_i32 s31, s31, 31
	s_cbranch_execz .LBB217_9
	s_branch .LBB217_10
.LBB217_8:
                                        ; implicit-def: $sgpr44
	s_ashr_i32 s11, s11, 31
	s_ashr_i32 s31, s31, 31
.LBB217_9:
	s_mul_i32 s6, s5, s28
	s_add_i32 s6, s6, s2
	s_mul_i32 s6, s6, s8
	s_add_i32 s44, s6, 1
.LBB217_10:
	s_load_dword s6, s[0:1], 0x48
	s_load_dwordx4 s[12:15], s[0:1], 0x68
	s_mul_i32 s1, s10, s37
	s_sub_i32 s1, s9, s1
	s_xor_b32 s0, s11, s31
	s_waitcnt lgkmcnt(0)
	s_mul_i32 s42, s40, s6
	s_ashr_i32 s43, s42, 31
	s_add_i32 s6, s10, 1
	s_sub_i32 s7, s1, s37
	s_cmp_ge_u32 s1, s37
	s_cselect_b32 s6, s6, s10
	s_cselect_b32 s1, s7, s1
	s_add_i32 s7, s6, 1
	s_cmp_ge_u32 s1, s37
	s_cselect_b32 s1, s7, s6
	s_xor_b32 s1, s1, s0
	s_sub_i32 s49, s1, s0
	s_add_i32 s0, s41, 15
	s_ashr_i32 s1, s0, 31
	s_lshr_b32 s1, s1, 28
	s_add_i32 s0, s0, s1
	s_lshl_b32 s52, s4, 5
	s_ashr_i32 s16, s0, 4
	s_add_i32 s0, s52, 32
	v_lshrrev_b32_e32 v36, 6, v0
	s_min_i32 s28, s0, s16
	v_or_b32_e32 v28, s52, v36
	v_cmp_gt_i32_e64 s[0:1], s28, v28
	v_mov_b32_e32 v40, 0xff7fffff
	s_mul_i32 s50, s50, s18
	v_ashrrev_i32_e32 v29, 31, v28
	v_lshl_add_u32 v97, v36, 4, s51
	v_mbcnt_lo_u32_b32 v37, -1, 0
	s_and_saveexec_b64 s[18:19], s[0:1]
	s_cbranch_execz .LBB217_20
; %bb.11:
	s_sub_i32 s53, s49, s29
	s_ashr_i32 s7, s50, 31
	s_add_u32 s6, s20, s50
	s_addc_u32 s7, s21, s7
	s_abs_i32 s54, s30
	v_cvt_f32_u32_e32 v3, s54
	v_bfe_u32 v38, v0, 2, 4
	v_lshlrev_b32_e32 v2, 4, v38
	s_sub_i32 s8, 0, s54
	v_rcp_iflag_f32_e32 v4, v3
	v_mov_b32_e32 v3, 0
	v_lshl_add_u64 v[30:31], s[6:7], 0, v[2:3]
	v_mov_b32_e32 v27, v3
	v_mul_f32_e32 v2, 0x4f7ffffe, v4
	v_cvt_u32_f32_e32 v2, v2
	v_mbcnt_hi_u32_b32 v46, -1, v37
	v_cmp_eq_u32_e32 vcc, 0, v26
	s_mov_b32 s55, s17
	v_mul_lo_u32 v3, s8, v2
	v_mul_hi_u32 v3, v2, v3
	v_add_u32_e32 v41, v2, v3
	v_lshlrev_b32_e32 v2, 2, v38
	s_lshl_b64 s[8:9], s[42:43], 2
	v_lshl_or_b32 v2, v36, 6, v2
	s_add_u32 s8, s38, s8
	v_add_u32_e32 v43, 0x410, v2
	v_subrev_u32_e32 v2, s41, v38
	s_addc_u32 s9, s39, s9
	v_add_u32_e32 v44, 1, v2
	v_and_b32_e32 v2, 64, v46
	v_lshlrev_b32_e32 v39, 8, v26
	v_cmp_neq_f32_e64 s[6:7], s3, 0
	v_lshl_add_u64 v[32:33], v[28:29], 2, s[8:9]
	v_lshl_add_u32 v42, v36, 4, s51
	s_mov_b64 s[20:21], 0
	v_mov_b32_e32 v45, 0xff7fffff
	v_add_u32_e32 v47, 64, v2
	v_xor_b32_e32 v48, 2, v46
	v_xor_b32_e32 v49, 1, v46
	v_mov_b32_e32 v40, 0xff7fffff
	v_mov_b32_e32 v50, v28
	s_branch .LBB217_14
.LBB217_12:                             ;   in Loop: Header=BB217_14 Depth=1
	s_or_b64 exec, exec, s[46:47]
.LBB217_13:                             ;   in Loop: Header=BB217_14 Depth=1
	s_or_b64 exec, exec, s[10:11]
	v_add_u32_e32 v50, 2, v50
	v_cmp_le_i32_e64 s[8:9], s28, v50
	v_lshl_add_u64 v[32:33], v[32:33], 0, 8
	v_add_u32_e32 v42, 32, v42
	s_or_b64 s[20:21], s[8:9], s[20:21]
	v_add_u32_e32 v43, 0x80, v43
	s_andn2_b64 exec, exec, s[20:21]
	s_cbranch_execz .LBB217_19
.LBB217_14:                             ; =>This Inner Loop Header: Depth=1
	s_waitcnt lgkmcnt(0)
	v_sub_u32_e32 v3, 0, v42
	v_max_i32_e32 v3, v42, v3
	v_mul_hi_u32 v4, v3, s48
	v_mul_lo_u32 v5, v4, s37
	v_sub_u32_e32 v3, v3, v5
	v_add_u32_e32 v5, 1, v4
	v_cmp_le_u32_e64 s[8:9], s37, v3
	v_ashrrev_i32_e32 v2, 31, v42
	v_xor_b32_e32 v2, s31, v2
	v_cndmask_b32_e64 v4, v4, v5, s[8:9]
	v_subrev_u32_e32 v5, s37, v3
	v_cndmask_b32_e64 v3, v3, v5, s[8:9]
	v_add_u32_e32 v5, 1, v4
	v_cmp_le_u32_e64 s[8:9], s37, v3
	s_nop 1
	v_cndmask_b32_e64 v3, v4, v5, s[8:9]
	v_xor_b32_e32 v3, v3, v2
	v_sub_u32_e32 v2, v3, v2
	v_add_u32_e32 v3, s44, v2
	v_sub_u32_e32 v5, 0, v3
	v_ashrrev_i32_e32 v4, 31, v3
	v_max_i32_e32 v3, v3, v5
	v_mul_hi_u32 v5, v3, v41
	v_mul_lo_u32 v5, v5, s54
	v_sub_u32_e32 v3, v3, v5
	v_subrev_u32_e32 v5, s54, v3
	v_cmp_le_u32_e64 s[8:9], s54, v3
	v_cmp_ge_i32_e64 s[10:11], s53, v2
	s_nop 0
	v_cndmask_b32_e64 v3, v3, v5, s[8:9]
	v_subrev_u32_e32 v5, s54, v3
	v_cmp_le_u32_e64 s[8:9], s54, v3
	s_nop 1
	v_cndmask_b32_e64 v3, v3, v5, s[8:9]
	v_xor_b32_e32 v3, v3, v4
	v_sub_u32_e32 v3, v3, v4
	v_cmp_ne_u32_e64 s[8:9], 0, v3
	s_and_b64 s[8:9], s[8:9], s[10:11]
	s_and_b64 s[46:47], vcc, s[8:9]
	s_and_saveexec_b64 s[10:11], s[46:47]
	s_cbranch_execz .LBB217_16
; %bb.15:                               ;   in Loop: Header=BB217_14 Depth=1
	ds_write_b32 v43, v45
.LBB217_16:                             ;   in Loop: Header=BB217_14 Depth=1
	s_or_b64 exec, exec, s[10:11]
	s_xor_b64 s[8:9], s[8:9], -1
	s_and_saveexec_b64 s[10:11], s[8:9]
	s_cbranch_execz .LBB217_13
; %bb.17:                               ;   in Loop: Header=BB217_14 Depth=1
	global_load_dword v2, v[32:33], off
	s_waitcnt vmcnt(0)
	v_mad_i64_i32 v[2:3], s[8:9], v2, s55, v[30:31]
	v_lshl_add_u64 v[34:35], v[2:3], 0, v[26:27]
	global_load_ubyte v2, v[34:35], off
	global_load_ubyte v3, v[34:35], off offset:4
	global_load_ubyte v61, v[34:35], off offset:8
	;; [unrolled: 1-line block ×13, first 2 shown]
	ds_read_b128 v[22:25], v39
	ds_read_b128 v[18:21], v39 offset:16
	global_load_ubyte v51, v[34:35], off offset:776
	global_load_ubyte v52, v[34:35], off offset:780
	;; [unrolled: 1-line block ×6, first 2 shown]
	ds_read_b128 v[14:17], v39 offset:32
	ds_read_b128 v[10:13], v39 offset:48
	s_load_dword s46, s[12:13], 0x0
	v_cmp_lt_i32_e64 s[8:9], v48, v47
	s_waitcnt vmcnt(19)
	v_cvt_f32_fp8_sdwa v69, v2 src0_sel:BYTE_0
	s_waitcnt vmcnt(18)
	v_cvt_f32_fp8_sdwa v70, v3 src0_sel:BYTE_0
	ds_read_b128 v[6:9], v39 offset:64
	ds_read_b128 v[2:5], v39 offset:80
	s_waitcnt lgkmcnt(0)
	v_mul_f32_e32 v69, s46, v69
	v_mul_f32_e32 v70, s46, v70
	;; [unrolled: 1-line block ×3, first 2 shown]
	global_load_ubyte v70, v[34:35], off offset:1280
	global_load_ubyte v71, v[34:35], off offset:1284
	;; [unrolled: 1-line block ×4, first 2 shown]
	v_fmac_f32_e32 v23, v22, v69
	s_waitcnt vmcnt(21)
	v_cvt_f32_fp8_sdwa v22, v61 src0_sel:BYTE_0
	s_waitcnt vmcnt(20)
	v_cvt_f32_fp8_sdwa v61, v62 src0_sel:BYTE_0
	;; [unrolled: 2-line block ×4, first 2 shown]
	v_mul_f32_e32 v22, s46, v22
	v_mul_f32_e32 v61, s46, v61
	v_fmac_f32_e32 v23, v24, v22
	v_mul_f32_e32 v62, s46, v62
	v_fmac_f32_e32 v23, v25, v61
	global_load_ubyte v74, v[34:35], off offset:1536
	global_load_ubyte v75, v[34:35], off offset:1540
	;; [unrolled: 1-line block ×8, first 2 shown]
	v_mul_f32_e32 v63, s46, v63
	v_fmac_f32_e32 v23, v18, v62
	s_waitcnt vmcnt(25)
	v_cvt_f32_fp8_sdwa v18, v65 src0_sel:BYTE_0
	v_fmac_f32_e32 v23, v19, v63
	s_waitcnt vmcnt(24)
	v_cvt_f32_fp8_sdwa v19, v66 src0_sel:BYTE_0
	s_waitcnt vmcnt(23)
	v_cvt_f32_fp8_sdwa v22, v67 src0_sel:BYTE_0
	v_mul_f32_e32 v18, s46, v18
	v_fmac_f32_e32 v23, v20, v18
	v_mul_f32_e32 v19, s46, v19
	s_waitcnt vmcnt(22)
	v_cvt_f32_fp8_sdwa v24, v68 src0_sel:BYTE_0
	v_mul_f32_e32 v22, s46, v22
	v_fmac_f32_e32 v23, v21, v19
	v_fmac_f32_e32 v23, v14, v22
	global_load_ubyte v14, v[34:35], off offset:2048
	global_load_ubyte v63, v[34:35], off offset:2052
	;; [unrolled: 1-line block ×8, first 2 shown]
	v_mul_f32_e32 v24, s46, v24
	v_fmac_f32_e32 v23, v15, v24
	s_waitcnt vmcnt(29)
	v_cvt_f32_fp8_sdwa v15, v57 src0_sel:BYTE_0
	s_waitcnt vmcnt(28)
	v_cvt_f32_fp8_sdwa v18, v58 src0_sel:BYTE_0
	;; [unrolled: 2-line block ×4, first 2 shown]
	v_mul_f32_e32 v15, s46, v15
	v_mul_f32_e32 v18, s46, v18
	v_fmac_f32_e32 v23, v16, v15
	v_mul_f32_e32 v19, s46, v19
	v_fmac_f32_e32 v23, v17, v18
	;; [unrolled: 2-line block ×3, first 2 shown]
	v_fmac_f32_e32 v23, v11, v20
	global_load_ubyte v82, v[34:35], off offset:2560
	global_load_ubyte v83, v[34:35], off offset:2564
	;; [unrolled: 1-line block ×8, first 2 shown]
	s_waitcnt vmcnt(33)
	v_cvt_f32_fp8_sdwa v10, v51 src0_sel:BYTE_0
	s_waitcnt vmcnt(32)
	v_cvt_f32_fp8_sdwa v11, v52 src0_sel:BYTE_0
	;; [unrolled: 2-line block ×4, first 2 shown]
	global_load_ubyte v59, v[34:35], off offset:3072
	global_load_ubyte v60, v[34:35], off offset:3076
	;; [unrolled: 1-line block ×8, first 2 shown]
	s_waitcnt vmcnt(36)
	v_cvt_f32_fp8_sdwa v22, v56 src0_sel:BYTE_0
	v_mul_f32_e32 v10, s46, v10
	v_mul_f32_e32 v11, s46, v11
	v_fmac_f32_e32 v23, v12, v10
	v_mul_f32_e32 v15, s46, v15
	v_fmac_f32_e32 v23, v13, v11
	;; [unrolled: 2-line block ×3, first 2 shown]
	v_cvt_f32_fp8_sdwa v17, v55 src0_sel:BYTE_0
	v_fmac_f32_e32 v23, v7, v16
	v_mul_f32_e32 v7, s46, v22
	global_load_ubyte v55, v[34:35], off offset:3584
	global_load_ubyte v56, v[34:35], off offset:3588
	global_load_ubyte v57, v[34:35], off offset:3592
	global_load_ubyte v58, v[34:35], off offset:3596
	global_load_ubyte v22, v[34:35], off offset:3840
	global_load_ubyte v24, v[34:35], off offset:3844
	global_load_ubyte v25, v[34:35], off offset:3848
	s_nop 0
	global_load_ubyte v34, v[34:35], off offset:3852
	v_mul_f32_e32 v6, s46, v17
	v_fmac_f32_e32 v23, v8, v6
	v_fmac_f32_e32 v23, v9, v7
	s_waitcnt vmcnt(43)
	v_cvt_f32_fp8_sdwa v6, v70 src0_sel:BYTE_0
	s_waitcnt vmcnt(42)
	v_cvt_f32_fp8_sdwa v7, v71 src0_sel:BYTE_0
	;; [unrolled: 2-line block ×4, first 2 shown]
	v_mul_f32_e32 v6, s46, v6
	v_mul_f32_e32 v7, s46, v7
	v_fmac_f32_e32 v23, v2, v6
	v_mul_f32_e32 v8, s46, v8
	v_fmac_f32_e32 v23, v3, v7
	v_mul_f32_e32 v9, s46, v9
	v_fmac_f32_e32 v23, v4, v8
	s_waitcnt vmcnt(39)
	v_cvt_f32_fp8_sdwa v6, v74 src0_sel:BYTE_0
	v_fmac_f32_e32 v23, v5, v9
	ds_read_b128 v[2:5], v39 offset:96
	ds_read_b128 v[10:13], v39 offset:112
	s_waitcnt vmcnt(38)
	v_cvt_f32_fp8_sdwa v7, v75 src0_sel:BYTE_0
	s_waitcnt vmcnt(37)
	v_cvt_f32_fp8_sdwa v8, v76 src0_sel:BYTE_0
	;; [unrolled: 2-line block ×3, first 2 shown]
	v_mul_f32_e32 v6, s46, v6
	s_waitcnt vmcnt(35)
	v_cvt_f32_fp8_sdwa v15, v78 src0_sel:BYTE_0
	v_mul_f32_e32 v7, s46, v7
	s_waitcnt lgkmcnt(1)
	v_fmac_f32_e32 v23, v2, v6
	s_waitcnt vmcnt(34)
	v_cvt_f32_fp8_sdwa v16, v79 src0_sel:BYTE_0
	v_mul_f32_e32 v8, s46, v8
	v_fmac_f32_e32 v23, v3, v7
	s_waitcnt vmcnt(33)
	v_cvt_f32_fp8_sdwa v17, v80 src0_sel:BYTE_0
	v_mul_f32_e32 v9, s46, v9
	v_fmac_f32_e32 v23, v4, v8
	s_waitcnt vmcnt(32)
	v_cvt_f32_fp8_sdwa v35, v81 src0_sel:BYTE_0
	v_fmac_f32_e32 v23, v5, v9
	s_waitcnt vmcnt(31)
	v_cvt_f32_fp8_sdwa v70, v14 src0_sel:BYTE_0
	v_mul_f32_e32 v14, s46, v15
	ds_read_b128 v[6:9], v39 offset:128
	ds_read_b128 v[2:5], v39 offset:144
	v_mul_f32_e32 v15, s46, v16
	s_waitcnt lgkmcnt(2)
	v_fmac_f32_e32 v23, v10, v14
	v_mul_f32_e32 v16, s46, v17
	v_fmac_f32_e32 v23, v11, v15
	v_mul_f32_e32 v17, s46, v35
	v_fmac_f32_e32 v23, v12, v16
	v_fmac_f32_e32 v23, v13, v17
	v_mul_f32_e32 v35, s46, v70
	s_waitcnt lgkmcnt(1)
	v_fmac_f32_e32 v23, v6, v35
	s_waitcnt vmcnt(30)
	v_cvt_f32_fp8_sdwa v35, v63 src0_sel:BYTE_0
	s_waitcnt vmcnt(29)
	v_cvt_f32_fp8_sdwa v63, v64 src0_sel:BYTE_0
	;; [unrolled: 2-line block ×5, first 2 shown]
	v_mul_f32_e32 v35, s46, v35
	s_waitcnt vmcnt(25)
	v_cvt_f32_fp8_sdwa v67, v68 src0_sel:BYTE_0
	v_mul_f32_e32 v63, s46, v63
	v_fmac_f32_e32 v23, v7, v35
	s_waitcnt vmcnt(24)
	v_cvt_f32_fp8_sdwa v68, v69 src0_sel:BYTE_0
	v_mul_f32_e32 v64, s46, v64
	v_fmac_f32_e32 v23, v8, v63
	s_waitcnt vmcnt(23)
	v_cvt_f32_fp8_sdwa v69, v82 src0_sel:BYTE_0
	v_mul_f32_e32 v65, s46, v65
	v_fmac_f32_e32 v23, v9, v64
	ds_read_b128 v[14:17], v39 offset:160
	ds_read_b128 v[10:13], v39 offset:176
	s_waitcnt vmcnt(22)
	v_cvt_f32_fp8_sdwa v70, v83 src0_sel:BYTE_0
	v_mul_f32_e32 v66, s46, v66
	s_waitcnt lgkmcnt(2)
	v_fmac_f32_e32 v23, v2, v65
	s_waitcnt vmcnt(21)
	v_cvt_f32_fp8_sdwa v71, v84 src0_sel:BYTE_0
	v_mul_f32_e32 v67, s46, v67
	v_fmac_f32_e32 v23, v3, v66
	s_waitcnt vmcnt(20)
	v_cvt_f32_fp8_sdwa v72, v85 src0_sel:BYTE_0
	v_mul_f32_e32 v68, s46, v68
	v_fmac_f32_e32 v23, v4, v67
	v_mul_f32_e32 v69, s46, v69
	s_waitcnt vmcnt(19)
	v_cvt_f32_fp8_sdwa v18, v18 src0_sel:BYTE_0
	v_fmac_f32_e32 v23, v5, v68
	v_mul_f32_e32 v70, s46, v70
	s_waitcnt vmcnt(18)
	v_cvt_f32_fp8_sdwa v19, v19 src0_sel:BYTE_0
	s_waitcnt lgkmcnt(1)
	v_fmac_f32_e32 v23, v14, v69
	v_mul_f32_e32 v71, s46, v71
	s_waitcnt vmcnt(17)
	v_cvt_f32_fp8_sdwa v20, v20 src0_sel:BYTE_0
	v_fmac_f32_e32 v23, v15, v70
	v_mul_f32_e32 v72, s46, v72
	s_waitcnt vmcnt(16)
	v_cvt_f32_fp8_sdwa v21, v21 src0_sel:BYTE_0
	;; [unrolled: 4-line block ×3, first 2 shown]
	v_fmac_f32_e32 v23, v17, v72
	ds_read_b128 v[2:5], v39 offset:192
	v_mul_f32_e32 v19, s46, v19
	s_waitcnt vmcnt(14)
	v_cvt_f32_fp8_sdwa v60, v60 src0_sel:BYTE_0
	s_waitcnt lgkmcnt(1)
	v_fmac_f32_e32 v23, v10, v18
	v_mul_f32_e32 v20, s46, v20
	s_waitcnt vmcnt(13)
	v_cvt_f32_fp8_sdwa v61, v61 src0_sel:BYTE_0
	v_fmac_f32_e32 v23, v11, v19
	v_cndmask_b32_e64 v6, v46, v48, s[8:9]
	v_mul_f32_e32 v21, s46, v21
	s_waitcnt vmcnt(12)
	v_cvt_f32_fp8_sdwa v62, v62 src0_sel:BYTE_0
	v_fmac_f32_e32 v23, v12, v20
	v_mul_f32_e32 v59, s46, v59
	s_waitcnt vmcnt(11)
	v_cvt_f32_fp8_sdwa v51, v51 src0_sel:BYTE_0
	v_lshlrev_b32_e32 v73, 2, v6
	ds_read_b128 v[6:9], v39 offset:208
	v_fmac_f32_e32 v23, v13, v21
	v_mul_f32_e32 v60, s46, v60
	s_waitcnt vmcnt(10)
	v_cvt_f32_fp8_sdwa v52, v52 src0_sel:BYTE_0
	s_waitcnt lgkmcnt(1)
	v_fmac_f32_e32 v23, v2, v59
	v_mul_f32_e32 v61, s46, v61
	s_waitcnt vmcnt(9)
	v_cvt_f32_fp8_sdwa v53, v53 src0_sel:BYTE_0
	v_fmac_f32_e32 v23, v3, v60
	v_mul_f32_e32 v62, s46, v62
	s_waitcnt vmcnt(8)
	v_cvt_f32_fp8_sdwa v54, v54 src0_sel:BYTE_0
	;; [unrolled: 4-line block ×3, first 2 shown]
	v_fmac_f32_e32 v23, v62, v5
	ds_read_b128 v[2:5], v39 offset:224
	v_mul_f32_e32 v52, s46, v52
	s_waitcnt vmcnt(6)
	v_cvt_f32_fp8_sdwa v56, v56 src0_sel:BYTE_0
	s_waitcnt lgkmcnt(1)
	v_fmac_f32_e32 v23, v51, v6
	v_mul_f32_e32 v53, s46, v53
	s_waitcnt vmcnt(5)
	v_cvt_f32_fp8_sdwa v57, v57 src0_sel:BYTE_0
	v_fmac_f32_e32 v23, v52, v7
	v_mul_f32_e32 v54, s46, v54
	s_waitcnt vmcnt(4)
	v_cvt_f32_fp8_sdwa v58, v58 src0_sel:BYTE_0
	;; [unrolled: 4-line block ×3, first 2 shown]
	v_fmac_f32_e32 v23, v54, v9
	ds_read_b128 v[6:9], v39 offset:240
	v_mul_f32_e32 v56, s46, v56
	s_waitcnt vmcnt(2)
	v_cvt_f32_fp8_sdwa v24, v24 src0_sel:BYTE_0
	s_waitcnt lgkmcnt(1)
	v_fmac_f32_e32 v23, v55, v2
	v_mul_f32_e32 v57, s46, v57
	s_waitcnt vmcnt(1)
	v_cvt_f32_fp8_sdwa v25, v25 src0_sel:BYTE_0
	v_fmac_f32_e32 v23, v56, v3
	v_mul_f32_e32 v58, s46, v58
	s_waitcnt vmcnt(0)
	v_cvt_f32_fp8_sdwa v34, v34 src0_sel:BYTE_0
	v_fmac_f32_e32 v23, v57, v4
	v_mul_f32_e32 v22, s46, v22
	v_fmac_f32_e32 v23, v58, v5
	v_mul_f32_e32 v24, s46, v24
	s_waitcnt lgkmcnt(0)
	v_fmac_f32_e32 v23, v22, v6
	v_mul_f32_e32 v25, s46, v25
	v_fmac_f32_e32 v23, v24, v7
	v_mul_f32_e32 v34, s46, v34
	v_fmac_f32_e32 v23, v25, v8
	v_fmac_f32_e32 v23, v34, v9
	ds_bpermute_b32 v2, v73, v23
	v_cmp_lt_i32_e64 s[8:9], v49, v47
	s_waitcnt lgkmcnt(0)
	v_add_f32_e32 v2, v23, v2
	v_cndmask_b32_e64 v3, v46, v49, s[8:9]
	v_lshlrev_b32_e32 v3, 2, v3
	ds_bpermute_b32 v3, v3, v2
	s_and_saveexec_b64 s[46:47], vcc
	s_cbranch_execz .LBB217_12
; %bb.18:                               ;   in Loop: Header=BB217_14 Depth=1
	v_add_u32_e32 v4, v44, v42
	v_cvt_f32_i32_e32 v4, v4
	s_waitcnt lgkmcnt(0)
	v_add_f32_e32 v2, v2, v3
	v_add_u32_e32 v5, v38, v42
	v_cmp_gt_i32_e64 s[8:9], s41, v5
	v_mul_f32_e32 v3, s3, v4
	v_cndmask_b32_e64 v3, 0, v3, s[6:7]
	v_fmac_f32_e32 v3, s45, v2
	v_cndmask_b32_e64 v2, 0, v3, s[8:9]
	ds_write_b32 v43, v2
	v_max_f32_e32 v2, v40, v40
	v_max_f32_e32 v2, v2, v3
	v_cndmask_b32_e64 v40, v40, v2, s[8:9]
	s_branch .LBB217_12
.LBB217_19:
	s_or_b64 exec, exec, s[20:21]
.LBB217_20:
	s_or_b64 exec, exec, s[18:19]
	v_mbcnt_hi_u32_b32 v2, -1, v37
	s_waitcnt lgkmcnt(0)
	v_and_b32_e32 v3, 64, v2
	v_add_u32_e32 v3, 64, v3
	v_xor_b32_e32 v4, 32, v2
	v_cmp_lt_i32_e32 vcc, v4, v3
	v_xor_b32_e32 v7, 16, v2
	v_max_f32_e32 v6, v40, v40
	v_cndmask_b32_e32 v4, v2, v4, vcc
	v_lshlrev_b32_e32 v5, 2, v4
	ds_bpermute_b32 v4, v5, v40
	v_cmp_lt_i32_e32 vcc, v7, v3
	v_xor_b32_e32 v8, 8, v2
	v_and_b32_e32 v27, 63, v0
	s_waitcnt lgkmcnt(0)
	v_max_f32_e32 v4, v4, v4
	v_max_f32_e32 v4, v6, v4
	v_cndmask_b32_e32 v6, v2, v7, vcc
	v_lshlrev_b32_e32 v6, 2, v6
	ds_bpermute_b32 v7, v6, v4
	v_cmp_lt_i32_e32 vcc, v8, v3
	s_waitcnt lgkmcnt(0)
	v_max_f32_e32 v7, v7, v7
	v_max_f32_e32 v4, v4, v7
	v_cndmask_b32_e32 v7, v2, v8, vcc
	v_lshlrev_b32_e32 v9, 2, v7
	ds_bpermute_b32 v7, v9, v4
	v_xor_b32_e32 v8, 4, v2
	v_cmp_lt_i32_e32 vcc, v8, v3
	s_waitcnt lgkmcnt(0)
	v_max_f32_e32 v7, v7, v7
	v_max_f32_e32 v4, v4, v7
	v_cndmask_b32_e32 v7, v2, v8, vcc
	v_lshlrev_b32_e32 v10, 2, v7
	ds_bpermute_b32 v8, v10, v4
	v_cmp_eq_u32_e32 vcc, 0, v27
	v_lshlrev_b32_e32 v7, 2, v36
	s_and_saveexec_b64 s[6:7], vcc
	s_cbranch_execz .LBB217_22
; %bb.21:
	s_waitcnt lgkmcnt(0)
	v_max_f32_e32 v8, v8, v8
	v_max_f32_e32 v4, v4, v4
	;; [unrolled: 1-line block ×3, first 2 shown]
	ds_write_b32 v7, v4 offset:1024
.LBB217_22:
	s_or_b64 exec, exec, s[6:7]
	v_cmp_gt_u32_e64 s[6:7], 2, v27
	v_mov_b32_e32 v4, 0xff7fffff
	s_waitcnt lgkmcnt(0)
	v_lshlrev_b32_e32 v8, 2, v27
	s_barrier
	s_and_saveexec_b64 s[8:9], s[6:7]
	s_cbranch_execz .LBB217_24
; %bb.23:
	ds_read_b32 v4, v8 offset:1024
.LBB217_24:
	s_or_b64 exec, exec, s[8:9]
	v_xor_b32_e32 v11, 1, v2
	v_cmp_lt_i32_e64 s[8:9], v11, v3
	s_sub_i32 s3, s28, s52
	s_lshl_b32 s3, s3, 4
	v_cndmask_b32_e64 v11, v2, v11, s[8:9]
	v_lshlrev_b32_e32 v98, 2, v11
	s_waitcnt lgkmcnt(0)
	ds_bpermute_b32 v11, v98, v4
	v_max_f32_e32 v4, v4, v4
	s_add_i32 s3, s3, s51
	s_min_i32 s20, s3, s41
	s_sub_i32 s3, s20, s51
	s_waitcnt lgkmcnt(0)
	v_max_f32_e32 v11, v11, v11
	v_max_f32_e32 v4, v4, v11
	v_lshlrev_b32_e32 v11, 2, v2
	v_and_b32_e32 v11, 0x100, v11
	ds_bpermute_b32 v4, v11, v4
	v_cmp_gt_i32_e64 s[8:9], s3, v0
	v_mov_b32_e32 v12, 0
	s_and_saveexec_b64 s[12:13], s[8:9]
	s_cbranch_execz .LBB217_28
; %bb.25:
	v_mov_b32_e32 v12, 0x410
	v_lshl_add_u32 v13, v0, 2, v12
	s_mov_b64 s[18:19], 0
	v_mov_b32_e32 v12, 0
	v_mov_b32_e32 v14, v0
.LBB217_26:                             ; =>This Inner Loop Header: Depth=1
	ds_read_b32 v15, v13
	v_add_u32_e32 v14, 0x80, v14
	v_cmp_le_i32_e64 s[10:11], s3, v14
	s_or_b64 s[18:19], s[10:11], s[18:19]
	s_waitcnt lgkmcnt(0)
	v_sub_f32_e32 v15, v15, v4
	v_mul_f32_e32 v15, 0x3fb8aa3b, v15
	v_exp_f32_e32 v15, v15
	ds_write_b32 v13, v15
	v_add_f32_e32 v12, v12, v15
	v_add_u32_e32 v13, 0x200, v13
	s_andn2_b64 exec, exec, s[18:19]
	s_cbranch_execnz .LBB217_26
; %bb.27:
	s_or_b64 exec, exec, s[18:19]
.LBB217_28:
	s_or_b64 exec, exec, s[12:13]
	ds_bpermute_b32 v5, v5, v12
	s_waitcnt lgkmcnt(0)
	v_add_f32_e32 v5, v12, v5
	ds_bpermute_b32 v6, v6, v5
	s_waitcnt lgkmcnt(0)
	v_add_f32_e32 v5, v5, v6
	ds_bpermute_b32 v6, v9, v5
	v_xor_b32_e32 v9, 2, v2
	v_cmp_lt_i32_e64 s[10:11], v9, v3
	s_waitcnt lgkmcnt(0)
	v_add_f32_e32 v5, v5, v6
	ds_bpermute_b32 v6, v10, v5
	v_cndmask_b32_e64 v2, v2, v9, s[10:11]
	v_lshlrev_b32_e32 v99, 2, v2
	s_waitcnt lgkmcnt(0)
	v_add_f32_e32 v3, v5, v6
	ds_bpermute_b32 v2, v99, v3
	s_waitcnt lgkmcnt(0)
	v_add_f32_e32 v2, v3, v2
	ds_bpermute_b32 v3, v98, v2
	s_waitcnt lgkmcnt(0)
	v_add_f32_e32 v2, v2, v3
	s_and_saveexec_b64 s[10:11], vcc
	s_cbranch_execz .LBB217_30
; %bb.29:
	ds_write_b32 v7, v2 offset:1032
.LBB217_30:
	s_or_b64 exec, exec, s[10:11]
	s_waitcnt lgkmcnt(0)
	s_barrier
	s_and_saveexec_b64 s[10:11], s[6:7]
	s_cbranch_execz .LBB217_32
; %bb.31:
	ds_read_b32 v2, v8 offset:1032
.LBB217_32:
	s_or_b64 exec, exec, s[10:11]
	s_waitcnt lgkmcnt(0)
	ds_bpermute_b32 v3, v98, v2
	s_waitcnt lgkmcnt(0)
	v_add_f32_e32 v2, v2, v3
	ds_bpermute_b32 v5, v11, v2
	s_and_saveexec_b64 s[6:7], s[8:9]
	s_cbranch_execz .LBB217_45
; %bb.33:
	s_waitcnt lgkmcnt(0)
	v_add_f32_e32 v2, 0x358637bd, v5
	v_div_scale_f32 v3, s[8:9], v2, v2, 1.0
	v_rcp_f32_e32 v6, v3
	v_div_scale_f32 v7, vcc, 1.0, v2, 1.0
	s_movk_i32 s8, 0x7f
	v_fma_f32 v8, -v3, v6, 1.0
	v_fmac_f32_e32 v6, v8, v6
	v_mul_f32_e32 v8, v7, v6
	v_fma_f32 v9, -v3, v8, v7
	v_fmac_f32_e32 v8, v9, v6
	v_fma_f32 v3, -v3, v8, v7
	v_div_fmas_f32 v3, v3, v6, v8
	v_div_fixup_f32 v2, v3, v2, 1.0
	v_xad_u32 v3, v0, -1, s20
	v_subrev_u32_e32 v6, s51, v3
	v_cmp_lt_u32_e32 vcc, s8, v6
	s_mov_b64 s[10:11], -1
	v_mov_b32_e32 v3, v0
	s_and_saveexec_b64 s[8:9], vcc
	s_cbranch_execz .LBB217_42
; %bb.34:
	v_lshrrev_b32_e32 v6, 7, v6
	v_add_u32_e32 v8, -1, v6
	v_lshrrev_b32_e32 v7, 1, v8
	v_mov_b32_e32 v3, v2
	v_add_u32_e32 v7, 1, v7
	v_cmp_lt_u32_e32 vcc, 13, v8
	v_mov_b32_e32 v10, 0
	s_and_saveexec_b64 s[10:11], vcc
	s_cbranch_execz .LBB217_38
; %bb.35:
	v_mov_b32_e32 v9, 0x410
	v_and_b32_e32 v8, -8, v7
	v_lshl_add_u32 v9, v0, 2, v9
	s_mov_b32 s18, 0
	s_mov_b64 s[12:13], 0
.LBB217_36:                             ; =>This Inner Loop Header: Depth=1
	ds_read2st64_b32 v[10:11], v9 offset1:2
	ds_read2st64_b32 v[12:13], v9 offset0:4 offset1:6
	ds_read2st64_b32 v[14:15], v9 offset0:8 offset1:10
	;; [unrolled: 1-line block ×3, first 2 shown]
	v_add_u32_e32 v8, -8, v8
	s_waitcnt lgkmcnt(3)
	v_pk_mul_f32 v[10:11], v[2:3], v[10:11]
	s_waitcnt lgkmcnt(2)
	v_pk_mul_f32 v[12:13], v[2:3], v[12:13]
	ds_write2st64_b32 v9, v10, v11 offset1:2
	ds_write2st64_b32 v9, v12, v13 offset0:4 offset1:6
	ds_read2st64_b32 v[12:13], v9 offset0:16 offset1:18
	s_waitcnt lgkmcnt(4)
	v_pk_mul_f32 v[10:11], v[2:3], v[14:15]
	ds_write2st64_b32 v9, v10, v11 offset0:8 offset1:10
	s_waitcnt lgkmcnt(4)
	v_pk_mul_f32 v[10:11], v[2:3], v[16:17]
	ds_write2st64_b32 v9, v10, v11 offset0:12 offset1:14
	ds_read2st64_b32 v[10:11], v9 offset0:20 offset1:22
	s_waitcnt lgkmcnt(3)
	v_pk_mul_f32 v[12:13], v[2:3], v[12:13]
	ds_read2st64_b32 v[14:15], v9 offset0:24 offset1:26
	ds_write2st64_b32 v9, v12, v13 offset0:16 offset1:18
	ds_read2st64_b32 v[12:13], v9 offset0:28 offset1:30
	s_waitcnt lgkmcnt(3)
	v_pk_mul_f32 v[10:11], v[2:3], v[10:11]
	ds_write2st64_b32 v9, v10, v11 offset0:20 offset1:22
	s_waitcnt lgkmcnt(3)
	v_pk_mul_f32 v[10:11], v[2:3], v[14:15]
	ds_write2st64_b32 v9, v10, v11 offset0:24 offset1:26
	s_waitcnt lgkmcnt(2)
	v_pk_mul_f32 v[10:11], v[2:3], v[12:13]
	s_add_i32 s18, s18, 16
	v_cmp_eq_u32_e32 vcc, 0, v8
	ds_write2st64_b32 v9, v10, v11 offset0:28 offset1:30
	v_add_u32_e32 v9, 0x2000, v9
	s_or_b64 s[12:13], vcc, s[12:13]
	v_mov_b32_e32 v10, s18
	s_andn2_b64 exec, exec, s[12:13]
	s_cbranch_execnz .LBB217_36
; %bb.37:
	s_or_b64 exec, exec, s[12:13]
.LBB217_38:
	s_or_b64 exec, exec, s[10:11]
	v_and_b32_e32 v7, 7, v7
	v_cmp_ne_u32_e32 vcc, 0, v7
	s_and_saveexec_b64 s[10:11], vcc
	s_cbranch_execz .LBB217_41
; %bb.39:
	v_lshlrev_b32_e32 v8, 9, v10
	v_lshlrev_b32_e32 v9, 2, v0
	s_movk_i32 s12, 0x410
	v_add3_u32 v8, v8, v9, s12
	s_mov_b64 s[12:13], 0
.LBB217_40:                             ; =>This Inner Loop Header: Depth=1
	ds_read2st64_b32 v[10:11], v8 offset1:2
	v_add_u32_e32 v7, -1, v7
	v_cmp_eq_u32_e32 vcc, 0, v7
	s_or_b64 s[12:13], vcc, s[12:13]
	s_waitcnt lgkmcnt(0)
	v_pk_mul_f32 v[10:11], v[2:3], v[10:11]
	ds_write2st64_b32 v8, v10, v11 offset1:2
	v_add_u32_e32 v8, 0x400, v8
	s_andn2_b64 exec, exec, s[12:13]
	s_cbranch_execnz .LBB217_40
.LBB217_41:
	s_or_b64 exec, exec, s[10:11]
	v_add_u32_e32 v6, 1, v6
	v_and_b32_e32 v7, 0x3fffffe, v6
	v_cmp_ne_u32_e32 vcc, v6, v7
	v_lshl_add_u32 v3, v7, 7, v0
	s_orn2_b64 s[10:11], vcc, exec
.LBB217_42:
	s_or_b64 exec, exec, s[8:9]
	s_and_b64 exec, exec, s[10:11]
	s_cbranch_execz .LBB217_45
; %bb.43:
	v_mov_b32_e32 v6, 0x410
	v_lshl_add_u32 v6, v3, 2, v6
	s_mov_b64 s[8:9], 0
.LBB217_44:                             ; =>This Inner Loop Header: Depth=1
	ds_read_b32 v7, v6
	v_add_u32_e32 v3, 0x80, v3
	v_cmp_le_i32_e32 vcc, s3, v3
	s_or_b64 s[8:9], vcc, s[8:9]
	s_waitcnt lgkmcnt(0)
	v_mul_f32_e32 v7, v2, v7
	ds_write_b32 v6, v7
	v_add_u32_e32 v6, 0x200, v6
	s_andn2_b64 exec, exec, s[8:9]
	s_cbranch_execnz .LBB217_44
.LBB217_45:
	s_or_b64 exec, exec, s[6:7]
	s_mul_i32 s3, s33, s40
	v_cmp_eq_u32_e32 vcc, 0, v0
	s_mul_i32 s6, s3, s5
	s_waitcnt lgkmcnt(0)
	s_barrier
	s_and_saveexec_b64 s[8:9], vcc
	s_cbranch_execz .LBB217_47
; %bb.46:
	s_ashr_i32 s7, s6, 31
	s_lshl_b64 s[10:11], s[6:7], 2
	s_add_u32 s5, s26, s10
	s_mul_i32 s2, s33, s2
	s_addc_u32 s7, s27, s11
	s_ashr_i32 s3, s2, 31
	s_lshl_b64 s[2:3], s[2:3], 2
	s_add_u32 s18, s5, s2
	s_addc_u32 s7, s7, s3
	s_ashr_i32 s5, s4, 31
	s_lshl_b64 s[12:13], s[4:5], 2
	s_add_u32 s18, s18, s12
	s_addc_u32 s19, s7, s13
	s_add_u32 s5, s24, s10
	s_addc_u32 s7, s25, s11
	;; [unrolled: 2-line block ×3, first 2 shown]
	s_add_u32 s2, s2, s12
	v_mov_b32_e32 v2, 0
	s_addc_u32 s3, s3, s13
	global_store_dword v2, v4, s[18:19]
	global_store_dword v2, v5, s[2:3]
.LBB217_47:
	s_or_b64 exec, exec, s[8:9]
	v_mov_b32_e32 v20, 0
	v_mov_b32_e32 v21, 0
	;; [unrolled: 1-line block ×16, first 2 shown]
	s_and_saveexec_b64 s[2:3], s[0:1]
	s_cbranch_execz .LBB217_85
; %bb.48:
	s_sub_i32 s5, s49, s29
	s_ashr_i32 s0, s50, 31
	s_add_u32 s8, s22, s50
	s_addc_u32 s9, s23, s0
	s_abs_i32 s7, s30
	v_cvt_f32_u32_e32 v2, s7
	v_lshlrev_b32_e32 v3, 2, v0
	s_sub_i32 s0, 0, s7
	v_and_b32_e32 v100, 12, v3
	v_rcp_iflag_f32_e32 v2, v2
	v_and_b32_e32 v22, 0xfc, v3
	v_or_b32_e32 v24, 0xf00, v3
	s_add_i32 s21, s16, -1
	v_mul_f32_e32 v2, 0x4f7ffffe, v2
	v_cvt_u32_f32_e32 v2, v2
	v_mov_b32_e32 v23, 0
	s_mov_b32 s20, s17
	v_mov_b32_e32 v25, v23
	v_mul_lo_u32 v3, s0, v2
	v_mul_hi_u32 v3, v2, v3
	s_lshl_b64 s[0:1], s[42:43], 2
	v_add_u32_e32 v101, v2, v3
	s_add_u32 s0, s38, s0
	v_lshlrev_b32_e32 v2, 4, v26
	s_addc_u32 s1, s39, s1
	v_lshl_or_b32 v2, v36, 6, v2
	v_lshl_add_u64 v[30:31], v[28:29], 2, s[0:1]
	v_add_u32_e32 v29, 0x410, v2
	s_mov_b64 s[10:11], 0
	v_mov_b32_e32 v7, v23
	v_mov_b32_e32 v6, v23
	;; [unrolled: 1-line block ×16, first 2 shown]
	s_branch .LBB217_51
.LBB217_49:                             ;   in Loop: Header=BB217_51 Depth=1
	s_or_b64 exec, exec, s[0:1]
	v_mul_f32_e32 v95, v3, v95
	v_mul_f32_e32 v91, v3, v91
	;; [unrolled: 1-line block ×16, first 2 shown]
	v_fmac_f32_e32 v95, v2, v94
	v_fmac_f32_e32 v91, v2, v90
	;; [unrolled: 1-line block ×48, first 2 shown]
	v_add_f32_e32 v6, v6, v95
	v_add_f32_e32 v9, v9, v91
	;; [unrolled: 1-line block ×16, first 2 shown]
.LBB217_50:                             ;   in Loop: Header=BB217_51 Depth=1
	s_or_b64 exec, exec, s[12:13]
	v_add_u32_e32 v28, 2, v28
	v_cmp_le_i32_e32 vcc, s28, v28
	v_lshl_add_u64 v[30:31], v[30:31], 0, 8
	v_add_u32_e32 v97, 32, v97
	s_or_b64 s[10:11], vcc, s[10:11]
	v_add_u32_e32 v29, 0x80, v29
	s_andn2_b64 exec, exec, s[10:11]
	s_cbranch_execz .LBB217_84
.LBB217_51:                             ; =>This Inner Loop Header: Depth=1
	v_sub_u32_e32 v3, 0, v97
	v_max_i32_e32 v3, v97, v3
	v_mul_hi_u32 v4, v3, s48
	v_mul_lo_u32 v5, v4, s37
	v_sub_u32_e32 v3, v3, v5
	v_add_u32_e32 v5, 1, v4
	v_cmp_le_u32_e32 vcc, s37, v3
	v_ashrrev_i32_e32 v2, 31, v97
	v_xor_b32_e32 v2, s31, v2
	v_cndmask_b32_e32 v4, v4, v5, vcc
	v_subrev_u32_e32 v5, s37, v3
	v_cndmask_b32_e32 v3, v3, v5, vcc
	v_add_u32_e32 v5, 1, v4
	v_cmp_le_u32_e32 vcc, s37, v3
	s_nop 1
	v_cndmask_b32_e32 v3, v4, v5, vcc
	v_xor_b32_e32 v3, v3, v2
	v_sub_u32_e32 v2, v3, v2
	v_add_u32_e32 v3, s44, v2
	v_sub_u32_e32 v5, 0, v3
	v_ashrrev_i32_e32 v4, 31, v3
	v_max_i32_e32 v3, v3, v5
	v_mul_hi_u32 v5, v3, v101
	v_mul_lo_u32 v5, v5, s7
	v_sub_u32_e32 v3, v3, v5
	v_subrev_u32_e32 v5, s7, v3
	v_cmp_le_u32_e32 vcc, s7, v3
	v_cmp_lt_i32_e64 s[0:1], s5, v2
	s_nop 0
	v_cndmask_b32_e32 v3, v3, v5, vcc
	v_subrev_u32_e32 v5, s7, v3
	v_cmp_le_u32_e32 vcc, s7, v3
	s_nop 1
	v_cndmask_b32_e32 v3, v3, v5, vcc
	v_xor_b32_e32 v3, v3, v4
	v_sub_u32_e32 v3, v3, v4
	v_cmp_eq_u32_e32 vcc, 0, v3
	s_or_b64 s[0:1], vcc, s[0:1]
	s_and_saveexec_b64 s[12:13], s[0:1]
	s_cbranch_execz .LBB217_50
; %bb.52:                               ;   in Loop: Header=BB217_51 Depth=1
	global_load_dword v4, v[30:31], off
	v_mov_b64_e32 v[2:3], s[8:9]
	s_load_dword s16, s[14:15], 0x0
	v_add_u32_e32 v102, v100, v97
	v_cmp_eq_u32_e32 vcc, s21, v28
	v_add_u32_e32 v104, 1, v102
	v_add_u32_e32 v103, 2, v102
	v_add_u32_e32 v105, 3, v102
	s_waitcnt vmcnt(0)
	v_mad_i64_i32 v[44:45], s[0:1], v4, s20, v[2:3]
	v_lshl_add_u64 v[50:51], v[44:45], 0, v[22:23]
	global_load_dword v32, v[50:51], off
	ds_read_b128 v[2:5], v29
	s_waitcnt vmcnt(0)
	v_and_b32_e32 v33, 0xffff, v32
	v_lshrrev_b32_e32 v34, 16, v32
	v_cvt_pk_f32_fp8_e32 v[32:33], v33
	v_cvt_pk_f32_fp8_e32 v[36:37], v34
	s_waitcnt lgkmcnt(0)
	v_pk_mul_f32 v[34:35], s[16:17], v[32:33] op_sel_hi:[0,1]
	v_pk_mul_f32 v[32:33], s[16:17], v[36:37] op_sel_hi:[0,1]
	s_and_saveexec_b64 s[18:19], vcc
; %bb.53:                               ;   in Loop: Header=BB217_51 Depth=1
	v_cmp_gt_i32_e64 s[0:1], s41, v102
	s_nop 1
	v_cndmask_b32_e64 v34, 0, v34, s[0:1]
	v_cmp_gt_i32_e64 s[0:1], s41, v104
	s_nop 1
	v_cndmask_b32_e64 v35, 0, v35, s[0:1]
	;; [unrolled: 3-line block ×4, first 2 shown]
; %bb.54:                               ;   in Loop: Header=BB217_51 Depth=1
	s_or_b64 exec, exec, s[18:19]
	global_load_dword v36, v[50:51], off offset:256
	s_mov_b32 s17, s16
	s_waitcnt vmcnt(0)
	v_and_b32_e32 v37, 0xffff, v36
	v_lshrrev_b32_e32 v38, 16, v36
	v_cvt_pk_f32_fp8_e32 v[36:37], v37
	v_cvt_pk_f32_fp8_e32 v[40:41], v38
	v_pk_mul_f32 v[38:39], s[16:17], v[36:37]
	v_pk_mul_f32 v[36:37], s[16:17], v[40:41]
	s_and_saveexec_b64 s[18:19], vcc
; %bb.55:                               ;   in Loop: Header=BB217_51 Depth=1
	v_cmp_gt_i32_e64 s[0:1], s41, v102
	s_nop 1
	v_cndmask_b32_e64 v38, 0, v38, s[0:1]
	v_cmp_gt_i32_e64 s[0:1], s41, v104
	s_nop 1
	v_cndmask_b32_e64 v39, 0, v39, s[0:1]
	v_cmp_gt_i32_e64 s[0:1], s41, v103
	s_nop 1
	v_cndmask_b32_e64 v36, 0, v36, s[0:1]
	v_cmp_gt_i32_e64 s[0:1], s41, v105
	s_nop 1
	v_cndmask_b32_e64 v37, 0, v37, s[0:1]
; %bb.56:                               ;   in Loop: Header=BB217_51 Depth=1
	s_or_b64 exec, exec, s[18:19]
	global_load_dword v40, v[50:51], off offset:512
	s_waitcnt vmcnt(0)
	v_and_b32_e32 v41, 0xffff, v40
	v_lshrrev_b32_e32 v42, 16, v40
	v_cvt_pk_f32_fp8_e32 v[40:41], v41
	v_cvt_pk_f32_fp8_e32 v[46:47], v42
	v_pk_mul_f32 v[42:43], s[16:17], v[40:41]
	v_pk_mul_f32 v[40:41], s[16:17], v[46:47]
	s_and_saveexec_b64 s[18:19], vcc
; %bb.57:                               ;   in Loop: Header=BB217_51 Depth=1
	v_cmp_gt_i32_e64 s[0:1], s41, v102
	s_nop 1
	v_cndmask_b32_e64 v42, 0, v42, s[0:1]
	v_cmp_gt_i32_e64 s[0:1], s41, v104
	s_nop 1
	v_cndmask_b32_e64 v43, 0, v43, s[0:1]
	v_cmp_gt_i32_e64 s[0:1], s41, v103
	s_nop 1
	v_cndmask_b32_e64 v40, 0, v40, s[0:1]
	v_cmp_gt_i32_e64 s[0:1], s41, v105
	s_nop 1
	v_cndmask_b32_e64 v41, 0, v41, s[0:1]
; %bb.58:                               ;   in Loop: Header=BB217_51 Depth=1
	s_or_b64 exec, exec, s[18:19]
	global_load_dword v46, v[50:51], off offset:768
	;; [unrolled: 24-line block ×13, first 2 shown]
	s_waitcnt vmcnt(0)
	v_and_b32_e32 v51, 0xffff, v50
	v_lshrrev_b32_e32 v92, 16, v50
	v_cvt_pk_f32_fp8_e32 v[50:51], v51
	v_cvt_pk_f32_fp8_e32 v[92:93], v92
	v_pk_mul_f32 v[94:95], s[16:17], v[50:51]
	v_pk_mul_f32 v[92:93], s[16:17], v[92:93]
	s_and_saveexec_b64 s[18:19], vcc
; %bb.81:                               ;   in Loop: Header=BB217_51 Depth=1
	v_cmp_gt_i32_e64 s[0:1], s41, v102
	s_nop 1
	v_cndmask_b32_e64 v94, 0, v94, s[0:1]
	v_cmp_gt_i32_e64 s[0:1], s41, v104
	s_nop 1
	v_cndmask_b32_e64 v95, 0, v95, s[0:1]
	v_cmp_gt_i32_e64 s[0:1], s41, v103
	s_nop 1
	v_cndmask_b32_e64 v92, 0, v92, s[0:1]
	v_cmp_gt_i32_e64 s[0:1], s41, v105
	s_nop 1
	v_cndmask_b32_e64 v93, 0, v93, s[0:1]
; %bb.82:                               ;   in Loop: Header=BB217_51 Depth=1
	s_or_b64 exec, exec, s[18:19]
	v_lshl_add_u64 v[44:45], v[44:45], 0, v[24:25]
	global_load_dword v44, v[44:45], off
	s_waitcnt vmcnt(0)
	v_and_b32_e32 v45, 0xffff, v44
	v_lshrrev_b32_e32 v50, 16, v44
	v_cvt_pk_f32_fp8_e32 v[44:45], v45
	v_cvt_pk_f32_fp8_e32 v[106:107], v50
	v_pk_mul_f32 v[50:51], s[16:17], v[44:45]
	v_pk_mul_f32 v[44:45], s[16:17], v[106:107]
	s_and_saveexec_b64 s[0:1], vcc
	s_cbranch_execz .LBB217_49
; %bb.83:                               ;   in Loop: Header=BB217_51 Depth=1
	v_cmp_gt_i32_e32 vcc, s41, v102
	s_nop 1
	v_cndmask_b32_e32 v50, 0, v50, vcc
	v_cmp_gt_i32_e32 vcc, s41, v104
	s_nop 1
	v_cndmask_b32_e32 v51, 0, v51, vcc
	v_cmp_gt_i32_e32 vcc, s41, v103
	s_nop 1
	v_cndmask_b32_e32 v44, 0, v44, vcc
	v_cmp_gt_i32_e32 vcc, s41, v105
	s_nop 1
	v_cndmask_b32_e32 v45, 0, v45, vcc
	s_branch .LBB217_49
.LBB217_84:
	s_or_b64 exec, exec, s[10:11]
.LBB217_85:
	s_or_b64 exec, exec, s[2:3]
	ds_bpermute_b32 v4, v99, v18
	ds_bpermute_b32 v5, v99, v19
	;; [unrolled: 1-line block ×6, first 2 shown]
	s_waitcnt lgkmcnt(4)
	v_pk_add_f32 v[4:5], v[18:19], v[4:5]
	ds_bpermute_b32 v18, v98, v4
	ds_bpermute_b32 v19, v98, v5
	s_waitcnt lgkmcnt(4)
	v_pk_add_f32 v[2:3], v[20:21], v[2:3]
	ds_bpermute_b32 v20, v98, v2
	ds_bpermute_b32 v21, v98, v3
	s_waitcnt lgkmcnt(4)
	v_pk_add_f32 v[16:17], v[16:17], v[22:23]
	s_waitcnt lgkmcnt(2)
	v_pk_add_f32 v[4:5], v[4:5], v[18:19]
	ds_bpermute_b32 v18, v99, v12
	ds_bpermute_b32 v19, v99, v13
	ds_bpermute_b32 v22, v99, v14
	ds_bpermute_b32 v23, v99, v15
	s_waitcnt lgkmcnt(4)
	v_pk_add_f32 v[2:3], v[2:3], v[20:21]
	ds_bpermute_b32 v20, v98, v16
	s_waitcnt lgkmcnt(3)
	v_pk_add_f32 v[12:13], v[12:13], v[18:19]
	ds_bpermute_b32 v18, v99, v10
	ds_bpermute_b32 v19, v99, v11
	;; [unrolled: 1-line block ×6, first 2 shown]
	s_waitcnt lgkmcnt(4)
	v_pk_add_f32 v[10:11], v[10:11], v[18:19]
	ds_bpermute_b32 v29, v99, v7
	ds_bpermute_b32 v18, v98, v10
	;; [unrolled: 1-line block ×3, first 2 shown]
	v_pk_add_f32 v[14:15], v[14:15], v[22:23]
	s_waitcnt lgkmcnt(6)
	v_pk_add_f32 v[16:17], v[16:17], v[20:21]
	ds_bpermute_b32 v20, v98, v14
	ds_bpermute_b32 v21, v98, v15
	s_waitcnt lgkmcnt(6)
	v_pk_add_f32 v[8:9], v[8:9], v[24:25]
	ds_bpermute_b32 v22, v98, v12
	ds_bpermute_b32 v23, v98, v13
	;; [unrolled: 1-line block ×4, first 2 shown]
	s_waitcnt lgkmcnt(8)
	v_pk_add_f32 v[6:7], v[6:7], v[28:29]
	s_waitcnt lgkmcnt(6)
	v_pk_add_f32 v[10:11], v[10:11], v[18:19]
	ds_bpermute_b32 v18, v98, v6
	ds_bpermute_b32 v19, v98, v7
	s_waitcnt lgkmcnt(6)
	v_pk_add_f32 v[14:15], v[14:15], v[20:21]
	v_and_b32_e32 v20, 0x3c3, v0
	s_waitcnt lgkmcnt(4)
	v_pk_add_f32 v[12:13], v[12:13], v[22:23]
	s_waitcnt lgkmcnt(2)
	v_pk_add_f32 v[8:9], v[8:9], v[24:25]
	v_cmp_ne_u32_e32 vcc, 64, v20
	s_waitcnt lgkmcnt(0)
	s_barrier
	s_and_saveexec_b64 s[0:1], vcc
	s_xor_b64 s[0:1], exec, s[0:1]
; %bb.86:
                                        ; implicit-def: $vgpr27
; %bb.87:
	s_or_saveexec_b64 s[0:1], s[0:1]
	v_pk_add_f32 v[6:7], v[6:7], v[18:19]
	s_xor_b64 exec, exec, s[0:1]
	s_cbranch_execz .LBB217_89
; %bb.88:
	v_add_u32_e32 v18, 0x410, v27
	ds_write2_b32 v18, v2, v3 offset1:16
	ds_write2_b32 v18, v4, v5 offset0:32 offset1:48
	ds_write2_b32 v18, v16, v17 offset0:64 offset1:80
	;; [unrolled: 1-line block ×7, first 2 shown]
.LBB217_89:
	s_or_b64 exec, exec, s[0:1]
	v_cmp_gt_u32_e32 vcc, 64, v0
	s_waitcnt lgkmcnt(0)
	s_barrier
	s_and_saveexec_b64 s[0:1], vcc
	s_cbranch_execz .LBB217_108
; %bb.90:
	v_cmp_eq_u32_e32 vcc, 0, v26
	s_and_saveexec_b64 s[2:3], vcc
	s_cbranch_execnz .LBB217_111
; %bb.91:
	s_or_b64 exec, exec, s[2:3]
	s_and_saveexec_b64 s[2:3], vcc
	s_cbranch_execnz .LBB217_112
.LBB217_92:
	s_or_b64 exec, exec, s[2:3]
	s_and_saveexec_b64 s[2:3], vcc
	s_cbranch_execnz .LBB217_113
.LBB217_93:
	s_or_b64 exec, exec, s[2:3]
	s_and_saveexec_b64 s[2:3], vcc
	s_cbranch_execnz .LBB217_114
.LBB217_94:
	s_or_b64 exec, exec, s[2:3]
	s_and_saveexec_b64 s[2:3], vcc
	s_cbranch_execnz .LBB217_115
.LBB217_95:
	s_or_b64 exec, exec, s[2:3]
	s_and_saveexec_b64 s[2:3], vcc
	s_cbranch_execnz .LBB217_116
.LBB217_96:
	s_or_b64 exec, exec, s[2:3]
	s_and_saveexec_b64 s[2:3], vcc
	s_cbranch_execnz .LBB217_117
.LBB217_97:
	s_or_b64 exec, exec, s[2:3]
	s_and_saveexec_b64 s[2:3], vcc
	s_cbranch_execnz .LBB217_118
.LBB217_98:
	s_or_b64 exec, exec, s[2:3]
	s_and_saveexec_b64 s[2:3], vcc
	s_cbranch_execnz .LBB217_119
.LBB217_99:
	s_or_b64 exec, exec, s[2:3]
	s_and_saveexec_b64 s[2:3], vcc
	s_cbranch_execnz .LBB217_120
.LBB217_100:
	s_or_b64 exec, exec, s[2:3]
	s_and_saveexec_b64 s[2:3], vcc
	s_cbranch_execnz .LBB217_121
.LBB217_101:
	s_or_b64 exec, exec, s[2:3]
	s_and_saveexec_b64 s[2:3], vcc
	s_cbranch_execnz .LBB217_122
.LBB217_102:
	s_or_b64 exec, exec, s[2:3]
	s_and_saveexec_b64 s[2:3], vcc
	s_cbranch_execnz .LBB217_123
.LBB217_103:
	s_or_b64 exec, exec, s[2:3]
	s_and_saveexec_b64 s[2:3], vcc
	s_cbranch_execnz .LBB217_124
.LBB217_104:
	s_or_b64 exec, exec, s[2:3]
	s_and_saveexec_b64 s[2:3], vcc
	s_cbranch_execnz .LBB217_125
.LBB217_105:
	s_or_b64 exec, exec, s[2:3]
	s_and_saveexec_b64 s[2:3], vcc
	s_cbranch_execz .LBB217_107
.LBB217_106:
	v_mov_b32_e32 v0, 0x410
	v_lshl_add_u32 v0, v96, 2, v0
	ds_read_b32 v0, v0 offset:960
	s_waitcnt lgkmcnt(0)
	v_add_f32_e32 v7, v7, v0
.LBB217_107:
	s_or_b64 exec, exec, s[2:3]
.LBB217_108:
	s_or_b64 exec, exec, s[0:1]
	v_cmp_eq_u32_e32 vcc, 0, v20
	s_barrier
	s_and_saveexec_b64 s[0:1], vcc
	s_cbranch_execz .LBB217_110
; %bb.109:
	s_lshl_b32 s0, s6, 8
	s_ashr_i32 s1, s0, 31
	s_lshl_b64 s[0:1], s[0:1], 2
	s_add_u32 s2, s34, s0
	s_mul_i32 s0, s33, s36
	s_addc_u32 s3, s35, s1
	s_ashr_i32 s1, s0, 31
	s_lshl_b64 s[0:1], s[0:1], 2
	s_add_u32 s2, s2, s0
	s_addc_u32 s3, s3, s1
	s_lshl_b32 s0, s4, 8
	s_ashr_i32 s1, s0, 31
	s_lshl_b64 s[0:1], s[0:1], 2
	s_add_u32 s0, s2, s0
	s_addc_u32 s1, s3, s1
	global_store_dword v1, v2, s[0:1]
	global_store_dword v1, v3, s[0:1] offset:64
	global_store_dword v1, v4, s[0:1] offset:128
	;; [unrolled: 1-line block ×15, first 2 shown]
.LBB217_110:
	s_endpgm
.LBB217_111:
	v_mov_b32_e32 v0, 0x410
	v_lshl_add_u32 v0, v96, 2, v0
	ds_read_b32 v0, v0
	s_waitcnt lgkmcnt(0)
	v_add_f32_e32 v2, v2, v0
	s_or_b64 exec, exec, s[2:3]
	s_and_saveexec_b64 s[2:3], vcc
	s_cbranch_execz .LBB217_92
.LBB217_112:
	v_mov_b32_e32 v0, 0x410
	v_lshl_add_u32 v0, v96, 2, v0
	ds_read_b32 v0, v0 offset:64
	s_waitcnt lgkmcnt(0)
	v_add_f32_e32 v3, v3, v0
	s_or_b64 exec, exec, s[2:3]
	s_and_saveexec_b64 s[2:3], vcc
	s_cbranch_execz .LBB217_93
.LBB217_113:
	v_mov_b32_e32 v0, 0x410
	v_lshl_add_u32 v0, v96, 2, v0
	ds_read_b32 v0, v0 offset:128
	s_waitcnt lgkmcnt(0)
	v_add_f32_e32 v4, v4, v0
	s_or_b64 exec, exec, s[2:3]
	s_and_saveexec_b64 s[2:3], vcc
	s_cbranch_execz .LBB217_94
.LBB217_114:
	v_mov_b32_e32 v0, 0x410
	v_lshl_add_u32 v0, v96, 2, v0
	ds_read_b32 v0, v0 offset:192
	s_waitcnt lgkmcnt(0)
	v_add_f32_e32 v5, v5, v0
	s_or_b64 exec, exec, s[2:3]
	s_and_saveexec_b64 s[2:3], vcc
	s_cbranch_execz .LBB217_95
.LBB217_115:
	v_mov_b32_e32 v0, 0x410
	v_lshl_add_u32 v0, v96, 2, v0
	ds_read_b32 v0, v0 offset:256
	s_waitcnt lgkmcnt(0)
	v_add_f32_e32 v16, v16, v0
	s_or_b64 exec, exec, s[2:3]
	s_and_saveexec_b64 s[2:3], vcc
	s_cbranch_execz .LBB217_96
.LBB217_116:
	v_mov_b32_e32 v0, 0x410
	v_lshl_add_u32 v0, v96, 2, v0
	ds_read_b32 v0, v0 offset:320
	s_waitcnt lgkmcnt(0)
	v_add_f32_e32 v17, v17, v0
	s_or_b64 exec, exec, s[2:3]
	s_and_saveexec_b64 s[2:3], vcc
	s_cbranch_execz .LBB217_97
.LBB217_117:
	v_mov_b32_e32 v0, 0x410
	v_lshl_add_u32 v0, v96, 2, v0
	ds_read_b32 v0, v0 offset:384
	s_waitcnt lgkmcnt(0)
	v_add_f32_e32 v14, v14, v0
	s_or_b64 exec, exec, s[2:3]
	s_and_saveexec_b64 s[2:3], vcc
	s_cbranch_execz .LBB217_98
.LBB217_118:
	v_mov_b32_e32 v0, 0x410
	v_lshl_add_u32 v0, v96, 2, v0
	ds_read_b32 v0, v0 offset:448
	s_waitcnt lgkmcnt(0)
	v_add_f32_e32 v15, v15, v0
	s_or_b64 exec, exec, s[2:3]
	s_and_saveexec_b64 s[2:3], vcc
	s_cbranch_execz .LBB217_99
.LBB217_119:
	v_mov_b32_e32 v0, 0x410
	v_lshl_add_u32 v0, v96, 2, v0
	ds_read_b32 v0, v0 offset:512
	s_waitcnt lgkmcnt(0)
	v_add_f32_e32 v12, v12, v0
	s_or_b64 exec, exec, s[2:3]
	s_and_saveexec_b64 s[2:3], vcc
	s_cbranch_execz .LBB217_100
.LBB217_120:
	v_mov_b32_e32 v0, 0x410
	v_lshl_add_u32 v0, v96, 2, v0
	ds_read_b32 v0, v0 offset:576
	s_waitcnt lgkmcnt(0)
	v_add_f32_e32 v13, v13, v0
	s_or_b64 exec, exec, s[2:3]
	s_and_saveexec_b64 s[2:3], vcc
	s_cbranch_execz .LBB217_101
.LBB217_121:
	v_mov_b32_e32 v0, 0x410
	v_lshl_add_u32 v0, v96, 2, v0
	ds_read_b32 v0, v0 offset:640
	s_waitcnt lgkmcnt(0)
	v_add_f32_e32 v10, v10, v0
	s_or_b64 exec, exec, s[2:3]
	s_and_saveexec_b64 s[2:3], vcc
	s_cbranch_execz .LBB217_102
.LBB217_122:
	v_mov_b32_e32 v0, 0x410
	v_lshl_add_u32 v0, v96, 2, v0
	ds_read_b32 v0, v0 offset:704
	s_waitcnt lgkmcnt(0)
	v_add_f32_e32 v11, v11, v0
	s_or_b64 exec, exec, s[2:3]
	s_and_saveexec_b64 s[2:3], vcc
	s_cbranch_execz .LBB217_103
.LBB217_123:
	v_mov_b32_e32 v0, 0x410
	v_lshl_add_u32 v0, v96, 2, v0
	ds_read_b32 v0, v0 offset:768
	s_waitcnt lgkmcnt(0)
	v_add_f32_e32 v8, v8, v0
	s_or_b64 exec, exec, s[2:3]
	s_and_saveexec_b64 s[2:3], vcc
	s_cbranch_execz .LBB217_104
.LBB217_124:
	v_mov_b32_e32 v0, 0x410
	v_lshl_add_u32 v0, v96, 2, v0
	ds_read_b32 v0, v0 offset:832
	s_waitcnt lgkmcnt(0)
	v_add_f32_e32 v9, v9, v0
	s_or_b64 exec, exec, s[2:3]
	s_and_saveexec_b64 s[2:3], vcc
	s_cbranch_execz .LBB217_105
.LBB217_125:
	v_mov_b32_e32 v0, 0x410
	v_lshl_add_u32 v0, v96, 2, v0
	ds_read_b32 v0, v0 offset:896
	s_waitcnt lgkmcnt(0)
	v_add_f32_e32 v6, v6, v0
	s_or_b64 exec, exec, s[2:3]
	s_and_saveexec_b64 s[2:3], vcc
	s_cbranch_execnz .LBB217_106
	s_branch .LBB217_107
	.section	.rodata,"a",@progbits
	.p2align	6, 0x0
	.amdhsa_kernel _ZN4vllm25paged_attention_v2_kernelIfhLi256ELi16ELi128ELNS_18Fp8KVCacheDataTypeE1ELb1ELi512EEEvPfS2_PT_PKS3_PKT0_S9_ifPKiSB_iPKfiiiSD_SD_iiiii
		.amdhsa_group_segment_fixed_size 1040
		.amdhsa_private_segment_fixed_size 0
		.amdhsa_kernarg_size 400
		.amdhsa_user_sgpr_count 2
		.amdhsa_user_sgpr_dispatch_ptr 0
		.amdhsa_user_sgpr_queue_ptr 0
		.amdhsa_user_sgpr_kernarg_segment_ptr 1
		.amdhsa_user_sgpr_dispatch_id 0
		.amdhsa_user_sgpr_kernarg_preload_length 0
		.amdhsa_user_sgpr_kernarg_preload_offset 0
		.amdhsa_user_sgpr_private_segment_size 0
		.amdhsa_uses_dynamic_stack 0
		.amdhsa_enable_private_segment 0
		.amdhsa_system_sgpr_workgroup_id_x 1
		.amdhsa_system_sgpr_workgroup_id_y 1
		.amdhsa_system_sgpr_workgroup_id_z 1
		.amdhsa_system_sgpr_workgroup_info 0
		.amdhsa_system_vgpr_workitem_id 0
		.amdhsa_next_free_vgpr 108
		.amdhsa_next_free_sgpr 56
		.amdhsa_accum_offset 108
		.amdhsa_reserve_vcc 1
		.amdhsa_float_round_mode_32 0
		.amdhsa_float_round_mode_16_64 0
		.amdhsa_float_denorm_mode_32 3
		.amdhsa_float_denorm_mode_16_64 3
		.amdhsa_dx10_clamp 1
		.amdhsa_ieee_mode 1
		.amdhsa_fp16_overflow 0
		.amdhsa_tg_split 0
		.amdhsa_exception_fp_ieee_invalid_op 0
		.amdhsa_exception_fp_denorm_src 0
		.amdhsa_exception_fp_ieee_div_zero 0
		.amdhsa_exception_fp_ieee_overflow 0
		.amdhsa_exception_fp_ieee_underflow 0
		.amdhsa_exception_fp_ieee_inexact 0
		.amdhsa_exception_int_div_zero 0
	.end_amdhsa_kernel
	.section	.text._ZN4vllm25paged_attention_v2_kernelIfhLi256ELi16ELi128ELNS_18Fp8KVCacheDataTypeE1ELb1ELi512EEEvPfS2_PT_PKS3_PKT0_S9_ifPKiSB_iPKfiiiSD_SD_iiiii,"axG",@progbits,_ZN4vllm25paged_attention_v2_kernelIfhLi256ELi16ELi128ELNS_18Fp8KVCacheDataTypeE1ELb1ELi512EEEvPfS2_PT_PKS3_PKT0_S9_ifPKiSB_iPKfiiiSD_SD_iiiii,comdat
.Lfunc_end217:
	.size	_ZN4vllm25paged_attention_v2_kernelIfhLi256ELi16ELi128ELNS_18Fp8KVCacheDataTypeE1ELb1ELi512EEEvPfS2_PT_PKS3_PKT0_S9_ifPKiSB_iPKfiiiSD_SD_iiiii, .Lfunc_end217-_ZN4vllm25paged_attention_v2_kernelIfhLi256ELi16ELi128ELNS_18Fp8KVCacheDataTypeE1ELb1ELi512EEEvPfS2_PT_PKS3_PKT0_S9_ifPKiSB_iPKfiiiSD_SD_iiiii
                                        ; -- End function
	.section	.AMDGPU.csdata,"",@progbits
; Kernel info:
; codeLenInByte = 9828
; NumSgprs: 62
; NumVgprs: 108
; NumAgprs: 0
; TotalNumVgprs: 108
; ScratchSize: 0
; MemoryBound: 0
; FloatMode: 240
; IeeeMode: 1
; LDSByteSize: 1040 bytes/workgroup (compile time only)
; SGPRBlocks: 7
; VGPRBlocks: 13
; NumSGPRsForWavesPerEU: 62
; NumVGPRsForWavesPerEU: 108
; AccumOffset: 108
; Occupancy: 4
; WaveLimiterHint : 1
; COMPUTE_PGM_RSRC2:SCRATCH_EN: 0
; COMPUTE_PGM_RSRC2:USER_SGPR: 2
; COMPUTE_PGM_RSRC2:TRAP_HANDLER: 0
; COMPUTE_PGM_RSRC2:TGID_X_EN: 1
; COMPUTE_PGM_RSRC2:TGID_Y_EN: 1
; COMPUTE_PGM_RSRC2:TGID_Z_EN: 1
; COMPUTE_PGM_RSRC2:TIDIG_COMP_CNT: 0
; COMPUTE_PGM_RSRC3_GFX90A:ACCUM_OFFSET: 26
; COMPUTE_PGM_RSRC3_GFX90A:TG_SPLIT: 0
	.section	.text._ZN4vllm25paged_attention_v2_kernelIfhLi32ELi16ELi128ELNS_18Fp8KVCacheDataTypeE1ELb0ELi512EEEvPfS2_PT_PKS3_PKT0_S9_ifPKiSB_iPKfiiiSD_SD_iiiii,"axG",@progbits,_ZN4vllm25paged_attention_v2_kernelIfhLi32ELi16ELi128ELNS_18Fp8KVCacheDataTypeE1ELb0ELi512EEEvPfS2_PT_PKS3_PKT0_S9_ifPKiSB_iPKfiiiSD_SD_iiiii,comdat
	.protected	_ZN4vllm25paged_attention_v2_kernelIfhLi32ELi16ELi128ELNS_18Fp8KVCacheDataTypeE1ELb0ELi512EEEvPfS2_PT_PKS3_PKT0_S9_ifPKiSB_iPKfiiiSD_SD_iiiii ; -- Begin function _ZN4vllm25paged_attention_v2_kernelIfhLi32ELi16ELi128ELNS_18Fp8KVCacheDataTypeE1ELb0ELi512EEEvPfS2_PT_PKS3_PKT0_S9_ifPKiSB_iPKfiiiSD_SD_iiiii
	.globl	_ZN4vllm25paged_attention_v2_kernelIfhLi32ELi16ELi128ELNS_18Fp8KVCacheDataTypeE1ELb0ELi512EEEvPfS2_PT_PKS3_PKT0_S9_ifPKiSB_iPKfiiiSD_SD_iiiii
	.p2align	8
	.type	_ZN4vllm25paged_attention_v2_kernelIfhLi32ELi16ELi128ELNS_18Fp8KVCacheDataTypeE1ELb0ELi512EEEvPfS2_PT_PKS3_PKT0_S9_ifPKiSB_iPKfiiiSD_SD_iiiii,@function
_ZN4vllm25paged_attention_v2_kernelIfhLi32ELi16ELi128ELNS_18Fp8KVCacheDataTypeE1ELb0ELi512EEEvPfS2_PT_PKS3_PKT0_S9_ifPKiSB_iPKfiiiSD_SD_iiiii: ; @_ZN4vllm25paged_attention_v2_kernelIfhLi32ELi16ELi128ELNS_18Fp8KVCacheDataTypeE1ELb0ELi512EEEvPfS2_PT_PKS3_PKT0_S9_ifPKiSB_iPKfiiiSD_SD_iiiii
; %bb.0:
	s_load_dwordx2 s[6:7], s[0:1], 0x40
	s_mov_b32 s28, s3
	s_ashr_i32 s29, s3, 31
	s_lshl_b64 s[8:9], s[28:29], 2
	s_waitcnt lgkmcnt(0)
	s_add_u32 s6, s6, s8
	s_addc_u32 s7, s7, s9
	s_load_dword s29, s[6:7], 0x0
	s_lshl_b32 s40, s4, 9
	s_waitcnt lgkmcnt(0)
	s_cmp_ge_i32 s40, s29
	s_cbranch_scc1 .LBB218_58
; %bb.1:
	s_load_dword s5, s[0:1], 0x90
	s_load_dwordx2 s[10:11], s[0:1], 0x30
	s_waitcnt lgkmcnt(0)
	s_abs_i32 s7, s5
	s_abs_i32 s3, s10
	v_cvt_f32_u32_e32 v1, s3
	s_sub_i32 s8, 0, s3
	s_xor_b32 s6, s5, s10
	s_ashr_i32 s6, s6, 31
	v_rcp_iflag_f32_e32 v1, v1
	s_nop 0
	v_mul_f32_e32 v1, 0x4f7ffffe, v1
	v_cvt_u32_f32_e32 v1, v1
	s_nop 0
	v_readfirstlane_b32 s9, v1
	s_mul_i32 s8, s8, s9
	s_mul_hi_u32 s8, s9, s8
	s_add_i32 s9, s9, s8
	s_mul_hi_u32 s8, s7, s9
	s_mul_i32 s9, s8, s3
	s_sub_i32 s7, s7, s9
	s_add_i32 s10, s8, 1
	s_sub_i32 s9, s7, s3
	s_cmp_ge_u32 s7, s3
	s_cselect_b32 s8, s10, s8
	s_cselect_b32 s7, s9, s7
	s_add_i32 s9, s8, 1
	s_cmp_ge_u32 s7, s3
	s_cselect_b32 s3, s9, s8
	s_xor_b32 s3, s3, s6
	s_sub_i32 s12, s3, s6
	s_abs_i32 s8, s12
	v_cvt_f32_u32_e32 v1, s8
	s_load_dwordx2 s[6:7], s[0:1], 0x50
	s_sub_i32 s10, 0, s8
	s_abs_i32 s9, s2
	v_rcp_iflag_f32_e32 v1, v1
	s_mov_b32 s3, 0
	v_mul_f32_e32 v1, 0x4f7ffffe, v1
	v_cvt_u32_f32_e32 v1, v1
	s_nop 0
	v_readfirstlane_b32 s13, v1
	s_mul_i32 s10, s10, s13
	s_mul_hi_u32 s10, s13, s10
	s_add_i32 s13, s13, s10
	s_waitcnt lgkmcnt(0)
	s_cmp_eq_u64 s[6:7], 0
	s_mul_hi_u32 s10, s9, s13
	s_cbranch_scc1 .LBB218_3
; %bb.2:
	s_ashr_i32 s3, s2, 31
	s_lshl_b64 s[14:15], s[2:3], 2
	s_add_u32 s6, s6, s14
	s_addc_u32 s7, s7, s15
	s_load_dword s3, s[6:7], 0x0
.LBB218_3:
	s_ashr_i32 s17, s12, 31
	s_load_dwordx4 s[12:15], s[0:1], 0x58
	v_lshrrev_b32_e32 v24, 2, v0
	s_ashr_i32 s16, s2, 31
	v_and_b32_e32 v10, 3, v0
	s_lshl_b32 s24, s2, 5
	v_cmp_gt_u32_e32 vcc, 32, v0
	v_lshlrev_b32_e32 v18, 2, v0
	v_lshlrev_b32_e32 v1, 2, v24
	s_and_saveexec_b64 s[6:7], vcc
	s_cbranch_execz .LBB218_5
; %bb.4:
	s_load_dwordx2 s[18:19], s[0:1], 0x18
	s_waitcnt lgkmcnt(0)
	s_mul_i32 s20, s28, s12
	s_ashr_i32 s21, s20, 31
	s_lshl_b64 s[20:21], s[20:21], 2
	v_lshl_add_u32 v3, v10, 5, v1
	s_add_u32 s12, s18, s20
	s_addc_u32 s15, s19, s21
	s_ashr_i32 s25, s24, 31
	s_lshl_b64 s[18:19], s[24:25], 2
	s_add_u32 s18, s12, s18
	s_addc_u32 s19, s15, s19
	global_load_dword v2, v18, s[18:19]
	s_waitcnt vmcnt(0)
	ds_write_b32 v3, v2
.LBB218_5:
	s_or_b64 exec, exec, s[6:7]
	s_add_i32 s6, s29, 15
	s_ashr_i32 s7, s6, 31
	s_lshr_b32 s7, s7, 28
	s_add_i32 s6, s6, s7
	s_waitcnt lgkmcnt(0)
	s_lshl_b32 s12, s4, 5
	s_mul_i32 s7, s10, s8
	s_ashr_i32 s41, s6, 4
	s_add_i32 s6, s12, 32
	s_sub_i32 s7, s9, s7
	s_min_i32 s33, s6, s41
	s_xor_b32 s6, s16, s17
	s_add_i32 s9, s10, 1
	s_sub_i32 s15, s7, s8
	s_cmp_ge_u32 s7, s8
	s_cselect_b32 s9, s9, s10
	s_cselect_b32 s7, s15, s7
	s_add_i32 s10, s9, 1
	s_cmp_ge_u32 s7, s8
	s_load_dwordx2 s[30:31], s[0:1], 0x38
	s_load_dword s8, s[0:1], 0x48
	v_lshrrev_b32_e32 v19, 6, v0
	s_cselect_b32 s7, s10, s9
	s_xor_b32 s7, s7, s6
	v_or_b32_e32 v12, s12, v19
	s_waitcnt lgkmcnt(0)
	s_mul_i32 s34, s28, s8
	s_sub_i32 s42, s7, s6
	s_ashr_i32 s35, s34, 31
	v_cmp_gt_i32_e64 s[6:7], s33, v12
	v_cmp_le_i32_e32 vcc, s33, v12
	v_mbcnt_lo_u32_b32 v11, -1, 0
	s_barrier
	s_waitcnt lgkmcnt(0)
                                        ; implicit-def: $sgpr10
                                        ; implicit-def: $vgpr20
                                        ; implicit-def: $vgpr21
	s_and_saveexec_b64 s[8:9], vcc
	s_xor_b64 s[8:9], exec, s[8:9]
; %bb.6:
	v_mbcnt_hi_u32_b32 v20, -1, v11
	v_and_b32_e32 v2, 64, v20
	v_add_u32_e32 v21, 64, v2
	s_mov_b32 s10, 0xff7fffff
                                        ; implicit-def: $vgpr11
; %bb.7:
	s_or_saveexec_b64 s[38:39], s[8:9]
	s_load_dwordx4 s[20:23], s[0:1], 0x0
	s_load_dwordx2 s[26:27], s[0:1], 0x10
	s_load_dword s25, s[0:1], 0x98
	s_load_dwordx2 s[36:37], s[0:1], 0x28
	s_load_dwordx4 s[16:19], s[0:1], 0x68
	v_mov_b32_e32 v22, s10
	s_mul_i32 s42, s42, s14
	v_ashrrev_i32_e32 v13, 31, v12
	s_xor_b64 exec, exec, s[38:39]
	s_cbranch_execz .LBB218_13
; %bb.8:
	s_load_dwordx2 s[0:1], s[0:1], 0x20
	v_mbcnt_hi_u32_b32 v20, -1, v11
	v_and_b32_e32 v11, 64, v20
	s_ashr_i32 s8, s42, 31
	v_add_u32_e32 v21, 64, v11
	v_xor_b32_e32 v11, 2, v20
	v_bfe_u32 v22, v0, 2, 4
	s_waitcnt lgkmcnt(0)
	s_add_u32 s0, s0, s42
	v_lshlrev_b32_e32 v6, 5, v10
	v_cmp_lt_i32_e32 vcc, v11, v21
	v_lshlrev_b32_e32 v16, 4, v22
	s_addc_u32 s1, s1, s8
	v_mov_b32_e32 v17, 0
	ds_read_b128 v[2:5], v6
	ds_read_b128 v[6:9], v6 offset:16
	v_cndmask_b32_e32 v11, v20, v11, vcc
	s_load_dword s43, s[16:17], 0x0
	v_lshl_add_u64 v[14:15], s[0:1], 0, v[16:17]
	v_lshlrev_b32_e32 v23, 2, v11
	v_xor_b32_e32 v11, 1, v20
	s_sub_i32 s44, 1, s29
	v_lshlrev_b32_e32 v16, 4, v19
	s_lshl_b64 s[8:9], s[34:35], 2
	v_cmp_lt_i32_e32 vcc, v11, v21
	v_add3_u32 v26, s40, v16, v22
	v_lshlrev_b32_e32 v16, 2, v22
	s_add_u32 s8, s30, s8
	v_cndmask_b32_e32 v11, v20, v11, vcc
	v_lshl_or_b32 v16, v19, 6, v16
	s_addc_u32 s9, s31, s9
	s_mov_b32 s10, s13
	v_lshlrev_b32_e32 v25, 2, v11
	v_cmp_eq_u32_e32 vcc, 0, v10
	v_cmp_neq_f32_e64 s[0:1], s3, 0
	v_mov_b32_e32 v11, v17
	v_add_u32_e32 v27, 0x90, v16
	v_lshl_add_u64 v[16:17], v[12:13], 2, s[8:9]
	s_mov_b64 s[14:15], 0
	v_mov_b32_e32 v22, 0xff7fffff
	v_mov_b32_e32 v28, v12
	s_branch .LBB218_10
.LBB218_9:                              ;   in Loop: Header=BB218_10 Depth=1
	s_or_b64 exec, exec, s[16:17]
	v_add_u32_e32 v28, 2, v28
	v_cmp_le_i32_e64 s[8:9], s33, v28
	v_add_u32_e32 v26, 32, v26
	v_add_u32_e32 v27, 0x80, v27
	s_or_b64 s[14:15], s[8:9], s[14:15]
	v_lshl_add_u64 v[16:17], v[16:17], 0, 8
	s_andn2_b64 exec, exec, s[14:15]
	s_cbranch_execz .LBB218_12
.LBB218_10:                             ; =>This Inner Loop Header: Depth=1
	global_load_dword v29, v[16:17], off
	s_waitcnt vmcnt(0) lgkmcnt(0)
	v_mad_i64_i32 v[30:31], s[8:9], v29, s10, v[14:15]
	v_lshl_add_u64 v[30:31], v[30:31], 0, v[10:11]
	global_load_ubyte v29, v[30:31], off
	global_load_ubyte v32, v[30:31], off offset:4
	global_load_ubyte v33, v[30:31], off offset:8
	;; [unrolled: 1-line block ×7, first 2 shown]
	s_waitcnt vmcnt(7)
	v_cvt_f32_fp8_sdwa v29, v29 src0_sel:BYTE_0
	s_waitcnt vmcnt(6)
	v_cvt_f32_fp8_sdwa v30, v32 src0_sel:BYTE_0
	;; [unrolled: 2-line block ×5, first 2 shown]
	s_waitcnt lgkmcnt(0)
	v_mul_f32_e32 v30, s43, v30
	s_waitcnt vmcnt(2)
	v_cvt_f32_fp8_sdwa v34, v36 src0_sel:BYTE_0
	v_mul_f32_e32 v29, s43, v29
	v_mul_f32_e32 v30, v3, v30
	s_waitcnt vmcnt(1)
	v_cvt_f32_fp8_sdwa v35, v37 src0_sel:BYTE_0
	v_mul_f32_e32 v31, s43, v31
	v_fmac_f32_e32 v30, v2, v29
	s_waitcnt vmcnt(0)
	v_cvt_f32_fp8_sdwa v36, v38 src0_sel:BYTE_0
	v_mul_f32_e32 v32, s43, v32
	v_fmac_f32_e32 v30, v4, v31
	v_mul_f32_e32 v33, s43, v33
	v_fmac_f32_e32 v30, v5, v32
	;; [unrolled: 2-line block ×5, first 2 shown]
	v_fmac_f32_e32 v30, v9, v36
	ds_bpermute_b32 v29, v23, v30
	s_waitcnt lgkmcnt(0)
	v_add_f32_e32 v29, v30, v29
	ds_bpermute_b32 v30, v25, v29
	s_and_saveexec_b64 s[16:17], vcc
	s_cbranch_execz .LBB218_9
; %bb.11:                               ;   in Loop: Header=BB218_10 Depth=1
	v_add_u32_e32 v31, s44, v26
	v_cvt_f32_i32_e32 v31, v31
	s_waitcnt lgkmcnt(0)
	v_add_f32_e32 v29, v29, v30
	v_cmp_gt_i32_e64 s[8:9], s29, v26
	v_max_f32_e32 v30, v22, v22
	v_mul_f32_e32 v31, s3, v31
	v_cndmask_b32_e64 v31, 0, v31, s[0:1]
	v_fmac_f32_e32 v31, s11, v29
	v_cndmask_b32_e64 v29, 0, v31, s[8:9]
	ds_write_b32 v27, v29
	v_max_f32_e32 v29, v30, v31
	v_cndmask_b32_e64 v22, v22, v29, s[8:9]
	s_branch .LBB218_9
.LBB218_12:
	s_or_b64 exec, exec, s[14:15]
.LBB218_13:
	s_or_b64 exec, exec, s[38:39]
	v_xor_b32_e32 v2, 32, v20
	v_cmp_lt_i32_e32 vcc, v2, v21
	v_xor_b32_e32 v5, 16, v20
	v_max_f32_e32 v4, v22, v22
	v_cndmask_b32_e32 v2, v20, v2, vcc
	v_lshlrev_b32_e32 v2, 2, v2
	ds_bpermute_b32 v3, v2, v22
	v_cmp_lt_i32_e32 vcc, v5, v21
	v_xor_b32_e32 v6, 8, v20
	v_and_b32_e32 v11, 63, v0
	s_waitcnt lgkmcnt(0)
	v_max_f32_e32 v3, v3, v3
	v_max_f32_e32 v4, v4, v3
	v_cndmask_b32_e32 v3, v20, v5, vcc
	v_lshlrev_b32_e32 v3, 2, v3
	ds_bpermute_b32 v5, v3, v4
	v_cmp_lt_i32_e32 vcc, v6, v21
	s_waitcnt lgkmcnt(0)
	v_max_f32_e32 v5, v5, v5
	v_max_f32_e32 v4, v4, v5
	v_cndmask_b32_e32 v5, v20, v6, vcc
	v_lshlrev_b32_e32 v7, 2, v5
	ds_bpermute_b32 v5, v7, v4
	v_xor_b32_e32 v6, 4, v20
	v_cmp_lt_i32_e32 vcc, v6, v21
	s_waitcnt lgkmcnt(0)
	v_max_f32_e32 v5, v5, v5
	v_max_f32_e32 v4, v4, v5
	v_cndmask_b32_e32 v5, v20, v6, vcc
	v_lshlrev_b32_e32 v8, 2, v5
	ds_bpermute_b32 v6, v8, v4
	v_cmp_eq_u32_e32 vcc, 0, v11
	v_lshlrev_b32_e32 v5, 2, v19
	s_and_saveexec_b64 s[0:1], vcc
	s_cbranch_execz .LBB218_15
; %bb.14:
	s_waitcnt lgkmcnt(0)
	v_max_f32_e32 v6, v6, v6
	v_max_f32_e32 v4, v4, v4
	v_max_f32_e32 v4, v4, v6
	ds_write_b32 v5, v4 offset:128
.LBB218_15:
	s_or_b64 exec, exec, s[0:1]
	v_cmp_gt_u32_e64 s[0:1], 2, v11
	v_mov_b32_e32 v4, 0xff7fffff
	s_waitcnt lgkmcnt(0)
	v_lshlrev_b32_e32 v6, 2, v11
	s_barrier
	s_and_saveexec_b64 s[8:9], s[0:1]
	s_cbranch_execz .LBB218_17
; %bb.16:
	ds_read_b32 v4, v6 offset:128
.LBB218_17:
	s_or_b64 exec, exec, s[8:9]
	v_xor_b32_e32 v9, 1, v20
	v_cmp_lt_i32_e64 s[8:9], v9, v21
	s_sub_i32 s3, s33, s12
	s_lshl_b32 s3, s3, 4
	v_cndmask_b32_e64 v9, v20, v9, s[8:9]
	v_lshlrev_b32_e32 v25, 2, v9
	s_waitcnt lgkmcnt(0)
	ds_bpermute_b32 v9, v25, v4
	v_max_f32_e32 v4, v4, v4
	s_add_i32 s3, s3, s40
	s_min_i32 s38, s3, s29
	s_sub_i32 s3, s38, s40
	s_waitcnt lgkmcnt(0)
	v_max_f32_e32 v9, v9, v9
	v_max_f32_e32 v4, v4, v9
	v_lshlrev_b32_e32 v9, 2, v20
	v_and_b32_e32 v9, 0xffffff00, v9
	ds_bpermute_b32 v4, v9, v4
	v_cmp_gt_i32_e64 s[8:9], s3, v0
	v_mov_b32_e32 v14, 0
	s_and_saveexec_b64 s[14:15], s[8:9]
	s_cbranch_execz .LBB218_21
; %bb.18:
	v_mov_b32_e32 v14, 0x90
	v_lshl_add_u32 v15, v0, 2, v14
	s_mov_b64 s[16:17], 0
	v_mov_b32_e32 v14, 0
	v_mov_b32_e32 v16, v0
.LBB218_19:                             ; =>This Inner Loop Header: Depth=1
	ds_read_b32 v17, v15
	v_add_u32_e32 v16, 0x80, v16
	v_cmp_le_i32_e64 s[10:11], s3, v16
	s_or_b64 s[16:17], s[10:11], s[16:17]
	s_waitcnt lgkmcnt(0)
	v_sub_f32_e32 v17, v17, v4
	v_mul_f32_e32 v17, 0x3fb8aa3b, v17
	v_exp_f32_e32 v17, v17
	ds_write_b32 v15, v17
	v_add_f32_e32 v14, v14, v17
	v_add_u32_e32 v15, 0x200, v15
	s_andn2_b64 exec, exec, s[16:17]
	s_cbranch_execnz .LBB218_19
; %bb.20:
	s_or_b64 exec, exec, s[16:17]
.LBB218_21:
	s_or_b64 exec, exec, s[14:15]
	ds_bpermute_b32 v2, v2, v14
	s_waitcnt lgkmcnt(0)
	v_add_f32_e32 v2, v14, v2
	ds_bpermute_b32 v3, v3, v2
	s_waitcnt lgkmcnt(0)
	v_add_f32_e32 v2, v2, v3
	ds_bpermute_b32 v3, v7, v2
	v_xor_b32_e32 v7, 2, v20
	v_cmp_lt_i32_e64 s[10:11], v7, v21
	s_waitcnt lgkmcnt(0)
	v_add_f32_e32 v2, v2, v3
	ds_bpermute_b32 v3, v8, v2
	v_cndmask_b32_e64 v7, v20, v7, s[10:11]
	v_lshlrev_b32_e32 v26, 2, v7
	s_waitcnt lgkmcnt(0)
	v_add_f32_e32 v2, v2, v3
	ds_bpermute_b32 v3, v26, v2
	s_waitcnt lgkmcnt(0)
	v_add_f32_e32 v2, v2, v3
	ds_bpermute_b32 v3, v25, v2
	s_waitcnt lgkmcnt(0)
	v_add_f32_e32 v2, v2, v3
	s_and_saveexec_b64 s[10:11], vcc
	s_cbranch_execz .LBB218_23
; %bb.22:
	ds_write_b32 v5, v2 offset:136
.LBB218_23:
	s_or_b64 exec, exec, s[10:11]
	s_waitcnt lgkmcnt(0)
	s_barrier
	s_and_saveexec_b64 s[10:11], s[0:1]
	s_cbranch_execz .LBB218_25
; %bb.24:
	ds_read_b32 v2, v6 offset:136
.LBB218_25:
	s_or_b64 exec, exec, s[10:11]
	s_waitcnt lgkmcnt(0)
	ds_bpermute_b32 v3, v25, v2
	s_waitcnt lgkmcnt(0)
	v_add_f32_e32 v2, v2, v3
	ds_bpermute_b32 v5, v9, v2
	s_and_saveexec_b64 s[0:1], s[8:9]
	s_cbranch_execz .LBB218_38
; %bb.26:
	s_waitcnt lgkmcnt(0)
	v_add_f32_e32 v2, 0x358637bd, v5
	v_div_scale_f32 v3, s[8:9], v2, v2, 1.0
	v_rcp_f32_e32 v6, v3
	v_div_scale_f32 v7, vcc, 1.0, v2, 1.0
	s_movk_i32 s8, 0x7f
	v_fma_f32 v8, -v3, v6, 1.0
	v_fmac_f32_e32 v6, v8, v6
	v_mul_f32_e32 v8, v7, v6
	v_fma_f32 v9, -v3, v8, v7
	v_fmac_f32_e32 v8, v9, v6
	v_fma_f32 v3, -v3, v8, v7
	v_div_fmas_f32 v3, v3, v6, v8
	v_div_fixup_f32 v2, v3, v2, 1.0
	v_xad_u32 v3, v0, -1, s38
	v_subrev_u32_e32 v6, s40, v3
	v_cmp_lt_u32_e32 vcc, s8, v6
	s_mov_b64 s[10:11], -1
	v_mov_b32_e32 v3, v0
	s_and_saveexec_b64 s[8:9], vcc
	s_cbranch_execz .LBB218_35
; %bb.27:
	v_lshrrev_b32_e32 v6, 7, v6
	v_add_u32_e32 v8, -1, v6
	v_lshrrev_b32_e32 v7, 1, v8
	v_mov_b32_e32 v3, v2
	v_add_u32_e32 v7, 1, v7
	v_cmp_lt_u32_e32 vcc, 13, v8
	v_mov_b32_e32 v14, 0
	s_and_saveexec_b64 s[10:11], vcc
	s_cbranch_execz .LBB218_31
; %bb.28:
	v_mov_b32_e32 v9, 0x90
	v_and_b32_e32 v8, -8, v7
	v_lshl_add_u32 v9, v0, 2, v9
	s_mov_b32 s16, 0
	s_mov_b64 s[14:15], 0
.LBB218_29:                             ; =>This Inner Loop Header: Depth=1
	ds_read2st64_b32 v[14:15], v9 offset1:2
	ds_read2st64_b32 v[16:17], v9 offset0:4 offset1:6
	ds_read2st64_b32 v[20:21], v9 offset0:8 offset1:10
	;; [unrolled: 1-line block ×3, first 2 shown]
	v_add_u32_e32 v8, -8, v8
	s_waitcnt lgkmcnt(3)
	v_pk_mul_f32 v[14:15], v[2:3], v[14:15]
	s_waitcnt lgkmcnt(2)
	v_pk_mul_f32 v[16:17], v[2:3], v[16:17]
	ds_write2st64_b32 v9, v14, v15 offset1:2
	ds_write2st64_b32 v9, v16, v17 offset0:4 offset1:6
	ds_read2st64_b32 v[16:17], v9 offset0:16 offset1:18
	s_waitcnt lgkmcnt(4)
	v_pk_mul_f32 v[14:15], v[2:3], v[20:21]
	ds_write2st64_b32 v9, v14, v15 offset0:8 offset1:10
	s_waitcnt lgkmcnt(4)
	v_pk_mul_f32 v[14:15], v[2:3], v[22:23]
	ds_write2st64_b32 v9, v14, v15 offset0:12 offset1:14
	ds_read2st64_b32 v[14:15], v9 offset0:20 offset1:22
	s_waitcnt lgkmcnt(3)
	v_pk_mul_f32 v[16:17], v[2:3], v[16:17]
	ds_read2st64_b32 v[20:21], v9 offset0:24 offset1:26
	ds_write2st64_b32 v9, v16, v17 offset0:16 offset1:18
	ds_read2st64_b32 v[16:17], v9 offset0:28 offset1:30
	s_waitcnt lgkmcnt(3)
	v_pk_mul_f32 v[14:15], v[2:3], v[14:15]
	ds_write2st64_b32 v9, v14, v15 offset0:20 offset1:22
	s_waitcnt lgkmcnt(3)
	v_pk_mul_f32 v[14:15], v[2:3], v[20:21]
	ds_write2st64_b32 v9, v14, v15 offset0:24 offset1:26
	s_waitcnt lgkmcnt(2)
	v_pk_mul_f32 v[14:15], v[2:3], v[16:17]
	s_add_i32 s16, s16, 16
	v_cmp_eq_u32_e32 vcc, 0, v8
	ds_write2st64_b32 v9, v14, v15 offset0:28 offset1:30
	v_add_u32_e32 v9, 0x2000, v9
	s_or_b64 s[14:15], vcc, s[14:15]
	v_mov_b32_e32 v14, s16
	s_andn2_b64 exec, exec, s[14:15]
	s_cbranch_execnz .LBB218_29
; %bb.30:
	s_or_b64 exec, exec, s[14:15]
.LBB218_31:
	s_or_b64 exec, exec, s[10:11]
	v_and_b32_e32 v7, 7, v7
	v_cmp_ne_u32_e32 vcc, 0, v7
	s_and_saveexec_b64 s[10:11], vcc
	s_cbranch_execz .LBB218_34
; %bb.32:
	v_lshlrev_b32_e32 v8, 9, v14
	s_movk_i32 s14, 0x90
	v_add3_u32 v8, v8, v18, s14
	s_mov_b64 s[14:15], 0
.LBB218_33:                             ; =>This Inner Loop Header: Depth=1
	ds_read2st64_b32 v[14:15], v8 offset1:2
	v_add_u32_e32 v7, -1, v7
	v_cmp_eq_u32_e32 vcc, 0, v7
	s_or_b64 s[14:15], vcc, s[14:15]
	s_waitcnt lgkmcnt(0)
	v_pk_mul_f32 v[14:15], v[2:3], v[14:15]
	ds_write2st64_b32 v8, v14, v15 offset1:2
	v_add_u32_e32 v8, 0x400, v8
	s_andn2_b64 exec, exec, s[14:15]
	s_cbranch_execnz .LBB218_33
.LBB218_34:
	s_or_b64 exec, exec, s[10:11]
	v_add_u32_e32 v6, 1, v6
	v_and_b32_e32 v7, 0x3fffffe, v6
	v_cmp_ne_u32_e32 vcc, v6, v7
	v_lshl_add_u32 v3, v7, 7, v0
	s_orn2_b64 s[10:11], vcc, exec
.LBB218_35:
	s_or_b64 exec, exec, s[8:9]
	s_and_b64 exec, exec, s[10:11]
	s_cbranch_execz .LBB218_38
; %bb.36:
	v_mov_b32_e32 v6, 0x90
	v_lshl_add_u32 v6, v3, 2, v6
	s_mov_b64 s[8:9], 0
.LBB218_37:                             ; =>This Inner Loop Header: Depth=1
	ds_read_b32 v7, v6
	v_add_u32_e32 v3, 0x80, v3
	v_cmp_le_i32_e32 vcc, s3, v3
	s_or_b64 s[8:9], vcc, s[8:9]
	s_waitcnt lgkmcnt(0)
	v_mul_f32_e32 v7, v2, v7
	ds_write_b32 v6, v7
	v_add_u32_e32 v6, 0x200, v6
	s_andn2_b64 exec, exec, s[8:9]
	s_cbranch_execnz .LBB218_37
.LBB218_38:
	s_or_b64 exec, exec, s[0:1]
	s_mul_i32 s0, s25, s28
	v_cmp_eq_u32_e32 vcc, 0, v0
	s_mul_i32 s8, s0, s5
	s_waitcnt lgkmcnt(0)
	s_barrier
	s_and_saveexec_b64 s[0:1], vcc
	s_cbranch_execz .LBB218_40
; %bb.39:
	s_ashr_i32 s9, s8, 31
	s_lshl_b64 s[10:11], s[8:9], 2
	s_add_u32 s5, s22, s10
	s_mul_i32 s2, s25, s2
	s_addc_u32 s9, s23, s11
	s_ashr_i32 s3, s2, 31
	s_lshl_b64 s[2:3], s[2:3], 2
	s_add_u32 s14, s5, s2
	s_addc_u32 s9, s9, s3
	s_ashr_i32 s5, s4, 31
	s_lshl_b64 s[4:5], s[4:5], 2
	s_add_u32 s14, s14, s4
	s_addc_u32 s15, s9, s5
	s_add_u32 s9, s20, s10
	s_addc_u32 s10, s21, s11
	;; [unrolled: 2-line block ×3, first 2 shown]
	s_add_u32 s2, s2, s4
	v_mov_b32_e32 v2, 0
	s_addc_u32 s3, s3, s5
	global_store_dword v2, v4, s[14:15]
	global_store_dword v2, v5, s[2:3]
.LBB218_40:
	s_or_b64 exec, exec, s[0:1]
	v_mov_b32_e32 v7, 0
	v_mov_b32_e32 v6, 0
	s_and_saveexec_b64 s[2:3], s[6:7]
	s_cbranch_execz .LBB218_48
; %bb.41:
	s_ashr_i32 s1, s42, 31
	s_load_dword s4, s[18:19], 0x0
	s_add_u32 s0, s36, s42
	s_addc_u32 s1, s37, s1
	v_and_b32_e32 v6, 0xfc, v18
	v_mov_b32_e32 v7, 0
	v_and_b32_e32 v2, 12, v18
	s_add_i32 s41, s41, -1
	v_lshl_add_u64 v[8:9], s[0:1], 0, v[6:7]
	v_lshl_add_u32 v3, v19, 4, s40
	s_lshl_b64 s[0:1], s[34:35], 2
	v_add3_u32 v27, v3, v2, 3
	v_lshlrev_b32_e32 v2, 4, v10
	s_add_u32 s0, s30, s0
	v_lshl_or_b32 v2, v19, 6, v2
	s_addc_u32 s1, s31, s1
	s_mov_b32 s9, s13
	s_waitcnt lgkmcnt(0)
	s_mov_b32 s5, s4
	v_add_u32_e32 v28, 0x90, v2
	v_lshl_add_u64 v[14:15], v[12:13], 2, s[0:1]
	s_mov_b64 s[6:7], 0
	v_mov_b32_e32 v6, v7
	s_branch .LBB218_43
.LBB218_42:                             ;   in Loop: Header=BB218_43 Depth=1
	s_or_b64 exec, exec, s[0:1]
	s_waitcnt lgkmcnt(0)
	v_mul_f32_e32 v13, v3, v19
	v_mul_f32_e32 v3, v3, v23
	v_fmac_f32_e32 v13, v2, v18
	v_fmac_f32_e32 v3, v2, v22
	;; [unrolled: 1-line block ×4, first 2 shown]
	v_add_u32_e32 v12, 2, v12
	v_fmac_f32_e32 v13, v5, v17
	v_fmac_f32_e32 v3, v5, v21
	v_cmp_le_i32_e32 vcc, s33, v12
	v_add_f32_e32 v6, v6, v13
	v_add_f32_e32 v7, v7, v3
	v_add_u32_e32 v27, 32, v27
	v_add_u32_e32 v28, 0x80, v28
	s_or_b64 s[6:7], vcc, s[6:7]
	v_lshl_add_u64 v[14:15], v[14:15], 0, 8
	s_andn2_b64 exec, exec, s[6:7]
	s_cbranch_execz .LBB218_47
.LBB218_43:                             ; =>This Inner Loop Header: Depth=1
	global_load_dword v2, v[14:15], off
	v_add_u32_e32 v13, -3, v27
	v_cmp_eq_u32_e32 vcc, s41, v12
	v_add_u32_e32 v29, -2, v27
	v_add_u32_e32 v30, -1, v27
	s_waitcnt vmcnt(0)
	v_mad_i64_i32 v[20:21], s[0:1], v2, s9, v[8:9]
	global_load_dword v16, v[20:21], off
	ds_read_b128 v[2:5], v28
	s_waitcnt vmcnt(0)
	v_and_b32_e32 v17, 0xffff, v16
	v_lshrrev_b32_e32 v18, 16, v16
	v_cvt_pk_f32_fp8_e32 v[16:17], v17
	v_cvt_pk_f32_fp8_e32 v[22:23], v18
	v_pk_mul_f32 v[18:19], s[4:5], v[16:17]
	v_pk_mul_f32 v[16:17], s[4:5], v[22:23]
	s_and_saveexec_b64 s[10:11], vcc
; %bb.44:                               ;   in Loop: Header=BB218_43 Depth=1
	v_cmp_gt_i32_e64 s[0:1], s29, v13
	s_nop 1
	v_cndmask_b32_e64 v18, 0, v18, s[0:1]
	v_cmp_gt_i32_e64 s[0:1], s29, v29
	s_nop 1
	v_cndmask_b32_e64 v19, 0, v19, s[0:1]
	;; [unrolled: 3-line block ×4, first 2 shown]
; %bb.45:                               ;   in Loop: Header=BB218_43 Depth=1
	s_or_b64 exec, exec, s[10:11]
	global_load_dword v20, v[20:21], off offset:256
	s_waitcnt vmcnt(0)
	v_and_b32_e32 v21, 0xffff, v20
	v_lshrrev_b32_e32 v22, 16, v20
	v_cvt_pk_f32_fp8_e32 v[20:21], v21
	v_cvt_pk_f32_fp8_e32 v[32:33], v22
	v_pk_mul_f32 v[22:23], s[4:5], v[20:21]
	v_pk_mul_f32 v[20:21], s[4:5], v[32:33]
	s_and_saveexec_b64 s[0:1], vcc
	s_cbranch_execz .LBB218_42
; %bb.46:                               ;   in Loop: Header=BB218_43 Depth=1
	v_cmp_gt_i32_e32 vcc, s29, v13
	s_nop 1
	v_cndmask_b32_e32 v22, 0, v22, vcc
	v_cmp_gt_i32_e32 vcc, s29, v29
	s_nop 1
	v_cndmask_b32_e32 v23, 0, v23, vcc
	;; [unrolled: 3-line block ×4, first 2 shown]
	s_branch .LBB218_42
.LBB218_47:
	s_or_b64 exec, exec, s[6:7]
.LBB218_48:
	s_or_b64 exec, exec, s[2:3]
	ds_bpermute_b32 v2, v26, v6
	ds_bpermute_b32 v3, v26, v7
	v_and_b32_e32 v4, 0x3c3, v0
	v_cmp_eq_u32_e32 vcc, 64, v4
	s_waitcnt lgkmcnt(0)
	s_barrier
	v_pk_add_f32 v[2:3], v[6:7], v[2:3]
	ds_bpermute_b32 v6, v25, v2
	ds_bpermute_b32 v7, v25, v3
	s_waitcnt lgkmcnt(0)
	v_pk_add_f32 v[2:3], v[2:3], v[6:7]
	s_and_saveexec_b64 s[0:1], vcc
	s_cbranch_execz .LBB218_50
; %bb.49:
	v_add_u32_e32 v6, 0x90, v11
	v_add_u32_e32 v5, 0x90, v0
	ds_write_b32 v6, v2
	ds_write_b32 v5, v3
.LBB218_50:
	s_or_b64 exec, exec, s[0:1]
	v_cmp_gt_u32_e32 vcc, 64, v0
	s_waitcnt lgkmcnt(0)
	s_barrier
	s_and_saveexec_b64 s[0:1], vcc
	s_cbranch_execz .LBB218_56
; %bb.51:
	v_cmp_eq_u32_e32 vcc, 0, v10
	s_and_saveexec_b64 s[2:3], vcc
	s_cbranch_execz .LBB218_53
; %bb.52:
	v_mov_b32_e32 v0, 0x90
	v_lshl_add_u32 v0, v24, 2, v0
	ds_read_b32 v0, v0
	s_waitcnt lgkmcnt(0)
	v_add_f32_e32 v2, v2, v0
.LBB218_53:
	s_or_b64 exec, exec, s[2:3]
	s_and_saveexec_b64 s[2:3], vcc
	s_cbranch_execz .LBB218_55
; %bb.54:
	v_mov_b32_e32 v0, 0x90
	v_lshl_add_u32 v0, v24, 2, v0
	ds_read_b32 v0, v0 offset:64
	s_waitcnt lgkmcnt(0)
	v_add_f32_e32 v3, v3, v0
.LBB218_55:
	s_or_b64 exec, exec, s[2:3]
.LBB218_56:
	s_or_b64 exec, exec, s[0:1]
	v_cmp_eq_u32_e32 vcc, 0, v4
	s_barrier
	s_and_saveexec_b64 s[0:1], vcc
	s_cbranch_execz .LBB218_58
; %bb.57:
	s_lshl_b32 s0, s8, 5
	s_ashr_i32 s1, s0, 31
	s_lshl_b64 s[0:1], s[0:1], 2
	s_add_u32 s2, s26, s0
	s_mul_i32 s0, s25, s24
	s_addc_u32 s3, s27, s1
	s_ashr_i32 s1, s0, 31
	s_lshl_b64 s[0:1], s[0:1], 2
	s_add_u32 s2, s2, s0
	s_addc_u32 s3, s3, s1
	s_ashr_i32 s13, s12, 31
	s_lshl_b64 s[0:1], s[12:13], 2
	s_add_u32 s0, s2, s0
	s_addc_u32 s1, s3, s1
	global_store_dword v1, v2, s[0:1]
	global_store_dword v1, v3, s[0:1] offset:64
.LBB218_58:
	s_endpgm
	.section	.rodata,"a",@progbits
	.p2align	6, 0x0
	.amdhsa_kernel _ZN4vllm25paged_attention_v2_kernelIfhLi32ELi16ELi128ELNS_18Fp8KVCacheDataTypeE1ELb0ELi512EEEvPfS2_PT_PKS3_PKT0_S9_ifPKiSB_iPKfiiiSD_SD_iiiii
		.amdhsa_group_segment_fixed_size 144
		.amdhsa_private_segment_fixed_size 0
		.amdhsa_kernarg_size 400
		.amdhsa_user_sgpr_count 2
		.amdhsa_user_sgpr_dispatch_ptr 0
		.amdhsa_user_sgpr_queue_ptr 0
		.amdhsa_user_sgpr_kernarg_segment_ptr 1
		.amdhsa_user_sgpr_dispatch_id 0
		.amdhsa_user_sgpr_kernarg_preload_length 0
		.amdhsa_user_sgpr_kernarg_preload_offset 0
		.amdhsa_user_sgpr_private_segment_size 0
		.amdhsa_uses_dynamic_stack 0
		.amdhsa_enable_private_segment 0
		.amdhsa_system_sgpr_workgroup_id_x 1
		.amdhsa_system_sgpr_workgroup_id_y 1
		.amdhsa_system_sgpr_workgroup_id_z 1
		.amdhsa_system_sgpr_workgroup_info 0
		.amdhsa_system_vgpr_workitem_id 0
		.amdhsa_next_free_vgpr 39
		.amdhsa_next_free_sgpr 45
		.amdhsa_accum_offset 40
		.amdhsa_reserve_vcc 1
		.amdhsa_float_round_mode_32 0
		.amdhsa_float_round_mode_16_64 0
		.amdhsa_float_denorm_mode_32 3
		.amdhsa_float_denorm_mode_16_64 3
		.amdhsa_dx10_clamp 1
		.amdhsa_ieee_mode 1
		.amdhsa_fp16_overflow 0
		.amdhsa_tg_split 0
		.amdhsa_exception_fp_ieee_invalid_op 0
		.amdhsa_exception_fp_denorm_src 0
		.amdhsa_exception_fp_ieee_div_zero 0
		.amdhsa_exception_fp_ieee_overflow 0
		.amdhsa_exception_fp_ieee_underflow 0
		.amdhsa_exception_fp_ieee_inexact 0
		.amdhsa_exception_int_div_zero 0
	.end_amdhsa_kernel
	.section	.text._ZN4vllm25paged_attention_v2_kernelIfhLi32ELi16ELi128ELNS_18Fp8KVCacheDataTypeE1ELb0ELi512EEEvPfS2_PT_PKS3_PKT0_S9_ifPKiSB_iPKfiiiSD_SD_iiiii,"axG",@progbits,_ZN4vllm25paged_attention_v2_kernelIfhLi32ELi16ELi128ELNS_18Fp8KVCacheDataTypeE1ELb0ELi512EEEvPfS2_PT_PKS3_PKT0_S9_ifPKiSB_iPKfiiiSD_SD_iiiii,comdat
.Lfunc_end218:
	.size	_ZN4vllm25paged_attention_v2_kernelIfhLi32ELi16ELi128ELNS_18Fp8KVCacheDataTypeE1ELb0ELi512EEEvPfS2_PT_PKS3_PKT0_S9_ifPKiSB_iPKfiiiSD_SD_iiiii, .Lfunc_end218-_ZN4vllm25paged_attention_v2_kernelIfhLi32ELi16ELi128ELNS_18Fp8KVCacheDataTypeE1ELb0ELi512EEEvPfS2_PT_PKS3_PKT0_S9_ifPKiSB_iPKfiiiSD_SD_iiiii
                                        ; -- End function
	.section	.AMDGPU.csdata,"",@progbits
; Kernel info:
; codeLenInByte = 3620
; NumSgprs: 51
; NumVgprs: 39
; NumAgprs: 0
; TotalNumVgprs: 39
; ScratchSize: 0
; MemoryBound: 0
; FloatMode: 240
; IeeeMode: 1
; LDSByteSize: 144 bytes/workgroup (compile time only)
; SGPRBlocks: 6
; VGPRBlocks: 4
; NumSGPRsForWavesPerEU: 51
; NumVGPRsForWavesPerEU: 39
; AccumOffset: 40
; Occupancy: 8
; WaveLimiterHint : 1
; COMPUTE_PGM_RSRC2:SCRATCH_EN: 0
; COMPUTE_PGM_RSRC2:USER_SGPR: 2
; COMPUTE_PGM_RSRC2:TRAP_HANDLER: 0
; COMPUTE_PGM_RSRC2:TGID_X_EN: 1
; COMPUTE_PGM_RSRC2:TGID_Y_EN: 1
; COMPUTE_PGM_RSRC2:TGID_Z_EN: 1
; COMPUTE_PGM_RSRC2:TIDIG_COMP_CNT: 0
; COMPUTE_PGM_RSRC3_GFX90A:ACCUM_OFFSET: 9
; COMPUTE_PGM_RSRC3_GFX90A:TG_SPLIT: 0
	.section	.text._ZN4vllm25paged_attention_v2_kernelIfhLi64ELi16ELi128ELNS_18Fp8KVCacheDataTypeE1ELb0ELi512EEEvPfS2_PT_PKS3_PKT0_S9_ifPKiSB_iPKfiiiSD_SD_iiiii,"axG",@progbits,_ZN4vllm25paged_attention_v2_kernelIfhLi64ELi16ELi128ELNS_18Fp8KVCacheDataTypeE1ELb0ELi512EEEvPfS2_PT_PKS3_PKT0_S9_ifPKiSB_iPKfiiiSD_SD_iiiii,comdat
	.protected	_ZN4vllm25paged_attention_v2_kernelIfhLi64ELi16ELi128ELNS_18Fp8KVCacheDataTypeE1ELb0ELi512EEEvPfS2_PT_PKS3_PKT0_S9_ifPKiSB_iPKfiiiSD_SD_iiiii ; -- Begin function _ZN4vllm25paged_attention_v2_kernelIfhLi64ELi16ELi128ELNS_18Fp8KVCacheDataTypeE1ELb0ELi512EEEvPfS2_PT_PKS3_PKT0_S9_ifPKiSB_iPKfiiiSD_SD_iiiii
	.globl	_ZN4vllm25paged_attention_v2_kernelIfhLi64ELi16ELi128ELNS_18Fp8KVCacheDataTypeE1ELb0ELi512EEEvPfS2_PT_PKS3_PKT0_S9_ifPKiSB_iPKfiiiSD_SD_iiiii
	.p2align	8
	.type	_ZN4vllm25paged_attention_v2_kernelIfhLi64ELi16ELi128ELNS_18Fp8KVCacheDataTypeE1ELb0ELi512EEEvPfS2_PT_PKS3_PKT0_S9_ifPKiSB_iPKfiiiSD_SD_iiiii,@function
_ZN4vllm25paged_attention_v2_kernelIfhLi64ELi16ELi128ELNS_18Fp8KVCacheDataTypeE1ELb0ELi512EEEvPfS2_PT_PKS3_PKT0_S9_ifPKiSB_iPKfiiiSD_SD_iiiii: ; @_ZN4vllm25paged_attention_v2_kernelIfhLi64ELi16ELi128ELNS_18Fp8KVCacheDataTypeE1ELb0ELi512EEEvPfS2_PT_PKS3_PKT0_S9_ifPKiSB_iPKfiiiSD_SD_iiiii
; %bb.0:
	s_load_dwordx2 s[6:7], s[0:1], 0x40
	s_mov_b32 s28, s3
	s_ashr_i32 s29, s3, 31
	s_lshl_b64 s[8:9], s[28:29], 2
	s_waitcnt lgkmcnt(0)
	s_add_u32 s6, s6, s8
	s_addc_u32 s7, s7, s9
	s_load_dword s29, s[6:7], 0x0
	s_lshl_b32 s33, s4, 9
	s_waitcnt lgkmcnt(0)
	s_cmp_ge_i32 s33, s29
	s_cbranch_scc1 .LBB219_63
; %bb.1:
	s_load_dword s5, s[0:1], 0x90
	s_load_dwordx2 s[38:39], s[0:1], 0x30
	s_waitcnt lgkmcnt(0)
	s_abs_i32 s7, s5
	s_abs_i32 s3, s38
	v_cvt_f32_u32_e32 v1, s3
	s_sub_i32 s8, 0, s3
	s_xor_b32 s6, s5, s38
	s_ashr_i32 s6, s6, 31
	v_rcp_iflag_f32_e32 v1, v1
	s_mov_b32 s38, 0
	v_mul_f32_e32 v1, 0x4f7ffffe, v1
	v_cvt_u32_f32_e32 v1, v1
	s_nop 0
	v_readfirstlane_b32 s9, v1
	s_mul_i32 s8, s8, s9
	s_mul_hi_u32 s8, s9, s8
	s_add_i32 s9, s9, s8
	s_mul_hi_u32 s8, s7, s9
	s_mul_i32 s9, s8, s3
	s_sub_i32 s7, s7, s9
	s_add_i32 s10, s8, 1
	s_sub_i32 s9, s7, s3
	s_cmp_ge_u32 s7, s3
	s_cselect_b32 s8, s10, s8
	s_cselect_b32 s7, s9, s7
	s_add_i32 s9, s8, 1
	s_cmp_ge_u32 s7, s3
	s_cselect_b32 s3, s9, s8
	s_xor_b32 s3, s3, s6
	s_sub_i32 s8, s3, s6
	s_abs_i32 s10, s8
	v_cvt_f32_u32_e32 v1, s10
	s_load_dwordx2 s[6:7], s[0:1], 0x50
	s_sub_i32 s3, 0, s10
	s_abs_i32 s11, s2
	v_rcp_iflag_f32_e32 v1, v1
	s_nop 0
	v_mul_f32_e32 v1, 0x4f7ffffe, v1
	v_cvt_u32_f32_e32 v1, v1
	s_nop 0
	v_readfirstlane_b32 s9, v1
	s_mul_i32 s3, s3, s9
	s_mul_hi_u32 s3, s9, s3
	s_add_i32 s9, s9, s3
	s_waitcnt lgkmcnt(0)
	s_cmp_eq_u64 s[6:7], 0
	s_mul_hi_u32 s12, s11, s9
	s_cbranch_scc1 .LBB219_3
; %bb.2:
	s_ashr_i32 s3, s2, 31
	s_lshl_b64 s[14:15], s[2:3], 2
	s_add_u32 s6, s6, s14
	s_addc_u32 s7, s7, s15
	s_load_dword s38, s[6:7], 0x0
.LBB219_3:
	s_load_dwordx4 s[16:19], s[0:1], 0x58
	v_lshrrev_b32_e32 v34, 2, v0
	s_ashr_i32 s13, s2, 31
	s_ashr_i32 s14, s8, 31
	v_and_b32_e32 v18, 3, v0
	s_lshl_b32 s24, s2, 6
	v_cmp_gt_u32_e64 s[8:9], 64, v0
	v_lshlrev_b32_e32 v26, 2, v0
	v_lshlrev_b32_e32 v1, 2, v34
	s_and_saveexec_b64 s[6:7], s[8:9]
	s_cbranch_execz .LBB219_5
; %bb.4:
	s_load_dwordx2 s[20:21], s[0:1], 0x18
	s_waitcnt lgkmcnt(0)
	s_mul_i32 s22, s28, s16
	s_ashr_i32 s23, s22, 31
	s_lshl_b64 s[22:23], s[22:23], 2
	v_lshl_add_u32 v3, v18, 6, v1
	s_add_u32 s3, s20, s22
	s_addc_u32 s15, s21, s23
	s_ashr_i32 s25, s24, 31
	s_lshl_b64 s[20:21], s[24:25], 2
	s_add_u32 s20, s3, s20
	s_addc_u32 s21, s15, s21
	global_load_dword v2, v26, s[20:21]
	s_waitcnt vmcnt(0)
	ds_write_b32 v3, v2
.LBB219_5:
	s_or_b64 exec, exec, s[6:7]
	s_add_i32 s3, s29, 15
	s_ashr_i32 s6, s3, 31
	s_lshr_b32 s6, s6, 28
	s_add_i32 s3, s3, s6
	s_ashr_i32 s42, s3, 4
	s_lshl_b32 s3, s4, 5
	s_mul_i32 s7, s12, s10
	s_add_i32 s6, s3, 32
	s_sub_i32 s7, s11, s7
	s_min_i32 s25, s6, s42
	s_xor_b32 s6, s13, s14
	s_add_i32 s11, s12, 1
	s_sub_i32 s13, s7, s10
	s_cmp_ge_u32 s7, s10
	s_cselect_b32 s11, s11, s12
	s_cselect_b32 s7, s13, s7
	s_add_i32 s12, s11, 1
	s_cmp_ge_u32 s7, s10
	s_load_dwordx2 s[30:31], s[0:1], 0x38
	s_load_dword s10, s[0:1], 0x48
	v_lshrrev_b32_e32 v27, 6, v0
	s_cselect_b32 s7, s12, s11
	s_xor_b32 s7, s7, s6
	v_or_b32_e32 v20, s3, v27
	s_waitcnt lgkmcnt(0)
	s_mul_i32 s34, s28, s10
	s_sub_i32 s43, s7, s6
	s_ashr_i32 s35, s34, 31
	v_cmp_gt_i32_e64 s[6:7], s25, v20
	v_cmp_le_i32_e32 vcc, s25, v20
	v_mbcnt_lo_u32_b32 v19, -1, 0
	s_barrier
	s_waitcnt lgkmcnt(0)
                                        ; implicit-def: $sgpr19
                                        ; implicit-def: $vgpr28
                                        ; implicit-def: $vgpr29
	s_and_saveexec_b64 s[10:11], vcc
	s_xor_b64 s[10:11], exec, s[10:11]
; %bb.6:
	v_mbcnt_hi_u32_b32 v28, -1, v19
	v_and_b32_e32 v2, 64, v28
	v_add_u32_e32 v29, 64, v2
	s_mov_b32 s19, 0xff7fffff
                                        ; implicit-def: $vgpr19
; %bb.7:
	s_or_saveexec_b64 s[40:41], s[10:11]
	s_load_dwordx4 s[20:23], s[0:1], 0x0
	s_load_dwordx2 s[26:27], s[0:1], 0x10
	s_load_dword s16, s[0:1], 0x98
	s_load_dwordx2 s[36:37], s[0:1], 0x28
	s_load_dwordx4 s[12:15], s[0:1], 0x68
	v_mov_b32_e32 v30, s19
	s_mul_i32 s43, s43, s18
	v_ashrrev_i32_e32 v21, 31, v20
	s_xor_b64 exec, exec, s[40:41]
	s_cbranch_execz .LBB219_13
; %bb.8:
	s_load_dwordx2 s[0:1], s[0:1], 0x20
	v_mbcnt_hi_u32_b32 v28, -1, v19
	v_lshlrev_b32_e32 v14, 6, v18
	v_and_b32_e32 v19, 64, v28
	s_ashr_i32 s10, s43, 31
	ds_read_b128 v[2:5], v14
	ds_read_b128 v[6:9], v14 offset:16
	ds_read_b128 v[10:13], v14 offset:32
	ds_read_b128 v[14:17], v14 offset:48
	v_add_u32_e32 v29, 64, v19
	v_xor_b32_e32 v19, 2, v28
	v_bfe_u32 v30, v0, 2, 4
	s_waitcnt lgkmcnt(0)
	s_add_u32 s0, s0, s43
	v_cmp_lt_i32_e32 vcc, v19, v29
	v_lshlrev_b32_e32 v24, 4, v30
	s_addc_u32 s1, s1, s10
	v_mov_b32_e32 v25, 0
	v_cndmask_b32_e32 v19, v28, v19, vcc
	s_load_dword s45, s[12:13], 0x0
	v_lshl_add_u64 v[22:23], s[0:1], 0, v[24:25]
	v_lshlrev_b32_e32 v31, 2, v19
	v_xor_b32_e32 v19, 1, v28
	s_sub_i32 s46, 1, s29
	v_lshlrev_b32_e32 v24, 4, v27
	s_lshl_b64 s[10:11], s[34:35], 2
	v_cmp_lt_i32_e32 vcc, v19, v29
	v_add3_u32 v33, s33, v24, v30
	v_lshlrev_b32_e32 v24, 2, v30
	s_add_u32 s10, s30, s10
	v_cndmask_b32_e32 v19, v28, v19, vcc
	v_lshl_or_b32 v24, v27, 6, v24
	s_addc_u32 s11, s31, s11
	s_mov_b32 s44, s17
	v_lshlrev_b32_e32 v32, 2, v19
	v_cmp_eq_u32_e32 vcc, 0, v18
	v_cmp_neq_f32_e64 s[0:1], s38, 0
	v_mov_b32_e32 v19, v25
	v_add_u32_e32 v35, 0x110, v24
	v_lshl_add_u64 v[24:25], v[20:21], 2, s[10:11]
	s_mov_b64 s[12:13], 0
	v_mov_b32_e32 v30, 0xff7fffff
	v_mov_b32_e32 v36, v20
	s_branch .LBB219_10
.LBB219_9:                              ;   in Loop: Header=BB219_10 Depth=1
	s_or_b64 exec, exec, s[18:19]
	v_add_u32_e32 v36, 2, v36
	v_cmp_le_i32_e64 s[10:11], s25, v36
	v_add_u32_e32 v33, 32, v33
	v_add_u32_e32 v35, 0x80, v35
	s_or_b64 s[12:13], s[10:11], s[12:13]
	v_lshl_add_u64 v[24:25], v[24:25], 0, 8
	s_andn2_b64 exec, exec, s[12:13]
	s_cbranch_execz .LBB219_12
.LBB219_10:                             ; =>This Inner Loop Header: Depth=1
	global_load_dword v37, v[24:25], off
	s_waitcnt vmcnt(0) lgkmcnt(0)
	v_mad_i64_i32 v[38:39], s[10:11], v37, s44, v[22:23]
	v_lshl_add_u64 v[38:39], v[38:39], 0, v[18:19]
	global_load_ubyte v37, v[38:39], off
	global_load_ubyte v40, v[38:39], off offset:4
	global_load_ubyte v41, v[38:39], off offset:8
	;; [unrolled: 1-line block ×14, first 2 shown]
	s_nop 0
	global_load_ubyte v38, v[38:39], off offset:780
	s_waitcnt vmcnt(15)
	v_cvt_f32_fp8_sdwa v37, v37 src0_sel:BYTE_0
	s_waitcnt vmcnt(14)
	v_cvt_f32_fp8_sdwa v39, v40 src0_sel:BYTE_0
	s_waitcnt vmcnt(13)
	v_cvt_f32_fp8_sdwa v40, v41 src0_sel:BYTE_0
	s_waitcnt vmcnt(12)
	v_cvt_f32_fp8_sdwa v41, v42 src0_sel:BYTE_0
	s_waitcnt vmcnt(11)
	v_cvt_f32_fp8_sdwa v42, v43 src0_sel:BYTE_0
	s_waitcnt lgkmcnt(0)
	v_mul_f32_e32 v39, s45, v39
	s_waitcnt vmcnt(10)
	v_cvt_f32_fp8_sdwa v43, v44 src0_sel:BYTE_0
	v_mul_f32_e32 v37, s45, v37
	v_mul_f32_e32 v39, v3, v39
	s_waitcnt vmcnt(9)
	v_cvt_f32_fp8_sdwa v44, v45 src0_sel:BYTE_0
	v_mul_f32_e32 v40, s45, v40
	v_fmac_f32_e32 v39, v2, v37
	s_waitcnt vmcnt(8)
	v_cvt_f32_fp8_sdwa v45, v46 src0_sel:BYTE_0
	v_mul_f32_e32 v41, s45, v41
	v_fmac_f32_e32 v39, v4, v40
	;; [unrolled: 4-line block ×10, first 2 shown]
	v_mul_f32_e32 v50, s45, v50
	v_fmac_f32_e32 v39, v13, v49
	v_mul_f32_e32 v51, s45, v51
	v_fmac_f32_e32 v39, v14, v50
	;; [unrolled: 2-line block ×4, first 2 shown]
	v_fmac_f32_e32 v39, v17, v38
	ds_bpermute_b32 v37, v31, v39
	s_waitcnt lgkmcnt(0)
	v_add_f32_e32 v37, v39, v37
	ds_bpermute_b32 v38, v32, v37
	s_and_saveexec_b64 s[18:19], vcc
	s_cbranch_execz .LBB219_9
; %bb.11:                               ;   in Loop: Header=BB219_10 Depth=1
	v_add_u32_e32 v39, s46, v33
	v_cvt_f32_i32_e32 v39, v39
	s_waitcnt lgkmcnt(0)
	v_add_f32_e32 v37, v37, v38
	v_cmp_gt_i32_e64 s[10:11], s29, v33
	v_max_f32_e32 v38, v30, v30
	v_mul_f32_e32 v39, s38, v39
	v_cndmask_b32_e64 v39, 0, v39, s[0:1]
	v_fmac_f32_e32 v39, s39, v37
	v_cndmask_b32_e64 v37, 0, v39, s[10:11]
	ds_write_b32 v35, v37
	v_max_f32_e32 v37, v38, v39
	v_cndmask_b32_e64 v30, v30, v37, s[10:11]
	s_branch .LBB219_9
.LBB219_12:
	s_or_b64 exec, exec, s[12:13]
.LBB219_13:
	s_or_b64 exec, exec, s[40:41]
	v_xor_b32_e32 v2, 32, v28
	v_cmp_lt_i32_e32 vcc, v2, v29
	v_xor_b32_e32 v5, 16, v28
	v_max_f32_e32 v4, v30, v30
	v_cndmask_b32_e32 v2, v28, v2, vcc
	v_lshlrev_b32_e32 v2, 2, v2
	ds_bpermute_b32 v3, v2, v30
	v_cmp_lt_i32_e32 vcc, v5, v29
	v_xor_b32_e32 v6, 8, v28
	v_and_b32_e32 v19, 63, v0
	s_waitcnt lgkmcnt(0)
	v_max_f32_e32 v3, v3, v3
	v_max_f32_e32 v4, v4, v3
	v_cndmask_b32_e32 v3, v28, v5, vcc
	v_lshlrev_b32_e32 v3, 2, v3
	ds_bpermute_b32 v5, v3, v4
	v_cmp_lt_i32_e32 vcc, v6, v29
	s_waitcnt lgkmcnt(0)
	v_max_f32_e32 v5, v5, v5
	v_max_f32_e32 v4, v4, v5
	v_cndmask_b32_e32 v5, v28, v6, vcc
	v_lshlrev_b32_e32 v7, 2, v5
	ds_bpermute_b32 v5, v7, v4
	v_xor_b32_e32 v6, 4, v28
	v_cmp_lt_i32_e32 vcc, v6, v29
	s_waitcnt lgkmcnt(0)
	v_max_f32_e32 v5, v5, v5
	v_max_f32_e32 v4, v4, v5
	v_cndmask_b32_e32 v5, v28, v6, vcc
	v_lshlrev_b32_e32 v8, 2, v5
	ds_bpermute_b32 v6, v8, v4
	v_cmp_eq_u32_e32 vcc, 0, v19
	v_lshlrev_b32_e32 v5, 2, v27
	s_and_saveexec_b64 s[0:1], vcc
	s_cbranch_execz .LBB219_15
; %bb.14:
	s_waitcnt lgkmcnt(0)
	v_max_f32_e32 v6, v6, v6
	v_max_f32_e32 v4, v4, v4
	;; [unrolled: 1-line block ×3, first 2 shown]
	ds_write_b32 v5, v4 offset:256
.LBB219_15:
	s_or_b64 exec, exec, s[0:1]
	v_cmp_gt_u32_e64 s[0:1], 2, v19
	v_mov_b32_e32 v4, 0xff7fffff
	s_waitcnt lgkmcnt(0)
	v_lshlrev_b32_e32 v6, 2, v19
	s_barrier
	s_and_saveexec_b64 s[10:11], s[0:1]
	s_cbranch_execz .LBB219_17
; %bb.16:
	ds_read_b32 v4, v6 offset:256
.LBB219_17:
	s_or_b64 exec, exec, s[10:11]
	v_xor_b32_e32 v9, 1, v28
	v_cmp_lt_i32_e64 s[10:11], v9, v29
	s_sub_i32 s3, s25, s3
	s_lshl_b32 s3, s3, 4
	v_cndmask_b32_e64 v9, v28, v9, s[10:11]
	v_lshlrev_b32_e32 v35, 2, v9
	s_waitcnt lgkmcnt(0)
	ds_bpermute_b32 v9, v35, v4
	v_max_f32_e32 v4, v4, v4
	s_add_i32 s3, s3, s33
	s_min_i32 s40, s3, s29
	s_sub_i32 s3, s40, s33
	s_waitcnt lgkmcnt(0)
	v_max_f32_e32 v9, v9, v9
	v_max_f32_e32 v4, v4, v9
	v_lshlrev_b32_e32 v9, 2, v28
	v_and_b32_e32 v9, 0xffffff00, v9
	ds_bpermute_b32 v4, v9, v4
	v_cmp_gt_i32_e64 s[10:11], s3, v0
	v_mov_b32_e32 v10, 0
	s_and_saveexec_b64 s[18:19], s[10:11]
	s_cbranch_execz .LBB219_21
; %bb.18:
	v_mov_b32_e32 v10, 0x110
	v_lshl_add_u32 v11, v0, 2, v10
	s_mov_b64 s[38:39], 0
	v_mov_b32_e32 v10, 0
	v_mov_b32_e32 v12, v0
.LBB219_19:                             ; =>This Inner Loop Header: Depth=1
	ds_read_b32 v13, v11
	v_add_u32_e32 v12, 0x80, v12
	v_cmp_le_i32_e64 s[12:13], s3, v12
	s_or_b64 s[38:39], s[12:13], s[38:39]
	s_waitcnt lgkmcnt(0)
	v_sub_f32_e32 v13, v13, v4
	v_mul_f32_e32 v13, 0x3fb8aa3b, v13
	v_exp_f32_e32 v13, v13
	ds_write_b32 v11, v13
	v_add_f32_e32 v10, v10, v13
	v_add_u32_e32 v11, 0x200, v11
	s_andn2_b64 exec, exec, s[38:39]
	s_cbranch_execnz .LBB219_19
; %bb.20:
	s_or_b64 exec, exec, s[38:39]
.LBB219_21:
	s_or_b64 exec, exec, s[18:19]
	ds_bpermute_b32 v2, v2, v10
	s_waitcnt lgkmcnt(0)
	v_add_f32_e32 v2, v10, v2
	ds_bpermute_b32 v3, v3, v2
	s_waitcnt lgkmcnt(0)
	v_add_f32_e32 v2, v2, v3
	ds_bpermute_b32 v3, v7, v2
	v_xor_b32_e32 v7, 2, v28
	v_cmp_lt_i32_e64 s[12:13], v7, v29
	s_waitcnt lgkmcnt(0)
	v_add_f32_e32 v2, v2, v3
	ds_bpermute_b32 v3, v8, v2
	v_cndmask_b32_e64 v7, v28, v7, s[12:13]
	v_lshlrev_b32_e32 v36, 2, v7
	s_waitcnt lgkmcnt(0)
	v_add_f32_e32 v2, v2, v3
	ds_bpermute_b32 v3, v36, v2
	s_waitcnt lgkmcnt(0)
	v_add_f32_e32 v2, v2, v3
	ds_bpermute_b32 v3, v35, v2
	s_waitcnt lgkmcnt(0)
	v_add_f32_e32 v2, v2, v3
	s_and_saveexec_b64 s[12:13], vcc
	s_cbranch_execz .LBB219_23
; %bb.22:
	ds_write_b32 v5, v2 offset:264
.LBB219_23:
	s_or_b64 exec, exec, s[12:13]
	s_waitcnt lgkmcnt(0)
	s_barrier
	s_and_saveexec_b64 s[12:13], s[0:1]
	s_cbranch_execz .LBB219_25
; %bb.24:
	ds_read_b32 v2, v6 offset:264
.LBB219_25:
	s_or_b64 exec, exec, s[12:13]
	s_waitcnt lgkmcnt(0)
	ds_bpermute_b32 v3, v35, v2
	s_waitcnt lgkmcnt(0)
	v_add_f32_e32 v2, v2, v3
	ds_bpermute_b32 v5, v9, v2
	s_and_saveexec_b64 s[0:1], s[10:11]
	s_cbranch_execz .LBB219_38
; %bb.26:
	s_waitcnt lgkmcnt(0)
	v_add_f32_e32 v2, 0x358637bd, v5
	v_div_scale_f32 v3, s[10:11], v2, v2, 1.0
	v_rcp_f32_e32 v6, v3
	v_div_scale_f32 v7, vcc, 1.0, v2, 1.0
	s_movk_i32 s10, 0x7f
	v_fma_f32 v8, -v3, v6, 1.0
	v_fmac_f32_e32 v6, v8, v6
	v_mul_f32_e32 v8, v7, v6
	v_fma_f32 v9, -v3, v8, v7
	v_fmac_f32_e32 v8, v9, v6
	v_fma_f32 v3, -v3, v8, v7
	v_div_fmas_f32 v3, v3, v6, v8
	v_div_fixup_f32 v2, v3, v2, 1.0
	v_xad_u32 v3, v0, -1, s40
	v_subrev_u32_e32 v6, s33, v3
	v_cmp_lt_u32_e32 vcc, s10, v6
	s_mov_b64 s[12:13], -1
	v_mov_b32_e32 v3, v0
	s_and_saveexec_b64 s[10:11], vcc
	s_cbranch_execz .LBB219_35
; %bb.27:
	v_lshrrev_b32_e32 v6, 7, v6
	v_add_u32_e32 v8, -1, v6
	v_lshrrev_b32_e32 v7, 1, v8
	v_mov_b32_e32 v3, v2
	v_add_u32_e32 v7, 1, v7
	v_cmp_lt_u32_e32 vcc, 13, v8
	v_mov_b32_e32 v10, 0
	s_and_saveexec_b64 s[12:13], vcc
	s_cbranch_execz .LBB219_31
; %bb.28:
	v_mov_b32_e32 v9, 0x110
	v_and_b32_e32 v8, -8, v7
	v_lshl_add_u32 v9, v0, 2, v9
	s_mov_b32 s38, 0
	s_mov_b64 s[18:19], 0
.LBB219_29:                             ; =>This Inner Loop Header: Depth=1
	ds_read2st64_b32 v[10:11], v9 offset1:2
	ds_read2st64_b32 v[12:13], v9 offset0:4 offset1:6
	ds_read2st64_b32 v[14:15], v9 offset0:8 offset1:10
	ds_read2st64_b32 v[16:17], v9 offset0:12 offset1:14
	v_add_u32_e32 v8, -8, v8
	s_waitcnt lgkmcnt(3)
	v_pk_mul_f32 v[10:11], v[2:3], v[10:11]
	s_waitcnt lgkmcnt(2)
	v_pk_mul_f32 v[12:13], v[2:3], v[12:13]
	ds_write2st64_b32 v9, v10, v11 offset1:2
	ds_write2st64_b32 v9, v12, v13 offset0:4 offset1:6
	ds_read2st64_b32 v[12:13], v9 offset0:16 offset1:18
	s_waitcnt lgkmcnt(4)
	v_pk_mul_f32 v[10:11], v[2:3], v[14:15]
	ds_write2st64_b32 v9, v10, v11 offset0:8 offset1:10
	s_waitcnt lgkmcnt(4)
	v_pk_mul_f32 v[10:11], v[2:3], v[16:17]
	ds_write2st64_b32 v9, v10, v11 offset0:12 offset1:14
	ds_read2st64_b32 v[10:11], v9 offset0:20 offset1:22
	s_waitcnt lgkmcnt(3)
	v_pk_mul_f32 v[12:13], v[2:3], v[12:13]
	ds_read2st64_b32 v[14:15], v9 offset0:24 offset1:26
	ds_write2st64_b32 v9, v12, v13 offset0:16 offset1:18
	ds_read2st64_b32 v[12:13], v9 offset0:28 offset1:30
	s_waitcnt lgkmcnt(3)
	v_pk_mul_f32 v[10:11], v[2:3], v[10:11]
	ds_write2st64_b32 v9, v10, v11 offset0:20 offset1:22
	s_waitcnt lgkmcnt(3)
	v_pk_mul_f32 v[10:11], v[2:3], v[14:15]
	ds_write2st64_b32 v9, v10, v11 offset0:24 offset1:26
	s_waitcnt lgkmcnt(2)
	v_pk_mul_f32 v[10:11], v[2:3], v[12:13]
	s_add_i32 s38, s38, 16
	v_cmp_eq_u32_e32 vcc, 0, v8
	ds_write2st64_b32 v9, v10, v11 offset0:28 offset1:30
	v_add_u32_e32 v9, 0x2000, v9
	s_or_b64 s[18:19], vcc, s[18:19]
	v_mov_b32_e32 v10, s38
	s_andn2_b64 exec, exec, s[18:19]
	s_cbranch_execnz .LBB219_29
; %bb.30:
	s_or_b64 exec, exec, s[18:19]
.LBB219_31:
	s_or_b64 exec, exec, s[12:13]
	v_and_b32_e32 v7, 7, v7
	v_cmp_ne_u32_e32 vcc, 0, v7
	s_and_saveexec_b64 s[12:13], vcc
	s_cbranch_execz .LBB219_34
; %bb.32:
	v_lshlrev_b32_e32 v8, 9, v10
	s_movk_i32 s18, 0x110
	v_add3_u32 v8, v8, v26, s18
	s_mov_b64 s[18:19], 0
.LBB219_33:                             ; =>This Inner Loop Header: Depth=1
	ds_read2st64_b32 v[10:11], v8 offset1:2
	v_add_u32_e32 v7, -1, v7
	v_cmp_eq_u32_e32 vcc, 0, v7
	s_or_b64 s[18:19], vcc, s[18:19]
	s_waitcnt lgkmcnt(0)
	v_pk_mul_f32 v[10:11], v[2:3], v[10:11]
	ds_write2st64_b32 v8, v10, v11 offset1:2
	v_add_u32_e32 v8, 0x400, v8
	s_andn2_b64 exec, exec, s[18:19]
	s_cbranch_execnz .LBB219_33
.LBB219_34:
	s_or_b64 exec, exec, s[12:13]
	v_add_u32_e32 v6, 1, v6
	v_and_b32_e32 v7, 0x3fffffe, v6
	v_cmp_ne_u32_e32 vcc, v6, v7
	v_lshl_add_u32 v3, v7, 7, v0
	s_orn2_b64 s[12:13], vcc, exec
.LBB219_35:
	s_or_b64 exec, exec, s[10:11]
	s_and_b64 exec, exec, s[12:13]
	s_cbranch_execz .LBB219_38
; %bb.36:
	v_mov_b32_e32 v6, 0x110
	v_lshl_add_u32 v6, v3, 2, v6
	s_mov_b64 s[10:11], 0
.LBB219_37:                             ; =>This Inner Loop Header: Depth=1
	ds_read_b32 v7, v6
	v_add_u32_e32 v3, 0x80, v3
	v_cmp_le_i32_e32 vcc, s3, v3
	s_or_b64 s[10:11], vcc, s[10:11]
	s_waitcnt lgkmcnt(0)
	v_mul_f32_e32 v7, v2, v7
	ds_write_b32 v6, v7
	v_add_u32_e32 v6, 0x200, v6
	s_andn2_b64 exec, exec, s[10:11]
	s_cbranch_execnz .LBB219_37
.LBB219_38:
	s_or_b64 exec, exec, s[0:1]
	s_mul_i32 s0, s16, s28
	v_cmp_eq_u32_e32 vcc, 0, v0
	s_mul_i32 s10, s0, s5
	s_waitcnt lgkmcnt(0)
	s_barrier
	s_and_saveexec_b64 s[0:1], vcc
	s_cbranch_execz .LBB219_40
; %bb.39:
	s_ashr_i32 s11, s10, 31
	s_lshl_b64 s[12:13], s[10:11], 2
	s_add_u32 s5, s22, s12
	s_mul_i32 s2, s16, s2
	s_addc_u32 s11, s23, s13
	s_ashr_i32 s3, s2, 31
	s_lshl_b64 s[2:3], s[2:3], 2
	s_add_u32 s22, s5, s2
	s_addc_u32 s11, s11, s3
	s_ashr_i32 s5, s4, 31
	s_lshl_b64 s[18:19], s[4:5], 2
	s_add_u32 s22, s22, s18
	s_addc_u32 s23, s11, s19
	s_add_u32 s5, s20, s12
	s_addc_u32 s11, s21, s13
	;; [unrolled: 2-line block ×3, first 2 shown]
	s_add_u32 s2, s2, s18
	v_mov_b32_e32 v2, 0
	s_addc_u32 s3, s3, s19
	global_store_dword v2, v4, s[22:23]
	global_store_dword v2, v5, s[2:3]
.LBB219_40:
	s_or_b64 exec, exec, s[0:1]
	v_mov_b32_e32 v9, 0
	v_mov_b32_e32 v8, 0
	;; [unrolled: 1-line block ×4, first 2 shown]
	s_and_saveexec_b64 s[2:3], s[6:7]
	s_cbranch_execz .LBB219_52
; %bb.41:
	s_ashr_i32 s1, s43, 31
	s_load_dword s6, s[14:15], 0x0
	s_add_u32 s0, s36, s43
	s_addc_u32 s1, s37, s1
	v_and_b32_e32 v6, 0xfc, v26
	v_mov_b32_e32 v7, 0
	v_and_b32_e32 v2, 12, v26
	s_add_i32 s42, s42, -1
	v_lshl_add_u64 v[10:11], s[0:1], 0, v[6:7]
	v_lshl_add_u32 v3, v27, 4, s33
	s_lshl_b64 s[0:1], s[34:35], 2
	v_add3_u32 v37, v3, v2, 3
	v_lshlrev_b32_e32 v2, 4, v18
	s_add_u32 s0, s30, s0
	v_lshl_or_b32 v2, v27, 6, v2
	s_addc_u32 s1, s31, s1
	s_mov_b32 s5, s17
	s_waitcnt lgkmcnt(0)
	s_mov_b32 s7, s6
	v_add_u32_e32 v38, 0x110, v2
	v_lshl_add_u64 v[12:13], v[20:21], 2, s[0:1]
	s_mov_b64 s[12:13], 0
	v_mov_b32_e32 v6, v7
	v_mov_b32_e32 v8, v7
	;; [unrolled: 1-line block ×3, first 2 shown]
	s_branch .LBB219_43
.LBB219_42:                             ;   in Loop: Header=BB219_43 Depth=1
	s_or_b64 exec, exec, s[0:1]
	s_waitcnt lgkmcnt(0)
	v_mul_f32_e32 v17, v3, v17
	v_fmac_f32_e32 v17, v2, v16
	v_fmac_f32_e32 v17, v4, v14
	v_mul_f32_e32 v14, v3, v27
	v_fmac_f32_e32 v14, v2, v26
	v_fmac_f32_e32 v14, v4, v24
	v_fmac_f32_e32 v14, v5, v25
	v_add_f32_e32 v7, v7, v14
	v_mul_f32_e32 v14, v3, v31
	v_mul_f32_e32 v3, v3, v33
	v_fmac_f32_e32 v14, v2, v30
	v_fmac_f32_e32 v3, v2, v32
	;; [unrolled: 1-line block ×4, first 2 shown]
	v_add_u32_e32 v20, 2, v20
	v_fmac_f32_e32 v17, v5, v15
	v_fmac_f32_e32 v14, v5, v29
	;; [unrolled: 1-line block ×3, first 2 shown]
	v_cmp_le_i32_e32 vcc, s25, v20
	v_add_f32_e32 v6, v6, v17
	v_add_f32_e32 v8, v8, v14
	;; [unrolled: 1-line block ×3, first 2 shown]
	v_add_u32_e32 v37, 32, v37
	v_add_u32_e32 v38, 0x80, v38
	s_or_b64 s[12:13], vcc, s[12:13]
	v_lshl_add_u64 v[12:13], v[12:13], 0, 8
	s_andn2_b64 exec, exec, s[12:13]
	s_cbranch_execz .LBB219_51
.LBB219_43:                             ; =>This Inner Loop Header: Depth=1
	global_load_dword v2, v[12:13], off
	v_add_u32_e32 v21, -3, v37
	v_cmp_eq_u32_e32 vcc, s42, v20
	v_add_u32_e32 v39, -2, v37
	v_add_u32_e32 v40, -1, v37
	s_waitcnt vmcnt(0)
	v_mad_i64_i32 v[22:23], s[0:1], v2, s5, v[10:11]
	global_load_dword v14, v[22:23], off
	ds_read_b128 v[2:5], v38
	s_waitcnt vmcnt(0)
	v_and_b32_e32 v15, 0xffff, v14
	v_lshrrev_b32_e32 v16, 16, v14
	v_cvt_pk_f32_fp8_e32 v[14:15], v15
	v_cvt_pk_f32_fp8_e32 v[24:25], v16
	v_pk_mul_f32 v[16:17], s[6:7], v[14:15]
	v_pk_mul_f32 v[14:15], s[6:7], v[24:25]
	s_and_saveexec_b64 s[14:15], vcc
; %bb.44:                               ;   in Loop: Header=BB219_43 Depth=1
	v_cmp_gt_i32_e64 s[0:1], s29, v21
	s_nop 1
	v_cndmask_b32_e64 v16, 0, v16, s[0:1]
	v_cmp_gt_i32_e64 s[0:1], s29, v39
	s_nop 1
	v_cndmask_b32_e64 v17, 0, v17, s[0:1]
	v_cmp_gt_i32_e64 s[0:1], s29, v40
	s_nop 1
	v_cndmask_b32_e64 v14, 0, v14, s[0:1]
	v_cmp_gt_i32_e64 s[0:1], s29, v37
	s_nop 1
	v_cndmask_b32_e64 v15, 0, v15, s[0:1]
; %bb.45:                               ;   in Loop: Header=BB219_43 Depth=1
	s_or_b64 exec, exec, s[14:15]
	global_load_dword v24, v[22:23], off offset:256
	s_waitcnt vmcnt(0)
	v_and_b32_e32 v25, 0xffff, v24
	v_lshrrev_b32_e32 v26, 16, v24
	v_cvt_pk_f32_fp8_e32 v[24:25], v25
	v_cvt_pk_f32_fp8_e32 v[28:29], v26
	v_pk_mul_f32 v[26:27], s[6:7], v[24:25]
	v_pk_mul_f32 v[24:25], s[6:7], v[28:29]
	s_and_saveexec_b64 s[14:15], vcc
; %bb.46:                               ;   in Loop: Header=BB219_43 Depth=1
	v_cmp_gt_i32_e64 s[0:1], s29, v21
	s_nop 1
	v_cndmask_b32_e64 v26, 0, v26, s[0:1]
	v_cmp_gt_i32_e64 s[0:1], s29, v39
	s_nop 1
	v_cndmask_b32_e64 v27, 0, v27, s[0:1]
	v_cmp_gt_i32_e64 s[0:1], s29, v40
	s_nop 1
	v_cndmask_b32_e64 v24, 0, v24, s[0:1]
	v_cmp_gt_i32_e64 s[0:1], s29, v37
	s_nop 1
	v_cndmask_b32_e64 v25, 0, v25, s[0:1]
; %bb.47:                               ;   in Loop: Header=BB219_43 Depth=1
	s_or_b64 exec, exec, s[14:15]
	global_load_dword v28, v[22:23], off offset:512
	;; [unrolled: 24-line block ×3, first 2 shown]
	s_waitcnt vmcnt(0)
	v_and_b32_e32 v23, 0xffff, v22
	v_lshrrev_b32_e32 v32, 16, v22
	v_cvt_pk_f32_fp8_e32 v[22:23], v23
	v_cvt_pk_f32_fp8_e32 v[42:43], v32
	v_pk_mul_f32 v[32:33], s[6:7], v[22:23]
	v_pk_mul_f32 v[22:23], s[6:7], v[42:43]
	s_and_saveexec_b64 s[0:1], vcc
	s_cbranch_execz .LBB219_42
; %bb.50:                               ;   in Loop: Header=BB219_43 Depth=1
	v_cmp_gt_i32_e32 vcc, s29, v21
	s_nop 1
	v_cndmask_b32_e32 v32, 0, v32, vcc
	v_cmp_gt_i32_e32 vcc, s29, v39
	s_nop 1
	v_cndmask_b32_e32 v33, 0, v33, vcc
	;; [unrolled: 3-line block ×4, first 2 shown]
	s_branch .LBB219_42
.LBB219_51:
	s_or_b64 exec, exec, s[12:13]
.LBB219_52:
	s_or_b64 exec, exec, s[2:3]
	ds_bpermute_b32 v2, v36, v6
	ds_bpermute_b32 v3, v36, v7
	;; [unrolled: 1-line block ×4, first 2 shown]
	v_and_b32_e32 v0, 0x3c3, v0
	v_cmp_eq_u32_e32 vcc, 64, v0
	s_waitcnt lgkmcnt(2)
	v_pk_add_f32 v[2:3], v[6:7], v[2:3]
	ds_bpermute_b32 v6, v35, v2
	s_waitcnt lgkmcnt(1)
	v_pk_add_f32 v[4:5], v[8:9], v[4:5]
	ds_bpermute_b32 v7, v35, v3
	ds_bpermute_b32 v8, v35, v4
	;; [unrolled: 1-line block ×3, first 2 shown]
	s_waitcnt lgkmcnt(0)
	s_barrier
	v_pk_add_f32 v[2:3], v[2:3], v[6:7]
	v_pk_add_f32 v[4:5], v[4:5], v[8:9]
	s_and_saveexec_b64 s[0:1], vcc
	s_cbranch_execz .LBB219_54
; %bb.53:
	v_add_u32_e32 v6, 0x110, v19
	ds_write2_b32 v6, v2, v3 offset1:16
	ds_write2_b32 v6, v4, v5 offset0:32 offset1:48
.LBB219_54:
	s_or_b64 exec, exec, s[0:1]
	s_waitcnt lgkmcnt(0)
	s_barrier
	s_and_saveexec_b64 s[0:1], s[8:9]
	s_cbranch_execz .LBB219_61
; %bb.55:
	v_cmp_eq_u32_e32 vcc, 0, v18
	s_and_saveexec_b64 s[2:3], vcc
	s_cbranch_execnz .LBB219_64
; %bb.56:
	s_or_b64 exec, exec, s[2:3]
	s_and_saveexec_b64 s[2:3], vcc
	s_cbranch_execnz .LBB219_65
.LBB219_57:
	s_or_b64 exec, exec, s[2:3]
	s_and_saveexec_b64 s[2:3], vcc
	s_cbranch_execnz .LBB219_66
.LBB219_58:
	s_or_b64 exec, exec, s[2:3]
	s_and_saveexec_b64 s[2:3], vcc
	s_cbranch_execz .LBB219_60
.LBB219_59:
	v_mov_b32_e32 v6, 0x110
	v_lshl_add_u32 v6, v34, 2, v6
	ds_read_b32 v6, v6 offset:192
	s_waitcnt lgkmcnt(0)
	v_add_f32_e32 v5, v5, v6
.LBB219_60:
	s_or_b64 exec, exec, s[2:3]
.LBB219_61:
	s_or_b64 exec, exec, s[0:1]
	v_cmp_eq_u32_e32 vcc, 0, v0
	s_barrier
	s_and_saveexec_b64 s[0:1], vcc
	s_cbranch_execz .LBB219_63
; %bb.62:
	s_lshl_b32 s0, s10, 6
	s_ashr_i32 s1, s0, 31
	s_lshl_b64 s[0:1], s[0:1], 2
	s_add_u32 s2, s26, s0
	s_mul_i32 s0, s16, s24
	s_addc_u32 s3, s27, s1
	s_ashr_i32 s1, s0, 31
	s_lshl_b64 s[0:1], s[0:1], 2
	s_add_u32 s2, s2, s0
	s_addc_u32 s3, s3, s1
	s_lshl_b32 s0, s4, 6
	s_ashr_i32 s1, s0, 31
	s_lshl_b64 s[0:1], s[0:1], 2
	s_add_u32 s0, s2, s0
	s_addc_u32 s1, s3, s1
	global_store_dword v1, v2, s[0:1]
	global_store_dword v1, v3, s[0:1] offset:64
	global_store_dword v1, v4, s[0:1] offset:128
	;; [unrolled: 1-line block ×3, first 2 shown]
.LBB219_63:
	s_endpgm
.LBB219_64:
	v_mov_b32_e32 v6, 0x110
	v_lshl_add_u32 v6, v34, 2, v6
	ds_read_b32 v6, v6
	s_waitcnt lgkmcnt(0)
	v_add_f32_e32 v2, v2, v6
	s_or_b64 exec, exec, s[2:3]
	s_and_saveexec_b64 s[2:3], vcc
	s_cbranch_execz .LBB219_57
.LBB219_65:
	v_mov_b32_e32 v6, 0x110
	v_lshl_add_u32 v6, v34, 2, v6
	ds_read_b32 v6, v6 offset:64
	s_waitcnt lgkmcnt(0)
	v_add_f32_e32 v3, v3, v6
	s_or_b64 exec, exec, s[2:3]
	s_and_saveexec_b64 s[2:3], vcc
	s_cbranch_execz .LBB219_58
.LBB219_66:
	v_mov_b32_e32 v6, 0x110
	v_lshl_add_u32 v6, v34, 2, v6
	ds_read_b32 v6, v6 offset:128
	s_waitcnt lgkmcnt(0)
	v_add_f32_e32 v4, v4, v6
	s_or_b64 exec, exec, s[2:3]
	s_and_saveexec_b64 s[2:3], vcc
	s_cbranch_execnz .LBB219_59
	s_branch .LBB219_60
	.section	.rodata,"a",@progbits
	.p2align	6, 0x0
	.amdhsa_kernel _ZN4vllm25paged_attention_v2_kernelIfhLi64ELi16ELi128ELNS_18Fp8KVCacheDataTypeE1ELb0ELi512EEEvPfS2_PT_PKS3_PKT0_S9_ifPKiSB_iPKfiiiSD_SD_iiiii
		.amdhsa_group_segment_fixed_size 272
		.amdhsa_private_segment_fixed_size 0
		.amdhsa_kernarg_size 400
		.amdhsa_user_sgpr_count 2
		.amdhsa_user_sgpr_dispatch_ptr 0
		.amdhsa_user_sgpr_queue_ptr 0
		.amdhsa_user_sgpr_kernarg_segment_ptr 1
		.amdhsa_user_sgpr_dispatch_id 0
		.amdhsa_user_sgpr_kernarg_preload_length 0
		.amdhsa_user_sgpr_kernarg_preload_offset 0
		.amdhsa_user_sgpr_private_segment_size 0
		.amdhsa_uses_dynamic_stack 0
		.amdhsa_enable_private_segment 0
		.amdhsa_system_sgpr_workgroup_id_x 1
		.amdhsa_system_sgpr_workgroup_id_y 1
		.amdhsa_system_sgpr_workgroup_id_z 1
		.amdhsa_system_sgpr_workgroup_info 0
		.amdhsa_system_vgpr_workitem_id 0
		.amdhsa_next_free_vgpr 54
		.amdhsa_next_free_sgpr 47
		.amdhsa_accum_offset 56
		.amdhsa_reserve_vcc 1
		.amdhsa_float_round_mode_32 0
		.amdhsa_float_round_mode_16_64 0
		.amdhsa_float_denorm_mode_32 3
		.amdhsa_float_denorm_mode_16_64 3
		.amdhsa_dx10_clamp 1
		.amdhsa_ieee_mode 1
		.amdhsa_fp16_overflow 0
		.amdhsa_tg_split 0
		.amdhsa_exception_fp_ieee_invalid_op 0
		.amdhsa_exception_fp_denorm_src 0
		.amdhsa_exception_fp_ieee_div_zero 0
		.amdhsa_exception_fp_ieee_overflow 0
		.amdhsa_exception_fp_ieee_underflow 0
		.amdhsa_exception_fp_ieee_inexact 0
		.amdhsa_exception_int_div_zero 0
	.end_amdhsa_kernel
	.section	.text._ZN4vllm25paged_attention_v2_kernelIfhLi64ELi16ELi128ELNS_18Fp8KVCacheDataTypeE1ELb0ELi512EEEvPfS2_PT_PKS3_PKT0_S9_ifPKiSB_iPKfiiiSD_SD_iiiii,"axG",@progbits,_ZN4vllm25paged_attention_v2_kernelIfhLi64ELi16ELi128ELNS_18Fp8KVCacheDataTypeE1ELb0ELi512EEEvPfS2_PT_PKS3_PKT0_S9_ifPKiSB_iPKfiiiSD_SD_iiiii,comdat
.Lfunc_end219:
	.size	_ZN4vllm25paged_attention_v2_kernelIfhLi64ELi16ELi128ELNS_18Fp8KVCacheDataTypeE1ELb0ELi512EEEvPfS2_PT_PKS3_PKT0_S9_ifPKiSB_iPKfiiiSD_SD_iiiii, .Lfunc_end219-_ZN4vllm25paged_attention_v2_kernelIfhLi64ELi16ELi128ELNS_18Fp8KVCacheDataTypeE1ELb0ELi512EEEvPfS2_PT_PKS3_PKT0_S9_ifPKiSB_iPKfiiiSD_SD_iiiii
                                        ; -- End function
	.section	.AMDGPU.csdata,"",@progbits
; Kernel info:
; codeLenInByte = 4380
; NumSgprs: 53
; NumVgprs: 54
; NumAgprs: 0
; TotalNumVgprs: 54
; ScratchSize: 0
; MemoryBound: 0
; FloatMode: 240
; IeeeMode: 1
; LDSByteSize: 272 bytes/workgroup (compile time only)
; SGPRBlocks: 6
; VGPRBlocks: 6
; NumSGPRsForWavesPerEU: 53
; NumVGPRsForWavesPerEU: 54
; AccumOffset: 56
; Occupancy: 8
; WaveLimiterHint : 1
; COMPUTE_PGM_RSRC2:SCRATCH_EN: 0
; COMPUTE_PGM_RSRC2:USER_SGPR: 2
; COMPUTE_PGM_RSRC2:TRAP_HANDLER: 0
; COMPUTE_PGM_RSRC2:TGID_X_EN: 1
; COMPUTE_PGM_RSRC2:TGID_Y_EN: 1
; COMPUTE_PGM_RSRC2:TGID_Z_EN: 1
; COMPUTE_PGM_RSRC2:TIDIG_COMP_CNT: 0
; COMPUTE_PGM_RSRC3_GFX90A:ACCUM_OFFSET: 13
; COMPUTE_PGM_RSRC3_GFX90A:TG_SPLIT: 0
	.section	.text._ZN4vllm25paged_attention_v2_kernelIfhLi80ELi16ELi128ELNS_18Fp8KVCacheDataTypeE1ELb0ELi512EEEvPfS2_PT_PKS3_PKT0_S9_ifPKiSB_iPKfiiiSD_SD_iiiii,"axG",@progbits,_ZN4vllm25paged_attention_v2_kernelIfhLi80ELi16ELi128ELNS_18Fp8KVCacheDataTypeE1ELb0ELi512EEEvPfS2_PT_PKS3_PKT0_S9_ifPKiSB_iPKfiiiSD_SD_iiiii,comdat
	.protected	_ZN4vllm25paged_attention_v2_kernelIfhLi80ELi16ELi128ELNS_18Fp8KVCacheDataTypeE1ELb0ELi512EEEvPfS2_PT_PKS3_PKT0_S9_ifPKiSB_iPKfiiiSD_SD_iiiii ; -- Begin function _ZN4vllm25paged_attention_v2_kernelIfhLi80ELi16ELi128ELNS_18Fp8KVCacheDataTypeE1ELb0ELi512EEEvPfS2_PT_PKS3_PKT0_S9_ifPKiSB_iPKfiiiSD_SD_iiiii
	.globl	_ZN4vllm25paged_attention_v2_kernelIfhLi80ELi16ELi128ELNS_18Fp8KVCacheDataTypeE1ELb0ELi512EEEvPfS2_PT_PKS3_PKT0_S9_ifPKiSB_iPKfiiiSD_SD_iiiii
	.p2align	8
	.type	_ZN4vllm25paged_attention_v2_kernelIfhLi80ELi16ELi128ELNS_18Fp8KVCacheDataTypeE1ELb0ELi512EEEvPfS2_PT_PKS3_PKT0_S9_ifPKiSB_iPKfiiiSD_SD_iiiii,@function
_ZN4vllm25paged_attention_v2_kernelIfhLi80ELi16ELi128ELNS_18Fp8KVCacheDataTypeE1ELb0ELi512EEEvPfS2_PT_PKS3_PKT0_S9_ifPKiSB_iPKfiiiSD_SD_iiiii: ; @_ZN4vllm25paged_attention_v2_kernelIfhLi80ELi16ELi128ELNS_18Fp8KVCacheDataTypeE1ELb0ELi512EEEvPfS2_PT_PKS3_PKT0_S9_ifPKiSB_iPKfiiiSD_SD_iiiii
; %bb.0:
	s_load_dwordx2 s[6:7], s[0:1], 0x40
	s_mov_b32 s28, s3
	s_ashr_i32 s29, s3, 31
	s_lshl_b64 s[8:9], s[28:29], 2
	s_waitcnt lgkmcnt(0)
	s_add_u32 s6, s6, s8
	s_addc_u32 s7, s7, s9
	s_load_dword s29, s[6:7], 0x0
	s_lshl_b32 s40, s4, 9
	s_waitcnt lgkmcnt(0)
	s_cmp_ge_i32 s40, s29
	s_cbranch_scc1 .LBB220_66
; %bb.1:
	s_load_dword s5, s[0:1], 0x90
	s_load_dwordx2 s[10:11], s[0:1], 0x30
	s_waitcnt lgkmcnt(0)
	s_abs_i32 s7, s5
	s_abs_i32 s3, s10
	v_cvt_f32_u32_e32 v1, s3
	s_sub_i32 s8, 0, s3
	s_xor_b32 s6, s5, s10
	s_ashr_i32 s6, s6, 31
	v_rcp_iflag_f32_e32 v1, v1
	s_nop 0
	v_mul_f32_e32 v1, 0x4f7ffffe, v1
	v_cvt_u32_f32_e32 v1, v1
	s_nop 0
	v_readfirstlane_b32 s9, v1
	s_mul_i32 s8, s8, s9
	s_mul_hi_u32 s8, s9, s8
	s_add_i32 s9, s9, s8
	s_mul_hi_u32 s8, s7, s9
	s_mul_i32 s9, s8, s3
	s_sub_i32 s7, s7, s9
	s_add_i32 s10, s8, 1
	s_sub_i32 s9, s7, s3
	s_cmp_ge_u32 s7, s3
	s_cselect_b32 s8, s10, s8
	s_cselect_b32 s7, s9, s7
	s_add_i32 s9, s8, 1
	s_cmp_ge_u32 s7, s3
	s_cselect_b32 s3, s9, s8
	s_xor_b32 s3, s3, s6
	s_sub_i32 s12, s3, s6
	s_abs_i32 s8, s12
	v_cvt_f32_u32_e32 v1, s8
	s_load_dwordx2 s[6:7], s[0:1], 0x50
	s_sub_i32 s3, 0, s8
	s_abs_i32 s9, s2
	v_rcp_iflag_f32_e32 v1, v1
	s_mov_b32 s10, 0
	v_mul_f32_e32 v1, 0x4f7ffffe, v1
	v_cvt_u32_f32_e32 v1, v1
	s_nop 0
	v_readfirstlane_b32 s13, v1
	s_mul_i32 s3, s3, s13
	s_mul_hi_u32 s3, s13, s3
	s_add_i32 s13, s13, s3
	s_waitcnt lgkmcnt(0)
	s_cmp_eq_u64 s[6:7], 0
	s_mul_hi_u32 s16, s9, s13
	s_cbranch_scc1 .LBB220_3
; %bb.2:
	s_ashr_i32 s3, s2, 31
	s_lshl_b64 s[14:15], s[2:3], 2
	s_add_u32 s6, s6, s14
	s_addc_u32 s7, s7, s15
	s_load_dword s10, s[6:7], 0x0
.LBB220_3:
	s_ashr_i32 s18, s12, 31
	s_load_dwordx4 s[12:15], s[0:1], 0x58
	v_lshrrev_b32_e32 v38, 2, v0
	s_movk_i32 s3, 0x50
	s_ashr_i32 s17, s2, 31
	v_and_b32_e32 v22, 3, v0
	s_mul_i32 s24, s2, 0x50
	v_cmp_gt_u32_e32 vcc, s3, v0
	v_lshlrev_b32_e32 v30, 2, v0
	v_lshlrev_b32_e32 v1, 2, v38
	s_and_saveexec_b64 s[6:7], vcc
	s_cbranch_execz .LBB220_5
; %bb.4:
	s_load_dwordx2 s[20:21], s[0:1], 0x18
	s_waitcnt lgkmcnt(0)
	s_mul_i32 s22, s28, s12
	s_ashr_i32 s23, s22, 31
	s_lshl_b64 s[22:23], s[22:23], 2
	v_mad_u32_u24 v3, v22, s3, v1
	s_add_u32 s12, s20, s22
	s_addc_u32 s15, s21, s23
	s_ashr_i32 s25, s24, 31
	s_lshl_b64 s[20:21], s[24:25], 2
	s_add_u32 s20, s12, s20
	s_addc_u32 s21, s15, s21
	global_load_dword v2, v30, s[20:21]
	s_waitcnt vmcnt(0)
	ds_write_b32 v3, v2
.LBB220_5:
	s_or_b64 exec, exec, s[6:7]
	s_add_i32 s3, s29, 15
	s_ashr_i32 s6, s3, 31
	s_lshr_b32 s6, s6, 28
	s_add_i32 s3, s3, s6
	s_waitcnt lgkmcnt(0)
	s_ashr_i32 s12, s3, 4
	s_lshl_b32 s3, s4, 5
	s_mul_i32 s7, s16, s8
	s_add_i32 s6, s3, 32
	s_sub_i32 s7, s9, s7
	s_min_i32 s33, s6, s12
	s_xor_b32 s6, s17, s18
	s_add_i32 s9, s16, 1
	s_sub_i32 s15, s7, s8
	s_cmp_ge_u32 s7, s8
	s_cselect_b32 s9, s9, s16
	s_cselect_b32 s7, s15, s7
	s_add_i32 s15, s9, 1
	s_cmp_ge_u32 s7, s8
	s_load_dwordx2 s[30:31], s[0:1], 0x38
	s_load_dword s8, s[0:1], 0x48
	v_lshrrev_b32_e32 v31, 6, v0
	s_cselect_b32 s7, s15, s9
	s_xor_b32 s7, s7, s6
	v_or_b32_e32 v24, s3, v31
	s_waitcnt lgkmcnt(0)
	s_mul_i32 s34, s28, s8
	s_sub_i32 s41, s7, s6
	s_ashr_i32 s35, s34, 31
	v_cmp_gt_i32_e64 s[8:9], s33, v24
	v_cmp_le_i32_e32 vcc, s33, v24
	v_mbcnt_lo_u32_b32 v23, -1, 0
	s_barrier
	s_waitcnt lgkmcnt(0)
                                        ; implicit-def: $sgpr15
                                        ; implicit-def: $vgpr32
                                        ; implicit-def: $vgpr33
	s_and_saveexec_b64 s[6:7], vcc
	s_xor_b64 s[6:7], exec, s[6:7]
; %bb.6:
	v_mbcnt_hi_u32_b32 v32, -1, v23
	v_and_b32_e32 v2, 64, v32
	v_add_u32_e32 v33, 64, v2
	s_mov_b32 s15, 0xff7fffff
                                        ; implicit-def: $vgpr23
; %bb.7:
	s_or_saveexec_b64 s[38:39], s[6:7]
	s_load_dwordx4 s[20:23], s[0:1], 0x0
	s_load_dwordx2 s[26:27], s[0:1], 0x10
	s_load_dword s25, s[0:1], 0x98
	s_load_dwordx2 s[36:37], s[0:1], 0x28
	s_load_dwordx4 s[16:19], s[0:1], 0x68
	v_mov_b32_e32 v34, s15
	s_mul_i32 s41, s41, s14
	v_ashrrev_i32_e32 v25, 31, v24
	s_xor_b64 exec, exec, s[38:39]
	s_cbranch_execz .LBB220_13
; %bb.8:
	s_load_dwordx2 s[0:1], s[0:1], 0x20
	v_mul_u32_u24_e32 v18, 0x50, v22
	v_mbcnt_hi_u32_b32 v32, -1, v23
	ds_read_b128 v[2:5], v18
	ds_read_b128 v[6:9], v18 offset:16
	ds_read_b128 v[10:13], v18 offset:32
	;; [unrolled: 1-line block ×4, first 2 shown]
	v_and_b32_e32 v23, 64, v32
	s_ashr_i32 s6, s41, 31
	v_add_u32_e32 v33, 64, v23
	v_xor_b32_e32 v23, 2, v32
	v_bfe_u32 v34, v0, 2, 4
	s_waitcnt lgkmcnt(0)
	s_add_u32 s0, s0, s41
	v_cmp_lt_i32_e32 vcc, v23, v33
	v_lshlrev_b32_e32 v28, 4, v34
	s_addc_u32 s1, s1, s6
	v_mov_b32_e32 v29, 0
	v_cndmask_b32_e32 v23, v32, v23, vcc
	s_load_dword s43, s[16:17], 0x0
	v_lshl_add_u64 v[26:27], s[0:1], 0, v[28:29]
	v_lshlrev_b32_e32 v35, 2, v23
	v_xor_b32_e32 v23, 1, v32
	s_sub_i32 s44, 1, s29
	v_lshlrev_b32_e32 v28, 4, v31
	s_lshl_b64 s[0:1], s[34:35], 2
	v_cmp_lt_i32_e32 vcc, v23, v33
	v_add3_u32 v37, s40, v28, v34
	v_lshlrev_b32_e32 v28, 2, v34
	s_add_u32 s0, s30, s0
	v_cndmask_b32_e32 v23, v32, v23, vcc
	v_lshl_or_b32 v28, v31, 6, v28
	s_addc_u32 s1, s31, s1
	s_mov_b32 s42, s13
	v_lshlrev_b32_e32 v36, 2, v23
	v_cmp_eq_u32_e32 vcc, 0, v22
	v_cmp_neq_f32_e64 s[6:7], s10, 0
	v_mov_b32_e32 v23, v29
	v_add_u32_e32 v39, 0x150, v28
	v_lshl_add_u64 v[28:29], v[24:25], 2, s[0:1]
	s_mov_b64 s[14:15], 0
	v_mov_b32_e32 v34, 0xff7fffff
	v_mov_b32_e32 v40, v24
	s_branch .LBB220_10
.LBB220_9:                              ;   in Loop: Header=BB220_10 Depth=1
	s_or_b64 exec, exec, s[16:17]
	v_add_u32_e32 v40, 2, v40
	v_cmp_le_i32_e64 s[0:1], s33, v40
	v_add_u32_e32 v37, 32, v37
	v_add_u32_e32 v39, 0x80, v39
	s_or_b64 s[14:15], s[0:1], s[14:15]
	v_lshl_add_u64 v[28:29], v[28:29], 0, 8
	s_andn2_b64 exec, exec, s[14:15]
	s_cbranch_execz .LBB220_12
.LBB220_10:                             ; =>This Inner Loop Header: Depth=1
	global_load_dword v41, v[28:29], off
	s_waitcnt vmcnt(0) lgkmcnt(0)
	v_mad_i64_i32 v[42:43], s[0:1], v41, s42, v[26:27]
	v_lshl_add_u64 v[42:43], v[42:43], 0, v[22:23]
	global_load_ubyte v41, v[42:43], off
	global_load_ubyte v44, v[42:43], off offset:4
	global_load_ubyte v45, v[42:43], off offset:8
	;; [unrolled: 1-line block ×19, first 2 shown]
	s_waitcnt vmcnt(19)
	v_cvt_f32_fp8_sdwa v41, v41 src0_sel:BYTE_0
	s_waitcnt vmcnt(18)
	v_cvt_f32_fp8_sdwa v42, v44 src0_sel:BYTE_0
	;; [unrolled: 2-line block ×5, first 2 shown]
	s_waitcnt lgkmcnt(0)
	v_mul_f32_e32 v42, s43, v42
	s_waitcnt vmcnt(14)
	v_cvt_f32_fp8_sdwa v46, v48 src0_sel:BYTE_0
	v_mul_f32_e32 v41, s43, v41
	v_mul_f32_e32 v42, v3, v42
	s_waitcnt vmcnt(13)
	v_cvt_f32_fp8_sdwa v47, v49 src0_sel:BYTE_0
	v_mul_f32_e32 v43, s43, v43
	v_fmac_f32_e32 v42, v2, v41
	s_waitcnt vmcnt(12)
	v_cvt_f32_fp8_sdwa v48, v50 src0_sel:BYTE_0
	v_mul_f32_e32 v44, s43, v44
	v_fmac_f32_e32 v42, v4, v43
	;; [unrolled: 4-line block ×14, first 2 shown]
	v_mul_f32_e32 v57, s43, v57
	v_fmac_f32_e32 v42, v17, v56
	v_mul_f32_e32 v58, s43, v58
	v_fmac_f32_e32 v42, v18, v57
	;; [unrolled: 2-line block ×4, first 2 shown]
	v_fmac_f32_e32 v42, v21, v60
	ds_bpermute_b32 v41, v35, v42
	s_waitcnt lgkmcnt(0)
	v_add_f32_e32 v41, v42, v41
	ds_bpermute_b32 v42, v36, v41
	s_and_saveexec_b64 s[16:17], vcc
	s_cbranch_execz .LBB220_9
; %bb.11:                               ;   in Loop: Header=BB220_10 Depth=1
	v_add_u32_e32 v43, s44, v37
	v_cvt_f32_i32_e32 v43, v43
	s_waitcnt lgkmcnt(0)
	v_add_f32_e32 v41, v41, v42
	v_cmp_gt_i32_e64 s[0:1], s29, v37
	v_max_f32_e32 v42, v34, v34
	v_mul_f32_e32 v43, s10, v43
	v_cndmask_b32_e64 v43, 0, v43, s[6:7]
	v_fmac_f32_e32 v43, s11, v41
	v_cndmask_b32_e64 v41, 0, v43, s[0:1]
	ds_write_b32 v39, v41
	v_max_f32_e32 v41, v42, v43
	v_cndmask_b32_e64 v34, v34, v41, s[0:1]
	s_branch .LBB220_9
.LBB220_12:
	s_or_b64 exec, exec, s[14:15]
.LBB220_13:
	s_or_b64 exec, exec, s[38:39]
	v_xor_b32_e32 v2, 32, v32
	v_cmp_lt_i32_e32 vcc, v2, v33
	v_xor_b32_e32 v5, 16, v32
	v_max_f32_e32 v4, v34, v34
	v_cndmask_b32_e32 v2, v32, v2, vcc
	v_lshlrev_b32_e32 v2, 2, v2
	ds_bpermute_b32 v3, v2, v34
	v_cmp_lt_i32_e32 vcc, v5, v33
	v_xor_b32_e32 v6, 8, v32
	v_and_b32_e32 v23, 63, v0
	s_waitcnt lgkmcnt(0)
	v_max_f32_e32 v3, v3, v3
	v_max_f32_e32 v4, v4, v3
	v_cndmask_b32_e32 v3, v32, v5, vcc
	v_lshlrev_b32_e32 v3, 2, v3
	ds_bpermute_b32 v5, v3, v4
	v_cmp_lt_i32_e32 vcc, v6, v33
	s_waitcnt lgkmcnt(0)
	v_max_f32_e32 v5, v5, v5
	v_max_f32_e32 v4, v4, v5
	v_cndmask_b32_e32 v5, v32, v6, vcc
	v_lshlrev_b32_e32 v7, 2, v5
	ds_bpermute_b32 v5, v7, v4
	v_xor_b32_e32 v6, 4, v32
	v_cmp_lt_i32_e32 vcc, v6, v33
	s_waitcnt lgkmcnt(0)
	v_max_f32_e32 v5, v5, v5
	v_max_f32_e32 v4, v4, v5
	v_cndmask_b32_e32 v5, v32, v6, vcc
	v_lshlrev_b32_e32 v8, 2, v5
	ds_bpermute_b32 v6, v8, v4
	v_cmp_eq_u32_e32 vcc, 0, v23
	v_lshlrev_b32_e32 v5, 2, v31
	s_and_saveexec_b64 s[0:1], vcc
	s_cbranch_execz .LBB220_15
; %bb.14:
	s_waitcnt lgkmcnt(0)
	v_max_f32_e32 v6, v6, v6
	v_max_f32_e32 v4, v4, v4
	;; [unrolled: 1-line block ×3, first 2 shown]
	ds_write_b32 v5, v4 offset:320
.LBB220_15:
	s_or_b64 exec, exec, s[0:1]
	v_cmp_gt_u32_e64 s[0:1], 2, v23
	v_mov_b32_e32 v4, 0xff7fffff
	s_waitcnt lgkmcnt(0)
	v_lshlrev_b32_e32 v6, 2, v23
	s_barrier
	s_and_saveexec_b64 s[6:7], s[0:1]
	s_cbranch_execz .LBB220_17
; %bb.16:
	ds_read_b32 v4, v6 offset:320
.LBB220_17:
	s_or_b64 exec, exec, s[6:7]
	v_xor_b32_e32 v9, 1, v32
	v_cmp_lt_i32_e64 s[6:7], v9, v33
	s_sub_i32 s3, s33, s3
	s_lshl_b32 s3, s3, 4
	v_cndmask_b32_e64 v9, v32, v9, s[6:7]
	v_lshlrev_b32_e32 v39, 2, v9
	s_waitcnt lgkmcnt(0)
	ds_bpermute_b32 v9, v39, v4
	v_max_f32_e32 v4, v4, v4
	s_add_i32 s3, s3, s40
	s_min_i32 s38, s3, s29
	s_sub_i32 s3, s38, s40
	s_waitcnt lgkmcnt(0)
	v_max_f32_e32 v9, v9, v9
	v_max_f32_e32 v4, v4, v9
	v_lshlrev_b32_e32 v9, 2, v32
	v_and_b32_e32 v9, 0xffffff00, v9
	ds_bpermute_b32 v4, v9, v4
	v_cmp_gt_i32_e64 s[6:7], s3, v0
	v_mov_b32_e32 v10, 0
	s_and_saveexec_b64 s[14:15], s[6:7]
	s_cbranch_execz .LBB220_21
; %bb.18:
	v_mov_b32_e32 v10, 0x150
	v_lshl_add_u32 v11, v0, 2, v10
	s_mov_b64 s[16:17], 0
	v_mov_b32_e32 v10, 0
	v_mov_b32_e32 v12, v0
.LBB220_19:                             ; =>This Inner Loop Header: Depth=1
	ds_read_b32 v13, v11
	v_add_u32_e32 v12, 0x80, v12
	v_cmp_le_i32_e64 s[10:11], s3, v12
	s_or_b64 s[16:17], s[10:11], s[16:17]
	s_waitcnt lgkmcnt(0)
	v_sub_f32_e32 v13, v13, v4
	v_mul_f32_e32 v13, 0x3fb8aa3b, v13
	v_exp_f32_e32 v13, v13
	ds_write_b32 v11, v13
	v_add_f32_e32 v10, v10, v13
	v_add_u32_e32 v11, 0x200, v11
	s_andn2_b64 exec, exec, s[16:17]
	s_cbranch_execnz .LBB220_19
; %bb.20:
	s_or_b64 exec, exec, s[16:17]
.LBB220_21:
	s_or_b64 exec, exec, s[14:15]
	ds_bpermute_b32 v2, v2, v10
	s_waitcnt lgkmcnt(0)
	v_add_f32_e32 v2, v10, v2
	ds_bpermute_b32 v3, v3, v2
	s_waitcnt lgkmcnt(0)
	v_add_f32_e32 v2, v2, v3
	ds_bpermute_b32 v3, v7, v2
	v_xor_b32_e32 v7, 2, v32
	v_cmp_lt_i32_e64 s[10:11], v7, v33
	s_waitcnt lgkmcnt(0)
	v_add_f32_e32 v2, v2, v3
	ds_bpermute_b32 v3, v8, v2
	v_cndmask_b32_e64 v7, v32, v7, s[10:11]
	v_lshlrev_b32_e32 v40, 2, v7
	s_waitcnt lgkmcnt(0)
	v_add_f32_e32 v2, v2, v3
	ds_bpermute_b32 v3, v40, v2
	s_waitcnt lgkmcnt(0)
	v_add_f32_e32 v2, v2, v3
	ds_bpermute_b32 v3, v39, v2
	s_waitcnt lgkmcnt(0)
	v_add_f32_e32 v2, v2, v3
	s_and_saveexec_b64 s[10:11], vcc
	s_cbranch_execz .LBB220_23
; %bb.22:
	ds_write_b32 v5, v2 offset:328
.LBB220_23:
	s_or_b64 exec, exec, s[10:11]
	s_waitcnt lgkmcnt(0)
	s_barrier
	s_and_saveexec_b64 s[10:11], s[0:1]
	s_cbranch_execz .LBB220_25
; %bb.24:
	ds_read_b32 v2, v6 offset:328
.LBB220_25:
	s_or_b64 exec, exec, s[10:11]
	s_waitcnt lgkmcnt(0)
	ds_bpermute_b32 v3, v39, v2
	s_waitcnt lgkmcnt(0)
	v_add_f32_e32 v2, v2, v3
	ds_bpermute_b32 v5, v9, v2
	s_and_saveexec_b64 s[0:1], s[6:7]
	s_cbranch_execz .LBB220_38
; %bb.26:
	s_waitcnt lgkmcnt(0)
	v_add_f32_e32 v2, 0x358637bd, v5
	v_div_scale_f32 v3, s[6:7], v2, v2, 1.0
	v_rcp_f32_e32 v6, v3
	v_div_scale_f32 v7, vcc, 1.0, v2, 1.0
	s_movk_i32 s6, 0x7f
	v_fma_f32 v8, -v3, v6, 1.0
	v_fmac_f32_e32 v6, v8, v6
	v_mul_f32_e32 v8, v7, v6
	v_fma_f32 v9, -v3, v8, v7
	v_fmac_f32_e32 v8, v9, v6
	v_fma_f32 v3, -v3, v8, v7
	v_div_fmas_f32 v3, v3, v6, v8
	v_div_fixup_f32 v2, v3, v2, 1.0
	v_xad_u32 v3, v0, -1, s38
	v_subrev_u32_e32 v6, s40, v3
	v_cmp_lt_u32_e32 vcc, s6, v6
	s_mov_b64 s[10:11], -1
	v_mov_b32_e32 v3, v0
	s_and_saveexec_b64 s[6:7], vcc
	s_cbranch_execz .LBB220_35
; %bb.27:
	v_lshrrev_b32_e32 v6, 7, v6
	v_add_u32_e32 v8, -1, v6
	v_lshrrev_b32_e32 v7, 1, v8
	v_mov_b32_e32 v3, v2
	v_add_u32_e32 v7, 1, v7
	v_cmp_lt_u32_e32 vcc, 13, v8
	v_mov_b32_e32 v10, 0
	s_and_saveexec_b64 s[10:11], vcc
	s_cbranch_execz .LBB220_31
; %bb.28:
	v_mov_b32_e32 v9, 0x150
	v_and_b32_e32 v8, -8, v7
	v_lshl_add_u32 v9, v0, 2, v9
	s_mov_b32 s16, 0
	s_mov_b64 s[14:15], 0
.LBB220_29:                             ; =>This Inner Loop Header: Depth=1
	ds_read2st64_b32 v[10:11], v9 offset1:2
	ds_read2st64_b32 v[12:13], v9 offset0:4 offset1:6
	ds_read2st64_b32 v[14:15], v9 offset0:8 offset1:10
	;; [unrolled: 1-line block ×3, first 2 shown]
	v_add_u32_e32 v8, -8, v8
	s_waitcnt lgkmcnt(3)
	v_pk_mul_f32 v[10:11], v[2:3], v[10:11]
	s_waitcnt lgkmcnt(2)
	v_pk_mul_f32 v[12:13], v[2:3], v[12:13]
	ds_write2st64_b32 v9, v10, v11 offset1:2
	ds_write2st64_b32 v9, v12, v13 offset0:4 offset1:6
	ds_read2st64_b32 v[12:13], v9 offset0:16 offset1:18
	s_waitcnt lgkmcnt(4)
	v_pk_mul_f32 v[10:11], v[2:3], v[14:15]
	ds_write2st64_b32 v9, v10, v11 offset0:8 offset1:10
	s_waitcnt lgkmcnt(4)
	v_pk_mul_f32 v[10:11], v[2:3], v[16:17]
	ds_write2st64_b32 v9, v10, v11 offset0:12 offset1:14
	ds_read2st64_b32 v[10:11], v9 offset0:20 offset1:22
	s_waitcnt lgkmcnt(3)
	v_pk_mul_f32 v[12:13], v[2:3], v[12:13]
	ds_read2st64_b32 v[14:15], v9 offset0:24 offset1:26
	ds_write2st64_b32 v9, v12, v13 offset0:16 offset1:18
	ds_read2st64_b32 v[12:13], v9 offset0:28 offset1:30
	s_waitcnt lgkmcnt(3)
	v_pk_mul_f32 v[10:11], v[2:3], v[10:11]
	ds_write2st64_b32 v9, v10, v11 offset0:20 offset1:22
	s_waitcnt lgkmcnt(3)
	v_pk_mul_f32 v[10:11], v[2:3], v[14:15]
	ds_write2st64_b32 v9, v10, v11 offset0:24 offset1:26
	s_waitcnt lgkmcnt(2)
	v_pk_mul_f32 v[10:11], v[2:3], v[12:13]
	s_add_i32 s16, s16, 16
	v_cmp_eq_u32_e32 vcc, 0, v8
	ds_write2st64_b32 v9, v10, v11 offset0:28 offset1:30
	v_add_u32_e32 v9, 0x2000, v9
	s_or_b64 s[14:15], vcc, s[14:15]
	v_mov_b32_e32 v10, s16
	s_andn2_b64 exec, exec, s[14:15]
	s_cbranch_execnz .LBB220_29
; %bb.30:
	s_or_b64 exec, exec, s[14:15]
.LBB220_31:
	s_or_b64 exec, exec, s[10:11]
	v_and_b32_e32 v7, 7, v7
	v_cmp_ne_u32_e32 vcc, 0, v7
	s_and_saveexec_b64 s[10:11], vcc
	s_cbranch_execz .LBB220_34
; %bb.32:
	v_lshlrev_b32_e32 v8, 9, v10
	s_movk_i32 s14, 0x150
	v_add3_u32 v8, v8, v30, s14
	s_mov_b64 s[14:15], 0
.LBB220_33:                             ; =>This Inner Loop Header: Depth=1
	ds_read2st64_b32 v[10:11], v8 offset1:2
	v_add_u32_e32 v7, -1, v7
	v_cmp_eq_u32_e32 vcc, 0, v7
	s_or_b64 s[14:15], vcc, s[14:15]
	s_waitcnt lgkmcnt(0)
	v_pk_mul_f32 v[10:11], v[2:3], v[10:11]
	ds_write2st64_b32 v8, v10, v11 offset1:2
	v_add_u32_e32 v8, 0x400, v8
	s_andn2_b64 exec, exec, s[14:15]
	s_cbranch_execnz .LBB220_33
.LBB220_34:
	s_or_b64 exec, exec, s[10:11]
	v_add_u32_e32 v6, 1, v6
	v_and_b32_e32 v7, 0x3fffffe, v6
	v_cmp_ne_u32_e32 vcc, v6, v7
	v_lshl_add_u32 v3, v7, 7, v0
	s_orn2_b64 s[10:11], vcc, exec
.LBB220_35:
	s_or_b64 exec, exec, s[6:7]
	s_and_b64 exec, exec, s[10:11]
	s_cbranch_execz .LBB220_38
; %bb.36:
	v_mov_b32_e32 v6, 0x150
	v_lshl_add_u32 v6, v3, 2, v6
	s_mov_b64 s[6:7], 0
.LBB220_37:                             ; =>This Inner Loop Header: Depth=1
	ds_read_b32 v7, v6
	v_add_u32_e32 v3, 0x80, v3
	v_cmp_le_i32_e32 vcc, s3, v3
	s_or_b64 s[6:7], vcc, s[6:7]
	s_waitcnt lgkmcnt(0)
	v_mul_f32_e32 v7, v2, v7
	ds_write_b32 v6, v7
	v_add_u32_e32 v6, 0x200, v6
	s_andn2_b64 exec, exec, s[6:7]
	s_cbranch_execnz .LBB220_37
.LBB220_38:
	s_or_b64 exec, exec, s[0:1]
	s_mul_i32 s0, s25, s28
	v_cmp_eq_u32_e32 vcc, 0, v0
	s_mul_i32 s6, s0, s5
	s_waitcnt lgkmcnt(0)
	s_barrier
	s_and_saveexec_b64 s[0:1], vcc
	s_cbranch_execz .LBB220_40
; %bb.39:
	s_ashr_i32 s7, s6, 31
	s_lshl_b64 s[10:11], s[6:7], 2
	s_add_u32 s5, s22, s10
	s_mul_i32 s2, s25, s2
	s_addc_u32 s7, s23, s11
	s_ashr_i32 s3, s2, 31
	s_lshl_b64 s[2:3], s[2:3], 2
	s_add_u32 s16, s5, s2
	s_addc_u32 s7, s7, s3
	s_ashr_i32 s5, s4, 31
	s_lshl_b64 s[14:15], s[4:5], 2
	s_add_u32 s16, s16, s14
	s_addc_u32 s17, s7, s15
	s_add_u32 s5, s20, s10
	s_addc_u32 s7, s21, s11
	;; [unrolled: 2-line block ×3, first 2 shown]
	s_add_u32 s2, s2, s14
	v_mov_b32_e32 v2, 0
	s_addc_u32 s3, s3, s15
	global_store_dword v2, v4, s[16:17]
	global_store_dword v2, v5, s[2:3]
.LBB220_40:
	s_or_b64 exec, exec, s[0:1]
	v_mov_b32_e32 v41, 0
	v_mov_b32_e32 v9, 0
	;; [unrolled: 1-line block ×5, first 2 shown]
	s_and_saveexec_b64 s[2:3], s[8:9]
	s_cbranch_execz .LBB220_54
; %bb.41:
	s_ashr_i32 s1, s41, 31
	s_load_dword s8, s[18:19], 0x0
	s_add_u32 s0, s36, s41
	s_addc_u32 s1, s37, s1
	v_and_b32_e32 v6, 0xfc, v30
	v_mov_b32_e32 v7, 0
	v_and_b32_e32 v2, 12, v30
	s_add_i32 s7, s12, -1
	v_lshl_add_u64 v[10:11], s[0:1], 0, v[6:7]
	v_lshl_add_u32 v3, v31, 4, s40
	s_lshl_b64 s[0:1], s[34:35], 2
	v_add3_u32 v42, v3, v2, 3
	v_lshlrev_b32_e32 v2, 4, v22
	s_add_u32 s0, s30, s0
	v_lshl_or_b32 v2, v31, 6, v2
	s_addc_u32 s1, s31, s1
	s_mov_b32 s5, s13
	s_waitcnt lgkmcnt(0)
	s_mov_b32 s9, s8
	v_add_u32_e32 v43, 0x150, v2
	v_lshl_add_u64 v[12:13], v[24:25], 2, s[0:1]
	s_mov_b64 s[10:11], 0
	v_mov_b32_e32 v6, v7
	v_mov_b32_e32 v8, v7
	;; [unrolled: 1-line block ×4, first 2 shown]
	s_branch .LBB220_43
.LBB220_42:                             ;   in Loop: Header=BB220_43 Depth=1
	s_or_b64 exec, exec, s[0:1]
	s_waitcnt lgkmcnt(0)
	v_mul_f32_e32 v17, v3, v17
	v_fmac_f32_e32 v17, v2, v16
	v_fmac_f32_e32 v17, v4, v14
	v_mul_f32_e32 v14, v3, v27
	v_fmac_f32_e32 v14, v2, v26
	v_fmac_f32_e32 v14, v4, v20
	;; [unrolled: 1-line block ×3, first 2 shown]
	v_add_f32_e32 v7, v7, v14
	v_mul_f32_e32 v14, v3, v31
	v_fmac_f32_e32 v14, v2, v30
	v_fmac_f32_e32 v14, v4, v28
	v_fmac_f32_e32 v14, v5, v29
	v_add_f32_e32 v8, v8, v14
	v_mul_f32_e32 v14, v3, v35
	v_mul_f32_e32 v3, v3, v37
	v_fmac_f32_e32 v14, v2, v34
	v_fmac_f32_e32 v3, v2, v36
	;; [unrolled: 1-line block ×4, first 2 shown]
	v_add_u32_e32 v24, 2, v24
	v_fmac_f32_e32 v17, v5, v15
	v_fmac_f32_e32 v14, v5, v33
	;; [unrolled: 1-line block ×3, first 2 shown]
	v_cmp_le_i32_e32 vcc, s33, v24
	v_add_f32_e32 v6, v6, v17
	v_add_f32_e32 v9, v9, v14
	;; [unrolled: 1-line block ×3, first 2 shown]
	v_add_u32_e32 v42, 32, v42
	v_add_u32_e32 v43, 0x80, v43
	s_or_b64 s[10:11], vcc, s[10:11]
	v_lshl_add_u64 v[12:13], v[12:13], 0, 8
	s_andn2_b64 exec, exec, s[10:11]
	s_cbranch_execz .LBB220_53
.LBB220_43:                             ; =>This Inner Loop Header: Depth=1
	global_load_dword v2, v[12:13], off
	v_add_u32_e32 v25, -3, v42
	v_cmp_eq_u32_e32 vcc, s7, v24
	v_add_u32_e32 v44, -2, v42
	v_add_u32_e32 v45, -1, v42
	s_waitcnt vmcnt(0)
	v_mad_i64_i32 v[18:19], s[0:1], v2, s5, v[10:11]
	global_load_dword v14, v[18:19], off
	ds_read_b128 v[2:5], v43
	s_waitcnt vmcnt(0)
	v_and_b32_e32 v15, 0xffff, v14
	v_lshrrev_b32_e32 v16, 16, v14
	v_cvt_pk_f32_fp8_e32 v[14:15], v15
	v_cvt_pk_f32_fp8_e32 v[20:21], v16
	v_pk_mul_f32 v[16:17], s[8:9], v[14:15]
	v_pk_mul_f32 v[14:15], s[8:9], v[20:21]
	s_and_saveexec_b64 s[12:13], vcc
; %bb.44:                               ;   in Loop: Header=BB220_43 Depth=1
	v_cmp_gt_i32_e64 s[0:1], s29, v25
	s_nop 1
	v_cndmask_b32_e64 v16, 0, v16, s[0:1]
	v_cmp_gt_i32_e64 s[0:1], s29, v44
	s_nop 1
	v_cndmask_b32_e64 v17, 0, v17, s[0:1]
	v_cmp_gt_i32_e64 s[0:1], s29, v45
	s_nop 1
	v_cndmask_b32_e64 v14, 0, v14, s[0:1]
	v_cmp_gt_i32_e64 s[0:1], s29, v42
	s_nop 1
	v_cndmask_b32_e64 v15, 0, v15, s[0:1]
; %bb.45:                               ;   in Loop: Header=BB220_43 Depth=1
	s_or_b64 exec, exec, s[12:13]
	global_load_dword v20, v[18:19], off offset:256
	s_waitcnt vmcnt(0)
	v_and_b32_e32 v21, 0xffff, v20
	v_lshrrev_b32_e32 v26, 16, v20
	v_cvt_pk_f32_fp8_e32 v[20:21], v21
	v_cvt_pk_f32_fp8_e32 v[28:29], v26
	v_pk_mul_f32 v[26:27], s[8:9], v[20:21]
	v_pk_mul_f32 v[20:21], s[8:9], v[28:29]
	s_and_saveexec_b64 s[12:13], vcc
; %bb.46:                               ;   in Loop: Header=BB220_43 Depth=1
	v_cmp_gt_i32_e64 s[0:1], s29, v25
	s_nop 1
	v_cndmask_b32_e64 v26, 0, v26, s[0:1]
	v_cmp_gt_i32_e64 s[0:1], s29, v44
	s_nop 1
	v_cndmask_b32_e64 v27, 0, v27, s[0:1]
	v_cmp_gt_i32_e64 s[0:1], s29, v45
	s_nop 1
	v_cndmask_b32_e64 v20, 0, v20, s[0:1]
	v_cmp_gt_i32_e64 s[0:1], s29, v42
	s_nop 1
	v_cndmask_b32_e64 v21, 0, v21, s[0:1]
; %bb.47:                               ;   in Loop: Header=BB220_43 Depth=1
	s_or_b64 exec, exec, s[12:13]
	global_load_dword v28, v[18:19], off offset:512
	;; [unrolled: 24-line block ×4, first 2 shown]
	s_waitcnt vmcnt(0)
	v_and_b32_e32 v19, 0xffff, v18
	v_lshrrev_b32_e32 v36, 16, v18
	v_cvt_pk_f32_fp8_e32 v[18:19], v19
	v_cvt_pk_f32_fp8_e32 v[46:47], v36
	v_pk_mul_f32 v[36:37], s[8:9], v[18:19]
	v_pk_mul_f32 v[18:19], s[8:9], v[46:47]
	s_and_saveexec_b64 s[0:1], vcc
	s_cbranch_execz .LBB220_42
; %bb.52:                               ;   in Loop: Header=BB220_43 Depth=1
	v_cmp_gt_i32_e32 vcc, s29, v25
	s_nop 1
	v_cndmask_b32_e32 v36, 0, v36, vcc
	v_cmp_gt_i32_e32 vcc, s29, v44
	s_nop 1
	v_cndmask_b32_e32 v37, 0, v37, vcc
	;; [unrolled: 3-line block ×4, first 2 shown]
	s_branch .LBB220_42
.LBB220_53:
	s_or_b64 exec, exec, s[10:11]
.LBB220_54:
	s_or_b64 exec, exec, s[2:3]
	ds_bpermute_b32 v2, v40, v6
	ds_bpermute_b32 v3, v40, v7
	;; [unrolled: 1-line block ×5, first 2 shown]
	s_waitcnt lgkmcnt(0)
	v_pk_add_f32 v[2:3], v[6:7], v[2:3]
	ds_bpermute_b32 v6, v39, v2
	v_pk_add_f32 v[4:5], v[8:9], v[4:5]
	ds_bpermute_b32 v7, v39, v3
	ds_bpermute_b32 v8, v39, v4
	;; [unrolled: 1-line block ×3, first 2 shown]
	v_add_f32_e32 v10, v41, v10
	ds_bpermute_b32 v11, v39, v10
	s_waitcnt lgkmcnt(3)
	v_pk_add_f32 v[6:7], v[2:3], v[6:7]
	s_barrier
	s_waitcnt lgkmcnt(1)
	v_pk_add_f32 v[2:3], v[4:5], v[8:9]
	v_and_b32_e32 v5, 0x3c3, v0
	s_waitcnt lgkmcnt(0)
	v_add_f32_e32 v4, v10, v11
	v_cmp_eq_u32_e32 vcc, 64, v5
	s_and_saveexec_b64 s[0:1], vcc
	s_cbranch_execz .LBB220_56
; %bb.55:
	v_add_u32_e32 v8, 0x150, v23
	ds_write2_b32 v8, v6, v7 offset1:16
	ds_write2_b32 v8, v2, v3 offset0:32 offset1:48
	ds_write_b32 v8, v4 offset:256
.LBB220_56:
	s_or_b64 exec, exec, s[0:1]
	v_cmp_gt_u32_e32 vcc, 64, v0
	s_waitcnt lgkmcnt(0)
	s_barrier
	s_and_saveexec_b64 s[0:1], vcc
	s_cbranch_execz .LBB220_64
; %bb.57:
	v_cmp_eq_u32_e32 vcc, 0, v22
	s_and_saveexec_b64 s[2:3], vcc
	s_cbranch_execnz .LBB220_67
; %bb.58:
	s_or_b64 exec, exec, s[2:3]
	s_and_saveexec_b64 s[2:3], vcc
	s_cbranch_execnz .LBB220_68
.LBB220_59:
	s_or_b64 exec, exec, s[2:3]
	s_and_saveexec_b64 s[2:3], vcc
	s_cbranch_execnz .LBB220_69
.LBB220_60:
	s_or_b64 exec, exec, s[2:3]
	s_and_saveexec_b64 s[2:3], vcc
	s_cbranch_execnz .LBB220_70
.LBB220_61:
	s_or_b64 exec, exec, s[2:3]
	s_and_saveexec_b64 s[2:3], vcc
	s_cbranch_execz .LBB220_63
.LBB220_62:
	v_mov_b32_e32 v0, 0x150
	v_lshl_add_u32 v0, v38, 2, v0
	ds_read_b32 v0, v0 offset:256
	s_waitcnt lgkmcnt(0)
	v_add_f32_e32 v4, v4, v0
.LBB220_63:
	s_or_b64 exec, exec, s[2:3]
.LBB220_64:
	s_or_b64 exec, exec, s[0:1]
	v_cmp_eq_u32_e32 vcc, 0, v5
	s_barrier
	s_and_saveexec_b64 s[0:1], vcc
	s_cbranch_execz .LBB220_66
; %bb.65:
	s_mul_i32 s0, s6, 0x50
	s_ashr_i32 s1, s0, 31
	s_lshl_b64 s[0:1], s[0:1], 2
	s_add_u32 s2, s26, s0
	s_mul_i32 s0, s25, s24
	s_addc_u32 s3, s27, s1
	s_ashr_i32 s1, s0, 31
	s_lshl_b64 s[0:1], s[0:1], 2
	s_add_u32 s2, s2, s0
	s_mul_i32 s0, s4, 0x50
	s_addc_u32 s3, s3, s1
	s_ashr_i32 s1, s0, 31
	s_lshl_b64 s[0:1], s[0:1], 2
	s_add_u32 s0, s2, s0
	s_addc_u32 s1, s3, s1
	global_store_dword v1, v6, s[0:1]
	global_store_dword v1, v7, s[0:1] offset:64
	global_store_dword v1, v2, s[0:1] offset:128
	;; [unrolled: 1-line block ×4, first 2 shown]
.LBB220_66:
	s_endpgm
.LBB220_67:
	v_mov_b32_e32 v0, 0x150
	v_lshl_add_u32 v0, v38, 2, v0
	ds_read_b32 v0, v0
	s_waitcnt lgkmcnt(0)
	v_add_f32_e32 v6, v6, v0
	s_or_b64 exec, exec, s[2:3]
	s_and_saveexec_b64 s[2:3], vcc
	s_cbranch_execz .LBB220_59
.LBB220_68:
	v_mov_b32_e32 v0, 0x150
	v_lshl_add_u32 v0, v38, 2, v0
	ds_read_b32 v0, v0 offset:64
	s_waitcnt lgkmcnt(0)
	v_add_f32_e32 v7, v7, v0
	s_or_b64 exec, exec, s[2:3]
	s_and_saveexec_b64 s[2:3], vcc
	s_cbranch_execz .LBB220_60
.LBB220_69:
	v_mov_b32_e32 v0, 0x150
	v_lshl_add_u32 v0, v38, 2, v0
	ds_read_b32 v0, v0 offset:128
	s_waitcnt lgkmcnt(0)
	v_add_f32_e32 v2, v2, v0
	s_or_b64 exec, exec, s[2:3]
	s_and_saveexec_b64 s[2:3], vcc
	s_cbranch_execz .LBB220_61
.LBB220_70:
	v_mov_b32_e32 v0, 0x150
	v_lshl_add_u32 v0, v38, 2, v0
	ds_read_b32 v0, v0 offset:192
	s_waitcnt lgkmcnt(0)
	v_add_f32_e32 v3, v3, v0
	s_or_b64 exec, exec, s[2:3]
	s_and_saveexec_b64 s[2:3], vcc
	s_cbranch_execnz .LBB220_62
	s_branch .LBB220_63
	.section	.rodata,"a",@progbits
	.p2align	6, 0x0
	.amdhsa_kernel _ZN4vllm25paged_attention_v2_kernelIfhLi80ELi16ELi128ELNS_18Fp8KVCacheDataTypeE1ELb0ELi512EEEvPfS2_PT_PKS3_PKT0_S9_ifPKiSB_iPKfiiiSD_SD_iiiii
		.amdhsa_group_segment_fixed_size 336
		.amdhsa_private_segment_fixed_size 0
		.amdhsa_kernarg_size 400
		.amdhsa_user_sgpr_count 2
		.amdhsa_user_sgpr_dispatch_ptr 0
		.amdhsa_user_sgpr_queue_ptr 0
		.amdhsa_user_sgpr_kernarg_segment_ptr 1
		.amdhsa_user_sgpr_dispatch_id 0
		.amdhsa_user_sgpr_kernarg_preload_length 0
		.amdhsa_user_sgpr_kernarg_preload_offset 0
		.amdhsa_user_sgpr_private_segment_size 0
		.amdhsa_uses_dynamic_stack 0
		.amdhsa_enable_private_segment 0
		.amdhsa_system_sgpr_workgroup_id_x 1
		.amdhsa_system_sgpr_workgroup_id_y 1
		.amdhsa_system_sgpr_workgroup_id_z 1
		.amdhsa_system_sgpr_workgroup_info 0
		.amdhsa_system_vgpr_workitem_id 0
		.amdhsa_next_free_vgpr 63
		.amdhsa_next_free_sgpr 45
		.amdhsa_accum_offset 64
		.amdhsa_reserve_vcc 1
		.amdhsa_float_round_mode_32 0
		.amdhsa_float_round_mode_16_64 0
		.amdhsa_float_denorm_mode_32 3
		.amdhsa_float_denorm_mode_16_64 3
		.amdhsa_dx10_clamp 1
		.amdhsa_ieee_mode 1
		.amdhsa_fp16_overflow 0
		.amdhsa_tg_split 0
		.amdhsa_exception_fp_ieee_invalid_op 0
		.amdhsa_exception_fp_denorm_src 0
		.amdhsa_exception_fp_ieee_div_zero 0
		.amdhsa_exception_fp_ieee_overflow 0
		.amdhsa_exception_fp_ieee_underflow 0
		.amdhsa_exception_fp_ieee_inexact 0
		.amdhsa_exception_int_div_zero 0
	.end_amdhsa_kernel
	.section	.text._ZN4vllm25paged_attention_v2_kernelIfhLi80ELi16ELi128ELNS_18Fp8KVCacheDataTypeE1ELb0ELi512EEEvPfS2_PT_PKS3_PKT0_S9_ifPKiSB_iPKfiiiSD_SD_iiiii,"axG",@progbits,_ZN4vllm25paged_attention_v2_kernelIfhLi80ELi16ELi128ELNS_18Fp8KVCacheDataTypeE1ELb0ELi512EEEvPfS2_PT_PKS3_PKT0_S9_ifPKiSB_iPKfiiiSD_SD_iiiii,comdat
.Lfunc_end220:
	.size	_ZN4vllm25paged_attention_v2_kernelIfhLi80ELi16ELi128ELNS_18Fp8KVCacheDataTypeE1ELb0ELi512EEEvPfS2_PT_PKS3_PKT0_S9_ifPKiSB_iPKfiiiSD_SD_iiiii, .Lfunc_end220-_ZN4vllm25paged_attention_v2_kernelIfhLi80ELi16ELi128ELNS_18Fp8KVCacheDataTypeE1ELb0ELi512EEEvPfS2_PT_PKS3_PKT0_S9_ifPKiSB_iPKfiiiSD_SD_iiiii
                                        ; -- End function
	.section	.AMDGPU.csdata,"",@progbits
; Kernel info:
; codeLenInByte = 4784
; NumSgprs: 51
; NumVgprs: 63
; NumAgprs: 0
; TotalNumVgprs: 63
; ScratchSize: 0
; MemoryBound: 0
; FloatMode: 240
; IeeeMode: 1
; LDSByteSize: 336 bytes/workgroup (compile time only)
; SGPRBlocks: 6
; VGPRBlocks: 7
; NumSGPRsForWavesPerEU: 51
; NumVGPRsForWavesPerEU: 63
; AccumOffset: 64
; Occupancy: 8
; WaveLimiterHint : 1
; COMPUTE_PGM_RSRC2:SCRATCH_EN: 0
; COMPUTE_PGM_RSRC2:USER_SGPR: 2
; COMPUTE_PGM_RSRC2:TRAP_HANDLER: 0
; COMPUTE_PGM_RSRC2:TGID_X_EN: 1
; COMPUTE_PGM_RSRC2:TGID_Y_EN: 1
; COMPUTE_PGM_RSRC2:TGID_Z_EN: 1
; COMPUTE_PGM_RSRC2:TIDIG_COMP_CNT: 0
; COMPUTE_PGM_RSRC3_GFX90A:ACCUM_OFFSET: 15
; COMPUTE_PGM_RSRC3_GFX90A:TG_SPLIT: 0
	.section	.text._ZN4vllm25paged_attention_v2_kernelIfhLi96ELi16ELi128ELNS_18Fp8KVCacheDataTypeE1ELb0ELi512EEEvPfS2_PT_PKS3_PKT0_S9_ifPKiSB_iPKfiiiSD_SD_iiiii,"axG",@progbits,_ZN4vllm25paged_attention_v2_kernelIfhLi96ELi16ELi128ELNS_18Fp8KVCacheDataTypeE1ELb0ELi512EEEvPfS2_PT_PKS3_PKT0_S9_ifPKiSB_iPKfiiiSD_SD_iiiii,comdat
	.protected	_ZN4vllm25paged_attention_v2_kernelIfhLi96ELi16ELi128ELNS_18Fp8KVCacheDataTypeE1ELb0ELi512EEEvPfS2_PT_PKS3_PKT0_S9_ifPKiSB_iPKfiiiSD_SD_iiiii ; -- Begin function _ZN4vllm25paged_attention_v2_kernelIfhLi96ELi16ELi128ELNS_18Fp8KVCacheDataTypeE1ELb0ELi512EEEvPfS2_PT_PKS3_PKT0_S9_ifPKiSB_iPKfiiiSD_SD_iiiii
	.globl	_ZN4vllm25paged_attention_v2_kernelIfhLi96ELi16ELi128ELNS_18Fp8KVCacheDataTypeE1ELb0ELi512EEEvPfS2_PT_PKS3_PKT0_S9_ifPKiSB_iPKfiiiSD_SD_iiiii
	.p2align	8
	.type	_ZN4vllm25paged_attention_v2_kernelIfhLi96ELi16ELi128ELNS_18Fp8KVCacheDataTypeE1ELb0ELi512EEEvPfS2_PT_PKS3_PKT0_S9_ifPKiSB_iPKfiiiSD_SD_iiiii,@function
_ZN4vllm25paged_attention_v2_kernelIfhLi96ELi16ELi128ELNS_18Fp8KVCacheDataTypeE1ELb0ELi512EEEvPfS2_PT_PKS3_PKT0_S9_ifPKiSB_iPKfiiiSD_SD_iiiii: ; @_ZN4vllm25paged_attention_v2_kernelIfhLi96ELi16ELi128ELNS_18Fp8KVCacheDataTypeE1ELb0ELi512EEEvPfS2_PT_PKS3_PKT0_S9_ifPKiSB_iPKfiiiSD_SD_iiiii
; %bb.0:
	s_load_dwordx2 s[6:7], s[0:1], 0x40
	s_mov_b32 s28, s3
	s_ashr_i32 s29, s3, 31
	s_lshl_b64 s[8:9], s[28:29], 2
	s_waitcnt lgkmcnt(0)
	s_add_u32 s6, s6, s8
	s_addc_u32 s7, s7, s9
	s_load_dword s29, s[6:7], 0x0
	s_lshl_b32 s40, s4, 9
	s_waitcnt lgkmcnt(0)
	s_cmp_ge_i32 s40, s29
	s_cbranch_scc1 .LBB221_69
; %bb.1:
	s_load_dword s5, s[0:1], 0x90
	s_load_dwordx2 s[10:11], s[0:1], 0x30
	s_waitcnt lgkmcnt(0)
	s_abs_i32 s7, s5
	s_abs_i32 s3, s10
	v_cvt_f32_u32_e32 v1, s3
	s_sub_i32 s8, 0, s3
	s_xor_b32 s6, s5, s10
	s_ashr_i32 s6, s6, 31
	v_rcp_iflag_f32_e32 v1, v1
	s_nop 0
	v_mul_f32_e32 v1, 0x4f7ffffe, v1
	v_cvt_u32_f32_e32 v1, v1
	s_nop 0
	v_readfirstlane_b32 s9, v1
	s_mul_i32 s8, s8, s9
	s_mul_hi_u32 s8, s9, s8
	s_add_i32 s9, s9, s8
	s_mul_hi_u32 s8, s7, s9
	s_mul_i32 s9, s8, s3
	s_sub_i32 s7, s7, s9
	s_add_i32 s10, s8, 1
	s_sub_i32 s9, s7, s3
	s_cmp_ge_u32 s7, s3
	s_cselect_b32 s8, s10, s8
	s_cselect_b32 s7, s9, s7
	s_add_i32 s9, s8, 1
	s_cmp_ge_u32 s7, s3
	s_cselect_b32 s3, s9, s8
	s_xor_b32 s3, s3, s6
	s_sub_i32 s12, s3, s6
	s_abs_i32 s8, s12
	v_cvt_f32_u32_e32 v1, s8
	s_load_dwordx2 s[6:7], s[0:1], 0x50
	s_sub_i32 s3, 0, s8
	s_abs_i32 s9, s2
	v_rcp_iflag_f32_e32 v1, v1
	s_mov_b32 s10, 0
	v_mul_f32_e32 v1, 0x4f7ffffe, v1
	v_cvt_u32_f32_e32 v1, v1
	s_nop 0
	v_readfirstlane_b32 s13, v1
	s_mul_i32 s3, s3, s13
	s_mul_hi_u32 s3, s13, s3
	s_add_i32 s13, s13, s3
	s_waitcnt lgkmcnt(0)
	s_cmp_eq_u64 s[6:7], 0
	s_mul_hi_u32 s16, s9, s13
	s_cbranch_scc1 .LBB221_3
; %bb.2:
	s_ashr_i32 s3, s2, 31
	s_lshl_b64 s[14:15], s[2:3], 2
	s_add_u32 s6, s6, s14
	s_addc_u32 s7, s7, s15
	s_load_dword s10, s[6:7], 0x0
.LBB221_3:
	s_ashr_i32 s18, s12, 31
	s_load_dwordx4 s[12:15], s[0:1], 0x58
	v_lshrrev_b32_e32 v44, 2, v0
	s_movk_i32 s3, 0x60
	s_ashr_i32 s17, s2, 31
	v_and_b32_e32 v26, 3, v0
	s_mul_i32 s24, s2, 0x60
	v_cmp_gt_u32_e32 vcc, s3, v0
	v_lshlrev_b32_e32 v34, 2, v0
	v_lshlrev_b32_e32 v1, 2, v44
	s_and_saveexec_b64 s[6:7], vcc
	s_cbranch_execz .LBB221_5
; %bb.4:
	s_load_dwordx2 s[20:21], s[0:1], 0x18
	s_waitcnt lgkmcnt(0)
	s_mul_i32 s22, s28, s12
	s_ashr_i32 s23, s22, 31
	s_lshl_b64 s[22:23], s[22:23], 2
	v_mad_u32_u24 v3, v26, s3, v1
	s_add_u32 s12, s20, s22
	s_addc_u32 s15, s21, s23
	s_ashr_i32 s25, s24, 31
	s_lshl_b64 s[20:21], s[24:25], 2
	s_add_u32 s20, s12, s20
	s_addc_u32 s21, s15, s21
	global_load_dword v2, v34, s[20:21]
	s_waitcnt vmcnt(0)
	ds_write_b32 v3, v2
.LBB221_5:
	s_or_b64 exec, exec, s[6:7]
	s_add_i32 s3, s29, 15
	s_ashr_i32 s6, s3, 31
	s_lshr_b32 s6, s6, 28
	s_add_i32 s3, s3, s6
	s_waitcnt lgkmcnt(0)
	s_ashr_i32 s12, s3, 4
	s_lshl_b32 s3, s4, 5
	s_mul_i32 s7, s16, s8
	s_add_i32 s6, s3, 32
	s_sub_i32 s7, s9, s7
	s_min_i32 s33, s6, s12
	s_xor_b32 s6, s17, s18
	s_add_i32 s9, s16, 1
	s_sub_i32 s15, s7, s8
	s_cmp_ge_u32 s7, s8
	s_cselect_b32 s9, s9, s16
	s_cselect_b32 s7, s15, s7
	s_add_i32 s15, s9, 1
	s_cmp_ge_u32 s7, s8
	s_load_dwordx2 s[30:31], s[0:1], 0x38
	s_load_dword s8, s[0:1], 0x48
	v_lshrrev_b32_e32 v35, 6, v0
	s_cselect_b32 s7, s15, s9
	s_xor_b32 s7, s7, s6
	v_or_b32_e32 v28, s3, v35
	s_waitcnt lgkmcnt(0)
	s_mul_i32 s34, s28, s8
	s_sub_i32 s41, s7, s6
	s_ashr_i32 s35, s34, 31
	v_cmp_gt_i32_e64 s[8:9], s33, v28
	v_cmp_le_i32_e32 vcc, s33, v28
	v_mbcnt_lo_u32_b32 v27, -1, 0
	s_barrier
	s_waitcnt lgkmcnt(0)
                                        ; implicit-def: $sgpr15
                                        ; implicit-def: $vgpr36
                                        ; implicit-def: $vgpr37
	s_and_saveexec_b64 s[6:7], vcc
	s_xor_b64 s[6:7], exec, s[6:7]
; %bb.6:
	v_mbcnt_hi_u32_b32 v36, -1, v27
	v_and_b32_e32 v2, 64, v36
	v_add_u32_e32 v37, 64, v2
	s_mov_b32 s15, 0xff7fffff
                                        ; implicit-def: $vgpr27
; %bb.7:
	s_or_saveexec_b64 s[38:39], s[6:7]
	s_load_dwordx4 s[20:23], s[0:1], 0x0
	s_load_dwordx2 s[26:27], s[0:1], 0x10
	s_load_dword s25, s[0:1], 0x98
	s_load_dwordx2 s[36:37], s[0:1], 0x28
	s_load_dwordx4 s[16:19], s[0:1], 0x68
	v_mov_b32_e32 v38, s15
	s_mul_i32 s41, s41, s14
	v_ashrrev_i32_e32 v29, 31, v28
	s_xor_b64 exec, exec, s[38:39]
	s_cbranch_execz .LBB221_13
; %bb.8:
	s_load_dwordx2 s[0:1], s[0:1], 0x20
	v_mul_u32_u24_e32 v22, 0x60, v26
	ds_read_b128 v[2:5], v22
	ds_read_b128 v[6:9], v22 offset:16
	ds_read_b128 v[10:13], v22 offset:32
	;; [unrolled: 1-line block ×5, first 2 shown]
	v_mbcnt_hi_u32_b32 v36, -1, v27
	v_and_b32_e32 v27, 64, v36
	s_ashr_i32 s6, s41, 31
	v_add_u32_e32 v37, 64, v27
	v_xor_b32_e32 v27, 2, v36
	v_bfe_u32 v38, v0, 2, 4
	s_waitcnt lgkmcnt(0)
	s_add_u32 s0, s0, s41
	v_cmp_lt_i32_e32 vcc, v27, v37
	v_lshlrev_b32_e32 v32, 4, v38
	s_addc_u32 s1, s1, s6
	v_mov_b32_e32 v33, 0
	v_cndmask_b32_e32 v27, v36, v27, vcc
	s_load_dword s43, s[16:17], 0x0
	v_lshl_add_u64 v[30:31], s[0:1], 0, v[32:33]
	v_lshlrev_b32_e32 v39, 2, v27
	v_xor_b32_e32 v27, 1, v36
	s_sub_i32 s44, 1, s29
	v_lshlrev_b32_e32 v32, 4, v35
	s_lshl_b64 s[0:1], s[34:35], 2
	v_cmp_lt_i32_e32 vcc, v27, v37
	v_add3_u32 v41, s40, v32, v38
	v_lshlrev_b32_e32 v32, 2, v38
	s_add_u32 s0, s30, s0
	v_cndmask_b32_e32 v27, v36, v27, vcc
	v_lshl_or_b32 v32, v35, 6, v32
	s_addc_u32 s1, s31, s1
	s_mov_b32 s42, s13
	v_lshlrev_b32_e32 v40, 2, v27
	v_cmp_eq_u32_e32 vcc, 0, v26
	v_cmp_neq_f32_e64 s[6:7], s10, 0
	v_mov_b32_e32 v27, v33
	v_add_u32_e32 v42, 0x190, v32
	v_lshl_add_u64 v[32:33], v[28:29], 2, s[0:1]
	s_mov_b64 s[14:15], 0
	v_mov_b32_e32 v38, 0xff7fffff
	v_mov_b32_e32 v43, v28
	s_branch .LBB221_10
.LBB221_9:                              ;   in Loop: Header=BB221_10 Depth=1
	s_or_b64 exec, exec, s[16:17]
	v_add_u32_e32 v43, 2, v43
	v_cmp_le_i32_e64 s[0:1], s33, v43
	v_add_u32_e32 v41, 32, v41
	v_add_u32_e32 v42, 0x80, v42
	s_or_b64 s[14:15], s[0:1], s[14:15]
	v_lshl_add_u64 v[32:33], v[32:33], 0, 8
	s_andn2_b64 exec, exec, s[14:15]
	s_cbranch_execz .LBB221_12
.LBB221_10:                             ; =>This Inner Loop Header: Depth=1
	global_load_dword v45, v[32:33], off
	s_waitcnt vmcnt(0) lgkmcnt(0)
	v_mad_i64_i32 v[46:47], s[0:1], v45, s42, v[30:31]
	v_lshl_add_u64 v[46:47], v[46:47], 0, v[26:27]
	global_load_ubyte v45, v[46:47], off
	global_load_ubyte v48, v[46:47], off offset:4
	global_load_ubyte v49, v[46:47], off offset:8
	;; [unrolled: 1-line block ×22, first 2 shown]
	s_nop 0
	global_load_ubyte v46, v[46:47], off offset:1292
	s_waitcnt vmcnt(23)
	v_cvt_f32_fp8_sdwa v45, v45 src0_sel:BYTE_0
	s_waitcnt vmcnt(22)
	v_cvt_f32_fp8_sdwa v47, v48 src0_sel:BYTE_0
	;; [unrolled: 2-line block ×5, first 2 shown]
	s_waitcnt lgkmcnt(0)
	v_mul_f32_e32 v47, s43, v47
	s_waitcnt vmcnt(18)
	v_cvt_f32_fp8_sdwa v51, v52 src0_sel:BYTE_0
	v_mul_f32_e32 v45, s43, v45
	v_mul_f32_e32 v47, v3, v47
	s_waitcnt vmcnt(17)
	v_cvt_f32_fp8_sdwa v52, v53 src0_sel:BYTE_0
	v_mul_f32_e32 v48, s43, v48
	v_fmac_f32_e32 v47, v2, v45
	s_waitcnt vmcnt(16)
	v_cvt_f32_fp8_sdwa v53, v54 src0_sel:BYTE_0
	v_mul_f32_e32 v49, s43, v49
	v_fmac_f32_e32 v47, v4, v48
	;; [unrolled: 4-line block ×18, first 2 shown]
	v_mul_f32_e32 v66, s43, v66
	v_fmac_f32_e32 v47, v21, v65
	v_mul_f32_e32 v67, s43, v67
	v_fmac_f32_e32 v47, v22, v66
	;; [unrolled: 2-line block ×4, first 2 shown]
	v_fmac_f32_e32 v47, v25, v46
	ds_bpermute_b32 v45, v39, v47
	s_waitcnt lgkmcnt(0)
	v_add_f32_e32 v45, v47, v45
	ds_bpermute_b32 v46, v40, v45
	s_and_saveexec_b64 s[16:17], vcc
	s_cbranch_execz .LBB221_9
; %bb.11:                               ;   in Loop: Header=BB221_10 Depth=1
	v_add_u32_e32 v47, s44, v41
	v_cvt_f32_i32_e32 v47, v47
	s_waitcnt lgkmcnt(0)
	v_add_f32_e32 v45, v45, v46
	v_cmp_gt_i32_e64 s[0:1], s29, v41
	v_max_f32_e32 v46, v38, v38
	v_mul_f32_e32 v47, s10, v47
	v_cndmask_b32_e64 v47, 0, v47, s[6:7]
	v_fmac_f32_e32 v47, s11, v45
	v_cndmask_b32_e64 v45, 0, v47, s[0:1]
	ds_write_b32 v42, v45
	v_max_f32_e32 v45, v46, v47
	v_cndmask_b32_e64 v38, v38, v45, s[0:1]
	s_branch .LBB221_9
.LBB221_12:
	s_or_b64 exec, exec, s[14:15]
.LBB221_13:
	s_or_b64 exec, exec, s[38:39]
	v_xor_b32_e32 v2, 32, v36
	v_cmp_lt_i32_e32 vcc, v2, v37
	v_xor_b32_e32 v5, 16, v36
	v_max_f32_e32 v4, v38, v38
	v_cndmask_b32_e32 v2, v36, v2, vcc
	v_lshlrev_b32_e32 v2, 2, v2
	ds_bpermute_b32 v3, v2, v38
	v_cmp_lt_i32_e32 vcc, v5, v37
	v_xor_b32_e32 v6, 8, v36
	v_and_b32_e32 v27, 63, v0
	s_waitcnt lgkmcnt(0)
	v_max_f32_e32 v3, v3, v3
	v_max_f32_e32 v4, v4, v3
	v_cndmask_b32_e32 v3, v36, v5, vcc
	v_lshlrev_b32_e32 v3, 2, v3
	ds_bpermute_b32 v5, v3, v4
	v_cmp_lt_i32_e32 vcc, v6, v37
	s_waitcnt lgkmcnt(0)
	v_max_f32_e32 v5, v5, v5
	v_max_f32_e32 v4, v4, v5
	v_cndmask_b32_e32 v5, v36, v6, vcc
	v_lshlrev_b32_e32 v7, 2, v5
	ds_bpermute_b32 v5, v7, v4
	v_xor_b32_e32 v6, 4, v36
	v_cmp_lt_i32_e32 vcc, v6, v37
	s_waitcnt lgkmcnt(0)
	v_max_f32_e32 v5, v5, v5
	v_max_f32_e32 v4, v4, v5
	v_cndmask_b32_e32 v5, v36, v6, vcc
	v_lshlrev_b32_e32 v8, 2, v5
	ds_bpermute_b32 v6, v8, v4
	v_cmp_eq_u32_e32 vcc, 0, v27
	v_lshlrev_b32_e32 v5, 2, v35
	s_and_saveexec_b64 s[0:1], vcc
	s_cbranch_execz .LBB221_15
; %bb.14:
	s_waitcnt lgkmcnt(0)
	v_max_f32_e32 v6, v6, v6
	v_max_f32_e32 v4, v4, v4
	;; [unrolled: 1-line block ×3, first 2 shown]
	ds_write_b32 v5, v4 offset:384
.LBB221_15:
	s_or_b64 exec, exec, s[0:1]
	v_cmp_gt_u32_e64 s[0:1], 2, v27
	v_mov_b32_e32 v4, 0xff7fffff
	s_waitcnt lgkmcnt(0)
	v_lshlrev_b32_e32 v6, 2, v27
	s_barrier
	s_and_saveexec_b64 s[6:7], s[0:1]
	s_cbranch_execz .LBB221_17
; %bb.16:
	ds_read_b32 v4, v6 offset:384
.LBB221_17:
	s_or_b64 exec, exec, s[6:7]
	v_xor_b32_e32 v9, 1, v36
	v_cmp_lt_i32_e64 s[6:7], v9, v37
	s_sub_i32 s3, s33, s3
	s_lshl_b32 s3, s3, 4
	v_cndmask_b32_e64 v9, v36, v9, s[6:7]
	v_lshlrev_b32_e32 v45, 2, v9
	s_waitcnt lgkmcnt(0)
	ds_bpermute_b32 v9, v45, v4
	v_max_f32_e32 v4, v4, v4
	s_add_i32 s3, s3, s40
	s_min_i32 s38, s3, s29
	s_sub_i32 s3, s38, s40
	s_waitcnt lgkmcnt(0)
	v_max_f32_e32 v9, v9, v9
	v_max_f32_e32 v4, v4, v9
	v_lshlrev_b32_e32 v9, 2, v36
	v_and_b32_e32 v9, 0xffffff00, v9
	ds_bpermute_b32 v4, v9, v4
	v_cmp_gt_i32_e64 s[6:7], s3, v0
	v_mov_b32_e32 v10, 0
	s_and_saveexec_b64 s[14:15], s[6:7]
	s_cbranch_execz .LBB221_21
; %bb.18:
	v_mov_b32_e32 v10, 0x190
	v_lshl_add_u32 v11, v0, 2, v10
	s_mov_b64 s[16:17], 0
	v_mov_b32_e32 v10, 0
	v_mov_b32_e32 v12, v0
.LBB221_19:                             ; =>This Inner Loop Header: Depth=1
	ds_read_b32 v13, v11
	v_add_u32_e32 v12, 0x80, v12
	v_cmp_le_i32_e64 s[10:11], s3, v12
	s_or_b64 s[16:17], s[10:11], s[16:17]
	s_waitcnt lgkmcnt(0)
	v_sub_f32_e32 v13, v13, v4
	v_mul_f32_e32 v13, 0x3fb8aa3b, v13
	v_exp_f32_e32 v13, v13
	ds_write_b32 v11, v13
	v_add_f32_e32 v10, v10, v13
	v_add_u32_e32 v11, 0x200, v11
	s_andn2_b64 exec, exec, s[16:17]
	s_cbranch_execnz .LBB221_19
; %bb.20:
	s_or_b64 exec, exec, s[16:17]
.LBB221_21:
	s_or_b64 exec, exec, s[14:15]
	ds_bpermute_b32 v2, v2, v10
	s_waitcnt lgkmcnt(0)
	v_add_f32_e32 v2, v10, v2
	ds_bpermute_b32 v3, v3, v2
	s_waitcnt lgkmcnt(0)
	v_add_f32_e32 v2, v2, v3
	ds_bpermute_b32 v3, v7, v2
	v_xor_b32_e32 v7, 2, v36
	v_cmp_lt_i32_e64 s[10:11], v7, v37
	s_waitcnt lgkmcnt(0)
	v_add_f32_e32 v2, v2, v3
	ds_bpermute_b32 v3, v8, v2
	v_cndmask_b32_e64 v7, v36, v7, s[10:11]
	v_lshlrev_b32_e32 v46, 2, v7
	s_waitcnt lgkmcnt(0)
	v_add_f32_e32 v2, v2, v3
	ds_bpermute_b32 v3, v46, v2
	s_waitcnt lgkmcnt(0)
	v_add_f32_e32 v2, v2, v3
	ds_bpermute_b32 v3, v45, v2
	s_waitcnt lgkmcnt(0)
	v_add_f32_e32 v2, v2, v3
	s_and_saveexec_b64 s[10:11], vcc
	s_cbranch_execz .LBB221_23
; %bb.22:
	ds_write_b32 v5, v2 offset:392
.LBB221_23:
	s_or_b64 exec, exec, s[10:11]
	s_waitcnt lgkmcnt(0)
	s_barrier
	s_and_saveexec_b64 s[10:11], s[0:1]
	s_cbranch_execz .LBB221_25
; %bb.24:
	ds_read_b32 v2, v6 offset:392
.LBB221_25:
	s_or_b64 exec, exec, s[10:11]
	s_waitcnt lgkmcnt(0)
	ds_bpermute_b32 v3, v45, v2
	s_waitcnt lgkmcnt(0)
	v_add_f32_e32 v2, v2, v3
	ds_bpermute_b32 v5, v9, v2
	s_and_saveexec_b64 s[0:1], s[6:7]
	s_cbranch_execz .LBB221_38
; %bb.26:
	s_waitcnt lgkmcnt(0)
	v_add_f32_e32 v2, 0x358637bd, v5
	v_div_scale_f32 v3, s[6:7], v2, v2, 1.0
	v_rcp_f32_e32 v6, v3
	v_div_scale_f32 v7, vcc, 1.0, v2, 1.0
	s_movk_i32 s6, 0x7f
	v_fma_f32 v8, -v3, v6, 1.0
	v_fmac_f32_e32 v6, v8, v6
	v_mul_f32_e32 v8, v7, v6
	v_fma_f32 v9, -v3, v8, v7
	v_fmac_f32_e32 v8, v9, v6
	v_fma_f32 v3, -v3, v8, v7
	v_div_fmas_f32 v3, v3, v6, v8
	v_div_fixup_f32 v2, v3, v2, 1.0
	v_xad_u32 v3, v0, -1, s38
	v_subrev_u32_e32 v6, s40, v3
	v_cmp_lt_u32_e32 vcc, s6, v6
	s_mov_b64 s[10:11], -1
	v_mov_b32_e32 v3, v0
	s_and_saveexec_b64 s[6:7], vcc
	s_cbranch_execz .LBB221_35
; %bb.27:
	v_lshrrev_b32_e32 v6, 7, v6
	v_add_u32_e32 v8, -1, v6
	v_lshrrev_b32_e32 v7, 1, v8
	v_mov_b32_e32 v3, v2
	v_add_u32_e32 v7, 1, v7
	v_cmp_lt_u32_e32 vcc, 13, v8
	v_mov_b32_e32 v10, 0
	s_and_saveexec_b64 s[10:11], vcc
	s_cbranch_execz .LBB221_31
; %bb.28:
	v_mov_b32_e32 v9, 0x190
	v_and_b32_e32 v8, -8, v7
	v_lshl_add_u32 v9, v0, 2, v9
	s_mov_b32 s16, 0
	s_mov_b64 s[14:15], 0
.LBB221_29:                             ; =>This Inner Loop Header: Depth=1
	ds_read2st64_b32 v[10:11], v9 offset1:2
	ds_read2st64_b32 v[12:13], v9 offset0:4 offset1:6
	ds_read2st64_b32 v[14:15], v9 offset0:8 offset1:10
	;; [unrolled: 1-line block ×3, first 2 shown]
	v_add_u32_e32 v8, -8, v8
	s_waitcnt lgkmcnt(3)
	v_pk_mul_f32 v[10:11], v[2:3], v[10:11]
	s_waitcnt lgkmcnt(2)
	v_pk_mul_f32 v[12:13], v[2:3], v[12:13]
	ds_write2st64_b32 v9, v10, v11 offset1:2
	ds_write2st64_b32 v9, v12, v13 offset0:4 offset1:6
	ds_read2st64_b32 v[12:13], v9 offset0:16 offset1:18
	s_waitcnt lgkmcnt(4)
	v_pk_mul_f32 v[10:11], v[2:3], v[14:15]
	ds_write2st64_b32 v9, v10, v11 offset0:8 offset1:10
	s_waitcnt lgkmcnt(4)
	v_pk_mul_f32 v[10:11], v[2:3], v[16:17]
	ds_write2st64_b32 v9, v10, v11 offset0:12 offset1:14
	ds_read2st64_b32 v[10:11], v9 offset0:20 offset1:22
	s_waitcnt lgkmcnt(3)
	v_pk_mul_f32 v[12:13], v[2:3], v[12:13]
	ds_read2st64_b32 v[14:15], v9 offset0:24 offset1:26
	ds_write2st64_b32 v9, v12, v13 offset0:16 offset1:18
	ds_read2st64_b32 v[12:13], v9 offset0:28 offset1:30
	s_waitcnt lgkmcnt(3)
	v_pk_mul_f32 v[10:11], v[2:3], v[10:11]
	ds_write2st64_b32 v9, v10, v11 offset0:20 offset1:22
	s_waitcnt lgkmcnt(3)
	v_pk_mul_f32 v[10:11], v[2:3], v[14:15]
	ds_write2st64_b32 v9, v10, v11 offset0:24 offset1:26
	s_waitcnt lgkmcnt(2)
	v_pk_mul_f32 v[10:11], v[2:3], v[12:13]
	s_add_i32 s16, s16, 16
	v_cmp_eq_u32_e32 vcc, 0, v8
	ds_write2st64_b32 v9, v10, v11 offset0:28 offset1:30
	v_add_u32_e32 v9, 0x2000, v9
	s_or_b64 s[14:15], vcc, s[14:15]
	v_mov_b32_e32 v10, s16
	s_andn2_b64 exec, exec, s[14:15]
	s_cbranch_execnz .LBB221_29
; %bb.30:
	s_or_b64 exec, exec, s[14:15]
.LBB221_31:
	s_or_b64 exec, exec, s[10:11]
	v_and_b32_e32 v7, 7, v7
	v_cmp_ne_u32_e32 vcc, 0, v7
	s_and_saveexec_b64 s[10:11], vcc
	s_cbranch_execz .LBB221_34
; %bb.32:
	v_lshlrev_b32_e32 v8, 9, v10
	s_movk_i32 s14, 0x190
	v_add3_u32 v8, v8, v34, s14
	s_mov_b64 s[14:15], 0
.LBB221_33:                             ; =>This Inner Loop Header: Depth=1
	ds_read2st64_b32 v[10:11], v8 offset1:2
	v_add_u32_e32 v7, -1, v7
	v_cmp_eq_u32_e32 vcc, 0, v7
	s_or_b64 s[14:15], vcc, s[14:15]
	s_waitcnt lgkmcnt(0)
	v_pk_mul_f32 v[10:11], v[2:3], v[10:11]
	ds_write2st64_b32 v8, v10, v11 offset1:2
	v_add_u32_e32 v8, 0x400, v8
	s_andn2_b64 exec, exec, s[14:15]
	s_cbranch_execnz .LBB221_33
.LBB221_34:
	s_or_b64 exec, exec, s[10:11]
	v_add_u32_e32 v6, 1, v6
	v_and_b32_e32 v7, 0x3fffffe, v6
	v_cmp_ne_u32_e32 vcc, v6, v7
	v_lshl_add_u32 v3, v7, 7, v0
	s_orn2_b64 s[10:11], vcc, exec
.LBB221_35:
	s_or_b64 exec, exec, s[6:7]
	s_and_b64 exec, exec, s[10:11]
	s_cbranch_execz .LBB221_38
; %bb.36:
	v_mov_b32_e32 v6, 0x190
	v_lshl_add_u32 v6, v3, 2, v6
	s_mov_b64 s[6:7], 0
.LBB221_37:                             ; =>This Inner Loop Header: Depth=1
	ds_read_b32 v7, v6
	v_add_u32_e32 v3, 0x80, v3
	v_cmp_le_i32_e32 vcc, s3, v3
	s_or_b64 s[6:7], vcc, s[6:7]
	s_waitcnt lgkmcnt(0)
	v_mul_f32_e32 v7, v2, v7
	ds_write_b32 v6, v7
	v_add_u32_e32 v6, 0x200, v6
	s_andn2_b64 exec, exec, s[6:7]
	s_cbranch_execnz .LBB221_37
.LBB221_38:
	s_or_b64 exec, exec, s[0:1]
	s_mul_i32 s0, s25, s28
	v_cmp_eq_u32_e32 vcc, 0, v0
	s_mul_i32 s6, s0, s5
	s_waitcnt lgkmcnt(0)
	s_barrier
	s_and_saveexec_b64 s[0:1], vcc
	s_cbranch_execz .LBB221_40
; %bb.39:
	s_ashr_i32 s7, s6, 31
	s_lshl_b64 s[10:11], s[6:7], 2
	s_add_u32 s5, s22, s10
	s_mul_i32 s2, s25, s2
	s_addc_u32 s7, s23, s11
	s_ashr_i32 s3, s2, 31
	s_lshl_b64 s[2:3], s[2:3], 2
	s_add_u32 s16, s5, s2
	s_addc_u32 s7, s7, s3
	s_ashr_i32 s5, s4, 31
	s_lshl_b64 s[14:15], s[4:5], 2
	s_add_u32 s16, s16, s14
	s_addc_u32 s17, s7, s15
	s_add_u32 s5, s20, s10
	s_addc_u32 s7, s21, s11
	;; [unrolled: 2-line block ×3, first 2 shown]
	s_add_u32 s2, s2, s14
	v_mov_b32_e32 v2, 0
	s_addc_u32 s3, s3, s15
	global_store_dword v2, v4, s[16:17]
	global_store_dword v2, v5, s[2:3]
.LBB221_40:
	s_or_b64 exec, exec, s[0:1]
	v_mov_b32_e32 v9, 0
	v_mov_b32_e32 v8, 0
	;; [unrolled: 1-line block ×6, first 2 shown]
	s_and_saveexec_b64 s[2:3], s[8:9]
	s_cbranch_execz .LBB221_56
; %bb.41:
	s_ashr_i32 s1, s41, 31
	s_load_dword s8, s[18:19], 0x0
	s_add_u32 s0, s36, s41
	s_addc_u32 s1, s37, s1
	v_and_b32_e32 v6, 0xfc, v34
	v_mov_b32_e32 v7, 0
	v_and_b32_e32 v2, 12, v34
	s_add_i32 s7, s12, -1
	v_lshl_add_u64 v[12:13], s[0:1], 0, v[6:7]
	v_lshl_add_u32 v3, v35, 4, s40
	s_lshl_b64 s[0:1], s[34:35], 2
	v_add3_u32 v47, v3, v2, 3
	v_lshlrev_b32_e32 v2, 4, v26
	s_add_u32 s0, s30, s0
	v_lshl_or_b32 v2, v35, 6, v2
	s_addc_u32 s1, s31, s1
	s_mov_b32 s5, s13
	s_waitcnt lgkmcnt(0)
	s_mov_b32 s9, s8
	v_add_u32_e32 v48, 0x190, v2
	v_lshl_add_u64 v[14:15], v[28:29], 2, s[0:1]
	s_mov_b64 s[10:11], 0
	v_mov_b32_e32 v6, v7
	v_mov_b32_e32 v10, v7
	;; [unrolled: 1-line block ×5, first 2 shown]
	s_branch .LBB221_43
.LBB221_42:                             ;   in Loop: Header=BB221_43 Depth=1
	s_or_b64 exec, exec, s[0:1]
	s_waitcnt lgkmcnt(0)
	v_mul_f32_e32 v19, v3, v19
	v_fmac_f32_e32 v19, v2, v18
	v_fmac_f32_e32 v19, v4, v16
	v_mul_f32_e32 v16, v3, v25
	v_fmac_f32_e32 v16, v2, v24
	v_fmac_f32_e32 v16, v4, v22
	v_fmac_f32_e32 v16, v5, v23
	v_add_f32_e32 v7, v7, v16
	v_mul_f32_e32 v16, v3, v33
	v_fmac_f32_e32 v16, v2, v32
	v_fmac_f32_e32 v16, v4, v30
	v_fmac_f32_e32 v16, v5, v31
	v_add_f32_e32 v10, v10, v16
	;; [unrolled: 5-line block ×3, first 2 shown]
	v_mul_f32_e32 v16, v3, v41
	v_mul_f32_e32 v3, v3, v43
	v_fmac_f32_e32 v16, v2, v40
	v_fmac_f32_e32 v3, v2, v42
	;; [unrolled: 1-line block ×4, first 2 shown]
	v_add_u32_e32 v28, 2, v28
	v_fmac_f32_e32 v19, v5, v17
	v_fmac_f32_e32 v16, v5, v39
	;; [unrolled: 1-line block ×3, first 2 shown]
	v_cmp_le_i32_e32 vcc, s33, v28
	v_add_f32_e32 v6, v6, v19
	v_add_f32_e32 v8, v8, v16
	v_add_f32_e32 v9, v9, v3
	v_add_u32_e32 v47, 32, v47
	v_add_u32_e32 v48, 0x80, v48
	s_or_b64 s[10:11], vcc, s[10:11]
	v_lshl_add_u64 v[14:15], v[14:15], 0, 8
	s_andn2_b64 exec, exec, s[10:11]
	s_cbranch_execz .LBB221_55
.LBB221_43:                             ; =>This Inner Loop Header: Depth=1
	global_load_dword v2, v[14:15], off
	v_add_u32_e32 v29, -3, v47
	v_cmp_eq_u32_e32 vcc, s7, v28
	v_add_u32_e32 v49, -2, v47
	v_add_u32_e32 v50, -1, v47
	s_waitcnt vmcnt(0)
	v_mad_i64_i32 v[20:21], s[0:1], v2, s5, v[12:13]
	global_load_dword v16, v[20:21], off
	ds_read_b128 v[2:5], v48
	s_waitcnt vmcnt(0)
	v_and_b32_e32 v17, 0xffff, v16
	v_lshrrev_b32_e32 v18, 16, v16
	v_cvt_pk_f32_fp8_e32 v[16:17], v17
	v_cvt_pk_f32_fp8_e32 v[22:23], v18
	v_pk_mul_f32 v[18:19], s[8:9], v[16:17]
	v_pk_mul_f32 v[16:17], s[8:9], v[22:23]
	s_and_saveexec_b64 s[12:13], vcc
; %bb.44:                               ;   in Loop: Header=BB221_43 Depth=1
	v_cmp_gt_i32_e64 s[0:1], s29, v29
	s_nop 1
	v_cndmask_b32_e64 v18, 0, v18, s[0:1]
	v_cmp_gt_i32_e64 s[0:1], s29, v49
	s_nop 1
	v_cndmask_b32_e64 v19, 0, v19, s[0:1]
	v_cmp_gt_i32_e64 s[0:1], s29, v50
	s_nop 1
	v_cndmask_b32_e64 v16, 0, v16, s[0:1]
	v_cmp_gt_i32_e64 s[0:1], s29, v47
	s_nop 1
	v_cndmask_b32_e64 v17, 0, v17, s[0:1]
; %bb.45:                               ;   in Loop: Header=BB221_43 Depth=1
	s_or_b64 exec, exec, s[12:13]
	global_load_dword v22, v[20:21], off offset:256
	s_waitcnt vmcnt(0)
	v_and_b32_e32 v23, 0xffff, v22
	v_lshrrev_b32_e32 v24, 16, v22
	v_cvt_pk_f32_fp8_e32 v[22:23], v23
	v_cvt_pk_f32_fp8_e32 v[30:31], v24
	v_pk_mul_f32 v[24:25], s[8:9], v[22:23]
	v_pk_mul_f32 v[22:23], s[8:9], v[30:31]
	s_and_saveexec_b64 s[12:13], vcc
; %bb.46:                               ;   in Loop: Header=BB221_43 Depth=1
	v_cmp_gt_i32_e64 s[0:1], s29, v29
	s_nop 1
	v_cndmask_b32_e64 v24, 0, v24, s[0:1]
	v_cmp_gt_i32_e64 s[0:1], s29, v49
	s_nop 1
	v_cndmask_b32_e64 v25, 0, v25, s[0:1]
	v_cmp_gt_i32_e64 s[0:1], s29, v50
	s_nop 1
	v_cndmask_b32_e64 v22, 0, v22, s[0:1]
	v_cmp_gt_i32_e64 s[0:1], s29, v47
	s_nop 1
	v_cndmask_b32_e64 v23, 0, v23, s[0:1]
; %bb.47:                               ;   in Loop: Header=BB221_43 Depth=1
	s_or_b64 exec, exec, s[12:13]
	global_load_dword v30, v[20:21], off offset:512
	;; [unrolled: 24-line block ×5, first 2 shown]
	s_waitcnt vmcnt(0)
	v_and_b32_e32 v21, 0xffff, v20
	v_lshrrev_b32_e32 v42, 16, v20
	v_cvt_pk_f32_fp8_e32 v[20:21], v21
	v_cvt_pk_f32_fp8_e32 v[52:53], v42
	v_pk_mul_f32 v[42:43], s[8:9], v[20:21]
	v_pk_mul_f32 v[20:21], s[8:9], v[52:53]
	s_and_saveexec_b64 s[0:1], vcc
	s_cbranch_execz .LBB221_42
; %bb.54:                               ;   in Loop: Header=BB221_43 Depth=1
	v_cmp_gt_i32_e32 vcc, s29, v29
	s_nop 1
	v_cndmask_b32_e32 v42, 0, v42, vcc
	v_cmp_gt_i32_e32 vcc, s29, v49
	s_nop 1
	v_cndmask_b32_e32 v43, 0, v43, vcc
	;; [unrolled: 3-line block ×4, first 2 shown]
	s_branch .LBB221_42
.LBB221_55:
	s_or_b64 exec, exec, s[10:11]
.LBB221_56:
	s_or_b64 exec, exec, s[2:3]
	ds_bpermute_b32 v2, v46, v6
	ds_bpermute_b32 v3, v46, v7
	;; [unrolled: 1-line block ×6, first 2 shown]
	s_waitcnt lgkmcnt(4)
	v_pk_add_f32 v[2:3], v[6:7], v[2:3]
	ds_bpermute_b32 v6, v45, v2
	s_waitcnt lgkmcnt(3)
	v_pk_add_f32 v[4:5], v[10:11], v[4:5]
	ds_bpermute_b32 v7, v45, v3
	;; [unrolled: 3-line block ×3, first 2 shown]
	ds_bpermute_b32 v11, v45, v5
	ds_bpermute_b32 v12, v45, v8
	;; [unrolled: 1-line block ×3, first 2 shown]
	s_waitcnt lgkmcnt(4)
	v_pk_add_f32 v[6:7], v[2:3], v[6:7]
	s_waitcnt lgkmcnt(0)
	v_pk_add_f32 v[2:3], v[4:5], v[10:11]
	s_barrier
	v_pk_add_f32 v[4:5], v[8:9], v[12:13]
	v_and_b32_e32 v8, 0x3c3, v0
	v_cmp_eq_u32_e32 vcc, 64, v8
	s_and_saveexec_b64 s[0:1], vcc
	s_cbranch_execz .LBB221_58
; %bb.57:
	v_add_u32_e32 v9, 0x190, v27
	ds_write2_b32 v9, v6, v7 offset1:16
	ds_write2_b32 v9, v2, v3 offset0:32 offset1:48
	ds_write2_b32 v9, v4, v5 offset0:64 offset1:80
.LBB221_58:
	s_or_b64 exec, exec, s[0:1]
	v_cmp_gt_u32_e32 vcc, 64, v0
	s_waitcnt lgkmcnt(0)
	s_barrier
	s_and_saveexec_b64 s[0:1], vcc
	s_cbranch_execz .LBB221_67
; %bb.59:
	v_cmp_eq_u32_e32 vcc, 0, v26
	s_and_saveexec_b64 s[2:3], vcc
	s_cbranch_execnz .LBB221_70
; %bb.60:
	s_or_b64 exec, exec, s[2:3]
	s_and_saveexec_b64 s[2:3], vcc
	s_cbranch_execnz .LBB221_71
.LBB221_61:
	s_or_b64 exec, exec, s[2:3]
	s_and_saveexec_b64 s[2:3], vcc
	s_cbranch_execnz .LBB221_72
.LBB221_62:
	s_or_b64 exec, exec, s[2:3]
	s_and_saveexec_b64 s[2:3], vcc
	s_cbranch_execnz .LBB221_73
.LBB221_63:
	s_or_b64 exec, exec, s[2:3]
	s_and_saveexec_b64 s[2:3], vcc
	s_cbranch_execnz .LBB221_74
.LBB221_64:
	s_or_b64 exec, exec, s[2:3]
	s_and_saveexec_b64 s[2:3], vcc
	s_cbranch_execz .LBB221_66
.LBB221_65:
	v_mov_b32_e32 v0, 0x190
	v_lshl_add_u32 v0, v44, 2, v0
	ds_read_b32 v0, v0 offset:320
	s_waitcnt lgkmcnt(0)
	v_add_f32_e32 v5, v5, v0
.LBB221_66:
	s_or_b64 exec, exec, s[2:3]
.LBB221_67:
	s_or_b64 exec, exec, s[0:1]
	v_cmp_eq_u32_e32 vcc, 0, v8
	s_barrier
	s_and_saveexec_b64 s[0:1], vcc
	s_cbranch_execz .LBB221_69
; %bb.68:
	s_mul_i32 s0, s6, 0x60
	s_ashr_i32 s1, s0, 31
	s_lshl_b64 s[0:1], s[0:1], 2
	s_add_u32 s2, s26, s0
	s_mul_i32 s0, s25, s24
	s_addc_u32 s3, s27, s1
	s_ashr_i32 s1, s0, 31
	s_lshl_b64 s[0:1], s[0:1], 2
	s_add_u32 s2, s2, s0
	s_mul_i32 s0, s4, 0x60
	s_addc_u32 s3, s3, s1
	s_ashr_i32 s1, s0, 31
	s_lshl_b64 s[0:1], s[0:1], 2
	s_add_u32 s0, s2, s0
	s_addc_u32 s1, s3, s1
	global_store_dword v1, v6, s[0:1]
	global_store_dword v1, v7, s[0:1] offset:64
	global_store_dword v1, v2, s[0:1] offset:128
	;; [unrolled: 1-line block ×5, first 2 shown]
.LBB221_69:
	s_endpgm
.LBB221_70:
	v_mov_b32_e32 v0, 0x190
	v_lshl_add_u32 v0, v44, 2, v0
	ds_read_b32 v0, v0
	s_waitcnt lgkmcnt(0)
	v_add_f32_e32 v6, v6, v0
	s_or_b64 exec, exec, s[2:3]
	s_and_saveexec_b64 s[2:3], vcc
	s_cbranch_execz .LBB221_61
.LBB221_71:
	v_mov_b32_e32 v0, 0x190
	v_lshl_add_u32 v0, v44, 2, v0
	ds_read_b32 v0, v0 offset:64
	s_waitcnt lgkmcnt(0)
	v_add_f32_e32 v7, v7, v0
	s_or_b64 exec, exec, s[2:3]
	s_and_saveexec_b64 s[2:3], vcc
	s_cbranch_execz .LBB221_62
.LBB221_72:
	v_mov_b32_e32 v0, 0x190
	v_lshl_add_u32 v0, v44, 2, v0
	ds_read_b32 v0, v0 offset:128
	s_waitcnt lgkmcnt(0)
	v_add_f32_e32 v2, v2, v0
	s_or_b64 exec, exec, s[2:3]
	s_and_saveexec_b64 s[2:3], vcc
	s_cbranch_execz .LBB221_63
.LBB221_73:
	v_mov_b32_e32 v0, 0x190
	v_lshl_add_u32 v0, v44, 2, v0
	ds_read_b32 v0, v0 offset:192
	s_waitcnt lgkmcnt(0)
	v_add_f32_e32 v3, v3, v0
	s_or_b64 exec, exec, s[2:3]
	s_and_saveexec_b64 s[2:3], vcc
	s_cbranch_execz .LBB221_64
.LBB221_74:
	v_mov_b32_e32 v0, 0x190
	v_lshl_add_u32 v0, v44, 2, v0
	ds_read_b32 v0, v0 offset:256
	s_waitcnt lgkmcnt(0)
	v_add_f32_e32 v4, v4, v0
	s_or_b64 exec, exec, s[2:3]
	s_and_saveexec_b64 s[2:3], vcc
	s_cbranch_execnz .LBB221_65
	s_branch .LBB221_66
	.section	.rodata,"a",@progbits
	.p2align	6, 0x0
	.amdhsa_kernel _ZN4vllm25paged_attention_v2_kernelIfhLi96ELi16ELi128ELNS_18Fp8KVCacheDataTypeE1ELb0ELi512EEEvPfS2_PT_PKS3_PKT0_S9_ifPKiSB_iPKfiiiSD_SD_iiiii
		.amdhsa_group_segment_fixed_size 400
		.amdhsa_private_segment_fixed_size 0
		.amdhsa_kernarg_size 400
		.amdhsa_user_sgpr_count 2
		.amdhsa_user_sgpr_dispatch_ptr 0
		.amdhsa_user_sgpr_queue_ptr 0
		.amdhsa_user_sgpr_kernarg_segment_ptr 1
		.amdhsa_user_sgpr_dispatch_id 0
		.amdhsa_user_sgpr_kernarg_preload_length 0
		.amdhsa_user_sgpr_kernarg_preload_offset 0
		.amdhsa_user_sgpr_private_segment_size 0
		.amdhsa_uses_dynamic_stack 0
		.amdhsa_enable_private_segment 0
		.amdhsa_system_sgpr_workgroup_id_x 1
		.amdhsa_system_sgpr_workgroup_id_y 1
		.amdhsa_system_sgpr_workgroup_id_z 1
		.amdhsa_system_sgpr_workgroup_info 0
		.amdhsa_system_vgpr_workitem_id 0
		.amdhsa_next_free_vgpr 70
		.amdhsa_next_free_sgpr 45
		.amdhsa_accum_offset 72
		.amdhsa_reserve_vcc 1
		.amdhsa_float_round_mode_32 0
		.amdhsa_float_round_mode_16_64 0
		.amdhsa_float_denorm_mode_32 3
		.amdhsa_float_denorm_mode_16_64 3
		.amdhsa_dx10_clamp 1
		.amdhsa_ieee_mode 1
		.amdhsa_fp16_overflow 0
		.amdhsa_tg_split 0
		.amdhsa_exception_fp_ieee_invalid_op 0
		.amdhsa_exception_fp_denorm_src 0
		.amdhsa_exception_fp_ieee_div_zero 0
		.amdhsa_exception_fp_ieee_overflow 0
		.amdhsa_exception_fp_ieee_underflow 0
		.amdhsa_exception_fp_ieee_inexact 0
		.amdhsa_exception_int_div_zero 0
	.end_amdhsa_kernel
	.section	.text._ZN4vllm25paged_attention_v2_kernelIfhLi96ELi16ELi128ELNS_18Fp8KVCacheDataTypeE1ELb0ELi512EEEvPfS2_PT_PKS3_PKT0_S9_ifPKiSB_iPKfiiiSD_SD_iiiii,"axG",@progbits,_ZN4vllm25paged_attention_v2_kernelIfhLi96ELi16ELi128ELNS_18Fp8KVCacheDataTypeE1ELb0ELi512EEEvPfS2_PT_PKS3_PKT0_S9_ifPKiSB_iPKfiiiSD_SD_iiiii,comdat
.Lfunc_end221:
	.size	_ZN4vllm25paged_attention_v2_kernelIfhLi96ELi16ELi128ELNS_18Fp8KVCacheDataTypeE1ELb0ELi512EEEvPfS2_PT_PKS3_PKT0_S9_ifPKiSB_iPKfiiiSD_SD_iiiii, .Lfunc_end221-_ZN4vllm25paged_attention_v2_kernelIfhLi96ELi16ELi128ELNS_18Fp8KVCacheDataTypeE1ELb0ELi512EEEvPfS2_PT_PKS3_PKT0_S9_ifPKiSB_iPKfiiiSD_SD_iiiii
                                        ; -- End function
	.section	.AMDGPU.csdata,"",@progbits
; Kernel info:
; codeLenInByte = 5164
; NumSgprs: 51
; NumVgprs: 70
; NumAgprs: 0
; TotalNumVgprs: 70
; ScratchSize: 0
; MemoryBound: 0
; FloatMode: 240
; IeeeMode: 1
; LDSByteSize: 400 bytes/workgroup (compile time only)
; SGPRBlocks: 6
; VGPRBlocks: 8
; NumSGPRsForWavesPerEU: 51
; NumVGPRsForWavesPerEU: 70
; AccumOffset: 72
; Occupancy: 7
; WaveLimiterHint : 1
; COMPUTE_PGM_RSRC2:SCRATCH_EN: 0
; COMPUTE_PGM_RSRC2:USER_SGPR: 2
; COMPUTE_PGM_RSRC2:TRAP_HANDLER: 0
; COMPUTE_PGM_RSRC2:TGID_X_EN: 1
; COMPUTE_PGM_RSRC2:TGID_Y_EN: 1
; COMPUTE_PGM_RSRC2:TGID_Z_EN: 1
; COMPUTE_PGM_RSRC2:TIDIG_COMP_CNT: 0
; COMPUTE_PGM_RSRC3_GFX90A:ACCUM_OFFSET: 17
; COMPUTE_PGM_RSRC3_GFX90A:TG_SPLIT: 0
	.section	.text._ZN4vllm25paged_attention_v2_kernelIfhLi112ELi16ELi128ELNS_18Fp8KVCacheDataTypeE1ELb0ELi512EEEvPfS2_PT_PKS3_PKT0_S9_ifPKiSB_iPKfiiiSD_SD_iiiii,"axG",@progbits,_ZN4vllm25paged_attention_v2_kernelIfhLi112ELi16ELi128ELNS_18Fp8KVCacheDataTypeE1ELb0ELi512EEEvPfS2_PT_PKS3_PKT0_S9_ifPKiSB_iPKfiiiSD_SD_iiiii,comdat
	.protected	_ZN4vllm25paged_attention_v2_kernelIfhLi112ELi16ELi128ELNS_18Fp8KVCacheDataTypeE1ELb0ELi512EEEvPfS2_PT_PKS3_PKT0_S9_ifPKiSB_iPKfiiiSD_SD_iiiii ; -- Begin function _ZN4vllm25paged_attention_v2_kernelIfhLi112ELi16ELi128ELNS_18Fp8KVCacheDataTypeE1ELb0ELi512EEEvPfS2_PT_PKS3_PKT0_S9_ifPKiSB_iPKfiiiSD_SD_iiiii
	.globl	_ZN4vllm25paged_attention_v2_kernelIfhLi112ELi16ELi128ELNS_18Fp8KVCacheDataTypeE1ELb0ELi512EEEvPfS2_PT_PKS3_PKT0_S9_ifPKiSB_iPKfiiiSD_SD_iiiii
	.p2align	8
	.type	_ZN4vllm25paged_attention_v2_kernelIfhLi112ELi16ELi128ELNS_18Fp8KVCacheDataTypeE1ELb0ELi512EEEvPfS2_PT_PKS3_PKT0_S9_ifPKiSB_iPKfiiiSD_SD_iiiii,@function
_ZN4vllm25paged_attention_v2_kernelIfhLi112ELi16ELi128ELNS_18Fp8KVCacheDataTypeE1ELb0ELi512EEEvPfS2_PT_PKS3_PKT0_S9_ifPKiSB_iPKfiiiSD_SD_iiiii: ; @_ZN4vllm25paged_attention_v2_kernelIfhLi112ELi16ELi128ELNS_18Fp8KVCacheDataTypeE1ELb0ELi512EEEvPfS2_PT_PKS3_PKT0_S9_ifPKiSB_iPKfiiiSD_SD_iiiii
; %bb.0:
	s_load_dwordx2 s[6:7], s[0:1], 0x40
	s_mov_b32 s28, s3
	s_ashr_i32 s29, s3, 31
	s_lshl_b64 s[8:9], s[28:29], 2
	s_waitcnt lgkmcnt(0)
	s_add_u32 s6, s6, s8
	s_addc_u32 s7, s7, s9
	s_load_dword s29, s[6:7], 0x0
	s_lshl_b32 s40, s4, 9
	s_waitcnt lgkmcnt(0)
	s_cmp_ge_i32 s40, s29
	s_cbranch_scc1 .LBB222_72
; %bb.1:
	s_load_dword s5, s[0:1], 0x90
	s_load_dwordx2 s[10:11], s[0:1], 0x30
	s_waitcnt lgkmcnt(0)
	s_abs_i32 s7, s5
	s_abs_i32 s3, s10
	v_cvt_f32_u32_e32 v1, s3
	s_sub_i32 s8, 0, s3
	s_xor_b32 s6, s5, s10
	s_ashr_i32 s6, s6, 31
	v_rcp_iflag_f32_e32 v1, v1
	s_nop 0
	v_mul_f32_e32 v1, 0x4f7ffffe, v1
	v_cvt_u32_f32_e32 v1, v1
	s_nop 0
	v_readfirstlane_b32 s9, v1
	s_mul_i32 s8, s8, s9
	s_mul_hi_u32 s8, s9, s8
	s_add_i32 s9, s9, s8
	s_mul_hi_u32 s8, s7, s9
	s_mul_i32 s9, s8, s3
	s_sub_i32 s7, s7, s9
	s_add_i32 s10, s8, 1
	s_sub_i32 s9, s7, s3
	s_cmp_ge_u32 s7, s3
	s_cselect_b32 s8, s10, s8
	s_cselect_b32 s7, s9, s7
	s_add_i32 s9, s8, 1
	s_cmp_ge_u32 s7, s3
	s_cselect_b32 s3, s9, s8
	s_xor_b32 s3, s3, s6
	s_sub_i32 s12, s3, s6
	s_abs_i32 s8, s12
	v_cvt_f32_u32_e32 v1, s8
	s_load_dwordx2 s[6:7], s[0:1], 0x50
	s_sub_i32 s3, 0, s8
	s_abs_i32 s9, s2
	v_rcp_iflag_f32_e32 v1, v1
	s_mov_b32 s10, 0
	v_mul_f32_e32 v1, 0x4f7ffffe, v1
	v_cvt_u32_f32_e32 v1, v1
	s_nop 0
	v_readfirstlane_b32 s13, v1
	s_mul_i32 s3, s3, s13
	s_mul_hi_u32 s3, s13, s3
	s_add_i32 s13, s13, s3
	s_waitcnt lgkmcnt(0)
	s_cmp_eq_u64 s[6:7], 0
	s_mul_hi_u32 s16, s9, s13
	s_cbranch_scc1 .LBB222_3
; %bb.2:
	s_ashr_i32 s3, s2, 31
	s_lshl_b64 s[14:15], s[2:3], 2
	s_add_u32 s6, s6, s14
	s_addc_u32 s7, s7, s15
	s_load_dword s10, s[6:7], 0x0
.LBB222_3:
	s_ashr_i32 s18, s12, 31
	s_load_dwordx4 s[12:15], s[0:1], 0x58
	v_lshrrev_b32_e32 v48, 2, v0
	s_movk_i32 s3, 0x70
	s_ashr_i32 s17, s2, 31
	v_and_b32_e32 v30, 3, v0
	s_mul_i32 s24, s2, 0x70
	v_cmp_gt_u32_e32 vcc, s3, v0
	v_lshlrev_b32_e32 v38, 2, v0
	v_lshlrev_b32_e32 v1, 2, v48
	s_and_saveexec_b64 s[6:7], vcc
	s_cbranch_execz .LBB222_5
; %bb.4:
	s_load_dwordx2 s[20:21], s[0:1], 0x18
	s_waitcnt lgkmcnt(0)
	s_mul_i32 s22, s28, s12
	s_ashr_i32 s23, s22, 31
	s_lshl_b64 s[22:23], s[22:23], 2
	v_mad_u32_u24 v3, v30, s3, v1
	s_add_u32 s12, s20, s22
	s_addc_u32 s15, s21, s23
	s_ashr_i32 s25, s24, 31
	s_lshl_b64 s[20:21], s[24:25], 2
	s_add_u32 s20, s12, s20
	s_addc_u32 s21, s15, s21
	global_load_dword v2, v38, s[20:21]
	s_waitcnt vmcnt(0)
	ds_write_b32 v3, v2
.LBB222_5:
	s_or_b64 exec, exec, s[6:7]
	s_add_i32 s3, s29, 15
	s_ashr_i32 s6, s3, 31
	s_lshr_b32 s6, s6, 28
	s_add_i32 s3, s3, s6
	s_waitcnt lgkmcnt(0)
	s_ashr_i32 s12, s3, 4
	s_lshl_b32 s3, s4, 5
	s_mul_i32 s7, s16, s8
	s_add_i32 s6, s3, 32
	s_sub_i32 s7, s9, s7
	s_min_i32 s33, s6, s12
	s_xor_b32 s6, s17, s18
	s_add_i32 s9, s16, 1
	s_sub_i32 s15, s7, s8
	s_cmp_ge_u32 s7, s8
	s_cselect_b32 s9, s9, s16
	s_cselect_b32 s7, s15, s7
	s_add_i32 s15, s9, 1
	s_cmp_ge_u32 s7, s8
	s_load_dwordx2 s[30:31], s[0:1], 0x38
	s_load_dword s8, s[0:1], 0x48
	v_lshrrev_b32_e32 v39, 6, v0
	s_cselect_b32 s7, s15, s9
	s_xor_b32 s7, s7, s6
	v_or_b32_e32 v32, s3, v39
	s_waitcnt lgkmcnt(0)
	s_mul_i32 s34, s28, s8
	s_sub_i32 s41, s7, s6
	s_ashr_i32 s35, s34, 31
	v_cmp_gt_i32_e64 s[8:9], s33, v32
	v_cmp_le_i32_e32 vcc, s33, v32
	v_mbcnt_lo_u32_b32 v31, -1, 0
	s_barrier
	s_waitcnt lgkmcnt(0)
                                        ; implicit-def: $sgpr15
                                        ; implicit-def: $vgpr40
                                        ; implicit-def: $vgpr41
	s_and_saveexec_b64 s[6:7], vcc
	s_xor_b64 s[6:7], exec, s[6:7]
; %bb.6:
	v_mbcnt_hi_u32_b32 v40, -1, v31
	v_and_b32_e32 v2, 64, v40
	v_add_u32_e32 v41, 64, v2
	s_mov_b32 s15, 0xff7fffff
                                        ; implicit-def: $vgpr31
; %bb.7:
	s_or_saveexec_b64 s[38:39], s[6:7]
	s_load_dwordx4 s[20:23], s[0:1], 0x0
	s_load_dwordx2 s[26:27], s[0:1], 0x10
	s_load_dword s25, s[0:1], 0x98
	s_load_dwordx2 s[36:37], s[0:1], 0x28
	s_load_dwordx4 s[16:19], s[0:1], 0x68
	v_mov_b32_e32 v42, s15
	s_mul_i32 s41, s41, s14
	v_ashrrev_i32_e32 v33, 31, v32
	s_xor_b64 exec, exec, s[38:39]
	s_cbranch_execz .LBB222_13
; %bb.8:
	s_load_dwordx2 s[0:1], s[0:1], 0x20
	v_mul_u32_u24_e32 v26, 0x70, v30
	ds_read_b128 v[2:5], v26
	ds_read_b128 v[6:9], v26 offset:16
	ds_read_b128 v[10:13], v26 offset:32
	;; [unrolled: 1-line block ×6, first 2 shown]
	v_mbcnt_hi_u32_b32 v40, -1, v31
	v_and_b32_e32 v31, 64, v40
	s_ashr_i32 s6, s41, 31
	v_add_u32_e32 v41, 64, v31
	v_xor_b32_e32 v31, 2, v40
	v_bfe_u32 v42, v0, 2, 4
	s_waitcnt lgkmcnt(0)
	s_add_u32 s0, s0, s41
	v_cmp_lt_i32_e32 vcc, v31, v41
	v_lshlrev_b32_e32 v36, 4, v42
	s_addc_u32 s1, s1, s6
	v_mov_b32_e32 v37, 0
	v_cndmask_b32_e32 v31, v40, v31, vcc
	s_load_dword s43, s[16:17], 0x0
	v_lshl_add_u64 v[34:35], s[0:1], 0, v[36:37]
	v_lshlrev_b32_e32 v43, 2, v31
	v_xor_b32_e32 v31, 1, v40
	s_sub_i32 s44, 1, s29
	v_lshlrev_b32_e32 v36, 4, v39
	s_lshl_b64 s[0:1], s[34:35], 2
	v_cmp_lt_i32_e32 vcc, v31, v41
	v_add3_u32 v45, s40, v36, v42
	v_lshlrev_b32_e32 v36, 2, v42
	s_add_u32 s0, s30, s0
	v_cndmask_b32_e32 v31, v40, v31, vcc
	v_lshl_or_b32 v36, v39, 6, v36
	s_addc_u32 s1, s31, s1
	s_mov_b32 s42, s13
	v_lshlrev_b32_e32 v44, 2, v31
	v_cmp_eq_u32_e32 vcc, 0, v30
	v_cmp_neq_f32_e64 s[6:7], s10, 0
	v_mov_b32_e32 v31, v37
	v_add_u32_e32 v46, 0x1d0, v36
	v_lshl_add_u64 v[36:37], v[32:33], 2, s[0:1]
	s_mov_b64 s[14:15], 0
	v_mov_b32_e32 v42, 0xff7fffff
	v_mov_b32_e32 v47, v32
	s_branch .LBB222_10
.LBB222_9:                              ;   in Loop: Header=BB222_10 Depth=1
	s_or_b64 exec, exec, s[16:17]
	v_add_u32_e32 v47, 2, v47
	v_cmp_le_i32_e64 s[0:1], s33, v47
	v_add_u32_e32 v45, 32, v45
	v_add_u32_e32 v46, 0x80, v46
	s_or_b64 s[14:15], s[0:1], s[14:15]
	v_lshl_add_u64 v[36:37], v[36:37], 0, 8
	s_andn2_b64 exec, exec, s[14:15]
	s_cbranch_execz .LBB222_12
.LBB222_10:                             ; =>This Inner Loop Header: Depth=1
	global_load_dword v49, v[36:37], off
	s_waitcnt vmcnt(0) lgkmcnt(0)
	v_mad_i64_i32 v[50:51], s[0:1], v49, s42, v[34:35]
	v_lshl_add_u64 v[50:51], v[50:51], 0, v[30:31]
	global_load_ubyte v49, v[50:51], off
	global_load_ubyte v52, v[50:51], off offset:4
	global_load_ubyte v53, v[50:51], off offset:8
	global_load_ubyte v54, v[50:51], off offset:12
	global_load_ubyte v55, v[50:51], off offset:256
	global_load_ubyte v56, v[50:51], off offset:260
	global_load_ubyte v57, v[50:51], off offset:264
	global_load_ubyte v58, v[50:51], off offset:268
	global_load_ubyte v59, v[50:51], off offset:512
	global_load_ubyte v60, v[50:51], off offset:516
	global_load_ubyte v61, v[50:51], off offset:520
	global_load_ubyte v62, v[50:51], off offset:524
	global_load_ubyte v63, v[50:51], off offset:768
	global_load_ubyte v64, v[50:51], off offset:772
	global_load_ubyte v65, v[50:51], off offset:776
	global_load_ubyte v66, v[50:51], off offset:780
	global_load_ubyte v67, v[50:51], off offset:1024
	global_load_ubyte v68, v[50:51], off offset:1028
	global_load_ubyte v69, v[50:51], off offset:1032
	global_load_ubyte v70, v[50:51], off offset:1036
	global_load_ubyte v71, v[50:51], off offset:1280
	global_load_ubyte v72, v[50:51], off offset:1284
	global_load_ubyte v73, v[50:51], off offset:1288
	global_load_ubyte v74, v[50:51], off offset:1292
	global_load_ubyte v75, v[50:51], off offset:1536
	global_load_ubyte v76, v[50:51], off offset:1540
	global_load_ubyte v77, v[50:51], off offset:1544
	s_nop 0
	global_load_ubyte v50, v[50:51], off offset:1548
	s_waitcnt vmcnt(27)
	v_cvt_f32_fp8_sdwa v49, v49 src0_sel:BYTE_0
	s_waitcnt vmcnt(26)
	v_cvt_f32_fp8_sdwa v51, v52 src0_sel:BYTE_0
	;; [unrolled: 2-line block ×5, first 2 shown]
	s_waitcnt lgkmcnt(0)
	v_mul_f32_e32 v51, s43, v51
	s_waitcnt vmcnt(22)
	v_cvt_f32_fp8_sdwa v55, v56 src0_sel:BYTE_0
	v_mul_f32_e32 v49, s43, v49
	v_mul_f32_e32 v51, v3, v51
	s_waitcnt vmcnt(21)
	v_cvt_f32_fp8_sdwa v56, v57 src0_sel:BYTE_0
	v_mul_f32_e32 v52, s43, v52
	v_fmac_f32_e32 v51, v2, v49
	s_waitcnt vmcnt(20)
	v_cvt_f32_fp8_sdwa v57, v58 src0_sel:BYTE_0
	v_mul_f32_e32 v53, s43, v53
	v_fmac_f32_e32 v51, v4, v52
	;; [unrolled: 4-line block ×22, first 2 shown]
	v_mul_f32_e32 v74, s43, v74
	v_fmac_f32_e32 v51, v25, v73
	v_mul_f32_e32 v75, s43, v75
	v_fmac_f32_e32 v51, v26, v74
	;; [unrolled: 2-line block ×4, first 2 shown]
	v_fmac_f32_e32 v51, v29, v49
	ds_bpermute_b32 v49, v43, v51
	s_waitcnt lgkmcnt(0)
	v_add_f32_e32 v49, v51, v49
	ds_bpermute_b32 v50, v44, v49
	s_and_saveexec_b64 s[16:17], vcc
	s_cbranch_execz .LBB222_9
; %bb.11:                               ;   in Loop: Header=BB222_10 Depth=1
	v_add_u32_e32 v51, s44, v45
	v_cvt_f32_i32_e32 v51, v51
	s_waitcnt lgkmcnt(0)
	v_add_f32_e32 v49, v49, v50
	v_cmp_gt_i32_e64 s[0:1], s29, v45
	v_max_f32_e32 v50, v42, v42
	v_mul_f32_e32 v51, s10, v51
	v_cndmask_b32_e64 v51, 0, v51, s[6:7]
	v_fmac_f32_e32 v51, s11, v49
	v_cndmask_b32_e64 v49, 0, v51, s[0:1]
	ds_write_b32 v46, v49
	v_max_f32_e32 v49, v50, v51
	v_cndmask_b32_e64 v42, v42, v49, s[0:1]
	s_branch .LBB222_9
.LBB222_12:
	s_or_b64 exec, exec, s[14:15]
.LBB222_13:
	s_or_b64 exec, exec, s[38:39]
	v_xor_b32_e32 v2, 32, v40
	v_cmp_lt_i32_e32 vcc, v2, v41
	v_xor_b32_e32 v5, 16, v40
	v_max_f32_e32 v4, v42, v42
	v_cndmask_b32_e32 v2, v40, v2, vcc
	v_lshlrev_b32_e32 v2, 2, v2
	ds_bpermute_b32 v3, v2, v42
	v_cmp_lt_i32_e32 vcc, v5, v41
	v_xor_b32_e32 v6, 8, v40
	v_and_b32_e32 v31, 63, v0
	s_waitcnt lgkmcnt(0)
	v_max_f32_e32 v3, v3, v3
	v_max_f32_e32 v4, v4, v3
	v_cndmask_b32_e32 v3, v40, v5, vcc
	v_lshlrev_b32_e32 v3, 2, v3
	ds_bpermute_b32 v5, v3, v4
	v_cmp_lt_i32_e32 vcc, v6, v41
	s_waitcnt lgkmcnt(0)
	v_max_f32_e32 v5, v5, v5
	v_max_f32_e32 v4, v4, v5
	v_cndmask_b32_e32 v5, v40, v6, vcc
	v_lshlrev_b32_e32 v7, 2, v5
	ds_bpermute_b32 v5, v7, v4
	v_xor_b32_e32 v6, 4, v40
	v_cmp_lt_i32_e32 vcc, v6, v41
	s_waitcnt lgkmcnt(0)
	v_max_f32_e32 v5, v5, v5
	v_max_f32_e32 v4, v4, v5
	v_cndmask_b32_e32 v5, v40, v6, vcc
	v_lshlrev_b32_e32 v8, 2, v5
	ds_bpermute_b32 v6, v8, v4
	v_cmp_eq_u32_e32 vcc, 0, v31
	v_lshlrev_b32_e32 v5, 2, v39
	s_and_saveexec_b64 s[0:1], vcc
	s_cbranch_execz .LBB222_15
; %bb.14:
	s_waitcnt lgkmcnt(0)
	v_max_f32_e32 v6, v6, v6
	v_max_f32_e32 v4, v4, v4
	;; [unrolled: 1-line block ×3, first 2 shown]
	ds_write_b32 v5, v4 offset:448
.LBB222_15:
	s_or_b64 exec, exec, s[0:1]
	v_cmp_gt_u32_e64 s[0:1], 2, v31
	v_mov_b32_e32 v4, 0xff7fffff
	s_waitcnt lgkmcnt(0)
	v_lshlrev_b32_e32 v6, 2, v31
	s_barrier
	s_and_saveexec_b64 s[6:7], s[0:1]
	s_cbranch_execz .LBB222_17
; %bb.16:
	ds_read_b32 v4, v6 offset:448
.LBB222_17:
	s_or_b64 exec, exec, s[6:7]
	v_xor_b32_e32 v9, 1, v40
	v_cmp_lt_i32_e64 s[6:7], v9, v41
	s_sub_i32 s3, s33, s3
	s_lshl_b32 s3, s3, 4
	v_cndmask_b32_e64 v9, v40, v9, s[6:7]
	v_lshlrev_b32_e32 v49, 2, v9
	s_waitcnt lgkmcnt(0)
	ds_bpermute_b32 v9, v49, v4
	v_max_f32_e32 v4, v4, v4
	s_add_i32 s3, s3, s40
	s_min_i32 s38, s3, s29
	s_sub_i32 s3, s38, s40
	s_waitcnt lgkmcnt(0)
	v_max_f32_e32 v9, v9, v9
	v_max_f32_e32 v4, v4, v9
	v_lshlrev_b32_e32 v9, 2, v40
	v_and_b32_e32 v9, 0xffffff00, v9
	ds_bpermute_b32 v4, v9, v4
	v_cmp_gt_i32_e64 s[6:7], s3, v0
	v_mov_b32_e32 v10, 0
	s_and_saveexec_b64 s[14:15], s[6:7]
	s_cbranch_execz .LBB222_21
; %bb.18:
	v_mov_b32_e32 v10, 0x1d0
	v_lshl_add_u32 v11, v0, 2, v10
	s_mov_b64 s[16:17], 0
	v_mov_b32_e32 v10, 0
	v_mov_b32_e32 v12, v0
.LBB222_19:                             ; =>This Inner Loop Header: Depth=1
	ds_read_b32 v13, v11
	v_add_u32_e32 v12, 0x80, v12
	v_cmp_le_i32_e64 s[10:11], s3, v12
	s_or_b64 s[16:17], s[10:11], s[16:17]
	s_waitcnt lgkmcnt(0)
	v_sub_f32_e32 v13, v13, v4
	v_mul_f32_e32 v13, 0x3fb8aa3b, v13
	v_exp_f32_e32 v13, v13
	ds_write_b32 v11, v13
	v_add_f32_e32 v10, v10, v13
	v_add_u32_e32 v11, 0x200, v11
	s_andn2_b64 exec, exec, s[16:17]
	s_cbranch_execnz .LBB222_19
; %bb.20:
	s_or_b64 exec, exec, s[16:17]
.LBB222_21:
	s_or_b64 exec, exec, s[14:15]
	ds_bpermute_b32 v2, v2, v10
	s_waitcnt lgkmcnt(0)
	v_add_f32_e32 v2, v10, v2
	ds_bpermute_b32 v3, v3, v2
	s_waitcnt lgkmcnt(0)
	v_add_f32_e32 v2, v2, v3
	ds_bpermute_b32 v3, v7, v2
	v_xor_b32_e32 v7, 2, v40
	v_cmp_lt_i32_e64 s[10:11], v7, v41
	s_waitcnt lgkmcnt(0)
	v_add_f32_e32 v2, v2, v3
	ds_bpermute_b32 v3, v8, v2
	v_cndmask_b32_e64 v7, v40, v7, s[10:11]
	v_lshlrev_b32_e32 v50, 2, v7
	s_waitcnt lgkmcnt(0)
	v_add_f32_e32 v2, v2, v3
	ds_bpermute_b32 v3, v50, v2
	s_waitcnt lgkmcnt(0)
	v_add_f32_e32 v2, v2, v3
	ds_bpermute_b32 v3, v49, v2
	s_waitcnt lgkmcnt(0)
	v_add_f32_e32 v2, v2, v3
	s_and_saveexec_b64 s[10:11], vcc
	s_cbranch_execz .LBB222_23
; %bb.22:
	ds_write_b32 v5, v2 offset:456
.LBB222_23:
	s_or_b64 exec, exec, s[10:11]
	s_waitcnt lgkmcnt(0)
	s_barrier
	s_and_saveexec_b64 s[10:11], s[0:1]
	s_cbranch_execz .LBB222_25
; %bb.24:
	ds_read_b32 v2, v6 offset:456
.LBB222_25:
	s_or_b64 exec, exec, s[10:11]
	s_waitcnt lgkmcnt(0)
	ds_bpermute_b32 v3, v49, v2
	s_waitcnt lgkmcnt(0)
	v_add_f32_e32 v2, v2, v3
	ds_bpermute_b32 v5, v9, v2
	s_and_saveexec_b64 s[0:1], s[6:7]
	s_cbranch_execz .LBB222_38
; %bb.26:
	s_waitcnt lgkmcnt(0)
	v_add_f32_e32 v2, 0x358637bd, v5
	v_div_scale_f32 v3, s[6:7], v2, v2, 1.0
	v_rcp_f32_e32 v6, v3
	v_div_scale_f32 v7, vcc, 1.0, v2, 1.0
	s_movk_i32 s6, 0x7f
	v_fma_f32 v8, -v3, v6, 1.0
	v_fmac_f32_e32 v6, v8, v6
	v_mul_f32_e32 v8, v7, v6
	v_fma_f32 v9, -v3, v8, v7
	v_fmac_f32_e32 v8, v9, v6
	v_fma_f32 v3, -v3, v8, v7
	v_div_fmas_f32 v3, v3, v6, v8
	v_div_fixup_f32 v2, v3, v2, 1.0
	v_xad_u32 v3, v0, -1, s38
	v_subrev_u32_e32 v6, s40, v3
	v_cmp_lt_u32_e32 vcc, s6, v6
	s_mov_b64 s[10:11], -1
	v_mov_b32_e32 v3, v0
	s_and_saveexec_b64 s[6:7], vcc
	s_cbranch_execz .LBB222_35
; %bb.27:
	v_lshrrev_b32_e32 v6, 7, v6
	v_add_u32_e32 v8, -1, v6
	v_lshrrev_b32_e32 v7, 1, v8
	v_mov_b32_e32 v3, v2
	v_add_u32_e32 v7, 1, v7
	v_cmp_lt_u32_e32 vcc, 13, v8
	v_mov_b32_e32 v10, 0
	s_and_saveexec_b64 s[10:11], vcc
	s_cbranch_execz .LBB222_31
; %bb.28:
	v_mov_b32_e32 v9, 0x1d0
	v_and_b32_e32 v8, -8, v7
	v_lshl_add_u32 v9, v0, 2, v9
	s_mov_b32 s16, 0
	s_mov_b64 s[14:15], 0
.LBB222_29:                             ; =>This Inner Loop Header: Depth=1
	ds_read2st64_b32 v[10:11], v9 offset1:2
	ds_read2st64_b32 v[12:13], v9 offset0:4 offset1:6
	ds_read2st64_b32 v[14:15], v9 offset0:8 offset1:10
	;; [unrolled: 1-line block ×3, first 2 shown]
	v_add_u32_e32 v8, -8, v8
	s_waitcnt lgkmcnt(3)
	v_pk_mul_f32 v[10:11], v[2:3], v[10:11]
	s_waitcnt lgkmcnt(2)
	v_pk_mul_f32 v[12:13], v[2:3], v[12:13]
	ds_write2st64_b32 v9, v10, v11 offset1:2
	ds_write2st64_b32 v9, v12, v13 offset0:4 offset1:6
	ds_read2st64_b32 v[12:13], v9 offset0:16 offset1:18
	s_waitcnt lgkmcnt(4)
	v_pk_mul_f32 v[10:11], v[2:3], v[14:15]
	ds_write2st64_b32 v9, v10, v11 offset0:8 offset1:10
	s_waitcnt lgkmcnt(4)
	v_pk_mul_f32 v[10:11], v[2:3], v[16:17]
	ds_write2st64_b32 v9, v10, v11 offset0:12 offset1:14
	ds_read2st64_b32 v[10:11], v9 offset0:20 offset1:22
	s_waitcnt lgkmcnt(3)
	v_pk_mul_f32 v[12:13], v[2:3], v[12:13]
	ds_read2st64_b32 v[14:15], v9 offset0:24 offset1:26
	ds_write2st64_b32 v9, v12, v13 offset0:16 offset1:18
	ds_read2st64_b32 v[12:13], v9 offset0:28 offset1:30
	s_waitcnt lgkmcnt(3)
	v_pk_mul_f32 v[10:11], v[2:3], v[10:11]
	ds_write2st64_b32 v9, v10, v11 offset0:20 offset1:22
	s_waitcnt lgkmcnt(3)
	v_pk_mul_f32 v[10:11], v[2:3], v[14:15]
	ds_write2st64_b32 v9, v10, v11 offset0:24 offset1:26
	s_waitcnt lgkmcnt(2)
	v_pk_mul_f32 v[10:11], v[2:3], v[12:13]
	s_add_i32 s16, s16, 16
	v_cmp_eq_u32_e32 vcc, 0, v8
	ds_write2st64_b32 v9, v10, v11 offset0:28 offset1:30
	v_add_u32_e32 v9, 0x2000, v9
	s_or_b64 s[14:15], vcc, s[14:15]
	v_mov_b32_e32 v10, s16
	s_andn2_b64 exec, exec, s[14:15]
	s_cbranch_execnz .LBB222_29
; %bb.30:
	s_or_b64 exec, exec, s[14:15]
.LBB222_31:
	s_or_b64 exec, exec, s[10:11]
	v_and_b32_e32 v7, 7, v7
	v_cmp_ne_u32_e32 vcc, 0, v7
	s_and_saveexec_b64 s[10:11], vcc
	s_cbranch_execz .LBB222_34
; %bb.32:
	v_lshlrev_b32_e32 v8, 9, v10
	s_movk_i32 s14, 0x1d0
	v_add3_u32 v8, v8, v38, s14
	s_mov_b64 s[14:15], 0
.LBB222_33:                             ; =>This Inner Loop Header: Depth=1
	ds_read2st64_b32 v[10:11], v8 offset1:2
	v_add_u32_e32 v7, -1, v7
	v_cmp_eq_u32_e32 vcc, 0, v7
	s_or_b64 s[14:15], vcc, s[14:15]
	s_waitcnt lgkmcnt(0)
	v_pk_mul_f32 v[10:11], v[2:3], v[10:11]
	ds_write2st64_b32 v8, v10, v11 offset1:2
	v_add_u32_e32 v8, 0x400, v8
	s_andn2_b64 exec, exec, s[14:15]
	s_cbranch_execnz .LBB222_33
.LBB222_34:
	s_or_b64 exec, exec, s[10:11]
	v_add_u32_e32 v6, 1, v6
	v_and_b32_e32 v7, 0x3fffffe, v6
	v_cmp_ne_u32_e32 vcc, v6, v7
	v_lshl_add_u32 v3, v7, 7, v0
	s_orn2_b64 s[10:11], vcc, exec
.LBB222_35:
	s_or_b64 exec, exec, s[6:7]
	s_and_b64 exec, exec, s[10:11]
	s_cbranch_execz .LBB222_38
; %bb.36:
	v_mov_b32_e32 v6, 0x1d0
	v_lshl_add_u32 v6, v3, 2, v6
	s_mov_b64 s[6:7], 0
.LBB222_37:                             ; =>This Inner Loop Header: Depth=1
	ds_read_b32 v7, v6
	v_add_u32_e32 v3, 0x80, v3
	v_cmp_le_i32_e32 vcc, s3, v3
	s_or_b64 s[6:7], vcc, s[6:7]
	s_waitcnt lgkmcnt(0)
	v_mul_f32_e32 v7, v2, v7
	ds_write_b32 v6, v7
	v_add_u32_e32 v6, 0x200, v6
	s_andn2_b64 exec, exec, s[6:7]
	s_cbranch_execnz .LBB222_37
.LBB222_38:
	s_or_b64 exec, exec, s[0:1]
	s_mul_i32 s0, s25, s28
	v_cmp_eq_u32_e32 vcc, 0, v0
	s_mul_i32 s6, s0, s5
	s_waitcnt lgkmcnt(0)
	s_barrier
	s_and_saveexec_b64 s[0:1], vcc
	s_cbranch_execz .LBB222_40
; %bb.39:
	s_ashr_i32 s7, s6, 31
	s_lshl_b64 s[10:11], s[6:7], 2
	s_add_u32 s5, s22, s10
	s_mul_i32 s2, s25, s2
	s_addc_u32 s7, s23, s11
	s_ashr_i32 s3, s2, 31
	s_lshl_b64 s[2:3], s[2:3], 2
	s_add_u32 s16, s5, s2
	s_addc_u32 s7, s7, s3
	s_ashr_i32 s5, s4, 31
	s_lshl_b64 s[14:15], s[4:5], 2
	s_add_u32 s16, s16, s14
	s_addc_u32 s17, s7, s15
	s_add_u32 s5, s20, s10
	s_addc_u32 s7, s21, s11
	;; [unrolled: 2-line block ×3, first 2 shown]
	s_add_u32 s2, s2, s14
	v_mov_b32_e32 v2, 0
	s_addc_u32 s3, s3, s15
	global_store_dword v2, v4, s[16:17]
	global_store_dword v2, v5, s[2:3]
.LBB222_40:
	s_or_b64 exec, exec, s[0:1]
	v_mov_b32_e32 v51, 0
	v_mov_b32_e32 v7, 0
	;; [unrolled: 1-line block ×7, first 2 shown]
	s_and_saveexec_b64 s[2:3], s[8:9]
	s_cbranch_execz .LBB222_58
; %bb.41:
	s_ashr_i32 s1, s41, 31
	s_load_dword s8, s[18:19], 0x0
	s_add_u32 s0, s36, s41
	s_addc_u32 s1, s37, s1
	v_and_b32_e32 v8, 0xfc, v38
	v_mov_b32_e32 v9, 0
	v_and_b32_e32 v2, 12, v38
	s_add_i32 s7, s12, -1
	v_lshl_add_u64 v[12:13], s[0:1], 0, v[8:9]
	v_lshl_add_u32 v3, v39, 4, s40
	s_lshl_b64 s[0:1], s[34:35], 2
	v_add3_u32 v52, v3, v2, 3
	v_lshlrev_b32_e32 v2, 4, v30
	s_add_u32 s0, s30, s0
	v_lshl_or_b32 v2, v39, 6, v2
	s_addc_u32 s1, s31, s1
	s_mov_b32 s5, s13
	s_waitcnt lgkmcnt(0)
	s_mov_b32 s9, s8
	v_add_u32_e32 v53, 0x1d0, v2
	v_lshl_add_u64 v[14:15], v[32:33], 2, s[0:1]
	s_mov_b64 s[10:11], 0
	v_mov_b32_e32 v8, v9
	v_mov_b32_e32 v10, v9
	v_mov_b32_e32 v11, v9
	v_mov_b32_e32 v6, v9
	v_mov_b32_e32 v7, v9
	v_mov_b32_e32 v51, v9
	s_branch .LBB222_43
.LBB222_42:                             ;   in Loop: Header=BB222_43 Depth=1
	s_or_b64 exec, exec, s[0:1]
	s_waitcnt lgkmcnt(0)
	v_mul_f32_e32 v19, v3, v19
	v_fmac_f32_e32 v19, v2, v18
	v_fmac_f32_e32 v19, v4, v16
	v_mul_f32_e32 v16, v3, v25
	v_fmac_f32_e32 v16, v2, v24
	v_fmac_f32_e32 v16, v4, v22
	v_fmac_f32_e32 v16, v5, v23
	v_add_f32_e32 v9, v9, v16
	v_mul_f32_e32 v16, v3, v29
	v_fmac_f32_e32 v16, v2, v28
	v_fmac_f32_e32 v16, v4, v26
	v_fmac_f32_e32 v16, v5, v27
	v_add_f32_e32 v10, v10, v16
	;; [unrolled: 5-line block ×4, first 2 shown]
	v_mul_f32_e32 v16, v3, v45
	v_mul_f32_e32 v3, v3, v47
	v_fmac_f32_e32 v16, v2, v44
	v_fmac_f32_e32 v3, v2, v46
	;; [unrolled: 1-line block ×4, first 2 shown]
	v_add_u32_e32 v32, 2, v32
	v_fmac_f32_e32 v19, v5, v17
	v_fmac_f32_e32 v16, v5, v43
	;; [unrolled: 1-line block ×3, first 2 shown]
	v_cmp_le_i32_e32 vcc, s33, v32
	v_add_f32_e32 v8, v8, v19
	v_add_f32_e32 v7, v7, v16
	;; [unrolled: 1-line block ×3, first 2 shown]
	v_add_u32_e32 v52, 32, v52
	v_add_u32_e32 v53, 0x80, v53
	s_or_b64 s[10:11], vcc, s[10:11]
	v_lshl_add_u64 v[14:15], v[14:15], 0, 8
	s_andn2_b64 exec, exec, s[10:11]
	s_cbranch_execz .LBB222_57
.LBB222_43:                             ; =>This Inner Loop Header: Depth=1
	global_load_dword v2, v[14:15], off
	v_add_u32_e32 v33, -3, v52
	v_cmp_eq_u32_e32 vcc, s7, v32
	v_add_u32_e32 v54, -2, v52
	v_add_u32_e32 v55, -1, v52
	s_waitcnt vmcnt(0)
	v_mad_i64_i32 v[20:21], s[0:1], v2, s5, v[12:13]
	global_load_dword v16, v[20:21], off
	ds_read_b128 v[2:5], v53
	s_waitcnt vmcnt(0)
	v_and_b32_e32 v17, 0xffff, v16
	v_lshrrev_b32_e32 v18, 16, v16
	v_cvt_pk_f32_fp8_e32 v[16:17], v17
	v_cvt_pk_f32_fp8_e32 v[22:23], v18
	v_pk_mul_f32 v[18:19], s[8:9], v[16:17]
	v_pk_mul_f32 v[16:17], s[8:9], v[22:23]
	s_and_saveexec_b64 s[12:13], vcc
; %bb.44:                               ;   in Loop: Header=BB222_43 Depth=1
	v_cmp_gt_i32_e64 s[0:1], s29, v33
	s_nop 1
	v_cndmask_b32_e64 v18, 0, v18, s[0:1]
	v_cmp_gt_i32_e64 s[0:1], s29, v54
	s_nop 1
	v_cndmask_b32_e64 v19, 0, v19, s[0:1]
	v_cmp_gt_i32_e64 s[0:1], s29, v55
	s_nop 1
	v_cndmask_b32_e64 v16, 0, v16, s[0:1]
	v_cmp_gt_i32_e64 s[0:1], s29, v52
	s_nop 1
	v_cndmask_b32_e64 v17, 0, v17, s[0:1]
; %bb.45:                               ;   in Loop: Header=BB222_43 Depth=1
	s_or_b64 exec, exec, s[12:13]
	global_load_dword v22, v[20:21], off offset:256
	s_waitcnt vmcnt(0)
	v_and_b32_e32 v23, 0xffff, v22
	v_lshrrev_b32_e32 v24, 16, v22
	v_cvt_pk_f32_fp8_e32 v[22:23], v23
	v_cvt_pk_f32_fp8_e32 v[26:27], v24
	v_pk_mul_f32 v[24:25], s[8:9], v[22:23]
	v_pk_mul_f32 v[22:23], s[8:9], v[26:27]
	s_and_saveexec_b64 s[12:13], vcc
; %bb.46:                               ;   in Loop: Header=BB222_43 Depth=1
	v_cmp_gt_i32_e64 s[0:1], s29, v33
	s_nop 1
	v_cndmask_b32_e64 v24, 0, v24, s[0:1]
	v_cmp_gt_i32_e64 s[0:1], s29, v54
	s_nop 1
	v_cndmask_b32_e64 v25, 0, v25, s[0:1]
	v_cmp_gt_i32_e64 s[0:1], s29, v55
	s_nop 1
	v_cndmask_b32_e64 v22, 0, v22, s[0:1]
	v_cmp_gt_i32_e64 s[0:1], s29, v52
	s_nop 1
	v_cndmask_b32_e64 v23, 0, v23, s[0:1]
; %bb.47:                               ;   in Loop: Header=BB222_43 Depth=1
	s_or_b64 exec, exec, s[12:13]
	global_load_dword v26, v[20:21], off offset:512
	;; [unrolled: 24-line block ×6, first 2 shown]
	s_waitcnt vmcnt(0)
	v_and_b32_e32 v21, 0xffff, v20
	v_lshrrev_b32_e32 v46, 16, v20
	v_cvt_pk_f32_fp8_e32 v[20:21], v21
	v_cvt_pk_f32_fp8_e32 v[56:57], v46
	v_pk_mul_f32 v[46:47], s[8:9], v[20:21]
	v_pk_mul_f32 v[20:21], s[8:9], v[56:57]
	s_and_saveexec_b64 s[0:1], vcc
	s_cbranch_execz .LBB222_42
; %bb.56:                               ;   in Loop: Header=BB222_43 Depth=1
	v_cmp_gt_i32_e32 vcc, s29, v33
	s_nop 1
	v_cndmask_b32_e32 v46, 0, v46, vcc
	v_cmp_gt_i32_e32 vcc, s29, v54
	s_nop 1
	v_cndmask_b32_e32 v47, 0, v47, vcc
	v_cmp_gt_i32_e32 vcc, s29, v55
	s_nop 1
	v_cndmask_b32_e32 v20, 0, v20, vcc
	v_cmp_gt_i32_e32 vcc, s29, v52
	s_nop 1
	v_cndmask_b32_e32 v21, 0, v21, vcc
	s_branch .LBB222_42
.LBB222_57:
	s_or_b64 exec, exec, s[10:11]
.LBB222_58:
	s_or_b64 exec, exec, s[2:3]
	ds_bpermute_b32 v2, v50, v8
	ds_bpermute_b32 v3, v50, v9
	;; [unrolled: 1-line block ×7, first 2 shown]
	s_waitcnt lgkmcnt(5)
	v_pk_add_f32 v[2:3], v[8:9], v[2:3]
	s_waitcnt lgkmcnt(3)
	v_pk_add_f32 v[6:7], v[6:7], v[12:13]
	ds_bpermute_b32 v8, v49, v2
	ds_bpermute_b32 v9, v49, v3
	s_waitcnt lgkmcnt(3)
	v_pk_add_f32 v[4:5], v[10:11], v[4:5]
	ds_bpermute_b32 v12, v49, v6
	ds_bpermute_b32 v13, v49, v7
	s_waitcnt lgkmcnt(4)
	v_add_f32_e32 v14, v51, v14
	ds_bpermute_b32 v10, v49, v4
	ds_bpermute_b32 v11, v49, v5
	;; [unrolled: 1-line block ×3, first 2 shown]
	s_waitcnt lgkmcnt(5)
	v_pk_add_f32 v[8:9], v[2:3], v[8:9]
	s_waitcnt lgkmcnt(3)
	v_pk_add_f32 v[2:3], v[6:7], v[12:13]
	v_and_b32_e32 v7, 0x3c3, v0
	s_waitcnt lgkmcnt(1)
	v_pk_add_f32 v[4:5], v[4:5], v[10:11]
	s_waitcnt lgkmcnt(0)
	v_add_f32_e32 v6, v14, v15
	v_cmp_eq_u32_e32 vcc, 64, v7
	s_barrier
	s_and_saveexec_b64 s[0:1], vcc
	s_cbranch_execz .LBB222_60
; %bb.59:
	v_add_u32_e32 v10, 0x1d0, v31
	ds_write2_b32 v10, v8, v9 offset1:16
	ds_write2_b32 v10, v4, v5 offset0:32 offset1:48
	ds_write2_b32 v10, v2, v3 offset0:64 offset1:80
	ds_write_b32 v10, v6 offset:384
.LBB222_60:
	s_or_b64 exec, exec, s[0:1]
	v_cmp_gt_u32_e32 vcc, 64, v0
	s_waitcnt lgkmcnt(0)
	s_barrier
	s_and_saveexec_b64 s[0:1], vcc
	s_cbranch_execz .LBB222_70
; %bb.61:
	v_cmp_eq_u32_e32 vcc, 0, v30
	s_and_saveexec_b64 s[2:3], vcc
	s_cbranch_execnz .LBB222_73
; %bb.62:
	s_or_b64 exec, exec, s[2:3]
	s_and_saveexec_b64 s[2:3], vcc
	s_cbranch_execnz .LBB222_74
.LBB222_63:
	s_or_b64 exec, exec, s[2:3]
	s_and_saveexec_b64 s[2:3], vcc
	s_cbranch_execnz .LBB222_75
.LBB222_64:
	s_or_b64 exec, exec, s[2:3]
	s_and_saveexec_b64 s[2:3], vcc
	s_cbranch_execnz .LBB222_76
.LBB222_65:
	s_or_b64 exec, exec, s[2:3]
	s_and_saveexec_b64 s[2:3], vcc
	s_cbranch_execnz .LBB222_77
.LBB222_66:
	s_or_b64 exec, exec, s[2:3]
	s_and_saveexec_b64 s[2:3], vcc
	s_cbranch_execnz .LBB222_78
.LBB222_67:
	s_or_b64 exec, exec, s[2:3]
	s_and_saveexec_b64 s[2:3], vcc
	s_cbranch_execz .LBB222_69
.LBB222_68:
	v_mov_b32_e32 v0, 0x1d0
	v_lshl_add_u32 v0, v48, 2, v0
	ds_read_b32 v0, v0 offset:384
	s_waitcnt lgkmcnt(0)
	v_add_f32_e32 v6, v6, v0
.LBB222_69:
	s_or_b64 exec, exec, s[2:3]
.LBB222_70:
	s_or_b64 exec, exec, s[0:1]
	v_cmp_eq_u32_e32 vcc, 0, v7
	s_barrier
	s_and_saveexec_b64 s[0:1], vcc
	s_cbranch_execz .LBB222_72
; %bb.71:
	s_mul_i32 s0, s6, 0x70
	s_ashr_i32 s1, s0, 31
	s_lshl_b64 s[0:1], s[0:1], 2
	s_add_u32 s2, s26, s0
	s_mul_i32 s0, s25, s24
	s_addc_u32 s3, s27, s1
	s_ashr_i32 s1, s0, 31
	s_lshl_b64 s[0:1], s[0:1], 2
	s_add_u32 s2, s2, s0
	s_mul_i32 s0, s4, 0x70
	s_addc_u32 s3, s3, s1
	s_ashr_i32 s1, s0, 31
	s_lshl_b64 s[0:1], s[0:1], 2
	s_add_u32 s0, s2, s0
	s_addc_u32 s1, s3, s1
	global_store_dword v1, v8, s[0:1]
	global_store_dword v1, v9, s[0:1] offset:64
	global_store_dword v1, v4, s[0:1] offset:128
	;; [unrolled: 1-line block ×6, first 2 shown]
.LBB222_72:
	s_endpgm
.LBB222_73:
	v_mov_b32_e32 v0, 0x1d0
	v_lshl_add_u32 v0, v48, 2, v0
	ds_read_b32 v0, v0
	s_waitcnt lgkmcnt(0)
	v_add_f32_e32 v8, v8, v0
	s_or_b64 exec, exec, s[2:3]
	s_and_saveexec_b64 s[2:3], vcc
	s_cbranch_execz .LBB222_63
.LBB222_74:
	v_mov_b32_e32 v0, 0x1d0
	v_lshl_add_u32 v0, v48, 2, v0
	ds_read_b32 v0, v0 offset:64
	s_waitcnt lgkmcnt(0)
	v_add_f32_e32 v9, v9, v0
	s_or_b64 exec, exec, s[2:3]
	s_and_saveexec_b64 s[2:3], vcc
	s_cbranch_execz .LBB222_64
.LBB222_75:
	v_mov_b32_e32 v0, 0x1d0
	v_lshl_add_u32 v0, v48, 2, v0
	ds_read_b32 v0, v0 offset:128
	s_waitcnt lgkmcnt(0)
	v_add_f32_e32 v4, v4, v0
	s_or_b64 exec, exec, s[2:3]
	s_and_saveexec_b64 s[2:3], vcc
	s_cbranch_execz .LBB222_65
.LBB222_76:
	v_mov_b32_e32 v0, 0x1d0
	v_lshl_add_u32 v0, v48, 2, v0
	ds_read_b32 v0, v0 offset:192
	s_waitcnt lgkmcnt(0)
	v_add_f32_e32 v5, v5, v0
	s_or_b64 exec, exec, s[2:3]
	s_and_saveexec_b64 s[2:3], vcc
	s_cbranch_execz .LBB222_66
.LBB222_77:
	v_mov_b32_e32 v0, 0x1d0
	v_lshl_add_u32 v0, v48, 2, v0
	ds_read_b32 v0, v0 offset:256
	s_waitcnt lgkmcnt(0)
	v_add_f32_e32 v2, v2, v0
	s_or_b64 exec, exec, s[2:3]
	s_and_saveexec_b64 s[2:3], vcc
	s_cbranch_execz .LBB222_67
.LBB222_78:
	v_mov_b32_e32 v0, 0x1d0
	v_lshl_add_u32 v0, v48, 2, v0
	ds_read_b32 v0, v0 offset:320
	s_waitcnt lgkmcnt(0)
	v_add_f32_e32 v3, v3, v0
	s_or_b64 exec, exec, s[2:3]
	s_and_saveexec_b64 s[2:3], vcc
	s_cbranch_execnz .LBB222_68
	s_branch .LBB222_69
	.section	.rodata,"a",@progbits
	.p2align	6, 0x0
	.amdhsa_kernel _ZN4vllm25paged_attention_v2_kernelIfhLi112ELi16ELi128ELNS_18Fp8KVCacheDataTypeE1ELb0ELi512EEEvPfS2_PT_PKS3_PKT0_S9_ifPKiSB_iPKfiiiSD_SD_iiiii
		.amdhsa_group_segment_fixed_size 464
		.amdhsa_private_segment_fixed_size 0
		.amdhsa_kernarg_size 400
		.amdhsa_user_sgpr_count 2
		.amdhsa_user_sgpr_dispatch_ptr 0
		.amdhsa_user_sgpr_queue_ptr 0
		.amdhsa_user_sgpr_kernarg_segment_ptr 1
		.amdhsa_user_sgpr_dispatch_id 0
		.amdhsa_user_sgpr_kernarg_preload_length 0
		.amdhsa_user_sgpr_kernarg_preload_offset 0
		.amdhsa_user_sgpr_private_segment_size 0
		.amdhsa_uses_dynamic_stack 0
		.amdhsa_enable_private_segment 0
		.amdhsa_system_sgpr_workgroup_id_x 1
		.amdhsa_system_sgpr_workgroup_id_y 1
		.amdhsa_system_sgpr_workgroup_id_z 1
		.amdhsa_system_sgpr_workgroup_info 0
		.amdhsa_system_vgpr_workitem_id 0
		.amdhsa_next_free_vgpr 78
		.amdhsa_next_free_sgpr 45
		.amdhsa_accum_offset 80
		.amdhsa_reserve_vcc 1
		.amdhsa_float_round_mode_32 0
		.amdhsa_float_round_mode_16_64 0
		.amdhsa_float_denorm_mode_32 3
		.amdhsa_float_denorm_mode_16_64 3
		.amdhsa_dx10_clamp 1
		.amdhsa_ieee_mode 1
		.amdhsa_fp16_overflow 0
		.amdhsa_tg_split 0
		.amdhsa_exception_fp_ieee_invalid_op 0
		.amdhsa_exception_fp_denorm_src 0
		.amdhsa_exception_fp_ieee_div_zero 0
		.amdhsa_exception_fp_ieee_overflow 0
		.amdhsa_exception_fp_ieee_underflow 0
		.amdhsa_exception_fp_ieee_inexact 0
		.amdhsa_exception_int_div_zero 0
	.end_amdhsa_kernel
	.section	.text._ZN4vllm25paged_attention_v2_kernelIfhLi112ELi16ELi128ELNS_18Fp8KVCacheDataTypeE1ELb0ELi512EEEvPfS2_PT_PKS3_PKT0_S9_ifPKiSB_iPKfiiiSD_SD_iiiii,"axG",@progbits,_ZN4vllm25paged_attention_v2_kernelIfhLi112ELi16ELi128ELNS_18Fp8KVCacheDataTypeE1ELb0ELi512EEEvPfS2_PT_PKS3_PKT0_S9_ifPKiSB_iPKfiiiSD_SD_iiiii,comdat
.Lfunc_end222:
	.size	_ZN4vllm25paged_attention_v2_kernelIfhLi112ELi16ELi128ELNS_18Fp8KVCacheDataTypeE1ELb0ELi512EEEvPfS2_PT_PKS3_PKT0_S9_ifPKiSB_iPKfiiiSD_SD_iiiii, .Lfunc_end222-_ZN4vllm25paged_attention_v2_kernelIfhLi112ELi16ELi128ELNS_18Fp8KVCacheDataTypeE1ELb0ELi512EEEvPfS2_PT_PKS3_PKT0_S9_ifPKiSB_iPKfiiiSD_SD_iiiii
                                        ; -- End function
	.section	.AMDGPU.csdata,"",@progbits
; Kernel info:
; codeLenInByte = 5556
; NumSgprs: 51
; NumVgprs: 78
; NumAgprs: 0
; TotalNumVgprs: 78
; ScratchSize: 0
; MemoryBound: 0
; FloatMode: 240
; IeeeMode: 1
; LDSByteSize: 464 bytes/workgroup (compile time only)
; SGPRBlocks: 6
; VGPRBlocks: 9
; NumSGPRsForWavesPerEU: 51
; NumVGPRsForWavesPerEU: 78
; AccumOffset: 80
; Occupancy: 6
; WaveLimiterHint : 1
; COMPUTE_PGM_RSRC2:SCRATCH_EN: 0
; COMPUTE_PGM_RSRC2:USER_SGPR: 2
; COMPUTE_PGM_RSRC2:TRAP_HANDLER: 0
; COMPUTE_PGM_RSRC2:TGID_X_EN: 1
; COMPUTE_PGM_RSRC2:TGID_Y_EN: 1
; COMPUTE_PGM_RSRC2:TGID_Z_EN: 1
; COMPUTE_PGM_RSRC2:TIDIG_COMP_CNT: 0
; COMPUTE_PGM_RSRC3_GFX90A:ACCUM_OFFSET: 19
; COMPUTE_PGM_RSRC3_GFX90A:TG_SPLIT: 0
	.section	.text._ZN4vllm25paged_attention_v2_kernelIfhLi120ELi16ELi128ELNS_18Fp8KVCacheDataTypeE1ELb0ELi512EEEvPfS2_PT_PKS3_PKT0_S9_ifPKiSB_iPKfiiiSD_SD_iiiii,"axG",@progbits,_ZN4vllm25paged_attention_v2_kernelIfhLi120ELi16ELi128ELNS_18Fp8KVCacheDataTypeE1ELb0ELi512EEEvPfS2_PT_PKS3_PKT0_S9_ifPKiSB_iPKfiiiSD_SD_iiiii,comdat
	.protected	_ZN4vllm25paged_attention_v2_kernelIfhLi120ELi16ELi128ELNS_18Fp8KVCacheDataTypeE1ELb0ELi512EEEvPfS2_PT_PKS3_PKT0_S9_ifPKiSB_iPKfiiiSD_SD_iiiii ; -- Begin function _ZN4vllm25paged_attention_v2_kernelIfhLi120ELi16ELi128ELNS_18Fp8KVCacheDataTypeE1ELb0ELi512EEEvPfS2_PT_PKS3_PKT0_S9_ifPKiSB_iPKfiiiSD_SD_iiiii
	.globl	_ZN4vllm25paged_attention_v2_kernelIfhLi120ELi16ELi128ELNS_18Fp8KVCacheDataTypeE1ELb0ELi512EEEvPfS2_PT_PKS3_PKT0_S9_ifPKiSB_iPKfiiiSD_SD_iiiii
	.p2align	8
	.type	_ZN4vllm25paged_attention_v2_kernelIfhLi120ELi16ELi128ELNS_18Fp8KVCacheDataTypeE1ELb0ELi512EEEvPfS2_PT_PKS3_PKT0_S9_ifPKiSB_iPKfiiiSD_SD_iiiii,@function
_ZN4vllm25paged_attention_v2_kernelIfhLi120ELi16ELi128ELNS_18Fp8KVCacheDataTypeE1ELb0ELi512EEEvPfS2_PT_PKS3_PKT0_S9_ifPKiSB_iPKfiiiSD_SD_iiiii: ; @_ZN4vllm25paged_attention_v2_kernelIfhLi120ELi16ELi128ELNS_18Fp8KVCacheDataTypeE1ELb0ELi512EEEvPfS2_PT_PKS3_PKT0_S9_ifPKiSB_iPKfiiiSD_SD_iiiii
; %bb.0:
	s_load_dwordx2 s[6:7], s[0:1], 0x40
	s_mov_b32 s28, s3
	s_ashr_i32 s29, s3, 31
	s_lshl_b64 s[8:9], s[28:29], 2
	s_waitcnt lgkmcnt(0)
	s_add_u32 s6, s6, s8
	s_addc_u32 s7, s7, s9
	s_load_dword s29, s[6:7], 0x0
	s_lshl_b32 s40, s4, 9
	s_waitcnt lgkmcnt(0)
	s_cmp_ge_i32 s40, s29
	s_cbranch_scc1 .LBB223_102
; %bb.1:
	s_load_dword s5, s[0:1], 0x90
	s_load_dwordx2 s[10:11], s[0:1], 0x30
	s_mov_b32 s41, 0
	s_waitcnt lgkmcnt(0)
	s_abs_i32 s7, s5
	s_abs_i32 s3, s10
	v_cvt_f32_u32_e32 v1, s3
	s_sub_i32 s8, 0, s3
	s_xor_b32 s6, s5, s10
	s_ashr_i32 s6, s6, 31
	v_rcp_iflag_f32_e32 v1, v1
	s_nop 0
	v_mul_f32_e32 v1, 0x4f7ffffe, v1
	v_cvt_u32_f32_e32 v1, v1
	s_nop 0
	v_readfirstlane_b32 s9, v1
	s_mul_i32 s8, s8, s9
	s_mul_hi_u32 s8, s9, s8
	s_add_i32 s9, s9, s8
	s_mul_hi_u32 s8, s7, s9
	s_mul_i32 s9, s8, s3
	s_sub_i32 s7, s7, s9
	s_add_i32 s10, s8, 1
	s_sub_i32 s9, s7, s3
	s_cmp_ge_u32 s7, s3
	s_cselect_b32 s8, s10, s8
	s_cselect_b32 s7, s9, s7
	s_add_i32 s9, s8, 1
	s_cmp_ge_u32 s7, s3
	s_cselect_b32 s3, s9, s8
	s_xor_b32 s3, s3, s6
	s_sub_i32 s10, s3, s6
	s_abs_i32 s8, s10
	v_cvt_f32_u32_e32 v1, s8
	s_load_dwordx2 s[6:7], s[0:1], 0x50
	s_sub_i32 s3, 0, s8
	s_abs_i32 s9, s2
	v_rcp_iflag_f32_e32 v1, v1
	s_nop 0
	v_mul_f32_e32 v1, 0x4f7ffffe, v1
	v_cvt_u32_f32_e32 v1, v1
	s_nop 0
	v_readfirstlane_b32 s12, v1
	s_mul_i32 s3, s3, s12
	s_mul_hi_u32 s3, s12, s3
	s_add_i32 s12, s12, s3
	s_waitcnt lgkmcnt(0)
	s_cmp_eq_u64 s[6:7], 0
	s_mul_hi_u32 s16, s9, s12
	s_cbranch_scc1 .LBB223_3
; %bb.2:
	s_ashr_i32 s3, s2, 31
	s_lshl_b64 s[12:13], s[2:3], 2
	s_add_u32 s6, s6, s12
	s_addc_u32 s7, s7, s13
	s_load_dword s41, s[6:7], 0x0
.LBB223_3:
	s_load_dwordx4 s[12:15], s[0:1], 0x58
	v_lshrrev_b32_e32 v58, 2, v0
	s_movk_i32 s3, 0x78
	s_ashr_i32 s17, s2, 31
	s_ashr_i32 s18, s10, 31
	v_and_b32_e32 v30, 3, v0
	s_mul_i32 s24, s2, 0x78
	v_cmp_gt_u32_e32 vcc, s3, v0
	v_lshlrev_b32_e32 v40, 2, v0
	v_lshlrev_b32_e32 v1, 2, v58
	s_and_saveexec_b64 s[6:7], vcc
	s_cbranch_execz .LBB223_5
; %bb.4:
	s_load_dwordx2 s[20:21], s[0:1], 0x18
	s_waitcnt lgkmcnt(0)
	s_mul_i32 s22, s28, s12
	s_ashr_i32 s23, s22, 31
	s_lshl_b64 s[22:23], s[22:23], 2
	v_mad_u32_u24 v3, v30, s3, v1
	s_add_u32 s10, s20, s22
	s_addc_u32 s12, s21, s23
	s_ashr_i32 s25, s24, 31
	s_lshl_b64 s[20:21], s[24:25], 2
	s_add_u32 s20, s10, s20
	s_addc_u32 s21, s12, s21
	global_load_dword v2, v40, s[20:21]
	s_waitcnt vmcnt(0)
	ds_write_b32 v3, v2
.LBB223_5:
	s_or_b64 exec, exec, s[6:7]
	s_add_i32 s3, s29, 15
	s_ashr_i32 s6, s3, 31
	s_lshr_b32 s6, s6, 28
	s_add_i32 s3, s3, s6
	s_lshl_b32 s10, s4, 5
	s_mul_i32 s7, s16, s8
	s_ashr_i32 s3, s3, 4
	s_add_i32 s6, s10, 32
	s_sub_i32 s7, s9, s7
	s_min_i32 s33, s6, s3
	s_xor_b32 s6, s17, s18
	s_add_i32 s9, s16, 1
	s_waitcnt lgkmcnt(0)
	s_sub_i32 s12, s7, s8
	s_cmp_ge_u32 s7, s8
	s_cselect_b32 s9, s9, s16
	s_cselect_b32 s7, s12, s7
	s_add_i32 s12, s9, 1
	s_cmp_ge_u32 s7, s8
	s_load_dwordx2 s[30:31], s[0:1], 0x38
	s_load_dword s8, s[0:1], 0x48
	v_lshrrev_b32_e32 v41, 6, v0
	s_cselect_b32 s7, s12, s9
	s_xor_b32 s7, s7, s6
	v_or_b32_e32 v32, s10, v41
	s_waitcnt lgkmcnt(0)
	s_mul_i32 s34, s28, s8
	s_sub_i32 s12, s7, s6
	s_ashr_i32 s35, s34, 31
	v_cmp_gt_i32_e64 s[8:9], s33, v32
	v_cmp_le_i32_e32 vcc, s33, v32
	v_mbcnt_lo_u32_b32 v31, -1, 0
	s_barrier
	s_waitcnt lgkmcnt(0)
                                        ; implicit-def: $sgpr15
                                        ; implicit-def: $vgpr42
                                        ; implicit-def: $vgpr43
	s_and_saveexec_b64 s[6:7], vcc
	s_xor_b64 s[6:7], exec, s[6:7]
; %bb.6:
	v_mbcnt_hi_u32_b32 v42, -1, v31
	v_and_b32_e32 v2, 64, v42
	v_add_u32_e32 v43, 64, v2
	s_mov_b32 s15, 0xff7fffff
                                        ; implicit-def: $vgpr31
; %bb.7:
	s_or_saveexec_b64 s[38:39], s[6:7]
	s_load_dwordx4 s[20:23], s[0:1], 0x0
	s_load_dwordx2 s[26:27], s[0:1], 0x10
	s_load_dword s25, s[0:1], 0x98
	s_load_dwordx2 s[36:37], s[0:1], 0x28
	s_load_dwordx4 s[16:19], s[0:1], 0x68
	v_mov_b32_e32 v44, s15
	s_mul_i32 s12, s12, s14
	v_ashrrev_i32_e32 v33, 31, v32
	s_xor_b64 exec, exec, s[38:39]
	s_cbranch_execz .LBB223_13
; %bb.8:
	v_mul_u32_u24_e32 v36, 0x78, v30
	s_load_dwordx2 s[0:1], s[0:1], 0x20
	ds_read2_b64 v[2:5], v36 offset1:1
	ds_read2_b64 v[6:9], v36 offset0:2 offset1:3
	ds_read2_b64 v[10:13], v36 offset0:4 offset1:5
	;; [unrolled: 1-line block ×6, first 2 shown]
	ds_read_b64 v[36:37], v36 offset:112
	v_mbcnt_hi_u32_b32 v42, -1, v31
	v_and_b32_e32 v31, 64, v42
	s_ashr_i32 s6, s12, 31
	v_add_u32_e32 v43, 64, v31
	v_xor_b32_e32 v31, 2, v42
	v_bfe_u32 v44, v0, 2, 4
	s_waitcnt lgkmcnt(0)
	s_add_u32 s0, s0, s12
	v_cmp_lt_i32_e32 vcc, v31, v43
	v_lshlrev_b32_e32 v38, 4, v44
	s_addc_u32 s1, s1, s6
	v_mov_b32_e32 v39, 0
	v_cndmask_b32_e32 v31, v42, v31, vcc
	s_load_dword s43, s[16:17], 0x0
	v_lshl_add_u64 v[34:35], s[0:1], 0, v[38:39]
	v_lshlrev_b32_e32 v45, 2, v31
	v_xor_b32_e32 v31, 1, v42
	s_sub_i32 s44, 1, s29
	v_lshlrev_b32_e32 v38, 4, v41
	s_lshl_b64 s[0:1], s[34:35], 2
	v_cmp_lt_i32_e32 vcc, v31, v43
	v_add3_u32 v47, s40, v38, v44
	v_lshlrev_b32_e32 v38, 2, v44
	s_add_u32 s0, s30, s0
	v_cndmask_b32_e32 v31, v42, v31, vcc
	v_lshl_or_b32 v38, v41, 6, v38
	s_addc_u32 s1, s31, s1
	s_mov_b32 s42, s13
	v_lshlrev_b32_e32 v46, 2, v31
	v_cmp_eq_u32_e32 vcc, 0, v30
	v_cmp_neq_f32_e64 s[6:7], s41, 0
	v_mov_b32_e32 v31, v39
	v_add_u32_e32 v48, 0x1f0, v38
	v_lshl_add_u64 v[38:39], v[32:33], 2, s[0:1]
	s_mov_b64 s[14:15], 0
	v_mov_b32_e32 v44, 0xff7fffff
	v_mov_b32_e32 v49, v32
	s_branch .LBB223_10
.LBB223_9:                              ;   in Loop: Header=BB223_10 Depth=1
	s_or_b64 exec, exec, s[16:17]
	v_add_u32_e32 v49, 2, v49
	v_cmp_le_i32_e64 s[0:1], s33, v49
	v_add_u32_e32 v47, 32, v47
	v_add_u32_e32 v48, 0x80, v48
	s_or_b64 s[14:15], s[0:1], s[14:15]
	v_lshl_add_u64 v[38:39], v[38:39], 0, 8
	s_andn2_b64 exec, exec, s[14:15]
	s_cbranch_execz .LBB223_12
.LBB223_10:                             ; =>This Inner Loop Header: Depth=1
	global_load_dword v50, v[38:39], off
	s_waitcnt vmcnt(0) lgkmcnt(0)
	v_mad_i64_i32 v[50:51], s[0:1], v50, s42, v[34:35]
	v_lshl_add_u64 v[50:51], v[50:51], 0, v[30:31]
	global_load_ubyte v52, v[50:51], off
	global_load_ubyte v53, v[50:51], off offset:4
	global_load_ubyte v54, v[50:51], off offset:8
	;; [unrolled: 1-line block ×28, first 2 shown]
	s_nop 0
	global_load_ubyte v50, v[50:51], off offset:1796
	s_waitcnt vmcnt(29)
	v_cvt_f32_fp8_sdwa v51, v52 src0_sel:BYTE_0
	s_waitcnt vmcnt(28)
	v_cvt_f32_fp8_sdwa v52, v53 src0_sel:BYTE_0
	;; [unrolled: 2-line block ×5, first 2 shown]
	s_waitcnt lgkmcnt(0)
	v_mul_f32_e32 v52, s43, v52
	s_waitcnt vmcnt(24)
	v_cvt_f32_fp8_sdwa v56, v57 src0_sel:BYTE_0
	v_mul_f32_e32 v51, s43, v51
	v_mul_f32_e32 v52, v3, v52
	s_waitcnt vmcnt(23)
	v_cvt_f32_fp8_sdwa v57, v59 src0_sel:BYTE_0
	v_mul_f32_e32 v53, s43, v53
	v_fmac_f32_e32 v52, v2, v51
	s_waitcnt vmcnt(22)
	v_cvt_f32_fp8_sdwa v59, v60 src0_sel:BYTE_0
	v_mul_f32_e32 v54, s43, v54
	v_fmac_f32_e32 v52, v4, v53
	;; [unrolled: 4-line block ×24, first 2 shown]
	v_mul_f32_e32 v78, s43, v78
	v_fmac_f32_e32 v52, v27, v77
	v_mul_f32_e32 v79, s43, v79
	v_fmac_f32_e32 v52, v28, v78
	v_mul_f32_e32 v80, s43, v80
	v_fmac_f32_e32 v52, v29, v79
	v_mul_f32_e32 v50, s43, v50
	v_fmac_f32_e32 v52, v36, v80
	v_fmac_f32_e32 v52, v37, v50
	ds_bpermute_b32 v50, v45, v52
	s_waitcnt lgkmcnt(0)
	v_add_f32_e32 v50, v52, v50
	ds_bpermute_b32 v51, v46, v50
	s_and_saveexec_b64 s[16:17], vcc
	s_cbranch_execz .LBB223_9
; %bb.11:                               ;   in Loop: Header=BB223_10 Depth=1
	v_add_u32_e32 v52, s44, v47
	v_cvt_f32_i32_e32 v52, v52
	s_waitcnt lgkmcnt(0)
	v_add_f32_e32 v50, v50, v51
	v_cmp_gt_i32_e64 s[0:1], s29, v47
	v_max_f32_e32 v51, v44, v44
	v_mul_f32_e32 v52, s41, v52
	v_cndmask_b32_e64 v52, 0, v52, s[6:7]
	v_fmac_f32_e32 v52, s11, v50
	v_cndmask_b32_e64 v50, 0, v52, s[0:1]
	ds_write_b32 v48, v50
	v_max_f32_e32 v50, v51, v52
	v_cndmask_b32_e64 v44, v44, v50, s[0:1]
	s_branch .LBB223_9
.LBB223_12:
	s_or_b64 exec, exec, s[14:15]
.LBB223_13:
	s_or_b64 exec, exec, s[38:39]
	v_xor_b32_e32 v2, 32, v42
	v_cmp_lt_i32_e32 vcc, v2, v43
	v_xor_b32_e32 v5, 16, v42
	v_max_f32_e32 v4, v44, v44
	v_cndmask_b32_e32 v2, v42, v2, vcc
	v_lshlrev_b32_e32 v2, 2, v2
	ds_bpermute_b32 v3, v2, v44
	v_cmp_lt_i32_e32 vcc, v5, v43
	v_xor_b32_e32 v6, 8, v42
	s_waitcnt lgkmcnt(0)
	v_max_f32_e32 v3, v3, v3
	v_max_f32_e32 v4, v4, v3
	v_cndmask_b32_e32 v3, v42, v5, vcc
	v_lshlrev_b32_e32 v3, 2, v3
	ds_bpermute_b32 v5, v3, v4
	v_cmp_lt_i32_e32 vcc, v6, v43
	s_waitcnt lgkmcnt(0)
	v_max_f32_e32 v5, v5, v5
	v_max_f32_e32 v4, v4, v5
	v_cndmask_b32_e32 v5, v42, v6, vcc
	v_lshlrev_b32_e32 v8, 2, v5
	ds_bpermute_b32 v5, v8, v4
	v_xor_b32_e32 v6, 4, v42
	v_cmp_lt_i32_e32 vcc, v6, v43
	s_waitcnt lgkmcnt(0)
	v_max_f32_e32 v5, v5, v5
	v_max_f32_e32 v5, v4, v5
	v_cndmask_b32_e32 v4, v42, v6, vcc
	v_lshlrev_b32_e32 v9, 2, v4
	ds_bpermute_b32 v7, v9, v5
	v_and_b32_e32 v4, 63, v0
	v_cmp_eq_u32_e32 vcc, 0, v4
	v_lshlrev_b32_e32 v6, 2, v41
	s_and_saveexec_b64 s[0:1], vcc
	s_cbranch_execz .LBB223_15
; %bb.14:
	s_waitcnt lgkmcnt(0)
	v_max_f32_e32 v7, v7, v7
	v_max_f32_e32 v5, v5, v5
	;; [unrolled: 1-line block ×3, first 2 shown]
	ds_write_b32 v6, v5 offset:480
.LBB223_15:
	s_or_b64 exec, exec, s[0:1]
	v_cmp_gt_u32_e64 s[0:1], 2, v4
	v_mov_b32_e32 v5, 0xff7fffff
	s_waitcnt lgkmcnt(0)
	v_lshlrev_b32_e32 v7, 2, v4
	s_barrier
	s_and_saveexec_b64 s[6:7], s[0:1]
	s_cbranch_execz .LBB223_17
; %bb.16:
	ds_read_b32 v5, v7 offset:480
.LBB223_17:
	s_or_b64 exec, exec, s[6:7]
	v_xor_b32_e32 v10, 1, v42
	v_cmp_lt_i32_e64 s[6:7], v10, v43
	v_mov_b32_e32 v11, 0
	s_nop 0
	v_cndmask_b32_e64 v10, v42, v10, s[6:7]
	v_lshlrev_b32_e32 v31, 2, v10
	s_waitcnt lgkmcnt(0)
	ds_bpermute_b32 v10, v31, v5
	v_max_f32_e32 v5, v5, v5
	s_sub_i32 s6, s33, s10
	s_lshl_b32 s6, s6, 4
	s_add_i32 s6, s6, s40
	s_waitcnt lgkmcnt(0)
	v_max_f32_e32 v10, v10, v10
	v_max_f32_e32 v5, v5, v10
	v_lshlrev_b32_e32 v10, 2, v42
	v_and_b32_e32 v10, 0xffffff00, v10
	ds_bpermute_b32 v5, v10, v5
	s_min_i32 s39, s6, s29
	s_sub_i32 s38, s39, s40
	v_cmp_gt_i32_e64 s[6:7], s38, v0
	s_and_saveexec_b64 s[14:15], s[6:7]
	s_cbranch_execz .LBB223_21
; %bb.18:
	v_mov_b32_e32 v11, 0x1f0
	v_lshl_add_u32 v12, v0, 2, v11
	s_mov_b64 s[16:17], 0
	v_mov_b32_e32 v11, 0
	v_mov_b32_e32 v13, v0
.LBB223_19:                             ; =>This Inner Loop Header: Depth=1
	ds_read_b32 v14, v12
	v_add_u32_e32 v13, 0x80, v13
	v_cmp_le_i32_e64 s[10:11], s38, v13
	s_or_b64 s[16:17], s[10:11], s[16:17]
	s_waitcnt lgkmcnt(0)
	v_sub_f32_e32 v14, v14, v5
	v_mul_f32_e32 v14, 0x3fb8aa3b, v14
	v_exp_f32_e32 v14, v14
	ds_write_b32 v12, v14
	v_add_f32_e32 v11, v11, v14
	v_add_u32_e32 v12, 0x200, v12
	s_andn2_b64 exec, exec, s[16:17]
	s_cbranch_execnz .LBB223_19
; %bb.20:
	s_or_b64 exec, exec, s[16:17]
.LBB223_21:
	s_or_b64 exec, exec, s[14:15]
	ds_bpermute_b32 v2, v2, v11
	s_waitcnt lgkmcnt(0)
	v_add_f32_e32 v2, v11, v2
	ds_bpermute_b32 v3, v3, v2
	s_waitcnt lgkmcnt(0)
	v_add_f32_e32 v2, v2, v3
	ds_bpermute_b32 v3, v8, v2
	v_xor_b32_e32 v8, 2, v42
	v_cmp_lt_i32_e64 s[10:11], v8, v43
	s_waitcnt lgkmcnt(0)
	v_add_f32_e32 v2, v2, v3
	ds_bpermute_b32 v3, v9, v2
	v_cndmask_b32_e64 v8, v42, v8, s[10:11]
	v_lshlrev_b32_e32 v59, 2, v8
	s_waitcnt lgkmcnt(0)
	v_add_f32_e32 v2, v2, v3
	ds_bpermute_b32 v3, v59, v2
	s_waitcnt lgkmcnt(0)
	v_add_f32_e32 v2, v2, v3
	ds_bpermute_b32 v3, v31, v2
	s_waitcnt lgkmcnt(0)
	v_add_f32_e32 v2, v2, v3
	s_and_saveexec_b64 s[10:11], vcc
	s_cbranch_execz .LBB223_23
; %bb.22:
	ds_write_b32 v6, v2 offset:488
.LBB223_23:
	s_or_b64 exec, exec, s[10:11]
	s_waitcnt lgkmcnt(0)
	s_barrier
	s_and_saveexec_b64 s[10:11], s[0:1]
	s_cbranch_execz .LBB223_25
; %bb.24:
	ds_read_b32 v2, v7 offset:488
.LBB223_25:
	s_or_b64 exec, exec, s[10:11]
	s_waitcnt lgkmcnt(0)
	ds_bpermute_b32 v3, v31, v2
	s_waitcnt lgkmcnt(0)
	v_add_f32_e32 v2, v2, v3
	ds_bpermute_b32 v6, v10, v2
	s_and_saveexec_b64 s[0:1], s[6:7]
	s_cbranch_execz .LBB223_38
; %bb.26:
	s_waitcnt lgkmcnt(0)
	v_add_f32_e32 v2, 0x358637bd, v6
	v_div_scale_f32 v3, s[6:7], v2, v2, 1.0
	v_rcp_f32_e32 v7, v3
	v_div_scale_f32 v8, vcc, 1.0, v2, 1.0
	s_movk_i32 s6, 0x7f
	v_fma_f32 v9, -v3, v7, 1.0
	v_fmac_f32_e32 v7, v9, v7
	v_mul_f32_e32 v9, v8, v7
	v_fma_f32 v10, -v3, v9, v8
	v_fmac_f32_e32 v9, v10, v7
	v_fma_f32 v3, -v3, v9, v8
	v_div_fmas_f32 v3, v3, v7, v9
	v_div_fixup_f32 v2, v3, v2, 1.0
	v_xad_u32 v3, v0, -1, s39
	v_subrev_u32_e32 v7, s40, v3
	v_cmp_lt_u32_e32 vcc, s6, v7
	s_mov_b64 s[10:11], -1
	v_mov_b32_e32 v3, v0
	s_and_saveexec_b64 s[6:7], vcc
	s_cbranch_execz .LBB223_35
; %bb.27:
	v_lshrrev_b32_e32 v7, 7, v7
	v_add_u32_e32 v9, -1, v7
	v_lshrrev_b32_e32 v8, 1, v9
	v_mov_b32_e32 v3, v2
	v_add_u32_e32 v8, 1, v8
	v_cmp_lt_u32_e32 vcc, 13, v9
	v_mov_b32_e32 v11, 0
	s_and_saveexec_b64 s[10:11], vcc
	s_cbranch_execz .LBB223_31
; %bb.28:
	v_mov_b32_e32 v10, 0x1f0
	v_and_b32_e32 v9, -8, v8
	v_lshl_add_u32 v10, v0, 2, v10
	s_mov_b32 s16, 0
	s_mov_b64 s[14:15], 0
.LBB223_29:                             ; =>This Inner Loop Header: Depth=1
	ds_read2st64_b32 v[12:13], v10 offset1:2
	ds_read2st64_b32 v[14:15], v10 offset0:4 offset1:6
	ds_read2st64_b32 v[16:17], v10 offset0:8 offset1:10
	ds_read2st64_b32 v[18:19], v10 offset0:12 offset1:14
	v_add_u32_e32 v9, -8, v9
	s_waitcnt lgkmcnt(3)
	v_pk_mul_f32 v[12:13], v[2:3], v[12:13]
	s_waitcnt lgkmcnt(2)
	v_pk_mul_f32 v[14:15], v[2:3], v[14:15]
	ds_write2st64_b32 v10, v12, v13 offset1:2
	ds_write2st64_b32 v10, v14, v15 offset0:4 offset1:6
	ds_read2st64_b32 v[14:15], v10 offset0:16 offset1:18
	s_waitcnt lgkmcnt(4)
	v_pk_mul_f32 v[12:13], v[2:3], v[16:17]
	ds_write2st64_b32 v10, v12, v13 offset0:8 offset1:10
	s_waitcnt lgkmcnt(4)
	v_pk_mul_f32 v[12:13], v[2:3], v[18:19]
	ds_write2st64_b32 v10, v12, v13 offset0:12 offset1:14
	ds_read2st64_b32 v[12:13], v10 offset0:20 offset1:22
	s_waitcnt lgkmcnt(3)
	v_pk_mul_f32 v[14:15], v[2:3], v[14:15]
	ds_read2st64_b32 v[16:17], v10 offset0:24 offset1:26
	ds_write2st64_b32 v10, v14, v15 offset0:16 offset1:18
	ds_read2st64_b32 v[14:15], v10 offset0:28 offset1:30
	s_waitcnt lgkmcnt(3)
	v_pk_mul_f32 v[12:13], v[2:3], v[12:13]
	ds_write2st64_b32 v10, v12, v13 offset0:20 offset1:22
	s_waitcnt lgkmcnt(3)
	v_pk_mul_f32 v[12:13], v[2:3], v[16:17]
	ds_write2st64_b32 v10, v12, v13 offset0:24 offset1:26
	s_waitcnt lgkmcnt(2)
	v_pk_mul_f32 v[12:13], v[2:3], v[14:15]
	s_add_i32 s16, s16, 16
	v_cmp_eq_u32_e32 vcc, 0, v9
	ds_write2st64_b32 v10, v12, v13 offset0:28 offset1:30
	v_add_u32_e32 v10, 0x2000, v10
	s_or_b64 s[14:15], vcc, s[14:15]
	v_mov_b32_e32 v11, s16
	s_andn2_b64 exec, exec, s[14:15]
	s_cbranch_execnz .LBB223_29
; %bb.30:
	s_or_b64 exec, exec, s[14:15]
.LBB223_31:
	s_or_b64 exec, exec, s[10:11]
	v_and_b32_e32 v8, 7, v8
	v_cmp_ne_u32_e32 vcc, 0, v8
	s_and_saveexec_b64 s[10:11], vcc
	s_cbranch_execz .LBB223_34
; %bb.32:
	v_lshlrev_b32_e32 v9, 9, v11
	s_movk_i32 s14, 0x1f0
	v_add3_u32 v9, v9, v40, s14
	s_mov_b64 s[14:15], 0
.LBB223_33:                             ; =>This Inner Loop Header: Depth=1
	ds_read2st64_b32 v[10:11], v9 offset1:2
	v_add_u32_e32 v8, -1, v8
	v_cmp_eq_u32_e32 vcc, 0, v8
	s_or_b64 s[14:15], vcc, s[14:15]
	s_waitcnt lgkmcnt(0)
	v_pk_mul_f32 v[10:11], v[2:3], v[10:11]
	ds_write2st64_b32 v9, v10, v11 offset1:2
	v_add_u32_e32 v9, 0x400, v9
	s_andn2_b64 exec, exec, s[14:15]
	s_cbranch_execnz .LBB223_33
.LBB223_34:
	s_or_b64 exec, exec, s[10:11]
	v_add_u32_e32 v7, 1, v7
	v_and_b32_e32 v8, 0x3fffffe, v7
	v_cmp_ne_u32_e32 vcc, v7, v8
	v_lshl_add_u32 v3, v8, 7, v0
	s_orn2_b64 s[10:11], vcc, exec
.LBB223_35:
	s_or_b64 exec, exec, s[6:7]
	s_and_b64 exec, exec, s[10:11]
	s_cbranch_execz .LBB223_38
; %bb.36:
	v_mov_b32_e32 v7, 0x1f0
	v_lshl_add_u32 v7, v3, 2, v7
	s_mov_b64 s[6:7], 0
.LBB223_37:                             ; =>This Inner Loop Header: Depth=1
	ds_read_b32 v8, v7
	v_add_u32_e32 v3, 0x80, v3
	v_cmp_le_i32_e32 vcc, s38, v3
	s_or_b64 s[6:7], vcc, s[6:7]
	s_waitcnt lgkmcnt(0)
	v_mul_f32_e32 v8, v2, v8
	ds_write_b32 v7, v8
	v_add_u32_e32 v7, 0x200, v7
	s_andn2_b64 exec, exec, s[6:7]
	s_cbranch_execnz .LBB223_37
.LBB223_38:
	s_or_b64 exec, exec, s[0:1]
	s_mul_i32 s0, s25, s28
	v_cmp_eq_u32_e32 vcc, 0, v0
	s_mul_i32 s6, s0, s5
	s_waitcnt lgkmcnt(0)
	s_barrier
	s_and_saveexec_b64 s[0:1], vcc
	s_cbranch_execz .LBB223_40
; %bb.39:
	s_ashr_i32 s7, s6, 31
	s_lshl_b64 s[10:11], s[6:7], 2
	s_add_u32 s5, s22, s10
	s_mul_i32 s14, s25, s2
	s_addc_u32 s7, s23, s11
	s_ashr_i32 s15, s14, 31
	s_lshl_b64 s[14:15], s[14:15], 2
	s_add_u32 s2, s5, s14
	s_addc_u32 s7, s7, s15
	s_ashr_i32 s5, s4, 31
	s_lshl_b64 s[16:17], s[4:5], 2
	s_add_u32 s22, s2, s16
	s_addc_u32 s23, s7, s17
	s_add_u32 s2, s20, s10
	s_addc_u32 s5, s21, s11
	;; [unrolled: 2-line block ×3, first 2 shown]
	s_add_u32 s10, s2, s16
	v_mov_b32_e32 v2, 0
	s_addc_u32 s11, s5, s17
	global_store_dword v2, v5, s[22:23]
	global_store_dword v2, v6, s[10:11]
.LBB223_40:
	s_or_b64 exec, exec, s[0:1]
	v_mov_b32_e32 v7, 0
	v_lshrrev_b32_e32 v60, 2, v4
	v_mov_b32_e32 v6, 0
	v_mov_b32_e32 v9, 0
	;; [unrolled: 1-line block ×7, first 2 shown]
	s_and_saveexec_b64 s[10:11], s[8:9]
	s_cbranch_execz .LBB223_62
; %bb.41:
	s_ashr_i32 s1, s12, 31
	s_load_dword s8, s[18:19], 0x0
	v_and_b32_e32 v2, 12, v40
	s_add_u32 s0, s36, s12
	v_or_b32_e32 v3, 0x70, v60
	s_movk_i32 s2, 0x78
	s_addc_u32 s1, s37, s1
	s_add_i32 s7, s3, -1
	v_cmp_gt_u32_e32 vcc, s2, v3
	v_lshl_or_b32 v16, v3, 4, v2
	v_lshl_add_u32 v3, v41, 4, s40
	s_lshl_b64 s[2:3], s[34:35], 2
	v_lshl_or_b32 v14, v60, 4, v2
	v_add3_u32 v61, v3, v2, 3
	v_lshlrev_b32_e32 v2, 4, v30
	s_add_u32 s2, s30, s2
	v_mov_b32_e32 v15, 0
	v_lshl_or_b32 v2, v41, 6, v2
	s_addc_u32 s3, s31, s3
	s_mov_b32 s5, s13
	s_waitcnt lgkmcnt(0)
	s_mov_b32 s9, s8
	v_mov_b32_e32 v17, v15
	v_add_u32_e32 v62, 0x1f0, v2
	v_lshl_add_u64 v[18:19], v[32:33], 2, s[2:3]
	s_mov_b64 s[12:13], 0
	v_mov_b64_e32 v[20:21], s[0:1]
	v_mov_b32_e32 v12, v15
	v_mov_b32_e32 v13, v15
	;; [unrolled: 1-line block ×8, first 2 shown]
	s_branch .LBB223_44
.LBB223_42:                             ;   in Loop: Header=BB223_44 Depth=1
	s_or_b64 exec, exec, s[14:15]
	s_waitcnt lgkmcnt(0)
	v_mul_f32_e32 v33, v3, v57
	v_fmac_f32_e32 v33, v2, v56
	v_fmac_f32_e32 v33, v4, v34
	;; [unrolled: 1-line block ×3, first 2 shown]
	v_add_f32_e32 v7, v7, v33
.LBB223_43:                             ;   in Loop: Header=BB223_44 Depth=1
	s_or_b64 exec, exec, s[2:3]
	s_waitcnt lgkmcnt(0)
	v_mul_f32_e32 v25, v3, v25
	v_fmac_f32_e32 v25, v2, v24
	v_fmac_f32_e32 v25, v4, v22
	v_mul_f32_e32 v22, v3, v29
	v_fmac_f32_e32 v22, v2, v28
	v_fmac_f32_e32 v22, v4, v26
	v_fmac_f32_e32 v22, v5, v27
	v_add_f32_e32 v13, v13, v22
	v_mul_f32_e32 v22, v3, v39
	v_fmac_f32_e32 v22, v2, v38
	v_fmac_f32_e32 v22, v4, v36
	v_fmac_f32_e32 v22, v5, v37
	v_add_f32_e32 v10, v10, v22
	;; [unrolled: 5-line block ×4, first 2 shown]
	v_mul_f32_e32 v22, v3, v53
	v_mul_f32_e32 v3, v3, v55
	v_fmac_f32_e32 v22, v2, v52
	v_fmac_f32_e32 v3, v2, v54
	;; [unrolled: 1-line block ×4, first 2 shown]
	v_add_u32_e32 v32, 2, v32
	v_fmac_f32_e32 v25, v5, v23
	v_fmac_f32_e32 v22, v5, v51
	;; [unrolled: 1-line block ×3, first 2 shown]
	v_cmp_le_i32_e64 s[0:1], s33, v32
	v_add_f32_e32 v12, v12, v25
	v_add_f32_e32 v9, v9, v22
	;; [unrolled: 1-line block ×3, first 2 shown]
	v_add_u32_e32 v61, 32, v61
	v_add_u32_e32 v62, 0x80, v62
	s_or_b64 s[12:13], s[0:1], s[12:13]
	v_lshl_add_u64 v[18:19], v[18:19], 0, 8
	s_andn2_b64 exec, exec, s[12:13]
	s_cbranch_execz .LBB223_61
.LBB223_44:                             ; =>This Inner Loop Header: Depth=1
	global_load_dword v2, v[18:19], off
	v_add_u32_e32 v33, -3, v61
	s_waitcnt vmcnt(0)
	v_mad_i64_i32 v[34:35], s[0:1], v2, s5, v[20:21]
	v_lshl_add_u64 v[40:41], v[34:35], 0, v[14:15]
	global_load_dword v22, v[40:41], off
	ds_read_b128 v[2:5], v62
	v_cmp_eq_u32_e64 s[0:1], s7, v32
	s_waitcnt vmcnt(0)
	v_and_b32_e32 v23, 0xffff, v22
	v_lshrrev_b32_e32 v24, 16, v22
	v_cvt_pk_f32_fp8_e32 v[22:23], v23
	v_cvt_pk_f32_fp8_e32 v[26:27], v24
	v_pk_mul_f32 v[24:25], s[8:9], v[22:23]
	v_pk_mul_f32 v[22:23], s[8:9], v[26:27]
	s_and_saveexec_b64 s[14:15], s[0:1]
; %bb.45:                               ;   in Loop: Header=BB223_44 Depth=1
	v_cmp_gt_i32_e64 s[2:3], s29, v33
	v_add_u32_e32 v26, -2, v61
	s_nop 0
	v_cndmask_b32_e64 v24, 0, v24, s[2:3]
	v_cmp_gt_i32_e64 s[2:3], s29, v26
	v_add_u32_e32 v26, -1, v61
	s_nop 0
	v_cndmask_b32_e64 v25, 0, v25, s[2:3]
	v_cmp_gt_i32_e64 s[2:3], s29, v26
	s_nop 1
	v_cndmask_b32_e64 v22, 0, v22, s[2:3]
	v_cmp_gt_i32_e64 s[2:3], s29, v61
	s_nop 1
	v_cndmask_b32_e64 v23, 0, v23, s[2:3]
; %bb.46:                               ;   in Loop: Header=BB223_44 Depth=1
	s_or_b64 exec, exec, s[14:15]
	global_load_dword v26, v[40:41], off offset:256
	s_waitcnt vmcnt(0)
	v_and_b32_e32 v27, 0xffff, v26
	v_lshrrev_b32_e32 v28, 16, v26
	v_cvt_pk_f32_fp8_e32 v[26:27], v27
	v_cvt_pk_f32_fp8_e32 v[36:37], v28
	v_pk_mul_f32 v[28:29], s[8:9], v[26:27]
	v_pk_mul_f32 v[26:27], s[8:9], v[36:37]
	s_and_saveexec_b64 s[14:15], s[0:1]
; %bb.47:                               ;   in Loop: Header=BB223_44 Depth=1
	v_cmp_gt_i32_e64 s[2:3], s29, v33
	v_add_u32_e32 v36, -2, v61
	s_nop 0
	v_cndmask_b32_e64 v28, 0, v28, s[2:3]
	v_cmp_gt_i32_e64 s[2:3], s29, v36
	v_add_u32_e32 v36, -1, v61
	s_nop 0
	v_cndmask_b32_e64 v29, 0, v29, s[2:3]
	v_cmp_gt_i32_e64 s[2:3], s29, v36
	s_nop 1
	v_cndmask_b32_e64 v26, 0, v26, s[2:3]
	v_cmp_gt_i32_e64 s[2:3], s29, v61
	s_nop 1
	v_cndmask_b32_e64 v27, 0, v27, s[2:3]
; %bb.48:                               ;   in Loop: Header=BB223_44 Depth=1
	s_or_b64 exec, exec, s[14:15]
	global_load_dword v36, v[40:41], off offset:512
	;; [unrolled: 26-line block ×6, first 2 shown]
	s_waitcnt vmcnt(0)
	v_and_b32_e32 v41, 0xffff, v40
	v_lshrrev_b32_e32 v54, 16, v40
	v_cvt_pk_f32_fp8_e32 v[40:41], v41
	v_cvt_pk_f32_fp8_e32 v[56:57], v54
	v_pk_mul_f32 v[54:55], s[8:9], v[40:41]
	v_pk_mul_f32 v[40:41], s[8:9], v[56:57]
	s_and_saveexec_b64 s[14:15], s[0:1]
; %bb.57:                               ;   in Loop: Header=BB223_44 Depth=1
	v_cmp_gt_i32_e64 s[2:3], s29, v33
	v_add_u32_e32 v56, -2, v61
	s_nop 0
	v_cndmask_b32_e64 v54, 0, v54, s[2:3]
	v_cmp_gt_i32_e64 s[2:3], s29, v56
	v_add_u32_e32 v56, -1, v61
	s_nop 0
	v_cndmask_b32_e64 v55, 0, v55, s[2:3]
	v_cmp_gt_i32_e64 s[2:3], s29, v56
	s_nop 1
	v_cndmask_b32_e64 v40, 0, v40, s[2:3]
	v_cmp_gt_i32_e64 s[2:3], s29, v61
	s_nop 1
	v_cndmask_b32_e64 v41, 0, v41, s[2:3]
; %bb.58:                               ;   in Loop: Header=BB223_44 Depth=1
	s_or_b64 exec, exec, s[14:15]
	s_and_saveexec_b64 s[2:3], vcc
	s_cbranch_execz .LBB223_43
; %bb.59:                               ;   in Loop: Header=BB223_44 Depth=1
	v_lshl_add_u64 v[34:35], v[34:35], 0, v[16:17]
	global_load_dword v34, v[34:35], off
	s_waitcnt vmcnt(0)
	v_and_b32_e32 v35, 0xffff, v34
	v_lshrrev_b32_e32 v56, 16, v34
	v_cvt_pk_f32_fp8_e32 v[34:35], v35
	v_cvt_pk_f32_fp8_e32 v[64:65], v56
	v_pk_mul_f32 v[56:57], s[8:9], v[34:35]
	v_pk_mul_f32 v[34:35], s[8:9], v[64:65]
	s_and_saveexec_b64 s[14:15], s[0:1]
	s_cbranch_execz .LBB223_42
; %bb.60:                               ;   in Loop: Header=BB223_44 Depth=1
	v_cmp_gt_i32_e64 s[0:1], s29, v33
	v_add_u32_e32 v33, -2, v61
	s_nop 0
	v_cndmask_b32_e64 v56, 0, v56, s[0:1]
	v_cmp_gt_i32_e64 s[0:1], s29, v33
	v_add_u32_e32 v33, -1, v61
	s_nop 0
	v_cndmask_b32_e64 v57, 0, v57, s[0:1]
	v_cmp_gt_i32_e64 s[0:1], s29, v33
	s_nop 1
	v_cndmask_b32_e64 v34, 0, v34, s[0:1]
	v_cmp_gt_i32_e64 s[0:1], s29, v61
	s_nop 1
	v_cndmask_b32_e64 v35, 0, v35, s[0:1]
	s_branch .LBB223_42
.LBB223_61:
	s_or_b64 exec, exec, s[12:13]
.LBB223_62:
	s_or_b64 exec, exec, s[10:11]
	ds_bpermute_b32 v4, v59, v10
	ds_bpermute_b32 v5, v59, v11
	;; [unrolled: 1-line block ×6, first 2 shown]
	s_waitcnt lgkmcnt(4)
	v_pk_add_f32 v[4:5], v[10:11], v[4:5]
	ds_bpermute_b32 v10, v59, v8
	ds_bpermute_b32 v11, v59, v9
	s_waitcnt lgkmcnt(4)
	v_pk_add_f32 v[2:3], v[12:13], v[2:3]
	ds_bpermute_b32 v14, v31, v4
	ds_bpermute_b32 v15, v31, v5
	s_waitcnt lgkmcnt(4)
	v_pk_add_f32 v[16:17], v[6:7], v[16:17]
	s_waitcnt lgkmcnt(2)
	v_pk_add_f32 v[10:11], v[8:9], v[10:11]
	ds_bpermute_b32 v18, v31, v10
	ds_bpermute_b32 v19, v31, v11
	;; [unrolled: 1-line block ×6, first 2 shown]
	s_waitcnt lgkmcnt(6)
	v_pk_add_f32 v[6:7], v[4:5], v[14:15]
	s_waitcnt lgkmcnt(4)
	v_pk_add_f32 v[4:5], v[10:11], v[18:19]
	v_and_b32_e32 v10, 0x3c0, v0
	s_waitcnt lgkmcnt(2)
	v_pk_add_f32 v[8:9], v[2:3], v[12:13]
	s_waitcnt lgkmcnt(0)
	v_pk_add_f32 v[2:3], v[16:17], v[20:21]
	v_cmp_eq_u32_e32 vcc, 64, v10
	s_barrier
	s_and_saveexec_b64 s[2:3], vcc
	s_cbranch_execz .LBB223_67
; %bb.63:
	v_cmp_eq_u32_e32 vcc, 0, v30
	s_and_saveexec_b64 s[0:1], vcc
	s_cbranch_execz .LBB223_65
; %bb.64:
	v_mov_b32_e32 v10, 0x1f0
	v_lshl_add_u32 v10, v60, 2, v10
	ds_write2_b32 v10, v8, v9 offset1:16
	ds_write2_b32 v10, v6, v7 offset0:32 offset1:48
	ds_write2_b32 v10, v4, v5 offset0:64 offset1:80
	ds_write_b32 v10, v2 offset:384
.LBB223_65:
	s_or_b64 exec, exec, s[0:1]
	v_or_b32_e32 v10, 0x70, v60
	s_movk_i32 s0, 0x78
	v_cmp_gt_u32_e64 s[0:1], s0, v10
	s_and_b64 s[0:1], vcc, s[0:1]
	s_and_b64 exec, exec, s[0:1]
	s_cbranch_execz .LBB223_67
; %bb.66:
	v_mov_b32_e32 v10, 0x1f0
	v_lshl_add_u32 v10, v60, 2, v10
	ds_write_b32 v10, v3 offset:448
.LBB223_67:
	s_or_b64 exec, exec, s[2:3]
	v_cmp_gt_u32_e32 vcc, 64, v0
	s_waitcnt lgkmcnt(0)
	s_barrier
	s_and_saveexec_b64 s[8:9], vcc
	s_cbranch_execz .LBB223_85
; %bb.68:
	v_cmp_eq_u32_e64 s[0:1], 0, v30
	s_and_saveexec_b64 s[2:3], s[0:1]
	s_cbranch_execz .LBB223_70
; %bb.69:
	v_mov_b32_e32 v0, 0x1f0
	v_lshl_add_u32 v0, v58, 2, v0
	ds_read_b32 v0, v0
	s_waitcnt lgkmcnt(0)
	v_add_f32_e32 v8, v8, v0
.LBB223_70:
	s_or_b64 exec, exec, s[2:3]
	v_or_b32_e32 v0, 16, v58
	s_movk_i32 s5, 0x78
	v_cmp_gt_u32_e64 s[2:3], s5, v0
	s_and_b64 s[10:11], s[0:1], s[2:3]
	s_and_saveexec_b64 s[2:3], s[10:11]
	s_cbranch_execz .LBB223_72
; %bb.71:
	v_mov_b32_e32 v0, 0x1f0
	v_lshl_add_u32 v0, v58, 2, v0
	ds_read_b32 v0, v0 offset:64
	s_waitcnt lgkmcnt(0)
	v_add_f32_e32 v9, v9, v0
.LBB223_72:
	s_or_b64 exec, exec, s[2:3]
	v_or_b32_e32 v0, 32, v58
	v_cmp_gt_u32_e64 s[2:3], s5, v0
	s_and_b64 s[10:11], s[0:1], s[2:3]
	s_and_saveexec_b64 s[2:3], s[10:11]
	s_cbranch_execz .LBB223_74
; %bb.73:
	v_mov_b32_e32 v0, 0x1f0
	v_lshl_add_u32 v0, v58, 2, v0
	ds_read_b32 v0, v0 offset:128
	s_waitcnt lgkmcnt(0)
	v_add_f32_e32 v6, v6, v0
.LBB223_74:
	s_or_b64 exec, exec, s[2:3]
	v_or_b32_e32 v0, 48, v58
	;; [unrolled: 13-line block ×6, first 2 shown]
	s_movk_i32 s2, 0x78
	v_cmp_gt_u32_e64 s[2:3], s2, v0
	s_and_b64 s[2:3], s[0:1], s[2:3]
	s_and_saveexec_b64 s[0:1], s[2:3]
	s_cbranch_execz .LBB223_84
; %bb.83:
	v_mov_b32_e32 v0, 0x1f0
	v_lshl_add_u32 v0, v58, 2, v0
	ds_read_b32 v0, v0 offset:448
	s_waitcnt lgkmcnt(0)
	v_add_f32_e32 v3, v3, v0
.LBB223_84:
	s_or_b64 exec, exec, s[0:1]
.LBB223_85:
	s_or_b64 exec, exec, s[8:9]
	s_barrier
	s_and_saveexec_b64 s[0:1], vcc
	s_cbranch_execz .LBB223_102
; %bb.86:
	s_mul_i32 s0, s6, 0x78
	s_ashr_i32 s1, s0, 31
	s_lshl_b64 s[0:1], s[0:1], 2
	s_add_u32 s2, s26, s0
	s_mul_i32 s0, s25, s24
	s_addc_u32 s3, s27, s1
	s_ashr_i32 s1, s0, 31
	s_lshl_b64 s[0:1], s[0:1], 2
	s_add_u32 s2, s2, s0
	s_mul_i32 s0, s4, 0x78
	s_addc_u32 s3, s3, s1
	s_ashr_i32 s1, s0, 31
	s_lshl_b64 s[0:1], s[0:1], 2
	s_add_u32 s2, s2, s0
	s_movk_i32 s5, 0x78
	s_addc_u32 s3, s3, s1
	v_cmp_eq_u32_e32 vcc, 0, v30
	s_and_saveexec_b64 s[0:1], vcc
	s_cbranch_execz .LBB223_88
; %bb.87:
	global_store_dword v1, v8, s[2:3]
.LBB223_88:
	s_or_b64 exec, exec, s[0:1]
	v_or_b32_e32 v0, 16, v58
	v_cmp_gt_u32_e64 s[0:1], s5, v0
	s_and_b64 s[4:5], vcc, s[0:1]
	s_and_saveexec_b64 s[0:1], s[4:5]
	s_cbranch_execz .LBB223_90
; %bb.89:
	global_store_dword v1, v9, s[2:3] offset:64
.LBB223_90:
	s_or_b64 exec, exec, s[0:1]
	v_or_b32_e32 v0, 32, v58
	s_movk_i32 s4, 0x78
	v_cmp_gt_u32_e64 s[0:1], s4, v0
	s_and_b64 s[6:7], vcc, s[0:1]
	s_and_saveexec_b64 s[0:1], s[6:7]
	s_cbranch_execz .LBB223_92
; %bb.91:
	global_store_dword v1, v6, s[2:3] offset:128
.LBB223_92:
	s_or_b64 exec, exec, s[0:1]
	v_or_b32_e32 v0, 48, v58
	v_cmp_gt_u32_e64 s[0:1], s4, v0
	s_and_b64 s[4:5], vcc, s[0:1]
	s_and_saveexec_b64 s[0:1], s[4:5]
	s_cbranch_execz .LBB223_94
; %bb.93:
	global_store_dword v1, v7, s[2:3] offset:192
.LBB223_94:
	s_or_b64 exec, exec, s[0:1]
	v_or_b32_e32 v0, 64, v58
	s_movk_i32 s4, 0x78
	v_cmp_gt_u32_e64 s[0:1], s4, v0
	s_and_b64 s[6:7], vcc, s[0:1]
	s_and_saveexec_b64 s[0:1], s[6:7]
	s_cbranch_execz .LBB223_96
; %bb.95:
	global_store_dword v1, v4, s[2:3] offset:256
.LBB223_96:
	s_or_b64 exec, exec, s[0:1]
	v_or_b32_e32 v0, 0x50, v58
	v_cmp_gt_u32_e64 s[0:1], s4, v0
	s_and_b64 s[4:5], vcc, s[0:1]
	s_and_saveexec_b64 s[0:1], s[4:5]
	s_cbranch_execz .LBB223_98
; %bb.97:
	global_store_dword v1, v5, s[2:3] offset:320
.LBB223_98:
	s_or_b64 exec, exec, s[0:1]
	v_or_b32_e32 v0, 0x60, v58
	s_movk_i32 s4, 0x78
	v_cmp_gt_u32_e64 s[0:1], s4, v0
	s_and_b64 s[6:7], vcc, s[0:1]
	s_and_saveexec_b64 s[0:1], s[6:7]
	s_cbranch_execz .LBB223_100
; %bb.99:
	global_store_dword v1, v2, s[2:3] offset:384
.LBB223_100:
	s_or_b64 exec, exec, s[0:1]
	v_or_b32_e32 v0, 0x70, v58
	v_cmp_gt_u32_e64 s[0:1], s4, v0
	s_and_b64 s[0:1], vcc, s[0:1]
	s_and_b64 exec, exec, s[0:1]
	s_cbranch_execz .LBB223_102
; %bb.101:
	global_store_dword v1, v3, s[2:3] offset:448
.LBB223_102:
	s_endpgm
	.section	.rodata,"a",@progbits
	.p2align	6, 0x0
	.amdhsa_kernel _ZN4vllm25paged_attention_v2_kernelIfhLi120ELi16ELi128ELNS_18Fp8KVCacheDataTypeE1ELb0ELi512EEEvPfS2_PT_PKS3_PKT0_S9_ifPKiSB_iPKfiiiSD_SD_iiiii
		.amdhsa_group_segment_fixed_size 496
		.amdhsa_private_segment_fixed_size 0
		.amdhsa_kernarg_size 400
		.amdhsa_user_sgpr_count 2
		.amdhsa_user_sgpr_dispatch_ptr 0
		.amdhsa_user_sgpr_queue_ptr 0
		.amdhsa_user_sgpr_kernarg_segment_ptr 1
		.amdhsa_user_sgpr_dispatch_id 0
		.amdhsa_user_sgpr_kernarg_preload_length 0
		.amdhsa_user_sgpr_kernarg_preload_offset 0
		.amdhsa_user_sgpr_private_segment_size 0
		.amdhsa_uses_dynamic_stack 0
		.amdhsa_enable_private_segment 0
		.amdhsa_system_sgpr_workgroup_id_x 1
		.amdhsa_system_sgpr_workgroup_id_y 1
		.amdhsa_system_sgpr_workgroup_id_z 1
		.amdhsa_system_sgpr_workgroup_info 0
		.amdhsa_system_vgpr_workitem_id 0
		.amdhsa_next_free_vgpr 82
		.amdhsa_next_free_sgpr 45
		.amdhsa_accum_offset 84
		.amdhsa_reserve_vcc 1
		.amdhsa_float_round_mode_32 0
		.amdhsa_float_round_mode_16_64 0
		.amdhsa_float_denorm_mode_32 3
		.amdhsa_float_denorm_mode_16_64 3
		.amdhsa_dx10_clamp 1
		.amdhsa_ieee_mode 1
		.amdhsa_fp16_overflow 0
		.amdhsa_tg_split 0
		.amdhsa_exception_fp_ieee_invalid_op 0
		.amdhsa_exception_fp_denorm_src 0
		.amdhsa_exception_fp_ieee_div_zero 0
		.amdhsa_exception_fp_ieee_overflow 0
		.amdhsa_exception_fp_ieee_underflow 0
		.amdhsa_exception_fp_ieee_inexact 0
		.amdhsa_exception_int_div_zero 0
	.end_amdhsa_kernel
	.section	.text._ZN4vllm25paged_attention_v2_kernelIfhLi120ELi16ELi128ELNS_18Fp8KVCacheDataTypeE1ELb0ELi512EEEvPfS2_PT_PKS3_PKT0_S9_ifPKiSB_iPKfiiiSD_SD_iiiii,"axG",@progbits,_ZN4vllm25paged_attention_v2_kernelIfhLi120ELi16ELi128ELNS_18Fp8KVCacheDataTypeE1ELb0ELi512EEEvPfS2_PT_PKS3_PKT0_S9_ifPKiSB_iPKfiiiSD_SD_iiiii,comdat
.Lfunc_end223:
	.size	_ZN4vllm25paged_attention_v2_kernelIfhLi120ELi16ELi128ELNS_18Fp8KVCacheDataTypeE1ELb0ELi512EEEvPfS2_PT_PKS3_PKT0_S9_ifPKiSB_iPKfiiiSD_SD_iiiii, .Lfunc_end223-_ZN4vllm25paged_attention_v2_kernelIfhLi120ELi16ELi128ELNS_18Fp8KVCacheDataTypeE1ELb0ELi512EEEvPfS2_PT_PKS3_PKT0_S9_ifPKiSB_iPKfiiiSD_SD_iiiii
                                        ; -- End function
	.section	.AMDGPU.csdata,"",@progbits
; Kernel info:
; codeLenInByte = 6400
; NumSgprs: 51
; NumVgprs: 82
; NumAgprs: 0
; TotalNumVgprs: 82
; ScratchSize: 0
; MemoryBound: 0
; FloatMode: 240
; IeeeMode: 1
; LDSByteSize: 496 bytes/workgroup (compile time only)
; SGPRBlocks: 6
; VGPRBlocks: 10
; NumSGPRsForWavesPerEU: 51
; NumVGPRsForWavesPerEU: 82
; AccumOffset: 84
; Occupancy: 5
; WaveLimiterHint : 1
; COMPUTE_PGM_RSRC2:SCRATCH_EN: 0
; COMPUTE_PGM_RSRC2:USER_SGPR: 2
; COMPUTE_PGM_RSRC2:TRAP_HANDLER: 0
; COMPUTE_PGM_RSRC2:TGID_X_EN: 1
; COMPUTE_PGM_RSRC2:TGID_Y_EN: 1
; COMPUTE_PGM_RSRC2:TGID_Z_EN: 1
; COMPUTE_PGM_RSRC2:TIDIG_COMP_CNT: 0
; COMPUTE_PGM_RSRC3_GFX90A:ACCUM_OFFSET: 20
; COMPUTE_PGM_RSRC3_GFX90A:TG_SPLIT: 0
	.section	.text._ZN4vllm25paged_attention_v2_kernelIfhLi128ELi16ELi128ELNS_18Fp8KVCacheDataTypeE1ELb0ELi512EEEvPfS2_PT_PKS3_PKT0_S9_ifPKiSB_iPKfiiiSD_SD_iiiii,"axG",@progbits,_ZN4vllm25paged_attention_v2_kernelIfhLi128ELi16ELi128ELNS_18Fp8KVCacheDataTypeE1ELb0ELi512EEEvPfS2_PT_PKS3_PKT0_S9_ifPKiSB_iPKfiiiSD_SD_iiiii,comdat
	.protected	_ZN4vllm25paged_attention_v2_kernelIfhLi128ELi16ELi128ELNS_18Fp8KVCacheDataTypeE1ELb0ELi512EEEvPfS2_PT_PKS3_PKT0_S9_ifPKiSB_iPKfiiiSD_SD_iiiii ; -- Begin function _ZN4vllm25paged_attention_v2_kernelIfhLi128ELi16ELi128ELNS_18Fp8KVCacheDataTypeE1ELb0ELi512EEEvPfS2_PT_PKS3_PKT0_S9_ifPKiSB_iPKfiiiSD_SD_iiiii
	.globl	_ZN4vllm25paged_attention_v2_kernelIfhLi128ELi16ELi128ELNS_18Fp8KVCacheDataTypeE1ELb0ELi512EEEvPfS2_PT_PKS3_PKT0_S9_ifPKiSB_iPKfiiiSD_SD_iiiii
	.p2align	8
	.type	_ZN4vllm25paged_attention_v2_kernelIfhLi128ELi16ELi128ELNS_18Fp8KVCacheDataTypeE1ELb0ELi512EEEvPfS2_PT_PKS3_PKT0_S9_ifPKiSB_iPKfiiiSD_SD_iiiii,@function
_ZN4vllm25paged_attention_v2_kernelIfhLi128ELi16ELi128ELNS_18Fp8KVCacheDataTypeE1ELb0ELi512EEEvPfS2_PT_PKS3_PKT0_S9_ifPKiSB_iPKfiiiSD_SD_iiiii: ; @_ZN4vllm25paged_attention_v2_kernelIfhLi128ELi16ELi128ELNS_18Fp8KVCacheDataTypeE1ELb0ELi512EEEvPfS2_PT_PKS3_PKT0_S9_ifPKiSB_iPKfiiiSD_SD_iiiii
; %bb.0:
	s_load_dwordx2 s[6:7], s[0:1], 0x40
	s_mov_b32 s28, s3
	s_ashr_i32 s29, s3, 31
	s_lshl_b64 s[8:9], s[28:29], 2
	s_waitcnt lgkmcnt(0)
	s_add_u32 s6, s6, s8
	s_addc_u32 s7, s7, s9
	s_load_dword s29, s[6:7], 0x0
	s_lshl_b32 s40, s4, 9
	s_waitcnt lgkmcnt(0)
	s_cmp_ge_i32 s40, s29
	s_cbranch_scc1 .LBB224_75
; %bb.1:
	s_load_dword s5, s[0:1], 0x90
	s_load_dwordx2 s[10:11], s[0:1], 0x30
	s_waitcnt lgkmcnt(0)
	s_abs_i32 s7, s5
	s_abs_i32 s3, s10
	v_cvt_f32_u32_e32 v1, s3
	s_sub_i32 s8, 0, s3
	s_xor_b32 s6, s5, s10
	s_ashr_i32 s6, s6, 31
	v_rcp_iflag_f32_e32 v1, v1
	s_nop 0
	v_mul_f32_e32 v1, 0x4f7ffffe, v1
	v_cvt_u32_f32_e32 v1, v1
	s_nop 0
	v_readfirstlane_b32 s9, v1
	s_mul_i32 s8, s8, s9
	s_mul_hi_u32 s8, s9, s8
	s_add_i32 s9, s9, s8
	s_mul_hi_u32 s8, s7, s9
	s_mul_i32 s9, s8, s3
	s_sub_i32 s7, s7, s9
	s_add_i32 s10, s8, 1
	s_sub_i32 s9, s7, s3
	s_cmp_ge_u32 s7, s3
	s_cselect_b32 s8, s10, s8
	s_cselect_b32 s7, s9, s7
	s_add_i32 s9, s8, 1
	s_cmp_ge_u32 s7, s3
	s_cselect_b32 s3, s9, s8
	s_xor_b32 s3, s3, s6
	s_sub_i32 s12, s3, s6
	s_abs_i32 s8, s12
	v_cvt_f32_u32_e32 v1, s8
	s_load_dwordx2 s[6:7], s[0:1], 0x50
	s_sub_i32 s3, 0, s8
	s_abs_i32 s9, s2
	v_rcp_iflag_f32_e32 v1, v1
	s_mov_b32 s10, 0
	v_mul_f32_e32 v1, 0x4f7ffffe, v1
	v_cvt_u32_f32_e32 v1, v1
	s_nop 0
	v_readfirstlane_b32 s13, v1
	s_mul_i32 s3, s3, s13
	s_mul_hi_u32 s3, s13, s3
	s_add_i32 s13, s13, s3
	s_waitcnt lgkmcnt(0)
	s_cmp_eq_u64 s[6:7], 0
	s_mul_hi_u32 s16, s9, s13
	s_cbranch_scc1 .LBB224_3
; %bb.2:
	s_ashr_i32 s3, s2, 31
	s_lshl_b64 s[14:15], s[2:3], 2
	s_add_u32 s6, s6, s14
	s_addc_u32 s7, s7, s15
	s_load_dword s10, s[6:7], 0x0
.LBB224_3:
	s_ashr_i32 s18, s12, 31
	s_load_dwordx4 s[12:15], s[0:1], 0x58
	v_lshrrev_b32_e32 v54, 2, v0
	s_movk_i32 s3, 0x80
	s_ashr_i32 s17, s2, 31
	v_and_b32_e32 v34, 3, v0
	s_lshl_b32 s24, s2, 7
	v_cmp_gt_u32_e32 vcc, s3, v0
	v_lshlrev_b32_e32 v42, 2, v0
	v_lshlrev_b32_e32 v1, 2, v54
	s_and_saveexec_b64 s[6:7], vcc
	s_cbranch_execz .LBB224_5
; %bb.4:
	s_load_dwordx2 s[20:21], s[0:1], 0x18
	s_waitcnt lgkmcnt(0)
	s_mul_i32 s22, s28, s12
	s_ashr_i32 s23, s22, 31
	s_lshl_b64 s[22:23], s[22:23], 2
	v_lshl_add_u32 v3, v34, 7, v1
	s_add_u32 s3, s20, s22
	s_addc_u32 s12, s21, s23
	s_ashr_i32 s25, s24, 31
	s_lshl_b64 s[20:21], s[24:25], 2
	s_add_u32 s20, s3, s20
	s_addc_u32 s21, s12, s21
	global_load_dword v2, v42, s[20:21]
	s_waitcnt vmcnt(0)
	ds_write_b32 v3, v2
.LBB224_5:
	s_or_b64 exec, exec, s[6:7]
	s_add_i32 s3, s29, 15
	s_ashr_i32 s6, s3, 31
	s_lshr_b32 s6, s6, 28
	s_add_i32 s3, s3, s6
	s_waitcnt lgkmcnt(0)
	s_ashr_i32 s12, s3, 4
	s_lshl_b32 s3, s4, 5
	s_mul_i32 s7, s16, s8
	s_add_i32 s6, s3, 32
	s_sub_i32 s7, s9, s7
	s_min_i32 s33, s6, s12
	s_xor_b32 s6, s17, s18
	s_add_i32 s9, s16, 1
	s_sub_i32 s15, s7, s8
	s_cmp_ge_u32 s7, s8
	s_cselect_b32 s9, s9, s16
	s_cselect_b32 s7, s15, s7
	s_add_i32 s15, s9, 1
	s_cmp_ge_u32 s7, s8
	s_load_dwordx2 s[30:31], s[0:1], 0x38
	s_load_dword s8, s[0:1], 0x48
	v_lshrrev_b32_e32 v43, 6, v0
	s_cselect_b32 s7, s15, s9
	s_xor_b32 s7, s7, s6
	v_or_b32_e32 v36, s3, v43
	s_waitcnt lgkmcnt(0)
	s_mul_i32 s34, s28, s8
	s_sub_i32 s41, s7, s6
	s_ashr_i32 s35, s34, 31
	v_cmp_gt_i32_e64 s[8:9], s33, v36
	v_cmp_le_i32_e32 vcc, s33, v36
	v_mbcnt_lo_u32_b32 v35, -1, 0
	s_barrier
	s_waitcnt lgkmcnt(0)
                                        ; implicit-def: $sgpr15
                                        ; implicit-def: $vgpr44
                                        ; implicit-def: $vgpr45
	s_and_saveexec_b64 s[6:7], vcc
	s_xor_b64 s[6:7], exec, s[6:7]
; %bb.6:
	v_mbcnt_hi_u32_b32 v44, -1, v35
	v_and_b32_e32 v2, 64, v44
	v_add_u32_e32 v45, 64, v2
	s_mov_b32 s15, 0xff7fffff
                                        ; implicit-def: $vgpr35
; %bb.7:
	s_or_saveexec_b64 s[38:39], s[6:7]
	s_load_dwordx4 s[20:23], s[0:1], 0x0
	s_load_dwordx2 s[26:27], s[0:1], 0x10
	s_load_dword s25, s[0:1], 0x98
	s_load_dwordx2 s[36:37], s[0:1], 0x28
	s_load_dwordx4 s[16:19], s[0:1], 0x68
	v_mov_b32_e32 v46, s15
	s_mul_i32 s41, s41, s14
	v_ashrrev_i32_e32 v37, 31, v36
	s_xor_b64 exec, exec, s[38:39]
	s_cbranch_execz .LBB224_13
; %bb.8:
	v_lshlrev_b32_e32 v30, 7, v34
	s_load_dwordx2 s[0:1], s[0:1], 0x20
	ds_read_b128 v[2:5], v30
	ds_read_b128 v[6:9], v30 offset:16
	ds_read_b128 v[10:13], v30 offset:32
	;; [unrolled: 1-line block ×7, first 2 shown]
	v_mbcnt_hi_u32_b32 v44, -1, v35
	v_and_b32_e32 v35, 64, v44
	s_ashr_i32 s6, s41, 31
	v_add_u32_e32 v45, 64, v35
	v_xor_b32_e32 v35, 2, v44
	v_bfe_u32 v46, v0, 2, 4
	s_waitcnt lgkmcnt(0)
	s_add_u32 s0, s0, s41
	v_cmp_lt_i32_e32 vcc, v35, v45
	v_lshlrev_b32_e32 v40, 4, v46
	s_addc_u32 s1, s1, s6
	v_mov_b32_e32 v41, 0
	v_cndmask_b32_e32 v35, v44, v35, vcc
	s_load_dword s43, s[16:17], 0x0
	v_lshl_add_u64 v[38:39], s[0:1], 0, v[40:41]
	v_lshlrev_b32_e32 v47, 2, v35
	v_xor_b32_e32 v35, 1, v44
	s_sub_i32 s44, 1, s29
	v_lshlrev_b32_e32 v40, 4, v43
	s_lshl_b64 s[0:1], s[34:35], 2
	v_cmp_lt_i32_e32 vcc, v35, v45
	v_add3_u32 v49, s40, v40, v46
	v_lshlrev_b32_e32 v40, 2, v46
	s_add_u32 s0, s30, s0
	v_cndmask_b32_e32 v35, v44, v35, vcc
	v_lshl_or_b32 v40, v43, 6, v40
	s_addc_u32 s1, s31, s1
	s_mov_b32 s42, s13
	v_lshlrev_b32_e32 v48, 2, v35
	v_cmp_eq_u32_e32 vcc, 0, v34
	v_cmp_neq_f32_e64 s[6:7], s10, 0
	v_mov_b32_e32 v35, v41
	v_add_u32_e32 v50, 0x210, v40
	v_lshl_add_u64 v[40:41], v[36:37], 2, s[0:1]
	s_mov_b64 s[14:15], 0
	v_mov_b32_e32 v46, 0xff7fffff
	v_mov_b32_e32 v51, v36
	s_branch .LBB224_10
.LBB224_9:                              ;   in Loop: Header=BB224_10 Depth=1
	s_or_b64 exec, exec, s[16:17]
	v_add_u32_e32 v51, 2, v51
	v_cmp_le_i32_e64 s[0:1], s33, v51
	v_add_u32_e32 v49, 32, v49
	v_add_u32_e32 v50, 0x80, v50
	s_or_b64 s[14:15], s[0:1], s[14:15]
	v_lshl_add_u64 v[40:41], v[40:41], 0, 8
	s_andn2_b64 exec, exec, s[14:15]
	s_cbranch_execz .LBB224_12
.LBB224_10:                             ; =>This Inner Loop Header: Depth=1
	global_load_dword v52, v[40:41], off
	s_waitcnt vmcnt(0) lgkmcnt(0)
	v_mad_i64_i32 v[52:53], s[0:1], v52, s42, v[38:39]
	v_lshl_add_u64 v[52:53], v[52:53], 0, v[34:35]
	global_load_ubyte v55, v[52:53], off
	global_load_ubyte v56, v[52:53], off offset:4
	global_load_ubyte v57, v[52:53], off offset:8
	;; [unrolled: 1-line block ×30, first 2 shown]
	s_nop 0
	global_load_ubyte v52, v[52:53], off offset:1804
	s_waitcnt vmcnt(31)
	v_cvt_f32_fp8_sdwa v53, v55 src0_sel:BYTE_0
	s_waitcnt vmcnt(30)
	v_cvt_f32_fp8_sdwa v55, v56 src0_sel:BYTE_0
	;; [unrolled: 2-line block ×5, first 2 shown]
	s_waitcnt lgkmcnt(0)
	v_mul_f32_e32 v55, s43, v55
	s_waitcnt vmcnt(26)
	v_cvt_f32_fp8_sdwa v59, v60 src0_sel:BYTE_0
	v_mul_f32_e32 v53, s43, v53
	v_mul_f32_e32 v55, v3, v55
	s_waitcnt vmcnt(25)
	v_cvt_f32_fp8_sdwa v60, v61 src0_sel:BYTE_0
	v_mul_f32_e32 v56, s43, v56
	v_fmac_f32_e32 v55, v2, v53
	s_waitcnt vmcnt(24)
	v_cvt_f32_fp8_sdwa v61, v62 src0_sel:BYTE_0
	v_mul_f32_e32 v57, s43, v57
	v_fmac_f32_e32 v55, v4, v56
	;; [unrolled: 4-line block ×26, first 2 shown]
	v_mul_f32_e32 v82, s43, v82
	v_fmac_f32_e32 v55, v29, v81
	v_mul_f32_e32 v83, s43, v83
	v_fmac_f32_e32 v55, v30, v82
	;; [unrolled: 2-line block ×4, first 2 shown]
	v_fmac_f32_e32 v55, v33, v52
	ds_bpermute_b32 v52, v47, v55
	s_waitcnt lgkmcnt(0)
	v_add_f32_e32 v52, v55, v52
	ds_bpermute_b32 v53, v48, v52
	s_and_saveexec_b64 s[16:17], vcc
	s_cbranch_execz .LBB224_9
; %bb.11:                               ;   in Loop: Header=BB224_10 Depth=1
	v_add_u32_e32 v55, s44, v49
	v_cvt_f32_i32_e32 v55, v55
	s_waitcnt lgkmcnt(0)
	v_add_f32_e32 v52, v52, v53
	v_cmp_gt_i32_e64 s[0:1], s29, v49
	v_max_f32_e32 v53, v46, v46
	v_mul_f32_e32 v55, s10, v55
	v_cndmask_b32_e64 v55, 0, v55, s[6:7]
	v_fmac_f32_e32 v55, s11, v52
	v_cndmask_b32_e64 v52, 0, v55, s[0:1]
	ds_write_b32 v50, v52
	v_max_f32_e32 v52, v53, v55
	v_cndmask_b32_e64 v46, v46, v52, s[0:1]
	s_branch .LBB224_9
.LBB224_12:
	s_or_b64 exec, exec, s[14:15]
.LBB224_13:
	s_or_b64 exec, exec, s[38:39]
	v_xor_b32_e32 v2, 32, v44
	v_cmp_lt_i32_e32 vcc, v2, v45
	v_xor_b32_e32 v5, 16, v44
	v_max_f32_e32 v4, v46, v46
	v_cndmask_b32_e32 v2, v44, v2, vcc
	v_lshlrev_b32_e32 v2, 2, v2
	ds_bpermute_b32 v3, v2, v46
	v_cmp_lt_i32_e32 vcc, v5, v45
	v_xor_b32_e32 v6, 8, v44
	v_and_b32_e32 v35, 63, v0
	s_waitcnt lgkmcnt(0)
	v_max_f32_e32 v3, v3, v3
	v_max_f32_e32 v4, v4, v3
	v_cndmask_b32_e32 v3, v44, v5, vcc
	v_lshlrev_b32_e32 v3, 2, v3
	ds_bpermute_b32 v5, v3, v4
	v_cmp_lt_i32_e32 vcc, v6, v45
	s_waitcnt lgkmcnt(0)
	v_max_f32_e32 v5, v5, v5
	v_max_f32_e32 v4, v4, v5
	v_cndmask_b32_e32 v5, v44, v6, vcc
	v_lshlrev_b32_e32 v7, 2, v5
	ds_bpermute_b32 v5, v7, v4
	v_xor_b32_e32 v6, 4, v44
	v_cmp_lt_i32_e32 vcc, v6, v45
	s_waitcnt lgkmcnt(0)
	v_max_f32_e32 v5, v5, v5
	v_max_f32_e32 v4, v4, v5
	v_cndmask_b32_e32 v5, v44, v6, vcc
	v_lshlrev_b32_e32 v8, 2, v5
	ds_bpermute_b32 v6, v8, v4
	v_cmp_eq_u32_e32 vcc, 0, v35
	v_lshlrev_b32_e32 v5, 2, v43
	s_and_saveexec_b64 s[0:1], vcc
	s_cbranch_execz .LBB224_15
; %bb.14:
	s_waitcnt lgkmcnt(0)
	v_max_f32_e32 v6, v6, v6
	v_max_f32_e32 v4, v4, v4
	;; [unrolled: 1-line block ×3, first 2 shown]
	ds_write_b32 v5, v4 offset:512
.LBB224_15:
	s_or_b64 exec, exec, s[0:1]
	v_cmp_gt_u32_e64 s[0:1], 2, v35
	v_mov_b32_e32 v4, 0xff7fffff
	s_waitcnt lgkmcnt(0)
	v_lshlrev_b32_e32 v6, 2, v35
	s_barrier
	s_and_saveexec_b64 s[6:7], s[0:1]
	s_cbranch_execz .LBB224_17
; %bb.16:
	ds_read_b32 v4, v6 offset:512
.LBB224_17:
	s_or_b64 exec, exec, s[6:7]
	v_xor_b32_e32 v9, 1, v44
	v_cmp_lt_i32_e64 s[6:7], v9, v45
	s_sub_i32 s3, s33, s3
	s_lshl_b32 s3, s3, 4
	v_cndmask_b32_e64 v9, v44, v9, s[6:7]
	v_lshlrev_b32_e32 v55, 2, v9
	s_waitcnt lgkmcnt(0)
	ds_bpermute_b32 v9, v55, v4
	v_max_f32_e32 v4, v4, v4
	s_add_i32 s3, s3, s40
	s_min_i32 s38, s3, s29
	s_sub_i32 s3, s38, s40
	s_waitcnt lgkmcnt(0)
	v_max_f32_e32 v9, v9, v9
	v_max_f32_e32 v4, v4, v9
	v_lshlrev_b32_e32 v9, 2, v44
	v_and_b32_e32 v9, 0xffffff00, v9
	ds_bpermute_b32 v4, v9, v4
	v_cmp_gt_i32_e64 s[6:7], s3, v0
	v_mov_b32_e32 v10, 0
	s_and_saveexec_b64 s[14:15], s[6:7]
	s_cbranch_execz .LBB224_21
; %bb.18:
	v_mov_b32_e32 v10, 0x210
	v_lshl_add_u32 v11, v0, 2, v10
	s_mov_b64 s[16:17], 0
	v_mov_b32_e32 v10, 0
	v_mov_b32_e32 v12, v0
.LBB224_19:                             ; =>This Inner Loop Header: Depth=1
	ds_read_b32 v13, v11
	v_add_u32_e32 v12, 0x80, v12
	v_cmp_le_i32_e64 s[10:11], s3, v12
	s_or_b64 s[16:17], s[10:11], s[16:17]
	s_waitcnt lgkmcnt(0)
	v_sub_f32_e32 v13, v13, v4
	v_mul_f32_e32 v13, 0x3fb8aa3b, v13
	v_exp_f32_e32 v13, v13
	ds_write_b32 v11, v13
	v_add_f32_e32 v10, v10, v13
	v_add_u32_e32 v11, 0x200, v11
	s_andn2_b64 exec, exec, s[16:17]
	s_cbranch_execnz .LBB224_19
; %bb.20:
	s_or_b64 exec, exec, s[16:17]
.LBB224_21:
	s_or_b64 exec, exec, s[14:15]
	ds_bpermute_b32 v2, v2, v10
	s_waitcnt lgkmcnt(0)
	v_add_f32_e32 v2, v10, v2
	ds_bpermute_b32 v3, v3, v2
	s_waitcnt lgkmcnt(0)
	v_add_f32_e32 v2, v2, v3
	ds_bpermute_b32 v3, v7, v2
	v_xor_b32_e32 v7, 2, v44
	v_cmp_lt_i32_e64 s[10:11], v7, v45
	s_waitcnt lgkmcnt(0)
	v_add_f32_e32 v2, v2, v3
	ds_bpermute_b32 v3, v8, v2
	v_cndmask_b32_e64 v7, v44, v7, s[10:11]
	v_lshlrev_b32_e32 v56, 2, v7
	s_waitcnt lgkmcnt(0)
	v_add_f32_e32 v2, v2, v3
	ds_bpermute_b32 v3, v56, v2
	s_waitcnt lgkmcnt(0)
	v_add_f32_e32 v2, v2, v3
	ds_bpermute_b32 v3, v55, v2
	s_waitcnt lgkmcnt(0)
	v_add_f32_e32 v2, v2, v3
	s_and_saveexec_b64 s[10:11], vcc
	s_cbranch_execz .LBB224_23
; %bb.22:
	ds_write_b32 v5, v2 offset:520
.LBB224_23:
	s_or_b64 exec, exec, s[10:11]
	s_waitcnt lgkmcnt(0)
	s_barrier
	s_and_saveexec_b64 s[10:11], s[0:1]
	s_cbranch_execz .LBB224_25
; %bb.24:
	ds_read_b32 v2, v6 offset:520
.LBB224_25:
	s_or_b64 exec, exec, s[10:11]
	s_waitcnt lgkmcnt(0)
	ds_bpermute_b32 v3, v55, v2
	s_waitcnt lgkmcnt(0)
	v_add_f32_e32 v2, v2, v3
	ds_bpermute_b32 v5, v9, v2
	s_and_saveexec_b64 s[0:1], s[6:7]
	s_cbranch_execz .LBB224_38
; %bb.26:
	s_waitcnt lgkmcnt(0)
	v_add_f32_e32 v2, 0x358637bd, v5
	v_div_scale_f32 v3, s[6:7], v2, v2, 1.0
	v_rcp_f32_e32 v6, v3
	v_div_scale_f32 v7, vcc, 1.0, v2, 1.0
	s_movk_i32 s6, 0x7f
	v_fma_f32 v8, -v3, v6, 1.0
	v_fmac_f32_e32 v6, v8, v6
	v_mul_f32_e32 v8, v7, v6
	v_fma_f32 v9, -v3, v8, v7
	v_fmac_f32_e32 v8, v9, v6
	v_fma_f32 v3, -v3, v8, v7
	v_div_fmas_f32 v3, v3, v6, v8
	v_div_fixup_f32 v2, v3, v2, 1.0
	v_xad_u32 v3, v0, -1, s38
	v_subrev_u32_e32 v6, s40, v3
	v_cmp_lt_u32_e32 vcc, s6, v6
	s_mov_b64 s[10:11], -1
	v_mov_b32_e32 v3, v0
	s_and_saveexec_b64 s[6:7], vcc
	s_cbranch_execz .LBB224_35
; %bb.27:
	v_lshrrev_b32_e32 v6, 7, v6
	v_add_u32_e32 v8, -1, v6
	v_lshrrev_b32_e32 v7, 1, v8
	v_mov_b32_e32 v3, v2
	v_add_u32_e32 v7, 1, v7
	v_cmp_lt_u32_e32 vcc, 13, v8
	v_mov_b32_e32 v10, 0
	s_and_saveexec_b64 s[10:11], vcc
	s_cbranch_execz .LBB224_31
; %bb.28:
	v_mov_b32_e32 v9, 0x210
	v_and_b32_e32 v8, -8, v7
	v_lshl_add_u32 v9, v0, 2, v9
	s_mov_b32 s16, 0
	s_mov_b64 s[14:15], 0
.LBB224_29:                             ; =>This Inner Loop Header: Depth=1
	ds_read2st64_b32 v[10:11], v9 offset1:2
	ds_read2st64_b32 v[12:13], v9 offset0:4 offset1:6
	ds_read2st64_b32 v[14:15], v9 offset0:8 offset1:10
	;; [unrolled: 1-line block ×3, first 2 shown]
	v_add_u32_e32 v8, -8, v8
	s_waitcnt lgkmcnt(3)
	v_pk_mul_f32 v[10:11], v[2:3], v[10:11]
	s_waitcnt lgkmcnt(2)
	v_pk_mul_f32 v[12:13], v[2:3], v[12:13]
	ds_write2st64_b32 v9, v10, v11 offset1:2
	ds_write2st64_b32 v9, v12, v13 offset0:4 offset1:6
	ds_read2st64_b32 v[12:13], v9 offset0:16 offset1:18
	s_waitcnt lgkmcnt(4)
	v_pk_mul_f32 v[10:11], v[2:3], v[14:15]
	ds_write2st64_b32 v9, v10, v11 offset0:8 offset1:10
	s_waitcnt lgkmcnt(4)
	v_pk_mul_f32 v[10:11], v[2:3], v[16:17]
	ds_write2st64_b32 v9, v10, v11 offset0:12 offset1:14
	ds_read2st64_b32 v[10:11], v9 offset0:20 offset1:22
	s_waitcnt lgkmcnt(3)
	v_pk_mul_f32 v[12:13], v[2:3], v[12:13]
	ds_read2st64_b32 v[14:15], v9 offset0:24 offset1:26
	ds_write2st64_b32 v9, v12, v13 offset0:16 offset1:18
	ds_read2st64_b32 v[12:13], v9 offset0:28 offset1:30
	s_waitcnt lgkmcnt(3)
	v_pk_mul_f32 v[10:11], v[2:3], v[10:11]
	ds_write2st64_b32 v9, v10, v11 offset0:20 offset1:22
	s_waitcnt lgkmcnt(3)
	v_pk_mul_f32 v[10:11], v[2:3], v[14:15]
	ds_write2st64_b32 v9, v10, v11 offset0:24 offset1:26
	s_waitcnt lgkmcnt(2)
	v_pk_mul_f32 v[10:11], v[2:3], v[12:13]
	s_add_i32 s16, s16, 16
	v_cmp_eq_u32_e32 vcc, 0, v8
	ds_write2st64_b32 v9, v10, v11 offset0:28 offset1:30
	v_add_u32_e32 v9, 0x2000, v9
	s_or_b64 s[14:15], vcc, s[14:15]
	v_mov_b32_e32 v10, s16
	s_andn2_b64 exec, exec, s[14:15]
	s_cbranch_execnz .LBB224_29
; %bb.30:
	s_or_b64 exec, exec, s[14:15]
.LBB224_31:
	s_or_b64 exec, exec, s[10:11]
	v_and_b32_e32 v7, 7, v7
	v_cmp_ne_u32_e32 vcc, 0, v7
	s_and_saveexec_b64 s[10:11], vcc
	s_cbranch_execz .LBB224_34
; %bb.32:
	v_lshlrev_b32_e32 v8, 9, v10
	s_movk_i32 s14, 0x210
	v_add3_u32 v8, v8, v42, s14
	s_mov_b64 s[14:15], 0
.LBB224_33:                             ; =>This Inner Loop Header: Depth=1
	ds_read2st64_b32 v[10:11], v8 offset1:2
	v_add_u32_e32 v7, -1, v7
	v_cmp_eq_u32_e32 vcc, 0, v7
	s_or_b64 s[14:15], vcc, s[14:15]
	s_waitcnt lgkmcnt(0)
	v_pk_mul_f32 v[10:11], v[2:3], v[10:11]
	ds_write2st64_b32 v8, v10, v11 offset1:2
	v_add_u32_e32 v8, 0x400, v8
	s_andn2_b64 exec, exec, s[14:15]
	s_cbranch_execnz .LBB224_33
.LBB224_34:
	s_or_b64 exec, exec, s[10:11]
	v_add_u32_e32 v6, 1, v6
	v_and_b32_e32 v7, 0x3fffffe, v6
	v_cmp_ne_u32_e32 vcc, v6, v7
	v_lshl_add_u32 v3, v7, 7, v0
	s_orn2_b64 s[10:11], vcc, exec
.LBB224_35:
	s_or_b64 exec, exec, s[6:7]
	s_and_b64 exec, exec, s[10:11]
	s_cbranch_execz .LBB224_38
; %bb.36:
	v_mov_b32_e32 v6, 0x210
	v_lshl_add_u32 v6, v3, 2, v6
	s_mov_b64 s[6:7], 0
.LBB224_37:                             ; =>This Inner Loop Header: Depth=1
	ds_read_b32 v7, v6
	v_add_u32_e32 v3, 0x80, v3
	v_cmp_le_i32_e32 vcc, s3, v3
	s_or_b64 s[6:7], vcc, s[6:7]
	s_waitcnt lgkmcnt(0)
	v_mul_f32_e32 v7, v2, v7
	ds_write_b32 v6, v7
	v_add_u32_e32 v6, 0x200, v6
	s_andn2_b64 exec, exec, s[6:7]
	s_cbranch_execnz .LBB224_37
.LBB224_38:
	s_or_b64 exec, exec, s[0:1]
	s_mul_i32 s0, s25, s28
	v_cmp_eq_u32_e32 vcc, 0, v0
	s_mul_i32 s6, s0, s5
	s_waitcnt lgkmcnt(0)
	s_barrier
	s_and_saveexec_b64 s[0:1], vcc
	s_cbranch_execz .LBB224_40
; %bb.39:
	s_ashr_i32 s7, s6, 31
	s_lshl_b64 s[10:11], s[6:7], 2
	s_add_u32 s5, s22, s10
	s_mul_i32 s2, s25, s2
	s_addc_u32 s7, s23, s11
	s_ashr_i32 s3, s2, 31
	s_lshl_b64 s[2:3], s[2:3], 2
	s_add_u32 s16, s5, s2
	s_addc_u32 s7, s7, s3
	s_ashr_i32 s5, s4, 31
	s_lshl_b64 s[14:15], s[4:5], 2
	s_add_u32 s16, s16, s14
	s_addc_u32 s17, s7, s15
	s_add_u32 s5, s20, s10
	s_addc_u32 s7, s21, s11
	;; [unrolled: 2-line block ×3, first 2 shown]
	s_add_u32 s2, s2, s14
	v_mov_b32_e32 v2, 0
	s_addc_u32 s3, s3, s15
	global_store_dword v2, v4, s[16:17]
	global_store_dword v2, v5, s[2:3]
.LBB224_40:
	s_or_b64 exec, exec, s[0:1]
	v_mov_b32_e32 v7, 0
	v_mov_b32_e32 v6, 0
	;; [unrolled: 1-line block ×8, first 2 shown]
	s_and_saveexec_b64 s[2:3], s[8:9]
	s_cbranch_execz .LBB224_60
; %bb.41:
	s_ashr_i32 s1, s41, 31
	s_load_dword s8, s[18:19], 0x0
	s_add_u32 s0, s36, s41
	s_addc_u32 s1, s37, s1
	v_and_b32_e32 v10, 0xfc, v42
	v_mov_b32_e32 v11, 0
	v_and_b32_e32 v2, 12, v42
	s_add_i32 s7, s12, -1
	v_lshl_add_u64 v[14:15], s[0:1], 0, v[10:11]
	v_lshl_add_u32 v3, v43, 4, s40
	s_lshl_b64 s[0:1], s[34:35], 2
	v_add3_u32 v57, v3, v2, 3
	v_lshlrev_b32_e32 v2, 4, v34
	s_add_u32 s0, s30, s0
	v_lshl_or_b32 v2, v43, 6, v2
	s_addc_u32 s1, s31, s1
	s_mov_b32 s5, s13
	s_waitcnt lgkmcnt(0)
	s_mov_b32 s9, s8
	v_add_u32_e32 v58, 0x210, v2
	v_lshl_add_u64 v[16:17], v[36:37], 2, s[0:1]
	s_mov_b64 s[10:11], 0
	v_mov_b32_e32 v10, v11
	v_mov_b32_e32 v12, v11
	;; [unrolled: 1-line block ×7, first 2 shown]
	s_branch .LBB224_43
.LBB224_42:                             ;   in Loop: Header=BB224_43 Depth=1
	s_or_b64 exec, exec, s[0:1]
	s_waitcnt lgkmcnt(0)
	v_mul_f32_e32 v21, v3, v21
	v_fmac_f32_e32 v21, v2, v20
	v_fmac_f32_e32 v21, v4, v18
	v_mul_f32_e32 v18, v3, v27
	v_fmac_f32_e32 v18, v2, v26
	v_fmac_f32_e32 v18, v4, v24
	v_fmac_f32_e32 v18, v5, v25
	v_add_f32_e32 v11, v11, v18
	v_mul_f32_e32 v18, v3, v31
	v_fmac_f32_e32 v18, v2, v30
	v_fmac_f32_e32 v18, v4, v28
	v_fmac_f32_e32 v18, v5, v29
	v_add_f32_e32 v12, v12, v18
	;; [unrolled: 5-line block ×5, first 2 shown]
	v_mul_f32_e32 v18, v3, v51
	v_mul_f32_e32 v3, v3, v53
	v_fmac_f32_e32 v18, v2, v50
	v_fmac_f32_e32 v3, v2, v52
	;; [unrolled: 1-line block ×4, first 2 shown]
	v_add_u32_e32 v36, 2, v36
	v_fmac_f32_e32 v21, v5, v19
	v_fmac_f32_e32 v18, v5, v49
	;; [unrolled: 1-line block ×3, first 2 shown]
	v_cmp_le_i32_e32 vcc, s33, v36
	v_add_f32_e32 v10, v10, v21
	v_add_f32_e32 v6, v6, v18
	;; [unrolled: 1-line block ×3, first 2 shown]
	v_add_u32_e32 v57, 32, v57
	v_add_u32_e32 v58, 0x80, v58
	s_or_b64 s[10:11], vcc, s[10:11]
	v_lshl_add_u64 v[16:17], v[16:17], 0, 8
	s_andn2_b64 exec, exec, s[10:11]
	s_cbranch_execz .LBB224_59
.LBB224_43:                             ; =>This Inner Loop Header: Depth=1
	global_load_dword v2, v[16:17], off
	v_add_u32_e32 v37, -3, v57
	v_cmp_eq_u32_e32 vcc, s7, v36
	v_add_u32_e32 v59, -2, v57
	v_add_u32_e32 v60, -1, v57
	s_waitcnt vmcnt(0)
	v_mad_i64_i32 v[22:23], s[0:1], v2, s5, v[14:15]
	global_load_dword v18, v[22:23], off
	ds_read_b128 v[2:5], v58
	s_waitcnt vmcnt(0)
	v_and_b32_e32 v19, 0xffff, v18
	v_lshrrev_b32_e32 v20, 16, v18
	v_cvt_pk_f32_fp8_e32 v[18:19], v19
	v_cvt_pk_f32_fp8_e32 v[24:25], v20
	v_pk_mul_f32 v[20:21], s[8:9], v[18:19]
	v_pk_mul_f32 v[18:19], s[8:9], v[24:25]
	s_and_saveexec_b64 s[12:13], vcc
; %bb.44:                               ;   in Loop: Header=BB224_43 Depth=1
	v_cmp_gt_i32_e64 s[0:1], s29, v37
	s_nop 1
	v_cndmask_b32_e64 v20, 0, v20, s[0:1]
	v_cmp_gt_i32_e64 s[0:1], s29, v59
	s_nop 1
	v_cndmask_b32_e64 v21, 0, v21, s[0:1]
	v_cmp_gt_i32_e64 s[0:1], s29, v60
	s_nop 1
	v_cndmask_b32_e64 v18, 0, v18, s[0:1]
	v_cmp_gt_i32_e64 s[0:1], s29, v57
	s_nop 1
	v_cndmask_b32_e64 v19, 0, v19, s[0:1]
; %bb.45:                               ;   in Loop: Header=BB224_43 Depth=1
	s_or_b64 exec, exec, s[12:13]
	global_load_dword v24, v[22:23], off offset:256
	s_waitcnt vmcnt(0)
	v_and_b32_e32 v25, 0xffff, v24
	v_lshrrev_b32_e32 v26, 16, v24
	v_cvt_pk_f32_fp8_e32 v[24:25], v25
	v_cvt_pk_f32_fp8_e32 v[28:29], v26
	v_pk_mul_f32 v[26:27], s[8:9], v[24:25]
	v_pk_mul_f32 v[24:25], s[8:9], v[28:29]
	s_and_saveexec_b64 s[12:13], vcc
; %bb.46:                               ;   in Loop: Header=BB224_43 Depth=1
	v_cmp_gt_i32_e64 s[0:1], s29, v37
	s_nop 1
	v_cndmask_b32_e64 v26, 0, v26, s[0:1]
	v_cmp_gt_i32_e64 s[0:1], s29, v59
	s_nop 1
	v_cndmask_b32_e64 v27, 0, v27, s[0:1]
	v_cmp_gt_i32_e64 s[0:1], s29, v60
	s_nop 1
	v_cndmask_b32_e64 v24, 0, v24, s[0:1]
	v_cmp_gt_i32_e64 s[0:1], s29, v57
	s_nop 1
	v_cndmask_b32_e64 v25, 0, v25, s[0:1]
; %bb.47:                               ;   in Loop: Header=BB224_43 Depth=1
	s_or_b64 exec, exec, s[12:13]
	global_load_dword v28, v[22:23], off offset:512
	;; [unrolled: 24-line block ×7, first 2 shown]
	s_waitcnt vmcnt(0)
	v_and_b32_e32 v23, 0xffff, v22
	v_lshrrev_b32_e32 v52, 16, v22
	v_cvt_pk_f32_fp8_e32 v[22:23], v23
	v_cvt_pk_f32_fp8_e32 v[62:63], v52
	v_pk_mul_f32 v[52:53], s[8:9], v[22:23]
	v_pk_mul_f32 v[22:23], s[8:9], v[62:63]
	s_and_saveexec_b64 s[0:1], vcc
	s_cbranch_execz .LBB224_42
; %bb.58:                               ;   in Loop: Header=BB224_43 Depth=1
	v_cmp_gt_i32_e32 vcc, s29, v37
	s_nop 1
	v_cndmask_b32_e32 v52, 0, v52, vcc
	v_cmp_gt_i32_e32 vcc, s29, v59
	s_nop 1
	v_cndmask_b32_e32 v53, 0, v53, vcc
	v_cmp_gt_i32_e32 vcc, s29, v60
	s_nop 1
	v_cndmask_b32_e32 v22, 0, v22, vcc
	v_cmp_gt_i32_e32 vcc, s29, v57
	s_nop 1
	v_cndmask_b32_e32 v23, 0, v23, vcc
	s_branch .LBB224_42
.LBB224_59:
	s_or_b64 exec, exec, s[10:11]
.LBB224_60:
	s_or_b64 exec, exec, s[2:3]
	ds_bpermute_b32 v4, v56, v12
	ds_bpermute_b32 v5, v56, v13
	;; [unrolled: 1-line block ×6, first 2 shown]
	s_waitcnt lgkmcnt(4)
	v_pk_add_f32 v[4:5], v[12:13], v[4:5]
	ds_bpermute_b32 v12, v56, v8
	ds_bpermute_b32 v13, v56, v9
	s_waitcnt lgkmcnt(4)
	v_pk_add_f32 v[2:3], v[10:11], v[2:3]
	ds_bpermute_b32 v10, v55, v2
	ds_bpermute_b32 v11, v55, v3
	s_waitcnt lgkmcnt(4)
	v_pk_add_f32 v[16:17], v[6:7], v[16:17]
	s_waitcnt lgkmcnt(2)
	v_pk_add_f32 v[12:13], v[8:9], v[12:13]
	ds_bpermute_b32 v14, v55, v4
	ds_bpermute_b32 v15, v55, v5
	;; [unrolled: 1-line block ×6, first 2 shown]
	s_waitcnt lgkmcnt(6)
	v_pk_add_f32 v[8:9], v[2:3], v[10:11]
	v_and_b32_e32 v10, 0x3c3, v0
	s_waitcnt lgkmcnt(4)
	v_pk_add_f32 v[6:7], v[4:5], v[14:15]
	s_waitcnt lgkmcnt(2)
	v_pk_add_f32 v[2:3], v[12:13], v[18:19]
	;; [unrolled: 2-line block ×3, first 2 shown]
	v_cmp_eq_u32_e32 vcc, 64, v10
	s_barrier
	s_and_saveexec_b64 s[0:1], vcc
	s_cbranch_execz .LBB224_62
; %bb.61:
	v_add_u32_e32 v11, 0x210, v35
	ds_write2_b32 v11, v8, v9 offset1:16
	ds_write2_b32 v11, v6, v7 offset0:32 offset1:48
	ds_write2_b32 v11, v2, v3 offset0:64 offset1:80
	;; [unrolled: 1-line block ×3, first 2 shown]
.LBB224_62:
	s_or_b64 exec, exec, s[0:1]
	v_cmp_gt_u32_e32 vcc, 64, v0
	s_waitcnt lgkmcnt(0)
	s_barrier
	s_and_saveexec_b64 s[0:1], vcc
	s_cbranch_execz .LBB224_73
; %bb.63:
	v_cmp_eq_u32_e32 vcc, 0, v34
	s_and_saveexec_b64 s[2:3], vcc
	s_cbranch_execnz .LBB224_76
; %bb.64:
	s_or_b64 exec, exec, s[2:3]
	s_and_saveexec_b64 s[2:3], vcc
	s_cbranch_execnz .LBB224_77
.LBB224_65:
	s_or_b64 exec, exec, s[2:3]
	s_and_saveexec_b64 s[2:3], vcc
	s_cbranch_execnz .LBB224_78
.LBB224_66:
	s_or_b64 exec, exec, s[2:3]
	s_and_saveexec_b64 s[2:3], vcc
	s_cbranch_execnz .LBB224_79
.LBB224_67:
	s_or_b64 exec, exec, s[2:3]
	s_and_saveexec_b64 s[2:3], vcc
	s_cbranch_execnz .LBB224_80
.LBB224_68:
	s_or_b64 exec, exec, s[2:3]
	s_and_saveexec_b64 s[2:3], vcc
	s_cbranch_execnz .LBB224_81
.LBB224_69:
	s_or_b64 exec, exec, s[2:3]
	s_and_saveexec_b64 s[2:3], vcc
	s_cbranch_execnz .LBB224_82
.LBB224_70:
	s_or_b64 exec, exec, s[2:3]
	s_and_saveexec_b64 s[2:3], vcc
	s_cbranch_execz .LBB224_72
.LBB224_71:
	v_mov_b32_e32 v0, 0x210
	v_lshl_add_u32 v0, v54, 2, v0
	ds_read_b32 v0, v0 offset:448
	s_waitcnt lgkmcnt(0)
	v_add_f32_e32 v5, v5, v0
.LBB224_72:
	s_or_b64 exec, exec, s[2:3]
.LBB224_73:
	s_or_b64 exec, exec, s[0:1]
	v_cmp_eq_u32_e32 vcc, 0, v10
	s_barrier
	s_and_saveexec_b64 s[0:1], vcc
	s_cbranch_execz .LBB224_75
; %bb.74:
	s_lshl_b32 s0, s6, 7
	s_ashr_i32 s1, s0, 31
	s_lshl_b64 s[0:1], s[0:1], 2
	s_add_u32 s2, s26, s0
	s_mul_i32 s0, s25, s24
	s_addc_u32 s3, s27, s1
	s_ashr_i32 s1, s0, 31
	s_lshl_b64 s[0:1], s[0:1], 2
	s_add_u32 s2, s2, s0
	s_addc_u32 s3, s3, s1
	s_lshl_b32 s0, s4, 7
	s_ashr_i32 s1, s0, 31
	s_lshl_b64 s[0:1], s[0:1], 2
	s_add_u32 s0, s2, s0
	s_addc_u32 s1, s3, s1
	global_store_dword v1, v8, s[0:1]
	global_store_dword v1, v9, s[0:1] offset:64
	global_store_dword v1, v6, s[0:1] offset:128
	;; [unrolled: 1-line block ×7, first 2 shown]
.LBB224_75:
	s_endpgm
.LBB224_76:
	v_mov_b32_e32 v0, 0x210
	v_lshl_add_u32 v0, v54, 2, v0
	ds_read_b32 v0, v0
	s_waitcnt lgkmcnt(0)
	v_add_f32_e32 v8, v8, v0
	s_or_b64 exec, exec, s[2:3]
	s_and_saveexec_b64 s[2:3], vcc
	s_cbranch_execz .LBB224_65
.LBB224_77:
	v_mov_b32_e32 v0, 0x210
	v_lshl_add_u32 v0, v54, 2, v0
	ds_read_b32 v0, v0 offset:64
	s_waitcnt lgkmcnt(0)
	v_add_f32_e32 v9, v9, v0
	s_or_b64 exec, exec, s[2:3]
	s_and_saveexec_b64 s[2:3], vcc
	s_cbranch_execz .LBB224_66
.LBB224_78:
	v_mov_b32_e32 v0, 0x210
	v_lshl_add_u32 v0, v54, 2, v0
	ds_read_b32 v0, v0 offset:128
	s_waitcnt lgkmcnt(0)
	v_add_f32_e32 v6, v6, v0
	s_or_b64 exec, exec, s[2:3]
	s_and_saveexec_b64 s[2:3], vcc
	s_cbranch_execz .LBB224_67
.LBB224_79:
	v_mov_b32_e32 v0, 0x210
	v_lshl_add_u32 v0, v54, 2, v0
	ds_read_b32 v0, v0 offset:192
	s_waitcnt lgkmcnt(0)
	v_add_f32_e32 v7, v7, v0
	s_or_b64 exec, exec, s[2:3]
	s_and_saveexec_b64 s[2:3], vcc
	s_cbranch_execz .LBB224_68
.LBB224_80:
	v_mov_b32_e32 v0, 0x210
	v_lshl_add_u32 v0, v54, 2, v0
	ds_read_b32 v0, v0 offset:256
	s_waitcnt lgkmcnt(0)
	v_add_f32_e32 v2, v2, v0
	s_or_b64 exec, exec, s[2:3]
	s_and_saveexec_b64 s[2:3], vcc
	s_cbranch_execz .LBB224_69
.LBB224_81:
	v_mov_b32_e32 v0, 0x210
	v_lshl_add_u32 v0, v54, 2, v0
	ds_read_b32 v0, v0 offset:320
	s_waitcnt lgkmcnt(0)
	v_add_f32_e32 v3, v3, v0
	s_or_b64 exec, exec, s[2:3]
	s_and_saveexec_b64 s[2:3], vcc
	s_cbranch_execz .LBB224_70
.LBB224_82:
	v_mov_b32_e32 v0, 0x210
	v_lshl_add_u32 v0, v54, 2, v0
	ds_read_b32 v0, v0 offset:384
	s_waitcnt lgkmcnt(0)
	v_add_f32_e32 v4, v4, v0
	s_or_b64 exec, exec, s[2:3]
	s_and_saveexec_b64 s[2:3], vcc
	s_cbranch_execnz .LBB224_71
	s_branch .LBB224_72
	.section	.rodata,"a",@progbits
	.p2align	6, 0x0
	.amdhsa_kernel _ZN4vllm25paged_attention_v2_kernelIfhLi128ELi16ELi128ELNS_18Fp8KVCacheDataTypeE1ELb0ELi512EEEvPfS2_PT_PKS3_PKT0_S9_ifPKiSB_iPKfiiiSD_SD_iiiii
		.amdhsa_group_segment_fixed_size 528
		.amdhsa_private_segment_fixed_size 0
		.amdhsa_kernarg_size 400
		.amdhsa_user_sgpr_count 2
		.amdhsa_user_sgpr_dispatch_ptr 0
		.amdhsa_user_sgpr_queue_ptr 0
		.amdhsa_user_sgpr_kernarg_segment_ptr 1
		.amdhsa_user_sgpr_dispatch_id 0
		.amdhsa_user_sgpr_kernarg_preload_length 0
		.amdhsa_user_sgpr_kernarg_preload_offset 0
		.amdhsa_user_sgpr_private_segment_size 0
		.amdhsa_uses_dynamic_stack 0
		.amdhsa_enable_private_segment 0
		.amdhsa_system_sgpr_workgroup_id_x 1
		.amdhsa_system_sgpr_workgroup_id_y 1
		.amdhsa_system_sgpr_workgroup_id_z 1
		.amdhsa_system_sgpr_workgroup_info 0
		.amdhsa_system_vgpr_workitem_id 0
		.amdhsa_next_free_vgpr 86
		.amdhsa_next_free_sgpr 45
		.amdhsa_accum_offset 88
		.amdhsa_reserve_vcc 1
		.amdhsa_float_round_mode_32 0
		.amdhsa_float_round_mode_16_64 0
		.amdhsa_float_denorm_mode_32 3
		.amdhsa_float_denorm_mode_16_64 3
		.amdhsa_dx10_clamp 1
		.amdhsa_ieee_mode 1
		.amdhsa_fp16_overflow 0
		.amdhsa_tg_split 0
		.amdhsa_exception_fp_ieee_invalid_op 0
		.amdhsa_exception_fp_denorm_src 0
		.amdhsa_exception_fp_ieee_div_zero 0
		.amdhsa_exception_fp_ieee_overflow 0
		.amdhsa_exception_fp_ieee_underflow 0
		.amdhsa_exception_fp_ieee_inexact 0
		.amdhsa_exception_int_div_zero 0
	.end_amdhsa_kernel
	.section	.text._ZN4vllm25paged_attention_v2_kernelIfhLi128ELi16ELi128ELNS_18Fp8KVCacheDataTypeE1ELb0ELi512EEEvPfS2_PT_PKS3_PKT0_S9_ifPKiSB_iPKfiiiSD_SD_iiiii,"axG",@progbits,_ZN4vllm25paged_attention_v2_kernelIfhLi128ELi16ELi128ELNS_18Fp8KVCacheDataTypeE1ELb0ELi512EEEvPfS2_PT_PKS3_PKT0_S9_ifPKiSB_iPKfiiiSD_SD_iiiii,comdat
.Lfunc_end224:
	.size	_ZN4vllm25paged_attention_v2_kernelIfhLi128ELi16ELi128ELNS_18Fp8KVCacheDataTypeE1ELb0ELi512EEEvPfS2_PT_PKS3_PKT0_S9_ifPKiSB_iPKfiiiSD_SD_iiiii, .Lfunc_end224-_ZN4vllm25paged_attention_v2_kernelIfhLi128ELi16ELi128ELNS_18Fp8KVCacheDataTypeE1ELb0ELi512EEEvPfS2_PT_PKS3_PKT0_S9_ifPKiSB_iPKfiiiSD_SD_iiiii
                                        ; -- End function
	.section	.AMDGPU.csdata,"",@progbits
; Kernel info:
; codeLenInByte = 5912
; NumSgprs: 51
; NumVgprs: 86
; NumAgprs: 0
; TotalNumVgprs: 86
; ScratchSize: 0
; MemoryBound: 0
; FloatMode: 240
; IeeeMode: 1
; LDSByteSize: 528 bytes/workgroup (compile time only)
; SGPRBlocks: 6
; VGPRBlocks: 10
; NumSGPRsForWavesPerEU: 51
; NumVGPRsForWavesPerEU: 86
; AccumOffset: 88
; Occupancy: 5
; WaveLimiterHint : 1
; COMPUTE_PGM_RSRC2:SCRATCH_EN: 0
; COMPUTE_PGM_RSRC2:USER_SGPR: 2
; COMPUTE_PGM_RSRC2:TRAP_HANDLER: 0
; COMPUTE_PGM_RSRC2:TGID_X_EN: 1
; COMPUTE_PGM_RSRC2:TGID_Y_EN: 1
; COMPUTE_PGM_RSRC2:TGID_Z_EN: 1
; COMPUTE_PGM_RSRC2:TIDIG_COMP_CNT: 0
; COMPUTE_PGM_RSRC3_GFX90A:ACCUM_OFFSET: 21
; COMPUTE_PGM_RSRC3_GFX90A:TG_SPLIT: 0
	.section	.text._ZN4vllm25paged_attention_v2_kernelIfhLi192ELi16ELi128ELNS_18Fp8KVCacheDataTypeE1ELb0ELi512EEEvPfS2_PT_PKS3_PKT0_S9_ifPKiSB_iPKfiiiSD_SD_iiiii,"axG",@progbits,_ZN4vllm25paged_attention_v2_kernelIfhLi192ELi16ELi128ELNS_18Fp8KVCacheDataTypeE1ELb0ELi512EEEvPfS2_PT_PKS3_PKT0_S9_ifPKiSB_iPKfiiiSD_SD_iiiii,comdat
	.protected	_ZN4vllm25paged_attention_v2_kernelIfhLi192ELi16ELi128ELNS_18Fp8KVCacheDataTypeE1ELb0ELi512EEEvPfS2_PT_PKS3_PKT0_S9_ifPKiSB_iPKfiiiSD_SD_iiiii ; -- Begin function _ZN4vllm25paged_attention_v2_kernelIfhLi192ELi16ELi128ELNS_18Fp8KVCacheDataTypeE1ELb0ELi512EEEvPfS2_PT_PKS3_PKT0_S9_ifPKiSB_iPKfiiiSD_SD_iiiii
	.globl	_ZN4vllm25paged_attention_v2_kernelIfhLi192ELi16ELi128ELNS_18Fp8KVCacheDataTypeE1ELb0ELi512EEEvPfS2_PT_PKS3_PKT0_S9_ifPKiSB_iPKfiiiSD_SD_iiiii
	.p2align	8
	.type	_ZN4vllm25paged_attention_v2_kernelIfhLi192ELi16ELi128ELNS_18Fp8KVCacheDataTypeE1ELb0ELi512EEEvPfS2_PT_PKS3_PKT0_S9_ifPKiSB_iPKfiiiSD_SD_iiiii,@function
_ZN4vllm25paged_attention_v2_kernelIfhLi192ELi16ELi128ELNS_18Fp8KVCacheDataTypeE1ELb0ELi512EEEvPfS2_PT_PKS3_PKT0_S9_ifPKiSB_iPKfiiiSD_SD_iiiii: ; @_ZN4vllm25paged_attention_v2_kernelIfhLi192ELi16ELi128ELNS_18Fp8KVCacheDataTypeE1ELb0ELi512EEEvPfS2_PT_PKS3_PKT0_S9_ifPKiSB_iPKfiiiSD_SD_iiiii
; %bb.0:
	s_load_dwordx2 s[6:7], s[0:1], 0x40
	s_mov_b32 s36, s3
	s_ashr_i32 s37, s3, 31
	s_lshl_b64 s[8:9], s[36:37], 2
	s_waitcnt lgkmcnt(0)
	s_add_u32 s6, s6, s8
	s_addc_u32 s7, s7, s9
	s_load_dword s37, s[6:7], 0x0
	s_lshl_b32 s42, s4, 9
	s_waitcnt lgkmcnt(0)
	s_cmp_ge_i32 s42, s37
	s_cbranch_scc1 .LBB225_90
; %bb.1:
	s_load_dword s5, s[0:1], 0x90
	s_load_dwordx2 s[10:11], s[0:1], 0x30
	s_waitcnt lgkmcnt(0)
	s_abs_i32 s7, s5
	s_abs_i32 s3, s10
	v_cvt_f32_u32_e32 v1, s3
	s_sub_i32 s8, 0, s3
	s_xor_b32 s6, s5, s10
	s_ashr_i32 s6, s6, 31
	v_rcp_iflag_f32_e32 v1, v1
	s_nop 0
	v_mul_f32_e32 v1, 0x4f7ffffe, v1
	v_cvt_u32_f32_e32 v1, v1
	s_nop 0
	v_readfirstlane_b32 s9, v1
	s_mul_i32 s8, s8, s9
	s_mul_hi_u32 s8, s9, s8
	s_add_i32 s9, s9, s8
	s_mul_hi_u32 s8, s7, s9
	s_mul_i32 s9, s8, s3
	s_sub_i32 s7, s7, s9
	s_add_i32 s10, s8, 1
	s_sub_i32 s9, s7, s3
	s_cmp_ge_u32 s7, s3
	s_cselect_b32 s8, s10, s8
	s_cselect_b32 s7, s9, s7
	s_add_i32 s9, s8, 1
	s_cmp_ge_u32 s7, s3
	s_cselect_b32 s3, s9, s8
	s_xor_b32 s3, s3, s6
	s_sub_i32 s10, s3, s6
	s_abs_i32 s26, s10
	v_cvt_f32_u32_e32 v1, s26
	s_load_dwordx2 s[6:7], s[0:1], 0x50
	s_sub_i32 s3, 0, s26
	s_abs_i32 s27, s2
	v_rcp_iflag_f32_e32 v1, v1
	s_nop 0
	v_mul_f32_e32 v1, 0x4f7ffffe, v1
	v_cvt_u32_f32_e32 v1, v1
	s_nop 0
	v_readfirstlane_b32 s8, v1
	s_mul_i32 s3, s3, s8
	s_mul_hi_u32 s3, s8, s3
	s_add_i32 s8, s8, s3
	s_waitcnt lgkmcnt(0)
	s_cmp_eq_u64 s[6:7], 0
	s_mov_b32 s3, 0
	s_cbranch_scc1 .LBB225_3
; %bb.2:
	s_ashr_i32 s3, s2, 31
	s_lshl_b64 s[12:13], s[2:3], 2
	s_add_u32 s6, s6, s12
	s_addc_u32 s7, s7, s13
	s_load_dword s3, s[6:7], 0x0
.LBB225_3:
	s_load_dwordx4 s[20:23], s[0:1], 0x0
	s_load_dwordx2 s[28:29], s[0:1], 0x10
	s_load_dwordx4 s[12:15], s[0:1], 0x20
	s_load_dwordx2 s[34:35], s[0:1], 0x38
	s_load_dword s33, s[0:1], 0x98
	s_load_dwordx4 s[16:19], s[0:1], 0x58
	s_mul_hi_u32 s38, s27, s8
	v_lshrrev_b32_e32 v74, 2, v0
	s_movk_i32 s8, 0xc0
	s_mul_i32 s30, s2, 0xc0
	v_and_b32_e32 v50, 3, v0
	s_ashr_i32 s31, s30, 31
	v_cmp_gt_u32_e32 vcc, s8, v0
	v_lshlrev_b32_e32 v1, 2, v74
	s_and_saveexec_b64 s[6:7], vcc
	s_cbranch_execz .LBB225_6
; %bb.4:
	s_load_dwordx2 s[24:25], s[0:1], 0x18
	s_waitcnt lgkmcnt(0)
	s_mul_i32 s40, s36, s16
	s_ashr_i32 s41, s40, 31
	v_mad_u32_u24 v5, v50, s8, v1
	s_lshl_b64 s[8:9], s[40:41], 2
	s_lshl_b64 s[40:41], s[30:31], 2
	s_add_u32 s8, s8, s40
	s_addc_u32 s9, s9, s41
	v_or_b32_e32 v2, v1, v50
	s_add_u32 s8, s24, s8
	v_lshlrev_b32_e32 v2, 2, v2
	v_mov_b32_e32 v3, 0
	s_addc_u32 s9, s25, s9
	v_subrev_u32_e32 v4, 32, v74
	v_lshl_add_u64 v[2:3], s[8:9], 0, v[2:3]
	s_mov_b64 s[8:9], 0
	s_mov_b64 s[24:25], 0x200
.LBB225_5:                              ; =>This Inner Loop Header: Depth=1
	global_load_dword v6, v[2:3], off
	v_add_u32_e32 v4, 32, v4
	v_cmp_lt_u32_e32 vcc, 15, v4
	v_lshl_add_u64 v[2:3], v[2:3], 0, s[24:25]
	s_or_b64 s[8:9], vcc, s[8:9]
	s_waitcnt vmcnt(0)
	ds_write_b32 v5, v6
	v_add_u32_e32 v5, 0x80, v5
	s_andn2_b64 exec, exec, s[8:9]
	s_cbranch_execnz .LBB225_5
.LBB225_6:
	s_or_b64 exec, exec, s[6:7]
	s_add_i32 s8, s37, 15
	s_ashr_i32 s9, s8, 31
	s_ashr_i32 s6, s2, 31
	s_ashr_i32 s7, s10, 31
	s_lshr_b32 s9, s9, 28
	s_add_i32 s8, s8, s9
	s_lshl_b32 s10, s4, 5
	s_xor_b32 s6, s6, s7
	s_mul_i32 s7, s38, s26
	s_ashr_i32 s31, s8, 4
	s_add_i32 s8, s10, 32
	s_sub_i32 s7, s27, s7
	s_waitcnt lgkmcnt(0)
	s_min_i32 s16, s8, s31
	s_add_i32 s8, s38, 1
	s_sub_i32 s9, s7, s26
	s_cmp_ge_u32 s7, s26
	s_cselect_b32 s8, s8, s38
	s_cselect_b32 s7, s9, s7
	s_add_i32 s9, s8, 1
	s_cmp_ge_u32 s7, s26
	s_cselect_b32 s7, s9, s8
	s_load_dword s8, s[0:1], 0x48
	v_lshrrev_b32_e32 v60, 6, v0
	s_xor_b32 s7, s7, s6
	v_or_b32_e32 v52, s10, v60
	s_sub_i32 s43, s7, s6
	s_waitcnt lgkmcnt(0)
	s_mul_i32 s38, s36, s8
	s_ashr_i32 s39, s38, 31
	v_cmp_gt_i32_e64 s[8:9], s16, v52
	v_cmp_le_i32_e32 vcc, s16, v52
	v_mbcnt_lo_u32_b32 v42, -1, 0
	s_barrier
	s_waitcnt lgkmcnt(0)
                                        ; implicit-def: $sgpr19
                                        ; implicit-def: $vgpr61
                                        ; implicit-def: $vgpr62
	s_and_saveexec_b64 s[6:7], vcc
	s_xor_b64 s[6:7], exec, s[6:7]
; %bb.7:
	v_mbcnt_hi_u32_b32 v61, -1, v42
	v_and_b32_e32 v2, 64, v61
	v_add_u32_e32 v62, 64, v2
	s_mov_b32 s19, 0xff7fffff
                                        ; implicit-def: $vgpr42
; %bb.8:
	s_or_saveexec_b64 s[40:41], s[6:7]
	s_load_dwordx4 s[24:27], s[0:1], 0x68
	v_mov_b32_e32 v65, s19
	s_mul_i32 s43, s43, s18
	v_ashrrev_i32_e32 v53, 31, v52
	s_xor_b64 exec, exec, s[40:41]
	s_cbranch_execz .LBB225_14
; %bb.9:
	v_mbcnt_hi_u32_b32 v61, -1, v42
	v_and_b32_e32 v42, 64, v61
	v_mul_u32_u24_e32 v46, 0xc0, v50
	v_add_u32_e32 v62, 64, v42
	v_xor_b32_e32 v42, 2, v61
	ds_read_b128 v[2:5], v46
	ds_read_b128 v[6:9], v46 offset:16
	ds_read_b128 v[10:13], v46 offset:32
	;; [unrolled: 1-line block ×9, first 2 shown]
	v_cmp_lt_i32_e32 vcc, v42, v62
	v_bfe_u32 v43, v0, 2, 4
	s_ashr_i32 s1, s43, 31
	v_cndmask_b32_e32 v42, v61, v42, vcc
	v_lshlrev_b32_e32 v63, 2, v42
	v_xor_b32_e32 v42, 1, v61
	v_cmp_lt_i32_e32 vcc, v42, v62
	s_add_u32 s0, s12, s43
	s_addc_u32 s1, s13, s1
	v_cndmask_b32_e32 v42, v61, v42, vcc
	v_lshlrev_b32_e32 v64, 2, v42
	v_lshlrev_b32_e32 v42, 4, v60
	v_add3_u32 v66, s42, v42, v43
	v_lshlrev_b32_e32 v42, 2, v43
	v_lshlrev_b32_e32 v44, 4, v43
	v_mov_b32_e32 v45, 0
	v_lshl_or_b32 v42, v60, 6, v42
	v_lshl_add_u64 v[54:55], s[0:1], 0, v[44:45]
	v_mov_b32_e32 v51, v45
	s_waitcnt lgkmcnt(0)
	s_load_dword s24, s[24:25], 0x0
	v_add_u32_e32 v67, 0x310, v42
	ds_read_b128 v[42:45], v46 offset:160
	ds_read_b128 v[46:49], v46 offset:176
	s_sub_i32 s25, 1, s37
	s_lshl_b64 s[0:1], s[38:39], 2
	s_add_u32 s0, s34, s0
	s_addc_u32 s1, s35, s1
	s_mov_b32 s44, s17
	v_cmp_eq_u32_e32 vcc, 0, v50
	v_cmp_neq_f32_e64 s[6:7], s3, 0
	v_lshl_add_u64 v[56:57], v[52:53], 2, s[0:1]
	s_mov_b64 s[12:13], 0
	v_mov_b32_e32 v65, 0xff7fffff
	v_mov_b32_e32 v68, v52
	s_branch .LBB225_11
.LBB225_10:                             ;   in Loop: Header=BB225_11 Depth=1
	s_or_b64 exec, exec, s[18:19]
	v_add_u32_e32 v68, 2, v68
	v_cmp_le_i32_e64 s[0:1], s16, v68
	v_add_u32_e32 v66, 32, v66
	v_add_u32_e32 v67, 0x80, v67
	s_or_b64 s[12:13], s[0:1], s[12:13]
	v_lshl_add_u64 v[56:57], v[56:57], 0, 8
	s_andn2_b64 exec, exec, s[12:13]
	s_cbranch_execz .LBB225_13
.LBB225_11:                             ; =>This Inner Loop Header: Depth=1
	global_load_dword v58, v[56:57], off
	s_waitcnt vmcnt(0) lgkmcnt(0)
	v_mad_i64_i32 v[58:59], s[0:1], v58, s44, v[54:55]
	v_lshl_add_u64 v[58:59], v[58:59], 0, v[50:51]
	global_load_ubyte v69, v[58:59], off
	global_load_ubyte v70, v[58:59], off offset:4
	global_load_ubyte v71, v[58:59], off offset:8
	;; [unrolled: 1-line block ×46, first 2 shown]
	s_nop 0
	global_load_ubyte v58, v[58:59], off offset:2828
	s_waitcnt vmcnt(47)
	v_cvt_f32_fp8_sdwa v59, v69 src0_sel:BYTE_0
	s_waitcnt vmcnt(46)
	v_cvt_f32_fp8_sdwa v69, v70 src0_sel:BYTE_0
	;; [unrolled: 2-line block ×5, first 2 shown]
	s_waitcnt lgkmcnt(0)
	v_mul_f32_e32 v69, s24, v69
	s_waitcnt vmcnt(42)
	v_cvt_f32_fp8_sdwa v73, v75 src0_sel:BYTE_0
	v_mul_f32_e32 v59, s24, v59
	v_mul_f32_e32 v69, v3, v69
	s_waitcnt vmcnt(41)
	v_cvt_f32_fp8_sdwa v75, v76 src0_sel:BYTE_0
	v_mul_f32_e32 v70, s24, v70
	v_fmac_f32_e32 v69, v2, v59
	s_waitcnt vmcnt(40)
	v_cvt_f32_fp8_sdwa v76, v77 src0_sel:BYTE_0
	v_mul_f32_e32 v71, s24, v71
	v_fmac_f32_e32 v69, v4, v70
	;; [unrolled: 4-line block ×42, first 2 shown]
	v_mul_f32_e32 v113, s24, v113
	v_fmac_f32_e32 v69, v45, v112
	v_mul_f32_e32 v114, s24, v114
	v_fmac_f32_e32 v69, v46, v113
	;; [unrolled: 2-line block ×4, first 2 shown]
	v_fmac_f32_e32 v69, v49, v58
	ds_bpermute_b32 v58, v63, v69
	s_waitcnt lgkmcnt(0)
	v_add_f32_e32 v58, v69, v58
	ds_bpermute_b32 v59, v64, v58
	s_and_saveexec_b64 s[18:19], vcc
	s_cbranch_execz .LBB225_10
; %bb.12:                               ;   in Loop: Header=BB225_11 Depth=1
	v_add_u32_e32 v69, s25, v66
	v_cvt_f32_i32_e32 v69, v69
	s_waitcnt lgkmcnt(0)
	v_add_f32_e32 v58, v58, v59
	v_cmp_gt_i32_e64 s[0:1], s37, v66
	v_max_f32_e32 v59, v65, v65
	v_mul_f32_e32 v69, s3, v69
	v_cndmask_b32_e64 v69, 0, v69, s[6:7]
	v_fmac_f32_e32 v69, s11, v58
	v_cndmask_b32_e64 v58, 0, v69, s[0:1]
	ds_write_b32 v67, v58
	v_max_f32_e32 v58, v59, v69
	v_cndmask_b32_e64 v65, v65, v58, s[0:1]
	s_branch .LBB225_10
.LBB225_13:
	s_or_b64 exec, exec, s[12:13]
.LBB225_14:
	s_or_b64 exec, exec, s[40:41]
	v_xor_b32_e32 v2, 32, v61
	v_cmp_lt_i32_e32 vcc, v2, v62
	v_xor_b32_e32 v5, 16, v61
	v_max_f32_e32 v4, v65, v65
	v_cndmask_b32_e32 v2, v61, v2, vcc
	v_lshlrev_b32_e32 v2, 2, v2
	ds_bpermute_b32 v3, v2, v65
	v_cmp_lt_i32_e32 vcc, v5, v62
	v_xor_b32_e32 v6, 8, v61
	v_and_b32_e32 v51, 63, v0
	s_waitcnt lgkmcnt(0)
	v_max_f32_e32 v3, v3, v3
	v_max_f32_e32 v4, v4, v3
	v_cndmask_b32_e32 v3, v61, v5, vcc
	v_lshlrev_b32_e32 v3, 2, v3
	ds_bpermute_b32 v5, v3, v4
	v_cmp_lt_i32_e32 vcc, v6, v62
	s_waitcnt lgkmcnt(0)
	v_max_f32_e32 v5, v5, v5
	v_max_f32_e32 v4, v4, v5
	v_cndmask_b32_e32 v5, v61, v6, vcc
	v_lshlrev_b32_e32 v7, 2, v5
	ds_bpermute_b32 v5, v7, v4
	v_xor_b32_e32 v6, 4, v61
	v_cmp_lt_i32_e32 vcc, v6, v62
	s_waitcnt lgkmcnt(0)
	v_max_f32_e32 v5, v5, v5
	v_max_f32_e32 v4, v4, v5
	v_cndmask_b32_e32 v5, v61, v6, vcc
	v_lshlrev_b32_e32 v8, 2, v5
	ds_bpermute_b32 v6, v8, v4
	v_cmp_eq_u32_e32 vcc, 0, v51
	v_lshlrev_b32_e32 v5, 2, v60
	s_and_saveexec_b64 s[0:1], vcc
	s_cbranch_execz .LBB225_16
; %bb.15:
	s_waitcnt lgkmcnt(0)
	v_max_f32_e32 v6, v6, v6
	v_max_f32_e32 v4, v4, v4
	;; [unrolled: 1-line block ×3, first 2 shown]
	ds_write_b32 v5, v4 offset:768
.LBB225_16:
	s_or_b64 exec, exec, s[0:1]
	v_cmp_gt_u32_e64 s[0:1], 2, v51
	v_mov_b32_e32 v4, 0xff7fffff
	s_waitcnt lgkmcnt(0)
	v_lshlrev_b32_e32 v6, 2, v51
	s_barrier
	s_and_saveexec_b64 s[6:7], s[0:1]
	s_cbranch_execz .LBB225_18
; %bb.17:
	ds_read_b32 v4, v6 offset:768
.LBB225_18:
	s_or_b64 exec, exec, s[6:7]
	v_xor_b32_e32 v9, 1, v61
	v_cmp_lt_i32_e64 s[6:7], v9, v62
	s_sub_i32 s3, s16, s10
	s_lshl_b32 s3, s3, 4
	v_cndmask_b32_e64 v9, v61, v9, s[6:7]
	v_lshlrev_b32_e32 v75, 2, v9
	s_waitcnt lgkmcnt(0)
	ds_bpermute_b32 v9, v75, v4
	v_max_f32_e32 v4, v4, v4
	s_add_i32 s3, s3, s42
	s_min_i32 s24, s3, s37
	s_sub_i32 s3, s24, s42
	s_waitcnt lgkmcnt(0)
	v_max_f32_e32 v9, v9, v9
	v_max_f32_e32 v4, v4, v9
	v_lshlrev_b32_e32 v9, 2, v61
	v_and_b32_e32 v9, 0xffffff00, v9
	ds_bpermute_b32 v4, v9, v4
	v_cmp_gt_i32_e64 s[6:7], s3, v0
	v_mov_b32_e32 v10, 0
	s_and_saveexec_b64 s[12:13], s[6:7]
	s_cbranch_execz .LBB225_22
; %bb.19:
	v_mov_b32_e32 v10, 0x310
	v_lshl_add_u32 v11, v0, 2, v10
	s_mov_b64 s[18:19], 0
	v_mov_b32_e32 v10, 0
	v_mov_b32_e32 v12, v0
.LBB225_20:                             ; =>This Inner Loop Header: Depth=1
	ds_read_b32 v13, v11
	v_add_u32_e32 v12, 0x80, v12
	v_cmp_le_i32_e64 s[10:11], s3, v12
	s_or_b64 s[18:19], s[10:11], s[18:19]
	s_waitcnt lgkmcnt(0)
	v_sub_f32_e32 v13, v13, v4
	v_mul_f32_e32 v13, 0x3fb8aa3b, v13
	v_exp_f32_e32 v13, v13
	ds_write_b32 v11, v13
	v_add_f32_e32 v10, v10, v13
	v_add_u32_e32 v11, 0x200, v11
	s_andn2_b64 exec, exec, s[18:19]
	s_cbranch_execnz .LBB225_20
; %bb.21:
	s_or_b64 exec, exec, s[18:19]
.LBB225_22:
	s_or_b64 exec, exec, s[12:13]
	ds_bpermute_b32 v2, v2, v10
	s_waitcnt lgkmcnt(0)
	v_add_f32_e32 v2, v10, v2
	ds_bpermute_b32 v3, v3, v2
	s_waitcnt lgkmcnt(0)
	v_add_f32_e32 v2, v2, v3
	ds_bpermute_b32 v3, v7, v2
	v_xor_b32_e32 v7, 2, v61
	v_cmp_lt_i32_e64 s[10:11], v7, v62
	s_waitcnt lgkmcnt(0)
	v_add_f32_e32 v2, v2, v3
	ds_bpermute_b32 v3, v8, v2
	v_cndmask_b32_e64 v7, v61, v7, s[10:11]
	v_lshlrev_b32_e32 v76, 2, v7
	s_waitcnt lgkmcnt(0)
	v_add_f32_e32 v2, v2, v3
	ds_bpermute_b32 v3, v76, v2
	s_waitcnt lgkmcnt(0)
	v_add_f32_e32 v2, v2, v3
	ds_bpermute_b32 v3, v75, v2
	s_waitcnt lgkmcnt(0)
	v_add_f32_e32 v2, v2, v3
	s_and_saveexec_b64 s[10:11], vcc
	s_cbranch_execz .LBB225_24
; %bb.23:
	ds_write_b32 v5, v2 offset:776
.LBB225_24:
	s_or_b64 exec, exec, s[10:11]
	s_waitcnt lgkmcnt(0)
	s_barrier
	s_and_saveexec_b64 s[10:11], s[0:1]
	s_cbranch_execz .LBB225_26
; %bb.25:
	ds_read_b32 v2, v6 offset:776
.LBB225_26:
	s_or_b64 exec, exec, s[10:11]
	s_waitcnt lgkmcnt(0)
	ds_bpermute_b32 v3, v75, v2
	s_waitcnt lgkmcnt(0)
	v_add_f32_e32 v2, v2, v3
	ds_bpermute_b32 v5, v9, v2
	s_and_saveexec_b64 s[0:1], s[6:7]
	s_cbranch_execz .LBB225_39
; %bb.27:
	s_waitcnt lgkmcnt(0)
	v_add_f32_e32 v2, 0x358637bd, v5
	v_div_scale_f32 v3, s[6:7], v2, v2, 1.0
	v_rcp_f32_e32 v6, v3
	v_div_scale_f32 v7, vcc, 1.0, v2, 1.0
	s_movk_i32 s6, 0x7f
	v_fma_f32 v8, -v3, v6, 1.0
	v_fmac_f32_e32 v6, v8, v6
	v_mul_f32_e32 v8, v7, v6
	v_fma_f32 v9, -v3, v8, v7
	v_fmac_f32_e32 v8, v9, v6
	v_fma_f32 v3, -v3, v8, v7
	v_div_fmas_f32 v3, v3, v6, v8
	v_div_fixup_f32 v2, v3, v2, 1.0
	v_xad_u32 v3, v0, -1, s24
	v_subrev_u32_e32 v6, s42, v3
	v_cmp_lt_u32_e32 vcc, s6, v6
	s_mov_b64 s[10:11], -1
	v_mov_b32_e32 v3, v0
	s_and_saveexec_b64 s[6:7], vcc
	s_cbranch_execz .LBB225_36
; %bb.28:
	v_lshrrev_b32_e32 v6, 7, v6
	v_add_u32_e32 v8, -1, v6
	v_lshrrev_b32_e32 v7, 1, v8
	v_mov_b32_e32 v3, v2
	v_add_u32_e32 v7, 1, v7
	v_cmp_lt_u32_e32 vcc, 13, v8
	v_mov_b32_e32 v10, 0
	s_and_saveexec_b64 s[10:11], vcc
	s_cbranch_execz .LBB225_32
; %bb.29:
	v_mov_b32_e32 v9, 0x310
	v_and_b32_e32 v8, -8, v7
	v_lshl_add_u32 v9, v0, 2, v9
	s_mov_b32 s18, 0
	s_mov_b64 s[12:13], 0
.LBB225_30:                             ; =>This Inner Loop Header: Depth=1
	ds_read2st64_b32 v[10:11], v9 offset1:2
	ds_read2st64_b32 v[12:13], v9 offset0:4 offset1:6
	ds_read2st64_b32 v[14:15], v9 offset0:8 offset1:10
	;; [unrolled: 1-line block ×3, first 2 shown]
	v_add_u32_e32 v8, -8, v8
	s_waitcnt lgkmcnt(3)
	v_pk_mul_f32 v[10:11], v[2:3], v[10:11]
	s_waitcnt lgkmcnt(2)
	v_pk_mul_f32 v[12:13], v[2:3], v[12:13]
	ds_write2st64_b32 v9, v10, v11 offset1:2
	ds_write2st64_b32 v9, v12, v13 offset0:4 offset1:6
	ds_read2st64_b32 v[12:13], v9 offset0:16 offset1:18
	s_waitcnt lgkmcnt(4)
	v_pk_mul_f32 v[10:11], v[2:3], v[14:15]
	ds_write2st64_b32 v9, v10, v11 offset0:8 offset1:10
	s_waitcnt lgkmcnt(4)
	v_pk_mul_f32 v[10:11], v[2:3], v[16:17]
	ds_write2st64_b32 v9, v10, v11 offset0:12 offset1:14
	ds_read2st64_b32 v[10:11], v9 offset0:20 offset1:22
	s_waitcnt lgkmcnt(3)
	v_pk_mul_f32 v[12:13], v[2:3], v[12:13]
	ds_read2st64_b32 v[14:15], v9 offset0:24 offset1:26
	ds_write2st64_b32 v9, v12, v13 offset0:16 offset1:18
	ds_read2st64_b32 v[12:13], v9 offset0:28 offset1:30
	s_waitcnt lgkmcnt(3)
	v_pk_mul_f32 v[10:11], v[2:3], v[10:11]
	ds_write2st64_b32 v9, v10, v11 offset0:20 offset1:22
	s_waitcnt lgkmcnt(3)
	v_pk_mul_f32 v[10:11], v[2:3], v[14:15]
	ds_write2st64_b32 v9, v10, v11 offset0:24 offset1:26
	s_waitcnt lgkmcnt(2)
	v_pk_mul_f32 v[10:11], v[2:3], v[12:13]
	s_add_i32 s18, s18, 16
	v_cmp_eq_u32_e32 vcc, 0, v8
	ds_write2st64_b32 v9, v10, v11 offset0:28 offset1:30
	v_add_u32_e32 v9, 0x2000, v9
	s_or_b64 s[12:13], vcc, s[12:13]
	v_mov_b32_e32 v10, s18
	s_andn2_b64 exec, exec, s[12:13]
	s_cbranch_execnz .LBB225_30
; %bb.31:
	s_or_b64 exec, exec, s[12:13]
.LBB225_32:
	s_or_b64 exec, exec, s[10:11]
	v_and_b32_e32 v7, 7, v7
	v_cmp_ne_u32_e32 vcc, 0, v7
	s_and_saveexec_b64 s[10:11], vcc
	s_cbranch_execz .LBB225_35
; %bb.33:
	v_lshlrev_b32_e32 v8, 9, v10
	v_lshlrev_b32_e32 v9, 2, v0
	s_movk_i32 s12, 0x310
	v_add3_u32 v8, v8, v9, s12
	s_mov_b64 s[12:13], 0
.LBB225_34:                             ; =>This Inner Loop Header: Depth=1
	ds_read2st64_b32 v[10:11], v8 offset1:2
	v_add_u32_e32 v7, -1, v7
	v_cmp_eq_u32_e32 vcc, 0, v7
	s_or_b64 s[12:13], vcc, s[12:13]
	s_waitcnt lgkmcnt(0)
	v_pk_mul_f32 v[10:11], v[2:3], v[10:11]
	ds_write2st64_b32 v8, v10, v11 offset1:2
	v_add_u32_e32 v8, 0x400, v8
	s_andn2_b64 exec, exec, s[12:13]
	s_cbranch_execnz .LBB225_34
.LBB225_35:
	s_or_b64 exec, exec, s[10:11]
	v_add_u32_e32 v6, 1, v6
	v_and_b32_e32 v7, 0x3fffffe, v6
	v_cmp_ne_u32_e32 vcc, v6, v7
	v_lshl_add_u32 v3, v7, 7, v0
	s_orn2_b64 s[10:11], vcc, exec
.LBB225_36:
	s_or_b64 exec, exec, s[6:7]
	s_and_b64 exec, exec, s[10:11]
	s_cbranch_execz .LBB225_39
; %bb.37:
	v_mov_b32_e32 v6, 0x310
	v_lshl_add_u32 v6, v3, 2, v6
	s_mov_b64 s[6:7], 0
.LBB225_38:                             ; =>This Inner Loop Header: Depth=1
	ds_read_b32 v7, v6
	v_add_u32_e32 v3, 0x80, v3
	v_cmp_le_i32_e32 vcc, s3, v3
	s_or_b64 s[6:7], vcc, s[6:7]
	s_waitcnt lgkmcnt(0)
	v_mul_f32_e32 v7, v2, v7
	ds_write_b32 v6, v7
	v_add_u32_e32 v6, 0x200, v6
	s_andn2_b64 exec, exec, s[6:7]
	s_cbranch_execnz .LBB225_38
.LBB225_39:
	s_or_b64 exec, exec, s[0:1]
	s_mul_i32 s0, s33, s36
	v_cmp_eq_u32_e32 vcc, 0, v0
	s_mul_i32 s6, s0, s5
	s_waitcnt lgkmcnt(0)
	s_barrier
	s_and_saveexec_b64 s[0:1], vcc
	s_cbranch_execz .LBB225_41
; %bb.40:
	s_ashr_i32 s7, s6, 31
	s_lshl_b64 s[10:11], s[6:7], 2
	s_add_u32 s5, s22, s10
	s_mul_i32 s2, s33, s2
	s_addc_u32 s7, s23, s11
	s_ashr_i32 s3, s2, 31
	s_lshl_b64 s[2:3], s[2:3], 2
	s_add_u32 s18, s5, s2
	s_addc_u32 s7, s7, s3
	s_ashr_i32 s5, s4, 31
	s_lshl_b64 s[12:13], s[4:5], 2
	s_add_u32 s18, s18, s12
	s_addc_u32 s19, s7, s13
	s_add_u32 s5, s20, s10
	s_addc_u32 s7, s21, s11
	s_add_u32 s2, s5, s2
	s_addc_u32 s3, s7, s3
	s_add_u32 s2, s2, s12
	v_mov_b32_e32 v2, 0
	s_addc_u32 s3, s3, s13
	global_store_dword v2, v4, s[18:19]
	global_store_dword v2, v5, s[2:3]
.LBB225_41:
	s_or_b64 exec, exec, s[0:1]
	v_mov_b32_e32 v7, 0
	v_mov_b32_e32 v6, 0
	v_mov_b32_e32 v9, 0
	v_mov_b32_e32 v8, 0
	v_mov_b32_e32 v11, 0
	v_mov_b32_e32 v10, 0
	v_mov_b32_e32 v13, 0
	v_mov_b32_e32 v12, 0
	v_mov_b32_e32 v15, 0
	v_mov_b32_e32 v14, 0
	v_mov_b32_e32 v17, 0
	v_mov_b32_e32 v16, 0
	s_and_saveexec_b64 s[2:3], s[8:9]
	s_cbranch_execz .LBB225_69
; %bb.42:
	s_ashr_i32 s1, s43, 31
	v_lshlrev_b32_e32 v2, 2, v0
	s_load_dword s8, s[26:27], 0x0
	s_add_u32 s0, s14, s43
	s_addc_u32 s1, s15, s1
	v_and_b32_e32 v6, 0xfc, v2
	v_mov_b32_e32 v7, 0
	v_and_b32_e32 v3, 12, v2
	s_add_i32 s31, s31, -1
	v_lshl_add_u64 v[18:19], s[0:1], 0, v[6:7]
	v_lshl_add_u32 v2, v60, 4, s42
	s_lshl_b64 s[0:1], s[38:39], 2
	v_add3_u32 v77, v2, v3, 3
	v_lshlrev_b32_e32 v2, 4, v50
	s_add_u32 s0, s34, s0
	v_lshl_or_b32 v2, v60, 6, v2
	s_addc_u32 s1, s35, s1
	s_mov_b32 s5, s17
	s_waitcnt lgkmcnt(0)
	s_mov_b32 s9, s8
	v_add_u32_e32 v78, 0x310, v2
	v_lshl_add_u64 v[20:21], v[52:53], 2, s[0:1]
	s_mov_b64 s[10:11], 0
	v_mov_b32_e32 v6, v7
	v_mov_b32_e32 v9, v7
	;; [unrolled: 1-line block ×11, first 2 shown]
	s_branch .LBB225_44
.LBB225_43:                             ;   in Loop: Header=BB225_44 Depth=1
	s_or_b64 exec, exec, s[0:1]
	s_waitcnt lgkmcnt(0)
	v_mul_f32_e32 v53, v3, v73
	v_fmac_f32_e32 v53, v2, v72
	v_fmac_f32_e32 v53, v4, v70
	v_fmac_f32_e32 v53, v5, v71
	v_add_f32_e32 v6, v6, v53
	v_mul_f32_e32 v53, v3, v67
	v_fmac_f32_e32 v53, v2, v66
	v_fmac_f32_e32 v53, v4, v64
	v_fmac_f32_e32 v53, v5, v65
	v_add_f32_e32 v9, v9, v53
	;; [unrolled: 5-line block ×4, first 2 shown]
	v_mul_f32_e32 v53, v3, v55
	v_mul_f32_e32 v47, v3, v47
	;; [unrolled: 1-line block ×8, first 2 shown]
	v_fmac_f32_e32 v53, v2, v54
	v_fmac_f32_e32 v47, v2, v46
	;; [unrolled: 1-line block ×16, first 2 shown]
	v_add_u32_e32 v52, 2, v52
	v_fmac_f32_e32 v53, v5, v49
	v_fmac_f32_e32 v47, v5, v45
	;; [unrolled: 1-line block ×8, first 2 shown]
	v_cmp_le_i32_e32 vcc, s16, v52
	v_add_f32_e32 v10, v10, v53
	v_add_f32_e32 v13, v13, v47
	;; [unrolled: 1-line block ×8, first 2 shown]
	v_add_u32_e32 v77, 32, v77
	v_add_u32_e32 v78, 0x80, v78
	s_or_b64 s[10:11], vcc, s[10:11]
	v_lshl_add_u64 v[20:21], v[20:21], 0, 8
	s_andn2_b64 exec, exec, s[10:11]
	s_cbranch_execz .LBB225_68
.LBB225_44:                             ; =>This Inner Loop Header: Depth=1
	global_load_dword v2, v[20:21], off
	v_add_u32_e32 v53, -3, v77
	v_cmp_eq_u32_e32 vcc, s31, v52
	v_add_u32_e32 v79, -2, v77
	v_add_u32_e32 v80, -1, v77
	s_waitcnt vmcnt(0)
	v_mad_i64_i32 v[34:35], s[0:1], v2, s5, v[18:19]
	global_load_dword v22, v[34:35], off
	ds_read_b128 v[2:5], v78
	s_waitcnt vmcnt(0)
	v_and_b32_e32 v23, 0xffff, v22
	v_lshrrev_b32_e32 v24, 16, v22
	v_cvt_pk_f32_fp8_e32 v[22:23], v23
	v_cvt_pk_f32_fp8_e32 v[26:27], v24
	v_pk_mul_f32 v[24:25], s[8:9], v[22:23]
	v_pk_mul_f32 v[22:23], s[8:9], v[26:27]
	s_and_saveexec_b64 s[12:13], vcc
; %bb.45:                               ;   in Loop: Header=BB225_44 Depth=1
	v_cmp_gt_i32_e64 s[0:1], s37, v53
	s_nop 1
	v_cndmask_b32_e64 v24, 0, v24, s[0:1]
	v_cmp_gt_i32_e64 s[0:1], s37, v79
	s_nop 1
	v_cndmask_b32_e64 v25, 0, v25, s[0:1]
	v_cmp_gt_i32_e64 s[0:1], s37, v80
	s_nop 1
	v_cndmask_b32_e64 v22, 0, v22, s[0:1]
	v_cmp_gt_i32_e64 s[0:1], s37, v77
	s_nop 1
	v_cndmask_b32_e64 v23, 0, v23, s[0:1]
; %bb.46:                               ;   in Loop: Header=BB225_44 Depth=1
	s_or_b64 exec, exec, s[12:13]
	global_load_dword v26, v[34:35], off offset:256
	s_waitcnt vmcnt(0)
	v_and_b32_e32 v27, 0xffff, v26
	v_lshrrev_b32_e32 v28, 16, v26
	v_cvt_pk_f32_fp8_e32 v[26:27], v27
	v_cvt_pk_f32_fp8_e32 v[30:31], v28
	v_pk_mul_f32 v[28:29], s[8:9], v[26:27]
	v_pk_mul_f32 v[26:27], s[8:9], v[30:31]
	s_and_saveexec_b64 s[12:13], vcc
; %bb.47:                               ;   in Loop: Header=BB225_44 Depth=1
	v_cmp_gt_i32_e64 s[0:1], s37, v53
	s_nop 1
	v_cndmask_b32_e64 v28, 0, v28, s[0:1]
	v_cmp_gt_i32_e64 s[0:1], s37, v79
	s_nop 1
	v_cndmask_b32_e64 v29, 0, v29, s[0:1]
	v_cmp_gt_i32_e64 s[0:1], s37, v80
	s_nop 1
	v_cndmask_b32_e64 v26, 0, v26, s[0:1]
	v_cmp_gt_i32_e64 s[0:1], s37, v77
	s_nop 1
	v_cndmask_b32_e64 v27, 0, v27, s[0:1]
; %bb.48:                               ;   in Loop: Header=BB225_44 Depth=1
	s_or_b64 exec, exec, s[12:13]
	global_load_dword v30, v[34:35], off offset:512
	;; [unrolled: 24-line block ×11, first 2 shown]
	s_waitcnt vmcnt(0)
	v_and_b32_e32 v35, 0xffff, v34
	v_lshrrev_b32_e32 v68, 16, v34
	v_cvt_pk_f32_fp8_e32 v[34:35], v35
	v_cvt_pk_f32_fp8_e32 v[82:83], v68
	v_pk_mul_f32 v[68:69], s[8:9], v[34:35]
	v_pk_mul_f32 v[34:35], s[8:9], v[82:83]
	s_and_saveexec_b64 s[0:1], vcc
	s_cbranch_execz .LBB225_43
; %bb.67:                               ;   in Loop: Header=BB225_44 Depth=1
	v_cmp_gt_i32_e32 vcc, s37, v53
	s_nop 1
	v_cndmask_b32_e32 v68, 0, v68, vcc
	v_cmp_gt_i32_e32 vcc, s37, v79
	s_nop 1
	v_cndmask_b32_e32 v69, 0, v69, vcc
	;; [unrolled: 3-line block ×4, first 2 shown]
	s_branch .LBB225_43
.LBB225_68:
	s_or_b64 exec, exec, s[10:11]
.LBB225_69:
	s_or_b64 exec, exec, s[2:3]
	ds_bpermute_b32 v2, v76, v16
	ds_bpermute_b32 v3, v76, v17
	;; [unrolled: 1-line block ×6, first 2 shown]
	s_waitcnt lgkmcnt(4)
	v_pk_add_f32 v[2:3], v[16:17], v[2:3]
	ds_bpermute_b32 v16, v75, v2
	ds_bpermute_b32 v17, v75, v3
	;; [unrolled: 1-line block ×4, first 2 shown]
	s_waitcnt lgkmcnt(4)
	v_pk_add_f32 v[4:5], v[14:15], v[4:5]
	ds_bpermute_b32 v28, v76, v6
	s_waitcnt lgkmcnt(3)
	v_pk_add_f32 v[2:3], v[2:3], v[16:17]
	v_pk_add_f32 v[16:17], v[12:13], v[18:19]
	ds_bpermute_b32 v12, v76, v10
	ds_bpermute_b32 v13, v76, v11
	;; [unrolled: 1-line block ×7, first 2 shown]
	s_waitcnt lgkmcnt(5)
	v_pk_add_f32 v[22:23], v[10:11], v[12:13]
	v_pk_add_f32 v[20:21], v[8:9], v[20:21]
	ds_bpermute_b32 v24, v75, v22
	ds_bpermute_b32 v25, v75, v23
	ds_bpermute_b32 v26, v75, v20
	ds_bpermute_b32 v27, v75, v21
	s_waitcnt lgkmcnt(8)
	v_pk_add_f32 v[6:7], v[6:7], v[28:29]
	s_waitcnt lgkmcnt(6)
	v_pk_add_f32 v[12:13], v[4:5], v[14:15]
	ds_bpermute_b32 v14, v75, v6
	ds_bpermute_b32 v15, v75, v7
	s_waitcnt lgkmcnt(6)
	v_pk_add_f32 v[10:11], v[16:17], v[18:19]
	v_and_b32_e32 v16, 0x3c3, v0
	s_waitcnt lgkmcnt(4)
	v_pk_add_f32 v[8:9], v[22:23], v[24:25]
	s_waitcnt lgkmcnt(2)
	v_pk_add_f32 v[4:5], v[20:21], v[26:27]
	v_cmp_ne_u32_e32 vcc, 64, v16
	s_waitcnt lgkmcnt(0)
	s_barrier
	s_and_saveexec_b64 s[0:1], vcc
	s_xor_b64 s[0:1], exec, s[0:1]
; %bb.70:
                                        ; implicit-def: $vgpr51
; %bb.71:
	s_or_saveexec_b64 s[0:1], s[0:1]
	v_pk_add_f32 v[6:7], v[6:7], v[14:15]
	s_xor_b64 exec, exec, s[0:1]
	s_cbranch_execz .LBB225_73
; %bb.72:
	v_add_u32_e32 v14, 0x310, v51
	ds_write2_b32 v14, v2, v3 offset1:16
	ds_write2_b32 v14, v12, v13 offset0:32 offset1:48
	ds_write2_b32 v14, v10, v11 offset0:64 offset1:80
	;; [unrolled: 1-line block ×5, first 2 shown]
.LBB225_73:
	s_or_b64 exec, exec, s[0:1]
	v_cmp_gt_u32_e32 vcc, 64, v0
	s_waitcnt lgkmcnt(0)
	s_barrier
	s_and_saveexec_b64 s[0:1], vcc
	s_cbranch_execz .LBB225_88
; %bb.74:
	v_cmp_eq_u32_e32 vcc, 0, v50
	s_and_saveexec_b64 s[2:3], vcc
	s_cbranch_execnz .LBB225_91
; %bb.75:
	s_or_b64 exec, exec, s[2:3]
	s_and_saveexec_b64 s[2:3], vcc
	s_cbranch_execnz .LBB225_92
.LBB225_76:
	s_or_b64 exec, exec, s[2:3]
	s_and_saveexec_b64 s[2:3], vcc
	s_cbranch_execnz .LBB225_93
.LBB225_77:
	s_or_b64 exec, exec, s[2:3]
	s_and_saveexec_b64 s[2:3], vcc
	s_cbranch_execnz .LBB225_94
.LBB225_78:
	s_or_b64 exec, exec, s[2:3]
	s_and_saveexec_b64 s[2:3], vcc
	s_cbranch_execnz .LBB225_95
.LBB225_79:
	s_or_b64 exec, exec, s[2:3]
	s_and_saveexec_b64 s[2:3], vcc
	s_cbranch_execnz .LBB225_96
.LBB225_80:
	s_or_b64 exec, exec, s[2:3]
	s_and_saveexec_b64 s[2:3], vcc
	s_cbranch_execnz .LBB225_97
.LBB225_81:
	s_or_b64 exec, exec, s[2:3]
	s_and_saveexec_b64 s[2:3], vcc
	s_cbranch_execnz .LBB225_98
.LBB225_82:
	s_or_b64 exec, exec, s[2:3]
	s_and_saveexec_b64 s[2:3], vcc
	s_cbranch_execnz .LBB225_99
.LBB225_83:
	s_or_b64 exec, exec, s[2:3]
	s_and_saveexec_b64 s[2:3], vcc
	s_cbranch_execnz .LBB225_100
.LBB225_84:
	s_or_b64 exec, exec, s[2:3]
	s_and_saveexec_b64 s[2:3], vcc
	s_cbranch_execnz .LBB225_101
.LBB225_85:
	s_or_b64 exec, exec, s[2:3]
	s_and_saveexec_b64 s[2:3], vcc
	s_cbranch_execz .LBB225_87
.LBB225_86:
	v_mov_b32_e32 v0, 0x310
	v_lshl_add_u32 v0, v74, 2, v0
	ds_read_b32 v0, v0 offset:704
	s_waitcnt lgkmcnt(0)
	v_add_f32_e32 v7, v7, v0
.LBB225_87:
	s_or_b64 exec, exec, s[2:3]
.LBB225_88:
	s_or_b64 exec, exec, s[0:1]
	v_cmp_eq_u32_e32 vcc, 0, v16
	s_barrier
	s_and_saveexec_b64 s[0:1], vcc
	s_cbranch_execz .LBB225_90
; %bb.89:
	s_mul_i32 s0, s6, 0xc0
	s_ashr_i32 s1, s0, 31
	s_lshl_b64 s[0:1], s[0:1], 2
	s_add_u32 s2, s28, s0
	s_mul_i32 s0, s33, s30
	s_addc_u32 s3, s29, s1
	s_ashr_i32 s1, s0, 31
	s_lshl_b64 s[0:1], s[0:1], 2
	s_add_u32 s2, s2, s0
	s_mul_i32 s0, s4, 0xc0
	s_addc_u32 s3, s3, s1
	s_ashr_i32 s1, s0, 31
	s_lshl_b64 s[0:1], s[0:1], 2
	s_add_u32 s0, s2, s0
	s_addc_u32 s1, s3, s1
	global_store_dword v1, v2, s[0:1]
	global_store_dword v1, v3, s[0:1] offset:64
	global_store_dword v1, v12, s[0:1] offset:128
	;; [unrolled: 1-line block ×11, first 2 shown]
.LBB225_90:
	s_endpgm
.LBB225_91:
	v_mov_b32_e32 v0, 0x310
	v_lshl_add_u32 v0, v74, 2, v0
	ds_read_b32 v0, v0
	s_waitcnt lgkmcnt(0)
	v_add_f32_e32 v2, v2, v0
	s_or_b64 exec, exec, s[2:3]
	s_and_saveexec_b64 s[2:3], vcc
	s_cbranch_execz .LBB225_76
.LBB225_92:
	v_mov_b32_e32 v0, 0x310
	v_lshl_add_u32 v0, v74, 2, v0
	ds_read_b32 v0, v0 offset:64
	s_waitcnt lgkmcnt(0)
	v_add_f32_e32 v3, v3, v0
	s_or_b64 exec, exec, s[2:3]
	s_and_saveexec_b64 s[2:3], vcc
	s_cbranch_execz .LBB225_77
.LBB225_93:
	v_mov_b32_e32 v0, 0x310
	v_lshl_add_u32 v0, v74, 2, v0
	ds_read_b32 v0, v0 offset:128
	s_waitcnt lgkmcnt(0)
	v_add_f32_e32 v12, v12, v0
	s_or_b64 exec, exec, s[2:3]
	s_and_saveexec_b64 s[2:3], vcc
	s_cbranch_execz .LBB225_78
.LBB225_94:
	v_mov_b32_e32 v0, 0x310
	v_lshl_add_u32 v0, v74, 2, v0
	ds_read_b32 v0, v0 offset:192
	s_waitcnt lgkmcnt(0)
	v_add_f32_e32 v13, v13, v0
	s_or_b64 exec, exec, s[2:3]
	s_and_saveexec_b64 s[2:3], vcc
	s_cbranch_execz .LBB225_79
.LBB225_95:
	v_mov_b32_e32 v0, 0x310
	v_lshl_add_u32 v0, v74, 2, v0
	ds_read_b32 v0, v0 offset:256
	s_waitcnt lgkmcnt(0)
	v_add_f32_e32 v10, v10, v0
	s_or_b64 exec, exec, s[2:3]
	s_and_saveexec_b64 s[2:3], vcc
	s_cbranch_execz .LBB225_80
.LBB225_96:
	v_mov_b32_e32 v0, 0x310
	v_lshl_add_u32 v0, v74, 2, v0
	ds_read_b32 v0, v0 offset:320
	s_waitcnt lgkmcnt(0)
	v_add_f32_e32 v11, v11, v0
	s_or_b64 exec, exec, s[2:3]
	s_and_saveexec_b64 s[2:3], vcc
	s_cbranch_execz .LBB225_81
.LBB225_97:
	v_mov_b32_e32 v0, 0x310
	v_lshl_add_u32 v0, v74, 2, v0
	ds_read_b32 v0, v0 offset:384
	s_waitcnt lgkmcnt(0)
	v_add_f32_e32 v8, v8, v0
	s_or_b64 exec, exec, s[2:3]
	s_and_saveexec_b64 s[2:3], vcc
	s_cbranch_execz .LBB225_82
.LBB225_98:
	v_mov_b32_e32 v0, 0x310
	v_lshl_add_u32 v0, v74, 2, v0
	ds_read_b32 v0, v0 offset:448
	s_waitcnt lgkmcnt(0)
	v_add_f32_e32 v9, v9, v0
	s_or_b64 exec, exec, s[2:3]
	s_and_saveexec_b64 s[2:3], vcc
	s_cbranch_execz .LBB225_83
.LBB225_99:
	v_mov_b32_e32 v0, 0x310
	v_lshl_add_u32 v0, v74, 2, v0
	ds_read_b32 v0, v0 offset:512
	s_waitcnt lgkmcnt(0)
	v_add_f32_e32 v4, v4, v0
	s_or_b64 exec, exec, s[2:3]
	s_and_saveexec_b64 s[2:3], vcc
	s_cbranch_execz .LBB225_84
.LBB225_100:
	v_mov_b32_e32 v0, 0x310
	v_lshl_add_u32 v0, v74, 2, v0
	ds_read_b32 v0, v0 offset:576
	s_waitcnt lgkmcnt(0)
	v_add_f32_e32 v5, v5, v0
	s_or_b64 exec, exec, s[2:3]
	s_and_saveexec_b64 s[2:3], vcc
	s_cbranch_execz .LBB225_85
.LBB225_101:
	v_mov_b32_e32 v0, 0x310
	v_lshl_add_u32 v0, v74, 2, v0
	ds_read_b32 v0, v0 offset:640
	s_waitcnt lgkmcnt(0)
	v_add_f32_e32 v6, v6, v0
	s_or_b64 exec, exec, s[2:3]
	s_and_saveexec_b64 s[2:3], vcc
	s_cbranch_execnz .LBB225_86
	s_branch .LBB225_87
	.section	.rodata,"a",@progbits
	.p2align	6, 0x0
	.amdhsa_kernel _ZN4vllm25paged_attention_v2_kernelIfhLi192ELi16ELi128ELNS_18Fp8KVCacheDataTypeE1ELb0ELi512EEEvPfS2_PT_PKS3_PKT0_S9_ifPKiSB_iPKfiiiSD_SD_iiiii
		.amdhsa_group_segment_fixed_size 784
		.amdhsa_private_segment_fixed_size 0
		.amdhsa_kernarg_size 400
		.amdhsa_user_sgpr_count 2
		.amdhsa_user_sgpr_dispatch_ptr 0
		.amdhsa_user_sgpr_queue_ptr 0
		.amdhsa_user_sgpr_kernarg_segment_ptr 1
		.amdhsa_user_sgpr_dispatch_id 0
		.amdhsa_user_sgpr_kernarg_preload_length 0
		.amdhsa_user_sgpr_kernarg_preload_offset 0
		.amdhsa_user_sgpr_private_segment_size 0
		.amdhsa_uses_dynamic_stack 0
		.amdhsa_enable_private_segment 0
		.amdhsa_system_sgpr_workgroup_id_x 1
		.amdhsa_system_sgpr_workgroup_id_y 1
		.amdhsa_system_sgpr_workgroup_id_z 1
		.amdhsa_system_sgpr_workgroup_info 0
		.amdhsa_system_vgpr_workitem_id 0
		.amdhsa_next_free_vgpr 117
		.amdhsa_next_free_sgpr 45
		.amdhsa_accum_offset 120
		.amdhsa_reserve_vcc 1
		.amdhsa_float_round_mode_32 0
		.amdhsa_float_round_mode_16_64 0
		.amdhsa_float_denorm_mode_32 3
		.amdhsa_float_denorm_mode_16_64 3
		.amdhsa_dx10_clamp 1
		.amdhsa_ieee_mode 1
		.amdhsa_fp16_overflow 0
		.amdhsa_tg_split 0
		.amdhsa_exception_fp_ieee_invalid_op 0
		.amdhsa_exception_fp_denorm_src 0
		.amdhsa_exception_fp_ieee_div_zero 0
		.amdhsa_exception_fp_ieee_overflow 0
		.amdhsa_exception_fp_ieee_underflow 0
		.amdhsa_exception_fp_ieee_inexact 0
		.amdhsa_exception_int_div_zero 0
	.end_amdhsa_kernel
	.section	.text._ZN4vllm25paged_attention_v2_kernelIfhLi192ELi16ELi128ELNS_18Fp8KVCacheDataTypeE1ELb0ELi512EEEvPfS2_PT_PKS3_PKT0_S9_ifPKiSB_iPKfiiiSD_SD_iiiii,"axG",@progbits,_ZN4vllm25paged_attention_v2_kernelIfhLi192ELi16ELi128ELNS_18Fp8KVCacheDataTypeE1ELb0ELi512EEEvPfS2_PT_PKS3_PKT0_S9_ifPKiSB_iPKfiiiSD_SD_iiiii,comdat
.Lfunc_end225:
	.size	_ZN4vllm25paged_attention_v2_kernelIfhLi192ELi16ELi128ELNS_18Fp8KVCacheDataTypeE1ELb0ELi512EEEvPfS2_PT_PKS3_PKT0_S9_ifPKiSB_iPKfiiiSD_SD_iiiii, .Lfunc_end225-_ZN4vllm25paged_attention_v2_kernelIfhLi192ELi16ELi128ELNS_18Fp8KVCacheDataTypeE1ELb0ELi512EEEvPfS2_PT_PKS3_PKT0_S9_ifPKiSB_iPKfiiiSD_SD_iiiii
                                        ; -- End function
	.section	.AMDGPU.csdata,"",@progbits
; Kernel info:
; codeLenInByte = 7524
; NumSgprs: 51
; NumVgprs: 117
; NumAgprs: 0
; TotalNumVgprs: 117
; ScratchSize: 0
; MemoryBound: 0
; FloatMode: 240
; IeeeMode: 1
; LDSByteSize: 784 bytes/workgroup (compile time only)
; SGPRBlocks: 6
; VGPRBlocks: 14
; NumSGPRsForWavesPerEU: 51
; NumVGPRsForWavesPerEU: 117
; AccumOffset: 120
; Occupancy: 4
; WaveLimiterHint : 1
; COMPUTE_PGM_RSRC2:SCRATCH_EN: 0
; COMPUTE_PGM_RSRC2:USER_SGPR: 2
; COMPUTE_PGM_RSRC2:TRAP_HANDLER: 0
; COMPUTE_PGM_RSRC2:TGID_X_EN: 1
; COMPUTE_PGM_RSRC2:TGID_Y_EN: 1
; COMPUTE_PGM_RSRC2:TGID_Z_EN: 1
; COMPUTE_PGM_RSRC2:TIDIG_COMP_CNT: 0
; COMPUTE_PGM_RSRC3_GFX90A:ACCUM_OFFSET: 29
; COMPUTE_PGM_RSRC3_GFX90A:TG_SPLIT: 0
	.section	.text._ZN4vllm25paged_attention_v2_kernelIfhLi256ELi16ELi128ELNS_18Fp8KVCacheDataTypeE1ELb0ELi512EEEvPfS2_PT_PKS3_PKT0_S9_ifPKiSB_iPKfiiiSD_SD_iiiii,"axG",@progbits,_ZN4vllm25paged_attention_v2_kernelIfhLi256ELi16ELi128ELNS_18Fp8KVCacheDataTypeE1ELb0ELi512EEEvPfS2_PT_PKS3_PKT0_S9_ifPKiSB_iPKfiiiSD_SD_iiiii,comdat
	.protected	_ZN4vllm25paged_attention_v2_kernelIfhLi256ELi16ELi128ELNS_18Fp8KVCacheDataTypeE1ELb0ELi512EEEvPfS2_PT_PKS3_PKT0_S9_ifPKiSB_iPKfiiiSD_SD_iiiii ; -- Begin function _ZN4vllm25paged_attention_v2_kernelIfhLi256ELi16ELi128ELNS_18Fp8KVCacheDataTypeE1ELb0ELi512EEEvPfS2_PT_PKS3_PKT0_S9_ifPKiSB_iPKfiiiSD_SD_iiiii
	.globl	_ZN4vllm25paged_attention_v2_kernelIfhLi256ELi16ELi128ELNS_18Fp8KVCacheDataTypeE1ELb0ELi512EEEvPfS2_PT_PKS3_PKT0_S9_ifPKiSB_iPKfiiiSD_SD_iiiii
	.p2align	8
	.type	_ZN4vllm25paged_attention_v2_kernelIfhLi256ELi16ELi128ELNS_18Fp8KVCacheDataTypeE1ELb0ELi512EEEvPfS2_PT_PKS3_PKT0_S9_ifPKiSB_iPKfiiiSD_SD_iiiii,@function
_ZN4vllm25paged_attention_v2_kernelIfhLi256ELi16ELi128ELNS_18Fp8KVCacheDataTypeE1ELb0ELi512EEEvPfS2_PT_PKS3_PKT0_S9_ifPKiSB_iPKfiiiSD_SD_iiiii: ; @_ZN4vllm25paged_attention_v2_kernelIfhLi256ELi16ELi128ELNS_18Fp8KVCacheDataTypeE1ELb0ELi512EEEvPfS2_PT_PKS3_PKT0_S9_ifPKiSB_iPKfiiiSD_SD_iiiii
; %bb.0:
	s_load_dwordx2 s[6:7], s[0:1], 0x40
	s_mov_b32 s36, s3
	s_ashr_i32 s37, s3, 31
	s_lshl_b64 s[8:9], s[36:37], 2
	s_waitcnt lgkmcnt(0)
	s_add_u32 s6, s6, s8
	s_addc_u32 s7, s7, s9
	s_load_dword s37, s[6:7], 0x0
	s_lshl_b32 s42, s4, 9
	s_waitcnt lgkmcnt(0)
	s_cmp_ge_i32 s42, s37
	s_cbranch_scc1 .LBB226_102
; %bb.1:
	s_load_dword s5, s[0:1], 0x90
	s_load_dwordx2 s[10:11], s[0:1], 0x30
	v_mov_b32_e32 v98, v0
	s_waitcnt lgkmcnt(0)
	s_abs_i32 s7, s5
	s_abs_i32 s3, s10
	v_cvt_f32_u32_e32 v1, s3
	s_sub_i32 s8, 0, s3
	s_xor_b32 s6, s5, s10
	s_ashr_i32 s6, s6, 31
	v_rcp_iflag_f32_e32 v1, v1
	s_nop 0
	v_mul_f32_e32 v1, 0x4f7ffffe, v1
	v_cvt_u32_f32_e32 v1, v1
	s_nop 0
	v_readfirstlane_b32 s9, v1
	s_mul_i32 s8, s8, s9
	s_mul_hi_u32 s8, s9, s8
	s_add_i32 s9, s9, s8
	s_mul_hi_u32 s8, s7, s9
	s_mul_i32 s9, s8, s3
	s_sub_i32 s7, s7, s9
	s_add_i32 s10, s8, 1
	s_sub_i32 s9, s7, s3
	s_cmp_ge_u32 s7, s3
	s_cselect_b32 s8, s10, s8
	s_cselect_b32 s7, s9, s7
	s_add_i32 s9, s8, 1
	s_cmp_ge_u32 s7, s3
	s_cselect_b32 s3, s9, s8
	s_xor_b32 s3, s3, s6
	s_sub_i32 s10, s3, s6
	s_abs_i32 s26, s10
	v_cvt_f32_u32_e32 v1, s26
	s_load_dwordx2 s[6:7], s[0:1], 0x50
	s_sub_i32 s3, 0, s26
	s_abs_i32 s27, s2
	v_rcp_iflag_f32_e32 v1, v1
	s_nop 0
	v_mul_f32_e32 v1, 0x4f7ffffe, v1
	v_cvt_u32_f32_e32 v1, v1
	s_nop 0
	v_readfirstlane_b32 s8, v1
	s_mul_i32 s3, s3, s8
	s_mul_hi_u32 s3, s8, s3
	s_add_i32 s8, s8, s3
	s_waitcnt lgkmcnt(0)
	s_cmp_eq_u64 s[6:7], 0
	s_mov_b32 s3, 0
	s_cbranch_scc1 .LBB226_3
; %bb.2:
	s_ashr_i32 s3, s2, 31
	s_lshl_b64 s[12:13], s[2:3], 2
	s_add_u32 s6, s6, s12
	s_addc_u32 s7, s7, s13
	s_load_dword s3, s[6:7], 0x0
.LBB226_3:
	s_load_dwordx4 s[20:23], s[0:1], 0x0
	s_load_dwordx2 s[28:29], s[0:1], 0x10
	s_load_dwordx4 s[12:15], s[0:1], 0x20
	s_load_dwordx2 s[34:35], s[0:1], 0x38
	s_load_dword s33, s[0:1], 0x98
	s_load_dwordx4 s[16:19], s[0:1], 0x58
	v_lshrrev_b32_e32 v68, 2, v98
	s_lshl_b32 s30, s2, 8
	s_movk_i32 s6, 0x100
	s_mul_hi_u32 s38, s27, s8
	v_and_b32_e32 v0, 3, v98
	s_ashr_i32 s31, s30, 31
	v_cmp_gt_u32_e32 vcc, s6, v98
	v_lshlrev_b32_e32 v66, 2, v68
	scratch_store_dwordx2 off, v[0:1], off offset:24 ; 8-byte Folded Spill
	s_and_saveexec_b64 s[6:7], vcc
	s_cbranch_execz .LBB226_6
; %bb.4:
	s_load_dwordx2 s[8:9], s[0:1], 0x18
	s_waitcnt lgkmcnt(0)
	s_mul_i32 s24, s36, s16
	s_ashr_i32 s25, s24, 31
	s_lshl_b64 s[24:25], s[24:25], 2
	s_lshl_b64 s[40:41], s[30:31], 2
	s_add_u32 s16, s24, s40
	v_and_b32_e32 v0, 3, v98
	s_addc_u32 s19, s25, s41
	v_or_b32_e32 v2, v66, v0
	s_add_u32 s8, s8, s16
	v_lshlrev_b32_e32 v2, 2, v2
	v_mov_b32_e32 v3, 0
	s_addc_u32 s9, s9, s19
	v_subrev_u32_e32 v4, 32, v68
	v_lshl_add_u32 v5, v0, 8, v66
	v_lshl_add_u64 v[2:3], s[8:9], 0, v[2:3]
	s_mov_b64 s[8:9], 0
	s_mov_b64 s[24:25], 0x200
.LBB226_5:                              ; =>This Inner Loop Header: Depth=1
	global_load_dword v6, v[2:3], off
	v_add_co_u32_e32 v4, vcc, 32, v4
	s_xor_b64 s[40:41], vcc, -1
	s_and_b64 s[40:41], exec, s[40:41]
	v_lshl_add_u64 v[2:3], v[2:3], 0, s[24:25]
	s_or_b64 s[8:9], s[40:41], s[8:9]
	s_waitcnt vmcnt(0)
	ds_write_b32 v5, v6
	v_add_u32_e32 v5, 0x80, v5
	s_andn2_b64 exec, exec, s[8:9]
	s_cbranch_execnz .LBB226_5
.LBB226_6:
	s_or_b64 exec, exec, s[6:7]
	s_add_i32 s8, s37, 15
	s_ashr_i32 s9, s8, 31
	s_ashr_i32 s6, s2, 31
	;; [unrolled: 1-line block ×3, first 2 shown]
	s_lshr_b32 s9, s9, 28
	s_add_i32 s8, s8, s9
	s_lshl_b32 s10, s4, 5
	s_xor_b32 s6, s6, s7
	s_mul_i32 s7, s38, s26
	s_ashr_i32 s31, s8, 4
	s_add_i32 s8, s10, 32
	s_sub_i32 s7, s27, s7
	s_waitcnt lgkmcnt(0)
	s_min_i32 s16, s8, s31
	s_add_i32 s8, s38, 1
	s_sub_i32 s9, s7, s26
	s_cmp_ge_u32 s7, s26
	s_cselect_b32 s8, s8, s38
	s_cselect_b32 s7, s9, s7
	s_add_i32 s9, s8, 1
	s_cmp_ge_u32 s7, s26
	s_cselect_b32 s7, s9, s8
	s_load_dword s8, s[0:1], 0x48
	v_lshrrev_b32_e32 v46, 6, v98
	s_xor_b32 s7, s7, s6
	v_or_b32_e32 v108, s10, v46
	s_sub_i32 s43, s7, s6
	s_waitcnt lgkmcnt(0)
	s_mul_i32 s38, s36, s8
	s_ashr_i32 s39, s38, 31
	v_cmp_gt_i32_e64 s[8:9], s16, v108
	v_cmp_le_i32_e32 vcc, s16, v108
	v_mbcnt_lo_u32_b32 v42, -1, 0
	s_barrier
	s_waitcnt lgkmcnt(0)
                                        ; implicit-def: $sgpr19
                                        ; implicit-def: $vgpr13
                                        ; implicit-def: $vgpr14
	s_and_saveexec_b64 s[6:7], vcc
	s_xor_b64 s[6:7], exec, s[6:7]
; %bb.7:
	v_mbcnt_hi_u32_b32 v13, -1, v42
	v_and_b32_e32 v2, 64, v13
	v_add_u32_e32 v14, 64, v2
	s_mov_b32 s19, 0xff7fffff
                                        ; implicit-def: $vgpr42
; %bb.8:
	s_or_saveexec_b64 s[40:41], s[6:7]
	s_load_dwordx4 s[24:27], s[0:1], 0x68
	v_mov_b32_e32 v0, s19
	s_mul_i32 s43, s43, s18
	v_ashrrev_i32_e32 v109, 31, v108
	s_xor_b64 exec, exec, s[40:41]
	s_cbranch_execz .LBB226_14
; %bb.9:
	s_ashr_i32 s1, s43, 31
	v_bfe_u32 v43, v98, 2, 4
	s_add_u32 s0, s12, s43
	s_addc_u32 s1, s13, s1
	v_lshlrev_b32_e32 v44, 4, v43
	v_mov_b32_e32 v45, 0
	v_lshl_add_u64 v[0:1], s[0:1], 0, v[44:45]
	scratch_store_dwordx2 off, v[0:1], off offset:36 ; 8-byte Folded Spill
	scratch_load_dwordx2 v[0:1], off, off offset:24 ; 8-byte Folded Reload
	s_lshl_b64 s[0:1], s[38:39], 2
	scratch_store_dword off, v98, off offset:52 ; 4-byte Folded Spill
	s_mov_b32 s44, s17
	v_cmp_neq_f32_e64 s[6:7], s3, 0
	s_mov_b64 s[12:13], 0
	v_mov_b32_e32 v84, v108
	s_waitcnt vmcnt(1)
	v_mov_b32_e32 v44, v0
	v_mbcnt_hi_u32_b32 v0, -1, v42
	v_and_b32_e32 v42, 64, v0
	v_add_u32_e32 v1, 64, v42
	v_xor_b32_e32 v42, 2, v0
	v_cmp_lt_i32_e32 vcc, v42, v1
	v_lshlrev_b32_e32 v62, 8, v44
	ds_read_b128 v[90:93], v62
	ds_read_b128 v[6:9], v62 offset:16
	ds_read_b128 v[10:13], v62 offset:32
	;; [unrolled: 1-line block ×9, first 2 shown]
	v_cndmask_b32_e32 v42, v0, v42, vcc
	v_lshlrev_b32_e32 v2, 2, v42
	v_xor_b32_e32 v42, 1, v0
	v_cmp_lt_i32_e32 vcc, v42, v1
	scratch_store_dword off, v0, off offset:68 ; 4-byte Folded Spill
	scratch_store_dword off, v2, off offset:44 ; 4-byte Folded Spill
	v_cndmask_b32_e32 v42, v0, v42, vcc
	v_lshlrev_b32_e32 v0, 2, v42
	v_lshlrev_b32_e32 v42, 4, v46
	v_add3_u32 v82, s42, v42, v43
	v_lshlrev_b32_e32 v42, 2, v43
	scratch_store_dword off, v1, off offset:72 ; 4-byte Folded Spill
	scratch_store_dword off, v0, off offset:48 ; 4-byte Folded Spill
	scratch_store_dwordx2 off, v[44:45], off offset:24 ; 8-byte Folded Spill
	scratch_store_dword off, v46, off offset:64 ; 4-byte Folded Spill
	v_lshl_or_b32 v42, v46, 6, v42
	v_cmp_eq_u32_e32 vcc, 0, v44
	s_waitcnt lgkmcnt(0)
	s_load_dword s24, s[24:25], 0x0
	v_add_u32_e32 v83, 0x410, v42
	ds_read_b128 v[42:45], v62 offset:160
	ds_read_b128 v[46:49], v62 offset:176
	ds_read_b128 v[50:53], v62 offset:192
	ds_read_b128 v[54:57], v62 offset:208
	ds_read_b128 v[58:61], v62 offset:224
	ds_read_b128 v[62:65], v62 offset:240
	s_sub_i32 s25, 1, s37
	s_add_u32 s0, s34, s0
	s_addc_u32 s1, s35, s1
	v_lshl_add_u64 v[72:73], v[108:109], 2, s[0:1]
	v_mov_b32_e32 v0, 0xff7fffff
	scratch_store_dword off, v0, off offset:32 ; 4-byte Folded Spill
	scratch_store_dwordx2 off, v[108:109], off offset:56 ; 8-byte Folded Spill
	s_branch .LBB226_11
.LBB226_10:                             ;   in Loop: Header=BB226_11 Depth=1
	s_or_b64 exec, exec, s[18:19]
	v_add_u32_e32 v84, 2, v84
	v_cmp_le_i32_e64 s[0:1], s16, v84
	v_add_u32_e32 v82, 32, v82
	v_add_u32_e32 v83, 0x80, v83
	s_or_b64 s[12:13], s[0:1], s[12:13]
	v_lshl_add_u64 v[72:73], v[72:73], 0, 8
	s_andn2_b64 exec, exec, s[12:13]
	s_cbranch_execz .LBB226_13
.LBB226_11:                             ; =>This Inner Loop Header: Depth=1
	global_load_dword v74, v[72:73], off
	scratch_load_dwordx2 v[0:1], off, off offset:36 ; 8-byte Folded Reload
	s_waitcnt vmcnt(0) lgkmcnt(0)
	v_mad_i64_i32 v[74:75], s[0:1], v74, s44, v[0:1]
	scratch_load_dwordx2 v[0:1], off, off offset:24 ; 8-byte Folded Reload
	s_waitcnt vmcnt(0)
	v_lshl_add_u64 v[74:75], v[74:75], 0, v[0:1]
	global_load_ubyte v113, v[74:75], off
	global_load_ubyte v114, v[74:75], off offset:4
	global_load_ubyte v115, v[74:75], off offset:8
	;; [unrolled: 1-line block ×51, first 2 shown]
	s_waitcnt vmcnt(36)
	v_cvt_f32_fp8_sdwa v98, v98 src0_sel:BYTE_0
	s_waitcnt vmcnt(35)
	v_cvt_f32_fp8_sdwa v1, v1 src0_sel:BYTE_0
	;; [unrolled: 2-line block ×5, first 2 shown]
	s_waitcnt lgkmcnt(0)
	v_mul_f32_e32 v98, s24, v98
	s_waitcnt vmcnt(31)
	v_cvt_f32_fp8_sdwa v78, v78 src0_sel:BYTE_0
	v_mul_f32_e32 v1, s24, v1
	s_waitcnt vmcnt(30)
	v_cvt_f32_fp8_sdwa v0, v0 src0_sel:BYTE_0
	v_mul_f32_e32 v76, s24, v76
	v_mul_f32_e32 v66, s24, v66
	;; [unrolled: 1-line block ×5, first 2 shown]
	s_waitcnt vmcnt(29)
	v_cvt_f32_fp8_sdwa v79, v79 src0_sel:BYTE_0
	s_waitcnt vmcnt(28)
	v_cvt_f32_fp8_sdwa v80, v80 src0_sel:BYTE_0
	;; [unrolled: 2-line block ×5, first 2 shown]
	v_mul_f32_e32 v79, s24, v79
	s_waitcnt vmcnt(24)
	v_cvt_f32_fp8_sdwa v81, v81 src0_sel:BYTE_0
	v_mul_f32_e32 v80, s24, v80
	s_waitcnt vmcnt(23)
	v_cvt_f32_fp8_sdwa v68, v68 src0_sel:BYTE_0
	;; [unrolled: 3-line block ×8, first 2 shown]
	v_mul_f32_e32 v2, s24, v2
	s_waitcnt vmcnt(0)
	scratch_store_dword off, v85, off offset:4 ; 4-byte Folded Spill
	global_load_ubyte v85, v[74:75], off offset:3328
	v_cvt_f32_fp8_sdwa v88, v88 src0_sel:BYTE_0
	v_mul_f32_e32 v3, s24, v3
	v_cvt_f32_fp8_sdwa v112, v112 src0_sel:BYTE_0
	v_mul_f32_e32 v4, s24, v4
	;; [unrolled: 2-line block ×16, first 2 shown]
	v_mul_f32_e32 v101, s24, v101
	s_waitcnt vmcnt(0)
	scratch_store_dword off, v85, off       ; 4-byte Folded Spill
	global_load_ubyte v85, v[74:75], off offset:3332
	s_waitcnt vmcnt(0)
	scratch_store_dword off, v85, off offset:8 ; 4-byte Folded Spill
	global_load_ubyte v85, v[74:75], off offset:3336
	s_waitcnt vmcnt(0)
	scratch_store_dword off, v85, off offset:12 ; 4-byte Folded Spill
	global_load_ubyte v87, v[74:75], off offset:3340
	s_nop 0
	global_load_ubyte v85, v[74:75], off offset:3584
	s_waitcnt vmcnt(0)
	scratch_store_dword off, v85, off offset:16 ; 4-byte Folded Spill
	global_load_ubyte v85, v[74:75], off offset:3588
	s_waitcnt vmcnt(0)
	scratch_store_dword off, v85, off offset:20 ; 4-byte Folded Spill
	global_load_ubyte v89, v[74:75], off offset:3592
	global_load_ubyte v94, v[74:75], off offset:3596
	s_nop 0
	global_load_ubyte v85, v[74:75], off offset:3840
	global_load_ubyte v95, v[74:75], off offset:3844
	global_load_ubyte v96, v[74:75], off offset:3848
	s_nop 0
	global_load_ubyte v75, v[74:75], off offset:3852
	v_cvt_f32_fp8_sdwa v74, v113 src0_sel:BYTE_0
	v_cvt_f32_fp8_sdwa v113, v114 src0_sel:BYTE_0
	v_mul_f32_e32 v114, s24, v74
	v_mul_f32_e32 v74, s24, v113
	v_cvt_f32_fp8_sdwa v113, v115 src0_sel:BYTE_0
	v_mul_f32_e32 v74, v91, v74
	v_fmac_f32_e32 v74, v90, v114
	v_cvt_f32_fp8_sdwa v114, v127 src0_sel:BYTE_0
	v_mul_f32_e32 v113, s24, v113
	v_fmac_f32_e32 v74, v92, v113
	v_cvt_f32_fp8_sdwa v113, v116 src0_sel:BYTE_0
	v_mul_f32_e32 v114, s24, v114
	v_mul_f32_e32 v113, s24, v113
	v_fmac_f32_e32 v74, v93, v113
	v_cvt_f32_fp8_sdwa v113, v117 src0_sel:BYTE_0
	s_waitcnt vmcnt(0)
	v_cvt_f32_fp8_sdwa v75, v75 src0_sel:BYTE_0
	v_mul_f32_e32 v113, s24, v113
	v_fmac_f32_e32 v74, v6, v113
	v_cvt_f32_fp8_sdwa v113, v118 src0_sel:BYTE_0
	v_mul_f32_e32 v75, s24, v75
	v_mul_f32_e32 v113, s24, v113
	v_fmac_f32_e32 v74, v7, v113
	v_cvt_f32_fp8_sdwa v113, v119 src0_sel:BYTE_0
	s_nop 0
	v_mul_f32_e32 v113, s24, v113
	v_fmac_f32_e32 v74, v8, v113
	v_cvt_f32_fp8_sdwa v113, v120 src0_sel:BYTE_0
	s_nop 0
	v_mul_f32_e32 v113, s24, v113
	v_fmac_f32_e32 v74, v9, v113
	v_cvt_f32_fp8_sdwa v113, v121 src0_sel:BYTE_0
	s_nop 0
	v_mul_f32_e32 v113, s24, v113
	v_fmac_f32_e32 v74, v10, v113
	v_cvt_f32_fp8_sdwa v113, v122 src0_sel:BYTE_0
	s_nop 0
	v_mul_f32_e32 v113, s24, v113
	v_fmac_f32_e32 v74, v11, v113
	v_cvt_f32_fp8_sdwa v113, v123 src0_sel:BYTE_0
	s_nop 0
	v_mul_f32_e32 v113, s24, v113
	v_fmac_f32_e32 v74, v12, v113
	v_cvt_f32_fp8_sdwa v113, v124 src0_sel:BYTE_0
	s_nop 0
	v_mul_f32_e32 v113, s24, v113
	v_fmac_f32_e32 v74, v13, v113
	v_cvt_f32_fp8_sdwa v113, v125 src0_sel:BYTE_0
	s_nop 0
	v_mul_f32_e32 v113, s24, v113
	v_fmac_f32_e32 v74, v14, v113
	v_cvt_f32_fp8_sdwa v113, v126 src0_sel:BYTE_0
	s_nop 0
	v_mul_f32_e32 v113, s24, v113
	v_fmac_f32_e32 v74, v15, v113
	v_fmac_f32_e32 v74, v16, v114
	;; [unrolled: 1-line block ×9, first 2 shown]
	scratch_load_dword v0, off, off offset:4 ; 4-byte Folded Reload
	v_fmac_f32_e32 v74, v24, v79
	v_fmac_f32_e32 v74, v25, v80
	;; [unrolled: 1-line block ×12, first 2 shown]
	scratch_load_dword v5, off, off offset:8 ; 4-byte Folded Reload
	scratch_load_dword v66, off, off offset:12 ; 4-byte Folded Reload
	;; [unrolled: 1-line block ×4, first 2 shown]
	v_fmac_f32_e32 v74, v36, v86
	scratch_load_dword v4, off, off         ; 4-byte Folded Reload
	v_fmac_f32_e32 v74, v37, v88
	v_fmac_f32_e32 v74, v38, v112
	;; [unrolled: 1-line block ×12, first 2 shown]
	v_mul_f32_e32 v1, s24, v103
	v_fmac_f32_e32 v74, v49, v101
	v_mul_f32_e32 v2, s24, v104
	v_fmac_f32_e32 v74, v50, v1
	;; [unrolled: 2-line block ×3, first 2 shown]
	v_fmac_f32_e32 v74, v52, v3
	v_cvt_f32_fp8_sdwa v67, v87 src0_sel:BYTE_0
	v_cvt_f32_fp8_sdwa v70, v89 src0_sel:BYTE_0
	;; [unrolled: 1-line block ×4, first 2 shown]
	v_mul_f32_e32 v67, s24, v67
	v_cvt_f32_fp8_sdwa v77, v95 src0_sel:BYTE_0
	v_mul_f32_e32 v70, s24, v70
	v_cvt_f32_fp8_sdwa v78, v96 src0_sel:BYTE_0
	v_mul_f32_e32 v71, s24, v71
	v_mul_f32_e32 v76, s24, v76
	;; [unrolled: 1-line block ×4, first 2 shown]
	s_waitcnt vmcnt(5)
	v_cvt_f32_fp8_sdwa v0, v0 src0_sel:BYTE_0
	s_nop 0
	v_mul_f32_e32 v0, s24, v0
	v_fmac_f32_e32 v74, v53, v0
	scratch_load_dword v0, off, off offset:44 ; 4-byte Folded Reload
	s_waitcnt vmcnt(5)
	v_cvt_f32_fp8_sdwa v5, v5 src0_sel:BYTE_0
	s_waitcnt vmcnt(4)
	v_cvt_f32_fp8_sdwa v66, v66 src0_sel:BYTE_0
	;; [unrolled: 2-line block ×4, first 2 shown]
	v_mul_f32_e32 v5, s24, v5
	s_waitcnt vmcnt(1)
	v_cvt_f32_fp8_sdwa v4, v4 src0_sel:BYTE_0
	v_mul_f32_e32 v66, s24, v66
	v_mul_f32_e32 v68, s24, v68
	;; [unrolled: 1-line block ×4, first 2 shown]
	v_fmac_f32_e32 v74, v54, v4
	v_fmac_f32_e32 v74, v55, v5
	;; [unrolled: 1-line block ×12, first 2 shown]
	s_waitcnt vmcnt(0)
	ds_bpermute_b32 v0, v0, v74
	s_waitcnt lgkmcnt(0)
	v_add_f32_e32 v74, v74, v0
	scratch_load_dword v0, off, off offset:48 ; 4-byte Folded Reload
	s_waitcnt vmcnt(0)
	ds_bpermute_b32 v75, v0, v74
	s_and_saveexec_b64 s[18:19], vcc
	s_cbranch_execz .LBB226_10
; %bb.12:                               ;   in Loop: Header=BB226_11 Depth=1
	scratch_load_dword v3, off, off offset:32 ; 4-byte Folded Reload
	v_add_u32_e32 v0, s25, v82
	v_cvt_f32_i32_e32 v0, v0
	s_waitcnt lgkmcnt(0)
	v_add_f32_e32 v1, v74, v75
	v_cmp_gt_i32_e64 s[0:1], s37, v82
	v_mul_f32_e32 v0, s3, v0
	v_cndmask_b32_e64 v0, 0, v0, s[6:7]
	v_fmac_f32_e32 v0, s11, v1
	v_cndmask_b32_e64 v1, 0, v0, s[0:1]
	ds_write_b32 v83, v1
	s_waitcnt vmcnt(0)
	v_max_f32_e32 v2, v3, v3
	v_max_f32_e32 v0, v2, v0
	v_cndmask_b32_e64 v3, v3, v0, s[0:1]
	scratch_store_dword off, v3, off offset:32 ; 4-byte Folded Spill
	s_branch .LBB226_10
.LBB226_13:
	s_or_b64 exec, exec, s[12:13]
	scratch_load_dword v98, off, off offset:52 ; 4-byte Folded Reload
	scratch_load_dwordx2 v[108:109], off, off offset:56 ; 8-byte Folded Reload
	scratch_load_dword v46, off, off offset:64 ; 4-byte Folded Reload
	scratch_load_dword v13, off, off offset:68 ; 4-byte Folded Reload
	;; [unrolled: 1-line block ×4, first 2 shown]
	s_waitcnt vmcnt(5)
	v_lshrrev_b32_e32 v68, 2, v98
	v_lshlrev_b32_e32 v66, 2, v68
.LBB226_14:
	s_or_b64 exec, exec, s[40:41]
	s_waitcnt vmcnt(2)
	v_xor_b32_e32 v2, 32, v13
	s_waitcnt vmcnt(1)
	v_cmp_lt_i32_e32 vcc, v2, v14
	v_xor_b32_e32 v5, 16, v13
	s_waitcnt vmcnt(0)
	v_max_f32_e32 v4, v0, v0
	v_cndmask_b32_e32 v2, v13, v2, vcc
	v_lshlrev_b32_e32 v2, 2, v2
	ds_bpermute_b32 v3, v2, v0
	v_cmp_lt_i32_e32 vcc, v5, v14
	v_xor_b32_e32 v6, 8, v13
	v_and_b32_e32 v67, 63, v98
	s_waitcnt lgkmcnt(0)
	v_max_f32_e32 v3, v3, v3
	v_max_f32_e32 v4, v4, v3
	v_cndmask_b32_e32 v3, v13, v5, vcc
	v_lshlrev_b32_e32 v3, 2, v3
	ds_bpermute_b32 v5, v3, v4
	v_cmp_lt_i32_e32 vcc, v6, v14
	s_waitcnt lgkmcnt(0)
	v_max_f32_e32 v5, v5, v5
	v_max_f32_e32 v4, v4, v5
	v_cndmask_b32_e32 v5, v13, v6, vcc
	v_lshlrev_b32_e32 v7, 2, v5
	ds_bpermute_b32 v5, v7, v4
	v_xor_b32_e32 v6, 4, v13
	v_cmp_lt_i32_e32 vcc, v6, v14
	s_waitcnt lgkmcnt(0)
	v_max_f32_e32 v5, v5, v5
	v_max_f32_e32 v4, v4, v5
	v_cndmask_b32_e32 v5, v13, v6, vcc
	v_lshlrev_b32_e32 v8, 2, v5
	ds_bpermute_b32 v6, v8, v4
	v_cmp_eq_u32_e32 vcc, 0, v67
	v_lshlrev_b32_e32 v5, 2, v46
	s_and_saveexec_b64 s[0:1], vcc
	s_cbranch_execz .LBB226_16
; %bb.15:
	s_waitcnt lgkmcnt(0)
	v_max_f32_e32 v0, v6, v6
	v_max_f32_e32 v1, v4, v4
	;; [unrolled: 1-line block ×3, first 2 shown]
	ds_write_b32 v5, v0 offset:1024
.LBB226_16:
	s_or_b64 exec, exec, s[0:1]
	v_cmp_gt_u32_e64 s[0:1], 2, v67
	v_mov_b32_e32 v4, 0xff7fffff
	s_waitcnt lgkmcnt(0)
	v_lshlrev_b32_e32 v6, 2, v67
	s_barrier
	s_and_saveexec_b64 s[6:7], s[0:1]
	s_cbranch_execz .LBB226_18
; %bb.17:
	ds_read_b32 v4, v6 offset:1024
.LBB226_18:
	s_or_b64 exec, exec, s[6:7]
	v_xor_b32_e32 v0, 1, v13
	v_cmp_lt_i32_e64 s[6:7], v0, v14
	s_waitcnt lgkmcnt(0)
	v_max_f32_e32 v1, v4, v4
	s_sub_i32 s3, s16, s10
	v_cndmask_b32_e64 v0, v13, v0, s[6:7]
	v_lshlrev_b32_e32 v99, 2, v0
	ds_bpermute_b32 v0, v99, v4
	s_lshl_b32 s3, s3, 4
	s_add_i32 s3, s3, s42
	s_min_i32 s24, s3, s37
	s_sub_i32 s3, s24, s42
	s_waitcnt lgkmcnt(0)
	v_max_f32_e32 v0, v0, v0
	v_max_f32_e32 v0, v1, v0
	v_lshlrev_b32_e32 v1, 2, v13
	v_and_b32_e32 v9, 0xffffff00, v1
	ds_bpermute_b32 v4, v9, v0
	v_cmp_gt_i32_e64 s[6:7], s3, v98
	v_mov_b32_e32 v10, 0
	s_and_saveexec_b64 s[12:13], s[6:7]
	s_cbranch_execz .LBB226_22
; %bb.19:
	v_mov_b32_e32 v0, 0x410
	v_lshl_add_u32 v11, v98, 2, v0
	s_mov_b64 s[18:19], 0
	v_mov_b32_e32 v10, 0
	v_mov_b32_e32 v12, v98
.LBB226_20:                             ; =>This Inner Loop Header: Depth=1
	ds_read_b32 v0, v11
	v_add_u32_e32 v12, 0x80, v12
	v_cmp_le_i32_e64 s[10:11], s3, v12
	s_or_b64 s[18:19], s[10:11], s[18:19]
	s_waitcnt lgkmcnt(0)
	v_sub_f32_e32 v0, v0, v4
	v_mul_f32_e32 v0, 0x3fb8aa3b, v0
	v_exp_f32_e32 v0, v0
	ds_write_b32 v11, v0
	v_add_f32_e32 v10, v10, v0
	v_add_u32_e32 v11, 0x200, v11
	s_andn2_b64 exec, exec, s[18:19]
	s_cbranch_execnz .LBB226_20
; %bb.21:
	s_or_b64 exec, exec, s[18:19]
.LBB226_22:
	s_or_b64 exec, exec, s[12:13]
	ds_bpermute_b32 v0, v2, v10
	v_xor_b32_e32 v2, 2, v13
	v_cmp_lt_i32_e64 s[10:11], v2, v14
	s_waitcnt lgkmcnt(0)
	v_add_f32_e32 v0, v10, v0
	ds_bpermute_b32 v1, v3, v0
	v_cndmask_b32_e64 v2, v13, v2, s[10:11]
	v_lshlrev_b32_e32 v100, 2, v2
	s_waitcnt lgkmcnt(0)
	v_add_f32_e32 v0, v0, v1
	ds_bpermute_b32 v1, v7, v0
	s_waitcnt lgkmcnt(0)
	v_add_f32_e32 v0, v0, v1
	ds_bpermute_b32 v1, v8, v0
	s_waitcnt lgkmcnt(0)
	v_add_f32_e32 v0, v0, v1
	ds_bpermute_b32 v1, v100, v0
	s_waitcnt lgkmcnt(0)
	v_add_f32_e32 v0, v0, v1
	ds_bpermute_b32 v1, v99, v0
	s_waitcnt lgkmcnt(0)
	v_add_f32_e32 v2, v0, v1
	s_and_saveexec_b64 s[10:11], vcc
	s_cbranch_execz .LBB226_24
; %bb.23:
	ds_write_b32 v5, v2 offset:1032
.LBB226_24:
	s_or_b64 exec, exec, s[10:11]
	s_waitcnt lgkmcnt(0)
	s_barrier
	s_and_saveexec_b64 s[10:11], s[0:1]
	s_cbranch_execz .LBB226_26
; %bb.25:
	ds_read_b32 v2, v6 offset:1032
.LBB226_26:
	s_or_b64 exec, exec, s[10:11]
	s_waitcnt lgkmcnt(0)
	ds_bpermute_b32 v0, v99, v2
	s_waitcnt lgkmcnt(0)
	v_add_f32_e32 v0, v2, v0
	ds_bpermute_b32 v5, v9, v0
	s_and_saveexec_b64 s[0:1], s[6:7]
	s_cbranch_execz .LBB226_39
; %bb.27:
	s_waitcnt lgkmcnt(0)
	v_add_f32_e32 v0, 0x358637bd, v5
	v_div_scale_f32 v1, s[6:7], v0, v0, 1.0
	v_rcp_f32_e32 v2, v1
	v_div_scale_f32 v3, vcc, 1.0, v0, 1.0
	s_movk_i32 s6, 0x7f
	v_fma_f32 v6, -v1, v2, 1.0
	v_fmac_f32_e32 v2, v6, v2
	v_mul_f32_e32 v6, v3, v2
	v_fma_f32 v7, -v1, v6, v3
	v_fmac_f32_e32 v6, v7, v2
	v_fma_f32 v1, -v1, v6, v3
	v_div_fmas_f32 v1, v1, v2, v6
	v_div_fixup_f32 v2, v1, v0, 1.0
	v_xad_u32 v0, v98, -1, s24
	v_subrev_u32_e32 v6, s42, v0
	v_cmp_lt_u32_e32 vcc, s6, v6
	s_mov_b64 s[10:11], -1
	v_mov_b32_e32 v3, v98
	s_and_saveexec_b64 s[6:7], vcc
	s_cbranch_execz .LBB226_36
; %bb.28:
	v_lshrrev_b32_e32 v6, 7, v6
	v_add_u32_e32 v0, -1, v6
	v_lshrrev_b32_e32 v1, 1, v0
	v_mov_b32_e32 v3, v2
	v_add_u32_e32 v7, 1, v1
	v_cmp_lt_u32_e32 vcc, 13, v0
	v_mov_b32_e32 v10, 0
	s_and_saveexec_b64 s[10:11], vcc
	s_cbranch_execz .LBB226_32
; %bb.29:
	v_mov_b32_e32 v0, 0x410
	v_and_b32_e32 v8, -8, v7
	v_lshl_add_u32 v9, v98, 2, v0
	s_mov_b32 s18, 0
	s_mov_b64 s[12:13], 0
.LBB226_30:                             ; =>This Inner Loop Header: Depth=1
	ds_read2st64_b32 v[10:11], v9 offset1:2
	ds_read2st64_b32 v[12:13], v9 offset0:4 offset1:6
	ds_read2st64_b32 v[14:15], v9 offset0:8 offset1:10
	;; [unrolled: 1-line block ×3, first 2 shown]
	v_add_u32_e32 v8, -8, v8
	s_waitcnt lgkmcnt(3)
	v_pk_mul_f32 v[10:11], v[2:3], v[10:11]
	s_waitcnt lgkmcnt(2)
	v_pk_mul_f32 v[12:13], v[2:3], v[12:13]
	ds_write2st64_b32 v9, v10, v11 offset1:2
	ds_write2st64_b32 v9, v12, v13 offset0:4 offset1:6
	ds_read2st64_b32 v[12:13], v9 offset0:16 offset1:18
	s_waitcnt lgkmcnt(4)
	v_pk_mul_f32 v[10:11], v[2:3], v[14:15]
	ds_write2st64_b32 v9, v10, v11 offset0:8 offset1:10
	s_waitcnt lgkmcnt(4)
	v_pk_mul_f32 v[10:11], v[2:3], v[16:17]
	ds_write2st64_b32 v9, v10, v11 offset0:12 offset1:14
	ds_read2st64_b32 v[10:11], v9 offset0:20 offset1:22
	s_waitcnt lgkmcnt(3)
	v_pk_mul_f32 v[12:13], v[2:3], v[12:13]
	ds_read2st64_b32 v[14:15], v9 offset0:24 offset1:26
	ds_write2st64_b32 v9, v12, v13 offset0:16 offset1:18
	ds_read2st64_b32 v[12:13], v9 offset0:28 offset1:30
	s_waitcnt lgkmcnt(3)
	v_pk_mul_f32 v[10:11], v[2:3], v[10:11]
	ds_write2st64_b32 v9, v10, v11 offset0:20 offset1:22
	s_waitcnt lgkmcnt(3)
	v_pk_mul_f32 v[10:11], v[2:3], v[14:15]
	ds_write2st64_b32 v9, v10, v11 offset0:24 offset1:26
	s_waitcnt lgkmcnt(2)
	v_pk_mul_f32 v[10:11], v[2:3], v[12:13]
	s_add_i32 s18, s18, 16
	v_cmp_eq_u32_e32 vcc, 0, v8
	ds_write2st64_b32 v9, v10, v11 offset0:28 offset1:30
	v_add_u32_e32 v9, 0x2000, v9
	s_or_b64 s[12:13], vcc, s[12:13]
	v_mov_b32_e32 v10, s18
	s_andn2_b64 exec, exec, s[12:13]
	s_cbranch_execnz .LBB226_30
; %bb.31:
	s_or_b64 exec, exec, s[12:13]
.LBB226_32:
	s_or_b64 exec, exec, s[10:11]
	v_and_b32_e32 v7, 7, v7
	v_cmp_ne_u32_e32 vcc, 0, v7
	s_and_saveexec_b64 s[10:11], vcc
	s_cbranch_execz .LBB226_35
; %bb.33:
	v_lshlrev_b32_e32 v0, 9, v10
	v_lshlrev_b32_e32 v1, 2, v98
	s_movk_i32 s12, 0x410
	v_add3_u32 v8, v0, v1, s12
	s_mov_b64 s[12:13], 0
.LBB226_34:                             ; =>This Inner Loop Header: Depth=1
	ds_read2st64_b32 v[10:11], v8 offset1:2
	v_add_u32_e32 v7, -1, v7
	v_cmp_eq_u32_e32 vcc, 0, v7
	s_or_b64 s[12:13], vcc, s[12:13]
	s_waitcnt lgkmcnt(0)
	v_pk_mul_f32 v[10:11], v[2:3], v[10:11]
	ds_write2st64_b32 v8, v10, v11 offset1:2
	v_add_u32_e32 v8, 0x400, v8
	s_andn2_b64 exec, exec, s[12:13]
	s_cbranch_execnz .LBB226_34
.LBB226_35:
	s_or_b64 exec, exec, s[10:11]
	v_add_u32_e32 v0, 1, v6
	v_and_b32_e32 v1, 0x3fffffe, v0
	v_cmp_ne_u32_e32 vcc, v0, v1
	v_lshl_add_u32 v3, v1, 7, v98
	s_orn2_b64 s[10:11], vcc, exec
.LBB226_36:
	s_or_b64 exec, exec, s[6:7]
	s_and_b64 exec, exec, s[10:11]
	s_cbranch_execz .LBB226_39
; %bb.37:
	v_mov_b32_e32 v0, 0x410
	v_lshl_add_u32 v6, v3, 2, v0
	s_mov_b64 s[6:7], 0
.LBB226_38:                             ; =>This Inner Loop Header: Depth=1
	ds_read_b32 v0, v6
	v_add_u32_e32 v3, 0x80, v3
	v_cmp_le_i32_e32 vcc, s3, v3
	s_or_b64 s[6:7], vcc, s[6:7]
	s_waitcnt lgkmcnt(0)
	v_mul_f32_e32 v0, v2, v0
	ds_write_b32 v6, v0
	v_add_u32_e32 v6, 0x200, v6
	s_andn2_b64 exec, exec, s[6:7]
	s_cbranch_execnz .LBB226_38
.LBB226_39:
	s_or_b64 exec, exec, s[0:1]
	s_mul_i32 s0, s33, s36
	v_cmp_eq_u32_e32 vcc, 0, v98
	s_mul_i32 s6, s0, s5
	s_waitcnt lgkmcnt(0)
	s_barrier
	s_and_saveexec_b64 s[0:1], vcc
	s_cbranch_execz .LBB226_41
; %bb.40:
	s_ashr_i32 s7, s6, 31
	s_lshl_b64 s[10:11], s[6:7], 2
	s_add_u32 s5, s22, s10
	s_mul_i32 s2, s33, s2
	s_addc_u32 s7, s23, s11
	s_ashr_i32 s3, s2, 31
	s_lshl_b64 s[2:3], s[2:3], 2
	s_add_u32 s18, s5, s2
	s_addc_u32 s7, s7, s3
	s_ashr_i32 s5, s4, 31
	s_lshl_b64 s[12:13], s[4:5], 2
	s_add_u32 s18, s18, s12
	s_addc_u32 s19, s7, s13
	s_add_u32 s5, s20, s10
	s_addc_u32 s7, s21, s11
	;; [unrolled: 2-line block ×3, first 2 shown]
	s_add_u32 s2, s2, s12
	v_mov_b32_e32 v0, 0
	s_addc_u32 s3, s3, s13
	global_store_dword v0, v4, s[18:19]
	global_store_dword v0, v5, s[2:3]
.LBB226_41:
	s_or_b64 exec, exec, s[0:1]
	v_mov_b32_e32 v20, 0
	v_mov_b32_e32 v21, 0
	;; [unrolled: 1-line block ×16, first 2 shown]
	s_and_saveexec_b64 s[2:3], s[8:9]
	s_cbranch_execz .LBB226_77
; %bb.42:
	v_lshlrev_b32_e32 v0, 2, v98
	v_and_b32_e32 v1, 12, v0
	v_and_b32_e32 v22, 0xfc, v0
	v_or_b32_e32 v24, 0xf00, v0
	v_lshl_add_u32 v0, v46, 4, s42
	v_add3_u32 v101, v0, v1, 3
	scratch_load_dwordx2 v[0:1], off, off offset:24 ; 8-byte Folded Reload
	s_load_dword s8, s[26:27], 0x0
	s_ashr_i32 s1, s43, 31
	s_add_u32 s0, s14, s43
	s_addc_u32 s1, s15, s1
	s_add_i32 s31, s31, -1
	s_lshl_b64 s[10:11], s[38:39], 2
	s_add_u32 s10, s34, s10
	v_mov_b32_e32 v23, 0
	s_addc_u32 s11, s35, s11
	s_mov_b32 s5, s17
	s_waitcnt lgkmcnt(0)
	s_mov_b32 s9, s8
	v_mov_b32_e32 v25, v23
	v_lshl_add_u64 v[26:27], v[108:109], 2, s[10:11]
	s_mov_b64 s[10:11], 0
	v_mov_b64_e32 v[28:29], s[0:1]
	v_mov_b32_e32 v7, v23
	v_mov_b32_e32 v6, v23
	;; [unrolled: 1-line block ×16, first 2 shown]
	s_waitcnt vmcnt(0)
	v_lshlrev_b32_e32 v0, 4, v0
	v_lshl_or_b32 v0, v46, 6, v0
	v_add_u32_e32 v102, 0x410, v0
	s_branch .LBB226_44
.LBB226_43:                             ;   in Loop: Header=BB226_44 Depth=1
	s_or_b64 exec, exec, s[0:1]
	s_waitcnt lgkmcnt(0)
	v_mul_f32_e32 v0, v3, v97
	v_fmac_f32_e32 v0, v2, v96
	v_fmac_f32_e32 v0, v4, v94
	v_fmac_f32_e32 v0, v5, v95
	v_add_f32_e32 v6, v6, v0
	v_mul_f32_e32 v0, v3, v93
	v_fmac_f32_e32 v0, v2, v92
	v_fmac_f32_e32 v0, v4, v90
	v_fmac_f32_e32 v0, v5, v91
	v_add_f32_e32 v9, v9, v0
	v_mul_f32_e32 v0, v3, v89
	v_fmac_f32_e32 v0, v2, v88
	v_fmac_f32_e32 v0, v4, v86
	v_fmac_f32_e32 v0, v5, v87
	v_add_f32_e32 v8, v8, v0
	v_mul_f32_e32 v0, v3, v85
	v_fmac_f32_e32 v0, v2, v84
	v_fmac_f32_e32 v0, v4, v82
	v_fmac_f32_e32 v0, v5, v83
	v_add_f32_e32 v11, v11, v0
	v_mul_f32_e32 v0, v3, v81
	v_fmac_f32_e32 v0, v2, v80
	v_fmac_f32_e32 v0, v4, v78
	v_fmac_f32_e32 v0, v5, v79
	v_add_f32_e32 v10, v10, v0
	v_mul_f32_e32 v0, v3, v77
	v_fmac_f32_e32 v0, v2, v76
	v_fmac_f32_e32 v0, v4, v74
	v_fmac_f32_e32 v0, v5, v75
	v_add_f32_e32 v13, v13, v0
	v_mul_f32_e32 v0, v3, v73
	v_fmac_f32_e32 v0, v2, v72
	v_fmac_f32_e32 v0, v4, v70
	v_fmac_f32_e32 v0, v5, v71
	v_add_f32_e32 v12, v12, v0
	v_mul_f32_e32 v0, v3, v65
	v_fmac_f32_e32 v0, v2, v64
	v_fmac_f32_e32 v0, v4, v62
	v_fmac_f32_e32 v0, v5, v63
	v_add_f32_e32 v15, v15, v0
	v_mul_f32_e32 v0, v3, v61
	v_fmac_f32_e32 v0, v2, v60
	v_fmac_f32_e32 v0, v4, v58
	v_fmac_f32_e32 v0, v5, v59
	v_add_f32_e32 v14, v14, v0
	v_mul_f32_e32 v0, v3, v57
	v_fmac_f32_e32 v0, v2, v56
	v_fmac_f32_e32 v0, v4, v54
	v_fmac_f32_e32 v0, v5, v55
	v_add_f32_e32 v17, v17, v0
	v_mul_f32_e32 v0, v3, v53
	v_fmac_f32_e32 v0, v2, v52
	v_fmac_f32_e32 v0, v4, v50
	v_fmac_f32_e32 v0, v5, v51
	v_add_f32_e32 v16, v16, v0
	v_mul_f32_e32 v0, v3, v47
	v_fmac_f32_e32 v0, v2, v46
	v_fmac_f32_e32 v0, v4, v44
	v_fmac_f32_e32 v0, v5, v45
	v_add_f32_e32 v19, v19, v0
	v_mul_f32_e32 v0, v3, v41
	v_fmac_f32_e32 v0, v2, v40
	v_fmac_f32_e32 v0, v4, v38
	v_fmac_f32_e32 v0, v5, v39
	v_add_f32_e32 v18, v18, v0
	v_mul_f32_e32 v0, v3, v37
	v_fmac_f32_e32 v0, v2, v36
	v_fmac_f32_e32 v0, v4, v34
	v_fmac_f32_e32 v0, v5, v35
	v_add_f32_e32 v21, v21, v0
	v_mul_f32_e32 v0, v3, v33
	v_fmac_f32_e32 v0, v2, v32
	v_fmac_f32_e32 v0, v4, v30
	v_fmac_f32_e32 v0, v5, v31
	v_add_f32_e32 v20, v20, v0
	v_mul_f32_e32 v0, v3, v49
	v_fmac_f32_e32 v0, v2, v48
	v_fmac_f32_e32 v0, v4, v42
	v_add_u32_e32 v108, 2, v108
	v_fmac_f32_e32 v0, v5, v43
	v_cmp_le_i32_e32 vcc, s16, v108
	v_add_f32_e32 v7, v7, v0
	v_add_u32_e32 v101, 32, v101
	v_add_u32_e32 v102, 0x80, v102
	s_or_b64 s[10:11], vcc, s[10:11]
	v_lshl_add_u64 v[26:27], v[26:27], 0, 8
	s_andn2_b64 exec, exec, s[10:11]
	s_cbranch_execz .LBB226_76
.LBB226_44:                             ; =>This Inner Loop Header: Depth=1
	global_load_dword v0, v[26:27], off
	ds_read_b128 v[2:5], v102
	v_add_u32_e32 v69, -3, v101
	v_cmp_eq_u32_e32 vcc, s31, v108
	v_add_u32_e32 v103, -2, v101
	v_add_u32_e32 v104, -1, v101
	s_waitcnt vmcnt(0)
	v_mad_i64_i32 v[42:43], s[0:1], v0, s5, v[28:29]
	v_lshl_add_u64 v[48:49], v[42:43], 0, v[22:23]
	global_load_dword v0, v[48:49], off
	s_waitcnt vmcnt(0)
	v_and_b32_e32 v1, 0xffff, v0
	v_lshrrev_b32_e32 v0, 16, v0
	v_cvt_pk_f32_fp8_e32 v[30:31], v1
	v_cvt_pk_f32_fp8_e32 v[34:35], v0
	v_pk_mul_f32 v[32:33], s[8:9], v[30:31]
	v_pk_mul_f32 v[30:31], s[8:9], v[34:35]
	s_and_saveexec_b64 s[12:13], vcc
; %bb.45:                               ;   in Loop: Header=BB226_44 Depth=1
	v_cmp_gt_i32_e64 s[0:1], s37, v69
	s_nop 1
	v_cndmask_b32_e64 v32, 0, v32, s[0:1]
	v_cmp_gt_i32_e64 s[0:1], s37, v103
	s_nop 1
	v_cndmask_b32_e64 v33, 0, v33, s[0:1]
	v_cmp_gt_i32_e64 s[0:1], s37, v104
	s_nop 1
	v_cndmask_b32_e64 v30, 0, v30, s[0:1]
	v_cmp_gt_i32_e64 s[0:1], s37, v101
	s_nop 1
	v_cndmask_b32_e64 v31, 0, v31, s[0:1]
; %bb.46:                               ;   in Loop: Header=BB226_44 Depth=1
	s_or_b64 exec, exec, s[12:13]
	global_load_dword v0, v[48:49], off offset:256
	s_waitcnt vmcnt(0)
	v_and_b32_e32 v1, 0xffff, v0
	v_lshrrev_b32_e32 v0, 16, v0
	v_cvt_pk_f32_fp8_e32 v[34:35], v1
	v_cvt_pk_f32_fp8_e32 v[38:39], v0
	v_pk_mul_f32 v[36:37], s[8:9], v[34:35]
	v_pk_mul_f32 v[34:35], s[8:9], v[38:39]
	s_and_saveexec_b64 s[12:13], vcc
; %bb.47:                               ;   in Loop: Header=BB226_44 Depth=1
	v_cmp_gt_i32_e64 s[0:1], s37, v69
	s_nop 1
	v_cndmask_b32_e64 v36, 0, v36, s[0:1]
	v_cmp_gt_i32_e64 s[0:1], s37, v103
	s_nop 1
	v_cndmask_b32_e64 v37, 0, v37, s[0:1]
	v_cmp_gt_i32_e64 s[0:1], s37, v104
	s_nop 1
	v_cndmask_b32_e64 v34, 0, v34, s[0:1]
	v_cmp_gt_i32_e64 s[0:1], s37, v101
	s_nop 1
	v_cndmask_b32_e64 v35, 0, v35, s[0:1]
; %bb.48:                               ;   in Loop: Header=BB226_44 Depth=1
	s_or_b64 exec, exec, s[12:13]
	global_load_dword v0, v[48:49], off offset:512
	;; [unrolled: 24-line block ×14, first 2 shown]
	s_waitcnt vmcnt(0)
	v_and_b32_e32 v1, 0xffff, v0
	v_lshrrev_b32_e32 v0, 16, v0
	v_cvt_pk_f32_fp8_e32 v[48:49], v1
	v_cvt_pk_f32_fp8_e32 v[94:95], v0
	v_pk_mul_f32 v[96:97], s[8:9], v[48:49]
	v_pk_mul_f32 v[94:95], s[8:9], v[94:95]
	s_and_saveexec_b64 s[12:13], vcc
; %bb.73:                               ;   in Loop: Header=BB226_44 Depth=1
	v_cmp_gt_i32_e64 s[0:1], s37, v69
	s_nop 1
	v_cndmask_b32_e64 v96, 0, v96, s[0:1]
	v_cmp_gt_i32_e64 s[0:1], s37, v103
	s_nop 1
	v_cndmask_b32_e64 v97, 0, v97, s[0:1]
	;; [unrolled: 3-line block ×4, first 2 shown]
; %bb.74:                               ;   in Loop: Header=BB226_44 Depth=1
	s_or_b64 exec, exec, s[12:13]
	v_lshl_add_u64 v[42:43], v[42:43], 0, v[24:25]
	global_load_dword v0, v[42:43], off
	s_waitcnt vmcnt(0)
	v_and_b32_e32 v1, 0xffff, v0
	v_lshrrev_b32_e32 v0, 16, v0
	v_cvt_pk_f32_fp8_e32 v[42:43], v1
	v_cvt_pk_f32_fp8_e32 v[106:107], v0
	v_pk_mul_f32 v[48:49], s[8:9], v[42:43]
	v_pk_mul_f32 v[42:43], s[8:9], v[106:107]
	s_and_saveexec_b64 s[0:1], vcc
	s_cbranch_execz .LBB226_43
; %bb.75:                               ;   in Loop: Header=BB226_44 Depth=1
	v_cmp_gt_i32_e32 vcc, s37, v69
	s_nop 1
	v_cndmask_b32_e32 v48, 0, v48, vcc
	v_cmp_gt_i32_e32 vcc, s37, v103
	s_nop 1
	v_cndmask_b32_e32 v49, 0, v49, vcc
	;; [unrolled: 3-line block ×4, first 2 shown]
	s_branch .LBB226_43
.LBB226_76:
	s_or_b64 exec, exec, s[10:11]
.LBB226_77:
	s_or_b64 exec, exec, s[2:3]
	ds_bpermute_b32 v4, v100, v18
	ds_bpermute_b32 v5, v100, v19
	;; [unrolled: 1-line block ×6, first 2 shown]
	s_waitcnt lgkmcnt(4)
	v_pk_add_f32 v[4:5], v[18:19], v[4:5]
	ds_bpermute_b32 v18, v99, v4
	ds_bpermute_b32 v19, v99, v5
	s_waitcnt lgkmcnt(4)
	v_pk_add_f32 v[2:3], v[20:21], v[2:3]
	ds_bpermute_b32 v20, v99, v2
	ds_bpermute_b32 v21, v99, v3
	s_waitcnt lgkmcnt(4)
	v_pk_add_f32 v[16:17], v[16:17], v[22:23]
	s_waitcnt lgkmcnt(2)
	v_pk_add_f32 v[4:5], v[4:5], v[18:19]
	ds_bpermute_b32 v18, v100, v12
	ds_bpermute_b32 v19, v100, v13
	;; [unrolled: 1-line block ×4, first 2 shown]
	s_waitcnt lgkmcnt(4)
	v_pk_add_f32 v[2:3], v[2:3], v[20:21]
	ds_bpermute_b32 v20, v99, v16
	s_waitcnt lgkmcnt(3)
	v_pk_add_f32 v[12:13], v[12:13], v[18:19]
	ds_bpermute_b32 v18, v100, v10
	ds_bpermute_b32 v19, v100, v11
	;; [unrolled: 1-line block ×6, first 2 shown]
	s_waitcnt lgkmcnt(4)
	v_pk_add_f32 v[10:11], v[10:11], v[18:19]
	ds_bpermute_b32 v27, v100, v7
	ds_bpermute_b32 v18, v99, v10
	;; [unrolled: 1-line block ×3, first 2 shown]
	v_pk_add_f32 v[14:15], v[14:15], v[22:23]
	s_waitcnt lgkmcnt(6)
	v_pk_add_f32 v[16:17], v[16:17], v[20:21]
	ds_bpermute_b32 v20, v99, v14
	ds_bpermute_b32 v21, v99, v15
	s_waitcnt lgkmcnt(6)
	v_pk_add_f32 v[8:9], v[8:9], v[24:25]
	ds_bpermute_b32 v22, v99, v12
	ds_bpermute_b32 v23, v99, v13
	;; [unrolled: 1-line block ×4, first 2 shown]
	s_waitcnt lgkmcnt(8)
	v_pk_add_f32 v[6:7], v[6:7], v[26:27]
	s_waitcnt lgkmcnt(6)
	v_pk_add_f32 v[10:11], v[10:11], v[18:19]
	ds_bpermute_b32 v18, v99, v6
	ds_bpermute_b32 v19, v99, v7
	s_waitcnt lgkmcnt(6)
	v_pk_add_f32 v[14:15], v[14:15], v[20:21]
	v_and_b32_e32 v20, 0x3c3, v98
	s_waitcnt lgkmcnt(4)
	v_pk_add_f32 v[12:13], v[12:13], v[22:23]
	s_waitcnt lgkmcnt(2)
	v_pk_add_f32 v[8:9], v[8:9], v[24:25]
	v_cmp_ne_u32_e32 vcc, 64, v20
	s_waitcnt lgkmcnt(0)
	s_barrier
	s_and_saveexec_b64 s[0:1], vcc
	s_xor_b64 s[0:1], exec, s[0:1]
; %bb.78:
                                        ; implicit-def: $vgpr67
; %bb.79:
	s_or_saveexec_b64 s[0:1], s[0:1]
	v_pk_add_f32 v[6:7], v[6:7], v[18:19]
	s_xor_b64 exec, exec, s[0:1]
	s_cbranch_execz .LBB226_81
; %bb.80:
	v_add_u32_e32 v0, 0x410, v67
	ds_write2_b32 v0, v2, v3 offset1:16
	ds_write2_b32 v0, v4, v5 offset0:32 offset1:48
	ds_write2_b32 v0, v16, v17 offset0:64 offset1:80
	;; [unrolled: 1-line block ×7, first 2 shown]
.LBB226_81:
	s_or_b64 exec, exec, s[0:1]
	v_cmp_gt_u32_e32 vcc, 64, v98
	s_waitcnt lgkmcnt(0)
	s_barrier
	s_and_saveexec_b64 s[0:1], vcc
	s_cbranch_execz .LBB226_100
; %bb.82:
	scratch_load_dwordx2 v[0:1], off, off offset:24 ; 8-byte Folded Reload
	s_waitcnt vmcnt(0)
	v_cmp_eq_u32_e32 vcc, 0, v0
	s_and_saveexec_b64 s[2:3], vcc
	s_cbranch_execnz .LBB226_103
; %bb.83:
	s_or_b64 exec, exec, s[2:3]
	s_and_saveexec_b64 s[2:3], vcc
	s_cbranch_execnz .LBB226_104
.LBB226_84:
	s_or_b64 exec, exec, s[2:3]
	s_and_saveexec_b64 s[2:3], vcc
	s_cbranch_execnz .LBB226_105
.LBB226_85:
	s_or_b64 exec, exec, s[2:3]
	s_and_saveexec_b64 s[2:3], vcc
	s_cbranch_execnz .LBB226_106
.LBB226_86:
	s_or_b64 exec, exec, s[2:3]
	s_and_saveexec_b64 s[2:3], vcc
	s_cbranch_execnz .LBB226_107
.LBB226_87:
	s_or_b64 exec, exec, s[2:3]
	s_and_saveexec_b64 s[2:3], vcc
	s_cbranch_execnz .LBB226_108
.LBB226_88:
	s_or_b64 exec, exec, s[2:3]
	s_and_saveexec_b64 s[2:3], vcc
	s_cbranch_execnz .LBB226_109
.LBB226_89:
	s_or_b64 exec, exec, s[2:3]
	s_and_saveexec_b64 s[2:3], vcc
	s_cbranch_execnz .LBB226_110
.LBB226_90:
	s_or_b64 exec, exec, s[2:3]
	s_and_saveexec_b64 s[2:3], vcc
	s_cbranch_execnz .LBB226_111
.LBB226_91:
	s_or_b64 exec, exec, s[2:3]
	s_and_saveexec_b64 s[2:3], vcc
	s_cbranch_execnz .LBB226_112
.LBB226_92:
	s_or_b64 exec, exec, s[2:3]
	s_and_saveexec_b64 s[2:3], vcc
	s_cbranch_execnz .LBB226_113
.LBB226_93:
	s_or_b64 exec, exec, s[2:3]
	s_and_saveexec_b64 s[2:3], vcc
	s_cbranch_execnz .LBB226_114
.LBB226_94:
	s_or_b64 exec, exec, s[2:3]
	s_and_saveexec_b64 s[2:3], vcc
	s_cbranch_execnz .LBB226_115
.LBB226_95:
	s_or_b64 exec, exec, s[2:3]
	s_and_saveexec_b64 s[2:3], vcc
	s_cbranch_execnz .LBB226_116
.LBB226_96:
	s_or_b64 exec, exec, s[2:3]
	s_and_saveexec_b64 s[2:3], vcc
	s_cbranch_execnz .LBB226_117
.LBB226_97:
	s_or_b64 exec, exec, s[2:3]
	s_and_saveexec_b64 s[2:3], vcc
	s_cbranch_execz .LBB226_99
.LBB226_98:
	v_mov_b32_e32 v0, 0x410
	v_lshl_add_u32 v0, v68, 2, v0
	ds_read_b32 v0, v0 offset:960
	s_waitcnt lgkmcnt(0)
	v_add_f32_e32 v7, v7, v0
.LBB226_99:
	s_or_b64 exec, exec, s[2:3]
.LBB226_100:
	s_or_b64 exec, exec, s[0:1]
	v_cmp_eq_u32_e32 vcc, 0, v20
	s_barrier
	s_and_saveexec_b64 s[0:1], vcc
	s_cbranch_execz .LBB226_102
; %bb.101:
	s_lshl_b32 s0, s6, 8
	s_ashr_i32 s1, s0, 31
	s_lshl_b64 s[0:1], s[0:1], 2
	s_add_u32 s2, s28, s0
	s_mul_i32 s0, s33, s30
	s_addc_u32 s3, s29, s1
	s_ashr_i32 s1, s0, 31
	s_lshl_b64 s[0:1], s[0:1], 2
	s_add_u32 s2, s2, s0
	s_addc_u32 s3, s3, s1
	s_lshl_b32 s0, s4, 8
	s_ashr_i32 s1, s0, 31
	s_lshl_b64 s[0:1], s[0:1], 2
	s_add_u32 s0, s2, s0
	s_addc_u32 s1, s3, s1
	global_store_dword v66, v2, s[0:1]
	global_store_dword v66, v3, s[0:1] offset:64
	global_store_dword v66, v4, s[0:1] offset:128
	;; [unrolled: 1-line block ×15, first 2 shown]
.LBB226_102:
	s_endpgm
.LBB226_103:
	v_mov_b32_e32 v0, 0x410
	v_lshl_add_u32 v0, v68, 2, v0
	ds_read_b32 v0, v0
	s_waitcnt lgkmcnt(0)
	v_add_f32_e32 v2, v2, v0
	s_or_b64 exec, exec, s[2:3]
	s_and_saveexec_b64 s[2:3], vcc
	s_cbranch_execz .LBB226_84
.LBB226_104:
	v_mov_b32_e32 v0, 0x410
	v_lshl_add_u32 v0, v68, 2, v0
	ds_read_b32 v0, v0 offset:64
	s_waitcnt lgkmcnt(0)
	v_add_f32_e32 v3, v3, v0
	s_or_b64 exec, exec, s[2:3]
	s_and_saveexec_b64 s[2:3], vcc
	s_cbranch_execz .LBB226_85
.LBB226_105:
	v_mov_b32_e32 v0, 0x410
	v_lshl_add_u32 v0, v68, 2, v0
	ds_read_b32 v0, v0 offset:128
	s_waitcnt lgkmcnt(0)
	v_add_f32_e32 v4, v4, v0
	s_or_b64 exec, exec, s[2:3]
	s_and_saveexec_b64 s[2:3], vcc
	s_cbranch_execz .LBB226_86
.LBB226_106:
	v_mov_b32_e32 v0, 0x410
	v_lshl_add_u32 v0, v68, 2, v0
	ds_read_b32 v0, v0 offset:192
	s_waitcnt lgkmcnt(0)
	v_add_f32_e32 v5, v5, v0
	s_or_b64 exec, exec, s[2:3]
	s_and_saveexec_b64 s[2:3], vcc
	s_cbranch_execz .LBB226_87
.LBB226_107:
	v_mov_b32_e32 v0, 0x410
	v_lshl_add_u32 v0, v68, 2, v0
	ds_read_b32 v0, v0 offset:256
	s_waitcnt lgkmcnt(0)
	v_add_f32_e32 v16, v16, v0
	s_or_b64 exec, exec, s[2:3]
	s_and_saveexec_b64 s[2:3], vcc
	s_cbranch_execz .LBB226_88
.LBB226_108:
	v_mov_b32_e32 v0, 0x410
	v_lshl_add_u32 v0, v68, 2, v0
	ds_read_b32 v0, v0 offset:320
	s_waitcnt lgkmcnt(0)
	v_add_f32_e32 v17, v17, v0
	s_or_b64 exec, exec, s[2:3]
	s_and_saveexec_b64 s[2:3], vcc
	s_cbranch_execz .LBB226_89
.LBB226_109:
	v_mov_b32_e32 v0, 0x410
	v_lshl_add_u32 v0, v68, 2, v0
	ds_read_b32 v0, v0 offset:384
	s_waitcnt lgkmcnt(0)
	v_add_f32_e32 v14, v14, v0
	s_or_b64 exec, exec, s[2:3]
	s_and_saveexec_b64 s[2:3], vcc
	s_cbranch_execz .LBB226_90
.LBB226_110:
	v_mov_b32_e32 v0, 0x410
	v_lshl_add_u32 v0, v68, 2, v0
	ds_read_b32 v0, v0 offset:448
	s_waitcnt lgkmcnt(0)
	v_add_f32_e32 v15, v15, v0
	s_or_b64 exec, exec, s[2:3]
	s_and_saveexec_b64 s[2:3], vcc
	s_cbranch_execz .LBB226_91
.LBB226_111:
	v_mov_b32_e32 v0, 0x410
	v_lshl_add_u32 v0, v68, 2, v0
	ds_read_b32 v0, v0 offset:512
	s_waitcnt lgkmcnt(0)
	v_add_f32_e32 v12, v12, v0
	s_or_b64 exec, exec, s[2:3]
	s_and_saveexec_b64 s[2:3], vcc
	s_cbranch_execz .LBB226_92
.LBB226_112:
	v_mov_b32_e32 v0, 0x410
	v_lshl_add_u32 v0, v68, 2, v0
	ds_read_b32 v0, v0 offset:576
	s_waitcnt lgkmcnt(0)
	v_add_f32_e32 v13, v13, v0
	s_or_b64 exec, exec, s[2:3]
	s_and_saveexec_b64 s[2:3], vcc
	s_cbranch_execz .LBB226_93
.LBB226_113:
	v_mov_b32_e32 v0, 0x410
	v_lshl_add_u32 v0, v68, 2, v0
	ds_read_b32 v0, v0 offset:640
	s_waitcnt lgkmcnt(0)
	v_add_f32_e32 v10, v10, v0
	s_or_b64 exec, exec, s[2:3]
	s_and_saveexec_b64 s[2:3], vcc
	s_cbranch_execz .LBB226_94
.LBB226_114:
	v_mov_b32_e32 v0, 0x410
	v_lshl_add_u32 v0, v68, 2, v0
	ds_read_b32 v0, v0 offset:704
	s_waitcnt lgkmcnt(0)
	v_add_f32_e32 v11, v11, v0
	s_or_b64 exec, exec, s[2:3]
	s_and_saveexec_b64 s[2:3], vcc
	s_cbranch_execz .LBB226_95
.LBB226_115:
	v_mov_b32_e32 v0, 0x410
	v_lshl_add_u32 v0, v68, 2, v0
	ds_read_b32 v0, v0 offset:768
	s_waitcnt lgkmcnt(0)
	v_add_f32_e32 v8, v8, v0
	s_or_b64 exec, exec, s[2:3]
	s_and_saveexec_b64 s[2:3], vcc
	s_cbranch_execz .LBB226_96
.LBB226_116:
	v_mov_b32_e32 v0, 0x410
	v_lshl_add_u32 v0, v68, 2, v0
	ds_read_b32 v0, v0 offset:832
	s_waitcnt lgkmcnt(0)
	v_add_f32_e32 v9, v9, v0
	s_or_b64 exec, exec, s[2:3]
	s_and_saveexec_b64 s[2:3], vcc
	s_cbranch_execz .LBB226_97
.LBB226_117:
	v_mov_b32_e32 v0, 0x410
	v_lshl_add_u32 v0, v68, 2, v0
	ds_read_b32 v0, v0 offset:896
	s_waitcnt lgkmcnt(0)
	v_add_f32_e32 v6, v6, v0
	s_or_b64 exec, exec, s[2:3]
	s_and_saveexec_b64 s[2:3], vcc
	s_cbranch_execnz .LBB226_98
	s_branch .LBB226_99
	.section	.rodata,"a",@progbits
	.p2align	6, 0x0
	.amdhsa_kernel _ZN4vllm25paged_attention_v2_kernelIfhLi256ELi16ELi128ELNS_18Fp8KVCacheDataTypeE1ELb0ELi512EEEvPfS2_PT_PKS3_PKT0_S9_ifPKiSB_iPKfiiiSD_SD_iiiii
		.amdhsa_group_segment_fixed_size 1040
		.amdhsa_private_segment_fixed_size 80
		.amdhsa_kernarg_size 400
		.amdhsa_user_sgpr_count 2
		.amdhsa_user_sgpr_dispatch_ptr 0
		.amdhsa_user_sgpr_queue_ptr 0
		.amdhsa_user_sgpr_kernarg_segment_ptr 1
		.amdhsa_user_sgpr_dispatch_id 0
		.amdhsa_user_sgpr_kernarg_preload_length 0
		.amdhsa_user_sgpr_kernarg_preload_offset 0
		.amdhsa_user_sgpr_private_segment_size 0
		.amdhsa_uses_dynamic_stack 0
		.amdhsa_enable_private_segment 1
		.amdhsa_system_sgpr_workgroup_id_x 1
		.amdhsa_system_sgpr_workgroup_id_y 1
		.amdhsa_system_sgpr_workgroup_id_z 1
		.amdhsa_system_sgpr_workgroup_info 0
		.amdhsa_system_vgpr_workitem_id 0
		.amdhsa_next_free_vgpr 128
		.amdhsa_next_free_sgpr 45
		.amdhsa_accum_offset 128
		.amdhsa_reserve_vcc 1
		.amdhsa_float_round_mode_32 0
		.amdhsa_float_round_mode_16_64 0
		.amdhsa_float_denorm_mode_32 3
		.amdhsa_float_denorm_mode_16_64 3
		.amdhsa_dx10_clamp 1
		.amdhsa_ieee_mode 1
		.amdhsa_fp16_overflow 0
		.amdhsa_tg_split 0
		.amdhsa_exception_fp_ieee_invalid_op 0
		.amdhsa_exception_fp_denorm_src 0
		.amdhsa_exception_fp_ieee_div_zero 0
		.amdhsa_exception_fp_ieee_overflow 0
		.amdhsa_exception_fp_ieee_underflow 0
		.amdhsa_exception_fp_ieee_inexact 0
		.amdhsa_exception_int_div_zero 0
	.end_amdhsa_kernel
	.section	.text._ZN4vllm25paged_attention_v2_kernelIfhLi256ELi16ELi128ELNS_18Fp8KVCacheDataTypeE1ELb0ELi512EEEvPfS2_PT_PKS3_PKT0_S9_ifPKiSB_iPKfiiiSD_SD_iiiii,"axG",@progbits,_ZN4vllm25paged_attention_v2_kernelIfhLi256ELi16ELi128ELNS_18Fp8KVCacheDataTypeE1ELb0ELi512EEEvPfS2_PT_PKS3_PKT0_S9_ifPKiSB_iPKfiiiSD_SD_iiiii,comdat
.Lfunc_end226:
	.size	_ZN4vllm25paged_attention_v2_kernelIfhLi256ELi16ELi128ELNS_18Fp8KVCacheDataTypeE1ELb0ELi512EEEvPfS2_PT_PKS3_PKT0_S9_ifPKiSB_iPKfiiiSD_SD_iiiii, .Lfunc_end226-_ZN4vllm25paged_attention_v2_kernelIfhLi256ELi16ELi128ELNS_18Fp8KVCacheDataTypeE1ELb0ELi512EEEvPfS2_PT_PKS3_PKT0_S9_ifPKiSB_iPKfiiiSD_SD_iiiii
                                        ; -- End function
	.section	.AMDGPU.csdata,"",@progbits
; Kernel info:
; codeLenInByte = 9348
; NumSgprs: 51
; NumVgprs: 128
; NumAgprs: 0
; TotalNumVgprs: 128
; ScratchSize: 80
; MemoryBound: 0
; FloatMode: 240
; IeeeMode: 1
; LDSByteSize: 1040 bytes/workgroup (compile time only)
; SGPRBlocks: 6
; VGPRBlocks: 15
; NumSGPRsForWavesPerEU: 51
; NumVGPRsForWavesPerEU: 128
; AccumOffset: 128
; Occupancy: 4
; WaveLimiterHint : 1
; COMPUTE_PGM_RSRC2:SCRATCH_EN: 1
; COMPUTE_PGM_RSRC2:USER_SGPR: 2
; COMPUTE_PGM_RSRC2:TRAP_HANDLER: 0
; COMPUTE_PGM_RSRC2:TGID_X_EN: 1
; COMPUTE_PGM_RSRC2:TGID_Y_EN: 1
; COMPUTE_PGM_RSRC2:TGID_Z_EN: 1
; COMPUTE_PGM_RSRC2:TIDIG_COMP_CNT: 0
; COMPUTE_PGM_RSRC3_GFX90A:ACCUM_OFFSET: 31
; COMPUTE_PGM_RSRC3_GFX90A:TG_SPLIT: 0
	.section	.text._ZN4vllm25paged_attention_v2_kernelIfhLi32ELi32ELi128ELNS_18Fp8KVCacheDataTypeE1ELb1ELi512EEEvPfS2_PT_PKS3_PKT0_S9_ifPKiSB_iPKfiiiSD_SD_iiiii,"axG",@progbits,_ZN4vllm25paged_attention_v2_kernelIfhLi32ELi32ELi128ELNS_18Fp8KVCacheDataTypeE1ELb1ELi512EEEvPfS2_PT_PKS3_PKT0_S9_ifPKiSB_iPKfiiiSD_SD_iiiii,comdat
	.protected	_ZN4vllm25paged_attention_v2_kernelIfhLi32ELi32ELi128ELNS_18Fp8KVCacheDataTypeE1ELb1ELi512EEEvPfS2_PT_PKS3_PKT0_S9_ifPKiSB_iPKfiiiSD_SD_iiiii ; -- Begin function _ZN4vllm25paged_attention_v2_kernelIfhLi32ELi32ELi128ELNS_18Fp8KVCacheDataTypeE1ELb1ELi512EEEvPfS2_PT_PKS3_PKT0_S9_ifPKiSB_iPKfiiiSD_SD_iiiii
	.globl	_ZN4vllm25paged_attention_v2_kernelIfhLi32ELi32ELi128ELNS_18Fp8KVCacheDataTypeE1ELb1ELi512EEEvPfS2_PT_PKS3_PKT0_S9_ifPKiSB_iPKfiiiSD_SD_iiiii
	.p2align	8
	.type	_ZN4vllm25paged_attention_v2_kernelIfhLi32ELi32ELi128ELNS_18Fp8KVCacheDataTypeE1ELb1ELi512EEEvPfS2_PT_PKS3_PKT0_S9_ifPKiSB_iPKfiiiSD_SD_iiiii,@function
_ZN4vllm25paged_attention_v2_kernelIfhLi32ELi32ELi128ELNS_18Fp8KVCacheDataTypeE1ELb1ELi512EEEvPfS2_PT_PKS3_PKT0_S9_ifPKiSB_iPKfiiiSD_SD_iiiii: ; @_ZN4vllm25paged_attention_v2_kernelIfhLi32ELi32ELi128ELNS_18Fp8KVCacheDataTypeE1ELb1ELi512EEEvPfS2_PT_PKS3_PKT0_S9_ifPKiSB_iPKfiiiSD_SD_iiiii
; %bb.0:
	s_load_dwordx2 s[6:7], s[0:1], 0x40
	s_mov_b32 s34, s3
	s_ashr_i32 s35, s3, 31
	s_lshl_b64 s[8:9], s[34:35], 2
	s_waitcnt lgkmcnt(0)
	s_add_u32 s6, s6, s8
	s_addc_u32 s7, s7, s9
	s_load_dword s33, s[6:7], 0x0
	s_lshl_b32 s50, s4, 9
	s_waitcnt lgkmcnt(0)
	s_cmp_ge_i32 s50, s33
	s_cbranch_scc1 .LBB227_72
; %bb.1:
	s_load_dword s5, s[0:1], 0x90
	s_load_dwordx2 s[42:43], s[0:1], 0x30
	s_mov_b32 s51, 0
	s_waitcnt lgkmcnt(0)
	s_abs_i32 s7, s5
	s_abs_i32 s3, s42
	v_cvt_f32_u32_e32 v1, s3
	s_sub_i32 s8, 0, s3
	s_xor_b32 s6, s5, s42
	s_ashr_i32 s6, s6, 31
	v_rcp_iflag_f32_e32 v1, v1
	s_nop 0
	v_mul_f32_e32 v1, 0x4f7ffffe, v1
	v_cvt_u32_f32_e32 v1, v1
	s_nop 0
	v_readfirstlane_b32 s9, v1
	s_mul_i32 s8, s8, s9
	s_mul_hi_u32 s8, s9, s8
	s_add_i32 s9, s9, s8
	s_mul_hi_u32 s8, s7, s9
	s_mul_i32 s9, s8, s3
	s_sub_i32 s7, s7, s9
	s_add_i32 s10, s8, 1
	s_sub_i32 s9, s7, s3
	s_cmp_ge_u32 s7, s3
	s_cselect_b32 s8, s10, s8
	s_cselect_b32 s7, s9, s7
	s_add_i32 s9, s8, 1
	s_cmp_ge_u32 s7, s3
	s_cselect_b32 s3, s9, s8
	s_xor_b32 s3, s3, s6
	s_sub_i32 s11, s3, s6
	s_abs_i32 s8, s11
	v_cvt_f32_u32_e32 v1, s8
	s_load_dwordx2 s[6:7], s[0:1], 0x50
	s_sub_i32 s3, 0, s8
	s_abs_i32 s9, s2
	v_rcp_iflag_f32_e32 v1, v1
	s_nop 0
	v_mul_f32_e32 v1, 0x4f7ffffe, v1
	v_cvt_u32_f32_e32 v1, v1
	s_nop 0
	v_readfirstlane_b32 s10, v1
	s_mul_i32 s3, s3, s10
	s_mul_hi_u32 s3, s10, s3
	s_add_i32 s10, s10, s3
	s_waitcnt lgkmcnt(0)
	s_cmp_eq_u64 s[6:7], 0
	s_mul_hi_u32 s10, s9, s10
	s_cbranch_scc1 .LBB227_3
; %bb.2:
	s_ashr_i32 s3, s2, 31
	s_lshl_b64 s[12:13], s[2:3], 2
	s_add_u32 s6, s6, s12
	s_addc_u32 s7, s7, s13
	s_load_dword s51, s[6:7], 0x0
.LBB227_3:
	s_load_dwordx4 s[16:19], s[0:1], 0x58
	s_ashr_i32 s3, s2, 31
	s_ashr_i32 s11, s11, 31
	v_and_b32_e32 v6, 1, v0
	s_lshl_b32 s28, s2, 5
	v_cmp_gt_u32_e32 vcc, 16, v0
	v_lshlrev_b32_e32 v8, 2, v0
	s_and_saveexec_b64 s[6:7], vcc
	s_cbranch_execz .LBB227_5
; %bb.4:
	s_load_dwordx2 s[12:13], s[0:1], 0x18
	s_waitcnt lgkmcnt(0)
	s_mul_i32 s14, s34, s16
	s_ashr_i32 s15, s14, 31
	s_lshl_b64 s[14:15], s[14:15], 2
	v_lshlrev_b32_e32 v1, 3, v0
	s_add_u32 s14, s12, s14
	s_addc_u32 s15, s13, s15
	s_ashr_i32 s29, s28, 31
	s_lshl_b64 s[12:13], s[28:29], 2
	s_add_u32 s12, s14, s12
	s_addc_u32 s13, s15, s13
	global_load_dwordx2 v[2:3], v1, s[12:13]
	v_and_b32_e32 v1, 0xff8, v8
	v_lshl_add_u32 v1, v6, 6, v1
	s_waitcnt vmcnt(0)
	ds_write_b64 v1, v[2:3]
.LBB227_5:
	s_or_b64 exec, exec, s[6:7]
	s_mul_i32 s6, s10, s8
	s_sub_i32 s6, s9, s6
	s_xor_b32 s3, s3, s11
	s_add_i32 s7, s10, 1
	s_sub_i32 s9, s6, s8
	s_load_dwordx4 s[20:23], s[0:1], 0x78
	s_cmp_ge_u32 s6, s8
	s_cselect_b32 s7, s7, s10
	s_cselect_b32 s6, s9, s6
	s_add_i32 s9, s7, 1
	s_cmp_ge_u32 s6, s8
	s_cselect_b32 s6, s9, s7
	s_load_dword s9, s[0:1], 0x88
	s_waitcnt lgkmcnt(0)
	s_abs_i32 s29, s23
	v_cvt_f32_u32_e32 v1, s29
	s_xor_b32 s6, s6, s3
	s_sub_i32 s49, s6, s3
	s_sub_i32 s6, 0, s29
	v_rcp_iflag_f32_e32 v1, v1
	s_add_i32 s10, s33, -1
	s_abs_i32 s3, s10
	v_mul_f32_e32 v1, 0x4f7ffffe, v1
	v_cvt_u32_f32_e32 v1, v1
	s_barrier
	v_readfirstlane_b32 s35, v1
	s_mul_i32 s6, s6, s35
	s_mul_hi_u32 s6, s35, s6
	s_add_i32 s35, s35, s6
	s_cmp_lt_i32 s9, 0
	s_mul_hi_u32 s8, s3, s35
	s_cbranch_scc0 .LBB227_7
; %bb.6:
	s_mul_i32 s6, s20, s42
	s_add_i32 s6, s49, s6
	s_mul_i32 s6, s6, s9
	s_sub_i32 s42, 1, s6
	s_mov_b64 s[6:7], 0
	s_branch .LBB227_8
.LBB227_7:
	s_mov_b64 s[6:7], -1
                                        ; implicit-def: $sgpr42
.LBB227_8:
	s_load_dwordx2 s[36:37], s[0:1], 0x38
	s_ashr_i32 s10, s10, 31
	s_andn2_b64 vcc, exec, s[6:7]
	s_ashr_i32 s23, s23, 31
	s_cbranch_vccnz .LBB227_10
; %bb.9:
	s_mul_i32 s6, s5, s20
	s_add_i32 s6, s6, s2
	s_mul_i32 s6, s6, s9
	s_add_i32 s42, s6, 1
.LBB227_10:
	s_load_dwordx2 s[40:41], s[0:1], 0x28
	s_load_dword s6, s[0:1], 0x48
	s_load_dwordx4 s[24:27], s[0:1], 0x0
	s_load_dwordx2 s[30:31], s[0:1], 0x10
	s_load_dword s20, s[0:1], 0x98
	s_load_dwordx4 s[12:15], s[0:1], 0x68
	s_mul_i32 s7, s8, s29
	s_waitcnt lgkmcnt(0)
	s_mul_i32 s38, s34, s6
	s_sub_i32 s3, s3, s7
	s_ashr_i32 s39, s38, 31
	s_xor_b32 s6, s10, s23
	s_add_i32 s7, s8, 1
	s_sub_i32 s9, s3, s29
	s_cmp_ge_u32 s3, s29
	s_cselect_b32 s7, s7, s8
	s_cselect_b32 s3, s9, s3
	s_add_i32 s8, s7, 1
	s_cmp_ge_u32 s3, s29
	s_cselect_b32 s3, s8, s7
	s_xor_b32 s3, s3, s6
	s_sub_i32 s16, s3, s6
	s_add_i32 s3, s33, 31
	s_ashr_i32 s6, s3, 31
	s_lshr_b32 s6, s6, 27
	s_add_i32 s3, s3, s6
	s_lshl_b32 s52, s4, 4
	s_ashr_i32 s3, s3, 5
	s_add_i32 s6, s52, 16
	v_lshrrev_b32_e32 v9, 6, v0
	s_min_i32 s48, s6, s3
	v_or_b32_e32 v10, s52, v9
	v_cmp_gt_i32_e64 s[6:7], s48, v10
	v_mov_b32_e32 v15, 0xff7fffff
	s_mul_i32 s49, s49, s18
	v_ashrrev_i32_e32 v11, 31, v10
	v_lshl_add_u32 v1, v9, 5, s50
	v_mbcnt_lo_u32_b32 v12, -1, 0
	s_and_saveexec_b64 s[18:19], s[6:7]
	s_cbranch_execz .LBB227_20
; %bb.11:
	s_load_dwordx2 s[0:1], s[0:1], 0x20
	s_sub_i32 s53, s16, s21
	s_ashr_i32 s9, s49, 31
	v_bfe_u32 v13, v0, 1, 5
	v_mov_b32_e32 v3, 0
	s_waitcnt lgkmcnt(0)
	s_add_u32 s8, s0, s49
	s_addc_u32 s9, s1, s9
	s_abs_i32 s54, s22
	v_cvt_f32_u32_e32 v2, s54
	v_lshlrev_b32_e32 v15, 2, v13
	v_cmp_eq_u32_e32 vcc, 0, v6
	v_lshlrev_b32_e32 v14, 6, v6
	v_rcp_iflag_f32_e32 v4, v2
	v_lshlrev_b32_e32 v2, 4, v13
	v_lshl_or_b32 v15, v9, 7, v15
	v_add_u32_e32 v18, 0x90, v15
	v_mul_f32_e32 v4, 0x4f7ffffe, v4
	v_cvt_u32_f32_e32 v7, v4
	v_lshl_add_u64 v[4:5], s[8:9], 0, v[2:3]
	s_sub_i32 s8, 0, s54
	v_lshlrev_b32_e32 v2, 1, v6
	v_mul_lo_u32 v6, s8, v7
	s_lshl_b64 s[8:9], s[38:39], 2
	s_add_u32 s8, s36, s8
	v_subrev_u32_e32 v15, s33, v13
	v_mbcnt_hi_u32_b32 v21, -1, v12
	v_mul_hi_u32 v6, v7, v6
	s_addc_u32 s9, s37, s9
	v_add_u32_e32 v19, 1, v15
	v_and_b32_e32 v15, 64, v21
	s_mov_b32 s55, s17
	v_cmp_neq_f32_e64 s[0:1], s51, 0
	v_add_u32_e32 v16, v7, v6
	v_lshl_add_u64 v[6:7], v[10:11], 2, s[8:9]
	v_lshl_add_u32 v17, v9, 5, s50
	s_mov_b64 s[44:45], 0
	v_mov_b32_e32 v20, 0xff7fffff
	v_xor_b32_e32 v22, 1, v21
	v_add_u32_e32 v23, 64, v15
	v_mov_b32_e32 v15, 0xff7fffff
	v_mov_b32_e32 v24, v10
	s_branch .LBB227_14
.LBB227_12:                             ;   in Loop: Header=BB227_14 Depth=1
	s_or_b64 exec, exec, s[46:47]
.LBB227_13:                             ;   in Loop: Header=BB227_14 Depth=1
	s_or_b64 exec, exec, s[10:11]
	v_add_u32_e32 v24, 2, v24
	v_cmp_le_i32_e64 s[8:9], s48, v24
	v_lshl_add_u64 v[6:7], v[6:7], 0, 8
	v_add_u32_e32 v17, 64, v17
	s_or_b64 s[44:45], s[8:9], s[44:45]
	v_add_u32_e32 v18, 0x100, v18
	s_andn2_b64 exec, exec, s[44:45]
	s_cbranch_execz .LBB227_19
.LBB227_14:                             ; =>This Inner Loop Header: Depth=1
	s_waitcnt lgkmcnt(0)
	v_sub_u32_e32 v26, 0, v17
	v_max_i32_e32 v26, v17, v26
	v_mul_hi_u32 v27, v26, s35
	v_mul_lo_u32 v28, v27, s29
	v_sub_u32_e32 v26, v26, v28
	v_add_u32_e32 v28, 1, v27
	v_cmp_le_u32_e64 s[8:9], s29, v26
	v_ashrrev_i32_e32 v25, 31, v17
	v_xor_b32_e32 v25, s23, v25
	v_cndmask_b32_e64 v27, v27, v28, s[8:9]
	v_subrev_u32_e32 v28, s29, v26
	v_cndmask_b32_e64 v26, v26, v28, s[8:9]
	v_add_u32_e32 v28, 1, v27
	v_cmp_le_u32_e64 s[8:9], s29, v26
	s_nop 1
	v_cndmask_b32_e64 v26, v27, v28, s[8:9]
	v_xor_b32_e32 v26, v26, v25
	v_sub_u32_e32 v25, v26, v25
	v_add_u32_e32 v26, s42, v25
	v_sub_u32_e32 v28, 0, v26
	v_ashrrev_i32_e32 v27, 31, v26
	v_max_i32_e32 v26, v26, v28
	v_mul_hi_u32 v28, v26, v16
	v_mul_lo_u32 v28, v28, s54
	v_sub_u32_e32 v26, v26, v28
	v_subrev_u32_e32 v28, s54, v26
	v_cmp_le_u32_e64 s[8:9], s54, v26
	v_cmp_ge_i32_e64 s[10:11], s53, v25
	s_nop 0
	v_cndmask_b32_e64 v26, v26, v28, s[8:9]
	v_subrev_u32_e32 v28, s54, v26
	v_cmp_le_u32_e64 s[8:9], s54, v26
	s_nop 1
	v_cndmask_b32_e64 v26, v26, v28, s[8:9]
	v_xor_b32_e32 v26, v26, v27
	v_sub_u32_e32 v26, v26, v27
	v_cmp_ne_u32_e64 s[8:9], 0, v26
	s_and_b64 s[8:9], s[8:9], s[10:11]
	s_and_b64 s[46:47], vcc, s[8:9]
	s_and_saveexec_b64 s[10:11], s[46:47]
	s_cbranch_execz .LBB227_16
; %bb.15:                               ;   in Loop: Header=BB227_14 Depth=1
	ds_write_b32 v18, v20
.LBB227_16:                             ;   in Loop: Header=BB227_14 Depth=1
	s_or_b64 exec, exec, s[10:11]
	s_xor_b64 s[8:9], s[8:9], -1
	s_and_saveexec_b64 s[10:11], s[8:9]
	s_cbranch_execz .LBB227_13
; %bb.17:                               ;   in Loop: Header=BB227_14 Depth=1
	global_load_dword v25, v[6:7], off
	s_waitcnt vmcnt(0)
	v_mad_i64_i32 v[26:27], s[8:9], v25, s55, v[4:5]
	v_lshl_add_u64 v[26:27], v[26:27], 0, v[2:3]
	global_load_ushort v25, v[26:27], off
	global_load_ushort v44, v[26:27], off offset:4
	global_load_ushort v46, v[26:27], off offset:8
	;; [unrolled: 1-line block ×7, first 2 shown]
	v_cmp_lt_i32_e64 s[8:9], v22, v23
	ds_read_b128 v[26:29], v14
	ds_read_b128 v[30:33], v14 offset:16
	ds_read_b128 v[34:37], v14 offset:32
	;; [unrolled: 1-line block ×3, first 2 shown]
	v_cndmask_b32_e64 v42, v21, v22, s[8:9]
	s_load_dword s8, s[12:13], 0x0
	v_lshlrev_b32_e32 v58, 2, v42
	s_waitcnt vmcnt(7)
	v_cvt_pk_f32_fp8_e32 v[42:43], v25
	s_waitcnt vmcnt(6)
	v_cvt_pk_f32_fp8_e32 v[44:45], v44
	;; [unrolled: 2-line block ×5, first 2 shown]
	s_waitcnt lgkmcnt(0)
	v_pk_mul_f32 v[44:45], s[8:9], v[44:45] op_sel_hi:[0,1]
	s_waitcnt vmcnt(2)
	v_cvt_pk_f32_fp8_e32 v[52:53], v52
	v_pk_mul_f32 v[42:43], s[8:9], v[42:43] op_sel_hi:[0,1]
	v_mul_f32_e32 v25, v28, v44
	v_mul_f32_e32 v28, v29, v45
	s_waitcnt vmcnt(1)
	v_cvt_pk_f32_fp8_e32 v[54:55], v54
	v_pk_mul_f32 v[46:47], s[8:9], v[46:47] op_sel_hi:[0,1]
	v_fmac_f32_e32 v25, v26, v42
	v_fmac_f32_e32 v28, v27, v43
	s_waitcnt vmcnt(0)
	v_cvt_pk_f32_fp8_e32 v[56:57], v56
	v_pk_mul_f32 v[48:49], s[8:9], v[48:49] op_sel_hi:[0,1]
	v_fmac_f32_e32 v25, v30, v46
	v_fmac_f32_e32 v28, v31, v47
	v_pk_mul_f32 v[50:51], s[8:9], v[50:51] op_sel_hi:[0,1]
	v_fmac_f32_e32 v25, v32, v48
	v_fmac_f32_e32 v28, v33, v49
	;; [unrolled: 3-line block ×5, first 2 shown]
	v_fmac_f32_e32 v25, v40, v56
	v_fmac_f32_e32 v28, v41, v57
	v_add_f32_e32 v25, v25, v28
	ds_bpermute_b32 v26, v58, v25
	s_and_saveexec_b64 s[46:47], vcc
	s_cbranch_execz .LBB227_12
; %bb.18:                               ;   in Loop: Header=BB227_14 Depth=1
	v_add_u32_e32 v27, v19, v17
	v_cvt_f32_i32_e32 v27, v27
	s_waitcnt lgkmcnt(0)
	v_add_f32_e32 v25, v25, v26
	v_add_u32_e32 v28, v13, v17
	v_cmp_gt_i32_e64 s[8:9], s33, v28
	v_mul_f32_e32 v26, s51, v27
	v_cndmask_b32_e64 v26, 0, v26, s[0:1]
	v_fmac_f32_e32 v26, s43, v25
	v_cndmask_b32_e64 v25, 0, v26, s[8:9]
	ds_write_b32 v18, v25
	v_max_f32_e32 v25, v15, v15
	v_max_f32_e32 v25, v25, v26
	v_cndmask_b32_e64 v15, v15, v25, s[8:9]
	s_branch .LBB227_12
.LBB227_19:
	s_or_b64 exec, exec, s[44:45]
.LBB227_20:
	s_or_b64 exec, exec, s[18:19]
	v_mbcnt_hi_u32_b32 v4, -1, v12
	v_and_b32_e32 v2, 64, v4
	v_add_u32_e32 v12, 64, v2
	v_xor_b32_e32 v2, 32, v4
	v_cmp_lt_i32_e32 vcc, v2, v12
	v_xor_b32_e32 v6, 16, v4
	v_max_f32_e32 v5, v15, v15
	v_cndmask_b32_e32 v2, v4, v2, vcc
	v_lshlrev_b32_e32 v2, 2, v2
	ds_bpermute_b32 v3, v2, v15
	v_cmp_lt_i32_e32 vcc, v6, v12
	v_xor_b32_e32 v7, 8, v4
	v_xor_b32_e32 v13, 4, v4
	v_and_b32_e32 v32, 63, v0
	s_waitcnt lgkmcnt(0)
	v_max_f32_e32 v3, v3, v3
	v_max_f32_e32 v5, v5, v3
	v_cndmask_b32_e32 v3, v4, v6, vcc
	v_lshlrev_b32_e32 v3, 2, v3
	ds_bpermute_b32 v6, v3, v5
	v_cmp_lt_i32_e32 vcc, v7, v12
	s_waitcnt lgkmcnt(0)
	v_max_f32_e32 v6, v6, v6
	v_max_f32_e32 v6, v5, v6
	v_cndmask_b32_e32 v5, v4, v7, vcc
	v_lshlrev_b32_e32 v5, 2, v5
	ds_bpermute_b32 v7, v5, v6
	v_cmp_lt_i32_e32 vcc, v13, v12
	s_waitcnt lgkmcnt(0)
	v_max_f32_e32 v7, v7, v7
	v_max_f32_e32 v6, v6, v7
	v_cndmask_b32_e32 v7, v4, v13, vcc
	v_lshlrev_b32_e32 v34, 2, v7
	ds_bpermute_b32 v7, v34, v6
	v_xor_b32_e32 v13, 2, v4
	v_cmp_lt_i32_e32 vcc, v13, v12
	s_waitcnt lgkmcnt(0)
	v_max_f32_e32 v7, v7, v7
	v_max_f32_e32 v7, v6, v7
	v_cndmask_b32_e32 v6, v4, v13, vcc
	v_lshlrev_b32_e32 v33, 2, v6
	ds_bpermute_b32 v13, v33, v7
	v_cmp_eq_u32_e32 vcc, 0, v32
	v_lshlrev_b32_e32 v6, 2, v9
	s_and_saveexec_b64 s[0:1], vcc
	s_cbranch_execz .LBB227_22
; %bb.21:
	s_waitcnt lgkmcnt(0)
	v_max_f32_e32 v13, v13, v13
	v_max_f32_e32 v7, v7, v7
	;; [unrolled: 1-line block ×3, first 2 shown]
	ds_write_b32 v6, v7 offset:128
.LBB227_22:
	s_or_b64 exec, exec, s[0:1]
	v_cmp_gt_u32_e64 s[0:1], 2, v32
	s_waitcnt lgkmcnt(0)
	v_mov_b32_e32 v13, 0xff7fffff
	v_lshlrev_b32_e32 v7, 2, v32
	s_barrier
	s_and_saveexec_b64 s[8:9], s[0:1]
	s_cbranch_execz .LBB227_24
; %bb.23:
	ds_read_b32 v13, v7 offset:128
.LBB227_24:
	s_or_b64 exec, exec, s[8:9]
	v_xor_b32_e32 v14, 1, v4
	v_cmp_lt_i32_e64 s[8:9], v14, v12
	s_nop 1
	v_cndmask_b32_e64 v12, v4, v14, s[8:9]
	v_lshlrev_b32_e32 v35, 2, v12
	s_waitcnt lgkmcnt(0)
	ds_bpermute_b32 v12, v35, v13
	v_max_f32_e32 v13, v13, v13
	v_lshlrev_b32_e32 v4, 2, v4
	s_sub_i32 s8, s48, s52
	s_lshl_b32 s8, s8, 5
	s_waitcnt lgkmcnt(0)
	v_max_f32_e32 v12, v12, v12
	v_max_f32_e32 v13, v13, v12
	v_and_b32_e32 v12, 0x100, v4
	ds_bpermute_b32 v4, v12, v13
	s_add_i32 s8, s8, s50
	s_min_i32 s44, s8, s33
	s_sub_i32 s43, s44, s50
	v_cmp_gt_i32_e64 s[8:9], s43, v0
	v_mov_b32_e32 v13, 0
	s_and_saveexec_b64 s[12:13], s[8:9]
	s_cbranch_execz .LBB227_28
; %bb.25:
	v_mov_b32_e32 v13, 0x90
	v_lshl_add_u32 v14, v0, 2, v13
	s_mov_b64 s[18:19], 0
	v_mov_b32_e32 v13, 0
	v_mov_b32_e32 v15, v0
.LBB227_26:                             ; =>This Inner Loop Header: Depth=1
	ds_read_b32 v16, v14
	v_add_u32_e32 v15, 0x80, v15
	v_cmp_le_i32_e64 s[10:11], s43, v15
	s_or_b64 s[18:19], s[10:11], s[18:19]
	s_waitcnt lgkmcnt(0)
	v_sub_f32_e32 v16, v16, v4
	v_mul_f32_e32 v16, 0x3fb8aa3b, v16
	v_exp_f32_e32 v16, v16
	ds_write_b32 v14, v16
	v_add_f32_e32 v13, v13, v16
	v_add_u32_e32 v14, 0x200, v14
	s_andn2_b64 exec, exec, s[18:19]
	s_cbranch_execnz .LBB227_26
; %bb.27:
	s_or_b64 exec, exec, s[18:19]
.LBB227_28:
	s_or_b64 exec, exec, s[12:13]
	ds_bpermute_b32 v2, v2, v13
	s_waitcnt lgkmcnt(0)
	v_add_f32_e32 v2, v13, v2
	ds_bpermute_b32 v3, v3, v2
	s_waitcnt lgkmcnt(0)
	v_add_f32_e32 v2, v2, v3
	;; [unrolled: 3-line block ×6, first 2 shown]
	s_and_saveexec_b64 s[10:11], vcc
	s_cbranch_execz .LBB227_30
; %bb.29:
	ds_write_b32 v6, v2 offset:136
.LBB227_30:
	s_or_b64 exec, exec, s[10:11]
	s_waitcnt lgkmcnt(0)
	s_barrier
	s_and_saveexec_b64 s[10:11], s[0:1]
	s_cbranch_execz .LBB227_32
; %bb.31:
	ds_read_b32 v2, v7 offset:136
.LBB227_32:
	s_or_b64 exec, exec, s[10:11]
	s_waitcnt lgkmcnt(0)
	ds_bpermute_b32 v3, v35, v2
	s_waitcnt lgkmcnt(0)
	v_add_f32_e32 v2, v2, v3
	ds_bpermute_b32 v5, v12, v2
	s_and_saveexec_b64 s[0:1], s[8:9]
	s_cbranch_execz .LBB227_45
; %bb.33:
	s_waitcnt lgkmcnt(0)
	v_add_f32_e32 v2, 0x358637bd, v5
	v_div_scale_f32 v3, s[8:9], v2, v2, 1.0
	v_rcp_f32_e32 v6, v3
	v_div_scale_f32 v7, vcc, 1.0, v2, 1.0
	s_movk_i32 s8, 0x7f
	v_fma_f32 v12, -v3, v6, 1.0
	v_fmac_f32_e32 v6, v12, v6
	v_mul_f32_e32 v12, v7, v6
	v_fma_f32 v13, -v3, v12, v7
	v_fmac_f32_e32 v12, v13, v6
	v_fma_f32 v3, -v3, v12, v7
	v_div_fmas_f32 v3, v3, v6, v12
	v_div_fixup_f32 v2, v3, v2, 1.0
	v_xad_u32 v3, v0, -1, s44
	v_subrev_u32_e32 v6, s50, v3
	v_cmp_lt_u32_e32 vcc, s8, v6
	s_mov_b64 s[10:11], -1
	v_mov_b32_e32 v3, v0
	s_and_saveexec_b64 s[8:9], vcc
	s_cbranch_execz .LBB227_42
; %bb.34:
	v_lshrrev_b32_e32 v6, 7, v6
	v_add_u32_e32 v12, -1, v6
	v_lshrrev_b32_e32 v7, 1, v12
	v_mov_b32_e32 v3, v2
	v_add_u32_e32 v7, 1, v7
	v_cmp_lt_u32_e32 vcc, 13, v12
	v_mov_b32_e32 v14, 0
	s_and_saveexec_b64 s[10:11], vcc
	s_cbranch_execz .LBB227_38
; %bb.35:
	v_mov_b32_e32 v13, 0x90
	v_and_b32_e32 v12, -8, v7
	v_lshl_add_u32 v13, v0, 2, v13
	s_mov_b32 s18, 0
	s_mov_b64 s[12:13], 0
.LBB227_36:                             ; =>This Inner Loop Header: Depth=1
	ds_read2st64_b32 v[14:15], v13 offset1:2
	ds_read2st64_b32 v[16:17], v13 offset0:4 offset1:6
	ds_read2st64_b32 v[18:19], v13 offset0:8 offset1:10
	;; [unrolled: 1-line block ×3, first 2 shown]
	v_add_u32_e32 v12, -8, v12
	s_waitcnt lgkmcnt(3)
	v_pk_mul_f32 v[14:15], v[2:3], v[14:15]
	s_waitcnt lgkmcnt(2)
	v_pk_mul_f32 v[16:17], v[2:3], v[16:17]
	ds_write2st64_b32 v13, v14, v15 offset1:2
	ds_write2st64_b32 v13, v16, v17 offset0:4 offset1:6
	ds_read2st64_b32 v[16:17], v13 offset0:16 offset1:18
	s_waitcnt lgkmcnt(4)
	v_pk_mul_f32 v[14:15], v[2:3], v[18:19]
	ds_write2st64_b32 v13, v14, v15 offset0:8 offset1:10
	s_waitcnt lgkmcnt(4)
	v_pk_mul_f32 v[14:15], v[2:3], v[20:21]
	ds_write2st64_b32 v13, v14, v15 offset0:12 offset1:14
	ds_read2st64_b32 v[14:15], v13 offset0:20 offset1:22
	s_waitcnt lgkmcnt(3)
	v_pk_mul_f32 v[16:17], v[2:3], v[16:17]
	ds_read2st64_b32 v[18:19], v13 offset0:24 offset1:26
	ds_write2st64_b32 v13, v16, v17 offset0:16 offset1:18
	ds_read2st64_b32 v[16:17], v13 offset0:28 offset1:30
	s_waitcnt lgkmcnt(3)
	v_pk_mul_f32 v[14:15], v[2:3], v[14:15]
	ds_write2st64_b32 v13, v14, v15 offset0:20 offset1:22
	s_waitcnt lgkmcnt(3)
	v_pk_mul_f32 v[14:15], v[2:3], v[18:19]
	ds_write2st64_b32 v13, v14, v15 offset0:24 offset1:26
	s_waitcnt lgkmcnt(2)
	v_pk_mul_f32 v[14:15], v[2:3], v[16:17]
	s_add_i32 s18, s18, 16
	v_cmp_eq_u32_e32 vcc, 0, v12
	ds_write2st64_b32 v13, v14, v15 offset0:28 offset1:30
	v_add_u32_e32 v13, 0x2000, v13
	s_or_b64 s[12:13], vcc, s[12:13]
	v_mov_b32_e32 v14, s18
	s_andn2_b64 exec, exec, s[12:13]
	s_cbranch_execnz .LBB227_36
; %bb.37:
	s_or_b64 exec, exec, s[12:13]
.LBB227_38:
	s_or_b64 exec, exec, s[10:11]
	v_and_b32_e32 v7, 7, v7
	v_cmp_ne_u32_e32 vcc, 0, v7
	s_and_saveexec_b64 s[10:11], vcc
	s_cbranch_execz .LBB227_41
; %bb.39:
	v_lshlrev_b32_e32 v12, 9, v14
	s_movk_i32 s12, 0x90
	v_add3_u32 v12, v12, v8, s12
	s_mov_b64 s[12:13], 0
.LBB227_40:                             ; =>This Inner Loop Header: Depth=1
	ds_read2st64_b32 v[14:15], v12 offset1:2
	v_add_u32_e32 v7, -1, v7
	v_cmp_eq_u32_e32 vcc, 0, v7
	s_or_b64 s[12:13], vcc, s[12:13]
	s_waitcnt lgkmcnt(0)
	v_pk_mul_f32 v[14:15], v[2:3], v[14:15]
	ds_write2st64_b32 v12, v14, v15 offset1:2
	v_add_u32_e32 v12, 0x400, v12
	s_andn2_b64 exec, exec, s[12:13]
	s_cbranch_execnz .LBB227_40
.LBB227_41:
	s_or_b64 exec, exec, s[10:11]
	v_add_u32_e32 v6, 1, v6
	v_and_b32_e32 v7, 0x3fffffe, v6
	v_cmp_ne_u32_e32 vcc, v6, v7
	v_lshl_add_u32 v3, v7, 7, v0
	s_orn2_b64 s[10:11], vcc, exec
.LBB227_42:
	s_or_b64 exec, exec, s[8:9]
	s_and_b64 exec, exec, s[10:11]
	s_cbranch_execz .LBB227_45
; %bb.43:
	v_mov_b32_e32 v6, 0x90
	v_lshl_add_u32 v6, v3, 2, v6
	s_mov_b64 s[8:9], 0
.LBB227_44:                             ; =>This Inner Loop Header: Depth=1
	ds_read_b32 v7, v6
	v_add_u32_e32 v3, 0x80, v3
	v_cmp_le_i32_e32 vcc, s43, v3
	s_or_b64 s[8:9], vcc, s[8:9]
	s_waitcnt lgkmcnt(0)
	v_mul_f32_e32 v7, v2, v7
	ds_write_b32 v6, v7
	v_add_u32_e32 v6, 0x200, v6
	s_andn2_b64 exec, exec, s[8:9]
	s_cbranch_execnz .LBB227_44
.LBB227_45:
	s_or_b64 exec, exec, s[0:1]
	s_mul_i32 s0, s20, s34
	v_cmp_eq_u32_e32 vcc, 0, v0
	s_mul_i32 s8, s0, s5
	s_waitcnt lgkmcnt(0)
	s_barrier
	s_and_saveexec_b64 s[0:1], vcc
	s_cbranch_execz .LBB227_47
; %bb.46:
	s_ashr_i32 s9, s8, 31
	s_lshl_b64 s[10:11], s[8:9], 2
	s_add_u32 s5, s26, s10
	s_mul_i32 s12, s20, s2
	s_addc_u32 s9, s27, s11
	s_ashr_i32 s13, s12, 31
	s_lshl_b64 s[12:13], s[12:13], 2
	s_add_u32 s2, s5, s12
	s_addc_u32 s9, s9, s13
	s_ashr_i32 s5, s4, 31
	s_lshl_b64 s[18:19], s[4:5], 2
	s_add_u32 s26, s2, s18
	s_addc_u32 s27, s9, s19
	s_add_u32 s2, s24, s10
	s_addc_u32 s5, s25, s11
	;; [unrolled: 2-line block ×3, first 2 shown]
	s_add_u32 s10, s2, s18
	v_mov_b32_e32 v2, 0
	s_addc_u32 s11, s5, s19
	global_store_dword v2, v4, s[26:27]
	global_store_dword v2, v5, s[10:11]
.LBB227_47:
	s_or_b64 exec, exec, s[0:1]
	s_mov_b32 s0, 0
	v_mov_b32_e32 v5, 0
	v_and_b32_e32 v36, 7, v0
	v_mov_b32_e32 v4, 0
	v_mov_b32_e32 v3, 0
	;; [unrolled: 1-line block ×3, first 2 shown]
	s_and_saveexec_b64 s[10:11], s[6:7]
	s_cbranch_execz .LBB227_61
; %bb.48:
	s_sub_i32 s5, s16, s21
	s_ashr_i32 s1, s49, 31
	s_add_u32 s6, s40, s49
	s_addc_u32 s7, s41, s1
	s_abs_i32 s9, s22
	v_cvt_f32_u32_e32 v2, s9
	v_mov_b32_e32 v3, 0
	s_sub_i32 s1, 0, s9
	s_add_i32 s19, s3, -1
	v_rcp_iflag_f32_e32 v4, v2
	v_and_b32_e32 v2, 0xfc, v8
	v_lshl_add_u64 v[12:13], s[6:7], 0, v[2:3]
	s_lshl_b64 s[2:3], s[38:39], 2
	v_mul_f32_e32 v4, 0x4f7ffffe, v4
	v_cvt_u32_f32_e32 v4, v4
	s_add_u32 s2, s36, s2
	s_addc_u32 s3, s37, s3
	v_lshl_add_u64 v[14:15], v[10:11], 2, s[2:3]
	v_mul_lo_u32 v2, s1, v4
	v_mul_hi_u32 v2, v4, v2
	v_add_u32_e32 v38, v4, v2
	v_lshlrev_b32_e32 v2, 4, v36
	v_lshl_or_b32 v2, v9, 7, v2
	s_mov_b32 s2, s0
	s_mov_b32 s3, s0
	v_add_u32_e32 v11, 0x90, v2
	s_mov_b32 s1, s0
	v_mov_b64_e32 v[4:5], s[2:3]
	v_and_b32_e32 v37, 28, v8
	s_mov_b32 s18, s17
	s_mov_b64 s[6:7], 0
	v_mov_b64_e32 v[2:3], s[0:1]
	s_branch .LBB227_51
.LBB227_49:                             ;   in Loop: Header=BB227_51 Depth=1
	s_or_b64 exec, exec, s[0:1]
	v_mul_f32_e32 v19, v7, v19
	v_fmac_f32_e32 v19, v6, v18
	v_fmac_f32_e32 v19, v8, v16
	v_mul_f32_e32 v16, v7, v25
	v_fmac_f32_e32 v16, v6, v24
	v_fmac_f32_e32 v16, v8, v22
	;; [unrolled: 1-line block ×3, first 2 shown]
	v_add_f32_e32 v3, v3, v16
	v_mul_f32_e32 v16, v7, v29
	v_mul_f32_e32 v7, v7, v31
	v_fmac_f32_e32 v16, v6, v28
	v_fmac_f32_e32 v7, v6, v30
	;; [unrolled: 1-line block ×7, first 2 shown]
	v_add_f32_e32 v2, v2, v19
	v_add_f32_e32 v4, v4, v16
	;; [unrolled: 1-line block ×3, first 2 shown]
.LBB227_50:                             ;   in Loop: Header=BB227_51 Depth=1
	s_or_b64 exec, exec, s[2:3]
	v_add_u32_e32 v10, 2, v10
	v_cmp_le_i32_e32 vcc, s48, v10
	v_lshl_add_u64 v[14:15], v[14:15], 0, 8
	v_add_u32_e32 v1, 64, v1
	s_or_b64 s[6:7], vcc, s[6:7]
	v_add_u32_e32 v11, 0x100, v11
	s_andn2_b64 exec, exec, s[6:7]
	s_cbranch_execz .LBB227_60
.LBB227_51:                             ; =>This Inner Loop Header: Depth=1
	v_sub_u32_e32 v7, 0, v1
	v_max_i32_e32 v7, v1, v7
	v_mul_hi_u32 v8, v7, s35
	v_mul_lo_u32 v9, v8, s29
	v_sub_u32_e32 v7, v7, v9
	v_add_u32_e32 v9, 1, v8
	v_cmp_le_u32_e32 vcc, s29, v7
	v_ashrrev_i32_e32 v6, 31, v1
	v_xor_b32_e32 v6, s23, v6
	v_cndmask_b32_e32 v8, v8, v9, vcc
	v_subrev_u32_e32 v9, s29, v7
	v_cndmask_b32_e32 v7, v7, v9, vcc
	v_add_u32_e32 v9, 1, v8
	v_cmp_le_u32_e32 vcc, s29, v7
	s_nop 1
	v_cndmask_b32_e32 v7, v8, v9, vcc
	v_xor_b32_e32 v7, v7, v6
	v_sub_u32_e32 v6, v7, v6
	v_add_u32_e32 v7, s42, v6
	v_sub_u32_e32 v9, 0, v7
	v_ashrrev_i32_e32 v8, 31, v7
	v_max_i32_e32 v7, v7, v9
	v_mul_hi_u32 v9, v7, v38
	v_mul_lo_u32 v9, v9, s9
	v_sub_u32_e32 v7, v7, v9
	v_subrev_u32_e32 v9, s9, v7
	v_cmp_le_u32_e32 vcc, s9, v7
	v_cmp_lt_i32_e64 s[0:1], s5, v6
	s_nop 0
	v_cndmask_b32_e32 v7, v7, v9, vcc
	v_subrev_u32_e32 v9, s9, v7
	v_cmp_le_u32_e32 vcc, s9, v7
	s_nop 1
	v_cndmask_b32_e32 v7, v7, v9, vcc
	v_xor_b32_e32 v7, v7, v8
	v_sub_u32_e32 v7, v7, v8
	v_cmp_eq_u32_e32 vcc, 0, v7
	s_or_b64 s[0:1], vcc, s[0:1]
	s_and_saveexec_b64 s[2:3], s[0:1]
	s_cbranch_execz .LBB227_50
; %bb.52:                               ;   in Loop: Header=BB227_51 Depth=1
	global_load_dword v6, v[14:15], off
	s_load_dword s12, s[14:15], 0x0
	v_add_u32_e32 v39, v37, v1
	v_cmp_eq_u32_e32 vcc, s19, v10
	v_add_u32_e32 v41, 1, v39
	v_add_u32_e32 v40, 2, v39
	;; [unrolled: 1-line block ×3, first 2 shown]
	s_waitcnt vmcnt(0)
	v_mad_i64_i32 v[20:21], s[0:1], v6, s18, v[12:13]
	global_load_dword v16, v[20:21], off
	ds_read_b128 v[6:9], v11
	s_waitcnt vmcnt(0)
	v_and_b32_e32 v17, 0xffff, v16
	v_lshrrev_b32_e32 v18, 16, v16
	v_cvt_pk_f32_fp8_e32 v[16:17], v17
	v_cvt_pk_f32_fp8_e32 v[22:23], v18
	s_waitcnt lgkmcnt(0)
	v_pk_mul_f32 v[18:19], s[12:13], v[16:17] op_sel_hi:[0,1]
	v_pk_mul_f32 v[16:17], s[12:13], v[22:23] op_sel_hi:[0,1]
	s_and_saveexec_b64 s[16:17], vcc
; %bb.53:                               ;   in Loop: Header=BB227_51 Depth=1
	v_cmp_gt_i32_e64 s[0:1], s33, v39
	s_nop 1
	v_cndmask_b32_e64 v18, 0, v18, s[0:1]
	v_cmp_gt_i32_e64 s[0:1], s33, v41
	s_nop 1
	v_cndmask_b32_e64 v19, 0, v19, s[0:1]
	v_cmp_gt_i32_e64 s[0:1], s33, v40
	s_nop 1
	v_cndmask_b32_e64 v16, 0, v16, s[0:1]
	v_cmp_gt_i32_e64 s[0:1], s33, v42
	s_nop 1
	v_cndmask_b32_e64 v17, 0, v17, s[0:1]
; %bb.54:                               ;   in Loop: Header=BB227_51 Depth=1
	s_or_b64 exec, exec, s[16:17]
	global_load_dword v22, v[20:21], off offset:256
	s_mov_b32 s13, s12
	s_waitcnt vmcnt(0)
	v_and_b32_e32 v23, 0xffff, v22
	v_lshrrev_b32_e32 v24, 16, v22
	v_cvt_pk_f32_fp8_e32 v[22:23], v23
	v_cvt_pk_f32_fp8_e32 v[26:27], v24
	v_pk_mul_f32 v[24:25], s[12:13], v[22:23]
	v_pk_mul_f32 v[22:23], s[12:13], v[26:27]
	s_and_saveexec_b64 s[16:17], vcc
; %bb.55:                               ;   in Loop: Header=BB227_51 Depth=1
	v_cmp_gt_i32_e64 s[0:1], s33, v39
	s_nop 1
	v_cndmask_b32_e64 v24, 0, v24, s[0:1]
	v_cmp_gt_i32_e64 s[0:1], s33, v41
	s_nop 1
	v_cndmask_b32_e64 v25, 0, v25, s[0:1]
	;; [unrolled: 3-line block ×4, first 2 shown]
; %bb.56:                               ;   in Loop: Header=BB227_51 Depth=1
	s_or_b64 exec, exec, s[16:17]
	global_load_dword v26, v[20:21], off offset:512
	s_waitcnt vmcnt(0)
	v_and_b32_e32 v27, 0xffff, v26
	v_lshrrev_b32_e32 v28, 16, v26
	v_cvt_pk_f32_fp8_e32 v[26:27], v27
	v_cvt_pk_f32_fp8_e32 v[30:31], v28
	v_pk_mul_f32 v[28:29], s[12:13], v[26:27]
	v_pk_mul_f32 v[26:27], s[12:13], v[30:31]
	s_and_saveexec_b64 s[16:17], vcc
; %bb.57:                               ;   in Loop: Header=BB227_51 Depth=1
	v_cmp_gt_i32_e64 s[0:1], s33, v39
	s_nop 1
	v_cndmask_b32_e64 v28, 0, v28, s[0:1]
	v_cmp_gt_i32_e64 s[0:1], s33, v41
	s_nop 1
	v_cndmask_b32_e64 v29, 0, v29, s[0:1]
	;; [unrolled: 3-line block ×4, first 2 shown]
; %bb.58:                               ;   in Loop: Header=BB227_51 Depth=1
	s_or_b64 exec, exec, s[16:17]
	global_load_dword v20, v[20:21], off offset:768
	s_waitcnt vmcnt(0)
	v_and_b32_e32 v21, 0xffff, v20
	v_lshrrev_b32_e32 v30, 16, v20
	v_cvt_pk_f32_fp8_e32 v[20:21], v21
	v_cvt_pk_f32_fp8_e32 v[44:45], v30
	v_pk_mul_f32 v[30:31], s[12:13], v[20:21]
	v_pk_mul_f32 v[20:21], s[12:13], v[44:45]
	s_and_saveexec_b64 s[0:1], vcc
	s_cbranch_execz .LBB227_49
; %bb.59:                               ;   in Loop: Header=BB227_51 Depth=1
	v_cmp_gt_i32_e32 vcc, s33, v39
	s_nop 1
	v_cndmask_b32_e32 v30, 0, v30, vcc
	v_cmp_gt_i32_e32 vcc, s33, v41
	s_nop 1
	v_cndmask_b32_e32 v31, 0, v31, vcc
	;; [unrolled: 3-line block ×4, first 2 shown]
	s_branch .LBB227_49
.LBB227_60:
	s_or_b64 exec, exec, s[6:7]
.LBB227_61:
	s_or_b64 exec, exec, s[10:11]
	ds_bpermute_b32 v6, v34, v2
	ds_bpermute_b32 v7, v34, v3
	;; [unrolled: 1-line block ×4, first 2 shown]
	v_and_b32_e32 v1, 0x3c7, v0
	v_cmp_eq_u32_e32 vcc, 64, v1
	s_waitcnt lgkmcnt(2)
	v_pk_add_f32 v[2:3], v[2:3], v[6:7]
	ds_bpermute_b32 v6, v33, v2
	s_waitcnt lgkmcnt(1)
	v_pk_add_f32 v[4:5], v[4:5], v[8:9]
	ds_bpermute_b32 v7, v33, v3
	ds_bpermute_b32 v8, v33, v4
	;; [unrolled: 1-line block ×3, first 2 shown]
	s_waitcnt lgkmcnt(0)
	s_barrier
	v_pk_add_f32 v[2:3], v[2:3], v[6:7]
	ds_bpermute_b32 v6, v35, v2
	v_pk_add_f32 v[4:5], v[4:5], v[8:9]
	ds_bpermute_b32 v7, v35, v3
	ds_bpermute_b32 v8, v35, v4
	;; [unrolled: 1-line block ×3, first 2 shown]
	s_waitcnt lgkmcnt(0)
	v_pk_add_f32 v[2:3], v[2:3], v[6:7]
	v_pk_add_f32 v[4:5], v[4:5], v[8:9]
	s_and_saveexec_b64 s[0:1], vcc
	s_cbranch_execz .LBB227_63
; %bb.62:
	v_lshrrev_b32_e32 v6, 1, v32
	v_add_u32_e32 v6, 0x90, v6
	ds_write2_b32 v6, v2, v3 offset1:8
	ds_write2_b32 v6, v4, v5 offset0:16 offset1:24
.LBB227_63:
	s_or_b64 exec, exec, s[0:1]
	v_cmp_gt_u32_e32 vcc, 64, v0
	s_waitcnt lgkmcnt(0)
	s_barrier
	s_and_saveexec_b64 s[0:1], vcc
	s_cbranch_execz .LBB227_70
; %bb.64:
	v_cmp_eq_u32_e32 vcc, 0, v36
	v_lshrrev_b32_e32 v6, 3, v0
	s_and_saveexec_b64 s[2:3], vcc
	s_cbranch_execnz .LBB227_73
; %bb.65:
	s_or_b64 exec, exec, s[2:3]
	s_and_saveexec_b64 s[2:3], vcc
	s_cbranch_execnz .LBB227_74
.LBB227_66:
	s_or_b64 exec, exec, s[2:3]
	s_and_saveexec_b64 s[2:3], vcc
	s_cbranch_execnz .LBB227_75
.LBB227_67:
	s_or_b64 exec, exec, s[2:3]
	s_and_saveexec_b64 s[2:3], vcc
	s_cbranch_execz .LBB227_69
.LBB227_68:
	v_mov_b32_e32 v7, 0x90
	v_lshl_add_u32 v6, v6, 2, v7
	ds_read_b32 v6, v6 offset:96
	s_waitcnt lgkmcnt(0)
	v_add_f32_e32 v5, v5, v6
.LBB227_69:
	s_or_b64 exec, exec, s[2:3]
.LBB227_70:
	s_or_b64 exec, exec, s[0:1]
	v_cmp_eq_u32_e32 vcc, 0, v1
	s_barrier
	s_and_saveexec_b64 s[0:1], vcc
	s_cbranch_execz .LBB227_72
; %bb.71:
	s_lshl_b32 s0, s8, 5
	s_ashr_i32 s1, s0, 31
	s_lshl_b64 s[0:1], s[0:1], 2
	s_add_u32 s2, s30, s0
	s_mul_i32 s0, s20, s28
	s_addc_u32 s3, s31, s1
	s_ashr_i32 s1, s0, 31
	s_lshl_b64 s[0:1], s[0:1], 2
	s_add_u32 s2, s2, s0
	s_addc_u32 s3, s3, s1
	s_lshl_b32 s0, s4, 5
	s_ashr_i32 s1, s0, 31
	s_lshl_b64 s[0:1], s[0:1], 2
	s_add_u32 s0, s2, s0
	s_addc_u32 s1, s3, s1
	v_lshrrev_b32_e32 v0, 1, v0
	global_store_dword v0, v2, s[0:1]
	global_store_dword v0, v3, s[0:1] offset:32
	global_store_dword v0, v4, s[0:1] offset:64
	;; [unrolled: 1-line block ×3, first 2 shown]
.LBB227_72:
	s_endpgm
.LBB227_73:
	v_mov_b32_e32 v7, 0x90
	v_lshl_add_u32 v7, v6, 2, v7
	ds_read_b32 v7, v7
	s_waitcnt lgkmcnt(0)
	v_add_f32_e32 v2, v2, v7
	s_or_b64 exec, exec, s[2:3]
	s_and_saveexec_b64 s[2:3], vcc
	s_cbranch_execz .LBB227_66
.LBB227_74:
	v_mov_b32_e32 v7, 0x90
	v_lshl_add_u32 v7, v6, 2, v7
	ds_read_b32 v7, v7 offset:32
	s_waitcnt lgkmcnt(0)
	v_add_f32_e32 v3, v3, v7
	s_or_b64 exec, exec, s[2:3]
	s_and_saveexec_b64 s[2:3], vcc
	s_cbranch_execz .LBB227_67
.LBB227_75:
	v_mov_b32_e32 v7, 0x90
	v_lshl_add_u32 v7, v6, 2, v7
	ds_read_b32 v7, v7 offset:64
	s_waitcnt lgkmcnt(0)
	v_add_f32_e32 v4, v4, v7
	s_or_b64 exec, exec, s[2:3]
	s_and_saveexec_b64 s[2:3], vcc
	s_cbranch_execnz .LBB227_68
	s_branch .LBB227_69
	.section	.rodata,"a",@progbits
	.p2align	6, 0x0
	.amdhsa_kernel _ZN4vllm25paged_attention_v2_kernelIfhLi32ELi32ELi128ELNS_18Fp8KVCacheDataTypeE1ELb1ELi512EEEvPfS2_PT_PKS3_PKT0_S9_ifPKiSB_iPKfiiiSD_SD_iiiii
		.amdhsa_group_segment_fixed_size 144
		.amdhsa_private_segment_fixed_size 0
		.amdhsa_kernarg_size 400
		.amdhsa_user_sgpr_count 2
		.amdhsa_user_sgpr_dispatch_ptr 0
		.amdhsa_user_sgpr_queue_ptr 0
		.amdhsa_user_sgpr_kernarg_segment_ptr 1
		.amdhsa_user_sgpr_dispatch_id 0
		.amdhsa_user_sgpr_kernarg_preload_length 0
		.amdhsa_user_sgpr_kernarg_preload_offset 0
		.amdhsa_user_sgpr_private_segment_size 0
		.amdhsa_uses_dynamic_stack 0
		.amdhsa_enable_private_segment 0
		.amdhsa_system_sgpr_workgroup_id_x 1
		.amdhsa_system_sgpr_workgroup_id_y 1
		.amdhsa_system_sgpr_workgroup_id_z 1
		.amdhsa_system_sgpr_workgroup_info 0
		.amdhsa_system_vgpr_workitem_id 0
		.amdhsa_next_free_vgpr 59
		.amdhsa_next_free_sgpr 56
		.amdhsa_accum_offset 60
		.amdhsa_reserve_vcc 1
		.amdhsa_float_round_mode_32 0
		.amdhsa_float_round_mode_16_64 0
		.amdhsa_float_denorm_mode_32 3
		.amdhsa_float_denorm_mode_16_64 3
		.amdhsa_dx10_clamp 1
		.amdhsa_ieee_mode 1
		.amdhsa_fp16_overflow 0
		.amdhsa_tg_split 0
		.amdhsa_exception_fp_ieee_invalid_op 0
		.amdhsa_exception_fp_denorm_src 0
		.amdhsa_exception_fp_ieee_div_zero 0
		.amdhsa_exception_fp_ieee_overflow 0
		.amdhsa_exception_fp_ieee_underflow 0
		.amdhsa_exception_fp_ieee_inexact 0
		.amdhsa_exception_int_div_zero 0
	.end_amdhsa_kernel
	.section	.text._ZN4vllm25paged_attention_v2_kernelIfhLi32ELi32ELi128ELNS_18Fp8KVCacheDataTypeE1ELb1ELi512EEEvPfS2_PT_PKS3_PKT0_S9_ifPKiSB_iPKfiiiSD_SD_iiiii,"axG",@progbits,_ZN4vllm25paged_attention_v2_kernelIfhLi32ELi32ELi128ELNS_18Fp8KVCacheDataTypeE1ELb1ELi512EEEvPfS2_PT_PKS3_PKT0_S9_ifPKiSB_iPKfiiiSD_SD_iiiii,comdat
.Lfunc_end227:
	.size	_ZN4vllm25paged_attention_v2_kernelIfhLi32ELi32ELi128ELNS_18Fp8KVCacheDataTypeE1ELb1ELi512EEEvPfS2_PT_PKS3_PKT0_S9_ifPKiSB_iPKfiiiSD_SD_iiiii, .Lfunc_end227-_ZN4vllm25paged_attention_v2_kernelIfhLi32ELi32ELi128ELNS_18Fp8KVCacheDataTypeE1ELb1ELi512EEEvPfS2_PT_PKS3_PKT0_S9_ifPKiSB_iPKfiiiSD_SD_iiiii
                                        ; -- End function
	.section	.AMDGPU.csdata,"",@progbits
; Kernel info:
; codeLenInByte = 4988
; NumSgprs: 62
; NumVgprs: 59
; NumAgprs: 0
; TotalNumVgprs: 59
; ScratchSize: 0
; MemoryBound: 0
; FloatMode: 240
; IeeeMode: 1
; LDSByteSize: 144 bytes/workgroup (compile time only)
; SGPRBlocks: 7
; VGPRBlocks: 7
; NumSGPRsForWavesPerEU: 62
; NumVGPRsForWavesPerEU: 59
; AccumOffset: 60
; Occupancy: 8
; WaveLimiterHint : 1
; COMPUTE_PGM_RSRC2:SCRATCH_EN: 0
; COMPUTE_PGM_RSRC2:USER_SGPR: 2
; COMPUTE_PGM_RSRC2:TRAP_HANDLER: 0
; COMPUTE_PGM_RSRC2:TGID_X_EN: 1
; COMPUTE_PGM_RSRC2:TGID_Y_EN: 1
; COMPUTE_PGM_RSRC2:TGID_Z_EN: 1
; COMPUTE_PGM_RSRC2:TIDIG_COMP_CNT: 0
; COMPUTE_PGM_RSRC3_GFX90A:ACCUM_OFFSET: 14
; COMPUTE_PGM_RSRC3_GFX90A:TG_SPLIT: 0
	.section	.text._ZN4vllm25paged_attention_v2_kernelIfhLi64ELi32ELi128ELNS_18Fp8KVCacheDataTypeE1ELb1ELi512EEEvPfS2_PT_PKS3_PKT0_S9_ifPKiSB_iPKfiiiSD_SD_iiiii,"axG",@progbits,_ZN4vllm25paged_attention_v2_kernelIfhLi64ELi32ELi128ELNS_18Fp8KVCacheDataTypeE1ELb1ELi512EEEvPfS2_PT_PKS3_PKT0_S9_ifPKiSB_iPKfiiiSD_SD_iiiii,comdat
	.protected	_ZN4vllm25paged_attention_v2_kernelIfhLi64ELi32ELi128ELNS_18Fp8KVCacheDataTypeE1ELb1ELi512EEEvPfS2_PT_PKS3_PKT0_S9_ifPKiSB_iPKfiiiSD_SD_iiiii ; -- Begin function _ZN4vllm25paged_attention_v2_kernelIfhLi64ELi32ELi128ELNS_18Fp8KVCacheDataTypeE1ELb1ELi512EEEvPfS2_PT_PKS3_PKT0_S9_ifPKiSB_iPKfiiiSD_SD_iiiii
	.globl	_ZN4vllm25paged_attention_v2_kernelIfhLi64ELi32ELi128ELNS_18Fp8KVCacheDataTypeE1ELb1ELi512EEEvPfS2_PT_PKS3_PKT0_S9_ifPKiSB_iPKfiiiSD_SD_iiiii
	.p2align	8
	.type	_ZN4vllm25paged_attention_v2_kernelIfhLi64ELi32ELi128ELNS_18Fp8KVCacheDataTypeE1ELb1ELi512EEEvPfS2_PT_PKS3_PKT0_S9_ifPKiSB_iPKfiiiSD_SD_iiiii,@function
_ZN4vllm25paged_attention_v2_kernelIfhLi64ELi32ELi128ELNS_18Fp8KVCacheDataTypeE1ELb1ELi512EEEvPfS2_PT_PKS3_PKT0_S9_ifPKiSB_iPKfiiiSD_SD_iiiii: ; @_ZN4vllm25paged_attention_v2_kernelIfhLi64ELi32ELi128ELNS_18Fp8KVCacheDataTypeE1ELb1ELi512EEEvPfS2_PT_PKS3_PKT0_S9_ifPKiSB_iPKfiiiSD_SD_iiiii
; %bb.0:
	s_load_dwordx2 s[6:7], s[0:1], 0x40
	s_mov_b32 s34, s3
	s_ashr_i32 s35, s3, 31
	s_lshl_b64 s[8:9], s[34:35], 2
	s_waitcnt lgkmcnt(0)
	s_add_u32 s6, s6, s8
	s_addc_u32 s7, s7, s9
	s_load_dword s33, s[6:7], 0x0
	s_lshl_b32 s52, s4, 9
	s_waitcnt lgkmcnt(0)
	s_cmp_ge_i32 s52, s33
	s_cbranch_scc1 .LBB228_84
; %bb.1:
	s_load_dword s5, s[0:1], 0x90
	s_load_dwordx2 s[42:43], s[0:1], 0x30
	s_waitcnt lgkmcnt(0)
	s_abs_i32 s7, s5
	s_abs_i32 s3, s42
	v_cvt_f32_u32_e32 v1, s3
	s_sub_i32 s8, 0, s3
	s_xor_b32 s6, s5, s42
	s_ashr_i32 s6, s6, 31
	v_rcp_iflag_f32_e32 v1, v1
	s_nop 0
	v_mul_f32_e32 v1, 0x4f7ffffe, v1
	v_cvt_u32_f32_e32 v1, v1
	s_nop 0
	v_readfirstlane_b32 s9, v1
	s_mul_i32 s8, s8, s9
	s_mul_hi_u32 s8, s9, s8
	s_add_i32 s9, s9, s8
	s_mul_hi_u32 s8, s7, s9
	s_mul_i32 s9, s8, s3
	s_sub_i32 s7, s7, s9
	s_add_i32 s10, s8, 1
	s_sub_i32 s9, s7, s3
	s_cmp_ge_u32 s7, s3
	s_cselect_b32 s8, s10, s8
	s_cselect_b32 s7, s9, s7
	s_add_i32 s9, s8, 1
	s_cmp_ge_u32 s7, s3
	s_cselect_b32 s3, s9, s8
	s_xor_b32 s3, s3, s6
	s_sub_i32 s12, s3, s6
	s_abs_i32 s8, s12
	v_cvt_f32_u32_e32 v1, s8
	s_load_dwordx2 s[6:7], s[0:1], 0x50
	s_sub_i32 s10, 0, s8
	s_abs_i32 s9, s2
	v_rcp_iflag_f32_e32 v1, v1
	s_mov_b32 s3, 0
	v_mul_f32_e32 v1, 0x4f7ffffe, v1
	v_cvt_u32_f32_e32 v1, v1
	s_nop 0
	v_readfirstlane_b32 s11, v1
	s_mul_i32 s10, s10, s11
	s_mul_hi_u32 s10, s11, s10
	s_add_i32 s11, s11, s10
	s_waitcnt lgkmcnt(0)
	s_cmp_eq_u64 s[6:7], 0
	s_mul_hi_u32 s10, s9, s11
	s_cbranch_scc1 .LBB228_3
; %bb.2:
	s_ashr_i32 s3, s2, 31
	s_lshl_b64 s[14:15], s[2:3], 2
	s_add_u32 s6, s6, s14
	s_addc_u32 s7, s7, s15
	s_load_dword s3, s[6:7], 0x0
.LBB228_3:
	s_ashr_i32 s16, s12, 31
	s_load_dwordx4 s[12:15], s[0:1], 0x58
	s_ashr_i32 s11, s2, 31
	v_and_b32_e32 v6, 1, v0
	s_lshl_b32 s28, s2, 6
	v_cmp_gt_u32_e32 vcc, 32, v0
	v_lshlrev_b32_e32 v10, 2, v0
	s_and_saveexec_b64 s[6:7], vcc
	s_cbranch_execz .LBB228_5
; %bb.4:
	s_load_dwordx2 s[18:19], s[0:1], 0x18
	s_waitcnt lgkmcnt(0)
	s_mul_i32 s20, s34, s12
	s_ashr_i32 s21, s20, 31
	s_lshl_b64 s[20:21], s[20:21], 2
	v_lshlrev_b32_e32 v1, 3, v0
	s_add_u32 s12, s18, s20
	s_addc_u32 s15, s19, s21
	s_ashr_i32 s29, s28, 31
	s_lshl_b64 s[18:19], s[28:29], 2
	s_add_u32 s18, s12, s18
	s_addc_u32 s19, s15, s19
	global_load_dwordx2 v[2:3], v1, s[18:19]
	v_and_b32_e32 v1, 0xff8, v10
	v_lshl_add_u32 v1, v6, 7, v1
	s_waitcnt vmcnt(0)
	ds_write_b64 v1, v[2:3]
.LBB228_5:
	s_or_b64 exec, exec, s[6:7]
	s_mul_i32 s7, s10, s8
	s_sub_i32 s7, s9, s7
	s_xor_b32 s6, s11, s16
	s_add_i32 s9, s10, 1
	s_sub_i32 s11, s7, s8
	s_load_dwordx4 s[16:19], s[0:1], 0x78
	s_cmp_ge_u32 s7, s8
	s_cselect_b32 s9, s9, s10
	s_cselect_b32 s7, s11, s7
	s_add_i32 s10, s9, 1
	s_cmp_ge_u32 s7, s8
	s_cselect_b32 s7, s10, s9
	s_load_dword s10, s[0:1], 0x88
	s_waitcnt lgkmcnt(0)
	s_abs_i32 s35, s19
	v_cvt_f32_u32_e32 v1, s35
	s_xor_b32 s7, s7, s6
	s_sub_i32 s51, s7, s6
	s_sub_i32 s6, 0, s35
	v_rcp_iflag_f32_e32 v1, v1
	s_add_i32 s11, s33, -1
	s_abs_i32 s8, s11
	v_mul_f32_e32 v1, 0x4f7ffffe, v1
	v_cvt_u32_f32_e32 v1, v1
	s_barrier
	v_readfirstlane_b32 s48, v1
	s_mul_i32 s6, s6, s48
	s_mul_hi_u32 s6, s48, s6
	s_add_i32 s48, s48, s6
	s_cmp_lt_i32 s10, 0
	s_mul_hi_u32 s9, s8, s48
	s_cbranch_scc0 .LBB228_7
; %bb.6:
	s_mul_i32 s6, s16, s42
	s_add_i32 s6, s51, s6
	s_mul_i32 s6, s6, s10
	s_sub_i32 s42, 1, s6
	s_mov_b64 s[6:7], 0
	s_branch .LBB228_8
.LBB228_7:
	s_mov_b64 s[6:7], -1
                                        ; implicit-def: $sgpr42
.LBB228_8:
	s_load_dwordx2 s[36:37], s[0:1], 0x38
	s_ashr_i32 s11, s11, 31
	s_andn2_b64 vcc, exec, s[6:7]
	s_ashr_i32 s49, s19, 31
	s_cbranch_vccnz .LBB228_10
; %bb.9:
	s_mul_i32 s6, s5, s16
	s_add_i32 s6, s6, s2
	s_mul_i32 s6, s6, s10
	s_add_i32 s42, s6, 1
.LBB228_10:
	s_load_dwordx2 s[40:41], s[0:1], 0x28
	s_load_dword s6, s[0:1], 0x48
	s_load_dwordx4 s[24:27], s[0:1], 0x0
	s_load_dwordx2 s[30:31], s[0:1], 0x10
	s_load_dword s29, s[0:1], 0x98
	s_load_dwordx4 s[20:23], s[0:1], 0x68
	s_mul_i32 s7, s9, s35
	s_waitcnt lgkmcnt(0)
	s_mul_i32 s38, s34, s6
	s_sub_i32 s7, s8, s7
	s_ashr_i32 s39, s38, 31
	s_xor_b32 s6, s11, s49
	s_add_i32 s8, s9, 1
	s_sub_i32 s10, s7, s35
	s_cmp_ge_u32 s7, s35
	s_cselect_b32 s8, s8, s9
	s_cselect_b32 s7, s10, s7
	s_add_i32 s9, s8, 1
	s_cmp_ge_u32 s7, s35
	s_cselect_b32 s7, s9, s8
	s_xor_b32 s7, s7, s6
	s_sub_i32 s19, s7, s6
	s_add_i32 s6, s33, 31
	s_ashr_i32 s7, s6, 31
	s_lshr_b32 s7, s7, 27
	s_add_i32 s6, s6, s7
	s_lshl_b32 s12, s4, 4
	s_ashr_i32 s16, s6, 5
	s_add_i32 s6, s12, 16
	v_lshrrev_b32_e32 v11, 6, v0
	s_min_i32 s50, s6, s16
	v_or_b32_e32 v14, s12, v11
	v_cmp_gt_i32_e64 s[8:9], s50, v14
	v_mov_b32_e32 v13, 0xff7fffff
	s_mul_i32 s51, s51, s14
	v_ashrrev_i32_e32 v15, 31, v14
	v_lshl_add_u32 v1, v11, 5, s52
	v_mbcnt_lo_u32_b32 v8, -1, 0
	s_and_saveexec_b64 s[14:15], s[8:9]
	s_cbranch_execz .LBB228_20
; %bb.11:
	s_load_dwordx2 s[0:1], s[0:1], 0x20
	s_sub_i32 s53, s19, s17
	s_ashr_i32 s6, s51, 31
	v_bfe_u32 v9, v0, 1, 5
	v_mov_b32_e32 v3, 0
	s_waitcnt lgkmcnt(0)
	s_add_u32 s0, s0, s51
	s_addc_u32 s1, s1, s6
	s_abs_i32 s54, s18
	v_cvt_f32_u32_e32 v2, s54
	v_lshlrev_b32_e32 v13, 2, v9
	v_cmp_eq_u32_e32 vcc, 0, v6
	v_lshlrev_b32_e32 v12, 7, v6
	v_rcp_iflag_f32_e32 v4, v2
	v_lshlrev_b32_e32 v2, 4, v9
	v_lshl_or_b32 v13, v11, 7, v13
	v_add_u32_e32 v18, 0x110, v13
	v_mul_f32_e32 v4, 0x4f7ffffe, v4
	v_cvt_u32_f32_e32 v7, v4
	v_lshl_add_u64 v[4:5], s[0:1], 0, v[2:3]
	s_sub_i32 s0, 0, s54
	v_lshlrev_b32_e32 v2, 1, v6
	v_mul_lo_u32 v6, s0, v7
	s_lshl_b64 s[0:1], s[38:39], 2
	s_add_u32 s0, s36, s0
	v_subrev_u32_e32 v13, s33, v9
	v_mbcnt_hi_u32_b32 v21, -1, v8
	v_mul_hi_u32 v6, v7, v6
	s_addc_u32 s1, s37, s1
	v_add_u32_e32 v19, 1, v13
	v_and_b32_e32 v13, 64, v21
	s_mov_b32 s55, s13
	v_cmp_neq_f32_e64 s[6:7], s3, 0
	v_add_u32_e32 v16, v7, v6
	v_lshl_add_u64 v[6:7], v[14:15], 2, s[0:1]
	v_lshl_add_u32 v17, v11, 5, s52
	s_mov_b64 s[44:45], 0
	v_mov_b32_e32 v20, 0xff7fffff
	v_xor_b32_e32 v22, 1, v21
	v_add_u32_e32 v23, 64, v13
	v_mov_b32_e32 v13, 0xff7fffff
	v_mov_b32_e32 v24, v14
	s_branch .LBB228_14
.LBB228_12:                             ;   in Loop: Header=BB228_14 Depth=1
	s_or_b64 exec, exec, s[46:47]
.LBB228_13:                             ;   in Loop: Header=BB228_14 Depth=1
	s_or_b64 exec, exec, s[10:11]
	v_add_u32_e32 v24, 2, v24
	v_cmp_le_i32_e64 s[0:1], s50, v24
	v_lshl_add_u64 v[6:7], v[6:7], 0, 8
	v_add_u32_e32 v17, 64, v17
	s_or_b64 s[44:45], s[0:1], s[44:45]
	v_add_u32_e32 v18, 0x100, v18
	s_andn2_b64 exec, exec, s[44:45]
	s_cbranch_execz .LBB228_19
.LBB228_14:                             ; =>This Inner Loop Header: Depth=1
	s_waitcnt lgkmcnt(0)
	v_sub_u32_e32 v26, 0, v17
	v_max_i32_e32 v26, v17, v26
	v_mul_hi_u32 v27, v26, s48
	v_mul_lo_u32 v28, v27, s35
	v_sub_u32_e32 v26, v26, v28
	v_add_u32_e32 v28, 1, v27
	v_cmp_le_u32_e64 s[0:1], s35, v26
	v_ashrrev_i32_e32 v25, 31, v17
	v_xor_b32_e32 v25, s49, v25
	v_cndmask_b32_e64 v27, v27, v28, s[0:1]
	v_subrev_u32_e32 v28, s35, v26
	v_cndmask_b32_e64 v26, v26, v28, s[0:1]
	v_add_u32_e32 v28, 1, v27
	v_cmp_le_u32_e64 s[0:1], s35, v26
	s_nop 1
	v_cndmask_b32_e64 v26, v27, v28, s[0:1]
	v_xor_b32_e32 v26, v26, v25
	v_sub_u32_e32 v25, v26, v25
	v_add_u32_e32 v26, s42, v25
	v_sub_u32_e32 v28, 0, v26
	v_ashrrev_i32_e32 v27, 31, v26
	v_max_i32_e32 v26, v26, v28
	v_mul_hi_u32 v28, v26, v16
	v_mul_lo_u32 v28, v28, s54
	v_sub_u32_e32 v26, v26, v28
	v_subrev_u32_e32 v28, s54, v26
	v_cmp_le_u32_e64 s[0:1], s54, v26
	v_cmp_ge_i32_e64 s[10:11], s53, v25
	s_nop 0
	v_cndmask_b32_e64 v26, v26, v28, s[0:1]
	v_subrev_u32_e32 v28, s54, v26
	v_cmp_le_u32_e64 s[0:1], s54, v26
	s_nop 1
	v_cndmask_b32_e64 v26, v26, v28, s[0:1]
	v_xor_b32_e32 v26, v26, v27
	v_sub_u32_e32 v26, v26, v27
	v_cmp_ne_u32_e64 s[0:1], 0, v26
	s_and_b64 s[0:1], s[0:1], s[10:11]
	s_and_b64 s[46:47], vcc, s[0:1]
	s_and_saveexec_b64 s[10:11], s[46:47]
	s_cbranch_execz .LBB228_16
; %bb.15:                               ;   in Loop: Header=BB228_14 Depth=1
	ds_write_b32 v18, v20
.LBB228_16:                             ;   in Loop: Header=BB228_14 Depth=1
	s_or_b64 exec, exec, s[10:11]
	s_xor_b64 s[0:1], s[0:1], -1
	s_and_saveexec_b64 s[10:11], s[0:1]
	s_cbranch_execz .LBB228_13
; %bb.17:                               ;   in Loop: Header=BB228_14 Depth=1
	global_load_dword v25, v[6:7], off
	s_waitcnt vmcnt(0)
	v_mad_i64_i32 v[26:27], s[0:1], v25, s55, v[4:5]
	v_lshl_add_u64 v[26:27], v[26:27], 0, v[2:3]
	global_load_ushort v25, v[26:27], off offset:8
	global_load_ushort v64, v[26:27], off offset:12
	;; [unrolled: 1-line block ×7, first 2 shown]
	global_load_ushort v60, v[26:27], off
	global_load_ushort v74, v[26:27], off offset:1024
	global_load_ushort v76, v[26:27], off offset:1028
	global_load_ushort v78, v[26:27], off offset:1032
	global_load_ushort v80, v[26:27], off offset:1036
	global_load_ushort v82, v[26:27], off offset:1536
	global_load_ushort v84, v[26:27], off offset:1540
	global_load_ushort v86, v[26:27], off offset:1544
	global_load_ushort v88, v[26:27], off offset:1548
	v_cmp_lt_i32_e64 s[0:1], v22, v23
	ds_read_b128 v[26:29], v12
	ds_read_b128 v[30:33], v12 offset:16
	ds_read_b128 v[34:37], v12 offset:32
	;; [unrolled: 1-line block ×3, first 2 shown]
	s_load_dword s46, s[20:21], 0x0
	v_cndmask_b32_e64 v59, v21, v22, s[0:1]
	v_lshlrev_b32_e32 v90, 2, v59
	ds_read_b128 v[42:45], v12 offset:64
	ds_read_b128 v[46:49], v12 offset:80
	;; [unrolled: 1-line block ×4, first 2 shown]
	s_waitcnt vmcnt(15)
	v_cvt_pk_f32_fp8_e32 v[62:63], v25
	s_waitcnt vmcnt(14)
	v_cvt_pk_f32_fp8_e32 v[64:65], v64
	s_waitcnt vmcnt(13)
	v_cvt_pk_f32_fp8_e32 v[66:67], v66
	s_waitcnt vmcnt(12)
	v_cvt_pk_f32_fp8_e32 v[68:69], v68
	s_waitcnt vmcnt(11)
	v_cvt_pk_f32_fp8_e32 v[70:71], v70
	s_waitcnt lgkmcnt(0)
	v_pk_mul_f32 v[62:63], s[46:47], v[62:63] op_sel_hi:[0,1]
	s_waitcnt vmcnt(9)
	v_cvt_pk_f32_fp8_e32 v[58:59], v58
	s_waitcnt vmcnt(8)
	v_cvt_pk_f32_fp8_e32 v[60:61], v60
	v_cvt_pk_f32_fp8_e32 v[72:73], v72
	v_pk_mul_f32 v[64:65], s[46:47], v[64:65] op_sel_hi:[0,1]
	v_pk_mul_f32 v[58:59], s[46:47], v[58:59] op_sel_hi:[0,1]
	;; [unrolled: 1-line block ×3, first 2 shown]
	v_mul_f32_e32 v25, v28, v58
	v_mul_f32_e32 v28, v29, v59
	v_fmac_f32_e32 v25, v26, v60
	v_fmac_f32_e32 v28, v27, v61
	;; [unrolled: 1-line block ×4, first 2 shown]
	s_waitcnt vmcnt(7)
	v_cvt_pk_f32_fp8_e32 v[74:75], v74
	v_pk_mul_f32 v[66:67], s[46:47], v[66:67] op_sel_hi:[0,1]
	v_fmac_f32_e32 v25, v32, v64
	v_fmac_f32_e32 v28, v33, v65
	s_waitcnt vmcnt(6)
	v_cvt_pk_f32_fp8_e32 v[76:77], v76
	v_pk_mul_f32 v[68:69], s[46:47], v[68:69] op_sel_hi:[0,1]
	v_fmac_f32_e32 v25, v34, v66
	v_fmac_f32_e32 v28, v35, v67
	;; [unrolled: 5-line block ×8, first 2 shown]
	v_pk_mul_f32 v[82:83], s[46:47], v[82:83] op_sel_hi:[0,1]
	v_fmac_f32_e32 v25, v48, v80
	v_fmac_f32_e32 v28, v49, v81
	v_pk_mul_f32 v[84:85], s[46:47], v[84:85] op_sel_hi:[0,1]
	v_fmac_f32_e32 v25, v50, v82
	v_fmac_f32_e32 v28, v51, v83
	;; [unrolled: 3-line block ×4, first 2 shown]
	v_fmac_f32_e32 v25, v56, v88
	v_fmac_f32_e32 v28, v57, v89
	v_add_f32_e32 v25, v25, v28
	ds_bpermute_b32 v26, v90, v25
	s_and_saveexec_b64 s[46:47], vcc
	s_cbranch_execz .LBB228_12
; %bb.18:                               ;   in Loop: Header=BB228_14 Depth=1
	v_add_u32_e32 v27, v19, v17
	v_cvt_f32_i32_e32 v27, v27
	s_waitcnt lgkmcnt(0)
	v_add_f32_e32 v25, v25, v26
	v_add_u32_e32 v28, v9, v17
	v_cmp_gt_i32_e64 s[0:1], s33, v28
	v_mul_f32_e32 v26, s3, v27
	v_cndmask_b32_e64 v26, 0, v26, s[6:7]
	v_fmac_f32_e32 v26, s43, v25
	v_cndmask_b32_e64 v25, 0, v26, s[0:1]
	ds_write_b32 v18, v25
	v_max_f32_e32 v25, v13, v13
	v_max_f32_e32 v25, v25, v26
	v_cndmask_b32_e64 v13, v13, v25, s[0:1]
	s_branch .LBB228_12
.LBB228_19:
	s_or_b64 exec, exec, s[44:45]
.LBB228_20:
	s_or_b64 exec, exec, s[14:15]
	v_mbcnt_hi_u32_b32 v4, -1, v8
	v_and_b32_e32 v2, 64, v4
	v_add_u32_e32 v8, 64, v2
	v_xor_b32_e32 v2, 32, v4
	v_cmp_lt_i32_e32 vcc, v2, v8
	v_xor_b32_e32 v6, 16, v4
	v_max_f32_e32 v5, v13, v13
	v_cndmask_b32_e32 v2, v4, v2, vcc
	v_lshlrev_b32_e32 v2, 2, v2
	ds_bpermute_b32 v3, v2, v13
	v_cmp_lt_i32_e32 vcc, v6, v8
	v_xor_b32_e32 v7, 8, v4
	v_xor_b32_e32 v9, 4, v4
	v_and_b32_e32 v52, 63, v0
	s_waitcnt lgkmcnt(0)
	v_max_f32_e32 v3, v3, v3
	v_max_f32_e32 v5, v5, v3
	v_cndmask_b32_e32 v3, v4, v6, vcc
	v_lshlrev_b32_e32 v3, 2, v3
	ds_bpermute_b32 v6, v3, v5
	v_cmp_lt_i32_e32 vcc, v7, v8
	s_waitcnt lgkmcnt(0)
	v_max_f32_e32 v6, v6, v6
	v_max_f32_e32 v6, v5, v6
	v_cndmask_b32_e32 v5, v4, v7, vcc
	v_lshlrev_b32_e32 v5, 2, v5
	ds_bpermute_b32 v7, v5, v6
	v_cmp_lt_i32_e32 vcc, v9, v8
	s_waitcnt lgkmcnt(0)
	v_max_f32_e32 v7, v7, v7
	v_max_f32_e32 v6, v6, v7
	v_cndmask_b32_e32 v7, v4, v9, vcc
	v_lshlrev_b32_e32 v54, 2, v7
	ds_bpermute_b32 v7, v54, v6
	v_xor_b32_e32 v9, 2, v4
	v_cmp_lt_i32_e32 vcc, v9, v8
	s_waitcnt lgkmcnt(0)
	v_max_f32_e32 v7, v7, v7
	v_max_f32_e32 v7, v6, v7
	v_cndmask_b32_e32 v6, v4, v9, vcc
	v_lshlrev_b32_e32 v53, 2, v6
	ds_bpermute_b32 v9, v53, v7
	v_cmp_eq_u32_e32 vcc, 0, v52
	v_lshlrev_b32_e32 v6, 2, v11
	s_and_saveexec_b64 s[0:1], vcc
	s_cbranch_execz .LBB228_22
; %bb.21:
	s_waitcnt lgkmcnt(0)
	v_max_f32_e32 v9, v9, v9
	v_max_f32_e32 v7, v7, v7
	;; [unrolled: 1-line block ×3, first 2 shown]
	ds_write_b32 v6, v7 offset:256
.LBB228_22:
	s_or_b64 exec, exec, s[0:1]
	v_cmp_gt_u32_e64 s[0:1], 2, v52
	s_waitcnt lgkmcnt(0)
	v_mov_b32_e32 v9, 0xff7fffff
	v_lshlrev_b32_e32 v7, 2, v52
	s_barrier
	s_and_saveexec_b64 s[6:7], s[0:1]
	s_cbranch_execz .LBB228_24
; %bb.23:
	ds_read_b32 v9, v7 offset:256
.LBB228_24:
	s_or_b64 exec, exec, s[6:7]
	v_xor_b32_e32 v12, 1, v4
	v_cmp_lt_i32_e64 s[6:7], v12, v8
	s_sub_i32 s3, s50, s12
	s_lshl_b32 s3, s3, 5
	v_cndmask_b32_e64 v8, v4, v12, s[6:7]
	v_lshlrev_b32_e32 v55, 2, v8
	s_waitcnt lgkmcnt(0)
	ds_bpermute_b32 v8, v55, v9
	v_max_f32_e32 v9, v9, v9
	v_lshlrev_b32_e32 v4, 2, v4
	s_add_i32 s3, s3, s52
	s_min_i32 s12, s3, s33
	s_waitcnt lgkmcnt(0)
	v_max_f32_e32 v8, v8, v8
	v_max_f32_e32 v9, v9, v8
	v_and_b32_e32 v8, 0x100, v4
	ds_bpermute_b32 v4, v8, v9
	s_sub_i32 s3, s12, s52
	v_cmp_gt_i32_e64 s[6:7], s3, v0
	v_mov_b32_e32 v9, 0
	s_and_saveexec_b64 s[14:15], s[6:7]
	s_cbranch_execz .LBB228_28
; %bb.25:
	v_mov_b32_e32 v9, 0x110
	v_lshl_add_u32 v12, v0, 2, v9
	s_mov_b64 s[20:21], 0
	v_mov_b32_e32 v9, 0
	v_mov_b32_e32 v13, v0
.LBB228_26:                             ; =>This Inner Loop Header: Depth=1
	ds_read_b32 v16, v12
	v_add_u32_e32 v13, 0x80, v13
	v_cmp_le_i32_e64 s[10:11], s3, v13
	s_or_b64 s[20:21], s[10:11], s[20:21]
	s_waitcnt lgkmcnt(0)
	v_sub_f32_e32 v16, v16, v4
	v_mul_f32_e32 v16, 0x3fb8aa3b, v16
	v_exp_f32_e32 v16, v16
	ds_write_b32 v12, v16
	v_add_f32_e32 v9, v9, v16
	v_add_u32_e32 v12, 0x200, v12
	s_andn2_b64 exec, exec, s[20:21]
	s_cbranch_execnz .LBB228_26
; %bb.27:
	s_or_b64 exec, exec, s[20:21]
.LBB228_28:
	s_or_b64 exec, exec, s[14:15]
	ds_bpermute_b32 v2, v2, v9
	s_waitcnt lgkmcnt(0)
	v_add_f32_e32 v2, v9, v2
	ds_bpermute_b32 v3, v3, v2
	s_waitcnt lgkmcnt(0)
	v_add_f32_e32 v2, v2, v3
	;; [unrolled: 3-line block ×6, first 2 shown]
	s_and_saveexec_b64 s[10:11], vcc
	s_cbranch_execz .LBB228_30
; %bb.29:
	ds_write_b32 v6, v2 offset:264
.LBB228_30:
	s_or_b64 exec, exec, s[10:11]
	s_waitcnt lgkmcnt(0)
	s_barrier
	s_and_saveexec_b64 s[10:11], s[0:1]
	s_cbranch_execz .LBB228_32
; %bb.31:
	ds_read_b32 v2, v7 offset:264
.LBB228_32:
	s_or_b64 exec, exec, s[10:11]
	s_waitcnt lgkmcnt(0)
	ds_bpermute_b32 v3, v55, v2
	s_waitcnt lgkmcnt(0)
	v_add_f32_e32 v2, v2, v3
	ds_bpermute_b32 v5, v8, v2
	s_and_saveexec_b64 s[0:1], s[6:7]
	s_cbranch_execz .LBB228_45
; %bb.33:
	s_waitcnt lgkmcnt(0)
	v_add_f32_e32 v2, 0x358637bd, v5
	v_div_scale_f32 v3, s[6:7], v2, v2, 1.0
	v_rcp_f32_e32 v6, v3
	v_div_scale_f32 v7, vcc, 1.0, v2, 1.0
	s_movk_i32 s6, 0x7f
	v_fma_f32 v8, -v3, v6, 1.0
	v_fmac_f32_e32 v6, v8, v6
	v_mul_f32_e32 v8, v7, v6
	v_fma_f32 v9, -v3, v8, v7
	v_fmac_f32_e32 v8, v9, v6
	v_fma_f32 v3, -v3, v8, v7
	v_div_fmas_f32 v3, v3, v6, v8
	v_div_fixup_f32 v2, v3, v2, 1.0
	v_xad_u32 v3, v0, -1, s12
	v_subrev_u32_e32 v6, s52, v3
	v_cmp_lt_u32_e32 vcc, s6, v6
	s_mov_b64 s[10:11], -1
	v_mov_b32_e32 v3, v0
	s_and_saveexec_b64 s[6:7], vcc
	s_cbranch_execz .LBB228_42
; %bb.34:
	v_lshrrev_b32_e32 v6, 7, v6
	v_add_u32_e32 v8, -1, v6
	v_lshrrev_b32_e32 v7, 1, v8
	v_mov_b32_e32 v3, v2
	v_add_u32_e32 v7, 1, v7
	v_cmp_lt_u32_e32 vcc, 13, v8
	v_mov_b32_e32 v12, 0
	s_and_saveexec_b64 s[10:11], vcc
	s_cbranch_execz .LBB228_38
; %bb.35:
	v_mov_b32_e32 v9, 0x110
	v_and_b32_e32 v8, -8, v7
	v_lshl_add_u32 v9, v0, 2, v9
	s_mov_b32 s12, 0
	s_mov_b64 s[14:15], 0
.LBB228_36:                             ; =>This Inner Loop Header: Depth=1
	ds_read2st64_b32 v[12:13], v9 offset1:2
	ds_read2st64_b32 v[16:17], v9 offset0:4 offset1:6
	ds_read2st64_b32 v[18:19], v9 offset0:8 offset1:10
	;; [unrolled: 1-line block ×3, first 2 shown]
	v_add_u32_e32 v8, -8, v8
	s_waitcnt lgkmcnt(3)
	v_pk_mul_f32 v[12:13], v[2:3], v[12:13]
	s_waitcnt lgkmcnt(2)
	v_pk_mul_f32 v[16:17], v[2:3], v[16:17]
	ds_write2st64_b32 v9, v12, v13 offset1:2
	ds_write2st64_b32 v9, v16, v17 offset0:4 offset1:6
	ds_read2st64_b32 v[16:17], v9 offset0:16 offset1:18
	s_waitcnt lgkmcnt(4)
	v_pk_mul_f32 v[12:13], v[2:3], v[18:19]
	ds_write2st64_b32 v9, v12, v13 offset0:8 offset1:10
	s_waitcnt lgkmcnt(4)
	v_pk_mul_f32 v[12:13], v[2:3], v[20:21]
	ds_write2st64_b32 v9, v12, v13 offset0:12 offset1:14
	ds_read2st64_b32 v[12:13], v9 offset0:20 offset1:22
	s_waitcnt lgkmcnt(3)
	v_pk_mul_f32 v[16:17], v[2:3], v[16:17]
	ds_read2st64_b32 v[18:19], v9 offset0:24 offset1:26
	ds_write2st64_b32 v9, v16, v17 offset0:16 offset1:18
	ds_read2st64_b32 v[16:17], v9 offset0:28 offset1:30
	s_waitcnt lgkmcnt(3)
	v_pk_mul_f32 v[12:13], v[2:3], v[12:13]
	ds_write2st64_b32 v9, v12, v13 offset0:20 offset1:22
	s_waitcnt lgkmcnt(3)
	v_pk_mul_f32 v[12:13], v[2:3], v[18:19]
	ds_write2st64_b32 v9, v12, v13 offset0:24 offset1:26
	s_waitcnt lgkmcnt(2)
	v_pk_mul_f32 v[12:13], v[2:3], v[16:17]
	s_add_i32 s12, s12, 16
	v_cmp_eq_u32_e32 vcc, 0, v8
	ds_write2st64_b32 v9, v12, v13 offset0:28 offset1:30
	v_add_u32_e32 v9, 0x2000, v9
	s_or_b64 s[14:15], vcc, s[14:15]
	v_mov_b32_e32 v12, s12
	s_andn2_b64 exec, exec, s[14:15]
	s_cbranch_execnz .LBB228_36
; %bb.37:
	s_or_b64 exec, exec, s[14:15]
.LBB228_38:
	s_or_b64 exec, exec, s[10:11]
	v_and_b32_e32 v7, 7, v7
	v_cmp_ne_u32_e32 vcc, 0, v7
	s_and_saveexec_b64 s[10:11], vcc
	s_cbranch_execz .LBB228_41
; %bb.39:
	v_lshlrev_b32_e32 v8, 9, v12
	s_movk_i32 s12, 0x110
	v_add3_u32 v8, v8, v10, s12
	s_mov_b64 s[14:15], 0
.LBB228_40:                             ; =>This Inner Loop Header: Depth=1
	ds_read2st64_b32 v[12:13], v8 offset1:2
	v_add_u32_e32 v7, -1, v7
	v_cmp_eq_u32_e32 vcc, 0, v7
	s_or_b64 s[14:15], vcc, s[14:15]
	s_waitcnt lgkmcnt(0)
	v_pk_mul_f32 v[12:13], v[2:3], v[12:13]
	ds_write2st64_b32 v8, v12, v13 offset1:2
	v_add_u32_e32 v8, 0x400, v8
	s_andn2_b64 exec, exec, s[14:15]
	s_cbranch_execnz .LBB228_40
.LBB228_41:
	s_or_b64 exec, exec, s[10:11]
	v_add_u32_e32 v6, 1, v6
	v_and_b32_e32 v7, 0x3fffffe, v6
	v_cmp_ne_u32_e32 vcc, v6, v7
	v_lshl_add_u32 v3, v7, 7, v0
	s_orn2_b64 s[10:11], vcc, exec
.LBB228_42:
	s_or_b64 exec, exec, s[6:7]
	s_and_b64 exec, exec, s[10:11]
	s_cbranch_execz .LBB228_45
; %bb.43:
	v_mov_b32_e32 v6, 0x110
	v_lshl_add_u32 v6, v3, 2, v6
	s_mov_b64 s[6:7], 0
.LBB228_44:                             ; =>This Inner Loop Header: Depth=1
	ds_read_b32 v7, v6
	v_add_u32_e32 v3, 0x80, v3
	v_cmp_le_i32_e32 vcc, s3, v3
	s_or_b64 s[6:7], vcc, s[6:7]
	s_waitcnt lgkmcnt(0)
	v_mul_f32_e32 v7, v2, v7
	ds_write_b32 v6, v7
	v_add_u32_e32 v6, 0x200, v6
	s_andn2_b64 exec, exec, s[6:7]
	s_cbranch_execnz .LBB228_44
.LBB228_45:
	s_or_b64 exec, exec, s[0:1]
	s_mul_i32 s0, s29, s34
	v_cmp_eq_u32_e32 vcc, 0, v0
	s_mul_i32 s6, s0, s5
	s_waitcnt lgkmcnt(0)
	s_barrier
	s_and_saveexec_b64 s[0:1], vcc
	s_cbranch_execz .LBB228_47
; %bb.46:
	s_ashr_i32 s7, s6, 31
	s_lshl_b64 s[10:11], s[6:7], 2
	s_add_u32 s5, s26, s10
	s_mul_i32 s2, s29, s2
	s_addc_u32 s7, s27, s11
	s_ashr_i32 s3, s2, 31
	s_lshl_b64 s[2:3], s[2:3], 2
	s_add_u32 s12, s5, s2
	s_addc_u32 s7, s7, s3
	s_ashr_i32 s5, s4, 31
	s_lshl_b64 s[14:15], s[4:5], 2
	s_add_u32 s20, s12, s14
	s_addc_u32 s21, s7, s15
	s_add_u32 s5, s24, s10
	s_addc_u32 s7, s25, s11
	;; [unrolled: 2-line block ×3, first 2 shown]
	s_add_u32 s2, s2, s14
	v_mov_b32_e32 v2, 0
	s_addc_u32 s3, s3, s15
	global_store_dword v2, v4, s[20:21]
	global_store_dword v2, v5, s[2:3]
.LBB228_47:
	s_or_b64 exec, exec, s[0:1]
	s_mov_b32 s12, 0
	v_mov_b32_e32 v9, 0
	v_and_b32_e32 v56, 7, v0
	v_mov_b32_e32 v8, 0
	v_mov_b32_e32 v7, 0
	;; [unrolled: 1-line block ×7, first 2 shown]
	s_and_saveexec_b64 s[2:3], s[8:9]
	s_cbranch_execz .LBB228_69
; %bb.48:
	s_sub_i32 s5, s19, s17
	s_ashr_i32 s1, s51, 31
	s_add_u32 s0, s40, s51
	s_addc_u32 s1, s41, s1
	s_abs_i32 s7, s18
	v_cvt_f32_u32_e32 v2, s7
	v_mov_b32_e32 v3, 0
	s_sub_i32 s8, 0, s7
	s_add_i32 s21, s16, -1
	v_rcp_iflag_f32_e32 v4, v2
	v_and_b32_e32 v2, 0xfc, v10
	v_lshl_add_u64 v[16:17], s[0:1], 0, v[2:3]
	s_lshl_b64 s[0:1], s[38:39], 2
	v_mul_f32_e32 v4, 0x4f7ffffe, v4
	v_cvt_u32_f32_e32 v4, v4
	s_add_u32 s0, s36, s0
	s_mov_b32 s20, s13
	s_addc_u32 s1, s37, s1
	v_mul_lo_u32 v2, s8, v4
	v_mul_hi_u32 v2, v4, v2
	v_add_u32_e32 v58, v4, v2
	v_lshlrev_b32_e32 v2, 4, v56
	v_lshl_or_b32 v2, v11, 7, v2
	s_mov_b32 s13, s12
	v_lshl_add_u64 v[18:19], v[14:15], 2, s[0:1]
	v_add_u32_e32 v15, 0x110, v2
	s_mov_b32 s14, s12
	s_mov_b32 s15, s12
	;; [unrolled: 1-line block ×6, first 2 shown]
	v_mov_b64_e32 v[2:3], s[12:13]
	v_and_b32_e32 v57, 28, v10
	s_mov_b64 s[8:9], 0
	v_mov_b64_e32 v[4:5], s[14:15]
	v_mov_b64_e32 v[6:7], s[16:17]
	;; [unrolled: 1-line block ×3, first 2 shown]
	s_branch .LBB228_51
.LBB228_49:                             ;   in Loop: Header=BB228_51 Depth=1
	s_or_b64 exec, exec, s[0:1]
	v_mul_f32_e32 v23, v11, v23
	v_fmac_f32_e32 v23, v10, v22
	v_fmac_f32_e32 v23, v12, v20
	v_mul_f32_e32 v20, v11, v29
	v_fmac_f32_e32 v20, v10, v28
	v_fmac_f32_e32 v20, v12, v26
	v_fmac_f32_e32 v20, v13, v27
	v_add_f32_e32 v3, v3, v20
	v_mul_f32_e32 v20, v11, v33
	v_fmac_f32_e32 v20, v10, v32
	v_fmac_f32_e32 v20, v12, v30
	v_fmac_f32_e32 v20, v13, v31
	v_add_f32_e32 v4, v4, v20
	;; [unrolled: 5-line block ×5, first 2 shown]
	v_mul_f32_e32 v20, v11, v49
	v_mul_f32_e32 v11, v11, v51
	v_fmac_f32_e32 v20, v10, v48
	v_fmac_f32_e32 v11, v10, v50
	;; [unrolled: 1-line block ×7, first 2 shown]
	v_add_f32_e32 v2, v2, v23
	v_add_f32_e32 v8, v8, v20
	;; [unrolled: 1-line block ×3, first 2 shown]
.LBB228_50:                             ;   in Loop: Header=BB228_51 Depth=1
	s_or_b64 exec, exec, s[10:11]
	v_add_u32_e32 v14, 2, v14
	v_cmp_le_i32_e32 vcc, s50, v14
	v_lshl_add_u64 v[18:19], v[18:19], 0, 8
	v_add_u32_e32 v1, 64, v1
	s_or_b64 s[8:9], vcc, s[8:9]
	v_add_u32_e32 v15, 0x100, v15
	s_andn2_b64 exec, exec, s[8:9]
	s_cbranch_execz .LBB228_68
.LBB228_51:                             ; =>This Inner Loop Header: Depth=1
	v_sub_u32_e32 v11, 0, v1
	v_max_i32_e32 v11, v1, v11
	v_mul_hi_u32 v12, v11, s48
	v_mul_lo_u32 v13, v12, s35
	v_sub_u32_e32 v11, v11, v13
	v_add_u32_e32 v13, 1, v12
	v_cmp_le_u32_e32 vcc, s35, v11
	v_ashrrev_i32_e32 v10, 31, v1
	v_xor_b32_e32 v10, s49, v10
	v_cndmask_b32_e32 v12, v12, v13, vcc
	v_subrev_u32_e32 v13, s35, v11
	v_cndmask_b32_e32 v11, v11, v13, vcc
	v_add_u32_e32 v13, 1, v12
	v_cmp_le_u32_e32 vcc, s35, v11
	s_nop 1
	v_cndmask_b32_e32 v11, v12, v13, vcc
	v_xor_b32_e32 v11, v11, v10
	v_sub_u32_e32 v10, v11, v10
	v_add_u32_e32 v11, s42, v10
	v_sub_u32_e32 v13, 0, v11
	v_ashrrev_i32_e32 v12, 31, v11
	v_max_i32_e32 v11, v11, v13
	v_mul_hi_u32 v13, v11, v58
	v_mul_lo_u32 v13, v13, s7
	v_sub_u32_e32 v11, v11, v13
	v_subrev_u32_e32 v13, s7, v11
	v_cmp_le_u32_e32 vcc, s7, v11
	v_cmp_lt_i32_e64 s[0:1], s5, v10
	s_nop 0
	v_cndmask_b32_e32 v11, v11, v13, vcc
	v_subrev_u32_e32 v13, s7, v11
	v_cmp_le_u32_e32 vcc, s7, v11
	s_nop 1
	v_cndmask_b32_e32 v11, v11, v13, vcc
	v_xor_b32_e32 v11, v11, v12
	v_sub_u32_e32 v11, v11, v12
	v_cmp_eq_u32_e32 vcc, 0, v11
	s_or_b64 s[0:1], vcc, s[0:1]
	s_and_saveexec_b64 s[10:11], s[0:1]
	s_cbranch_execz .LBB228_50
; %bb.52:                               ;   in Loop: Header=BB228_51 Depth=1
	global_load_dword v10, v[18:19], off
	s_load_dword s12, s[22:23], 0x0
	v_add_u32_e32 v59, v57, v1
	v_cmp_eq_u32_e32 vcc, s21, v14
	v_add_u32_e32 v61, 1, v59
	v_add_u32_e32 v60, 2, v59
	v_add_u32_e32 v62, 3, v59
	s_waitcnt vmcnt(0)
	v_mad_i64_i32 v[24:25], s[0:1], v10, s20, v[16:17]
	global_load_dword v20, v[24:25], off
	ds_read_b128 v[10:13], v15
	s_waitcnt vmcnt(0)
	v_and_b32_e32 v21, 0xffff, v20
	v_lshrrev_b32_e32 v22, 16, v20
	v_cvt_pk_f32_fp8_e32 v[20:21], v21
	v_cvt_pk_f32_fp8_e32 v[26:27], v22
	s_waitcnt lgkmcnt(0)
	v_pk_mul_f32 v[22:23], s[12:13], v[20:21] op_sel_hi:[0,1]
	v_pk_mul_f32 v[20:21], s[12:13], v[26:27] op_sel_hi:[0,1]
	s_and_saveexec_b64 s[14:15], vcc
; %bb.53:                               ;   in Loop: Header=BB228_51 Depth=1
	v_cmp_gt_i32_e64 s[0:1], s33, v59
	s_nop 1
	v_cndmask_b32_e64 v22, 0, v22, s[0:1]
	v_cmp_gt_i32_e64 s[0:1], s33, v61
	s_nop 1
	v_cndmask_b32_e64 v23, 0, v23, s[0:1]
	;; [unrolled: 3-line block ×4, first 2 shown]
; %bb.54:                               ;   in Loop: Header=BB228_51 Depth=1
	s_or_b64 exec, exec, s[14:15]
	global_load_dword v26, v[24:25], off offset:256
	s_mov_b32 s13, s12
	s_waitcnt vmcnt(0)
	v_and_b32_e32 v27, 0xffff, v26
	v_lshrrev_b32_e32 v28, 16, v26
	v_cvt_pk_f32_fp8_e32 v[26:27], v27
	v_cvt_pk_f32_fp8_e32 v[30:31], v28
	v_pk_mul_f32 v[28:29], s[12:13], v[26:27]
	v_pk_mul_f32 v[26:27], s[12:13], v[30:31]
	s_and_saveexec_b64 s[14:15], vcc
; %bb.55:                               ;   in Loop: Header=BB228_51 Depth=1
	v_cmp_gt_i32_e64 s[0:1], s33, v59
	s_nop 1
	v_cndmask_b32_e64 v28, 0, v28, s[0:1]
	v_cmp_gt_i32_e64 s[0:1], s33, v61
	s_nop 1
	v_cndmask_b32_e64 v29, 0, v29, s[0:1]
	v_cmp_gt_i32_e64 s[0:1], s33, v60
	s_nop 1
	v_cndmask_b32_e64 v26, 0, v26, s[0:1]
	v_cmp_gt_i32_e64 s[0:1], s33, v62
	s_nop 1
	v_cndmask_b32_e64 v27, 0, v27, s[0:1]
; %bb.56:                               ;   in Loop: Header=BB228_51 Depth=1
	s_or_b64 exec, exec, s[14:15]
	global_load_dword v30, v[24:25], off offset:512
	s_waitcnt vmcnt(0)
	v_and_b32_e32 v31, 0xffff, v30
	v_lshrrev_b32_e32 v32, 16, v30
	v_cvt_pk_f32_fp8_e32 v[30:31], v31
	v_cvt_pk_f32_fp8_e32 v[34:35], v32
	v_pk_mul_f32 v[32:33], s[12:13], v[30:31]
	v_pk_mul_f32 v[30:31], s[12:13], v[34:35]
	s_and_saveexec_b64 s[14:15], vcc
; %bb.57:                               ;   in Loop: Header=BB228_51 Depth=1
	v_cmp_gt_i32_e64 s[0:1], s33, v59
	s_nop 1
	v_cndmask_b32_e64 v32, 0, v32, s[0:1]
	v_cmp_gt_i32_e64 s[0:1], s33, v61
	s_nop 1
	v_cndmask_b32_e64 v33, 0, v33, s[0:1]
	v_cmp_gt_i32_e64 s[0:1], s33, v60
	s_nop 1
	v_cndmask_b32_e64 v30, 0, v30, s[0:1]
	v_cmp_gt_i32_e64 s[0:1], s33, v62
	s_nop 1
	v_cndmask_b32_e64 v31, 0, v31, s[0:1]
; %bb.58:                               ;   in Loop: Header=BB228_51 Depth=1
	s_or_b64 exec, exec, s[14:15]
	global_load_dword v34, v[24:25], off offset:768
	;; [unrolled: 24-line block ×6, first 2 shown]
	s_waitcnt vmcnt(0)
	v_and_b32_e32 v25, 0xffff, v24
	v_lshrrev_b32_e32 v50, 16, v24
	v_cvt_pk_f32_fp8_e32 v[24:25], v25
	v_cvt_pk_f32_fp8_e32 v[64:65], v50
	v_pk_mul_f32 v[50:51], s[12:13], v[24:25]
	v_pk_mul_f32 v[24:25], s[12:13], v[64:65]
	s_and_saveexec_b64 s[0:1], vcc
	s_cbranch_execz .LBB228_49
; %bb.67:                               ;   in Loop: Header=BB228_51 Depth=1
	v_cmp_gt_i32_e32 vcc, s33, v59
	s_nop 1
	v_cndmask_b32_e32 v50, 0, v50, vcc
	v_cmp_gt_i32_e32 vcc, s33, v61
	s_nop 1
	v_cndmask_b32_e32 v51, 0, v51, vcc
	;; [unrolled: 3-line block ×4, first 2 shown]
	s_branch .LBB228_49
.LBB228_68:
	s_or_b64 exec, exec, s[8:9]
.LBB228_69:
	s_or_b64 exec, exec, s[2:3]
	ds_bpermute_b32 v12, v54, v4
	ds_bpermute_b32 v13, v54, v5
	;; [unrolled: 1-line block ×6, first 2 shown]
	s_waitcnt lgkmcnt(4)
	v_pk_add_f32 v[4:5], v[4:5], v[12:13]
	ds_bpermute_b32 v12, v53, v4
	ds_bpermute_b32 v13, v53, v5
	s_waitcnt lgkmcnt(4)
	v_pk_add_f32 v[2:3], v[2:3], v[10:11]
	s_waitcnt lgkmcnt(2)
	v_pk_add_f32 v[6:7], v[6:7], v[14:15]
	ds_bpermute_b32 v10, v53, v2
	ds_bpermute_b32 v11, v53, v3
	s_waitcnt lgkmcnt(2)
	v_pk_add_f32 v[4:5], v[4:5], v[12:13]
	ds_bpermute_b32 v12, v54, v8
	ds_bpermute_b32 v13, v54, v9
	;; [unrolled: 1-line block ×4, first 2 shown]
	s_waitcnt lgkmcnt(4)
	v_pk_add_f32 v[2:3], v[2:3], v[10:11]
	ds_bpermute_b32 v10, v55, v2
	s_waitcnt lgkmcnt(3)
	v_pk_add_f32 v[8:9], v[8:9], v[12:13]
	ds_bpermute_b32 v12, v53, v8
	ds_bpermute_b32 v13, v53, v9
	s_waitcnt lgkmcnt(3)
	v_pk_add_f32 v[14:15], v[6:7], v[14:15]
	ds_bpermute_b32 v11, v55, v3
	ds_bpermute_b32 v16, v55, v4
	;; [unrolled: 1-line block ×3, first 2 shown]
	s_waitcnt lgkmcnt(3)
	v_pk_add_f32 v[12:13], v[8:9], v[12:13]
	ds_bpermute_b32 v18, v55, v14
	ds_bpermute_b32 v19, v55, v15
	;; [unrolled: 1-line block ×4, first 2 shown]
	v_and_b32_e32 v1, 0x3c7, v0
	s_waitcnt lgkmcnt(6)
	v_pk_add_f32 v[8:9], v[2:3], v[10:11]
	s_waitcnt lgkmcnt(4)
	v_pk_add_f32 v[6:7], v[4:5], v[16:17]
	;; [unrolled: 2-line block ×4, first 2 shown]
	v_cmp_eq_u32_e32 vcc, 64, v1
	s_barrier
	s_and_saveexec_b64 s[0:1], vcc
	s_cbranch_execz .LBB228_71
; %bb.70:
	v_lshrrev_b32_e32 v10, 1, v52
	v_add_u32_e32 v10, 0x110, v10
	ds_write2_b32 v10, v8, v9 offset1:8
	ds_write2_b32 v10, v6, v7 offset0:16 offset1:24
	ds_write2_b32 v10, v2, v3 offset0:32 offset1:40
	;; [unrolled: 1-line block ×3, first 2 shown]
.LBB228_71:
	s_or_b64 exec, exec, s[0:1]
	v_cmp_gt_u32_e32 vcc, 64, v0
	s_waitcnt lgkmcnt(0)
	s_barrier
	s_and_saveexec_b64 s[0:1], vcc
	s_cbranch_execz .LBB228_82
; %bb.72:
	v_cmp_eq_u32_e32 vcc, 0, v56
	v_lshrrev_b32_e32 v10, 3, v0
	s_and_saveexec_b64 s[2:3], vcc
	s_cbranch_execnz .LBB228_85
; %bb.73:
	s_or_b64 exec, exec, s[2:3]
	s_and_saveexec_b64 s[2:3], vcc
	s_cbranch_execnz .LBB228_86
.LBB228_74:
	s_or_b64 exec, exec, s[2:3]
	s_and_saveexec_b64 s[2:3], vcc
	s_cbranch_execnz .LBB228_87
.LBB228_75:
	s_or_b64 exec, exec, s[2:3]
	s_and_saveexec_b64 s[2:3], vcc
	s_cbranch_execnz .LBB228_88
.LBB228_76:
	s_or_b64 exec, exec, s[2:3]
	s_and_saveexec_b64 s[2:3], vcc
	s_cbranch_execnz .LBB228_89
.LBB228_77:
	s_or_b64 exec, exec, s[2:3]
	s_and_saveexec_b64 s[2:3], vcc
	s_cbranch_execnz .LBB228_90
.LBB228_78:
	s_or_b64 exec, exec, s[2:3]
	s_and_saveexec_b64 s[2:3], vcc
	s_cbranch_execnz .LBB228_91
.LBB228_79:
	s_or_b64 exec, exec, s[2:3]
	s_and_saveexec_b64 s[2:3], vcc
	s_cbranch_execz .LBB228_81
.LBB228_80:
	v_mov_b32_e32 v11, 0x110
	v_lshl_add_u32 v10, v10, 2, v11
	ds_read_b32 v10, v10 offset:224
	s_waitcnt lgkmcnt(0)
	v_add_f32_e32 v5, v5, v10
.LBB228_81:
	s_or_b64 exec, exec, s[2:3]
.LBB228_82:
	s_or_b64 exec, exec, s[0:1]
	v_cmp_eq_u32_e32 vcc, 0, v1
	s_barrier
	s_and_saveexec_b64 s[0:1], vcc
	s_cbranch_execz .LBB228_84
; %bb.83:
	s_lshl_b32 s0, s6, 6
	s_ashr_i32 s1, s0, 31
	s_lshl_b64 s[0:1], s[0:1], 2
	s_add_u32 s2, s30, s0
	s_mul_i32 s0, s29, s28
	s_addc_u32 s3, s31, s1
	s_ashr_i32 s1, s0, 31
	s_lshl_b64 s[0:1], s[0:1], 2
	s_add_u32 s2, s2, s0
	s_addc_u32 s3, s3, s1
	s_lshl_b32 s0, s4, 6
	s_ashr_i32 s1, s0, 31
	s_lshl_b64 s[0:1], s[0:1], 2
	s_add_u32 s0, s2, s0
	s_addc_u32 s1, s3, s1
	v_lshrrev_b32_e32 v0, 1, v0
	global_store_dword v0, v8, s[0:1]
	global_store_dword v0, v9, s[0:1] offset:32
	global_store_dword v0, v6, s[0:1] offset:64
	;; [unrolled: 1-line block ×7, first 2 shown]
.LBB228_84:
	s_endpgm
.LBB228_85:
	v_mov_b32_e32 v11, 0x110
	v_lshl_add_u32 v11, v10, 2, v11
	ds_read_b32 v11, v11
	s_waitcnt lgkmcnt(0)
	v_add_f32_e32 v8, v8, v11
	s_or_b64 exec, exec, s[2:3]
	s_and_saveexec_b64 s[2:3], vcc
	s_cbranch_execz .LBB228_74
.LBB228_86:
	v_mov_b32_e32 v11, 0x110
	v_lshl_add_u32 v11, v10, 2, v11
	ds_read_b32 v11, v11 offset:32
	s_waitcnt lgkmcnt(0)
	v_add_f32_e32 v9, v9, v11
	s_or_b64 exec, exec, s[2:3]
	s_and_saveexec_b64 s[2:3], vcc
	s_cbranch_execz .LBB228_75
.LBB228_87:
	v_mov_b32_e32 v11, 0x110
	v_lshl_add_u32 v11, v10, 2, v11
	ds_read_b32 v11, v11 offset:64
	s_waitcnt lgkmcnt(0)
	v_add_f32_e32 v6, v6, v11
	s_or_b64 exec, exec, s[2:3]
	s_and_saveexec_b64 s[2:3], vcc
	s_cbranch_execz .LBB228_76
.LBB228_88:
	v_mov_b32_e32 v11, 0x110
	v_lshl_add_u32 v11, v10, 2, v11
	ds_read_b32 v11, v11 offset:96
	s_waitcnt lgkmcnt(0)
	v_add_f32_e32 v7, v7, v11
	s_or_b64 exec, exec, s[2:3]
	s_and_saveexec_b64 s[2:3], vcc
	s_cbranch_execz .LBB228_77
.LBB228_89:
	v_mov_b32_e32 v11, 0x110
	v_lshl_add_u32 v11, v10, 2, v11
	ds_read_b32 v11, v11 offset:128
	s_waitcnt lgkmcnt(0)
	v_add_f32_e32 v2, v2, v11
	s_or_b64 exec, exec, s[2:3]
	s_and_saveexec_b64 s[2:3], vcc
	s_cbranch_execz .LBB228_78
.LBB228_90:
	v_mov_b32_e32 v11, 0x110
	v_lshl_add_u32 v11, v10, 2, v11
	ds_read_b32 v11, v11 offset:160
	s_waitcnt lgkmcnt(0)
	v_add_f32_e32 v3, v3, v11
	s_or_b64 exec, exec, s[2:3]
	s_and_saveexec_b64 s[2:3], vcc
	s_cbranch_execz .LBB228_79
.LBB228_91:
	v_mov_b32_e32 v11, 0x110
	v_lshl_add_u32 v11, v10, 2, v11
	ds_read_b32 v11, v11 offset:192
	s_waitcnt lgkmcnt(0)
	v_add_f32_e32 v4, v4, v11
	s_or_b64 exec, exec, s[2:3]
	s_and_saveexec_b64 s[2:3], vcc
	s_cbranch_execnz .LBB228_80
	s_branch .LBB228_81
	.section	.rodata,"a",@progbits
	.p2align	6, 0x0
	.amdhsa_kernel _ZN4vllm25paged_attention_v2_kernelIfhLi64ELi32ELi128ELNS_18Fp8KVCacheDataTypeE1ELb1ELi512EEEvPfS2_PT_PKS3_PKT0_S9_ifPKiSB_iPKfiiiSD_SD_iiiii
		.amdhsa_group_segment_fixed_size 272
		.amdhsa_private_segment_fixed_size 0
		.amdhsa_kernarg_size 400
		.amdhsa_user_sgpr_count 2
		.amdhsa_user_sgpr_dispatch_ptr 0
		.amdhsa_user_sgpr_queue_ptr 0
		.amdhsa_user_sgpr_kernarg_segment_ptr 1
		.amdhsa_user_sgpr_dispatch_id 0
		.amdhsa_user_sgpr_kernarg_preload_length 0
		.amdhsa_user_sgpr_kernarg_preload_offset 0
		.amdhsa_user_sgpr_private_segment_size 0
		.amdhsa_uses_dynamic_stack 0
		.amdhsa_enable_private_segment 0
		.amdhsa_system_sgpr_workgroup_id_x 1
		.amdhsa_system_sgpr_workgroup_id_y 1
		.amdhsa_system_sgpr_workgroup_id_z 1
		.amdhsa_system_sgpr_workgroup_info 0
		.amdhsa_system_vgpr_workitem_id 0
		.amdhsa_next_free_vgpr 91
		.amdhsa_next_free_sgpr 56
		.amdhsa_accum_offset 92
		.amdhsa_reserve_vcc 1
		.amdhsa_float_round_mode_32 0
		.amdhsa_float_round_mode_16_64 0
		.amdhsa_float_denorm_mode_32 3
		.amdhsa_float_denorm_mode_16_64 3
		.amdhsa_dx10_clamp 1
		.amdhsa_ieee_mode 1
		.amdhsa_fp16_overflow 0
		.amdhsa_tg_split 0
		.amdhsa_exception_fp_ieee_invalid_op 0
		.amdhsa_exception_fp_denorm_src 0
		.amdhsa_exception_fp_ieee_div_zero 0
		.amdhsa_exception_fp_ieee_overflow 0
		.amdhsa_exception_fp_ieee_underflow 0
		.amdhsa_exception_fp_ieee_inexact 0
		.amdhsa_exception_int_div_zero 0
	.end_amdhsa_kernel
	.section	.text._ZN4vllm25paged_attention_v2_kernelIfhLi64ELi32ELi128ELNS_18Fp8KVCacheDataTypeE1ELb1ELi512EEEvPfS2_PT_PKS3_PKT0_S9_ifPKiSB_iPKfiiiSD_SD_iiiii,"axG",@progbits,_ZN4vllm25paged_attention_v2_kernelIfhLi64ELi32ELi128ELNS_18Fp8KVCacheDataTypeE1ELb1ELi512EEEvPfS2_PT_PKS3_PKT0_S9_ifPKiSB_iPKfiiiSD_SD_iiiii,comdat
.Lfunc_end228:
	.size	_ZN4vllm25paged_attention_v2_kernelIfhLi64ELi32ELi128ELNS_18Fp8KVCacheDataTypeE1ELb1ELi512EEEvPfS2_PT_PKS3_PKT0_S9_ifPKiSB_iPKfiiiSD_SD_iiiii, .Lfunc_end228-_ZN4vllm25paged_attention_v2_kernelIfhLi64ELi32ELi128ELNS_18Fp8KVCacheDataTypeE1ELb1ELi512EEEvPfS2_PT_PKS3_PKT0_S9_ifPKiSB_iPKfiiiSD_SD_iiiii
                                        ; -- End function
	.section	.AMDGPU.csdata,"",@progbits
; Kernel info:
; codeLenInByte = 6376
; NumSgprs: 62
; NumVgprs: 91
; NumAgprs: 0
; TotalNumVgprs: 91
; ScratchSize: 0
; MemoryBound: 0
; FloatMode: 240
; IeeeMode: 1
; LDSByteSize: 272 bytes/workgroup (compile time only)
; SGPRBlocks: 7
; VGPRBlocks: 11
; NumSGPRsForWavesPerEU: 62
; NumVGPRsForWavesPerEU: 91
; AccumOffset: 92
; Occupancy: 5
; WaveLimiterHint : 1
; COMPUTE_PGM_RSRC2:SCRATCH_EN: 0
; COMPUTE_PGM_RSRC2:USER_SGPR: 2
; COMPUTE_PGM_RSRC2:TRAP_HANDLER: 0
; COMPUTE_PGM_RSRC2:TGID_X_EN: 1
; COMPUTE_PGM_RSRC2:TGID_Y_EN: 1
; COMPUTE_PGM_RSRC2:TGID_Z_EN: 1
; COMPUTE_PGM_RSRC2:TIDIG_COMP_CNT: 0
; COMPUTE_PGM_RSRC3_GFX90A:ACCUM_OFFSET: 22
; COMPUTE_PGM_RSRC3_GFX90A:TG_SPLIT: 0
	.section	.text._ZN4vllm25paged_attention_v2_kernelIfhLi80ELi32ELi128ELNS_18Fp8KVCacheDataTypeE1ELb1ELi512EEEvPfS2_PT_PKS3_PKT0_S9_ifPKiSB_iPKfiiiSD_SD_iiiii,"axG",@progbits,_ZN4vllm25paged_attention_v2_kernelIfhLi80ELi32ELi128ELNS_18Fp8KVCacheDataTypeE1ELb1ELi512EEEvPfS2_PT_PKS3_PKT0_S9_ifPKiSB_iPKfiiiSD_SD_iiiii,comdat
	.protected	_ZN4vllm25paged_attention_v2_kernelIfhLi80ELi32ELi128ELNS_18Fp8KVCacheDataTypeE1ELb1ELi512EEEvPfS2_PT_PKS3_PKT0_S9_ifPKiSB_iPKfiiiSD_SD_iiiii ; -- Begin function _ZN4vllm25paged_attention_v2_kernelIfhLi80ELi32ELi128ELNS_18Fp8KVCacheDataTypeE1ELb1ELi512EEEvPfS2_PT_PKS3_PKT0_S9_ifPKiSB_iPKfiiiSD_SD_iiiii
	.globl	_ZN4vllm25paged_attention_v2_kernelIfhLi80ELi32ELi128ELNS_18Fp8KVCacheDataTypeE1ELb1ELi512EEEvPfS2_PT_PKS3_PKT0_S9_ifPKiSB_iPKfiiiSD_SD_iiiii
	.p2align	8
	.type	_ZN4vllm25paged_attention_v2_kernelIfhLi80ELi32ELi128ELNS_18Fp8KVCacheDataTypeE1ELb1ELi512EEEvPfS2_PT_PKS3_PKT0_S9_ifPKiSB_iPKfiiiSD_SD_iiiii,@function
_ZN4vllm25paged_attention_v2_kernelIfhLi80ELi32ELi128ELNS_18Fp8KVCacheDataTypeE1ELb1ELi512EEEvPfS2_PT_PKS3_PKT0_S9_ifPKiSB_iPKfiiiSD_SD_iiiii: ; @_ZN4vllm25paged_attention_v2_kernelIfhLi80ELi32ELi128ELNS_18Fp8KVCacheDataTypeE1ELb1ELi512EEEvPfS2_PT_PKS3_PKT0_S9_ifPKiSB_iPKfiiiSD_SD_iiiii
; %bb.0:
	s_load_dwordx2 s[6:7], s[0:1], 0x40
	s_mov_b32 s34, s3
	s_ashr_i32 s35, s3, 31
	s_lshl_b64 s[8:9], s[34:35], 2
	s_waitcnt lgkmcnt(0)
	s_add_u32 s6, s6, s8
	s_addc_u32 s7, s7, s9
	s_load_dword s33, s[6:7], 0x0
	s_lshl_b32 s52, s4, 9
	s_waitcnt lgkmcnt(0)
	s_cmp_ge_i32 s52, s33
	s_cbranch_scc1 .LBB229_92
; %bb.1:
	s_load_dword s5, s[0:1], 0x90
	s_load_dwordx2 s[42:43], s[0:1], 0x30
	s_waitcnt lgkmcnt(0)
	s_abs_i32 s7, s5
	s_abs_i32 s3, s42
	v_cvt_f32_u32_e32 v1, s3
	s_sub_i32 s8, 0, s3
	s_xor_b32 s6, s5, s42
	s_ashr_i32 s6, s6, 31
	v_rcp_iflag_f32_e32 v1, v1
	s_nop 0
	v_mul_f32_e32 v1, 0x4f7ffffe, v1
	v_cvt_u32_f32_e32 v1, v1
	s_nop 0
	v_readfirstlane_b32 s9, v1
	s_mul_i32 s8, s8, s9
	s_mul_hi_u32 s8, s9, s8
	s_add_i32 s9, s9, s8
	s_mul_hi_u32 s8, s7, s9
	s_mul_i32 s9, s8, s3
	s_sub_i32 s7, s7, s9
	s_add_i32 s10, s8, 1
	s_sub_i32 s9, s7, s3
	s_cmp_ge_u32 s7, s3
	s_cselect_b32 s8, s10, s8
	s_cselect_b32 s7, s9, s7
	s_add_i32 s9, s8, 1
	s_cmp_ge_u32 s7, s3
	s_cselect_b32 s3, s9, s8
	s_xor_b32 s3, s3, s6
	s_sub_i32 s12, s3, s6
	s_abs_i32 s8, s12
	v_cvt_f32_u32_e32 v1, s8
	s_load_dwordx2 s[6:7], s[0:1], 0x50
	s_sub_i32 s10, 0, s8
	s_abs_i32 s9, s2
	v_rcp_iflag_f32_e32 v1, v1
	s_mov_b32 s3, 0
	v_mul_f32_e32 v1, 0x4f7ffffe, v1
	v_cvt_u32_f32_e32 v1, v1
	s_nop 0
	v_readfirstlane_b32 s11, v1
	s_mul_i32 s10, s10, s11
	s_mul_hi_u32 s10, s11, s10
	s_add_i32 s11, s11, s10
	s_waitcnt lgkmcnt(0)
	s_cmp_eq_u64 s[6:7], 0
	s_mul_hi_u32 s10, s9, s11
	s_cbranch_scc1 .LBB229_3
; %bb.2:
	s_ashr_i32 s3, s2, 31
	s_lshl_b64 s[14:15], s[2:3], 2
	s_add_u32 s6, s6, s14
	s_addc_u32 s7, s7, s15
	s_load_dword s3, s[6:7], 0x0
.LBB229_3:
	s_load_dwordx4 s[16:19], s[0:1], 0x58
	s_ashr_i32 s11, s2, 31
	s_ashr_i32 s12, s12, 31
	v_and_b32_e32 v2, 1, v0
	s_mul_i32 s28, s2, 0x50
	v_cmp_gt_u32_e32 vcc, 40, v0
	v_lshlrev_b32_e32 v42, 2, v0
	s_and_saveexec_b64 s[6:7], vcc
	s_cbranch_execz .LBB229_5
; %bb.4:
	s_load_dwordx2 s[14:15], s[0:1], 0x18
	s_waitcnt lgkmcnt(0)
	s_mul_i32 s20, s34, s16
	s_ashr_i32 s21, s20, 31
	s_lshl_b64 s[20:21], s[20:21], 2
	v_lshlrev_b32_e32 v1, 3, v0
	s_add_u32 s13, s14, s20
	s_addc_u32 s16, s15, s21
	s_ashr_i32 s29, s28, 31
	s_lshl_b64 s[14:15], s[28:29], 2
	s_add_u32 s14, s13, s14
	s_addc_u32 s15, s16, s15
	global_load_dwordx2 v[4:5], v1, s[14:15]
	v_and_b32_e32 v1, 0xff8, v42
	s_movk_i32 s13, 0xa0
	v_mad_u32_u24 v1, v2, s13, v1
	s_waitcnt vmcnt(0)
	ds_write_b64 v1, v[4:5]
.LBB229_5:
	s_or_b64 exec, exec, s[6:7]
	s_mul_i32 s7, s10, s8
	s_sub_i32 s7, s9, s7
	s_xor_b32 s6, s11, s12
	s_add_i32 s9, s10, 1
	s_sub_i32 s11, s7, s8
	s_load_dwordx4 s[20:23], s[0:1], 0x78
	s_cmp_ge_u32 s7, s8
	s_cselect_b32 s9, s9, s10
	s_cselect_b32 s7, s11, s7
	s_add_i32 s10, s9, 1
	s_cmp_ge_u32 s7, s8
	s_cselect_b32 s7, s10, s9
	s_load_dword s10, s[0:1], 0x88
	s_waitcnt lgkmcnt(0)
	s_abs_i32 s29, s23
	v_cvt_f32_u32_e32 v1, s29
	s_xor_b32 s7, s7, s6
	s_sub_i32 s51, s7, s6
	s_sub_i32 s6, 0, s29
	v_rcp_iflag_f32_e32 v1, v1
	s_add_i32 s11, s33, -1
	s_abs_i32 s8, s11
	v_mul_f32_e32 v1, 0x4f7ffffe, v1
	v_cvt_u32_f32_e32 v1, v1
	s_barrier
	v_readfirstlane_b32 s35, v1
	s_mul_i32 s6, s6, s35
	s_mul_hi_u32 s6, s35, s6
	s_add_i32 s35, s35, s6
	s_cmp_lt_i32 s10, 0
	s_mul_hi_u32 s9, s8, s35
	s_cbranch_scc0 .LBB229_7
; %bb.6:
	s_mul_i32 s6, s20, s42
	s_add_i32 s6, s51, s6
	s_mul_i32 s6, s6, s10
	s_sub_i32 s42, 1, s6
	s_mov_b64 s[6:7], 0
	s_branch .LBB229_8
.LBB229_7:
	s_mov_b64 s[6:7], -1
                                        ; implicit-def: $sgpr42
.LBB229_8:
	s_load_dwordx2 s[36:37], s[0:1], 0x38
	s_ashr_i32 s11, s11, 31
	s_andn2_b64 vcc, exec, s[6:7]
	s_ashr_i32 s23, s23, 31
	s_cbranch_vccnz .LBB229_10
; %bb.9:
	s_mul_i32 s6, s5, s20
	s_add_i32 s6, s6, s2
	s_mul_i32 s6, s6, s10
	s_add_i32 s42, s6, 1
.LBB229_10:
	s_load_dwordx2 s[40:41], s[0:1], 0x28
	s_load_dword s6, s[0:1], 0x48
	s_load_dwordx4 s[24:27], s[0:1], 0x0
	s_load_dwordx2 s[30:31], s[0:1], 0x10
	s_load_dword s20, s[0:1], 0x98
	s_load_dwordx4 s[12:15], s[0:1], 0x68
	s_mul_i32 s7, s9, s29
	s_waitcnt lgkmcnt(0)
	s_mul_i32 s38, s34, s6
	s_sub_i32 s7, s8, s7
	s_ashr_i32 s39, s38, 31
	s_xor_b32 s6, s11, s23
	s_add_i32 s8, s9, 1
	s_sub_i32 s10, s7, s29
	s_cmp_ge_u32 s7, s29
	s_cselect_b32 s8, s8, s9
	s_cselect_b32 s7, s10, s7
	s_add_i32 s9, s8, 1
	s_cmp_ge_u32 s7, s29
	s_cselect_b32 s7, s9, s8
	s_xor_b32 s7, s7, s6
	s_sub_i32 s50, s7, s6
	s_add_i32 s6, s33, 31
	s_ashr_i32 s7, s6, 31
	s_lshr_b32 s7, s7, 27
	s_add_i32 s6, s6, s7
	s_lshl_b32 s53, s4, 4
	s_ashr_i32 s49, s6, 5
	s_add_i32 s6, s53, 16
	v_lshrrev_b32_e32 v43, 6, v0
	s_min_i32 s48, s6, s49
	v_or_b32_e32 v34, s53, v43
	v_cmp_gt_i32_e64 s[8:9], s48, v34
	v_mov_b32_e32 v47, 0xff7fffff
	s_mul_i32 s51, s51, s18
	v_ashrrev_i32_e32 v35, 31, v34
	v_lshl_add_u32 v1, v43, 5, s52
	v_mbcnt_lo_u32_b32 v44, -1, 0
	s_and_saveexec_b64 s[18:19], s[8:9]
	s_cbranch_execz .LBB229_20
; %bb.11:
	s_load_dwordx2 s[0:1], s[0:1], 0x20
	s_sub_i32 s54, s50, s21
	s_ashr_i32 s6, s51, 31
	v_bfe_u32 v45, v0, 1, 5
	v_mov_b32_e32 v37, 0
	s_waitcnt lgkmcnt(0)
	s_add_u32 s0, s0, s51
	s_addc_u32 s1, s1, s6
	s_abs_i32 s55, s22
	v_cvt_f32_u32_e32 v3, s55
	v_lshlrev_b32_e32 v36, 4, v45
	v_lshl_add_u64 v[38:39], s[0:1], 0, v[36:37]
	s_sub_i32 s0, 0, s55
	v_rcp_iflag_f32_e32 v3, v3
	v_cmp_eq_u32_e32 vcc, 0, v2
	v_mul_u32_u24_e32 v46, 0xa0, v2
	v_lshlrev_b32_e32 v36, 1, v2
	v_mul_f32_e32 v3, 0x4f7ffffe, v3
	v_cvt_u32_f32_e32 v3, v3
	v_mbcnt_hi_u32_b32 v53, -1, v44
	s_mov_b32 s56, s17
	v_cmp_neq_f32_e64 s[6:7], s3, 0
	v_mul_lo_u32 v2, s0, v3
	v_mul_hi_u32 v2, v3, v2
	v_add_u32_e32 v48, v3, v2
	v_lshlrev_b32_e32 v2, 2, v45
	s_lshl_b64 s[0:1], s[38:39], 2
	v_lshl_or_b32 v2, v43, 7, v2
	s_add_u32 s0, s36, s0
	v_add_u32_e32 v50, 0x150, v2
	v_subrev_u32_e32 v2, s33, v45
	s_addc_u32 s1, s37, s1
	v_add_u32_e32 v51, 1, v2
	v_and_b32_e32 v2, 64, v53
	v_lshl_add_u64 v[40:41], v[34:35], 2, s[0:1]
	v_lshl_add_u32 v49, v43, 5, s52
	s_mov_b64 s[44:45], 0
	v_mov_b32_e32 v52, 0xff7fffff
	v_xor_b32_e32 v54, 1, v53
	v_add_u32_e32 v55, 64, v2
	v_mov_b32_e32 v47, 0xff7fffff
	v_mov_b32_e32 v56, v34
	s_branch .LBB229_14
.LBB229_12:                             ;   in Loop: Header=BB229_14 Depth=1
	s_or_b64 exec, exec, s[46:47]
.LBB229_13:                             ;   in Loop: Header=BB229_14 Depth=1
	s_or_b64 exec, exec, s[10:11]
	v_add_u32_e32 v56, 2, v56
	v_cmp_le_i32_e64 s[0:1], s48, v56
	v_lshl_add_u64 v[40:41], v[40:41], 0, 8
	v_add_u32_e32 v49, 64, v49
	s_or_b64 s[44:45], s[0:1], s[44:45]
	v_add_u32_e32 v50, 0x100, v50
	s_andn2_b64 exec, exec, s[44:45]
	s_cbranch_execz .LBB229_19
.LBB229_14:                             ; =>This Inner Loop Header: Depth=1
	s_waitcnt lgkmcnt(0)
	v_sub_u32_e32 v3, 0, v49
	v_max_i32_e32 v3, v49, v3
	v_mul_hi_u32 v4, v3, s35
	v_mul_lo_u32 v5, v4, s29
	v_sub_u32_e32 v3, v3, v5
	v_add_u32_e32 v5, 1, v4
	v_cmp_le_u32_e64 s[0:1], s29, v3
	v_ashrrev_i32_e32 v2, 31, v49
	v_xor_b32_e32 v2, s23, v2
	v_cndmask_b32_e64 v4, v4, v5, s[0:1]
	v_subrev_u32_e32 v5, s29, v3
	v_cndmask_b32_e64 v3, v3, v5, s[0:1]
	v_add_u32_e32 v5, 1, v4
	v_cmp_le_u32_e64 s[0:1], s29, v3
	s_nop 1
	v_cndmask_b32_e64 v3, v4, v5, s[0:1]
	v_xor_b32_e32 v3, v3, v2
	v_sub_u32_e32 v2, v3, v2
	v_add_u32_e32 v3, s42, v2
	v_sub_u32_e32 v5, 0, v3
	v_ashrrev_i32_e32 v4, 31, v3
	v_max_i32_e32 v3, v3, v5
	v_mul_hi_u32 v5, v3, v48
	v_mul_lo_u32 v5, v5, s55
	v_sub_u32_e32 v3, v3, v5
	v_subrev_u32_e32 v5, s55, v3
	v_cmp_le_u32_e64 s[0:1], s55, v3
	v_cmp_ge_i32_e64 s[10:11], s54, v2
	s_nop 0
	v_cndmask_b32_e64 v3, v3, v5, s[0:1]
	v_subrev_u32_e32 v5, s55, v3
	v_cmp_le_u32_e64 s[0:1], s55, v3
	s_nop 1
	v_cndmask_b32_e64 v3, v3, v5, s[0:1]
	v_xor_b32_e32 v3, v3, v4
	v_sub_u32_e32 v3, v3, v4
	v_cmp_ne_u32_e64 s[0:1], 0, v3
	s_and_b64 s[0:1], s[0:1], s[10:11]
	s_and_b64 s[46:47], vcc, s[0:1]
	s_and_saveexec_b64 s[10:11], s[46:47]
	s_cbranch_execz .LBB229_16
; %bb.15:                               ;   in Loop: Header=BB229_14 Depth=1
	ds_write_b32 v50, v52
.LBB229_16:                             ;   in Loop: Header=BB229_14 Depth=1
	s_or_b64 exec, exec, s[10:11]
	s_xor_b64 s[0:1], s[0:1], -1
	s_and_saveexec_b64 s[10:11], s[0:1]
	s_cbranch_execz .LBB229_13
; %bb.17:                               ;   in Loop: Header=BB229_14 Depth=1
	global_load_dword v2, v[40:41], off
	s_waitcnt vmcnt(0)
	v_mad_i64_i32 v[2:3], s[0:1], v2, s56, v[38:39]
	v_lshl_add_u64 v[2:3], v[2:3], 0, v[36:37]
	global_load_ushort v57, v[2:3], off offset:8
	global_load_ushort v72, v[2:3], off offset:12
	;; [unrolled: 1-line block ×7, first 2 shown]
	global_load_ushort v68, v[2:3], off
	global_load_ushort v78, v[2:3], off offset:1024
	global_load_ushort v79, v[2:3], off offset:1028
	;; [unrolled: 1-line block ×12, first 2 shown]
	v_cmp_lt_i32_e64 s[0:1], v54, v55
	ds_read_b128 v[58:61], v46
	ds_read_b128 v[62:65], v46 offset:16
	ds_read_b128 v[14:17], v46 offset:32
	ds_read_b128 v[10:13], v46 offset:48
	s_load_dword s16, s[12:13], 0x0
	v_cndmask_b32_e64 v67, v53, v54, s[0:1]
	v_lshlrev_b32_e32 v90, 2, v67
	ds_read_b128 v[6:9], v46 offset:64
	ds_read_b128 v[2:5], v46 offset:80
	;; [unrolled: 1-line block ×6, first 2 shown]
	s_waitcnt vmcnt(19)
	v_cvt_pk_f32_fp8_e32 v[70:71], v57
	s_waitcnt vmcnt(18)
	v_cvt_pk_f32_fp8_e32 v[72:73], v72
	s_waitcnt lgkmcnt(0)
	v_pk_mul_f32 v[70:71], s[16:17], v[70:71] op_sel_hi:[0,1]
	v_pk_mul_f32 v[72:73], s[16:17], v[72:73] op_sel_hi:[0,1]
	s_waitcnt vmcnt(13)
	v_cvt_pk_f32_fp8_e32 v[66:67], v66
	s_waitcnt vmcnt(12)
	v_cvt_pk_f32_fp8_e32 v[68:69], v68
	v_pk_mul_f32 v[66:67], s[16:17], v[66:67] op_sel_hi:[0,1]
	v_mul_f32_e32 v57, v60, v66
	v_mul_f32_e32 v91, v61, v67
	v_cvt_pk_f32_fp8_e32 v[60:61], v74
	v_pk_mul_f32 v[66:67], s[16:17], v[68:69] op_sel_hi:[0,1]
	v_fmac_f32_e32 v57, v58, v66
	v_fmac_f32_e32 v91, v59, v67
	v_cvt_pk_f32_fp8_e32 v[58:59], v75
	v_cvt_pk_f32_fp8_e32 v[66:67], v76
	;; [unrolled: 1-line block ×3, first 2 shown]
	v_fmac_f32_e32 v57, v62, v70
	v_fmac_f32_e32 v91, v63, v71
	s_waitcnt vmcnt(11)
	v_cvt_pk_f32_fp8_e32 v[74:75], v78
	v_fmac_f32_e32 v57, v64, v72
	v_fmac_f32_e32 v91, v65, v73
	v_pk_mul_f32 v[60:61], s[16:17], v[60:61] op_sel_hi:[0,1]
	s_waitcnt vmcnt(10)
	v_cvt_pk_f32_fp8_e32 v[76:77], v79
	v_fmac_f32_e32 v57, v14, v60
	v_fmac_f32_e32 v91, v15, v61
	v_pk_mul_f32 v[58:59], s[16:17], v[58:59] op_sel_hi:[0,1]
	s_waitcnt vmcnt(9)
	v_cvt_pk_f32_fp8_e32 v[78:79], v80
	v_pk_mul_f32 v[60:61], s[16:17], v[66:67] op_sel_hi:[0,1]
	v_fmac_f32_e32 v57, v16, v58
	v_fmac_f32_e32 v91, v17, v59
	s_waitcnt vmcnt(8)
	v_cvt_pk_f32_fp8_e32 v[62:63], v81
	v_pk_mul_f32 v[66:67], s[16:17], v[68:69] op_sel_hi:[0,1]
	v_fmac_f32_e32 v57, v10, v60
	v_fmac_f32_e32 v91, v11, v61
	;; [unrolled: 5-line block ×10, first 2 shown]
	v_pk_mul_f32 v[80:81], s[16:17], v[82:83] op_sel_hi:[0,1]
	v_fmac_f32_e32 v57, v24, v78
	v_fmac_f32_e32 v91, v25, v79
	v_pk_mul_f32 v[82:83], s[16:17], v[84:85] op_sel_hi:[0,1]
	v_fmac_f32_e32 v57, v30, v80
	v_fmac_f32_e32 v91, v31, v81
	;; [unrolled: 3-line block ×4, first 2 shown]
	v_fmac_f32_e32 v57, v28, v14
	v_fmac_f32_e32 v91, v29, v15
	v_add_f32_e32 v2, v57, v91
	ds_bpermute_b32 v3, v90, v2
	s_and_saveexec_b64 s[46:47], vcc
	s_cbranch_execz .LBB229_12
; %bb.18:                               ;   in Loop: Header=BB229_14 Depth=1
	v_add_u32_e32 v4, v51, v49
	v_cvt_f32_i32_e32 v4, v4
	s_waitcnt lgkmcnt(0)
	v_add_f32_e32 v2, v2, v3
	v_add_u32_e32 v5, v45, v49
	v_cmp_gt_i32_e64 s[0:1], s33, v5
	v_mul_f32_e32 v3, s3, v4
	v_cndmask_b32_e64 v3, 0, v3, s[6:7]
	v_fmac_f32_e32 v3, s43, v2
	v_cndmask_b32_e64 v2, 0, v3, s[0:1]
	ds_write_b32 v50, v2
	v_max_f32_e32 v2, v47, v47
	v_max_f32_e32 v2, v2, v3
	v_cndmask_b32_e64 v47, v47, v2, s[0:1]
	s_branch .LBB229_12
.LBB229_19:
	s_or_b64 exec, exec, s[44:45]
.LBB229_20:
	s_or_b64 exec, exec, s[18:19]
	v_mbcnt_hi_u32_b32 v4, -1, v44
	v_and_b32_e32 v2, 64, v4
	v_add_u32_e32 v8, 64, v2
	v_xor_b32_e32 v2, 32, v4
	v_cmp_lt_i32_e32 vcc, v2, v8
	v_xor_b32_e32 v6, 16, v4
	v_max_f32_e32 v5, v47, v47
	v_cndmask_b32_e32 v2, v4, v2, vcc
	v_lshlrev_b32_e32 v2, 2, v2
	s_waitcnt lgkmcnt(0)
	ds_bpermute_b32 v3, v2, v47
	v_cmp_lt_i32_e32 vcc, v6, v8
	v_xor_b32_e32 v7, 8, v4
	v_xor_b32_e32 v9, 4, v4
	v_and_b32_e32 v62, 63, v0
	s_waitcnt lgkmcnt(0)
	v_max_f32_e32 v3, v3, v3
	v_max_f32_e32 v5, v5, v3
	v_cndmask_b32_e32 v3, v4, v6, vcc
	v_lshlrev_b32_e32 v3, 2, v3
	ds_bpermute_b32 v6, v3, v5
	v_cmp_lt_i32_e32 vcc, v7, v8
	s_waitcnt lgkmcnt(0)
	v_max_f32_e32 v6, v6, v6
	v_max_f32_e32 v6, v5, v6
	v_cndmask_b32_e32 v5, v4, v7, vcc
	v_lshlrev_b32_e32 v5, 2, v5
	ds_bpermute_b32 v7, v5, v6
	v_cmp_lt_i32_e32 vcc, v9, v8
	s_waitcnt lgkmcnt(0)
	v_max_f32_e32 v7, v7, v7
	v_max_f32_e32 v6, v6, v7
	v_cndmask_b32_e32 v7, v4, v9, vcc
	v_lshlrev_b32_e32 v63, 2, v7
	ds_bpermute_b32 v7, v63, v6
	v_xor_b32_e32 v9, 2, v4
	v_cmp_lt_i32_e32 vcc, v9, v8
	s_waitcnt lgkmcnt(0)
	v_max_f32_e32 v7, v7, v7
	v_max_f32_e32 v7, v6, v7
	v_cndmask_b32_e32 v6, v4, v9, vcc
	v_lshlrev_b32_e32 v64, 2, v6
	ds_bpermute_b32 v9, v64, v7
	v_cmp_eq_u32_e32 vcc, 0, v62
	v_lshlrev_b32_e32 v6, 2, v43
	s_and_saveexec_b64 s[0:1], vcc
	s_cbranch_execz .LBB229_22
; %bb.21:
	s_waitcnt lgkmcnt(0)
	v_max_f32_e32 v9, v9, v9
	v_max_f32_e32 v7, v7, v7
	;; [unrolled: 1-line block ×3, first 2 shown]
	ds_write_b32 v6, v7 offset:320
.LBB229_22:
	s_or_b64 exec, exec, s[0:1]
	v_cmp_gt_u32_e64 s[0:1], 2, v62
	s_waitcnt lgkmcnt(0)
	v_mov_b32_e32 v9, 0xff7fffff
	v_lshlrev_b32_e32 v7, 2, v62
	s_barrier
	s_and_saveexec_b64 s[6:7], s[0:1]
	s_cbranch_execz .LBB229_24
; %bb.23:
	ds_read_b32 v9, v7 offset:320
.LBB229_24:
	s_or_b64 exec, exec, s[6:7]
	v_xor_b32_e32 v10, 1, v4
	v_cmp_lt_i32_e64 s[6:7], v10, v8
	s_sub_i32 s3, s48, s53
	s_lshl_b32 s3, s3, 5
	v_cndmask_b32_e64 v8, v4, v10, s[6:7]
	v_lshlrev_b32_e32 v65, 2, v8
	s_waitcnt lgkmcnt(0)
	ds_bpermute_b32 v8, v65, v9
	v_max_f32_e32 v9, v9, v9
	v_lshlrev_b32_e32 v4, 2, v4
	s_add_i32 s3, s3, s52
	s_min_i32 s16, s3, s33
	s_waitcnt lgkmcnt(0)
	v_max_f32_e32 v8, v8, v8
	v_max_f32_e32 v9, v9, v8
	v_and_b32_e32 v8, 0x100, v4
	ds_bpermute_b32 v4, v8, v9
	s_sub_i32 s3, s16, s52
	v_cmp_gt_i32_e64 s[6:7], s3, v0
	v_mov_b32_e32 v9, 0
	s_and_saveexec_b64 s[12:13], s[6:7]
	s_cbranch_execz .LBB229_28
; %bb.25:
	v_mov_b32_e32 v9, 0x150
	v_lshl_add_u32 v10, v0, 2, v9
	s_mov_b64 s[18:19], 0
	v_mov_b32_e32 v9, 0
	v_mov_b32_e32 v11, v0
.LBB229_26:                             ; =>This Inner Loop Header: Depth=1
	ds_read_b32 v12, v10
	v_add_u32_e32 v11, 0x80, v11
	v_cmp_le_i32_e64 s[10:11], s3, v11
	s_or_b64 s[18:19], s[10:11], s[18:19]
	s_waitcnt lgkmcnt(0)
	v_sub_f32_e32 v12, v12, v4
	v_mul_f32_e32 v12, 0x3fb8aa3b, v12
	v_exp_f32_e32 v12, v12
	ds_write_b32 v10, v12
	v_add_f32_e32 v9, v9, v12
	v_add_u32_e32 v10, 0x200, v10
	s_andn2_b64 exec, exec, s[18:19]
	s_cbranch_execnz .LBB229_26
; %bb.27:
	s_or_b64 exec, exec, s[18:19]
.LBB229_28:
	s_or_b64 exec, exec, s[12:13]
	ds_bpermute_b32 v2, v2, v9
	s_waitcnt lgkmcnt(0)
	v_add_f32_e32 v2, v9, v2
	ds_bpermute_b32 v3, v3, v2
	s_waitcnt lgkmcnt(0)
	v_add_f32_e32 v2, v2, v3
	;; [unrolled: 3-line block ×6, first 2 shown]
	s_and_saveexec_b64 s[10:11], vcc
	s_cbranch_execz .LBB229_30
; %bb.29:
	ds_write_b32 v6, v2 offset:328
.LBB229_30:
	s_or_b64 exec, exec, s[10:11]
	s_waitcnt lgkmcnt(0)
	s_barrier
	s_and_saveexec_b64 s[10:11], s[0:1]
	s_cbranch_execz .LBB229_32
; %bb.31:
	ds_read_b32 v2, v7 offset:328
.LBB229_32:
	s_or_b64 exec, exec, s[10:11]
	s_waitcnt lgkmcnt(0)
	ds_bpermute_b32 v3, v65, v2
	s_waitcnt lgkmcnt(0)
	v_add_f32_e32 v2, v2, v3
	ds_bpermute_b32 v5, v8, v2
	s_and_saveexec_b64 s[0:1], s[6:7]
	s_cbranch_execz .LBB229_45
; %bb.33:
	s_waitcnt lgkmcnt(0)
	v_add_f32_e32 v2, 0x358637bd, v5
	v_div_scale_f32 v3, s[6:7], v2, v2, 1.0
	v_rcp_f32_e32 v6, v3
	v_div_scale_f32 v7, vcc, 1.0, v2, 1.0
	s_movk_i32 s6, 0x7f
	v_fma_f32 v8, -v3, v6, 1.0
	v_fmac_f32_e32 v6, v8, v6
	v_mul_f32_e32 v8, v7, v6
	v_fma_f32 v9, -v3, v8, v7
	v_fmac_f32_e32 v8, v9, v6
	v_fma_f32 v3, -v3, v8, v7
	v_div_fmas_f32 v3, v3, v6, v8
	v_div_fixup_f32 v2, v3, v2, 1.0
	v_xad_u32 v3, v0, -1, s16
	v_subrev_u32_e32 v6, s52, v3
	v_cmp_lt_u32_e32 vcc, s6, v6
	s_mov_b64 s[10:11], -1
	v_mov_b32_e32 v3, v0
	s_and_saveexec_b64 s[6:7], vcc
	s_cbranch_execz .LBB229_42
; %bb.34:
	v_lshrrev_b32_e32 v6, 7, v6
	v_add_u32_e32 v8, -1, v6
	v_lshrrev_b32_e32 v7, 1, v8
	v_mov_b32_e32 v3, v2
	v_add_u32_e32 v7, 1, v7
	v_cmp_lt_u32_e32 vcc, 13, v8
	v_mov_b32_e32 v10, 0
	s_and_saveexec_b64 s[10:11], vcc
	s_cbranch_execz .LBB229_38
; %bb.35:
	v_mov_b32_e32 v9, 0x150
	v_and_b32_e32 v8, -8, v7
	v_lshl_add_u32 v9, v0, 2, v9
	s_mov_b32 s16, 0
	s_mov_b64 s[12:13], 0
.LBB229_36:                             ; =>This Inner Loop Header: Depth=1
	ds_read2st64_b32 v[10:11], v9 offset1:2
	ds_read2st64_b32 v[12:13], v9 offset0:4 offset1:6
	ds_read2st64_b32 v[14:15], v9 offset0:8 offset1:10
	;; [unrolled: 1-line block ×3, first 2 shown]
	v_add_u32_e32 v8, -8, v8
	s_waitcnt lgkmcnt(3)
	v_pk_mul_f32 v[10:11], v[2:3], v[10:11]
	s_waitcnt lgkmcnt(2)
	v_pk_mul_f32 v[12:13], v[2:3], v[12:13]
	ds_write2st64_b32 v9, v10, v11 offset1:2
	ds_write2st64_b32 v9, v12, v13 offset0:4 offset1:6
	ds_read2st64_b32 v[12:13], v9 offset0:16 offset1:18
	s_waitcnt lgkmcnt(4)
	v_pk_mul_f32 v[10:11], v[2:3], v[14:15]
	ds_write2st64_b32 v9, v10, v11 offset0:8 offset1:10
	s_waitcnt lgkmcnt(4)
	v_pk_mul_f32 v[10:11], v[2:3], v[16:17]
	ds_write2st64_b32 v9, v10, v11 offset0:12 offset1:14
	ds_read2st64_b32 v[10:11], v9 offset0:20 offset1:22
	s_waitcnt lgkmcnt(3)
	v_pk_mul_f32 v[12:13], v[2:3], v[12:13]
	ds_read2st64_b32 v[14:15], v9 offset0:24 offset1:26
	ds_write2st64_b32 v9, v12, v13 offset0:16 offset1:18
	ds_read2st64_b32 v[12:13], v9 offset0:28 offset1:30
	s_waitcnt lgkmcnt(3)
	v_pk_mul_f32 v[10:11], v[2:3], v[10:11]
	ds_write2st64_b32 v9, v10, v11 offset0:20 offset1:22
	s_waitcnt lgkmcnt(3)
	v_pk_mul_f32 v[10:11], v[2:3], v[14:15]
	ds_write2st64_b32 v9, v10, v11 offset0:24 offset1:26
	s_waitcnt lgkmcnt(2)
	v_pk_mul_f32 v[10:11], v[2:3], v[12:13]
	s_add_i32 s16, s16, 16
	v_cmp_eq_u32_e32 vcc, 0, v8
	ds_write2st64_b32 v9, v10, v11 offset0:28 offset1:30
	v_add_u32_e32 v9, 0x2000, v9
	s_or_b64 s[12:13], vcc, s[12:13]
	v_mov_b32_e32 v10, s16
	s_andn2_b64 exec, exec, s[12:13]
	s_cbranch_execnz .LBB229_36
; %bb.37:
	s_or_b64 exec, exec, s[12:13]
.LBB229_38:
	s_or_b64 exec, exec, s[10:11]
	v_and_b32_e32 v7, 7, v7
	v_cmp_ne_u32_e32 vcc, 0, v7
	s_and_saveexec_b64 s[10:11], vcc
	s_cbranch_execz .LBB229_41
; %bb.39:
	v_lshlrev_b32_e32 v8, 9, v10
	s_movk_i32 s12, 0x150
	v_add3_u32 v8, v8, v42, s12
	s_mov_b64 s[12:13], 0
.LBB229_40:                             ; =>This Inner Loop Header: Depth=1
	ds_read2st64_b32 v[10:11], v8 offset1:2
	v_add_u32_e32 v7, -1, v7
	v_cmp_eq_u32_e32 vcc, 0, v7
	s_or_b64 s[12:13], vcc, s[12:13]
	s_waitcnt lgkmcnt(0)
	v_pk_mul_f32 v[10:11], v[2:3], v[10:11]
	ds_write2st64_b32 v8, v10, v11 offset1:2
	v_add_u32_e32 v8, 0x400, v8
	s_andn2_b64 exec, exec, s[12:13]
	s_cbranch_execnz .LBB229_40
.LBB229_41:
	s_or_b64 exec, exec, s[10:11]
	v_add_u32_e32 v6, 1, v6
	v_and_b32_e32 v7, 0x3fffffe, v6
	v_cmp_ne_u32_e32 vcc, v6, v7
	v_lshl_add_u32 v3, v7, 7, v0
	s_orn2_b64 s[10:11], vcc, exec
.LBB229_42:
	s_or_b64 exec, exec, s[6:7]
	s_and_b64 exec, exec, s[10:11]
	s_cbranch_execz .LBB229_45
; %bb.43:
	v_mov_b32_e32 v6, 0x150
	v_lshl_add_u32 v6, v3, 2, v6
	s_mov_b64 s[6:7], 0
.LBB229_44:                             ; =>This Inner Loop Header: Depth=1
	ds_read_b32 v7, v6
	v_add_u32_e32 v3, 0x80, v3
	v_cmp_le_i32_e32 vcc, s3, v3
	s_or_b64 s[6:7], vcc, s[6:7]
	s_waitcnt lgkmcnt(0)
	v_mul_f32_e32 v7, v2, v7
	ds_write_b32 v6, v7
	v_add_u32_e32 v6, 0x200, v6
	s_andn2_b64 exec, exec, s[6:7]
	s_cbranch_execnz .LBB229_44
.LBB229_45:
	s_or_b64 exec, exec, s[0:1]
	s_mul_i32 s0, s20, s34
	v_cmp_eq_u32_e32 vcc, 0, v0
	s_mul_i32 s6, s0, s5
	s_waitcnt lgkmcnt(0)
	s_barrier
	s_and_saveexec_b64 s[0:1], vcc
	s_cbranch_execz .LBB229_47
; %bb.46:
	s_ashr_i32 s7, s6, 31
	s_lshl_b64 s[10:11], s[6:7], 2
	s_add_u32 s5, s26, s10
	s_mul_i32 s2, s20, s2
	s_addc_u32 s7, s27, s11
	s_ashr_i32 s3, s2, 31
	s_lshl_b64 s[2:3], s[2:3], 2
	s_add_u32 s16, s5, s2
	s_addc_u32 s7, s7, s3
	s_ashr_i32 s5, s4, 31
	s_lshl_b64 s[12:13], s[4:5], 2
	s_add_u32 s18, s16, s12
	s_addc_u32 s19, s7, s13
	s_add_u32 s5, s24, s10
	s_addc_u32 s7, s25, s11
	s_add_u32 s2, s5, s2
	s_addc_u32 s3, s7, s3
	s_add_u32 s2, s2, s12
	v_mov_b32_e32 v2, 0
	s_addc_u32 s3, s3, s13
	global_store_dword v2, v4, s[18:19]
	global_store_dword v2, v5, s[2:3]
.LBB229_47:
	s_or_b64 exec, exec, s[0:1]
	v_mov_b32_e32 v7, 0
	v_and_b32_e32 v66, 7, v0
	v_mov_b32_e32 v6, 0
	v_mov_b32_e32 v9, 0
	;; [unrolled: 1-line block ×9, first 2 shown]
	s_and_saveexec_b64 s[2:3], s[8:9]
	s_cbranch_execz .LBB229_73
; %bb.48:
	s_sub_i32 s5, s50, s21
	s_ashr_i32 s1, s51, 31
	s_add_u32 s0, s40, s51
	s_addc_u32 s1, s41, s1
	s_abs_i32 s7, s22
	v_cvt_f32_u32_e32 v2, s7
	s_sub_i32 s8, 0, s7
	v_and_b32_e32 v6, 0xfc, v42
	v_mov_b32_e32 v7, 0
	v_rcp_iflag_f32_e32 v2, v2
	s_add_i32 s49, s49, -1
	v_lshl_add_u64 v[16:17], s[0:1], 0, v[6:7]
	s_lshl_b64 s[0:1], s[38:39], 2
	v_mul_f32_e32 v2, 0x4f7ffffe, v2
	v_cvt_u32_f32_e32 v2, v2
	s_add_u32 s0, s36, s0
	s_addc_u32 s1, s37, s1
	v_and_b32_e32 v67, 28, v42
	v_mul_lo_u32 v3, s8, v2
	v_mul_hi_u32 v3, v2, v3
	v_add_u32_e32 v68, v2, v3
	v_lshlrev_b32_e32 v2, 4, v66
	v_lshl_or_b32 v2, v43, 7, v2
	s_mov_b32 s18, s17
	v_lshl_add_u64 v[18:19], v[34:35], 2, s[0:1]
	v_add_u32_e32 v35, 0x150, v2
	s_mov_b64 s[8:9], 0
	v_mov_b32_e32 v6, v7
	v_mov_b32_e32 v9, v7
	v_mov_b32_e32 v8, v7
	v_mov_b32_e32 v11, v7
	v_mov_b32_e32 v10, v7
	v_mov_b32_e32 v13, v7
	v_mov_b32_e32 v12, v7
	v_mov_b32_e32 v15, v7
	v_mov_b32_e32 v14, v7
	s_branch .LBB229_51
.LBB229_49:                             ;   in Loop: Header=BB229_51 Depth=1
	s_or_b64 exec, exec, s[0:1]
	v_mul_f32_e32 v61, v3, v61
	v_mul_f32_e32 v55, v3, v55
	;; [unrolled: 1-line block ×10, first 2 shown]
	v_fmac_f32_e32 v61, v2, v60
	v_fmac_f32_e32 v55, v2, v54
	;; [unrolled: 1-line block ×30, first 2 shown]
	v_add_f32_e32 v6, v6, v61
	v_add_f32_e32 v9, v9, v55
	v_add_f32_e32 v8, v8, v51
	v_add_f32_e32 v11, v11, v47
	v_add_f32_e32 v10, v10, v43
	v_add_f32_e32 v13, v13, v39
	v_add_f32_e32 v12, v12, v33
	v_add_f32_e32 v15, v15, v27
	v_add_f32_e32 v14, v14, v23
	v_add_f32_e32 v7, v7, v3
.LBB229_50:                             ;   in Loop: Header=BB229_51 Depth=1
	s_or_b64 exec, exec, s[10:11]
	v_add_u32_e32 v34, 2, v34
	v_cmp_le_i32_e32 vcc, s48, v34
	v_lshl_add_u64 v[18:19], v[18:19], 0, 8
	v_add_u32_e32 v1, 64, v1
	s_or_b64 s[8:9], vcc, s[8:9]
	v_add_u32_e32 v35, 0x100, v35
	s_andn2_b64 exec, exec, s[8:9]
	s_cbranch_execz .LBB229_72
.LBB229_51:                             ; =>This Inner Loop Header: Depth=1
	v_sub_u32_e32 v3, 0, v1
	v_max_i32_e32 v3, v1, v3
	v_mul_hi_u32 v4, v3, s35
	v_mul_lo_u32 v5, v4, s29
	v_sub_u32_e32 v3, v3, v5
	v_add_u32_e32 v5, 1, v4
	v_cmp_le_u32_e32 vcc, s29, v3
	v_ashrrev_i32_e32 v2, 31, v1
	v_xor_b32_e32 v2, s23, v2
	v_cndmask_b32_e32 v4, v4, v5, vcc
	v_subrev_u32_e32 v5, s29, v3
	v_cndmask_b32_e32 v3, v3, v5, vcc
	v_add_u32_e32 v5, 1, v4
	v_cmp_le_u32_e32 vcc, s29, v3
	s_nop 1
	v_cndmask_b32_e32 v3, v4, v5, vcc
	v_xor_b32_e32 v3, v3, v2
	v_sub_u32_e32 v2, v3, v2
	v_add_u32_e32 v3, s42, v2
	v_sub_u32_e32 v5, 0, v3
	v_ashrrev_i32_e32 v4, 31, v3
	v_max_i32_e32 v3, v3, v5
	v_mul_hi_u32 v5, v3, v68
	v_mul_lo_u32 v5, v5, s7
	v_sub_u32_e32 v3, v3, v5
	v_subrev_u32_e32 v5, s7, v3
	v_cmp_le_u32_e32 vcc, s7, v3
	v_cmp_lt_i32_e64 s[0:1], s5, v2
	s_nop 0
	v_cndmask_b32_e32 v3, v3, v5, vcc
	v_subrev_u32_e32 v5, s7, v3
	v_cmp_le_u32_e32 vcc, s7, v3
	s_nop 1
	v_cndmask_b32_e32 v3, v3, v5, vcc
	v_xor_b32_e32 v3, v3, v4
	v_sub_u32_e32 v3, v3, v4
	v_cmp_eq_u32_e32 vcc, 0, v3
	s_or_b64 s[0:1], vcc, s[0:1]
	s_and_saveexec_b64 s[10:11], s[0:1]
	s_cbranch_execz .LBB229_50
; %bb.52:                               ;   in Loop: Header=BB229_51 Depth=1
	global_load_dword v2, v[18:19], off
	s_load_dword s12, s[14:15], 0x0
	v_add_u32_e32 v69, v67, v1
	v_cmp_eq_u32_e32 vcc, s49, v34
	v_add_u32_e32 v71, 1, v69
	v_add_u32_e32 v70, 2, v69
	;; [unrolled: 1-line block ×3, first 2 shown]
	s_waitcnt vmcnt(0)
	v_mad_i64_i32 v[28:29], s[0:1], v2, s18, v[16:17]
	global_load_dword v20, v[28:29], off
	ds_read_b128 v[2:5], v35
	s_waitcnt vmcnt(0)
	v_and_b32_e32 v21, 0xffff, v20
	v_lshrrev_b32_e32 v22, 16, v20
	v_cvt_pk_f32_fp8_e32 v[20:21], v21
	v_cvt_pk_f32_fp8_e32 v[24:25], v22
	s_waitcnt lgkmcnt(0)
	v_pk_mul_f32 v[22:23], s[12:13], v[20:21] op_sel_hi:[0,1]
	v_pk_mul_f32 v[20:21], s[12:13], v[24:25] op_sel_hi:[0,1]
	s_and_saveexec_b64 s[16:17], vcc
; %bb.53:                               ;   in Loop: Header=BB229_51 Depth=1
	v_cmp_gt_i32_e64 s[0:1], s33, v69
	s_nop 1
	v_cndmask_b32_e64 v22, 0, v22, s[0:1]
	v_cmp_gt_i32_e64 s[0:1], s33, v71
	s_nop 1
	v_cndmask_b32_e64 v23, 0, v23, s[0:1]
	v_cmp_gt_i32_e64 s[0:1], s33, v70
	s_nop 1
	v_cndmask_b32_e64 v20, 0, v20, s[0:1]
	v_cmp_gt_i32_e64 s[0:1], s33, v72
	s_nop 1
	v_cndmask_b32_e64 v21, 0, v21, s[0:1]
; %bb.54:                               ;   in Loop: Header=BB229_51 Depth=1
	s_or_b64 exec, exec, s[16:17]
	global_load_dword v24, v[28:29], off offset:256
	s_mov_b32 s13, s12
	s_waitcnt vmcnt(0)
	v_and_b32_e32 v25, 0xffff, v24
	v_lshrrev_b32_e32 v26, 16, v24
	v_cvt_pk_f32_fp8_e32 v[24:25], v25
	v_cvt_pk_f32_fp8_e32 v[30:31], v26
	v_pk_mul_f32 v[26:27], s[12:13], v[24:25]
	v_pk_mul_f32 v[24:25], s[12:13], v[30:31]
	s_and_saveexec_b64 s[16:17], vcc
; %bb.55:                               ;   in Loop: Header=BB229_51 Depth=1
	v_cmp_gt_i32_e64 s[0:1], s33, v69
	s_nop 1
	v_cndmask_b32_e64 v26, 0, v26, s[0:1]
	v_cmp_gt_i32_e64 s[0:1], s33, v71
	s_nop 1
	v_cndmask_b32_e64 v27, 0, v27, s[0:1]
	v_cmp_gt_i32_e64 s[0:1], s33, v70
	s_nop 1
	v_cndmask_b32_e64 v24, 0, v24, s[0:1]
	v_cmp_gt_i32_e64 s[0:1], s33, v72
	s_nop 1
	v_cndmask_b32_e64 v25, 0, v25, s[0:1]
; %bb.56:                               ;   in Loop: Header=BB229_51 Depth=1
	s_or_b64 exec, exec, s[16:17]
	global_load_dword v30, v[28:29], off offset:512
	s_waitcnt vmcnt(0)
	v_and_b32_e32 v31, 0xffff, v30
	v_lshrrev_b32_e32 v32, 16, v30
	v_cvt_pk_f32_fp8_e32 v[30:31], v31
	v_cvt_pk_f32_fp8_e32 v[36:37], v32
	v_pk_mul_f32 v[32:33], s[12:13], v[30:31]
	v_pk_mul_f32 v[30:31], s[12:13], v[36:37]
	s_and_saveexec_b64 s[16:17], vcc
; %bb.57:                               ;   in Loop: Header=BB229_51 Depth=1
	v_cmp_gt_i32_e64 s[0:1], s33, v69
	s_nop 1
	v_cndmask_b32_e64 v32, 0, v32, s[0:1]
	v_cmp_gt_i32_e64 s[0:1], s33, v71
	s_nop 1
	v_cndmask_b32_e64 v33, 0, v33, s[0:1]
	v_cmp_gt_i32_e64 s[0:1], s33, v70
	s_nop 1
	v_cndmask_b32_e64 v30, 0, v30, s[0:1]
	v_cmp_gt_i32_e64 s[0:1], s33, v72
	s_nop 1
	v_cndmask_b32_e64 v31, 0, v31, s[0:1]
; %bb.58:                               ;   in Loop: Header=BB229_51 Depth=1
	s_or_b64 exec, exec, s[16:17]
	global_load_dword v36, v[28:29], off offset:768
	;; [unrolled: 24-line block ×8, first 2 shown]
	s_waitcnt vmcnt(0)
	v_and_b32_e32 v29, 0xffff, v28
	v_lshrrev_b32_e32 v56, 16, v28
	v_cvt_pk_f32_fp8_e32 v[28:29], v29
	v_cvt_pk_f32_fp8_e32 v[74:75], v56
	v_pk_mul_f32 v[56:57], s[12:13], v[28:29]
	v_pk_mul_f32 v[28:29], s[12:13], v[74:75]
	s_and_saveexec_b64 s[0:1], vcc
	s_cbranch_execz .LBB229_49
; %bb.71:                               ;   in Loop: Header=BB229_51 Depth=1
	v_cmp_gt_i32_e32 vcc, s33, v69
	s_nop 1
	v_cndmask_b32_e32 v56, 0, v56, vcc
	v_cmp_gt_i32_e32 vcc, s33, v71
	s_nop 1
	v_cndmask_b32_e32 v57, 0, v57, vcc
	;; [unrolled: 3-line block ×4, first 2 shown]
	s_branch .LBB229_49
.LBB229_72:
	s_or_b64 exec, exec, s[8:9]
.LBB229_73:
	s_or_b64 exec, exec, s[2:3]
	ds_bpermute_b32 v2, v63, v14
	ds_bpermute_b32 v3, v63, v15
	;; [unrolled: 1-line block ×6, first 2 shown]
	s_waitcnt lgkmcnt(4)
	v_pk_add_f32 v[2:3], v[14:15], v[2:3]
	ds_bpermute_b32 v14, v64, v2
	ds_bpermute_b32 v15, v64, v3
	s_waitcnt lgkmcnt(4)
	v_pk_add_f32 v[4:5], v[12:13], v[4:5]
	s_waitcnt lgkmcnt(2)
	v_pk_add_f32 v[10:11], v[10:11], v[16:17]
	ds_bpermute_b32 v18, v63, v8
	ds_bpermute_b32 v19, v63, v9
	s_waitcnt lgkmcnt(2)
	v_pk_add_f32 v[2:3], v[2:3], v[14:15]
	ds_bpermute_b32 v14, v64, v4
	ds_bpermute_b32 v15, v64, v5
	;; [unrolled: 1-line block ×6, first 2 shown]
	s_waitcnt lgkmcnt(6)
	v_pk_add_f32 v[8:9], v[8:9], v[18:19]
	s_waitcnt lgkmcnt(4)
	v_pk_add_f32 v[4:5], v[4:5], v[14:15]
	;; [unrolled: 2-line block ×3, first 2 shown]
	ds_bpermute_b32 v16, v64, v8
	ds_bpermute_b32 v17, v64, v9
	s_waitcnt lgkmcnt(2)
	v_pk_add_f32 v[20:21], v[6:7], v[20:21]
	ds_bpermute_b32 v14, v65, v4
	ds_bpermute_b32 v15, v65, v5
	;; [unrolled: 1-line block ×8, first 2 shown]
	s_waitcnt lgkmcnt(8)
	v_pk_add_f32 v[16:17], v[8:9], v[16:17]
	ds_bpermute_b32 v22, v65, v16
	ds_bpermute_b32 v23, v65, v17
	s_waitcnt lgkmcnt(8)
	v_pk_add_f32 v[6:7], v[4:5], v[14:15]
	s_waitcnt lgkmcnt(6)
	v_pk_add_f32 v[4:5], v[10:11], v[18:19]
	;; [unrolled: 2-line block ×4, first 2 shown]
	ds_bpermute_b32 v12, v65, v10
	ds_bpermute_b32 v13, v65, v11
	v_and_b32_e32 v1, 0x3c7, v0
	s_waitcnt lgkmcnt(2)
	v_pk_add_f32 v[2:3], v[16:17], v[22:23]
	v_cmp_ne_u32_e32 vcc, 64, v1
	s_waitcnt lgkmcnt(0)
	s_barrier
	s_and_saveexec_b64 s[0:1], vcc
	s_xor_b64 s[0:1], exec, s[0:1]
; %bb.74:
                                        ; implicit-def: $vgpr62
; %bb.75:
	s_or_saveexec_b64 s[0:1], s[0:1]
	v_pk_add_f32 v[10:11], v[10:11], v[12:13]
	s_xor_b64 exec, exec, s[0:1]
	s_cbranch_execz .LBB229_77
; %bb.76:
	v_lshrrev_b32_e32 v12, 1, v62
	v_add_u32_e32 v12, 0x150, v12
	ds_write2_b32 v12, v8, v9 offset1:8
	ds_write2_b32 v12, v6, v7 offset0:16 offset1:24
	ds_write2_b32 v12, v4, v5 offset0:32 offset1:40
	;; [unrolled: 1-line block ×4, first 2 shown]
.LBB229_77:
	s_or_b64 exec, exec, s[0:1]
	v_cmp_gt_u32_e32 vcc, 64, v0
	s_waitcnt lgkmcnt(0)
	s_barrier
	s_and_saveexec_b64 s[0:1], vcc
	s_cbranch_execz .LBB229_90
; %bb.78:
	v_cmp_eq_u32_e32 vcc, 0, v66
	v_lshrrev_b32_e32 v12, 3, v0
	s_and_saveexec_b64 s[2:3], vcc
	s_cbranch_execnz .LBB229_93
; %bb.79:
	s_or_b64 exec, exec, s[2:3]
	s_and_saveexec_b64 s[2:3], vcc
	s_cbranch_execnz .LBB229_94
.LBB229_80:
	s_or_b64 exec, exec, s[2:3]
	s_and_saveexec_b64 s[2:3], vcc
	s_cbranch_execnz .LBB229_95
.LBB229_81:
	s_or_b64 exec, exec, s[2:3]
	s_and_saveexec_b64 s[2:3], vcc
	s_cbranch_execnz .LBB229_96
.LBB229_82:
	s_or_b64 exec, exec, s[2:3]
	s_and_saveexec_b64 s[2:3], vcc
	s_cbranch_execnz .LBB229_97
.LBB229_83:
	s_or_b64 exec, exec, s[2:3]
	s_and_saveexec_b64 s[2:3], vcc
	s_cbranch_execnz .LBB229_98
.LBB229_84:
	s_or_b64 exec, exec, s[2:3]
	s_and_saveexec_b64 s[2:3], vcc
	s_cbranch_execnz .LBB229_99
.LBB229_85:
	s_or_b64 exec, exec, s[2:3]
	s_and_saveexec_b64 s[2:3], vcc
	s_cbranch_execnz .LBB229_100
.LBB229_86:
	s_or_b64 exec, exec, s[2:3]
	s_and_saveexec_b64 s[2:3], vcc
	s_cbranch_execnz .LBB229_101
.LBB229_87:
	s_or_b64 exec, exec, s[2:3]
	s_and_saveexec_b64 s[2:3], vcc
	s_cbranch_execz .LBB229_89
.LBB229_88:
	v_mov_b32_e32 v13, 0x150
	v_lshl_add_u32 v12, v12, 2, v13
	ds_read_b32 v12, v12 offset:288
	s_waitcnt lgkmcnt(0)
	v_add_f32_e32 v11, v11, v12
.LBB229_89:
	s_or_b64 exec, exec, s[2:3]
.LBB229_90:
	s_or_b64 exec, exec, s[0:1]
	v_cmp_eq_u32_e32 vcc, 0, v1
	s_barrier
	s_and_saveexec_b64 s[0:1], vcc
	s_cbranch_execz .LBB229_92
; %bb.91:
	s_mul_i32 s0, s6, 0x50
	s_ashr_i32 s1, s0, 31
	s_lshl_b64 s[0:1], s[0:1], 2
	s_add_u32 s2, s30, s0
	s_mul_i32 s0, s20, s28
	s_addc_u32 s3, s31, s1
	s_ashr_i32 s1, s0, 31
	s_lshl_b64 s[0:1], s[0:1], 2
	s_add_u32 s2, s2, s0
	s_mul_i32 s0, s4, 0x50
	s_addc_u32 s3, s3, s1
	s_ashr_i32 s1, s0, 31
	s_lshl_b64 s[0:1], s[0:1], 2
	s_add_u32 s0, s2, s0
	s_addc_u32 s1, s3, s1
	v_lshrrev_b32_e32 v0, 1, v0
	global_store_dword v0, v8, s[0:1]
	global_store_dword v0, v9, s[0:1] offset:32
	global_store_dword v0, v6, s[0:1] offset:64
	global_store_dword v0, v7, s[0:1] offset:96
	global_store_dword v0, v4, s[0:1] offset:128
	global_store_dword v0, v5, s[0:1] offset:160
	global_store_dword v0, v2, s[0:1] offset:192
	global_store_dword v0, v3, s[0:1] offset:224
	global_store_dword v0, v10, s[0:1] offset:256
	global_store_dword v0, v11, s[0:1] offset:288
.LBB229_92:
	s_endpgm
.LBB229_93:
	v_mov_b32_e32 v13, 0x150
	v_lshl_add_u32 v13, v12, 2, v13
	ds_read_b32 v13, v13
	s_waitcnt lgkmcnt(0)
	v_add_f32_e32 v8, v8, v13
	s_or_b64 exec, exec, s[2:3]
	s_and_saveexec_b64 s[2:3], vcc
	s_cbranch_execz .LBB229_80
.LBB229_94:
	v_mov_b32_e32 v13, 0x150
	v_lshl_add_u32 v13, v12, 2, v13
	ds_read_b32 v13, v13 offset:32
	s_waitcnt lgkmcnt(0)
	v_add_f32_e32 v9, v9, v13
	s_or_b64 exec, exec, s[2:3]
	s_and_saveexec_b64 s[2:3], vcc
	s_cbranch_execz .LBB229_81
.LBB229_95:
	v_mov_b32_e32 v13, 0x150
	v_lshl_add_u32 v13, v12, 2, v13
	ds_read_b32 v13, v13 offset:64
	s_waitcnt lgkmcnt(0)
	v_add_f32_e32 v6, v6, v13
	s_or_b64 exec, exec, s[2:3]
	s_and_saveexec_b64 s[2:3], vcc
	s_cbranch_execz .LBB229_82
.LBB229_96:
	v_mov_b32_e32 v13, 0x150
	v_lshl_add_u32 v13, v12, 2, v13
	ds_read_b32 v13, v13 offset:96
	s_waitcnt lgkmcnt(0)
	v_add_f32_e32 v7, v7, v13
	s_or_b64 exec, exec, s[2:3]
	s_and_saveexec_b64 s[2:3], vcc
	s_cbranch_execz .LBB229_83
.LBB229_97:
	v_mov_b32_e32 v13, 0x150
	v_lshl_add_u32 v13, v12, 2, v13
	ds_read_b32 v13, v13 offset:128
	s_waitcnt lgkmcnt(0)
	v_add_f32_e32 v4, v4, v13
	s_or_b64 exec, exec, s[2:3]
	s_and_saveexec_b64 s[2:3], vcc
	s_cbranch_execz .LBB229_84
.LBB229_98:
	v_mov_b32_e32 v13, 0x150
	v_lshl_add_u32 v13, v12, 2, v13
	ds_read_b32 v13, v13 offset:160
	s_waitcnt lgkmcnt(0)
	v_add_f32_e32 v5, v5, v13
	s_or_b64 exec, exec, s[2:3]
	s_and_saveexec_b64 s[2:3], vcc
	s_cbranch_execz .LBB229_85
.LBB229_99:
	v_mov_b32_e32 v13, 0x150
	v_lshl_add_u32 v13, v12, 2, v13
	ds_read_b32 v13, v13 offset:192
	s_waitcnt lgkmcnt(0)
	v_add_f32_e32 v2, v2, v13
	s_or_b64 exec, exec, s[2:3]
	s_and_saveexec_b64 s[2:3], vcc
	s_cbranch_execz .LBB229_86
.LBB229_100:
	v_mov_b32_e32 v13, 0x150
	v_lshl_add_u32 v13, v12, 2, v13
	ds_read_b32 v13, v13 offset:224
	s_waitcnt lgkmcnt(0)
	v_add_f32_e32 v3, v3, v13
	s_or_b64 exec, exec, s[2:3]
	s_and_saveexec_b64 s[2:3], vcc
	s_cbranch_execz .LBB229_87
.LBB229_101:
	v_mov_b32_e32 v13, 0x150
	v_lshl_add_u32 v13, v12, 2, v13
	ds_read_b32 v13, v13 offset:256
	s_waitcnt lgkmcnt(0)
	v_add_f32_e32 v10, v10, v13
	s_or_b64 exec, exec, s[2:3]
	s_and_saveexec_b64 s[2:3], vcc
	s_cbranch_execnz .LBB229_88
	s_branch .LBB229_89
	.section	.rodata,"a",@progbits
	.p2align	6, 0x0
	.amdhsa_kernel _ZN4vllm25paged_attention_v2_kernelIfhLi80ELi32ELi128ELNS_18Fp8KVCacheDataTypeE1ELb1ELi512EEEvPfS2_PT_PKS3_PKT0_S9_ifPKiSB_iPKfiiiSD_SD_iiiii
		.amdhsa_group_segment_fixed_size 336
		.amdhsa_private_segment_fixed_size 0
		.amdhsa_kernarg_size 400
		.amdhsa_user_sgpr_count 2
		.amdhsa_user_sgpr_dispatch_ptr 0
		.amdhsa_user_sgpr_queue_ptr 0
		.amdhsa_user_sgpr_kernarg_segment_ptr 1
		.amdhsa_user_sgpr_dispatch_id 0
		.amdhsa_user_sgpr_kernarg_preload_length 0
		.amdhsa_user_sgpr_kernarg_preload_offset 0
		.amdhsa_user_sgpr_private_segment_size 0
		.amdhsa_uses_dynamic_stack 0
		.amdhsa_enable_private_segment 0
		.amdhsa_system_sgpr_workgroup_id_x 1
		.amdhsa_system_sgpr_workgroup_id_y 1
		.amdhsa_system_sgpr_workgroup_id_z 1
		.amdhsa_system_sgpr_workgroup_info 0
		.amdhsa_system_vgpr_workitem_id 0
		.amdhsa_next_free_vgpr 92
		.amdhsa_next_free_sgpr 57
		.amdhsa_accum_offset 92
		.amdhsa_reserve_vcc 1
		.amdhsa_float_round_mode_32 0
		.amdhsa_float_round_mode_16_64 0
		.amdhsa_float_denorm_mode_32 3
		.amdhsa_float_denorm_mode_16_64 3
		.amdhsa_dx10_clamp 1
		.amdhsa_ieee_mode 1
		.amdhsa_fp16_overflow 0
		.amdhsa_tg_split 0
		.amdhsa_exception_fp_ieee_invalid_op 0
		.amdhsa_exception_fp_denorm_src 0
		.amdhsa_exception_fp_ieee_div_zero 0
		.amdhsa_exception_fp_ieee_overflow 0
		.amdhsa_exception_fp_ieee_underflow 0
		.amdhsa_exception_fp_ieee_inexact 0
		.amdhsa_exception_int_div_zero 0
	.end_amdhsa_kernel
	.section	.text._ZN4vllm25paged_attention_v2_kernelIfhLi80ELi32ELi128ELNS_18Fp8KVCacheDataTypeE1ELb1ELi512EEEvPfS2_PT_PKS3_PKT0_S9_ifPKiSB_iPKfiiiSD_SD_iiiii,"axG",@progbits,_ZN4vllm25paged_attention_v2_kernelIfhLi80ELi32ELi128ELNS_18Fp8KVCacheDataTypeE1ELb1ELi512EEEvPfS2_PT_PKS3_PKT0_S9_ifPKiSB_iPKfiiiSD_SD_iiiii,comdat
.Lfunc_end229:
	.size	_ZN4vllm25paged_attention_v2_kernelIfhLi80ELi32ELi128ELNS_18Fp8KVCacheDataTypeE1ELb1ELi512EEEvPfS2_PT_PKS3_PKT0_S9_ifPKiSB_iPKfiiiSD_SD_iiiii, .Lfunc_end229-_ZN4vllm25paged_attention_v2_kernelIfhLi80ELi32ELi128ELNS_18Fp8KVCacheDataTypeE1ELb1ELi512EEEvPfS2_PT_PKS3_PKT0_S9_ifPKiSB_iPKfiiiSD_SD_iiiii
                                        ; -- End function
	.section	.AMDGPU.csdata,"",@progbits
; Kernel info:
; codeLenInByte = 7072
; NumSgprs: 63
; NumVgprs: 92
; NumAgprs: 0
; TotalNumVgprs: 92
; ScratchSize: 0
; MemoryBound: 0
; FloatMode: 240
; IeeeMode: 1
; LDSByteSize: 336 bytes/workgroup (compile time only)
; SGPRBlocks: 7
; VGPRBlocks: 11
; NumSGPRsForWavesPerEU: 63
; NumVGPRsForWavesPerEU: 92
; AccumOffset: 92
; Occupancy: 5
; WaveLimiterHint : 1
; COMPUTE_PGM_RSRC2:SCRATCH_EN: 0
; COMPUTE_PGM_RSRC2:USER_SGPR: 2
; COMPUTE_PGM_RSRC2:TRAP_HANDLER: 0
; COMPUTE_PGM_RSRC2:TGID_X_EN: 1
; COMPUTE_PGM_RSRC2:TGID_Y_EN: 1
; COMPUTE_PGM_RSRC2:TGID_Z_EN: 1
; COMPUTE_PGM_RSRC2:TIDIG_COMP_CNT: 0
; COMPUTE_PGM_RSRC3_GFX90A:ACCUM_OFFSET: 22
; COMPUTE_PGM_RSRC3_GFX90A:TG_SPLIT: 0
	.section	.text._ZN4vllm25paged_attention_v2_kernelIfhLi96ELi32ELi128ELNS_18Fp8KVCacheDataTypeE1ELb1ELi512EEEvPfS2_PT_PKS3_PKT0_S9_ifPKiSB_iPKfiiiSD_SD_iiiii,"axG",@progbits,_ZN4vllm25paged_attention_v2_kernelIfhLi96ELi32ELi128ELNS_18Fp8KVCacheDataTypeE1ELb1ELi512EEEvPfS2_PT_PKS3_PKT0_S9_ifPKiSB_iPKfiiiSD_SD_iiiii,comdat
	.protected	_ZN4vllm25paged_attention_v2_kernelIfhLi96ELi32ELi128ELNS_18Fp8KVCacheDataTypeE1ELb1ELi512EEEvPfS2_PT_PKS3_PKT0_S9_ifPKiSB_iPKfiiiSD_SD_iiiii ; -- Begin function _ZN4vllm25paged_attention_v2_kernelIfhLi96ELi32ELi128ELNS_18Fp8KVCacheDataTypeE1ELb1ELi512EEEvPfS2_PT_PKS3_PKT0_S9_ifPKiSB_iPKfiiiSD_SD_iiiii
	.globl	_ZN4vllm25paged_attention_v2_kernelIfhLi96ELi32ELi128ELNS_18Fp8KVCacheDataTypeE1ELb1ELi512EEEvPfS2_PT_PKS3_PKT0_S9_ifPKiSB_iPKfiiiSD_SD_iiiii
	.p2align	8
	.type	_ZN4vllm25paged_attention_v2_kernelIfhLi96ELi32ELi128ELNS_18Fp8KVCacheDataTypeE1ELb1ELi512EEEvPfS2_PT_PKS3_PKT0_S9_ifPKiSB_iPKfiiiSD_SD_iiiii,@function
_ZN4vllm25paged_attention_v2_kernelIfhLi96ELi32ELi128ELNS_18Fp8KVCacheDataTypeE1ELb1ELi512EEEvPfS2_PT_PKS3_PKT0_S9_ifPKiSB_iPKfiiiSD_SD_iiiii: ; @_ZN4vllm25paged_attention_v2_kernelIfhLi96ELi32ELi128ELNS_18Fp8KVCacheDataTypeE1ELb1ELi512EEEvPfS2_PT_PKS3_PKT0_S9_ifPKiSB_iPKfiiiSD_SD_iiiii
; %bb.0:
	s_load_dwordx2 s[6:7], s[0:1], 0x40
	s_mov_b32 s34, s3
	s_ashr_i32 s35, s3, 31
	s_lshl_b64 s[8:9], s[34:35], 2
	s_waitcnt lgkmcnt(0)
	s_add_u32 s6, s6, s8
	s_addc_u32 s7, s7, s9
	s_load_dword s33, s[6:7], 0x0
	s_lshl_b32 s52, s4, 9
	s_waitcnt lgkmcnt(0)
	s_cmp_ge_i32 s52, s33
	s_cbranch_scc1 .LBB230_98
; %bb.1:
	s_load_dword s5, s[0:1], 0x90
	s_load_dwordx2 s[42:43], s[0:1], 0x30
	s_waitcnt lgkmcnt(0)
	s_abs_i32 s7, s5
	s_abs_i32 s3, s42
	v_cvt_f32_u32_e32 v1, s3
	s_sub_i32 s8, 0, s3
	s_xor_b32 s6, s5, s42
	s_ashr_i32 s6, s6, 31
	v_rcp_iflag_f32_e32 v1, v1
	s_nop 0
	v_mul_f32_e32 v1, 0x4f7ffffe, v1
	v_cvt_u32_f32_e32 v1, v1
	s_nop 0
	v_readfirstlane_b32 s9, v1
	s_mul_i32 s8, s8, s9
	s_mul_hi_u32 s8, s9, s8
	s_add_i32 s9, s9, s8
	s_mul_hi_u32 s8, s7, s9
	s_mul_i32 s9, s8, s3
	s_sub_i32 s7, s7, s9
	s_add_i32 s10, s8, 1
	s_sub_i32 s9, s7, s3
	s_cmp_ge_u32 s7, s3
	s_cselect_b32 s8, s10, s8
	s_cselect_b32 s7, s9, s7
	s_add_i32 s9, s8, 1
	s_cmp_ge_u32 s7, s3
	s_cselect_b32 s3, s9, s8
	s_xor_b32 s3, s3, s6
	s_sub_i32 s12, s3, s6
	s_abs_i32 s8, s12
	v_cvt_f32_u32_e32 v1, s8
	s_load_dwordx2 s[6:7], s[0:1], 0x50
	s_sub_i32 s10, 0, s8
	s_abs_i32 s9, s2
	v_rcp_iflag_f32_e32 v1, v1
	s_mov_b32 s3, 0
	v_mul_f32_e32 v1, 0x4f7ffffe, v1
	v_cvt_u32_f32_e32 v1, v1
	s_nop 0
	v_readfirstlane_b32 s11, v1
	s_mul_i32 s10, s10, s11
	s_mul_hi_u32 s10, s11, s10
	s_add_i32 s11, s11, s10
	s_waitcnt lgkmcnt(0)
	s_cmp_eq_u64 s[6:7], 0
	s_mul_hi_u32 s10, s9, s11
	s_cbranch_scc1 .LBB230_3
; %bb.2:
	s_ashr_i32 s3, s2, 31
	s_lshl_b64 s[14:15], s[2:3], 2
	s_add_u32 s6, s6, s14
	s_addc_u32 s7, s7, s15
	s_load_dword s3, s[6:7], 0x0
.LBB230_3:
	s_load_dwordx4 s[16:19], s[0:1], 0x58
	s_ashr_i32 s11, s2, 31
	s_ashr_i32 s12, s12, 31
	v_and_b32_e32 v2, 1, v0
	s_mul_i32 s28, s2, 0x60
	v_cmp_gt_u32_e32 vcc, 48, v0
	v_lshlrev_b32_e32 v50, 2, v0
	s_and_saveexec_b64 s[6:7], vcc
	s_cbranch_execz .LBB230_5
; %bb.4:
	s_load_dwordx2 s[14:15], s[0:1], 0x18
	s_waitcnt lgkmcnt(0)
	s_mul_i32 s20, s34, s16
	s_ashr_i32 s21, s20, 31
	s_lshl_b64 s[20:21], s[20:21], 2
	v_lshlrev_b32_e32 v1, 3, v0
	s_add_u32 s13, s14, s20
	s_addc_u32 s16, s15, s21
	s_ashr_i32 s29, s28, 31
	s_lshl_b64 s[14:15], s[28:29], 2
	s_add_u32 s14, s13, s14
	s_addc_u32 s15, s16, s15
	global_load_dwordx2 v[4:5], v1, s[14:15]
	v_and_b32_e32 v1, 0xff8, v50
	s_movk_i32 s13, 0xc0
	v_mad_u32_u24 v1, v2, s13, v1
	s_waitcnt vmcnt(0)
	ds_write_b64 v1, v[4:5]
.LBB230_5:
	s_or_b64 exec, exec, s[6:7]
	s_mul_i32 s7, s10, s8
	s_sub_i32 s7, s9, s7
	s_xor_b32 s6, s11, s12
	s_add_i32 s9, s10, 1
	s_sub_i32 s11, s7, s8
	s_load_dwordx4 s[20:23], s[0:1], 0x78
	s_cmp_ge_u32 s7, s8
	s_cselect_b32 s9, s9, s10
	s_cselect_b32 s7, s11, s7
	s_add_i32 s10, s9, 1
	s_cmp_ge_u32 s7, s8
	s_cselect_b32 s7, s10, s9
	s_load_dword s10, s[0:1], 0x88
	s_waitcnt lgkmcnt(0)
	s_abs_i32 s29, s23
	v_cvt_f32_u32_e32 v1, s29
	s_xor_b32 s7, s7, s6
	s_sub_i32 s51, s7, s6
	s_sub_i32 s6, 0, s29
	v_rcp_iflag_f32_e32 v1, v1
	s_add_i32 s11, s33, -1
	s_abs_i32 s8, s11
	v_mul_f32_e32 v1, 0x4f7ffffe, v1
	v_cvt_u32_f32_e32 v1, v1
	s_barrier
	v_readfirstlane_b32 s35, v1
	s_mul_i32 s6, s6, s35
	s_mul_hi_u32 s6, s35, s6
	s_add_i32 s35, s35, s6
	s_cmp_lt_i32 s10, 0
	s_mul_hi_u32 s9, s8, s35
	s_cbranch_scc0 .LBB230_7
; %bb.6:
	s_mul_i32 s6, s20, s42
	s_add_i32 s6, s51, s6
	s_mul_i32 s6, s6, s10
	s_sub_i32 s42, 1, s6
	s_mov_b64 s[6:7], 0
	s_branch .LBB230_8
.LBB230_7:
	s_mov_b64 s[6:7], -1
                                        ; implicit-def: $sgpr42
.LBB230_8:
	s_load_dwordx2 s[36:37], s[0:1], 0x38
	s_ashr_i32 s11, s11, 31
	s_andn2_b64 vcc, exec, s[6:7]
	s_ashr_i32 s23, s23, 31
	s_cbranch_vccnz .LBB230_10
; %bb.9:
	s_mul_i32 s6, s5, s20
	s_add_i32 s6, s6, s2
	s_mul_i32 s6, s6, s10
	s_add_i32 s42, s6, 1
.LBB230_10:
	s_load_dwordx2 s[40:41], s[0:1], 0x28
	s_load_dword s6, s[0:1], 0x48
	s_load_dwordx4 s[24:27], s[0:1], 0x0
	s_load_dwordx2 s[30:31], s[0:1], 0x10
	s_load_dword s20, s[0:1], 0x98
	s_load_dwordx4 s[12:15], s[0:1], 0x68
	s_mul_i32 s7, s9, s29
	s_waitcnt lgkmcnt(0)
	s_mul_i32 s38, s34, s6
	s_sub_i32 s7, s8, s7
	s_ashr_i32 s39, s38, 31
	s_xor_b32 s6, s11, s23
	s_add_i32 s8, s9, 1
	s_sub_i32 s10, s7, s29
	s_cmp_ge_u32 s7, s29
	s_cselect_b32 s8, s8, s9
	s_cselect_b32 s7, s10, s7
	s_add_i32 s9, s8, 1
	s_cmp_ge_u32 s7, s29
	s_cselect_b32 s7, s9, s8
	s_xor_b32 s7, s7, s6
	s_sub_i32 s50, s7, s6
	s_add_i32 s6, s33, 31
	s_ashr_i32 s7, s6, 31
	s_lshr_b32 s7, s7, 27
	s_add_i32 s6, s6, s7
	s_lshl_b32 s53, s4, 4
	s_ashr_i32 s49, s6, 5
	s_add_i32 s6, s53, 16
	v_lshrrev_b32_e32 v51, 6, v0
	s_min_i32 s48, s6, s49
	v_or_b32_e32 v42, s53, v51
	v_cmp_gt_i32_e64 s[8:9], s48, v42
	v_mov_b32_e32 v55, 0xff7fffff
	s_mul_i32 s51, s51, s18
	v_ashrrev_i32_e32 v43, 31, v42
	v_lshl_add_u32 v1, v51, 5, s52
	v_mbcnt_lo_u32_b32 v52, -1, 0
	s_and_saveexec_b64 s[18:19], s[8:9]
	s_cbranch_execz .LBB230_20
; %bb.11:
	s_load_dwordx2 s[0:1], s[0:1], 0x20
	s_sub_i32 s54, s50, s21
	s_ashr_i32 s6, s51, 31
	v_bfe_u32 v53, v0, 1, 5
	v_mov_b32_e32 v45, 0
	s_waitcnt lgkmcnt(0)
	s_add_u32 s0, s0, s51
	s_addc_u32 s1, s1, s6
	s_abs_i32 s55, s22
	v_cvt_f32_u32_e32 v3, s55
	v_lshlrev_b32_e32 v44, 4, v53
	v_lshl_add_u64 v[46:47], s[0:1], 0, v[44:45]
	s_sub_i32 s0, 0, s55
	v_rcp_iflag_f32_e32 v3, v3
	v_cmp_eq_u32_e32 vcc, 0, v2
	v_mul_u32_u24_e32 v54, 0xc0, v2
	v_lshlrev_b32_e32 v44, 1, v2
	v_mul_f32_e32 v3, 0x4f7ffffe, v3
	v_cvt_u32_f32_e32 v3, v3
	v_mbcnt_hi_u32_b32 v61, -1, v52
	s_mov_b32 s56, s17
	v_cmp_neq_f32_e64 s[6:7], s3, 0
	v_mul_lo_u32 v2, s0, v3
	v_mul_hi_u32 v2, v3, v2
	v_add_u32_e32 v56, v3, v2
	v_lshlrev_b32_e32 v2, 2, v53
	s_lshl_b64 s[0:1], s[38:39], 2
	v_lshl_or_b32 v2, v51, 7, v2
	s_add_u32 s0, s36, s0
	v_add_u32_e32 v58, 0x190, v2
	v_subrev_u32_e32 v2, s33, v53
	s_addc_u32 s1, s37, s1
	v_add_u32_e32 v59, 1, v2
	v_and_b32_e32 v2, 64, v61
	v_lshl_add_u64 v[48:49], v[42:43], 2, s[0:1]
	v_lshl_add_u32 v57, v51, 5, s52
	s_mov_b64 s[44:45], 0
	v_mov_b32_e32 v60, 0xff7fffff
	v_xor_b32_e32 v62, 1, v61
	v_add_u32_e32 v63, 64, v2
	v_mov_b32_e32 v55, 0xff7fffff
	v_mov_b32_e32 v64, v42
	s_branch .LBB230_14
.LBB230_12:                             ;   in Loop: Header=BB230_14 Depth=1
	s_or_b64 exec, exec, s[46:47]
.LBB230_13:                             ;   in Loop: Header=BB230_14 Depth=1
	s_or_b64 exec, exec, s[10:11]
	v_add_u32_e32 v64, 2, v64
	v_cmp_le_i32_e64 s[0:1], s48, v64
	v_lshl_add_u64 v[48:49], v[48:49], 0, 8
	v_add_u32_e32 v57, 64, v57
	s_or_b64 s[44:45], s[0:1], s[44:45]
	v_add_u32_e32 v58, 0x100, v58
	s_andn2_b64 exec, exec, s[44:45]
	s_cbranch_execz .LBB230_19
.LBB230_14:                             ; =>This Inner Loop Header: Depth=1
	s_waitcnt lgkmcnt(0)
	v_sub_u32_e32 v3, 0, v57
	v_max_i32_e32 v3, v57, v3
	v_mul_hi_u32 v4, v3, s35
	v_mul_lo_u32 v5, v4, s29
	v_sub_u32_e32 v3, v3, v5
	v_add_u32_e32 v5, 1, v4
	v_cmp_le_u32_e64 s[0:1], s29, v3
	v_ashrrev_i32_e32 v2, 31, v57
	v_xor_b32_e32 v2, s23, v2
	v_cndmask_b32_e64 v4, v4, v5, s[0:1]
	v_subrev_u32_e32 v5, s29, v3
	v_cndmask_b32_e64 v3, v3, v5, s[0:1]
	v_add_u32_e32 v5, 1, v4
	v_cmp_le_u32_e64 s[0:1], s29, v3
	s_nop 1
	v_cndmask_b32_e64 v3, v4, v5, s[0:1]
	v_xor_b32_e32 v3, v3, v2
	v_sub_u32_e32 v2, v3, v2
	v_add_u32_e32 v3, s42, v2
	v_sub_u32_e32 v5, 0, v3
	v_ashrrev_i32_e32 v4, 31, v3
	v_max_i32_e32 v3, v3, v5
	v_mul_hi_u32 v5, v3, v56
	v_mul_lo_u32 v5, v5, s55
	v_sub_u32_e32 v3, v3, v5
	v_subrev_u32_e32 v5, s55, v3
	v_cmp_le_u32_e64 s[0:1], s55, v3
	v_cmp_ge_i32_e64 s[10:11], s54, v2
	s_nop 0
	v_cndmask_b32_e64 v3, v3, v5, s[0:1]
	v_subrev_u32_e32 v5, s55, v3
	v_cmp_le_u32_e64 s[0:1], s55, v3
	s_nop 1
	v_cndmask_b32_e64 v3, v3, v5, s[0:1]
	v_xor_b32_e32 v3, v3, v4
	v_sub_u32_e32 v3, v3, v4
	v_cmp_ne_u32_e64 s[0:1], 0, v3
	s_and_b64 s[0:1], s[0:1], s[10:11]
	s_and_b64 s[46:47], vcc, s[0:1]
	s_and_saveexec_b64 s[10:11], s[46:47]
	s_cbranch_execz .LBB230_16
; %bb.15:                               ;   in Loop: Header=BB230_14 Depth=1
	ds_write_b32 v58, v60
.LBB230_16:                             ;   in Loop: Header=BB230_14 Depth=1
	s_or_b64 exec, exec, s[10:11]
	s_xor_b64 s[0:1], s[0:1], -1
	s_and_saveexec_b64 s[10:11], s[0:1]
	s_cbranch_execz .LBB230_13
; %bb.17:                               ;   in Loop: Header=BB230_14 Depth=1
	global_load_dword v2, v[48:49], off
	s_waitcnt vmcnt(0)
	v_mad_i64_i32 v[2:3], s[0:1], v2, s56, v[46:47]
	v_lshl_add_u64 v[2:3], v[2:3], 0, v[44:45]
	global_load_ushort v65, v[2:3], off
	global_load_ushort v76, v[2:3], off offset:4
	global_load_ushort v78, v[2:3], off offset:8
	;; [unrolled: 1-line block ×23, first 2 shown]
	ds_read_b128 v[66:69], v54
	ds_read_b128 v[70:73], v54 offset:16
	ds_read_b128 v[6:9], v54 offset:32
	;; [unrolled: 1-line block ×3, first 2 shown]
	s_load_dword s16, s[12:13], 0x0
	v_cmp_lt_i32_e64 s[0:1], v62, v63
	ds_read_b128 v[22:25], v54 offset:64
	ds_read_b128 v[14:17], v54 offset:80
	;; [unrolled: 1-line block ×8, first 2 shown]
	v_cndmask_b32_e64 v74, v61, v62, s[0:1]
	v_lshlrev_b32_e32 v106, 2, v74
	s_waitcnt vmcnt(23)
	v_cvt_pk_f32_fp8_e32 v[74:75], v65
	s_waitcnt vmcnt(22)
	v_cvt_pk_f32_fp8_e32 v[76:77], v76
	;; [unrolled: 2-line block ×5, first 2 shown]
	s_waitcnt lgkmcnt(0)
	v_pk_mul_f32 v[76:77], s[16:17], v[76:77] op_sel_hi:[0,1]
	s_waitcnt vmcnt(18)
	v_cvt_pk_f32_fp8_e32 v[84:85], v84
	v_mul_f32_e32 v65, v68, v76
	v_mul_f32_e32 v107, v69, v77
	v_pk_mul_f32 v[74:75], s[16:17], v[74:75] op_sel_hi:[0,1]
	s_waitcnt vmcnt(17)
	v_cvt_pk_f32_fp8_e32 v[86:87], v86
	v_fmac_f32_e32 v65, v66, v74
	v_fmac_f32_e32 v107, v67, v75
	v_pk_mul_f32 v[78:79], s[16:17], v[78:79] op_sel_hi:[0,1]
	s_waitcnt vmcnt(16)
	v_cvt_pk_f32_fp8_e32 v[88:89], v88
	v_fmac_f32_e32 v65, v70, v78
	v_fmac_f32_e32 v107, v71, v79
	;; [unrolled: 5-line block ×4, first 2 shown]
	v_pk_mul_f32 v[82:83], s[16:17], v[84:85] op_sel_hi:[0,1]
	s_waitcnt vmcnt(13)
	v_cvt_pk_f32_fp8_e32 v[74:75], v92
	v_pk_mul_f32 v[84:85], s[16:17], v[86:87] op_sel_hi:[0,1]
	v_fmac_f32_e32 v65, v8, v82
	v_fmac_f32_e32 v107, v9, v83
	s_waitcnt vmcnt(12)
	v_cvt_pk_f32_fp8_e32 v[76:77], v93
	v_pk_mul_f32 v[86:87], s[16:17], v[88:89] op_sel_hi:[0,1]
	v_fmac_f32_e32 v65, v2, v84
	v_fmac_f32_e32 v107, v3, v85
	;; [unrolled: 5-line block ×14, first 2 shown]
	v_pk_mul_f32 v[96:97], s[16:17], v[98:99] op_sel_hi:[0,1]
	v_fmac_f32_e32 v65, v28, v94
	v_fmac_f32_e32 v107, v29, v95
	v_pk_mul_f32 v[98:99], s[16:17], v[100:101] op_sel_hi:[0,1]
	v_fmac_f32_e32 v65, v34, v96
	v_fmac_f32_e32 v107, v35, v97
	;; [unrolled: 3-line block ×4, first 2 shown]
	v_fmac_f32_e32 v65, v20, v6
	v_fmac_f32_e32 v107, v21, v7
	v_add_f32_e32 v2, v65, v107
	ds_bpermute_b32 v3, v106, v2
	s_and_saveexec_b64 s[46:47], vcc
	s_cbranch_execz .LBB230_12
; %bb.18:                               ;   in Loop: Header=BB230_14 Depth=1
	v_add_u32_e32 v4, v59, v57
	v_cvt_f32_i32_e32 v4, v4
	s_waitcnt lgkmcnt(0)
	v_add_f32_e32 v2, v2, v3
	v_add_u32_e32 v5, v53, v57
	v_cmp_gt_i32_e64 s[0:1], s33, v5
	v_mul_f32_e32 v3, s3, v4
	v_cndmask_b32_e64 v3, 0, v3, s[6:7]
	v_fmac_f32_e32 v3, s43, v2
	v_cndmask_b32_e64 v2, 0, v3, s[0:1]
	ds_write_b32 v58, v2
	v_max_f32_e32 v2, v55, v55
	v_max_f32_e32 v2, v2, v3
	v_cndmask_b32_e64 v55, v55, v2, s[0:1]
	s_branch .LBB230_12
.LBB230_19:
	s_or_b64 exec, exec, s[44:45]
.LBB230_20:
	s_or_b64 exec, exec, s[18:19]
	v_mbcnt_hi_u32_b32 v4, -1, v52
	v_and_b32_e32 v2, 64, v4
	v_add_u32_e32 v8, 64, v2
	v_xor_b32_e32 v2, 32, v4
	v_cmp_lt_i32_e32 vcc, v2, v8
	v_xor_b32_e32 v6, 16, v4
	v_max_f32_e32 v5, v55, v55
	v_cndmask_b32_e32 v2, v4, v2, vcc
	v_lshlrev_b32_e32 v2, 2, v2
	s_waitcnt lgkmcnt(0)
	ds_bpermute_b32 v3, v2, v55
	v_cmp_lt_i32_e32 vcc, v6, v8
	v_xor_b32_e32 v7, 8, v4
	v_xor_b32_e32 v9, 4, v4
	v_and_b32_e32 v72, 63, v0
	s_waitcnt lgkmcnt(0)
	v_max_f32_e32 v3, v3, v3
	v_max_f32_e32 v5, v5, v3
	v_cndmask_b32_e32 v3, v4, v6, vcc
	v_lshlrev_b32_e32 v3, 2, v3
	ds_bpermute_b32 v6, v3, v5
	v_cmp_lt_i32_e32 vcc, v7, v8
	s_waitcnt lgkmcnt(0)
	v_max_f32_e32 v6, v6, v6
	v_max_f32_e32 v6, v5, v6
	v_cndmask_b32_e32 v5, v4, v7, vcc
	v_lshlrev_b32_e32 v5, 2, v5
	ds_bpermute_b32 v7, v5, v6
	v_cmp_lt_i32_e32 vcc, v9, v8
	s_waitcnt lgkmcnt(0)
	v_max_f32_e32 v7, v7, v7
	v_max_f32_e32 v6, v6, v7
	v_cndmask_b32_e32 v7, v4, v9, vcc
	v_lshlrev_b32_e32 v73, 2, v7
	ds_bpermute_b32 v7, v73, v6
	v_xor_b32_e32 v9, 2, v4
	v_cmp_lt_i32_e32 vcc, v9, v8
	s_waitcnt lgkmcnt(0)
	v_max_f32_e32 v7, v7, v7
	v_max_f32_e32 v7, v6, v7
	v_cndmask_b32_e32 v6, v4, v9, vcc
	v_lshlrev_b32_e32 v74, 2, v6
	ds_bpermute_b32 v9, v74, v7
	v_cmp_eq_u32_e32 vcc, 0, v72
	v_lshlrev_b32_e32 v6, 2, v51
	s_and_saveexec_b64 s[0:1], vcc
	s_cbranch_execz .LBB230_22
; %bb.21:
	s_waitcnt lgkmcnt(0)
	v_max_f32_e32 v9, v9, v9
	v_max_f32_e32 v7, v7, v7
	;; [unrolled: 1-line block ×3, first 2 shown]
	ds_write_b32 v6, v7 offset:384
.LBB230_22:
	s_or_b64 exec, exec, s[0:1]
	v_cmp_gt_u32_e64 s[0:1], 2, v72
	s_waitcnt lgkmcnt(0)
	v_mov_b32_e32 v9, 0xff7fffff
	v_lshlrev_b32_e32 v7, 2, v72
	s_barrier
	s_and_saveexec_b64 s[6:7], s[0:1]
	s_cbranch_execz .LBB230_24
; %bb.23:
	ds_read_b32 v9, v7 offset:384
.LBB230_24:
	s_or_b64 exec, exec, s[6:7]
	v_xor_b32_e32 v10, 1, v4
	v_cmp_lt_i32_e64 s[6:7], v10, v8
	s_sub_i32 s3, s48, s53
	s_lshl_b32 s3, s3, 5
	v_cndmask_b32_e64 v8, v4, v10, s[6:7]
	v_lshlrev_b32_e32 v75, 2, v8
	s_waitcnt lgkmcnt(0)
	ds_bpermute_b32 v8, v75, v9
	v_max_f32_e32 v9, v9, v9
	v_lshlrev_b32_e32 v4, 2, v4
	s_add_i32 s3, s3, s52
	s_min_i32 s16, s3, s33
	s_waitcnt lgkmcnt(0)
	v_max_f32_e32 v8, v8, v8
	v_max_f32_e32 v9, v9, v8
	v_and_b32_e32 v8, 0x100, v4
	ds_bpermute_b32 v4, v8, v9
	s_sub_i32 s3, s16, s52
	v_cmp_gt_i32_e64 s[6:7], s3, v0
	v_mov_b32_e32 v9, 0
	s_and_saveexec_b64 s[12:13], s[6:7]
	s_cbranch_execz .LBB230_28
; %bb.25:
	v_mov_b32_e32 v9, 0x190
	v_lshl_add_u32 v10, v0, 2, v9
	s_mov_b64 s[18:19], 0
	v_mov_b32_e32 v9, 0
	v_mov_b32_e32 v11, v0
.LBB230_26:                             ; =>This Inner Loop Header: Depth=1
	ds_read_b32 v12, v10
	v_add_u32_e32 v11, 0x80, v11
	v_cmp_le_i32_e64 s[10:11], s3, v11
	s_or_b64 s[18:19], s[10:11], s[18:19]
	s_waitcnt lgkmcnt(0)
	v_sub_f32_e32 v12, v12, v4
	v_mul_f32_e32 v12, 0x3fb8aa3b, v12
	v_exp_f32_e32 v12, v12
	ds_write_b32 v10, v12
	v_add_f32_e32 v9, v9, v12
	v_add_u32_e32 v10, 0x200, v10
	s_andn2_b64 exec, exec, s[18:19]
	s_cbranch_execnz .LBB230_26
; %bb.27:
	s_or_b64 exec, exec, s[18:19]
.LBB230_28:
	s_or_b64 exec, exec, s[12:13]
	ds_bpermute_b32 v2, v2, v9
	s_waitcnt lgkmcnt(0)
	v_add_f32_e32 v2, v9, v2
	ds_bpermute_b32 v3, v3, v2
	s_waitcnt lgkmcnt(0)
	v_add_f32_e32 v2, v2, v3
	;; [unrolled: 3-line block ×6, first 2 shown]
	s_and_saveexec_b64 s[10:11], vcc
	s_cbranch_execz .LBB230_30
; %bb.29:
	ds_write_b32 v6, v2 offset:392
.LBB230_30:
	s_or_b64 exec, exec, s[10:11]
	s_waitcnt lgkmcnt(0)
	s_barrier
	s_and_saveexec_b64 s[10:11], s[0:1]
	s_cbranch_execz .LBB230_32
; %bb.31:
	ds_read_b32 v2, v7 offset:392
.LBB230_32:
	s_or_b64 exec, exec, s[10:11]
	s_waitcnt lgkmcnt(0)
	ds_bpermute_b32 v3, v75, v2
	s_waitcnt lgkmcnt(0)
	v_add_f32_e32 v2, v2, v3
	ds_bpermute_b32 v5, v8, v2
	s_and_saveexec_b64 s[0:1], s[6:7]
	s_cbranch_execz .LBB230_45
; %bb.33:
	s_waitcnt lgkmcnt(0)
	v_add_f32_e32 v2, 0x358637bd, v5
	v_div_scale_f32 v3, s[6:7], v2, v2, 1.0
	v_rcp_f32_e32 v6, v3
	v_div_scale_f32 v7, vcc, 1.0, v2, 1.0
	s_movk_i32 s6, 0x7f
	v_fma_f32 v8, -v3, v6, 1.0
	v_fmac_f32_e32 v6, v8, v6
	v_mul_f32_e32 v8, v7, v6
	v_fma_f32 v9, -v3, v8, v7
	v_fmac_f32_e32 v8, v9, v6
	v_fma_f32 v3, -v3, v8, v7
	v_div_fmas_f32 v3, v3, v6, v8
	v_div_fixup_f32 v2, v3, v2, 1.0
	v_xad_u32 v3, v0, -1, s16
	v_subrev_u32_e32 v6, s52, v3
	v_cmp_lt_u32_e32 vcc, s6, v6
	s_mov_b64 s[10:11], -1
	v_mov_b32_e32 v3, v0
	s_and_saveexec_b64 s[6:7], vcc
	s_cbranch_execz .LBB230_42
; %bb.34:
	v_lshrrev_b32_e32 v6, 7, v6
	v_add_u32_e32 v8, -1, v6
	v_lshrrev_b32_e32 v7, 1, v8
	v_mov_b32_e32 v3, v2
	v_add_u32_e32 v7, 1, v7
	v_cmp_lt_u32_e32 vcc, 13, v8
	v_mov_b32_e32 v10, 0
	s_and_saveexec_b64 s[10:11], vcc
	s_cbranch_execz .LBB230_38
; %bb.35:
	v_mov_b32_e32 v9, 0x190
	v_and_b32_e32 v8, -8, v7
	v_lshl_add_u32 v9, v0, 2, v9
	s_mov_b32 s16, 0
	s_mov_b64 s[12:13], 0
.LBB230_36:                             ; =>This Inner Loop Header: Depth=1
	ds_read2st64_b32 v[10:11], v9 offset1:2
	ds_read2st64_b32 v[12:13], v9 offset0:4 offset1:6
	ds_read2st64_b32 v[14:15], v9 offset0:8 offset1:10
	;; [unrolled: 1-line block ×3, first 2 shown]
	v_add_u32_e32 v8, -8, v8
	s_waitcnt lgkmcnt(3)
	v_pk_mul_f32 v[10:11], v[2:3], v[10:11]
	s_waitcnt lgkmcnt(2)
	v_pk_mul_f32 v[12:13], v[2:3], v[12:13]
	ds_write2st64_b32 v9, v10, v11 offset1:2
	ds_write2st64_b32 v9, v12, v13 offset0:4 offset1:6
	ds_read2st64_b32 v[12:13], v9 offset0:16 offset1:18
	s_waitcnt lgkmcnt(4)
	v_pk_mul_f32 v[10:11], v[2:3], v[14:15]
	ds_write2st64_b32 v9, v10, v11 offset0:8 offset1:10
	s_waitcnt lgkmcnt(4)
	v_pk_mul_f32 v[10:11], v[2:3], v[16:17]
	ds_write2st64_b32 v9, v10, v11 offset0:12 offset1:14
	ds_read2st64_b32 v[10:11], v9 offset0:20 offset1:22
	s_waitcnt lgkmcnt(3)
	v_pk_mul_f32 v[12:13], v[2:3], v[12:13]
	ds_read2st64_b32 v[14:15], v9 offset0:24 offset1:26
	ds_write2st64_b32 v9, v12, v13 offset0:16 offset1:18
	ds_read2st64_b32 v[12:13], v9 offset0:28 offset1:30
	s_waitcnt lgkmcnt(3)
	v_pk_mul_f32 v[10:11], v[2:3], v[10:11]
	ds_write2st64_b32 v9, v10, v11 offset0:20 offset1:22
	s_waitcnt lgkmcnt(3)
	v_pk_mul_f32 v[10:11], v[2:3], v[14:15]
	ds_write2st64_b32 v9, v10, v11 offset0:24 offset1:26
	s_waitcnt lgkmcnt(2)
	v_pk_mul_f32 v[10:11], v[2:3], v[12:13]
	s_add_i32 s16, s16, 16
	v_cmp_eq_u32_e32 vcc, 0, v8
	ds_write2st64_b32 v9, v10, v11 offset0:28 offset1:30
	v_add_u32_e32 v9, 0x2000, v9
	s_or_b64 s[12:13], vcc, s[12:13]
	v_mov_b32_e32 v10, s16
	s_andn2_b64 exec, exec, s[12:13]
	s_cbranch_execnz .LBB230_36
; %bb.37:
	s_or_b64 exec, exec, s[12:13]
.LBB230_38:
	s_or_b64 exec, exec, s[10:11]
	v_and_b32_e32 v7, 7, v7
	v_cmp_ne_u32_e32 vcc, 0, v7
	s_and_saveexec_b64 s[10:11], vcc
	s_cbranch_execz .LBB230_41
; %bb.39:
	v_lshlrev_b32_e32 v8, 9, v10
	s_movk_i32 s12, 0x190
	v_add3_u32 v8, v8, v50, s12
	s_mov_b64 s[12:13], 0
.LBB230_40:                             ; =>This Inner Loop Header: Depth=1
	ds_read2st64_b32 v[10:11], v8 offset1:2
	v_add_u32_e32 v7, -1, v7
	v_cmp_eq_u32_e32 vcc, 0, v7
	s_or_b64 s[12:13], vcc, s[12:13]
	s_waitcnt lgkmcnt(0)
	v_pk_mul_f32 v[10:11], v[2:3], v[10:11]
	ds_write2st64_b32 v8, v10, v11 offset1:2
	v_add_u32_e32 v8, 0x400, v8
	s_andn2_b64 exec, exec, s[12:13]
	s_cbranch_execnz .LBB230_40
.LBB230_41:
	s_or_b64 exec, exec, s[10:11]
	v_add_u32_e32 v6, 1, v6
	v_and_b32_e32 v7, 0x3fffffe, v6
	v_cmp_ne_u32_e32 vcc, v6, v7
	v_lshl_add_u32 v3, v7, 7, v0
	s_orn2_b64 s[10:11], vcc, exec
.LBB230_42:
	s_or_b64 exec, exec, s[6:7]
	s_and_b64 exec, exec, s[10:11]
	s_cbranch_execz .LBB230_45
; %bb.43:
	v_mov_b32_e32 v6, 0x190
	v_lshl_add_u32 v6, v3, 2, v6
	s_mov_b64 s[6:7], 0
.LBB230_44:                             ; =>This Inner Loop Header: Depth=1
	ds_read_b32 v7, v6
	v_add_u32_e32 v3, 0x80, v3
	v_cmp_le_i32_e32 vcc, s3, v3
	s_or_b64 s[6:7], vcc, s[6:7]
	s_waitcnt lgkmcnt(0)
	v_mul_f32_e32 v7, v2, v7
	ds_write_b32 v6, v7
	v_add_u32_e32 v6, 0x200, v6
	s_andn2_b64 exec, exec, s[6:7]
	s_cbranch_execnz .LBB230_44
.LBB230_45:
	s_or_b64 exec, exec, s[0:1]
	s_mul_i32 s0, s20, s34
	v_cmp_eq_u32_e32 vcc, 0, v0
	s_mul_i32 s6, s0, s5
	s_waitcnt lgkmcnt(0)
	s_barrier
	s_and_saveexec_b64 s[0:1], vcc
	s_cbranch_execz .LBB230_47
; %bb.46:
	s_ashr_i32 s7, s6, 31
	s_lshl_b64 s[10:11], s[6:7], 2
	s_add_u32 s5, s26, s10
	s_mul_i32 s2, s20, s2
	s_addc_u32 s7, s27, s11
	s_ashr_i32 s3, s2, 31
	s_lshl_b64 s[2:3], s[2:3], 2
	s_add_u32 s16, s5, s2
	s_addc_u32 s7, s7, s3
	s_ashr_i32 s5, s4, 31
	s_lshl_b64 s[12:13], s[4:5], 2
	s_add_u32 s18, s16, s12
	s_addc_u32 s19, s7, s13
	s_add_u32 s5, s24, s10
	s_addc_u32 s7, s25, s11
	;; [unrolled: 2-line block ×3, first 2 shown]
	s_add_u32 s2, s2, s12
	v_mov_b32_e32 v2, 0
	s_addc_u32 s3, s3, s13
	global_store_dword v2, v4, s[18:19]
	global_store_dword v2, v5, s[2:3]
.LBB230_47:
	s_or_b64 exec, exec, s[0:1]
	v_mov_b32_e32 v7, 0
	v_and_b32_e32 v76, 7, v0
	v_mov_b32_e32 v6, 0
	v_mov_b32_e32 v9, 0
	;; [unrolled: 1-line block ×11, first 2 shown]
	s_and_saveexec_b64 s[2:3], s[8:9]
	s_cbranch_execz .LBB230_77
; %bb.48:
	s_sub_i32 s5, s50, s21
	s_ashr_i32 s1, s51, 31
	s_add_u32 s0, s40, s51
	s_addc_u32 s1, s41, s1
	s_abs_i32 s7, s22
	v_cvt_f32_u32_e32 v2, s7
	s_sub_i32 s8, 0, s7
	v_and_b32_e32 v6, 0xfc, v50
	v_mov_b32_e32 v7, 0
	v_rcp_iflag_f32_e32 v2, v2
	s_add_i32 s49, s49, -1
	v_lshl_add_u64 v[18:19], s[0:1], 0, v[6:7]
	s_lshl_b64 s[0:1], s[38:39], 2
	v_mul_f32_e32 v2, 0x4f7ffffe, v2
	v_cvt_u32_f32_e32 v2, v2
	s_add_u32 s0, s36, s0
	s_addc_u32 s1, s37, s1
	v_and_b32_e32 v77, 28, v50
	v_mul_lo_u32 v3, s8, v2
	v_mul_hi_u32 v3, v2, v3
	v_add_u32_e32 v78, v2, v3
	v_lshlrev_b32_e32 v2, 4, v76
	v_lshl_or_b32 v2, v51, 7, v2
	s_mov_b32 s18, s17
	v_lshl_add_u64 v[20:21], v[42:43], 2, s[0:1]
	v_add_u32_e32 v43, 0x190, v2
	s_mov_b64 s[8:9], 0
	v_mov_b32_e32 v6, v7
	v_mov_b32_e32 v9, v7
	;; [unrolled: 1-line block ×11, first 2 shown]
	s_branch .LBB230_51
.LBB230_49:                             ;   in Loop: Header=BB230_51 Depth=1
	s_or_b64 exec, exec, s[0:1]
	v_mul_f32_e32 v71, v3, v71
	v_mul_f32_e32 v65, v3, v65
	;; [unrolled: 1-line block ×12, first 2 shown]
	v_fmac_f32_e32 v71, v2, v70
	v_fmac_f32_e32 v65, v2, v64
	;; [unrolled: 1-line block ×36, first 2 shown]
	v_add_f32_e32 v6, v6, v71
	v_add_f32_e32 v9, v9, v65
	v_add_f32_e32 v8, v8, v61
	v_add_f32_e32 v11, v11, v57
	v_add_f32_e32 v10, v10, v53
	v_add_f32_e32 v13, v13, v49
	v_add_f32_e32 v12, v12, v45
	v_add_f32_e32 v15, v15, v39
	v_add_f32_e32 v14, v14, v33
	v_add_f32_e32 v17, v17, v29
	v_add_f32_e32 v16, v16, v25
	v_add_f32_e32 v7, v7, v3
.LBB230_50:                             ;   in Loop: Header=BB230_51 Depth=1
	s_or_b64 exec, exec, s[10:11]
	v_add_u32_e32 v42, 2, v42
	v_cmp_le_i32_e32 vcc, s48, v42
	v_lshl_add_u64 v[20:21], v[20:21], 0, 8
	v_add_u32_e32 v1, 64, v1
	s_or_b64 s[8:9], vcc, s[8:9]
	v_add_u32_e32 v43, 0x100, v43
	s_andn2_b64 exec, exec, s[8:9]
	s_cbranch_execz .LBB230_76
.LBB230_51:                             ; =>This Inner Loop Header: Depth=1
	v_sub_u32_e32 v3, 0, v1
	v_max_i32_e32 v3, v1, v3
	v_mul_hi_u32 v4, v3, s35
	v_mul_lo_u32 v5, v4, s29
	v_sub_u32_e32 v3, v3, v5
	v_add_u32_e32 v5, 1, v4
	v_cmp_le_u32_e32 vcc, s29, v3
	v_ashrrev_i32_e32 v2, 31, v1
	v_xor_b32_e32 v2, s23, v2
	v_cndmask_b32_e32 v4, v4, v5, vcc
	v_subrev_u32_e32 v5, s29, v3
	v_cndmask_b32_e32 v3, v3, v5, vcc
	v_add_u32_e32 v5, 1, v4
	v_cmp_le_u32_e32 vcc, s29, v3
	s_nop 1
	v_cndmask_b32_e32 v3, v4, v5, vcc
	v_xor_b32_e32 v3, v3, v2
	v_sub_u32_e32 v2, v3, v2
	v_add_u32_e32 v3, s42, v2
	v_sub_u32_e32 v5, 0, v3
	v_ashrrev_i32_e32 v4, 31, v3
	v_max_i32_e32 v3, v3, v5
	v_mul_hi_u32 v5, v3, v78
	v_mul_lo_u32 v5, v5, s7
	v_sub_u32_e32 v3, v3, v5
	v_subrev_u32_e32 v5, s7, v3
	v_cmp_le_u32_e32 vcc, s7, v3
	v_cmp_lt_i32_e64 s[0:1], s5, v2
	s_nop 0
	v_cndmask_b32_e32 v3, v3, v5, vcc
	v_subrev_u32_e32 v5, s7, v3
	v_cmp_le_u32_e32 vcc, s7, v3
	s_nop 1
	v_cndmask_b32_e32 v3, v3, v5, vcc
	v_xor_b32_e32 v3, v3, v4
	v_sub_u32_e32 v3, v3, v4
	v_cmp_eq_u32_e32 vcc, 0, v3
	s_or_b64 s[0:1], vcc, s[0:1]
	s_and_saveexec_b64 s[10:11], s[0:1]
	s_cbranch_execz .LBB230_50
; %bb.52:                               ;   in Loop: Header=BB230_51 Depth=1
	global_load_dword v2, v[20:21], off
	s_load_dword s12, s[14:15], 0x0
	v_add_u32_e32 v79, v77, v1
	v_cmp_eq_u32_e32 vcc, s49, v42
	v_add_u32_e32 v81, 1, v79
	v_add_u32_e32 v80, 2, v79
	v_add_u32_e32 v82, 3, v79
	s_waitcnt vmcnt(0)
	v_mad_i64_i32 v[34:35], s[0:1], v2, s18, v[18:19]
	global_load_dword v22, v[34:35], off
	ds_read_b128 v[2:5], v43
	s_waitcnt vmcnt(0)
	v_and_b32_e32 v23, 0xffff, v22
	v_lshrrev_b32_e32 v24, 16, v22
	v_cvt_pk_f32_fp8_e32 v[22:23], v23
	v_cvt_pk_f32_fp8_e32 v[26:27], v24
	s_waitcnt lgkmcnt(0)
	v_pk_mul_f32 v[24:25], s[12:13], v[22:23] op_sel_hi:[0,1]
	v_pk_mul_f32 v[22:23], s[12:13], v[26:27] op_sel_hi:[0,1]
	s_and_saveexec_b64 s[16:17], vcc
; %bb.53:                               ;   in Loop: Header=BB230_51 Depth=1
	v_cmp_gt_i32_e64 s[0:1], s33, v79
	s_nop 1
	v_cndmask_b32_e64 v24, 0, v24, s[0:1]
	v_cmp_gt_i32_e64 s[0:1], s33, v81
	s_nop 1
	v_cndmask_b32_e64 v25, 0, v25, s[0:1]
	;; [unrolled: 3-line block ×4, first 2 shown]
; %bb.54:                               ;   in Loop: Header=BB230_51 Depth=1
	s_or_b64 exec, exec, s[16:17]
	global_load_dword v26, v[34:35], off offset:256
	s_mov_b32 s13, s12
	s_waitcnt vmcnt(0)
	v_and_b32_e32 v27, 0xffff, v26
	v_lshrrev_b32_e32 v28, 16, v26
	v_cvt_pk_f32_fp8_e32 v[26:27], v27
	v_cvt_pk_f32_fp8_e32 v[30:31], v28
	v_pk_mul_f32 v[28:29], s[12:13], v[26:27]
	v_pk_mul_f32 v[26:27], s[12:13], v[30:31]
	s_and_saveexec_b64 s[16:17], vcc
; %bb.55:                               ;   in Loop: Header=BB230_51 Depth=1
	v_cmp_gt_i32_e64 s[0:1], s33, v79
	s_nop 1
	v_cndmask_b32_e64 v28, 0, v28, s[0:1]
	v_cmp_gt_i32_e64 s[0:1], s33, v81
	s_nop 1
	v_cndmask_b32_e64 v29, 0, v29, s[0:1]
	v_cmp_gt_i32_e64 s[0:1], s33, v80
	s_nop 1
	v_cndmask_b32_e64 v26, 0, v26, s[0:1]
	v_cmp_gt_i32_e64 s[0:1], s33, v82
	s_nop 1
	v_cndmask_b32_e64 v27, 0, v27, s[0:1]
; %bb.56:                               ;   in Loop: Header=BB230_51 Depth=1
	s_or_b64 exec, exec, s[16:17]
	global_load_dword v30, v[34:35], off offset:512
	s_waitcnt vmcnt(0)
	v_and_b32_e32 v31, 0xffff, v30
	v_lshrrev_b32_e32 v32, 16, v30
	v_cvt_pk_f32_fp8_e32 v[30:31], v31
	v_cvt_pk_f32_fp8_e32 v[36:37], v32
	v_pk_mul_f32 v[32:33], s[12:13], v[30:31]
	v_pk_mul_f32 v[30:31], s[12:13], v[36:37]
	s_and_saveexec_b64 s[16:17], vcc
; %bb.57:                               ;   in Loop: Header=BB230_51 Depth=1
	v_cmp_gt_i32_e64 s[0:1], s33, v79
	s_nop 1
	v_cndmask_b32_e64 v32, 0, v32, s[0:1]
	v_cmp_gt_i32_e64 s[0:1], s33, v81
	s_nop 1
	v_cndmask_b32_e64 v33, 0, v33, s[0:1]
	v_cmp_gt_i32_e64 s[0:1], s33, v80
	s_nop 1
	v_cndmask_b32_e64 v30, 0, v30, s[0:1]
	v_cmp_gt_i32_e64 s[0:1], s33, v82
	s_nop 1
	v_cndmask_b32_e64 v31, 0, v31, s[0:1]
; %bb.58:                               ;   in Loop: Header=BB230_51 Depth=1
	s_or_b64 exec, exec, s[16:17]
	global_load_dword v36, v[34:35], off offset:768
	;; [unrolled: 24-line block ×10, first 2 shown]
	s_waitcnt vmcnt(0)
	v_and_b32_e32 v35, 0xffff, v34
	v_lshrrev_b32_e32 v66, 16, v34
	v_cvt_pk_f32_fp8_e32 v[34:35], v35
	v_cvt_pk_f32_fp8_e32 v[84:85], v66
	v_pk_mul_f32 v[66:67], s[12:13], v[34:35]
	v_pk_mul_f32 v[34:35], s[12:13], v[84:85]
	s_and_saveexec_b64 s[0:1], vcc
	s_cbranch_execz .LBB230_49
; %bb.75:                               ;   in Loop: Header=BB230_51 Depth=1
	v_cmp_gt_i32_e32 vcc, s33, v79
	s_nop 1
	v_cndmask_b32_e32 v66, 0, v66, vcc
	v_cmp_gt_i32_e32 vcc, s33, v81
	s_nop 1
	v_cndmask_b32_e32 v67, 0, v67, vcc
	;; [unrolled: 3-line block ×4, first 2 shown]
	s_branch .LBB230_49
.LBB230_76:
	s_or_b64 exec, exec, s[8:9]
.LBB230_77:
	s_or_b64 exec, exec, s[2:3]
	ds_bpermute_b32 v2, v73, v16
	ds_bpermute_b32 v3, v73, v17
	;; [unrolled: 1-line block ×6, first 2 shown]
	s_waitcnt lgkmcnt(4)
	v_pk_add_f32 v[2:3], v[16:17], v[2:3]
	ds_bpermute_b32 v16, v74, v2
	ds_bpermute_b32 v17, v74, v3
	s_waitcnt lgkmcnt(4)
	v_pk_add_f32 v[12:13], v[12:13], v[18:19]
	ds_bpermute_b32 v20, v73, v8
	ds_bpermute_b32 v21, v73, v9
	s_waitcnt lgkmcnt(4)
	v_pk_add_f32 v[4:5], v[14:15], v[4:5]
	s_waitcnt lgkmcnt(2)
	v_pk_add_f32 v[2:3], v[2:3], v[16:17]
	ds_bpermute_b32 v16, v75, v2
	ds_bpermute_b32 v17, v75, v3
	;; [unrolled: 1-line block ×6, first 2 shown]
	s_waitcnt lgkmcnt(4)
	v_pk_add_f32 v[2:3], v[2:3], v[16:17]
	ds_bpermute_b32 v16, v73, v10
	ds_bpermute_b32 v17, v73, v11
	;; [unrolled: 1-line block ×4, first 2 shown]
	v_pk_add_f32 v[8:9], v[8:9], v[20:21]
	s_waitcnt lgkmcnt(6)
	v_pk_add_f32 v[12:13], v[12:13], v[18:19]
	s_waitcnt lgkmcnt(2)
	v_pk_add_f32 v[10:11], v[10:11], v[16:17]
	ds_bpermute_b32 v16, v74, v10
	ds_bpermute_b32 v17, v74, v11
	v_pk_add_f32 v[22:23], v[6:7], v[22:23]
	s_waitcnt lgkmcnt(2)
	v_pk_add_f32 v[4:5], v[4:5], v[14:15]
	ds_bpermute_b32 v18, v75, v12
	ds_bpermute_b32 v19, v75, v13
	s_waitcnt lgkmcnt(2)
	v_pk_add_f32 v[16:17], v[10:11], v[16:17]
	ds_bpermute_b32 v10, v74, v8
	ds_bpermute_b32 v11, v74, v9
	;; [unrolled: 1-line block ×6, first 2 shown]
	s_waitcnt lgkmcnt(4)
	v_pk_add_f32 v[24:25], v[8:9], v[10:11]
	ds_bpermute_b32 v20, v75, v16
	ds_bpermute_b32 v21, v75, v17
	;; [unrolled: 1-line block ×4, first 2 shown]
	v_pk_add_f32 v[8:9], v[12:13], v[18:19]
	s_waitcnt lgkmcnt(6)
	v_pk_add_f32 v[12:13], v[22:23], v[28:29]
	s_waitcnt lgkmcnt(4)
	v_pk_add_f32 v[10:11], v[4:5], v[14:15]
	ds_bpermute_b32 v14, v75, v12
	ds_bpermute_b32 v15, v75, v13
	v_and_b32_e32 v1, 0x3c7, v0
	s_waitcnt lgkmcnt(4)
	v_pk_add_f32 v[6:7], v[16:17], v[20:21]
	s_waitcnt lgkmcnt(2)
	v_pk_add_f32 v[4:5], v[24:25], v[26:27]
	v_cmp_ne_u32_e32 vcc, 64, v1
	s_waitcnt lgkmcnt(0)
	s_barrier
	s_and_saveexec_b64 s[0:1], vcc
	s_xor_b64 s[0:1], exec, s[0:1]
; %bb.78:
                                        ; implicit-def: $vgpr72
; %bb.79:
	s_or_saveexec_b64 s[0:1], s[0:1]
	v_pk_add_f32 v[12:13], v[12:13], v[14:15]
	s_xor_b64 exec, exec, s[0:1]
	s_cbranch_execz .LBB230_81
; %bb.80:
	v_lshrrev_b32_e32 v14, 1, v72
	v_add_u32_e32 v14, 0x190, v14
	ds_write2_b32 v14, v2, v3 offset1:8
	ds_write2_b32 v14, v10, v11 offset0:16 offset1:24
	ds_write2_b32 v14, v8, v9 offset0:32 offset1:40
	;; [unrolled: 1-line block ×5, first 2 shown]
.LBB230_81:
	s_or_b64 exec, exec, s[0:1]
	v_cmp_gt_u32_e32 vcc, 64, v0
	s_waitcnt lgkmcnt(0)
	s_barrier
	s_and_saveexec_b64 s[0:1], vcc
	s_cbranch_execz .LBB230_96
; %bb.82:
	v_cmp_eq_u32_e32 vcc, 0, v76
	v_lshrrev_b32_e32 v14, 3, v0
	s_and_saveexec_b64 s[2:3], vcc
	s_cbranch_execnz .LBB230_99
; %bb.83:
	s_or_b64 exec, exec, s[2:3]
	s_and_saveexec_b64 s[2:3], vcc
	s_cbranch_execnz .LBB230_100
.LBB230_84:
	s_or_b64 exec, exec, s[2:3]
	s_and_saveexec_b64 s[2:3], vcc
	s_cbranch_execnz .LBB230_101
.LBB230_85:
	s_or_b64 exec, exec, s[2:3]
	s_and_saveexec_b64 s[2:3], vcc
	s_cbranch_execnz .LBB230_102
.LBB230_86:
	s_or_b64 exec, exec, s[2:3]
	s_and_saveexec_b64 s[2:3], vcc
	s_cbranch_execnz .LBB230_103
.LBB230_87:
	s_or_b64 exec, exec, s[2:3]
	s_and_saveexec_b64 s[2:3], vcc
	s_cbranch_execnz .LBB230_104
.LBB230_88:
	s_or_b64 exec, exec, s[2:3]
	s_and_saveexec_b64 s[2:3], vcc
	s_cbranch_execnz .LBB230_105
.LBB230_89:
	s_or_b64 exec, exec, s[2:3]
	s_and_saveexec_b64 s[2:3], vcc
	s_cbranch_execnz .LBB230_106
.LBB230_90:
	s_or_b64 exec, exec, s[2:3]
	s_and_saveexec_b64 s[2:3], vcc
	s_cbranch_execnz .LBB230_107
.LBB230_91:
	s_or_b64 exec, exec, s[2:3]
	s_and_saveexec_b64 s[2:3], vcc
	s_cbranch_execnz .LBB230_108
.LBB230_92:
	s_or_b64 exec, exec, s[2:3]
	s_and_saveexec_b64 s[2:3], vcc
	s_cbranch_execnz .LBB230_109
.LBB230_93:
	s_or_b64 exec, exec, s[2:3]
	s_and_saveexec_b64 s[2:3], vcc
	s_cbranch_execz .LBB230_95
.LBB230_94:
	v_mov_b32_e32 v15, 0x190
	v_lshl_add_u32 v14, v14, 2, v15
	ds_read_b32 v14, v14 offset:352
	s_waitcnt lgkmcnt(0)
	v_add_f32_e32 v13, v13, v14
.LBB230_95:
	s_or_b64 exec, exec, s[2:3]
.LBB230_96:
	s_or_b64 exec, exec, s[0:1]
	v_cmp_eq_u32_e32 vcc, 0, v1
	s_barrier
	s_and_saveexec_b64 s[0:1], vcc
	s_cbranch_execz .LBB230_98
; %bb.97:
	s_mul_i32 s0, s6, 0x60
	s_ashr_i32 s1, s0, 31
	s_lshl_b64 s[0:1], s[0:1], 2
	s_add_u32 s2, s30, s0
	s_mul_i32 s0, s20, s28
	s_addc_u32 s3, s31, s1
	s_ashr_i32 s1, s0, 31
	s_lshl_b64 s[0:1], s[0:1], 2
	s_add_u32 s2, s2, s0
	s_mul_i32 s0, s4, 0x60
	s_addc_u32 s3, s3, s1
	s_ashr_i32 s1, s0, 31
	s_lshl_b64 s[0:1], s[0:1], 2
	s_add_u32 s0, s2, s0
	s_addc_u32 s1, s3, s1
	v_lshrrev_b32_e32 v0, 1, v0
	global_store_dword v0, v2, s[0:1]
	global_store_dword v0, v3, s[0:1] offset:32
	global_store_dword v0, v10, s[0:1] offset:64
	global_store_dword v0, v11, s[0:1] offset:96
	global_store_dword v0, v8, s[0:1] offset:128
	global_store_dword v0, v9, s[0:1] offset:160
	global_store_dword v0, v6, s[0:1] offset:192
	global_store_dword v0, v7, s[0:1] offset:224
	global_store_dword v0, v4, s[0:1] offset:256
	global_store_dword v0, v5, s[0:1] offset:288
	global_store_dword v0, v12, s[0:1] offset:320
	global_store_dword v0, v13, s[0:1] offset:352
.LBB230_98:
	s_endpgm
.LBB230_99:
	v_mov_b32_e32 v15, 0x190
	v_lshl_add_u32 v15, v14, 2, v15
	ds_read_b32 v15, v15
	s_waitcnt lgkmcnt(0)
	v_add_f32_e32 v2, v2, v15
	s_or_b64 exec, exec, s[2:3]
	s_and_saveexec_b64 s[2:3], vcc
	s_cbranch_execz .LBB230_84
.LBB230_100:
	v_mov_b32_e32 v15, 0x190
	v_lshl_add_u32 v15, v14, 2, v15
	ds_read_b32 v15, v15 offset:32
	s_waitcnt lgkmcnt(0)
	v_add_f32_e32 v3, v3, v15
	s_or_b64 exec, exec, s[2:3]
	s_and_saveexec_b64 s[2:3], vcc
	s_cbranch_execz .LBB230_85
.LBB230_101:
	v_mov_b32_e32 v15, 0x190
	v_lshl_add_u32 v15, v14, 2, v15
	ds_read_b32 v15, v15 offset:64
	s_waitcnt lgkmcnt(0)
	v_add_f32_e32 v10, v10, v15
	s_or_b64 exec, exec, s[2:3]
	s_and_saveexec_b64 s[2:3], vcc
	s_cbranch_execz .LBB230_86
.LBB230_102:
	v_mov_b32_e32 v15, 0x190
	v_lshl_add_u32 v15, v14, 2, v15
	ds_read_b32 v15, v15 offset:96
	s_waitcnt lgkmcnt(0)
	v_add_f32_e32 v11, v11, v15
	s_or_b64 exec, exec, s[2:3]
	s_and_saveexec_b64 s[2:3], vcc
	s_cbranch_execz .LBB230_87
.LBB230_103:
	v_mov_b32_e32 v15, 0x190
	v_lshl_add_u32 v15, v14, 2, v15
	ds_read_b32 v15, v15 offset:128
	s_waitcnt lgkmcnt(0)
	v_add_f32_e32 v8, v8, v15
	s_or_b64 exec, exec, s[2:3]
	s_and_saveexec_b64 s[2:3], vcc
	s_cbranch_execz .LBB230_88
.LBB230_104:
	v_mov_b32_e32 v15, 0x190
	v_lshl_add_u32 v15, v14, 2, v15
	ds_read_b32 v15, v15 offset:160
	s_waitcnt lgkmcnt(0)
	v_add_f32_e32 v9, v9, v15
	s_or_b64 exec, exec, s[2:3]
	s_and_saveexec_b64 s[2:3], vcc
	s_cbranch_execz .LBB230_89
.LBB230_105:
	v_mov_b32_e32 v15, 0x190
	v_lshl_add_u32 v15, v14, 2, v15
	ds_read_b32 v15, v15 offset:192
	s_waitcnt lgkmcnt(0)
	v_add_f32_e32 v6, v6, v15
	s_or_b64 exec, exec, s[2:3]
	s_and_saveexec_b64 s[2:3], vcc
	s_cbranch_execz .LBB230_90
.LBB230_106:
	v_mov_b32_e32 v15, 0x190
	v_lshl_add_u32 v15, v14, 2, v15
	ds_read_b32 v15, v15 offset:224
	s_waitcnt lgkmcnt(0)
	v_add_f32_e32 v7, v7, v15
	s_or_b64 exec, exec, s[2:3]
	s_and_saveexec_b64 s[2:3], vcc
	s_cbranch_execz .LBB230_91
.LBB230_107:
	v_mov_b32_e32 v15, 0x190
	v_lshl_add_u32 v15, v14, 2, v15
	ds_read_b32 v15, v15 offset:256
	s_waitcnt lgkmcnt(0)
	v_add_f32_e32 v4, v4, v15
	s_or_b64 exec, exec, s[2:3]
	s_and_saveexec_b64 s[2:3], vcc
	s_cbranch_execz .LBB230_92
.LBB230_108:
	v_mov_b32_e32 v15, 0x190
	v_lshl_add_u32 v15, v14, 2, v15
	ds_read_b32 v15, v15 offset:288
	s_waitcnt lgkmcnt(0)
	v_add_f32_e32 v5, v5, v15
	s_or_b64 exec, exec, s[2:3]
	s_and_saveexec_b64 s[2:3], vcc
	s_cbranch_execz .LBB230_93
.LBB230_109:
	v_mov_b32_e32 v15, 0x190
	v_lshl_add_u32 v15, v14, 2, v15
	ds_read_b32 v15, v15 offset:320
	s_waitcnt lgkmcnt(0)
	v_add_f32_e32 v12, v12, v15
	s_or_b64 exec, exec, s[2:3]
	s_and_saveexec_b64 s[2:3], vcc
	s_cbranch_execnz .LBB230_94
	s_branch .LBB230_95
	.section	.rodata,"a",@progbits
	.p2align	6, 0x0
	.amdhsa_kernel _ZN4vllm25paged_attention_v2_kernelIfhLi96ELi32ELi128ELNS_18Fp8KVCacheDataTypeE1ELb1ELi512EEEvPfS2_PT_PKS3_PKT0_S9_ifPKiSB_iPKfiiiSD_SD_iiiii
		.amdhsa_group_segment_fixed_size 400
		.amdhsa_private_segment_fixed_size 0
		.amdhsa_kernarg_size 400
		.amdhsa_user_sgpr_count 2
		.amdhsa_user_sgpr_dispatch_ptr 0
		.amdhsa_user_sgpr_queue_ptr 0
		.amdhsa_user_sgpr_kernarg_segment_ptr 1
		.amdhsa_user_sgpr_dispatch_id 0
		.amdhsa_user_sgpr_kernarg_preload_length 0
		.amdhsa_user_sgpr_kernarg_preload_offset 0
		.amdhsa_user_sgpr_private_segment_size 0
		.amdhsa_uses_dynamic_stack 0
		.amdhsa_enable_private_segment 0
		.amdhsa_system_sgpr_workgroup_id_x 1
		.amdhsa_system_sgpr_workgroup_id_y 1
		.amdhsa_system_sgpr_workgroup_id_z 1
		.amdhsa_system_sgpr_workgroup_info 0
		.amdhsa_system_vgpr_workitem_id 0
		.amdhsa_next_free_vgpr 108
		.amdhsa_next_free_sgpr 57
		.amdhsa_accum_offset 108
		.amdhsa_reserve_vcc 1
		.amdhsa_float_round_mode_32 0
		.amdhsa_float_round_mode_16_64 0
		.amdhsa_float_denorm_mode_32 3
		.amdhsa_float_denorm_mode_16_64 3
		.amdhsa_dx10_clamp 1
		.amdhsa_ieee_mode 1
		.amdhsa_fp16_overflow 0
		.amdhsa_tg_split 0
		.amdhsa_exception_fp_ieee_invalid_op 0
		.amdhsa_exception_fp_denorm_src 0
		.amdhsa_exception_fp_ieee_div_zero 0
		.amdhsa_exception_fp_ieee_overflow 0
		.amdhsa_exception_fp_ieee_underflow 0
		.amdhsa_exception_fp_ieee_inexact 0
		.amdhsa_exception_int_div_zero 0
	.end_amdhsa_kernel
	.section	.text._ZN4vllm25paged_attention_v2_kernelIfhLi96ELi32ELi128ELNS_18Fp8KVCacheDataTypeE1ELb1ELi512EEEvPfS2_PT_PKS3_PKT0_S9_ifPKiSB_iPKfiiiSD_SD_iiiii,"axG",@progbits,_ZN4vllm25paged_attention_v2_kernelIfhLi96ELi32ELi128ELNS_18Fp8KVCacheDataTypeE1ELb1ELi512EEEvPfS2_PT_PKS3_PKT0_S9_ifPKiSB_iPKfiiiSD_SD_iiiii,comdat
.Lfunc_end230:
	.size	_ZN4vllm25paged_attention_v2_kernelIfhLi96ELi32ELi128ELNS_18Fp8KVCacheDataTypeE1ELb1ELi512EEEvPfS2_PT_PKS3_PKT0_S9_ifPKiSB_iPKfiiiSD_SD_iiiii, .Lfunc_end230-_ZN4vllm25paged_attention_v2_kernelIfhLi96ELi32ELi128ELNS_18Fp8KVCacheDataTypeE1ELb1ELi512EEEvPfS2_PT_PKS3_PKT0_S9_ifPKiSB_iPKfiiiSD_SD_iiiii
                                        ; -- End function
	.section	.AMDGPU.csdata,"",@progbits
; Kernel info:
; codeLenInByte = 7768
; NumSgprs: 63
; NumVgprs: 108
; NumAgprs: 0
; TotalNumVgprs: 108
; ScratchSize: 0
; MemoryBound: 0
; FloatMode: 240
; IeeeMode: 1
; LDSByteSize: 400 bytes/workgroup (compile time only)
; SGPRBlocks: 7
; VGPRBlocks: 13
; NumSGPRsForWavesPerEU: 63
; NumVGPRsForWavesPerEU: 108
; AccumOffset: 108
; Occupancy: 4
; WaveLimiterHint : 1
; COMPUTE_PGM_RSRC2:SCRATCH_EN: 0
; COMPUTE_PGM_RSRC2:USER_SGPR: 2
; COMPUTE_PGM_RSRC2:TRAP_HANDLER: 0
; COMPUTE_PGM_RSRC2:TGID_X_EN: 1
; COMPUTE_PGM_RSRC2:TGID_Y_EN: 1
; COMPUTE_PGM_RSRC2:TGID_Z_EN: 1
; COMPUTE_PGM_RSRC2:TIDIG_COMP_CNT: 0
; COMPUTE_PGM_RSRC3_GFX90A:ACCUM_OFFSET: 26
; COMPUTE_PGM_RSRC3_GFX90A:TG_SPLIT: 0
	.section	.text._ZN4vllm25paged_attention_v2_kernelIfhLi112ELi32ELi128ELNS_18Fp8KVCacheDataTypeE1ELb1ELi512EEEvPfS2_PT_PKS3_PKT0_S9_ifPKiSB_iPKfiiiSD_SD_iiiii,"axG",@progbits,_ZN4vllm25paged_attention_v2_kernelIfhLi112ELi32ELi128ELNS_18Fp8KVCacheDataTypeE1ELb1ELi512EEEvPfS2_PT_PKS3_PKT0_S9_ifPKiSB_iPKfiiiSD_SD_iiiii,comdat
	.protected	_ZN4vllm25paged_attention_v2_kernelIfhLi112ELi32ELi128ELNS_18Fp8KVCacheDataTypeE1ELb1ELi512EEEvPfS2_PT_PKS3_PKT0_S9_ifPKiSB_iPKfiiiSD_SD_iiiii ; -- Begin function _ZN4vllm25paged_attention_v2_kernelIfhLi112ELi32ELi128ELNS_18Fp8KVCacheDataTypeE1ELb1ELi512EEEvPfS2_PT_PKS3_PKT0_S9_ifPKiSB_iPKfiiiSD_SD_iiiii
	.globl	_ZN4vllm25paged_attention_v2_kernelIfhLi112ELi32ELi128ELNS_18Fp8KVCacheDataTypeE1ELb1ELi512EEEvPfS2_PT_PKS3_PKT0_S9_ifPKiSB_iPKfiiiSD_SD_iiiii
	.p2align	8
	.type	_ZN4vllm25paged_attention_v2_kernelIfhLi112ELi32ELi128ELNS_18Fp8KVCacheDataTypeE1ELb1ELi512EEEvPfS2_PT_PKS3_PKT0_S9_ifPKiSB_iPKfiiiSD_SD_iiiii,@function
_ZN4vllm25paged_attention_v2_kernelIfhLi112ELi32ELi128ELNS_18Fp8KVCacheDataTypeE1ELb1ELi512EEEvPfS2_PT_PKS3_PKT0_S9_ifPKiSB_iPKfiiiSD_SD_iiiii: ; @_ZN4vllm25paged_attention_v2_kernelIfhLi112ELi32ELi128ELNS_18Fp8KVCacheDataTypeE1ELb1ELi512EEEvPfS2_PT_PKS3_PKT0_S9_ifPKiSB_iPKfiiiSD_SD_iiiii
; %bb.0:
	s_load_dwordx2 s[6:7], s[0:1], 0x40
	s_mov_b32 s34, s3
	s_ashr_i32 s35, s3, 31
	s_lshl_b64 s[8:9], s[34:35], 2
	s_waitcnt lgkmcnt(0)
	s_add_u32 s6, s6, s8
	s_addc_u32 s7, s7, s9
	s_load_dword s33, s[6:7], 0x0
	s_lshl_b32 s52, s4, 9
	s_waitcnt lgkmcnt(0)
	s_cmp_ge_i32 s52, s33
	s_cbranch_scc1 .LBB231_104
; %bb.1:
	s_load_dword s5, s[0:1], 0x90
	s_load_dwordx2 s[42:43], s[0:1], 0x30
	s_waitcnt lgkmcnt(0)
	s_abs_i32 s7, s5
	s_abs_i32 s3, s42
	v_cvt_f32_u32_e32 v1, s3
	s_sub_i32 s8, 0, s3
	s_xor_b32 s6, s5, s42
	s_ashr_i32 s6, s6, 31
	v_rcp_iflag_f32_e32 v1, v1
	s_nop 0
	v_mul_f32_e32 v1, 0x4f7ffffe, v1
	v_cvt_u32_f32_e32 v1, v1
	s_nop 0
	v_readfirstlane_b32 s9, v1
	s_mul_i32 s8, s8, s9
	s_mul_hi_u32 s8, s9, s8
	s_add_i32 s9, s9, s8
	s_mul_hi_u32 s8, s7, s9
	s_mul_i32 s9, s8, s3
	s_sub_i32 s7, s7, s9
	s_add_i32 s10, s8, 1
	s_sub_i32 s9, s7, s3
	s_cmp_ge_u32 s7, s3
	s_cselect_b32 s8, s10, s8
	s_cselect_b32 s7, s9, s7
	s_add_i32 s9, s8, 1
	s_cmp_ge_u32 s7, s3
	s_cselect_b32 s3, s9, s8
	s_xor_b32 s3, s3, s6
	s_sub_i32 s12, s3, s6
	s_abs_i32 s8, s12
	v_cvt_f32_u32_e32 v1, s8
	s_load_dwordx2 s[6:7], s[0:1], 0x50
	s_sub_i32 s10, 0, s8
	s_abs_i32 s9, s2
	v_rcp_iflag_f32_e32 v1, v1
	s_mov_b32 s3, 0
	v_mul_f32_e32 v1, 0x4f7ffffe, v1
	v_cvt_u32_f32_e32 v1, v1
	s_nop 0
	v_readfirstlane_b32 s11, v1
	s_mul_i32 s10, s10, s11
	s_mul_hi_u32 s10, s11, s10
	s_add_i32 s11, s11, s10
	s_waitcnt lgkmcnt(0)
	s_cmp_eq_u64 s[6:7], 0
	s_mul_hi_u32 s10, s9, s11
	s_cbranch_scc1 .LBB231_3
; %bb.2:
	s_ashr_i32 s3, s2, 31
	s_lshl_b64 s[14:15], s[2:3], 2
	s_add_u32 s6, s6, s14
	s_addc_u32 s7, s7, s15
	s_load_dword s3, s[6:7], 0x0
.LBB231_3:
	s_load_dwordx4 s[16:19], s[0:1], 0x58
	s_ashr_i32 s11, s2, 31
	s_ashr_i32 s12, s12, 31
	v_and_b32_e32 v2, 1, v0
	s_mul_i32 s28, s2, 0x70
	v_cmp_gt_u32_e32 vcc, 56, v0
	v_lshlrev_b32_e32 v58, 2, v0
	s_and_saveexec_b64 s[6:7], vcc
	s_cbranch_execz .LBB231_5
; %bb.4:
	s_load_dwordx2 s[14:15], s[0:1], 0x18
	s_waitcnt lgkmcnt(0)
	s_mul_i32 s20, s34, s16
	s_ashr_i32 s21, s20, 31
	s_lshl_b64 s[20:21], s[20:21], 2
	v_lshlrev_b32_e32 v1, 3, v0
	s_add_u32 s13, s14, s20
	s_addc_u32 s16, s15, s21
	s_ashr_i32 s29, s28, 31
	s_lshl_b64 s[14:15], s[28:29], 2
	s_add_u32 s14, s13, s14
	s_addc_u32 s15, s16, s15
	global_load_dwordx2 v[4:5], v1, s[14:15]
	v_and_b32_e32 v1, 0xff8, v58
	s_movk_i32 s13, 0xe0
	v_mad_u32_u24 v1, v2, s13, v1
	s_waitcnt vmcnt(0)
	ds_write_b64 v1, v[4:5]
.LBB231_5:
	s_or_b64 exec, exec, s[6:7]
	s_mul_i32 s7, s10, s8
	s_sub_i32 s7, s9, s7
	s_xor_b32 s6, s11, s12
	s_add_i32 s9, s10, 1
	s_sub_i32 s11, s7, s8
	s_load_dwordx4 s[20:23], s[0:1], 0x78
	s_cmp_ge_u32 s7, s8
	s_cselect_b32 s9, s9, s10
	s_cselect_b32 s7, s11, s7
	s_add_i32 s10, s9, 1
	s_cmp_ge_u32 s7, s8
	s_cselect_b32 s7, s10, s9
	s_load_dword s10, s[0:1], 0x88
	s_waitcnt lgkmcnt(0)
	s_abs_i32 s29, s23
	v_cvt_f32_u32_e32 v1, s29
	s_xor_b32 s7, s7, s6
	s_sub_i32 s51, s7, s6
	s_sub_i32 s6, 0, s29
	v_rcp_iflag_f32_e32 v1, v1
	s_add_i32 s11, s33, -1
	s_abs_i32 s8, s11
	v_mul_f32_e32 v1, 0x4f7ffffe, v1
	v_cvt_u32_f32_e32 v1, v1
	s_barrier
	v_readfirstlane_b32 s35, v1
	s_mul_i32 s6, s6, s35
	s_mul_hi_u32 s6, s35, s6
	s_add_i32 s35, s35, s6
	s_cmp_lt_i32 s10, 0
	s_mul_hi_u32 s9, s8, s35
	s_cbranch_scc0 .LBB231_7
; %bb.6:
	s_mul_i32 s6, s20, s42
	s_add_i32 s6, s51, s6
	s_mul_i32 s6, s6, s10
	s_sub_i32 s42, 1, s6
	s_mov_b64 s[6:7], 0
	s_branch .LBB231_8
.LBB231_7:
	s_mov_b64 s[6:7], -1
                                        ; implicit-def: $sgpr42
.LBB231_8:
	s_load_dwordx2 s[36:37], s[0:1], 0x38
	s_ashr_i32 s11, s11, 31
	s_andn2_b64 vcc, exec, s[6:7]
	s_ashr_i32 s23, s23, 31
	s_cbranch_vccnz .LBB231_10
; %bb.9:
	s_mul_i32 s6, s5, s20
	s_add_i32 s6, s6, s2
	s_mul_i32 s6, s6, s10
	s_add_i32 s42, s6, 1
.LBB231_10:
	s_load_dwordx2 s[40:41], s[0:1], 0x28
	s_load_dword s6, s[0:1], 0x48
	s_load_dwordx4 s[24:27], s[0:1], 0x0
	s_load_dwordx2 s[30:31], s[0:1], 0x10
	s_load_dword s20, s[0:1], 0x98
	s_load_dwordx4 s[12:15], s[0:1], 0x68
	s_mul_i32 s7, s9, s29
	s_waitcnt lgkmcnt(0)
	s_mul_i32 s38, s34, s6
	s_sub_i32 s7, s8, s7
	s_ashr_i32 s39, s38, 31
	s_xor_b32 s6, s11, s23
	s_add_i32 s8, s9, 1
	s_sub_i32 s10, s7, s29
	s_cmp_ge_u32 s7, s29
	s_cselect_b32 s8, s8, s9
	s_cselect_b32 s7, s10, s7
	s_add_i32 s9, s8, 1
	s_cmp_ge_u32 s7, s29
	s_cselect_b32 s7, s9, s8
	s_xor_b32 s7, s7, s6
	s_sub_i32 s50, s7, s6
	s_add_i32 s6, s33, 31
	s_ashr_i32 s7, s6, 31
	s_lshr_b32 s7, s7, 27
	s_add_i32 s6, s6, s7
	s_lshl_b32 s53, s4, 4
	s_ashr_i32 s49, s6, 5
	s_add_i32 s6, s53, 16
	v_lshrrev_b32_e32 v59, 6, v0
	s_min_i32 s48, s6, s49
	v_or_b32_e32 v50, s53, v59
	v_cmp_gt_i32_e64 s[8:9], s48, v50
	v_mov_b32_e32 v63, 0xff7fffff
	s_mul_i32 s51, s51, s18
	v_ashrrev_i32_e32 v51, 31, v50
	v_lshl_add_u32 v1, v59, 5, s52
	v_mbcnt_lo_u32_b32 v60, -1, 0
	s_and_saveexec_b64 s[18:19], s[8:9]
	s_cbranch_execz .LBB231_20
; %bb.11:
	s_load_dwordx2 s[0:1], s[0:1], 0x20
	s_sub_i32 s54, s50, s21
	s_ashr_i32 s6, s51, 31
	v_bfe_u32 v61, v0, 1, 5
	v_mov_b32_e32 v53, 0
	s_waitcnt lgkmcnt(0)
	s_add_u32 s0, s0, s51
	s_addc_u32 s1, s1, s6
	s_abs_i32 s55, s22
	v_cvt_f32_u32_e32 v3, s55
	v_lshlrev_b32_e32 v52, 4, v61
	v_lshl_add_u64 v[54:55], s[0:1], 0, v[52:53]
	s_sub_i32 s0, 0, s55
	v_rcp_iflag_f32_e32 v3, v3
	v_cmp_eq_u32_e32 vcc, 0, v2
	v_mul_u32_u24_e32 v62, 0xe0, v2
	v_lshlrev_b32_e32 v52, 1, v2
	v_mul_f32_e32 v3, 0x4f7ffffe, v3
	v_cvt_u32_f32_e32 v3, v3
	v_mbcnt_hi_u32_b32 v69, -1, v60
	s_mov_b32 s56, s17
	v_cmp_neq_f32_e64 s[6:7], s3, 0
	v_mul_lo_u32 v2, s0, v3
	v_mul_hi_u32 v2, v3, v2
	v_add_u32_e32 v64, v3, v2
	v_lshlrev_b32_e32 v2, 2, v61
	s_lshl_b64 s[0:1], s[38:39], 2
	v_lshl_or_b32 v2, v59, 7, v2
	s_add_u32 s0, s36, s0
	v_add_u32_e32 v66, 0x1d0, v2
	v_subrev_u32_e32 v2, s33, v61
	s_addc_u32 s1, s37, s1
	v_add_u32_e32 v67, 1, v2
	v_and_b32_e32 v2, 64, v69
	v_lshl_add_u64 v[56:57], v[50:51], 2, s[0:1]
	v_lshl_add_u32 v65, v59, 5, s52
	s_mov_b64 s[44:45], 0
	v_mov_b32_e32 v68, 0xff7fffff
	v_xor_b32_e32 v70, 1, v69
	v_add_u32_e32 v71, 64, v2
	v_mov_b32_e32 v63, 0xff7fffff
	v_mov_b32_e32 v72, v50
	s_branch .LBB231_14
.LBB231_12:                             ;   in Loop: Header=BB231_14 Depth=1
	s_or_b64 exec, exec, s[46:47]
.LBB231_13:                             ;   in Loop: Header=BB231_14 Depth=1
	s_or_b64 exec, exec, s[10:11]
	v_add_u32_e32 v72, 2, v72
	v_cmp_le_i32_e64 s[0:1], s48, v72
	v_lshl_add_u64 v[56:57], v[56:57], 0, 8
	v_add_u32_e32 v65, 64, v65
	s_or_b64 s[44:45], s[0:1], s[44:45]
	v_add_u32_e32 v66, 0x100, v66
	s_andn2_b64 exec, exec, s[44:45]
	s_cbranch_execz .LBB231_19
.LBB231_14:                             ; =>This Inner Loop Header: Depth=1
	s_waitcnt lgkmcnt(0)
	v_sub_u32_e32 v3, 0, v65
	v_max_i32_e32 v3, v65, v3
	v_mul_hi_u32 v4, v3, s35
	v_mul_lo_u32 v5, v4, s29
	v_sub_u32_e32 v3, v3, v5
	v_add_u32_e32 v5, 1, v4
	v_cmp_le_u32_e64 s[0:1], s29, v3
	v_ashrrev_i32_e32 v2, 31, v65
	v_xor_b32_e32 v2, s23, v2
	v_cndmask_b32_e64 v4, v4, v5, s[0:1]
	v_subrev_u32_e32 v5, s29, v3
	v_cndmask_b32_e64 v3, v3, v5, s[0:1]
	v_add_u32_e32 v5, 1, v4
	v_cmp_le_u32_e64 s[0:1], s29, v3
	s_nop 1
	v_cndmask_b32_e64 v3, v4, v5, s[0:1]
	v_xor_b32_e32 v3, v3, v2
	v_sub_u32_e32 v2, v3, v2
	v_add_u32_e32 v3, s42, v2
	v_sub_u32_e32 v5, 0, v3
	v_ashrrev_i32_e32 v4, 31, v3
	v_max_i32_e32 v3, v3, v5
	v_mul_hi_u32 v5, v3, v64
	v_mul_lo_u32 v5, v5, s55
	v_sub_u32_e32 v3, v3, v5
	v_subrev_u32_e32 v5, s55, v3
	v_cmp_le_u32_e64 s[0:1], s55, v3
	v_cmp_ge_i32_e64 s[10:11], s54, v2
	s_nop 0
	v_cndmask_b32_e64 v3, v3, v5, s[0:1]
	v_subrev_u32_e32 v5, s55, v3
	v_cmp_le_u32_e64 s[0:1], s55, v3
	s_nop 1
	v_cndmask_b32_e64 v3, v3, v5, s[0:1]
	v_xor_b32_e32 v3, v3, v4
	v_sub_u32_e32 v3, v3, v4
	v_cmp_ne_u32_e64 s[0:1], 0, v3
	s_and_b64 s[0:1], s[0:1], s[10:11]
	s_and_b64 s[46:47], vcc, s[0:1]
	s_and_saveexec_b64 s[10:11], s[46:47]
	s_cbranch_execz .LBB231_16
; %bb.15:                               ;   in Loop: Header=BB231_14 Depth=1
	ds_write_b32 v66, v68
.LBB231_16:                             ;   in Loop: Header=BB231_14 Depth=1
	s_or_b64 exec, exec, s[10:11]
	s_xor_b64 s[0:1], s[0:1], -1
	s_and_saveexec_b64 s[10:11], s[0:1]
	s_cbranch_execz .LBB231_13
; %bb.17:                               ;   in Loop: Header=BB231_14 Depth=1
	global_load_dword v2, v[56:57], off
	s_waitcnt vmcnt(0)
	v_mad_i64_i32 v[2:3], s[0:1], v2, s56, v[54:55]
	v_lshl_add_u64 v[2:3], v[2:3], 0, v[52:53]
	global_load_ushort v73, v[2:3], off
	global_load_ushort v76, v[2:3], off offset:4
	global_load_ushort v78, v[2:3], off offset:8
	;; [unrolled: 1-line block ×27, first 2 shown]
	ds_read_b128 v[46:49], v62
	ds_read_b128 v[42:45], v62 offset:16
	ds_read_b128 v[38:41], v62 offset:32
	;; [unrolled: 1-line block ×3, first 2 shown]
	s_load_dword s16, s[12:13], 0x0
	ds_read_b128 v[6:9], v62 offset:64
	ds_read_b128 v[2:5], v62 offset:80
	;; [unrolled: 1-line block ×8, first 2 shown]
	v_cmp_lt_i32_e64 s[0:1], v70, v71
	s_waitcnt vmcnt(27)
	v_cvt_pk_f32_fp8_e32 v[74:75], v73
	s_waitcnt vmcnt(26)
	v_cvt_pk_f32_fp8_e32 v[76:77], v76
	;; [unrolled: 2-line block ×4, first 2 shown]
	s_waitcnt lgkmcnt(0)
	v_pk_mul_f32 v[74:75], s[16:17], v[74:75] op_sel_hi:[0,1]
	v_pk_mul_f32 v[76:77], s[16:17], v[76:77] op_sel_hi:[0,1]
	v_mul_f32_e32 v73, v48, v76
	v_mul_f32_e32 v107, v49, v77
	v_pk_mul_f32 v[78:79], s[16:17], v[78:79] op_sel_hi:[0,1]
	v_fmac_f32_e32 v73, v46, v74
	v_fmac_f32_e32 v107, v47, v75
	;; [unrolled: 1-line block ×4, first 2 shown]
	s_waitcnt vmcnt(23)
	v_cvt_pk_f32_fp8_e32 v[42:43], v82
	v_pk_mul_f32 v[78:79], s[16:17], v[80:81] op_sel_hi:[0,1]
	v_fmac_f32_e32 v73, v44, v78
	v_fmac_f32_e32 v107, v45, v79
	s_waitcnt vmcnt(22)
	v_cvt_pk_f32_fp8_e32 v[44:45], v83
	s_waitcnt vmcnt(21)
	v_cvt_pk_f32_fp8_e32 v[78:79], v84
	;; [unrolled: 2-line block ×4, first 2 shown]
	v_pk_mul_f32 v[42:43], s[16:17], v[42:43] op_sel_hi:[0,1]
	s_waitcnt vmcnt(18)
	v_cvt_pk_f32_fp8_e32 v[84:85], v87
	v_fmac_f32_e32 v73, v38, v42
	v_fmac_f32_e32 v107, v39, v43
	v_pk_mul_f32 v[44:45], s[16:17], v[44:45] op_sel_hi:[0,1]
	s_waitcnt vmcnt(17)
	v_cvt_pk_f32_fp8_e32 v[86:87], v88
	v_fmac_f32_e32 v73, v40, v44
	v_fmac_f32_e32 v107, v41, v45
	v_pk_mul_f32 v[78:79], s[16:17], v[78:79] op_sel_hi:[0,1]
	s_waitcnt vmcnt(16)
	v_cvt_pk_f32_fp8_e32 v[38:39], v89
	v_fmac_f32_e32 v73, v18, v78
	v_fmac_f32_e32 v107, v19, v79
	v_pk_mul_f32 v[80:81], s[16:17], v[80:81] op_sel_hi:[0,1]
	s_waitcnt vmcnt(15)
	v_cvt_pk_f32_fp8_e32 v[42:43], v90
	v_fmac_f32_e32 v73, v20, v80
	v_fmac_f32_e32 v107, v21, v81
	v_pk_mul_f32 v[82:83], s[16:17], v[82:83] op_sel_hi:[0,1]
	s_waitcnt vmcnt(14)
	v_cvt_pk_f32_fp8_e32 v[40:41], v91
	v_fmac_f32_e32 v73, v6, v82
	v_fmac_f32_e32 v107, v7, v83
	v_pk_mul_f32 v[82:83], s[16:17], v[84:85] op_sel_hi:[0,1]
	s_waitcnt vmcnt(13)
	v_cvt_pk_f32_fp8_e32 v[44:45], v92
	v_pk_mul_f32 v[84:85], s[16:17], v[86:87] op_sel_hi:[0,1]
	v_fmac_f32_e32 v73, v8, v82
	v_fmac_f32_e32 v107, v9, v83
	s_waitcnt vmcnt(12)
	v_cvt_pk_f32_fp8_e32 v[88:89], v93
	v_pk_mul_f32 v[38:39], s[16:17], v[38:39] op_sel_hi:[0,1]
	v_fmac_f32_e32 v73, v2, v84
	v_fmac_f32_e32 v107, v3, v85
	;; [unrolled: 5-line block ×11, first 2 shown]
	ds_read_b128 v[46:49], v62 offset:192
	ds_read_b128 v[74:77], v62 offset:208
	s_waitcnt vmcnt(2)
	v_cvt_pk_f32_fp8_e32 v[100:101], v103
	v_pk_mul_f32 v[20:21], s[16:17], v[20:21] op_sel_hi:[0,1]
	v_fmac_f32_e32 v73, v34, v78
	v_fmac_f32_e32 v107, v35, v79
	s_waitcnt vmcnt(1)
	v_cvt_pk_f32_fp8_e32 v[102:103], v104
	v_pk_mul_f32 v[80:81], s[16:17], v[80:81] op_sel_hi:[0,1]
	v_fmac_f32_e32 v73, v36, v20
	v_fmac_f32_e32 v107, v37, v21
	;; [unrolled: 5-line block ×3, first 2 shown]
	v_pk_mul_f32 v[96:97], s[16:17], v[98:99] op_sel_hi:[0,1]
	v_fmac_f32_e32 v73, v32, v94
	v_fmac_f32_e32 v107, v33, v95
	v_pk_mul_f32 v[98:99], s[16:17], v[100:101] op_sel_hi:[0,1]
	s_waitcnt lgkmcnt(1)
	v_fmac_f32_e32 v73, v46, v96
	v_fmac_f32_e32 v107, v47, v97
	v_pk_mul_f32 v[100:101], s[16:17], v[102:103] op_sel_hi:[0,1]
	v_fmac_f32_e32 v73, v48, v98
	v_fmac_f32_e32 v107, v49, v99
	v_pk_mul_f32 v[6:7], s[16:17], v[6:7] op_sel_hi:[0,1]
	s_waitcnt lgkmcnt(0)
	v_fmac_f32_e32 v73, v74, v100
	v_fmac_f32_e32 v107, v75, v101
	v_cndmask_b32_e64 v106, v69, v70, s[0:1]
	v_fmac_f32_e32 v73, v76, v6
	v_fmac_f32_e32 v107, v77, v7
	v_lshlrev_b32_e32 v106, 2, v106
	v_add_f32_e32 v2, v73, v107
	ds_bpermute_b32 v3, v106, v2
	s_and_saveexec_b64 s[46:47], vcc
	s_cbranch_execz .LBB231_12
; %bb.18:                               ;   in Loop: Header=BB231_14 Depth=1
	v_add_u32_e32 v4, v67, v65
	v_cvt_f32_i32_e32 v4, v4
	s_waitcnt lgkmcnt(0)
	v_add_f32_e32 v2, v2, v3
	v_add_u32_e32 v5, v61, v65
	v_cmp_gt_i32_e64 s[0:1], s33, v5
	v_mul_f32_e32 v3, s3, v4
	v_cndmask_b32_e64 v3, 0, v3, s[6:7]
	v_fmac_f32_e32 v3, s43, v2
	v_cndmask_b32_e64 v2, 0, v3, s[0:1]
	ds_write_b32 v66, v2
	v_max_f32_e32 v2, v63, v63
	v_max_f32_e32 v2, v2, v3
	v_cndmask_b32_e64 v63, v63, v2, s[0:1]
	s_branch .LBB231_12
.LBB231_19:
	s_or_b64 exec, exec, s[44:45]
.LBB231_20:
	s_or_b64 exec, exec, s[18:19]
	v_mbcnt_hi_u32_b32 v4, -1, v60
	v_and_b32_e32 v2, 64, v4
	v_add_u32_e32 v8, 64, v2
	v_xor_b32_e32 v2, 32, v4
	v_cmp_lt_i32_e32 vcc, v2, v8
	v_xor_b32_e32 v6, 16, v4
	v_max_f32_e32 v5, v63, v63
	v_cndmask_b32_e32 v2, v4, v2, vcc
	v_lshlrev_b32_e32 v2, 2, v2
	s_waitcnt lgkmcnt(0)
	ds_bpermute_b32 v3, v2, v63
	v_cmp_lt_i32_e32 vcc, v6, v8
	v_xor_b32_e32 v7, 8, v4
	v_xor_b32_e32 v9, 4, v4
	v_and_b32_e32 v82, 63, v0
	s_waitcnt lgkmcnt(0)
	v_max_f32_e32 v3, v3, v3
	v_max_f32_e32 v5, v5, v3
	v_cndmask_b32_e32 v3, v4, v6, vcc
	v_lshlrev_b32_e32 v3, 2, v3
	ds_bpermute_b32 v6, v3, v5
	v_cmp_lt_i32_e32 vcc, v7, v8
	s_waitcnt lgkmcnt(0)
	v_max_f32_e32 v6, v6, v6
	v_max_f32_e32 v6, v5, v6
	v_cndmask_b32_e32 v5, v4, v7, vcc
	v_lshlrev_b32_e32 v5, 2, v5
	ds_bpermute_b32 v7, v5, v6
	v_cmp_lt_i32_e32 vcc, v9, v8
	s_waitcnt lgkmcnt(0)
	v_max_f32_e32 v7, v7, v7
	v_max_f32_e32 v6, v6, v7
	v_cndmask_b32_e32 v7, v4, v9, vcc
	v_lshlrev_b32_e32 v84, 2, v7
	ds_bpermute_b32 v7, v84, v6
	v_xor_b32_e32 v9, 2, v4
	v_cmp_lt_i32_e32 vcc, v9, v8
	s_waitcnt lgkmcnt(0)
	v_max_f32_e32 v7, v7, v7
	v_max_f32_e32 v7, v6, v7
	v_cndmask_b32_e32 v6, v4, v9, vcc
	v_lshlrev_b32_e32 v83, 2, v6
	ds_bpermute_b32 v9, v83, v7
	v_cmp_eq_u32_e32 vcc, 0, v82
	v_lshlrev_b32_e32 v6, 2, v59
	s_and_saveexec_b64 s[0:1], vcc
	s_cbranch_execz .LBB231_22
; %bb.21:
	s_waitcnt lgkmcnt(0)
	v_max_f32_e32 v9, v9, v9
	v_max_f32_e32 v7, v7, v7
	;; [unrolled: 1-line block ×3, first 2 shown]
	ds_write_b32 v6, v7 offset:448
.LBB231_22:
	s_or_b64 exec, exec, s[0:1]
	v_cmp_gt_u32_e64 s[0:1], 2, v82
	s_waitcnt lgkmcnt(0)
	v_mov_b32_e32 v9, 0xff7fffff
	v_lshlrev_b32_e32 v7, 2, v82
	s_barrier
	s_and_saveexec_b64 s[6:7], s[0:1]
	s_cbranch_execz .LBB231_24
; %bb.23:
	ds_read_b32 v9, v7 offset:448
.LBB231_24:
	s_or_b64 exec, exec, s[6:7]
	v_xor_b32_e32 v10, 1, v4
	v_cmp_lt_i32_e64 s[6:7], v10, v8
	s_sub_i32 s3, s48, s53
	s_lshl_b32 s3, s3, 5
	v_cndmask_b32_e64 v8, v4, v10, s[6:7]
	v_lshlrev_b32_e32 v85, 2, v8
	s_waitcnt lgkmcnt(0)
	ds_bpermute_b32 v8, v85, v9
	v_max_f32_e32 v9, v9, v9
	v_lshlrev_b32_e32 v4, 2, v4
	s_add_i32 s3, s3, s52
	s_min_i32 s16, s3, s33
	s_waitcnt lgkmcnt(0)
	v_max_f32_e32 v8, v8, v8
	v_max_f32_e32 v9, v9, v8
	v_and_b32_e32 v8, 0x100, v4
	ds_bpermute_b32 v4, v8, v9
	s_sub_i32 s3, s16, s52
	v_cmp_gt_i32_e64 s[6:7], s3, v0
	v_mov_b32_e32 v9, 0
	s_and_saveexec_b64 s[12:13], s[6:7]
	s_cbranch_execz .LBB231_28
; %bb.25:
	v_mov_b32_e32 v9, 0x1d0
	v_lshl_add_u32 v10, v0, 2, v9
	s_mov_b64 s[18:19], 0
	v_mov_b32_e32 v9, 0
	v_mov_b32_e32 v11, v0
.LBB231_26:                             ; =>This Inner Loop Header: Depth=1
	ds_read_b32 v12, v10
	v_add_u32_e32 v11, 0x80, v11
	v_cmp_le_i32_e64 s[10:11], s3, v11
	s_or_b64 s[18:19], s[10:11], s[18:19]
	s_waitcnt lgkmcnt(0)
	v_sub_f32_e32 v12, v12, v4
	v_mul_f32_e32 v12, 0x3fb8aa3b, v12
	v_exp_f32_e32 v12, v12
	ds_write_b32 v10, v12
	v_add_f32_e32 v9, v9, v12
	v_add_u32_e32 v10, 0x200, v10
	s_andn2_b64 exec, exec, s[18:19]
	s_cbranch_execnz .LBB231_26
; %bb.27:
	s_or_b64 exec, exec, s[18:19]
.LBB231_28:
	s_or_b64 exec, exec, s[12:13]
	ds_bpermute_b32 v2, v2, v9
	s_waitcnt lgkmcnt(0)
	v_add_f32_e32 v2, v9, v2
	ds_bpermute_b32 v3, v3, v2
	s_waitcnt lgkmcnt(0)
	v_add_f32_e32 v2, v2, v3
	;; [unrolled: 3-line block ×6, first 2 shown]
	s_and_saveexec_b64 s[10:11], vcc
	s_cbranch_execz .LBB231_30
; %bb.29:
	ds_write_b32 v6, v2 offset:456
.LBB231_30:
	s_or_b64 exec, exec, s[10:11]
	s_waitcnt lgkmcnt(0)
	s_barrier
	s_and_saveexec_b64 s[10:11], s[0:1]
	s_cbranch_execz .LBB231_32
; %bb.31:
	ds_read_b32 v2, v7 offset:456
.LBB231_32:
	s_or_b64 exec, exec, s[10:11]
	s_waitcnt lgkmcnt(0)
	ds_bpermute_b32 v3, v85, v2
	s_waitcnt lgkmcnt(0)
	v_add_f32_e32 v2, v2, v3
	ds_bpermute_b32 v5, v8, v2
	s_and_saveexec_b64 s[0:1], s[6:7]
	s_cbranch_execz .LBB231_45
; %bb.33:
	s_waitcnt lgkmcnt(0)
	v_add_f32_e32 v2, 0x358637bd, v5
	v_div_scale_f32 v3, s[6:7], v2, v2, 1.0
	v_rcp_f32_e32 v6, v3
	v_div_scale_f32 v7, vcc, 1.0, v2, 1.0
	s_movk_i32 s6, 0x7f
	v_fma_f32 v8, -v3, v6, 1.0
	v_fmac_f32_e32 v6, v8, v6
	v_mul_f32_e32 v8, v7, v6
	v_fma_f32 v9, -v3, v8, v7
	v_fmac_f32_e32 v8, v9, v6
	v_fma_f32 v3, -v3, v8, v7
	v_div_fmas_f32 v3, v3, v6, v8
	v_div_fixup_f32 v2, v3, v2, 1.0
	v_xad_u32 v3, v0, -1, s16
	v_subrev_u32_e32 v6, s52, v3
	v_cmp_lt_u32_e32 vcc, s6, v6
	s_mov_b64 s[10:11], -1
	v_mov_b32_e32 v3, v0
	s_and_saveexec_b64 s[6:7], vcc
	s_cbranch_execz .LBB231_42
; %bb.34:
	v_lshrrev_b32_e32 v6, 7, v6
	v_add_u32_e32 v8, -1, v6
	v_lshrrev_b32_e32 v7, 1, v8
	v_mov_b32_e32 v3, v2
	v_add_u32_e32 v7, 1, v7
	v_cmp_lt_u32_e32 vcc, 13, v8
	v_mov_b32_e32 v10, 0
	s_and_saveexec_b64 s[10:11], vcc
	s_cbranch_execz .LBB231_38
; %bb.35:
	v_mov_b32_e32 v9, 0x1d0
	v_and_b32_e32 v8, -8, v7
	v_lshl_add_u32 v9, v0, 2, v9
	s_mov_b32 s16, 0
	s_mov_b64 s[12:13], 0
.LBB231_36:                             ; =>This Inner Loop Header: Depth=1
	ds_read2st64_b32 v[10:11], v9 offset1:2
	ds_read2st64_b32 v[12:13], v9 offset0:4 offset1:6
	ds_read2st64_b32 v[14:15], v9 offset0:8 offset1:10
	;; [unrolled: 1-line block ×3, first 2 shown]
	v_add_u32_e32 v8, -8, v8
	s_waitcnt lgkmcnt(3)
	v_pk_mul_f32 v[10:11], v[2:3], v[10:11]
	s_waitcnt lgkmcnt(2)
	v_pk_mul_f32 v[12:13], v[2:3], v[12:13]
	ds_write2st64_b32 v9, v10, v11 offset1:2
	ds_write2st64_b32 v9, v12, v13 offset0:4 offset1:6
	ds_read2st64_b32 v[12:13], v9 offset0:16 offset1:18
	s_waitcnt lgkmcnt(4)
	v_pk_mul_f32 v[10:11], v[2:3], v[14:15]
	ds_write2st64_b32 v9, v10, v11 offset0:8 offset1:10
	s_waitcnt lgkmcnt(4)
	v_pk_mul_f32 v[10:11], v[2:3], v[16:17]
	ds_write2st64_b32 v9, v10, v11 offset0:12 offset1:14
	ds_read2st64_b32 v[10:11], v9 offset0:20 offset1:22
	s_waitcnt lgkmcnt(3)
	v_pk_mul_f32 v[12:13], v[2:3], v[12:13]
	ds_read2st64_b32 v[14:15], v9 offset0:24 offset1:26
	ds_write2st64_b32 v9, v12, v13 offset0:16 offset1:18
	ds_read2st64_b32 v[12:13], v9 offset0:28 offset1:30
	s_waitcnt lgkmcnt(3)
	v_pk_mul_f32 v[10:11], v[2:3], v[10:11]
	ds_write2st64_b32 v9, v10, v11 offset0:20 offset1:22
	s_waitcnt lgkmcnt(3)
	v_pk_mul_f32 v[10:11], v[2:3], v[14:15]
	ds_write2st64_b32 v9, v10, v11 offset0:24 offset1:26
	s_waitcnt lgkmcnt(2)
	v_pk_mul_f32 v[10:11], v[2:3], v[12:13]
	s_add_i32 s16, s16, 16
	v_cmp_eq_u32_e32 vcc, 0, v8
	ds_write2st64_b32 v9, v10, v11 offset0:28 offset1:30
	v_add_u32_e32 v9, 0x2000, v9
	s_or_b64 s[12:13], vcc, s[12:13]
	v_mov_b32_e32 v10, s16
	s_andn2_b64 exec, exec, s[12:13]
	s_cbranch_execnz .LBB231_36
; %bb.37:
	s_or_b64 exec, exec, s[12:13]
.LBB231_38:
	s_or_b64 exec, exec, s[10:11]
	v_and_b32_e32 v7, 7, v7
	v_cmp_ne_u32_e32 vcc, 0, v7
	s_and_saveexec_b64 s[10:11], vcc
	s_cbranch_execz .LBB231_41
; %bb.39:
	v_lshlrev_b32_e32 v8, 9, v10
	s_movk_i32 s12, 0x1d0
	v_add3_u32 v8, v8, v58, s12
	s_mov_b64 s[12:13], 0
.LBB231_40:                             ; =>This Inner Loop Header: Depth=1
	ds_read2st64_b32 v[10:11], v8 offset1:2
	v_add_u32_e32 v7, -1, v7
	v_cmp_eq_u32_e32 vcc, 0, v7
	s_or_b64 s[12:13], vcc, s[12:13]
	s_waitcnt lgkmcnt(0)
	v_pk_mul_f32 v[10:11], v[2:3], v[10:11]
	ds_write2st64_b32 v8, v10, v11 offset1:2
	v_add_u32_e32 v8, 0x400, v8
	s_andn2_b64 exec, exec, s[12:13]
	s_cbranch_execnz .LBB231_40
.LBB231_41:
	s_or_b64 exec, exec, s[10:11]
	v_add_u32_e32 v6, 1, v6
	v_and_b32_e32 v7, 0x3fffffe, v6
	v_cmp_ne_u32_e32 vcc, v6, v7
	v_lshl_add_u32 v3, v7, 7, v0
	s_orn2_b64 s[10:11], vcc, exec
.LBB231_42:
	s_or_b64 exec, exec, s[6:7]
	s_and_b64 exec, exec, s[10:11]
	s_cbranch_execz .LBB231_45
; %bb.43:
	v_mov_b32_e32 v6, 0x1d0
	v_lshl_add_u32 v6, v3, 2, v6
	s_mov_b64 s[6:7], 0
.LBB231_44:                             ; =>This Inner Loop Header: Depth=1
	ds_read_b32 v7, v6
	v_add_u32_e32 v3, 0x80, v3
	v_cmp_le_i32_e32 vcc, s3, v3
	s_or_b64 s[6:7], vcc, s[6:7]
	s_waitcnt lgkmcnt(0)
	v_mul_f32_e32 v7, v2, v7
	ds_write_b32 v6, v7
	v_add_u32_e32 v6, 0x200, v6
	s_andn2_b64 exec, exec, s[6:7]
	s_cbranch_execnz .LBB231_44
.LBB231_45:
	s_or_b64 exec, exec, s[0:1]
	s_mul_i32 s0, s20, s34
	v_cmp_eq_u32_e32 vcc, 0, v0
	s_mul_i32 s6, s0, s5
	s_waitcnt lgkmcnt(0)
	s_barrier
	s_and_saveexec_b64 s[0:1], vcc
	s_cbranch_execz .LBB231_47
; %bb.46:
	s_ashr_i32 s7, s6, 31
	s_lshl_b64 s[10:11], s[6:7], 2
	s_add_u32 s5, s26, s10
	s_mul_i32 s2, s20, s2
	s_addc_u32 s7, s27, s11
	s_ashr_i32 s3, s2, 31
	s_lshl_b64 s[2:3], s[2:3], 2
	s_add_u32 s16, s5, s2
	s_addc_u32 s7, s7, s3
	s_ashr_i32 s5, s4, 31
	s_lshl_b64 s[12:13], s[4:5], 2
	s_add_u32 s18, s16, s12
	s_addc_u32 s19, s7, s13
	s_add_u32 s5, s24, s10
	s_addc_u32 s7, s25, s11
	;; [unrolled: 2-line block ×3, first 2 shown]
	s_add_u32 s2, s2, s12
	v_mov_b32_e32 v2, 0
	s_addc_u32 s3, s3, s13
	global_store_dword v2, v4, s[18:19]
	global_store_dword v2, v5, s[2:3]
.LBB231_47:
	s_or_b64 exec, exec, s[0:1]
	v_mov_b32_e32 v18, 0
	v_and_b32_e32 v86, 7, v0
	v_mov_b32_e32 v19, 0
	v_mov_b32_e32 v16, 0
	;; [unrolled: 1-line block ×13, first 2 shown]
	s_and_saveexec_b64 s[2:3], s[8:9]
	s_cbranch_execz .LBB231_81
; %bb.48:
	s_sub_i32 s5, s50, s21
	s_ashr_i32 s1, s51, 31
	s_add_u32 s0, s40, s51
	s_addc_u32 s1, s41, s1
	s_abs_i32 s7, s22
	v_cvt_f32_u32_e32 v2, s7
	s_sub_i32 s8, 0, s7
	v_and_b32_e32 v6, 0xfc, v58
	v_mov_b32_e32 v7, 0
	v_rcp_iflag_f32_e32 v2, v2
	s_add_i32 s49, s49, -1
	v_lshl_add_u64 v[20:21], s[0:1], 0, v[6:7]
	s_lshl_b64 s[0:1], s[38:39], 2
	v_mul_f32_e32 v2, 0x4f7ffffe, v2
	v_cvt_u32_f32_e32 v2, v2
	s_add_u32 s0, s36, s0
	s_addc_u32 s1, s37, s1
	v_and_b32_e32 v87, 28, v58
	v_mul_lo_u32 v3, s8, v2
	v_mul_hi_u32 v3, v2, v3
	v_add_u32_e32 v88, v2, v3
	v_lshlrev_b32_e32 v2, 4, v86
	v_lshl_or_b32 v2, v59, 7, v2
	s_mov_b32 s18, s17
	v_lshl_add_u64 v[22:23], v[50:51], 2, s[0:1]
	v_add_u32_e32 v51, 0x1d0, v2
	s_mov_b64 s[8:9], 0
	v_mov_b32_e32 v6, v7
	v_mov_b32_e32 v9, v7
	;; [unrolled: 1-line block ×13, first 2 shown]
	s_branch .LBB231_51
.LBB231_49:                             ;   in Loop: Header=BB231_51 Depth=1
	s_or_b64 exec, exec, s[0:1]
	v_mul_f32_e32 v81, v3, v81
	v_mul_f32_e32 v77, v3, v77
	;; [unrolled: 1-line block ×14, first 2 shown]
	v_fmac_f32_e32 v81, v2, v80
	v_fmac_f32_e32 v77, v2, v76
	;; [unrolled: 1-line block ×42, first 2 shown]
	v_add_f32_e32 v6, v6, v81
	v_add_f32_e32 v9, v9, v77
	;; [unrolled: 1-line block ×14, first 2 shown]
.LBB231_50:                             ;   in Loop: Header=BB231_51 Depth=1
	s_or_b64 exec, exec, s[10:11]
	v_add_u32_e32 v50, 2, v50
	v_cmp_le_i32_e32 vcc, s48, v50
	v_lshl_add_u64 v[22:23], v[22:23], 0, 8
	v_add_u32_e32 v1, 64, v1
	s_or_b64 s[8:9], vcc, s[8:9]
	v_add_u32_e32 v51, 0x100, v51
	s_andn2_b64 exec, exec, s[8:9]
	s_cbranch_execz .LBB231_80
.LBB231_51:                             ; =>This Inner Loop Header: Depth=1
	v_sub_u32_e32 v3, 0, v1
	v_max_i32_e32 v3, v1, v3
	v_mul_hi_u32 v4, v3, s35
	v_mul_lo_u32 v5, v4, s29
	v_sub_u32_e32 v3, v3, v5
	v_add_u32_e32 v5, 1, v4
	v_cmp_le_u32_e32 vcc, s29, v3
	v_ashrrev_i32_e32 v2, 31, v1
	v_xor_b32_e32 v2, s23, v2
	v_cndmask_b32_e32 v4, v4, v5, vcc
	v_subrev_u32_e32 v5, s29, v3
	v_cndmask_b32_e32 v3, v3, v5, vcc
	v_add_u32_e32 v5, 1, v4
	v_cmp_le_u32_e32 vcc, s29, v3
	s_nop 1
	v_cndmask_b32_e32 v3, v4, v5, vcc
	v_xor_b32_e32 v3, v3, v2
	v_sub_u32_e32 v2, v3, v2
	v_add_u32_e32 v3, s42, v2
	v_sub_u32_e32 v5, 0, v3
	v_ashrrev_i32_e32 v4, 31, v3
	v_max_i32_e32 v3, v3, v5
	v_mul_hi_u32 v5, v3, v88
	v_mul_lo_u32 v5, v5, s7
	v_sub_u32_e32 v3, v3, v5
	v_subrev_u32_e32 v5, s7, v3
	v_cmp_le_u32_e32 vcc, s7, v3
	v_cmp_lt_i32_e64 s[0:1], s5, v2
	s_nop 0
	v_cndmask_b32_e32 v3, v3, v5, vcc
	v_subrev_u32_e32 v5, s7, v3
	v_cmp_le_u32_e32 vcc, s7, v3
	s_nop 1
	v_cndmask_b32_e32 v3, v3, v5, vcc
	v_xor_b32_e32 v3, v3, v4
	v_sub_u32_e32 v3, v3, v4
	v_cmp_eq_u32_e32 vcc, 0, v3
	s_or_b64 s[0:1], vcc, s[0:1]
	s_and_saveexec_b64 s[10:11], s[0:1]
	s_cbranch_execz .LBB231_50
; %bb.52:                               ;   in Loop: Header=BB231_51 Depth=1
	global_load_dword v2, v[22:23], off
	s_load_dword s12, s[14:15], 0x0
	v_add_u32_e32 v89, v87, v1
	v_cmp_eq_u32_e32 vcc, s49, v50
	v_add_u32_e32 v91, 1, v89
	v_add_u32_e32 v90, 2, v89
	;; [unrolled: 1-line block ×3, first 2 shown]
	s_waitcnt vmcnt(0)
	v_mad_i64_i32 v[36:37], s[0:1], v2, s18, v[20:21]
	global_load_dword v24, v[36:37], off
	ds_read_b128 v[2:5], v51
	s_waitcnt vmcnt(0)
	v_and_b32_e32 v25, 0xffff, v24
	v_lshrrev_b32_e32 v26, 16, v24
	v_cvt_pk_f32_fp8_e32 v[24:25], v25
	v_cvt_pk_f32_fp8_e32 v[28:29], v26
	s_waitcnt lgkmcnt(0)
	v_pk_mul_f32 v[26:27], s[12:13], v[24:25] op_sel_hi:[0,1]
	v_pk_mul_f32 v[24:25], s[12:13], v[28:29] op_sel_hi:[0,1]
	s_and_saveexec_b64 s[16:17], vcc
; %bb.53:                               ;   in Loop: Header=BB231_51 Depth=1
	v_cmp_gt_i32_e64 s[0:1], s33, v89
	s_nop 1
	v_cndmask_b32_e64 v26, 0, v26, s[0:1]
	v_cmp_gt_i32_e64 s[0:1], s33, v91
	s_nop 1
	v_cndmask_b32_e64 v27, 0, v27, s[0:1]
	;; [unrolled: 3-line block ×4, first 2 shown]
; %bb.54:                               ;   in Loop: Header=BB231_51 Depth=1
	s_or_b64 exec, exec, s[16:17]
	global_load_dword v28, v[36:37], off offset:256
	s_mov_b32 s13, s12
	s_waitcnt vmcnt(0)
	v_and_b32_e32 v29, 0xffff, v28
	v_lshrrev_b32_e32 v30, 16, v28
	v_cvt_pk_f32_fp8_e32 v[28:29], v29
	v_cvt_pk_f32_fp8_e32 v[32:33], v30
	v_pk_mul_f32 v[30:31], s[12:13], v[28:29]
	v_pk_mul_f32 v[28:29], s[12:13], v[32:33]
	s_and_saveexec_b64 s[16:17], vcc
; %bb.55:                               ;   in Loop: Header=BB231_51 Depth=1
	v_cmp_gt_i32_e64 s[0:1], s33, v89
	s_nop 1
	v_cndmask_b32_e64 v30, 0, v30, s[0:1]
	v_cmp_gt_i32_e64 s[0:1], s33, v91
	s_nop 1
	v_cndmask_b32_e64 v31, 0, v31, s[0:1]
	v_cmp_gt_i32_e64 s[0:1], s33, v90
	s_nop 1
	v_cndmask_b32_e64 v28, 0, v28, s[0:1]
	v_cmp_gt_i32_e64 s[0:1], s33, v92
	s_nop 1
	v_cndmask_b32_e64 v29, 0, v29, s[0:1]
; %bb.56:                               ;   in Loop: Header=BB231_51 Depth=1
	s_or_b64 exec, exec, s[16:17]
	global_load_dword v32, v[36:37], off offset:512
	s_waitcnt vmcnt(0)
	v_and_b32_e32 v33, 0xffff, v32
	v_lshrrev_b32_e32 v34, 16, v32
	v_cvt_pk_f32_fp8_e32 v[32:33], v33
	v_cvt_pk_f32_fp8_e32 v[38:39], v34
	v_pk_mul_f32 v[34:35], s[12:13], v[32:33]
	v_pk_mul_f32 v[32:33], s[12:13], v[38:39]
	s_and_saveexec_b64 s[16:17], vcc
; %bb.57:                               ;   in Loop: Header=BB231_51 Depth=1
	v_cmp_gt_i32_e64 s[0:1], s33, v89
	s_nop 1
	v_cndmask_b32_e64 v34, 0, v34, s[0:1]
	v_cmp_gt_i32_e64 s[0:1], s33, v91
	s_nop 1
	v_cndmask_b32_e64 v35, 0, v35, s[0:1]
	v_cmp_gt_i32_e64 s[0:1], s33, v90
	s_nop 1
	v_cndmask_b32_e64 v32, 0, v32, s[0:1]
	v_cmp_gt_i32_e64 s[0:1], s33, v92
	s_nop 1
	v_cndmask_b32_e64 v33, 0, v33, s[0:1]
; %bb.58:                               ;   in Loop: Header=BB231_51 Depth=1
	s_or_b64 exec, exec, s[16:17]
	global_load_dword v38, v[36:37], off offset:768
	;; [unrolled: 24-line block ×12, first 2 shown]
	s_waitcnt vmcnt(0)
	v_and_b32_e32 v37, 0xffff, v36
	v_lshrrev_b32_e32 v72, 16, v36
	v_cvt_pk_f32_fp8_e32 v[36:37], v37
	v_cvt_pk_f32_fp8_e32 v[94:95], v72
	v_pk_mul_f32 v[72:73], s[12:13], v[36:37]
	v_pk_mul_f32 v[36:37], s[12:13], v[94:95]
	s_and_saveexec_b64 s[0:1], vcc
	s_cbranch_execz .LBB231_49
; %bb.79:                               ;   in Loop: Header=BB231_51 Depth=1
	v_cmp_gt_i32_e32 vcc, s33, v89
	s_nop 1
	v_cndmask_b32_e32 v72, 0, v72, vcc
	v_cmp_gt_i32_e32 vcc, s33, v91
	s_nop 1
	v_cndmask_b32_e32 v73, 0, v73, vcc
	;; [unrolled: 3-line block ×4, first 2 shown]
	s_branch .LBB231_49
.LBB231_80:
	s_or_b64 exec, exec, s[8:9]
.LBB231_81:
	s_or_b64 exec, exec, s[2:3]
	ds_bpermute_b32 v2, v84, v18
	ds_bpermute_b32 v3, v84, v19
	;; [unrolled: 1-line block ×6, first 2 shown]
	s_waitcnt lgkmcnt(4)
	v_pk_add_f32 v[2:3], v[18:19], v[2:3]
	ds_bpermute_b32 v18, v83, v2
	s_waitcnt lgkmcnt(3)
	v_pk_add_f32 v[4:5], v[16:17], v[4:5]
	ds_bpermute_b32 v19, v83, v3
	ds_bpermute_b32 v16, v83, v4
	;; [unrolled: 1-line block ×3, first 2 shown]
	s_waitcnt lgkmcnt(4)
	v_pk_add_f32 v[14:15], v[14:15], v[20:21]
	ds_bpermute_b32 v20, v83, v14
	s_waitcnt lgkmcnt(3)
	v_pk_add_f32 v[2:3], v[2:3], v[18:19]
	ds_bpermute_b32 v18, v85, v2
	;; [unrolled: 3-line block ×3, first 2 shown]
	ds_bpermute_b32 v22, v85, v16
	ds_bpermute_b32 v23, v85, v17
	;; [unrolled: 1-line block ×3, first 2 shown]
	v_and_b32_e32 v1, 0x3c7, v0
	s_waitcnt lgkmcnt(3)
	v_pk_add_f32 v[4:5], v[2:3], v[18:19]
	v_cmp_ne_u32_e32 vcc, 64, v1
	s_waitcnt lgkmcnt(1)
	v_pk_add_f32 v[2:3], v[16:17], v[22:23]
	ds_bpermute_b32 v16, v84, v12
	ds_bpermute_b32 v17, v84, v13
	s_waitcnt lgkmcnt(2)
	v_pk_add_f32 v[14:15], v[14:15], v[20:21]
	ds_bpermute_b32 v20, v84, v10
	ds_bpermute_b32 v21, v84, v11
	;; [unrolled: 1-line block ×3, first 2 shown]
	s_waitcnt lgkmcnt(3)
	v_pk_add_f32 v[12:13], v[12:13], v[16:17]
	ds_bpermute_b32 v16, v83, v12
	ds_bpermute_b32 v17, v83, v13
	s_waitcnt lgkmcnt(3)
	v_pk_add_f32 v[10:11], v[10:11], v[20:21]
	ds_bpermute_b32 v23, v84, v9
	ds_bpermute_b32 v20, v83, v10
	;; [unrolled: 1-line block ×3, first 2 shown]
	s_waitcnt lgkmcnt(3)
	v_pk_add_f32 v[16:17], v[12:13], v[16:17]
	ds_bpermute_b32 v12, v84, v6
	ds_bpermute_b32 v13, v84, v7
	s_waitcnt lgkmcnt(4)
	v_pk_add_f32 v[8:9], v[8:9], v[22:23]
	s_waitcnt lgkmcnt(2)
	v_pk_add_f32 v[20:21], v[10:11], v[20:21]
	ds_bpermute_b32 v10, v83, v8
	ds_bpermute_b32 v11, v83, v9
	s_waitcnt lgkmcnt(2)
	v_pk_add_f32 v[30:31], v[6:7], v[12:13]
	ds_bpermute_b32 v18, v85, v14
	ds_bpermute_b32 v19, v85, v15
	;; [unrolled: 1-line block ×6, first 2 shown]
	s_waitcnt lgkmcnt(6)
	v_pk_add_f32 v[26:27], v[8:9], v[10:11]
	ds_bpermute_b32 v22, v85, v20
	ds_bpermute_b32 v23, v85, v21
	;; [unrolled: 1-line block ×4, first 2 shown]
	s_waitcnt lgkmcnt(8)
	v_pk_add_f32 v[12:13], v[14:15], v[18:19]
	s_waitcnt lgkmcnt(6)
	v_pk_add_f32 v[14:15], v[30:31], v[32:33]
	;; [unrolled: 2-line block ×3, first 2 shown]
	ds_bpermute_b32 v16, v85, v14
	ds_bpermute_b32 v17, v85, v15
	s_waitcnt lgkmcnt(4)
	v_pk_add_f32 v[8:9], v[20:21], v[22:23]
	s_waitcnt lgkmcnt(2)
	v_pk_add_f32 v[6:7], v[26:27], v[28:29]
	s_waitcnt lgkmcnt(0)
	s_barrier
	s_and_saveexec_b64 s[0:1], vcc
	s_xor_b64 s[0:1], exec, s[0:1]
; %bb.82:
                                        ; implicit-def: $vgpr82
; %bb.83:
	s_or_saveexec_b64 s[0:1], s[0:1]
	v_pk_add_f32 v[14:15], v[14:15], v[16:17]
	s_xor_b64 exec, exec, s[0:1]
	s_cbranch_execz .LBB231_85
; %bb.84:
	v_lshrrev_b32_e32 v16, 1, v82
	v_add_u32_e32 v16, 0x1d0, v16
	ds_write2_b32 v16, v4, v5 offset1:8
	ds_write2_b32 v16, v2, v3 offset0:16 offset1:24
	ds_write2_b32 v16, v12, v13 offset0:32 offset1:40
	;; [unrolled: 1-line block ×6, first 2 shown]
.LBB231_85:
	s_or_b64 exec, exec, s[0:1]
	v_cmp_gt_u32_e32 vcc, 64, v0
	s_waitcnt lgkmcnt(0)
	s_barrier
	s_and_saveexec_b64 s[0:1], vcc
	s_cbranch_execz .LBB231_102
; %bb.86:
	v_cmp_eq_u32_e32 vcc, 0, v86
	v_lshrrev_b32_e32 v16, 3, v0
	s_and_saveexec_b64 s[2:3], vcc
	s_cbranch_execnz .LBB231_105
; %bb.87:
	s_or_b64 exec, exec, s[2:3]
	s_and_saveexec_b64 s[2:3], vcc
	s_cbranch_execnz .LBB231_106
.LBB231_88:
	s_or_b64 exec, exec, s[2:3]
	s_and_saveexec_b64 s[2:3], vcc
	s_cbranch_execnz .LBB231_107
.LBB231_89:
	s_or_b64 exec, exec, s[2:3]
	s_and_saveexec_b64 s[2:3], vcc
	s_cbranch_execnz .LBB231_108
.LBB231_90:
	s_or_b64 exec, exec, s[2:3]
	s_and_saveexec_b64 s[2:3], vcc
	s_cbranch_execnz .LBB231_109
.LBB231_91:
	s_or_b64 exec, exec, s[2:3]
	s_and_saveexec_b64 s[2:3], vcc
	s_cbranch_execnz .LBB231_110
.LBB231_92:
	s_or_b64 exec, exec, s[2:3]
	s_and_saveexec_b64 s[2:3], vcc
	s_cbranch_execnz .LBB231_111
.LBB231_93:
	s_or_b64 exec, exec, s[2:3]
	s_and_saveexec_b64 s[2:3], vcc
	s_cbranch_execnz .LBB231_112
.LBB231_94:
	s_or_b64 exec, exec, s[2:3]
	s_and_saveexec_b64 s[2:3], vcc
	s_cbranch_execnz .LBB231_113
.LBB231_95:
	s_or_b64 exec, exec, s[2:3]
	s_and_saveexec_b64 s[2:3], vcc
	s_cbranch_execnz .LBB231_114
.LBB231_96:
	s_or_b64 exec, exec, s[2:3]
	s_and_saveexec_b64 s[2:3], vcc
	s_cbranch_execnz .LBB231_115
.LBB231_97:
	s_or_b64 exec, exec, s[2:3]
	s_and_saveexec_b64 s[2:3], vcc
	s_cbranch_execnz .LBB231_116
.LBB231_98:
	s_or_b64 exec, exec, s[2:3]
	s_and_saveexec_b64 s[2:3], vcc
	s_cbranch_execnz .LBB231_117
.LBB231_99:
	s_or_b64 exec, exec, s[2:3]
	s_and_saveexec_b64 s[2:3], vcc
	s_cbranch_execz .LBB231_101
.LBB231_100:
	v_mov_b32_e32 v17, 0x1d0
	v_lshl_add_u32 v16, v16, 2, v17
	ds_read_b32 v16, v16 offset:416
	s_waitcnt lgkmcnt(0)
	v_add_f32_e32 v15, v15, v16
.LBB231_101:
	s_or_b64 exec, exec, s[2:3]
.LBB231_102:
	s_or_b64 exec, exec, s[0:1]
	v_cmp_eq_u32_e32 vcc, 0, v1
	s_barrier
	s_and_saveexec_b64 s[0:1], vcc
	s_cbranch_execz .LBB231_104
; %bb.103:
	s_mul_i32 s0, s6, 0x70
	s_ashr_i32 s1, s0, 31
	s_lshl_b64 s[0:1], s[0:1], 2
	s_add_u32 s2, s30, s0
	s_mul_i32 s0, s20, s28
	s_addc_u32 s3, s31, s1
	s_ashr_i32 s1, s0, 31
	s_lshl_b64 s[0:1], s[0:1], 2
	s_add_u32 s2, s2, s0
	s_mul_i32 s0, s4, 0x70
	s_addc_u32 s3, s3, s1
	s_ashr_i32 s1, s0, 31
	s_lshl_b64 s[0:1], s[0:1], 2
	s_add_u32 s0, s2, s0
	s_addc_u32 s1, s3, s1
	v_lshrrev_b32_e32 v0, 1, v0
	global_store_dword v0, v4, s[0:1]
	global_store_dword v0, v5, s[0:1] offset:32
	global_store_dword v0, v2, s[0:1] offset:64
	;; [unrolled: 1-line block ×13, first 2 shown]
.LBB231_104:
	s_endpgm
.LBB231_105:
	v_mov_b32_e32 v17, 0x1d0
	v_lshl_add_u32 v17, v16, 2, v17
	ds_read_b32 v17, v17
	s_waitcnt lgkmcnt(0)
	v_add_f32_e32 v4, v4, v17
	s_or_b64 exec, exec, s[2:3]
	s_and_saveexec_b64 s[2:3], vcc
	s_cbranch_execz .LBB231_88
.LBB231_106:
	v_mov_b32_e32 v17, 0x1d0
	v_lshl_add_u32 v17, v16, 2, v17
	ds_read_b32 v17, v17 offset:32
	s_waitcnt lgkmcnt(0)
	v_add_f32_e32 v5, v5, v17
	s_or_b64 exec, exec, s[2:3]
	s_and_saveexec_b64 s[2:3], vcc
	s_cbranch_execz .LBB231_89
.LBB231_107:
	v_mov_b32_e32 v17, 0x1d0
	v_lshl_add_u32 v17, v16, 2, v17
	ds_read_b32 v17, v17 offset:64
	s_waitcnt lgkmcnt(0)
	v_add_f32_e32 v2, v2, v17
	s_or_b64 exec, exec, s[2:3]
	s_and_saveexec_b64 s[2:3], vcc
	s_cbranch_execz .LBB231_90
.LBB231_108:
	v_mov_b32_e32 v17, 0x1d0
	v_lshl_add_u32 v17, v16, 2, v17
	ds_read_b32 v17, v17 offset:96
	s_waitcnt lgkmcnt(0)
	v_add_f32_e32 v3, v3, v17
	s_or_b64 exec, exec, s[2:3]
	s_and_saveexec_b64 s[2:3], vcc
	s_cbranch_execz .LBB231_91
.LBB231_109:
	v_mov_b32_e32 v17, 0x1d0
	v_lshl_add_u32 v17, v16, 2, v17
	ds_read_b32 v17, v17 offset:128
	s_waitcnt lgkmcnt(0)
	v_add_f32_e32 v12, v12, v17
	s_or_b64 exec, exec, s[2:3]
	s_and_saveexec_b64 s[2:3], vcc
	s_cbranch_execz .LBB231_92
.LBB231_110:
	v_mov_b32_e32 v17, 0x1d0
	v_lshl_add_u32 v17, v16, 2, v17
	ds_read_b32 v17, v17 offset:160
	s_waitcnt lgkmcnt(0)
	v_add_f32_e32 v13, v13, v17
	s_or_b64 exec, exec, s[2:3]
	s_and_saveexec_b64 s[2:3], vcc
	s_cbranch_execz .LBB231_93
.LBB231_111:
	v_mov_b32_e32 v17, 0x1d0
	v_lshl_add_u32 v17, v16, 2, v17
	ds_read_b32 v17, v17 offset:192
	s_waitcnt lgkmcnt(0)
	v_add_f32_e32 v10, v10, v17
	s_or_b64 exec, exec, s[2:3]
	s_and_saveexec_b64 s[2:3], vcc
	s_cbranch_execz .LBB231_94
.LBB231_112:
	v_mov_b32_e32 v17, 0x1d0
	v_lshl_add_u32 v17, v16, 2, v17
	ds_read_b32 v17, v17 offset:224
	s_waitcnt lgkmcnt(0)
	v_add_f32_e32 v11, v11, v17
	s_or_b64 exec, exec, s[2:3]
	s_and_saveexec_b64 s[2:3], vcc
	s_cbranch_execz .LBB231_95
.LBB231_113:
	v_mov_b32_e32 v17, 0x1d0
	v_lshl_add_u32 v17, v16, 2, v17
	ds_read_b32 v17, v17 offset:256
	s_waitcnt lgkmcnt(0)
	v_add_f32_e32 v8, v8, v17
	s_or_b64 exec, exec, s[2:3]
	s_and_saveexec_b64 s[2:3], vcc
	s_cbranch_execz .LBB231_96
.LBB231_114:
	v_mov_b32_e32 v17, 0x1d0
	v_lshl_add_u32 v17, v16, 2, v17
	ds_read_b32 v17, v17 offset:288
	s_waitcnt lgkmcnt(0)
	v_add_f32_e32 v9, v9, v17
	s_or_b64 exec, exec, s[2:3]
	s_and_saveexec_b64 s[2:3], vcc
	s_cbranch_execz .LBB231_97
.LBB231_115:
	v_mov_b32_e32 v17, 0x1d0
	v_lshl_add_u32 v17, v16, 2, v17
	ds_read_b32 v17, v17 offset:320
	s_waitcnt lgkmcnt(0)
	v_add_f32_e32 v6, v6, v17
	s_or_b64 exec, exec, s[2:3]
	s_and_saveexec_b64 s[2:3], vcc
	s_cbranch_execz .LBB231_98
.LBB231_116:
	v_mov_b32_e32 v17, 0x1d0
	v_lshl_add_u32 v17, v16, 2, v17
	ds_read_b32 v17, v17 offset:352
	s_waitcnt lgkmcnt(0)
	v_add_f32_e32 v7, v7, v17
	s_or_b64 exec, exec, s[2:3]
	s_and_saveexec_b64 s[2:3], vcc
	s_cbranch_execz .LBB231_99
.LBB231_117:
	v_mov_b32_e32 v17, 0x1d0
	v_lshl_add_u32 v17, v16, 2, v17
	ds_read_b32 v17, v17 offset:384
	s_waitcnt lgkmcnt(0)
	v_add_f32_e32 v14, v14, v17
	s_or_b64 exec, exec, s[2:3]
	s_and_saveexec_b64 s[2:3], vcc
	s_cbranch_execnz .LBB231_100
	s_branch .LBB231_101
	.section	.rodata,"a",@progbits
	.p2align	6, 0x0
	.amdhsa_kernel _ZN4vllm25paged_attention_v2_kernelIfhLi112ELi32ELi128ELNS_18Fp8KVCacheDataTypeE1ELb1ELi512EEEvPfS2_PT_PKS3_PKT0_S9_ifPKiSB_iPKfiiiSD_SD_iiiii
		.amdhsa_group_segment_fixed_size 464
		.amdhsa_private_segment_fixed_size 0
		.amdhsa_kernarg_size 400
		.amdhsa_user_sgpr_count 2
		.amdhsa_user_sgpr_dispatch_ptr 0
		.amdhsa_user_sgpr_queue_ptr 0
		.amdhsa_user_sgpr_kernarg_segment_ptr 1
		.amdhsa_user_sgpr_dispatch_id 0
		.amdhsa_user_sgpr_kernarg_preload_length 0
		.amdhsa_user_sgpr_kernarg_preload_offset 0
		.amdhsa_user_sgpr_private_segment_size 0
		.amdhsa_uses_dynamic_stack 0
		.amdhsa_enable_private_segment 0
		.amdhsa_system_sgpr_workgroup_id_x 1
		.amdhsa_system_sgpr_workgroup_id_y 1
		.amdhsa_system_sgpr_workgroup_id_z 1
		.amdhsa_system_sgpr_workgroup_info 0
		.amdhsa_system_vgpr_workitem_id 0
		.amdhsa_next_free_vgpr 108
		.amdhsa_next_free_sgpr 57
		.amdhsa_accum_offset 108
		.amdhsa_reserve_vcc 1
		.amdhsa_float_round_mode_32 0
		.amdhsa_float_round_mode_16_64 0
		.amdhsa_float_denorm_mode_32 3
		.amdhsa_float_denorm_mode_16_64 3
		.amdhsa_dx10_clamp 1
		.amdhsa_ieee_mode 1
		.amdhsa_fp16_overflow 0
		.amdhsa_tg_split 0
		.amdhsa_exception_fp_ieee_invalid_op 0
		.amdhsa_exception_fp_denorm_src 0
		.amdhsa_exception_fp_ieee_div_zero 0
		.amdhsa_exception_fp_ieee_overflow 0
		.amdhsa_exception_fp_ieee_underflow 0
		.amdhsa_exception_fp_ieee_inexact 0
		.amdhsa_exception_int_div_zero 0
	.end_amdhsa_kernel
	.section	.text._ZN4vllm25paged_attention_v2_kernelIfhLi112ELi32ELi128ELNS_18Fp8KVCacheDataTypeE1ELb1ELi512EEEvPfS2_PT_PKS3_PKT0_S9_ifPKiSB_iPKfiiiSD_SD_iiiii,"axG",@progbits,_ZN4vllm25paged_attention_v2_kernelIfhLi112ELi32ELi128ELNS_18Fp8KVCacheDataTypeE1ELb1ELi512EEEvPfS2_PT_PKS3_PKT0_S9_ifPKiSB_iPKfiiiSD_SD_iiiii,comdat
.Lfunc_end231:
	.size	_ZN4vllm25paged_attention_v2_kernelIfhLi112ELi32ELi128ELNS_18Fp8KVCacheDataTypeE1ELb1ELi512EEEvPfS2_PT_PKS3_PKT0_S9_ifPKiSB_iPKfiiiSD_SD_iiiii, .Lfunc_end231-_ZN4vllm25paged_attention_v2_kernelIfhLi112ELi32ELi128ELNS_18Fp8KVCacheDataTypeE1ELb1ELi512EEEvPfS2_PT_PKS3_PKT0_S9_ifPKiSB_iPKfiiiSD_SD_iiiii
                                        ; -- End function
	.section	.AMDGPU.csdata,"",@progbits
; Kernel info:
; codeLenInByte = 8480
; NumSgprs: 63
; NumVgprs: 108
; NumAgprs: 0
; TotalNumVgprs: 108
; ScratchSize: 0
; MemoryBound: 0
; FloatMode: 240
; IeeeMode: 1
; LDSByteSize: 464 bytes/workgroup (compile time only)
; SGPRBlocks: 7
; VGPRBlocks: 13
; NumSGPRsForWavesPerEU: 63
; NumVGPRsForWavesPerEU: 108
; AccumOffset: 108
; Occupancy: 4
; WaveLimiterHint : 1
; COMPUTE_PGM_RSRC2:SCRATCH_EN: 0
; COMPUTE_PGM_RSRC2:USER_SGPR: 2
; COMPUTE_PGM_RSRC2:TRAP_HANDLER: 0
; COMPUTE_PGM_RSRC2:TGID_X_EN: 1
; COMPUTE_PGM_RSRC2:TGID_Y_EN: 1
; COMPUTE_PGM_RSRC2:TGID_Z_EN: 1
; COMPUTE_PGM_RSRC2:TIDIG_COMP_CNT: 0
; COMPUTE_PGM_RSRC3_GFX90A:ACCUM_OFFSET: 26
; COMPUTE_PGM_RSRC3_GFX90A:TG_SPLIT: 0
	.section	.text._ZN4vllm25paged_attention_v2_kernelIfhLi120ELi32ELi128ELNS_18Fp8KVCacheDataTypeE1ELb1ELi512EEEvPfS2_PT_PKS3_PKT0_S9_ifPKiSB_iPKfiiiSD_SD_iiiii,"axG",@progbits,_ZN4vllm25paged_attention_v2_kernelIfhLi120ELi32ELi128ELNS_18Fp8KVCacheDataTypeE1ELb1ELi512EEEvPfS2_PT_PKS3_PKT0_S9_ifPKiSB_iPKfiiiSD_SD_iiiii,comdat
	.protected	_ZN4vllm25paged_attention_v2_kernelIfhLi120ELi32ELi128ELNS_18Fp8KVCacheDataTypeE1ELb1ELi512EEEvPfS2_PT_PKS3_PKT0_S9_ifPKiSB_iPKfiiiSD_SD_iiiii ; -- Begin function _ZN4vllm25paged_attention_v2_kernelIfhLi120ELi32ELi128ELNS_18Fp8KVCacheDataTypeE1ELb1ELi512EEEvPfS2_PT_PKS3_PKT0_S9_ifPKiSB_iPKfiiiSD_SD_iiiii
	.globl	_ZN4vllm25paged_attention_v2_kernelIfhLi120ELi32ELi128ELNS_18Fp8KVCacheDataTypeE1ELb1ELi512EEEvPfS2_PT_PKS3_PKT0_S9_ifPKiSB_iPKfiiiSD_SD_iiiii
	.p2align	8
	.type	_ZN4vllm25paged_attention_v2_kernelIfhLi120ELi32ELi128ELNS_18Fp8KVCacheDataTypeE1ELb1ELi512EEEvPfS2_PT_PKS3_PKT0_S9_ifPKiSB_iPKfiiiSD_SD_iiiii,@function
_ZN4vllm25paged_attention_v2_kernelIfhLi120ELi32ELi128ELNS_18Fp8KVCacheDataTypeE1ELb1ELi512EEEvPfS2_PT_PKS3_PKT0_S9_ifPKiSB_iPKfiiiSD_SD_iiiii: ; @_ZN4vllm25paged_attention_v2_kernelIfhLi120ELi32ELi128ELNS_18Fp8KVCacheDataTypeE1ELb1ELi512EEEvPfS2_PT_PKS3_PKT0_S9_ifPKiSB_iPKfiiiSD_SD_iiiii
; %bb.0:
	s_load_dwordx2 s[6:7], s[0:1], 0x40
	s_mov_b32 s34, s3
	s_ashr_i32 s35, s3, 31
	s_lshl_b64 s[8:9], s[34:35], 2
	s_waitcnt lgkmcnt(0)
	s_add_u32 s6, s6, s8
	s_addc_u32 s7, s7, s9
	s_load_dword s33, s[6:7], 0x0
	s_lshl_b32 s52, s4, 9
	s_waitcnt lgkmcnt(0)
	s_cmp_ge_i32 s52, s33
	s_cbranch_scc1 .LBB232_107
; %bb.1:
	s_load_dword s5, s[0:1], 0x90
	s_load_dwordx2 s[42:43], s[0:1], 0x30
	s_waitcnt lgkmcnt(0)
	s_abs_i32 s7, s5
	s_abs_i32 s3, s42
	v_cvt_f32_u32_e32 v1, s3
	s_sub_i32 s8, 0, s3
	s_xor_b32 s6, s5, s42
	s_ashr_i32 s6, s6, 31
	v_rcp_iflag_f32_e32 v1, v1
	s_nop 0
	v_mul_f32_e32 v1, 0x4f7ffffe, v1
	v_cvt_u32_f32_e32 v1, v1
	s_nop 0
	v_readfirstlane_b32 s9, v1
	s_mul_i32 s8, s8, s9
	s_mul_hi_u32 s8, s9, s8
	s_add_i32 s9, s9, s8
	s_mul_hi_u32 s8, s7, s9
	s_mul_i32 s9, s8, s3
	s_sub_i32 s7, s7, s9
	s_add_i32 s10, s8, 1
	s_sub_i32 s9, s7, s3
	s_cmp_ge_u32 s7, s3
	s_cselect_b32 s8, s10, s8
	s_cselect_b32 s7, s9, s7
	s_add_i32 s9, s8, 1
	s_cmp_ge_u32 s7, s3
	s_cselect_b32 s3, s9, s8
	s_xor_b32 s3, s3, s6
	s_sub_i32 s12, s3, s6
	s_abs_i32 s8, s12
	v_cvt_f32_u32_e32 v1, s8
	s_load_dwordx2 s[6:7], s[0:1], 0x50
	s_sub_i32 s10, 0, s8
	s_abs_i32 s9, s2
	v_rcp_iflag_f32_e32 v1, v1
	s_mov_b32 s3, 0
	v_mul_f32_e32 v1, 0x4f7ffffe, v1
	v_cvt_u32_f32_e32 v1, v1
	s_nop 0
	v_readfirstlane_b32 s11, v1
	s_mul_i32 s10, s10, s11
	s_mul_hi_u32 s10, s11, s10
	s_add_i32 s11, s11, s10
	s_waitcnt lgkmcnt(0)
	s_cmp_eq_u64 s[6:7], 0
	s_mul_hi_u32 s10, s9, s11
	s_cbranch_scc1 .LBB232_3
; %bb.2:
	s_ashr_i32 s3, s2, 31
	s_lshl_b64 s[14:15], s[2:3], 2
	s_add_u32 s6, s6, s14
	s_addc_u32 s7, s7, s15
	s_load_dword s3, s[6:7], 0x0
.LBB232_3:
	s_load_dwordx4 s[16:19], s[0:1], 0x58
	s_ashr_i32 s11, s2, 31
	s_ashr_i32 s12, s12, 31
	v_and_b32_e32 v2, 1, v0
	s_mul_i32 s28, s2, 0x78
	v_cmp_gt_u32_e32 vcc, 60, v0
	v_lshlrev_b32_e32 v38, 2, v0
	s_and_saveexec_b64 s[6:7], vcc
	s_cbranch_execz .LBB232_5
; %bb.4:
	s_load_dwordx2 s[14:15], s[0:1], 0x18
	s_waitcnt lgkmcnt(0)
	s_mul_i32 s20, s34, s16
	s_ashr_i32 s21, s20, 31
	s_lshl_b64 s[20:21], s[20:21], 2
	v_lshlrev_b32_e32 v1, 3, v0
	s_add_u32 s13, s14, s20
	s_addc_u32 s16, s15, s21
	s_ashr_i32 s29, s28, 31
	s_lshl_b64 s[14:15], s[28:29], 2
	s_add_u32 s14, s13, s14
	s_addc_u32 s15, s16, s15
	global_load_dwordx2 v[4:5], v1, s[14:15]
	v_and_b32_e32 v1, 0xff8, v38
	s_movk_i32 s13, 0xf0
	v_mad_u32_u24 v1, v2, s13, v1
	s_waitcnt vmcnt(0)
	ds_write_b64 v1, v[4:5]
.LBB232_5:
	s_or_b64 exec, exec, s[6:7]
	s_mul_i32 s7, s10, s8
	s_sub_i32 s7, s9, s7
	s_xor_b32 s6, s11, s12
	s_add_i32 s9, s10, 1
	s_sub_i32 s11, s7, s8
	s_load_dwordx4 s[20:23], s[0:1], 0x78
	s_cmp_ge_u32 s7, s8
	s_cselect_b32 s9, s9, s10
	s_cselect_b32 s7, s11, s7
	s_add_i32 s10, s9, 1
	s_cmp_ge_u32 s7, s8
	s_cselect_b32 s7, s10, s9
	s_load_dword s10, s[0:1], 0x88
	s_waitcnt lgkmcnt(0)
	s_abs_i32 s29, s23
	v_cvt_f32_u32_e32 v1, s29
	s_xor_b32 s7, s7, s6
	s_sub_i32 s51, s7, s6
	s_sub_i32 s6, 0, s29
	v_rcp_iflag_f32_e32 v1, v1
	s_add_i32 s11, s33, -1
	s_abs_i32 s8, s11
	v_mul_f32_e32 v1, 0x4f7ffffe, v1
	v_cvt_u32_f32_e32 v1, v1
	s_barrier
	v_readfirstlane_b32 s35, v1
	s_mul_i32 s6, s6, s35
	s_mul_hi_u32 s6, s35, s6
	s_add_i32 s35, s35, s6
	s_cmp_lt_i32 s10, 0
	s_mul_hi_u32 s9, s8, s35
	s_cbranch_scc0 .LBB232_7
; %bb.6:
	s_mul_i32 s6, s20, s42
	s_add_i32 s6, s51, s6
	s_mul_i32 s6, s6, s10
	s_sub_i32 s42, 1, s6
	s_mov_b64 s[6:7], 0
	s_branch .LBB232_8
.LBB232_7:
	s_mov_b64 s[6:7], -1
                                        ; implicit-def: $sgpr42
.LBB232_8:
	s_load_dwordx2 s[36:37], s[0:1], 0x38
	s_ashr_i32 s11, s11, 31
	s_andn2_b64 vcc, exec, s[6:7]
	s_ashr_i32 s23, s23, 31
	s_cbranch_vccnz .LBB232_10
; %bb.9:
	s_mul_i32 s6, s5, s20
	s_add_i32 s6, s6, s2
	s_mul_i32 s6, s6, s10
	s_add_i32 s42, s6, 1
.LBB232_10:
	s_load_dwordx2 s[40:41], s[0:1], 0x28
	s_load_dword s6, s[0:1], 0x48
	s_load_dwordx4 s[24:27], s[0:1], 0x0
	s_load_dwordx2 s[30:31], s[0:1], 0x10
	s_load_dword s20, s[0:1], 0x98
	s_load_dwordx4 s[12:15], s[0:1], 0x68
	s_mul_i32 s7, s9, s29
	s_waitcnt lgkmcnt(0)
	s_mul_i32 s38, s34, s6
	s_sub_i32 s7, s8, s7
	s_ashr_i32 s39, s38, 31
	s_xor_b32 s6, s11, s23
	s_add_i32 s8, s9, 1
	s_sub_i32 s10, s7, s29
	s_cmp_ge_u32 s7, s29
	s_cselect_b32 s8, s8, s9
	s_cselect_b32 s7, s10, s7
	s_add_i32 s9, s8, 1
	s_cmp_ge_u32 s7, s29
	s_cselect_b32 s7, s9, s8
	s_xor_b32 s7, s7, s6
	s_sub_i32 s50, s7, s6
	s_add_i32 s6, s33, 31
	s_ashr_i32 s7, s6, 31
	s_lshr_b32 s7, s7, 27
	s_add_i32 s6, s6, s7
	s_lshl_b32 s53, s4, 4
	s_ashr_i32 s49, s6, 5
	s_add_i32 s6, s53, 16
	v_lshrrev_b32_e32 v39, 6, v0
	s_min_i32 s48, s6, s49
	v_or_b32_e32 v30, s53, v39
	v_cmp_gt_i32_e64 s[8:9], s48, v30
	v_mov_b32_e32 v43, 0xff7fffff
	s_mul_i32 s51, s51, s18
	v_ashrrev_i32_e32 v31, 31, v30
	v_lshl_add_u32 v1, v39, 5, s52
	v_mbcnt_lo_u32_b32 v40, -1, 0
	s_and_saveexec_b64 s[18:19], s[8:9]
	s_cbranch_execz .LBB232_20
; %bb.11:
	s_load_dwordx2 s[0:1], s[0:1], 0x20
	s_sub_i32 s54, s50, s21
	s_ashr_i32 s6, s51, 31
	v_bfe_u32 v41, v0, 1, 5
	v_mov_b32_e32 v33, 0
	s_waitcnt lgkmcnt(0)
	s_add_u32 s0, s0, s51
	s_addc_u32 s1, s1, s6
	s_abs_i32 s55, s22
	v_cvt_f32_u32_e32 v3, s55
	v_lshlrev_b32_e32 v32, 4, v41
	v_lshl_add_u64 v[34:35], s[0:1], 0, v[32:33]
	s_sub_i32 s0, 0, s55
	v_rcp_iflag_f32_e32 v3, v3
	v_cmp_eq_u32_e32 vcc, 0, v2
	v_mul_u32_u24_e32 v42, 0xf0, v2
	v_lshlrev_b32_e32 v32, 1, v2
	v_mul_f32_e32 v3, 0x4f7ffffe, v3
	v_cvt_u32_f32_e32 v3, v3
	v_mbcnt_hi_u32_b32 v49, -1, v40
	s_mov_b32 s56, s17
	v_cmp_neq_f32_e64 s[6:7], s3, 0
	v_mul_lo_u32 v2, s0, v3
	v_mul_hi_u32 v2, v3, v2
	v_add_u32_e32 v44, v3, v2
	v_lshlrev_b32_e32 v2, 2, v41
	s_lshl_b64 s[0:1], s[38:39], 2
	v_lshl_or_b32 v2, v39, 7, v2
	s_add_u32 s0, s36, s0
	v_add_u32_e32 v46, 0x1f0, v2
	v_subrev_u32_e32 v2, s33, v41
	s_addc_u32 s1, s37, s1
	v_add_u32_e32 v47, 1, v2
	v_and_b32_e32 v2, 64, v49
	v_lshl_add_u64 v[36:37], v[30:31], 2, s[0:1]
	v_lshl_add_u32 v45, v39, 5, s52
	s_mov_b64 s[44:45], 0
	v_mov_b32_e32 v48, 0xff7fffff
	v_xor_b32_e32 v50, 1, v49
	v_add_u32_e32 v51, 64, v2
	v_mov_b32_e32 v43, 0xff7fffff
	v_mov_b32_e32 v52, v30
	s_branch .LBB232_14
.LBB232_12:                             ;   in Loop: Header=BB232_14 Depth=1
	s_or_b64 exec, exec, s[46:47]
.LBB232_13:                             ;   in Loop: Header=BB232_14 Depth=1
	s_or_b64 exec, exec, s[10:11]
	v_add_u32_e32 v52, 2, v52
	v_cmp_le_i32_e64 s[0:1], s48, v52
	v_lshl_add_u64 v[36:37], v[36:37], 0, 8
	v_add_u32_e32 v45, 64, v45
	s_or_b64 s[44:45], s[0:1], s[44:45]
	v_add_u32_e32 v46, 0x100, v46
	s_andn2_b64 exec, exec, s[44:45]
	s_cbranch_execz .LBB232_19
.LBB232_14:                             ; =>This Inner Loop Header: Depth=1
	s_waitcnt lgkmcnt(0)
	v_sub_u32_e32 v3, 0, v45
	v_max_i32_e32 v3, v45, v3
	v_mul_hi_u32 v4, v3, s35
	v_mul_lo_u32 v5, v4, s29
	v_sub_u32_e32 v3, v3, v5
	v_add_u32_e32 v5, 1, v4
	v_cmp_le_u32_e64 s[0:1], s29, v3
	v_ashrrev_i32_e32 v2, 31, v45
	v_xor_b32_e32 v2, s23, v2
	v_cndmask_b32_e64 v4, v4, v5, s[0:1]
	v_subrev_u32_e32 v5, s29, v3
	v_cndmask_b32_e64 v3, v3, v5, s[0:1]
	v_add_u32_e32 v5, 1, v4
	v_cmp_le_u32_e64 s[0:1], s29, v3
	s_nop 1
	v_cndmask_b32_e64 v3, v4, v5, s[0:1]
	v_xor_b32_e32 v3, v3, v2
	v_sub_u32_e32 v2, v3, v2
	v_add_u32_e32 v3, s42, v2
	v_sub_u32_e32 v5, 0, v3
	v_ashrrev_i32_e32 v4, 31, v3
	v_max_i32_e32 v3, v3, v5
	v_mul_hi_u32 v5, v3, v44
	v_mul_lo_u32 v5, v5, s55
	v_sub_u32_e32 v3, v3, v5
	v_subrev_u32_e32 v5, s55, v3
	v_cmp_le_u32_e64 s[0:1], s55, v3
	v_cmp_ge_i32_e64 s[10:11], s54, v2
	s_nop 0
	v_cndmask_b32_e64 v3, v3, v5, s[0:1]
	v_subrev_u32_e32 v5, s55, v3
	v_cmp_le_u32_e64 s[0:1], s55, v3
	s_nop 1
	v_cndmask_b32_e64 v3, v3, v5, s[0:1]
	v_xor_b32_e32 v3, v3, v4
	v_sub_u32_e32 v3, v3, v4
	v_cmp_ne_u32_e64 s[0:1], 0, v3
	s_and_b64 s[0:1], s[0:1], s[10:11]
	s_and_b64 s[46:47], vcc, s[0:1]
	s_and_saveexec_b64 s[10:11], s[46:47]
	s_cbranch_execz .LBB232_16
; %bb.15:                               ;   in Loop: Header=BB232_14 Depth=1
	ds_write_b32 v46, v48
.LBB232_16:                             ;   in Loop: Header=BB232_14 Depth=1
	s_or_b64 exec, exec, s[10:11]
	s_xor_b64 s[0:1], s[0:1], -1
	s_and_saveexec_b64 s[10:11], s[0:1]
	s_cbranch_execz .LBB232_13
; %bb.17:                               ;   in Loop: Header=BB232_14 Depth=1
	global_load_dword v2, v[36:37], off
	s_waitcnt vmcnt(0)
	v_mad_i64_i32 v[2:3], s[0:1], v2, s56, v[34:35]
	v_lshl_add_u64 v[6:7], v[2:3], 0, v[32:33]
	global_load_ushort v20, v[6:7], off offset:4
	global_load_ushort v22, v[6:7], off
	global_load_ushort v24, v[6:7], off offset:8
	global_load_ushort v25, v[6:7], off offset:12
	;; [unrolled: 1-line block ×14, first 2 shown]
	ds_read_b128 v[8:11], v42
	ds_read_b128 v[12:15], v42 offset:16
	ds_read_b128 v[16:19], v42 offset:32
	;; [unrolled: 1-line block ×3, first 2 shown]
	s_load_dword s16, s[12:13], 0x0
	global_load_ushort v56, v[6:7], off offset:2048
	global_load_ushort v58, v[6:7], off offset:2052
	;; [unrolled: 1-line block ×13, first 2 shown]
	v_cmp_lt_i32_e64 s[0:1], v50, v51
	s_waitcnt vmcnt(28)
	v_cvt_pk_f32_fp8_e32 v[20:21], v20
	s_waitcnt vmcnt(27)
	v_cvt_pk_f32_fp8_e32 v[22:23], v22
	s_waitcnt lgkmcnt(0)
	v_pk_mul_f32 v[20:21], s[16:17], v[20:21] op_sel_hi:[0,1]
	v_mul_f32_e32 v53, v10, v20
	v_mul_f32_e32 v54, v11, v21
	s_waitcnt vmcnt(26)
	v_cvt_pk_f32_fp8_e32 v[10:11], v24
	v_pk_mul_f32 v[20:21], s[16:17], v[22:23] op_sel_hi:[0,1]
	v_fmac_f32_e32 v53, v8, v20
	v_fmac_f32_e32 v54, v9, v21
	s_waitcnt vmcnt(25)
	v_cvt_pk_f32_fp8_e32 v[8:9], v25
	v_pk_mul_f32 v[10:11], s[16:17], v[10:11] op_sel_hi:[0,1]
	v_fmac_f32_e32 v53, v12, v10
	v_fmac_f32_e32 v54, v13, v11
	v_pk_mul_f32 v[8:9], s[16:17], v[8:9] op_sel_hi:[0,1]
	v_fmac_f32_e32 v53, v14, v8
	v_fmac_f32_e32 v54, v15, v9
	ds_read_b128 v[8:11], v42 offset:64
	ds_read_b128 v[12:15], v42 offset:80
	global_load_ushort v78, v[6:7], off offset:3588
	s_waitcnt vmcnt(25)
	v_cvt_pk_f32_fp8_e32 v[20:21], v26
	s_waitcnt vmcnt(24)
	v_cvt_pk_f32_fp8_e32 v[22:23], v27
	v_pk_mul_f32 v[6:7], s[16:17], v[20:21] op_sel_hi:[0,1]
	v_fmac_f32_e32 v53, v16, v6
	v_fmac_f32_e32 v54, v17, v7
	s_waitcnt vmcnt(23)
	v_cvt_pk_f32_fp8_e32 v[6:7], v68
	v_pk_mul_f32 v[20:21], s[16:17], v[22:23] op_sel_hi:[0,1]
	s_waitcnt vmcnt(22)
	v_cvt_pk_f32_fp8_e32 v[16:17], v69
	v_fmac_f32_e32 v53, v18, v20
	v_fmac_f32_e32 v54, v19, v21
	s_waitcnt vmcnt(21)
	v_cvt_pk_f32_fp8_e32 v[18:19], v70
	v_pk_mul_f32 v[6:7], s[16:17], v[6:7] op_sel_hi:[0,1]
	s_waitcnt vmcnt(20)
	v_cvt_pk_f32_fp8_e32 v[68:69], v71
	v_fmac_f32_e32 v53, v2, v6
	v_fmac_f32_e32 v54, v3, v7
	v_pk_mul_f32 v[2:3], s[16:17], v[16:17] op_sel_hi:[0,1]
	s_waitcnt vmcnt(19)
	v_cvt_pk_f32_fp8_e32 v[6:7], v72
	v_pk_mul_f32 v[16:17], s[16:17], v[18:19] op_sel_hi:[0,1]
	v_fmac_f32_e32 v53, v4, v2
	v_fmac_f32_e32 v54, v5, v3
	s_waitcnt lgkmcnt(1)
	v_fmac_f32_e32 v53, v8, v16
	v_fmac_f32_e32 v54, v9, v17
	s_waitcnt vmcnt(18)
	v_cvt_pk_f32_fp8_e32 v[16:17], v73
	v_pk_mul_f32 v[8:9], s[16:17], v[68:69] op_sel_hi:[0,1]
	v_pk_mul_f32 v[6:7], s[16:17], v[6:7] op_sel_hi:[0,1]
	v_fmac_f32_e32 v53, v10, v8
	v_fmac_f32_e32 v54, v11, v9
	s_waitcnt lgkmcnt(0)
	v_fmac_f32_e32 v53, v12, v6
	v_fmac_f32_e32 v54, v13, v7
	v_pk_mul_f32 v[16:17], s[16:17], v[16:17] op_sel_hi:[0,1]
	v_fmac_f32_e32 v53, v14, v16
	v_fmac_f32_e32 v54, v15, v17
	s_waitcnt vmcnt(17)
	v_cvt_pk_f32_fp8_e32 v[14:15], v74
	ds_read_b128 v[22:25], v42 offset:96
	ds_read_b128 v[26:29], v42 offset:112
	s_waitcnt vmcnt(16)
	v_cvt_pk_f32_fp8_e32 v[16:17], v75
	s_waitcnt vmcnt(15)
	v_cvt_pk_f32_fp8_e32 v[68:69], v76
	s_waitcnt vmcnt(14)
	v_cvt_pk_f32_fp8_e32 v[70:71], v77
	v_pk_mul_f32 v[14:15], s[16:17], v[14:15] op_sel_hi:[0,1]
	v_pk_mul_f32 v[16:17], s[16:17], v[16:17] op_sel_hi:[0,1]
	s_waitcnt lgkmcnt(1)
	v_fmac_f32_e32 v53, v22, v14
	v_fmac_f32_e32 v54, v23, v15
	;; [unrolled: 1-line block ×4, first 2 shown]
	v_pk_mul_f32 v[68:69], s[16:17], v[68:69] op_sel_hi:[0,1]
	v_pk_mul_f32 v[70:71], s[16:17], v[70:71] op_sel_hi:[0,1]
	s_waitcnt lgkmcnt(0)
	v_fmac_f32_e32 v53, v26, v68
	v_fmac_f32_e32 v54, v27, v69
	s_waitcnt vmcnt(13)
	v_cvt_pk_f32_fp8_e32 v[68:69], v56
	ds_read_b128 v[18:21], v42 offset:128
	ds_read_b128 v[2:5], v42 offset:144
	v_cndmask_b32_e64 v72, v49, v50, s[0:1]
	v_fmac_f32_e32 v53, v28, v70
	v_fmac_f32_e32 v54, v29, v71
	s_waitcnt vmcnt(12)
	v_cvt_pk_f32_fp8_e32 v[70:71], v58
	v_lshlrev_b32_e32 v79, 2, v72
	s_waitcnt vmcnt(11)
	v_cvt_pk_f32_fp8_e32 v[72:73], v61
	s_waitcnt vmcnt(10)
	v_cvt_pk_f32_fp8_e32 v[74:75], v64
	;; [unrolled: 2-line block ×3, first 2 shown]
	v_pk_mul_f32 v[68:69], s[16:17], v[68:69] op_sel_hi:[0,1]
	ds_read_b128 v[10:13], v42 offset:160
	ds_read_b128 v[6:9], v42 offset:176
	s_waitcnt lgkmcnt(3)
	v_fmac_f32_e32 v53, v18, v68
	v_fmac_f32_e32 v54, v19, v69
	s_waitcnt vmcnt(8)
	v_cvt_pk_f32_fp8_e32 v[18:19], v62
	v_pk_mul_f32 v[68:69], s[16:17], v[70:71] op_sel_hi:[0,1]
	s_waitcnt vmcnt(7)
	v_cvt_pk_f32_fp8_e32 v[60:61], v60
	v_fmac_f32_e32 v53, v20, v68
	v_fmac_f32_e32 v54, v21, v69
	v_pk_mul_f32 v[68:69], s[16:17], v[72:73] op_sel_hi:[0,1]
	s_waitcnt vmcnt(6)
	v_cvt_pk_f32_fp8_e32 v[20:21], v55
	s_waitcnt lgkmcnt(2)
	v_fmac_f32_e32 v53, v2, v68
	v_fmac_f32_e32 v54, v3, v69
	v_pk_mul_f32 v[68:69], s[16:17], v[74:75] op_sel_hi:[0,1]
	s_waitcnt vmcnt(5)
	v_cvt_pk_f32_fp8_e32 v[56:57], v57
	v_pk_mul_f32 v[70:71], s[16:17], v[76:77] op_sel_hi:[0,1]
	v_fmac_f32_e32 v53, v4, v68
	v_fmac_f32_e32 v54, v5, v69
	ds_read_b128 v[14:17], v42 offset:192
	ds_read_b128 v[22:25], v42 offset:208
	s_waitcnt vmcnt(4)
	v_cvt_pk_f32_fp8_e32 v[58:59], v59
	v_pk_mul_f32 v[18:19], s[16:17], v[18:19] op_sel_hi:[0,1]
	s_waitcnt lgkmcnt(3)
	v_fmac_f32_e32 v53, v10, v70
	v_fmac_f32_e32 v54, v11, v71
	s_waitcnt vmcnt(3)
	v_cvt_pk_f32_fp8_e32 v[62:63], v63
	v_pk_mul_f32 v[60:61], s[16:17], v[60:61] op_sel_hi:[0,1]
	v_fmac_f32_e32 v53, v12, v18
	v_fmac_f32_e32 v54, v13, v19
	s_waitcnt vmcnt(2)
	v_cvt_pk_f32_fp8_e32 v[64:65], v65
	v_pk_mul_f32 v[20:21], s[16:17], v[20:21] op_sel_hi:[0,1]
	s_waitcnt lgkmcnt(2)
	v_fmac_f32_e32 v53, v6, v60
	v_fmac_f32_e32 v54, v7, v61
	ds_read_b128 v[26:29], v42 offset:224
	s_waitcnt vmcnt(1)
	v_cvt_pk_f32_fp8_e32 v[66:67], v67
	v_pk_mul_f32 v[56:57], s[16:17], v[56:57] op_sel_hi:[0,1]
	v_fmac_f32_e32 v53, v8, v20
	v_fmac_f32_e32 v54, v9, v21
	s_waitcnt vmcnt(0)
	v_cvt_pk_f32_fp8_e32 v[2:3], v78
	v_pk_mul_f32 v[58:59], s[16:17], v[58:59] op_sel_hi:[0,1]
	s_waitcnt lgkmcnt(2)
	v_fmac_f32_e32 v53, v14, v56
	v_fmac_f32_e32 v54, v15, v57
	v_pk_mul_f32 v[62:63], s[16:17], v[62:63] op_sel_hi:[0,1]
	v_fmac_f32_e32 v53, v58, v16
	v_fmac_f32_e32 v54, v59, v17
	v_pk_mul_f32 v[64:65], s[16:17], v[64:65] op_sel_hi:[0,1]
	s_waitcnt lgkmcnt(1)
	v_fmac_f32_e32 v53, v62, v22
	v_fmac_f32_e32 v54, v63, v23
	v_pk_mul_f32 v[66:67], s[16:17], v[66:67] op_sel_hi:[0,1]
	v_fmac_f32_e32 v53, v64, v24
	v_fmac_f32_e32 v54, v65, v25
	v_pk_mul_f32 v[2:3], s[16:17], v[2:3] op_sel_hi:[0,1]
	s_waitcnt lgkmcnt(0)
	v_fmac_f32_e32 v53, v66, v26
	v_fmac_f32_e32 v54, v67, v27
	;; [unrolled: 1-line block ×4, first 2 shown]
	v_add_f32_e32 v2, v53, v54
	ds_bpermute_b32 v3, v79, v2
	s_and_saveexec_b64 s[46:47], vcc
	s_cbranch_execz .LBB232_12
; %bb.18:                               ;   in Loop: Header=BB232_14 Depth=1
	v_add_u32_e32 v4, v47, v45
	v_cvt_f32_i32_e32 v4, v4
	s_waitcnt lgkmcnt(0)
	v_add_f32_e32 v2, v2, v3
	v_add_u32_e32 v5, v41, v45
	v_cmp_gt_i32_e64 s[0:1], s33, v5
	v_mul_f32_e32 v3, s3, v4
	v_cndmask_b32_e64 v3, 0, v3, s[6:7]
	v_fmac_f32_e32 v3, s43, v2
	v_cndmask_b32_e64 v2, 0, v3, s[0:1]
	ds_write_b32 v46, v2
	v_max_f32_e32 v2, v43, v43
	v_max_f32_e32 v2, v2, v3
	v_cndmask_b32_e64 v43, v43, v2, s[0:1]
	s_branch .LBB232_12
.LBB232_19:
	s_or_b64 exec, exec, s[44:45]
.LBB232_20:
	s_or_b64 exec, exec, s[18:19]
	v_mbcnt_hi_u32_b32 v4, -1, v40
	v_and_b32_e32 v2, 64, v4
	v_add_u32_e32 v8, 64, v2
	v_xor_b32_e32 v2, 32, v4
	v_cmp_lt_i32_e32 vcc, v2, v8
	v_xor_b32_e32 v6, 16, v4
	v_max_f32_e32 v5, v43, v43
	v_cndmask_b32_e32 v2, v4, v2, vcc
	v_lshlrev_b32_e32 v2, 2, v2
	s_waitcnt lgkmcnt(0)
	ds_bpermute_b32 v3, v2, v43
	v_cmp_lt_i32_e32 vcc, v6, v8
	v_xor_b32_e32 v7, 8, v4
	v_xor_b32_e32 v9, 4, v4
	v_and_b32_e32 v88, 63, v0
	s_waitcnt lgkmcnt(0)
	v_max_f32_e32 v3, v3, v3
	v_max_f32_e32 v5, v5, v3
	v_cndmask_b32_e32 v3, v4, v6, vcc
	v_lshlrev_b32_e32 v3, 2, v3
	ds_bpermute_b32 v6, v3, v5
	v_cmp_lt_i32_e32 vcc, v7, v8
	s_waitcnt lgkmcnt(0)
	v_max_f32_e32 v6, v6, v6
	v_max_f32_e32 v6, v5, v6
	v_cndmask_b32_e32 v5, v4, v7, vcc
	v_lshlrev_b32_e32 v5, 2, v5
	ds_bpermute_b32 v7, v5, v6
	v_cmp_lt_i32_e32 vcc, v9, v8
	s_waitcnt lgkmcnt(0)
	v_max_f32_e32 v7, v7, v7
	v_max_f32_e32 v6, v6, v7
	v_cndmask_b32_e32 v7, v4, v9, vcc
	v_lshlrev_b32_e32 v89, 2, v7
	ds_bpermute_b32 v7, v89, v6
	v_xor_b32_e32 v9, 2, v4
	v_cmp_lt_i32_e32 vcc, v9, v8
	s_waitcnt lgkmcnt(0)
	v_max_f32_e32 v7, v7, v7
	v_max_f32_e32 v7, v6, v7
	v_cndmask_b32_e32 v6, v4, v9, vcc
	v_lshlrev_b32_e32 v90, 2, v6
	ds_bpermute_b32 v9, v90, v7
	v_cmp_eq_u32_e32 vcc, 0, v88
	v_lshlrev_b32_e32 v6, 2, v39
	s_and_saveexec_b64 s[0:1], vcc
	s_cbranch_execz .LBB232_22
; %bb.21:
	s_waitcnt lgkmcnt(0)
	v_max_f32_e32 v9, v9, v9
	v_max_f32_e32 v7, v7, v7
	;; [unrolled: 1-line block ×3, first 2 shown]
	ds_write_b32 v6, v7 offset:480
.LBB232_22:
	s_or_b64 exec, exec, s[0:1]
	v_cmp_gt_u32_e64 s[0:1], 2, v88
	s_waitcnt lgkmcnt(0)
	v_mov_b32_e32 v9, 0xff7fffff
	v_lshlrev_b32_e32 v7, 2, v88
	s_barrier
	s_and_saveexec_b64 s[6:7], s[0:1]
	s_cbranch_execz .LBB232_24
; %bb.23:
	ds_read_b32 v9, v7 offset:480
.LBB232_24:
	s_or_b64 exec, exec, s[6:7]
	v_xor_b32_e32 v10, 1, v4
	v_cmp_lt_i32_e64 s[6:7], v10, v8
	s_sub_i32 s3, s48, s53
	s_lshl_b32 s3, s3, 5
	v_cndmask_b32_e64 v8, v4, v10, s[6:7]
	v_lshlrev_b32_e32 v91, 2, v8
	s_waitcnt lgkmcnt(0)
	ds_bpermute_b32 v8, v91, v9
	v_max_f32_e32 v9, v9, v9
	v_lshlrev_b32_e32 v4, 2, v4
	s_add_i32 s3, s3, s52
	s_min_i32 s16, s3, s33
	s_waitcnt lgkmcnt(0)
	v_max_f32_e32 v8, v8, v8
	v_max_f32_e32 v9, v9, v8
	v_and_b32_e32 v8, 0x100, v4
	ds_bpermute_b32 v4, v8, v9
	s_sub_i32 s3, s16, s52
	v_cmp_gt_i32_e64 s[6:7], s3, v0
	v_mov_b32_e32 v9, 0
	s_and_saveexec_b64 s[12:13], s[6:7]
	s_cbranch_execz .LBB232_28
; %bb.25:
	v_mov_b32_e32 v9, 0x1f0
	v_lshl_add_u32 v10, v0, 2, v9
	s_mov_b64 s[18:19], 0
	v_mov_b32_e32 v9, 0
	v_mov_b32_e32 v11, v0
.LBB232_26:                             ; =>This Inner Loop Header: Depth=1
	ds_read_b32 v12, v10
	v_add_u32_e32 v11, 0x80, v11
	v_cmp_le_i32_e64 s[10:11], s3, v11
	s_or_b64 s[18:19], s[10:11], s[18:19]
	s_waitcnt lgkmcnt(0)
	v_sub_f32_e32 v12, v12, v4
	v_mul_f32_e32 v12, 0x3fb8aa3b, v12
	v_exp_f32_e32 v12, v12
	ds_write_b32 v10, v12
	v_add_f32_e32 v9, v9, v12
	v_add_u32_e32 v10, 0x200, v10
	s_andn2_b64 exec, exec, s[18:19]
	s_cbranch_execnz .LBB232_26
; %bb.27:
	s_or_b64 exec, exec, s[18:19]
.LBB232_28:
	s_or_b64 exec, exec, s[12:13]
	ds_bpermute_b32 v2, v2, v9
	s_waitcnt lgkmcnt(0)
	v_add_f32_e32 v2, v9, v2
	ds_bpermute_b32 v3, v3, v2
	s_waitcnt lgkmcnt(0)
	v_add_f32_e32 v2, v2, v3
	;; [unrolled: 3-line block ×6, first 2 shown]
	s_and_saveexec_b64 s[10:11], vcc
	s_cbranch_execz .LBB232_30
; %bb.29:
	ds_write_b32 v6, v2 offset:488
.LBB232_30:
	s_or_b64 exec, exec, s[10:11]
	s_waitcnt lgkmcnt(0)
	s_barrier
	s_and_saveexec_b64 s[10:11], s[0:1]
	s_cbranch_execz .LBB232_32
; %bb.31:
	ds_read_b32 v2, v7 offset:488
.LBB232_32:
	s_or_b64 exec, exec, s[10:11]
	s_waitcnt lgkmcnt(0)
	ds_bpermute_b32 v3, v91, v2
	s_waitcnt lgkmcnt(0)
	v_add_f32_e32 v2, v2, v3
	ds_bpermute_b32 v5, v8, v2
	s_and_saveexec_b64 s[0:1], s[6:7]
	s_cbranch_execz .LBB232_45
; %bb.33:
	s_waitcnt lgkmcnt(0)
	v_add_f32_e32 v2, 0x358637bd, v5
	v_div_scale_f32 v3, s[6:7], v2, v2, 1.0
	v_rcp_f32_e32 v6, v3
	v_div_scale_f32 v7, vcc, 1.0, v2, 1.0
	s_movk_i32 s6, 0x7f
	v_fma_f32 v8, -v3, v6, 1.0
	v_fmac_f32_e32 v6, v8, v6
	v_mul_f32_e32 v8, v7, v6
	v_fma_f32 v9, -v3, v8, v7
	v_fmac_f32_e32 v8, v9, v6
	v_fma_f32 v3, -v3, v8, v7
	v_div_fmas_f32 v3, v3, v6, v8
	v_div_fixup_f32 v2, v3, v2, 1.0
	v_xad_u32 v3, v0, -1, s16
	v_subrev_u32_e32 v6, s52, v3
	v_cmp_lt_u32_e32 vcc, s6, v6
	s_mov_b64 s[10:11], -1
	v_mov_b32_e32 v3, v0
	s_and_saveexec_b64 s[6:7], vcc
	s_cbranch_execz .LBB232_42
; %bb.34:
	v_lshrrev_b32_e32 v6, 7, v6
	v_add_u32_e32 v8, -1, v6
	v_lshrrev_b32_e32 v7, 1, v8
	v_mov_b32_e32 v3, v2
	v_add_u32_e32 v7, 1, v7
	v_cmp_lt_u32_e32 vcc, 13, v8
	v_mov_b32_e32 v10, 0
	s_and_saveexec_b64 s[10:11], vcc
	s_cbranch_execz .LBB232_38
; %bb.35:
	v_mov_b32_e32 v9, 0x1f0
	v_and_b32_e32 v8, -8, v7
	v_lshl_add_u32 v9, v0, 2, v9
	s_mov_b32 s16, 0
	s_mov_b64 s[12:13], 0
.LBB232_36:                             ; =>This Inner Loop Header: Depth=1
	ds_read2st64_b32 v[10:11], v9 offset1:2
	ds_read2st64_b32 v[12:13], v9 offset0:4 offset1:6
	ds_read2st64_b32 v[14:15], v9 offset0:8 offset1:10
	ds_read2st64_b32 v[16:17], v9 offset0:12 offset1:14
	v_add_u32_e32 v8, -8, v8
	s_waitcnt lgkmcnt(3)
	v_pk_mul_f32 v[10:11], v[2:3], v[10:11]
	s_waitcnt lgkmcnt(2)
	v_pk_mul_f32 v[12:13], v[2:3], v[12:13]
	ds_write2st64_b32 v9, v10, v11 offset1:2
	ds_write2st64_b32 v9, v12, v13 offset0:4 offset1:6
	ds_read2st64_b32 v[12:13], v9 offset0:16 offset1:18
	s_waitcnt lgkmcnt(4)
	v_pk_mul_f32 v[10:11], v[2:3], v[14:15]
	ds_write2st64_b32 v9, v10, v11 offset0:8 offset1:10
	s_waitcnt lgkmcnt(4)
	v_pk_mul_f32 v[10:11], v[2:3], v[16:17]
	ds_write2st64_b32 v9, v10, v11 offset0:12 offset1:14
	ds_read2st64_b32 v[10:11], v9 offset0:20 offset1:22
	s_waitcnt lgkmcnt(3)
	v_pk_mul_f32 v[12:13], v[2:3], v[12:13]
	ds_read2st64_b32 v[14:15], v9 offset0:24 offset1:26
	ds_write2st64_b32 v9, v12, v13 offset0:16 offset1:18
	ds_read2st64_b32 v[12:13], v9 offset0:28 offset1:30
	s_waitcnt lgkmcnt(3)
	v_pk_mul_f32 v[10:11], v[2:3], v[10:11]
	ds_write2st64_b32 v9, v10, v11 offset0:20 offset1:22
	s_waitcnt lgkmcnt(3)
	v_pk_mul_f32 v[10:11], v[2:3], v[14:15]
	ds_write2st64_b32 v9, v10, v11 offset0:24 offset1:26
	s_waitcnt lgkmcnt(2)
	v_pk_mul_f32 v[10:11], v[2:3], v[12:13]
	s_add_i32 s16, s16, 16
	v_cmp_eq_u32_e32 vcc, 0, v8
	ds_write2st64_b32 v9, v10, v11 offset0:28 offset1:30
	v_add_u32_e32 v9, 0x2000, v9
	s_or_b64 s[12:13], vcc, s[12:13]
	v_mov_b32_e32 v10, s16
	s_andn2_b64 exec, exec, s[12:13]
	s_cbranch_execnz .LBB232_36
; %bb.37:
	s_or_b64 exec, exec, s[12:13]
.LBB232_38:
	s_or_b64 exec, exec, s[10:11]
	v_and_b32_e32 v7, 7, v7
	v_cmp_ne_u32_e32 vcc, 0, v7
	s_and_saveexec_b64 s[10:11], vcc
	s_cbranch_execz .LBB232_41
; %bb.39:
	v_lshlrev_b32_e32 v8, 9, v10
	s_movk_i32 s12, 0x1f0
	v_add3_u32 v8, v8, v38, s12
	s_mov_b64 s[12:13], 0
.LBB232_40:                             ; =>This Inner Loop Header: Depth=1
	ds_read2st64_b32 v[10:11], v8 offset1:2
	v_add_u32_e32 v7, -1, v7
	v_cmp_eq_u32_e32 vcc, 0, v7
	s_or_b64 s[12:13], vcc, s[12:13]
	s_waitcnt lgkmcnt(0)
	v_pk_mul_f32 v[10:11], v[2:3], v[10:11]
	ds_write2st64_b32 v8, v10, v11 offset1:2
	v_add_u32_e32 v8, 0x400, v8
	s_andn2_b64 exec, exec, s[12:13]
	s_cbranch_execnz .LBB232_40
.LBB232_41:
	s_or_b64 exec, exec, s[10:11]
	v_add_u32_e32 v6, 1, v6
	v_and_b32_e32 v7, 0x3fffffe, v6
	v_cmp_ne_u32_e32 vcc, v6, v7
	v_lshl_add_u32 v3, v7, 7, v0
	s_orn2_b64 s[10:11], vcc, exec
.LBB232_42:
	s_or_b64 exec, exec, s[6:7]
	s_and_b64 exec, exec, s[10:11]
	s_cbranch_execz .LBB232_45
; %bb.43:
	v_mov_b32_e32 v6, 0x1f0
	v_lshl_add_u32 v6, v3, 2, v6
	s_mov_b64 s[6:7], 0
.LBB232_44:                             ; =>This Inner Loop Header: Depth=1
	ds_read_b32 v7, v6
	v_add_u32_e32 v3, 0x80, v3
	v_cmp_le_i32_e32 vcc, s3, v3
	s_or_b64 s[6:7], vcc, s[6:7]
	s_waitcnt lgkmcnt(0)
	v_mul_f32_e32 v7, v2, v7
	ds_write_b32 v6, v7
	v_add_u32_e32 v6, 0x200, v6
	s_andn2_b64 exec, exec, s[6:7]
	s_cbranch_execnz .LBB232_44
.LBB232_45:
	s_or_b64 exec, exec, s[0:1]
	s_mul_i32 s0, s20, s34
	v_cmp_eq_u32_e32 vcc, 0, v0
	s_mul_i32 s6, s0, s5
	s_waitcnt lgkmcnt(0)
	s_barrier
	s_and_saveexec_b64 s[0:1], vcc
	s_cbranch_execz .LBB232_47
; %bb.46:
	s_ashr_i32 s7, s6, 31
	s_lshl_b64 s[10:11], s[6:7], 2
	s_add_u32 s5, s26, s10
	s_mul_i32 s2, s20, s2
	s_addc_u32 s7, s27, s11
	s_ashr_i32 s3, s2, 31
	s_lshl_b64 s[2:3], s[2:3], 2
	s_add_u32 s16, s5, s2
	s_addc_u32 s7, s7, s3
	s_ashr_i32 s5, s4, 31
	s_lshl_b64 s[12:13], s[4:5], 2
	s_add_u32 s18, s16, s12
	s_addc_u32 s19, s7, s13
	s_add_u32 s5, s24, s10
	s_addc_u32 s7, s25, s11
	;; [unrolled: 2-line block ×3, first 2 shown]
	s_add_u32 s2, s2, s12
	v_mov_b32_e32 v2, 0
	s_addc_u32 s3, s3, s13
	global_store_dword v2, v4, s[18:19]
	global_store_dword v2, v5, s[2:3]
.LBB232_47:
	s_or_b64 exec, exec, s[0:1]
	v_mov_b32_e32 v20, 0
	v_and_b32_e32 v92, 7, v0
	v_mov_b32_e32 v21, 0
	v_mov_b32_e32 v18, 0
	;; [unrolled: 1-line block ×14, first 2 shown]
	s_and_saveexec_b64 s[2:3], s[8:9]
	s_cbranch_execz .LBB232_83
; %bb.48:
	s_sub_i32 s5, s50, s21
	s_ashr_i32 s1, s51, 31
	s_add_u32 s0, s40, s51
	s_addc_u32 s1, s41, s1
	s_abs_i32 s7, s22
	v_cvt_f32_u32_e32 v2, s7
	s_sub_i32 s8, 0, s7
	v_and_b32_e32 v6, 0xfc, v38
	v_mov_b32_e32 v7, 0
	v_rcp_iflag_f32_e32 v2, v2
	s_add_i32 s49, s49, -1
	v_lshl_add_u64 v[22:23], s[0:1], 0, v[6:7]
	s_lshl_b64 s[0:1], s[38:39], 2
	v_mul_f32_e32 v2, 0x4f7ffffe, v2
	v_cvt_u32_f32_e32 v2, v2
	s_add_u32 s0, s36, s0
	s_addc_u32 s1, s37, s1
	v_and_b32_e32 v93, 28, v38
	v_mul_lo_u32 v3, s8, v2
	v_mul_hi_u32 v3, v2, v3
	v_add_u32_e32 v6, v2, v3
	v_lshlrev_b32_e32 v2, 4, v92
	v_lshl_or_b32 v2, v39, 7, v2
	s_mov_b32 s18, s17
	v_lshl_add_u64 v[24:25], v[30:31], 2, s[0:1]
	v_add_u32_e32 v31, 0x1f0, v2
	s_mov_b64 s[8:9], 0
	v_mov_b32_e32 v9, v7
	v_mov_b32_e32 v8, v7
	v_mov_b32_e32 v11, v7
	v_mov_b32_e32 v10, v7
	v_mov_b32_e32 v13, v7
	v_mov_b32_e32 v12, v7
	v_mov_b32_e32 v15, v7
	v_mov_b32_e32 v14, v7
	v_mov_b32_e32 v17, v7
	v_mov_b32_e32 v16, v7
	v_mov_b32_e32 v19, v7
	v_mov_b32_e32 v18, v7
	v_mov_b32_e32 v21, v7
	v_mov_b32_e32 v20, v7
	s_branch .LBB232_51
.LBB232_49:                             ;   in Loop: Header=BB232_51 Depth=1
	s_or_b64 exec, exec, s[0:1]
	v_mul_f32_e32 v87, v3, v87
	v_mul_f32_e32 v83, v3, v83
	;; [unrolled: 1-line block ×15, first 2 shown]
	v_fmac_f32_e32 v87, v2, v86
	v_fmac_f32_e32 v83, v2, v82
	;; [unrolled: 1-line block ×45, first 2 shown]
	v_add_f32_e32 v9, v9, v87
	v_add_f32_e32 v8, v8, v83
	;; [unrolled: 1-line block ×15, first 2 shown]
.LBB232_50:                             ;   in Loop: Header=BB232_51 Depth=1
	s_or_b64 exec, exec, s[10:11]
	v_add_u32_e32 v30, 2, v30
	v_cmp_le_i32_e32 vcc, s48, v30
	v_lshl_add_u64 v[24:25], v[24:25], 0, 8
	v_add_u32_e32 v1, 64, v1
	s_or_b64 s[8:9], vcc, s[8:9]
	v_add_u32_e32 v31, 0x100, v31
	s_andn2_b64 exec, exec, s[8:9]
	s_cbranch_execz .LBB232_82
.LBB232_51:                             ; =>This Inner Loop Header: Depth=1
	v_sub_u32_e32 v3, 0, v1
	v_max_i32_e32 v3, v1, v3
	v_mul_hi_u32 v4, v3, s35
	v_mul_lo_u32 v5, v4, s29
	v_sub_u32_e32 v3, v3, v5
	v_add_u32_e32 v5, 1, v4
	v_cmp_le_u32_e32 vcc, s29, v3
	v_ashrrev_i32_e32 v2, 31, v1
	v_xor_b32_e32 v2, s23, v2
	v_cndmask_b32_e32 v4, v4, v5, vcc
	v_subrev_u32_e32 v5, s29, v3
	v_cndmask_b32_e32 v3, v3, v5, vcc
	v_add_u32_e32 v5, 1, v4
	v_cmp_le_u32_e32 vcc, s29, v3
	s_nop 1
	v_cndmask_b32_e32 v3, v4, v5, vcc
	v_xor_b32_e32 v3, v3, v2
	v_sub_u32_e32 v2, v3, v2
	v_add_u32_e32 v3, s42, v2
	v_sub_u32_e32 v5, 0, v3
	v_ashrrev_i32_e32 v4, 31, v3
	v_max_i32_e32 v3, v3, v5
	v_mul_hi_u32 v5, v3, v6
	v_mul_lo_u32 v5, v5, s7
	v_sub_u32_e32 v3, v3, v5
	v_subrev_u32_e32 v5, s7, v3
	v_cmp_le_u32_e32 vcc, s7, v3
	v_cmp_lt_i32_e64 s[0:1], s5, v2
	s_nop 0
	v_cndmask_b32_e32 v3, v3, v5, vcc
	v_subrev_u32_e32 v5, s7, v3
	v_cmp_le_u32_e32 vcc, s7, v3
	s_nop 1
	v_cndmask_b32_e32 v3, v3, v5, vcc
	v_xor_b32_e32 v3, v3, v4
	v_sub_u32_e32 v3, v3, v4
	v_cmp_eq_u32_e32 vcc, 0, v3
	s_or_b64 s[0:1], vcc, s[0:1]
	s_and_saveexec_b64 s[10:11], s[0:1]
	s_cbranch_execz .LBB232_50
; %bb.52:                               ;   in Loop: Header=BB232_51 Depth=1
	global_load_dword v2, v[24:25], off
	s_load_dword s12, s[14:15], 0x0
	v_add_u32_e32 v94, v93, v1
	v_cmp_eq_u32_e32 vcc, s49, v30
	v_add_u32_e32 v96, 1, v94
	v_add_u32_e32 v95, 2, v94
	;; [unrolled: 1-line block ×3, first 2 shown]
	s_waitcnt vmcnt(0)
	v_mad_i64_i32 v[40:41], s[0:1], v2, s18, v[22:23]
	global_load_dword v26, v[40:41], off
	ds_read_b128 v[2:5], v31
	s_waitcnt vmcnt(0)
	v_and_b32_e32 v27, 0xffff, v26
	v_lshrrev_b32_e32 v28, 16, v26
	v_cvt_pk_f32_fp8_e32 v[26:27], v27
	v_cvt_pk_f32_fp8_e32 v[32:33], v28
	s_waitcnt lgkmcnt(0)
	v_pk_mul_f32 v[28:29], s[12:13], v[26:27] op_sel_hi:[0,1]
	v_pk_mul_f32 v[26:27], s[12:13], v[32:33] op_sel_hi:[0,1]
	s_and_saveexec_b64 s[16:17], vcc
; %bb.53:                               ;   in Loop: Header=BB232_51 Depth=1
	v_cmp_gt_i32_e64 s[0:1], s33, v94
	s_nop 1
	v_cndmask_b32_e64 v28, 0, v28, s[0:1]
	v_cmp_gt_i32_e64 s[0:1], s33, v96
	s_nop 1
	v_cndmask_b32_e64 v29, 0, v29, s[0:1]
	v_cmp_gt_i32_e64 s[0:1], s33, v95
	s_nop 1
	v_cndmask_b32_e64 v26, 0, v26, s[0:1]
	v_cmp_gt_i32_e64 s[0:1], s33, v97
	s_nop 1
	v_cndmask_b32_e64 v27, 0, v27, s[0:1]
; %bb.54:                               ;   in Loop: Header=BB232_51 Depth=1
	s_or_b64 exec, exec, s[16:17]
	global_load_dword v32, v[40:41], off offset:256
	s_mov_b32 s13, s12
	s_waitcnt vmcnt(0)
	v_and_b32_e32 v33, 0xffff, v32
	v_lshrrev_b32_e32 v34, 16, v32
	v_cvt_pk_f32_fp8_e32 v[32:33], v33
	v_cvt_pk_f32_fp8_e32 v[36:37], v34
	v_pk_mul_f32 v[34:35], s[12:13], v[32:33]
	v_pk_mul_f32 v[32:33], s[12:13], v[36:37]
	s_and_saveexec_b64 s[16:17], vcc
; %bb.55:                               ;   in Loop: Header=BB232_51 Depth=1
	v_cmp_gt_i32_e64 s[0:1], s33, v94
	s_nop 1
	v_cndmask_b32_e64 v34, 0, v34, s[0:1]
	v_cmp_gt_i32_e64 s[0:1], s33, v96
	s_nop 1
	v_cndmask_b32_e64 v35, 0, v35, s[0:1]
	v_cmp_gt_i32_e64 s[0:1], s33, v95
	s_nop 1
	v_cndmask_b32_e64 v32, 0, v32, s[0:1]
	v_cmp_gt_i32_e64 s[0:1], s33, v97
	s_nop 1
	v_cndmask_b32_e64 v33, 0, v33, s[0:1]
; %bb.56:                               ;   in Loop: Header=BB232_51 Depth=1
	s_or_b64 exec, exec, s[16:17]
	global_load_dword v36, v[40:41], off offset:512
	s_waitcnt vmcnt(0)
	v_and_b32_e32 v37, 0xffff, v36
	v_lshrrev_b32_e32 v38, 16, v36
	v_cvt_pk_f32_fp8_e32 v[36:37], v37
	v_cvt_pk_f32_fp8_e32 v[42:43], v38
	v_pk_mul_f32 v[38:39], s[12:13], v[36:37]
	v_pk_mul_f32 v[36:37], s[12:13], v[42:43]
	s_and_saveexec_b64 s[16:17], vcc
; %bb.57:                               ;   in Loop: Header=BB232_51 Depth=1
	v_cmp_gt_i32_e64 s[0:1], s33, v94
	s_nop 1
	v_cndmask_b32_e64 v38, 0, v38, s[0:1]
	v_cmp_gt_i32_e64 s[0:1], s33, v96
	s_nop 1
	v_cndmask_b32_e64 v39, 0, v39, s[0:1]
	v_cmp_gt_i32_e64 s[0:1], s33, v95
	s_nop 1
	v_cndmask_b32_e64 v36, 0, v36, s[0:1]
	v_cmp_gt_i32_e64 s[0:1], s33, v97
	s_nop 1
	v_cndmask_b32_e64 v37, 0, v37, s[0:1]
; %bb.58:                               ;   in Loop: Header=BB232_51 Depth=1
	s_or_b64 exec, exec, s[16:17]
	global_load_dword v42, v[40:41], off offset:768
	;; [unrolled: 24-line block ×13, first 2 shown]
	s_waitcnt vmcnt(0)
	v_and_b32_e32 v41, 0xffff, v40
	v_lshrrev_b32_e32 v78, 16, v40
	v_cvt_pk_f32_fp8_e32 v[40:41], v41
	v_cvt_pk_f32_fp8_e32 v[98:99], v78
	v_pk_mul_f32 v[78:79], s[12:13], v[40:41]
	v_pk_mul_f32 v[40:41], s[12:13], v[98:99]
	s_and_saveexec_b64 s[0:1], vcc
	s_cbranch_execz .LBB232_49
; %bb.81:                               ;   in Loop: Header=BB232_51 Depth=1
	v_cmp_gt_i32_e32 vcc, s33, v94
	s_nop 1
	v_cndmask_b32_e32 v78, 0, v78, vcc
	v_cmp_gt_i32_e32 vcc, s33, v96
	s_nop 1
	v_cndmask_b32_e32 v79, 0, v79, vcc
	;; [unrolled: 3-line block ×4, first 2 shown]
	s_branch .LBB232_49
.LBB232_82:
	s_or_b64 exec, exec, s[8:9]
.LBB232_83:
	s_or_b64 exec, exec, s[2:3]
	ds_bpermute_b32 v4, v89, v18
	ds_bpermute_b32 v5, v89, v19
	;; [unrolled: 1-line block ×6, first 2 shown]
	s_waitcnt lgkmcnt(4)
	v_pk_add_f32 v[4:5], v[18:19], v[4:5]
	ds_bpermute_b32 v18, v90, v4
	ds_bpermute_b32 v19, v90, v5
	s_waitcnt lgkmcnt(4)
	v_pk_add_f32 v[2:3], v[20:21], v[2:3]
	s_waitcnt lgkmcnt(2)
	v_pk_add_f32 v[16:17], v[16:17], v[22:23]
	ds_bpermute_b32 v20, v90, v2
	ds_bpermute_b32 v21, v90, v3
	s_waitcnt lgkmcnt(2)
	v_pk_add_f32 v[4:5], v[4:5], v[18:19]
	ds_bpermute_b32 v18, v90, v16
	ds_bpermute_b32 v19, v90, v17
	;; [unrolled: 1-line block ×3, first 2 shown]
	s_waitcnt lgkmcnt(3)
	v_pk_add_f32 v[2:3], v[2:3], v[20:21]
	ds_bpermute_b32 v29, v89, v13
	ds_bpermute_b32 v20, v91, v2
	s_waitcnt lgkmcnt(3)
	v_pk_add_f32 v[16:17], v[16:17], v[18:19]
	ds_bpermute_b32 v21, v91, v3
	ds_bpermute_b32 v24, v89, v14
	;; [unrolled: 1-line block ×5, first 2 shown]
	s_waitcnt lgkmcnt(6)
	v_pk_add_f32 v[12:13], v[12:13], v[28:29]
	ds_bpermute_b32 v22, v91, v4
	ds_bpermute_b32 v23, v91, v5
	s_waitcnt lgkmcnt(4)
	v_pk_add_f32 v[24:25], v[14:15], v[24:25]
	v_pk_add_f32 v[14:15], v[2:3], v[20:21]
	s_waitcnt lgkmcnt(2)
	v_pk_add_f32 v[2:3], v[16:17], v[18:19]
	ds_bpermute_b32 v18, v90, v12
	ds_bpermute_b32 v19, v90, v13
	s_waitcnt lgkmcnt(2)
	v_pk_add_f32 v[4:5], v[4:5], v[22:23]
	ds_bpermute_b32 v22, v89, v10
	ds_bpermute_b32 v23, v89, v11
	;; [unrolled: 1-line block ×3, first 2 shown]
	s_waitcnt lgkmcnt(3)
	v_pk_add_f32 v[18:19], v[12:13], v[18:19]
	ds_bpermute_b32 v12, v89, v8
	ds_bpermute_b32 v13, v89, v9
	;; [unrolled: 1-line block ×4, first 2 shown]
	s_waitcnt lgkmcnt(5)
	v_pk_add_f32 v[10:11], v[10:11], v[22:23]
	ds_bpermute_b32 v22, v90, v10
	s_waitcnt lgkmcnt(3)
	v_pk_add_f32 v[8:9], v[8:9], v[12:13]
	s_waitcnt lgkmcnt(2)
	v_pk_add_f32 v[16:17], v[24:25], v[26:27]
	ds_bpermute_b32 v23, v90, v11
	ds_bpermute_b32 v12, v90, v8
	;; [unrolled: 1-line block ×3, first 2 shown]
	s_waitcnt lgkmcnt(4)
	v_add_f32_e32 v1, v7, v1
	ds_bpermute_b32 v20, v91, v16
	ds_bpermute_b32 v21, v91, v17
	;; [unrolled: 1-line block ×3, first 2 shown]
	s_waitcnt lgkmcnt(5)
	v_pk_add_f32 v[22:23], v[10:11], v[22:23]
	s_waitcnt lgkmcnt(3)
	v_pk_add_f32 v[28:29], v[8:9], v[12:13]
	ds_bpermute_b32 v24, v91, v18
	ds_bpermute_b32 v25, v91, v19
	ds_bpermute_b32 v26, v91, v22
	ds_bpermute_b32 v27, v91, v23
	ds_bpermute_b32 v30, v91, v28
	ds_bpermute_b32 v31, v91, v29
	s_waitcnt lgkmcnt(7)
	v_pk_add_f32 v[12:13], v[16:17], v[20:21]
	s_waitcnt lgkmcnt(6)
	v_add_f32_e32 v16, v1, v32
	ds_bpermute_b32 v17, v91, v16
	v_and_b32_e32 v1, 0x3c7, v0
	s_waitcnt lgkmcnt(5)
	v_pk_add_f32 v[10:11], v[18:19], v[24:25]
	s_waitcnt lgkmcnt(3)
	v_pk_add_f32 v[8:9], v[22:23], v[26:27]
	;; [unrolled: 2-line block ×3, first 2 shown]
	v_cmp_ne_u32_e32 vcc, 64, v1
	s_waitcnt lgkmcnt(0)
	s_barrier
	s_and_saveexec_b64 s[0:1], vcc
	s_xor_b64 s[0:1], exec, s[0:1]
; %bb.84:
                                        ; implicit-def: $vgpr88
; %bb.85:
	s_or_saveexec_b64 s[0:1], s[0:1]
	v_add_f32_e32 v16, v16, v17
	s_xor_b64 exec, exec, s[0:1]
	s_cbranch_execz .LBB232_87
; %bb.86:
	v_lshrrev_b32_e32 v17, 1, v88
	v_add_u32_e32 v17, 0x1f0, v17
	ds_write2_b32 v17, v14, v15 offset1:8
	ds_write2_b32 v17, v4, v5 offset0:16 offset1:24
	ds_write2_b32 v17, v2, v3 offset0:32 offset1:40
	ds_write2_b32 v17, v12, v13 offset0:48 offset1:56
	ds_write2_b32 v17, v10, v11 offset0:64 offset1:72
	ds_write2_b32 v17, v8, v9 offset0:80 offset1:88
	ds_write2_b32 v17, v6, v7 offset0:96 offset1:104
	ds_write_b32 v17, v16 offset:448
.LBB232_87:
	s_or_b64 exec, exec, s[0:1]
	v_cmp_gt_u32_e32 vcc, 64, v0
	s_waitcnt lgkmcnt(0)
	s_barrier
	s_and_saveexec_b64 s[0:1], vcc
	s_cbranch_execz .LBB232_105
; %bb.88:
	v_cmp_eq_u32_e32 vcc, 0, v92
	v_lshrrev_b32_e32 v17, 3, v0
	s_and_saveexec_b64 s[2:3], vcc
	s_cbranch_execnz .LBB232_108
; %bb.89:
	s_or_b64 exec, exec, s[2:3]
	s_and_saveexec_b64 s[2:3], vcc
	s_cbranch_execnz .LBB232_109
.LBB232_90:
	s_or_b64 exec, exec, s[2:3]
	s_and_saveexec_b64 s[2:3], vcc
	s_cbranch_execnz .LBB232_110
.LBB232_91:
	s_or_b64 exec, exec, s[2:3]
	s_and_saveexec_b64 s[2:3], vcc
	s_cbranch_execnz .LBB232_111
.LBB232_92:
	s_or_b64 exec, exec, s[2:3]
	s_and_saveexec_b64 s[2:3], vcc
	s_cbranch_execnz .LBB232_112
.LBB232_93:
	s_or_b64 exec, exec, s[2:3]
	s_and_saveexec_b64 s[2:3], vcc
	s_cbranch_execnz .LBB232_113
.LBB232_94:
	s_or_b64 exec, exec, s[2:3]
	s_and_saveexec_b64 s[2:3], vcc
	s_cbranch_execnz .LBB232_114
.LBB232_95:
	s_or_b64 exec, exec, s[2:3]
	s_and_saveexec_b64 s[2:3], vcc
	s_cbranch_execnz .LBB232_115
.LBB232_96:
	s_or_b64 exec, exec, s[2:3]
	s_and_saveexec_b64 s[2:3], vcc
	s_cbranch_execnz .LBB232_116
.LBB232_97:
	s_or_b64 exec, exec, s[2:3]
	s_and_saveexec_b64 s[2:3], vcc
	s_cbranch_execnz .LBB232_117
.LBB232_98:
	s_or_b64 exec, exec, s[2:3]
	s_and_saveexec_b64 s[2:3], vcc
	s_cbranch_execnz .LBB232_118
.LBB232_99:
	s_or_b64 exec, exec, s[2:3]
	s_and_saveexec_b64 s[2:3], vcc
	s_cbranch_execnz .LBB232_119
.LBB232_100:
	s_or_b64 exec, exec, s[2:3]
	s_and_saveexec_b64 s[2:3], vcc
	s_cbranch_execnz .LBB232_120
.LBB232_101:
	s_or_b64 exec, exec, s[2:3]
	s_and_saveexec_b64 s[2:3], vcc
	s_cbranch_execnz .LBB232_121
.LBB232_102:
	s_or_b64 exec, exec, s[2:3]
	s_and_saveexec_b64 s[2:3], vcc
	s_cbranch_execz .LBB232_104
.LBB232_103:
	v_mov_b32_e32 v18, 0x1f0
	v_lshl_add_u32 v17, v17, 2, v18
	ds_read_b32 v17, v17 offset:448
	s_waitcnt lgkmcnt(0)
	v_add_f32_e32 v16, v16, v17
.LBB232_104:
	s_or_b64 exec, exec, s[2:3]
.LBB232_105:
	s_or_b64 exec, exec, s[0:1]
	v_cmp_eq_u32_e32 vcc, 0, v1
	s_barrier
	s_and_saveexec_b64 s[0:1], vcc
	s_cbranch_execz .LBB232_107
; %bb.106:
	s_mul_i32 s0, s6, 0x78
	s_ashr_i32 s1, s0, 31
	s_lshl_b64 s[0:1], s[0:1], 2
	s_add_u32 s2, s30, s0
	s_mul_i32 s0, s20, s28
	s_addc_u32 s3, s31, s1
	s_ashr_i32 s1, s0, 31
	s_lshl_b64 s[0:1], s[0:1], 2
	s_add_u32 s2, s2, s0
	s_mul_i32 s0, s4, 0x78
	s_addc_u32 s3, s3, s1
	s_ashr_i32 s1, s0, 31
	s_lshl_b64 s[0:1], s[0:1], 2
	s_add_u32 s0, s2, s0
	s_addc_u32 s1, s3, s1
	v_lshrrev_b32_e32 v0, 1, v0
	global_store_dword v0, v14, s[0:1]
	global_store_dword v0, v15, s[0:1] offset:32
	global_store_dword v0, v4, s[0:1] offset:64
	global_store_dword v0, v5, s[0:1] offset:96
	global_store_dword v0, v2, s[0:1] offset:128
	global_store_dword v0, v3, s[0:1] offset:160
	global_store_dword v0, v12, s[0:1] offset:192
	global_store_dword v0, v13, s[0:1] offset:224
	global_store_dword v0, v10, s[0:1] offset:256
	global_store_dword v0, v11, s[0:1] offset:288
	global_store_dword v0, v8, s[0:1] offset:320
	global_store_dword v0, v9, s[0:1] offset:352
	global_store_dword v0, v6, s[0:1] offset:384
	global_store_dword v0, v7, s[0:1] offset:416
	global_store_dword v0, v16, s[0:1] offset:448
.LBB232_107:
	s_endpgm
.LBB232_108:
	v_mov_b32_e32 v18, 0x1f0
	v_lshl_add_u32 v18, v17, 2, v18
	ds_read_b32 v18, v18
	s_waitcnt lgkmcnt(0)
	v_add_f32_e32 v14, v14, v18
	s_or_b64 exec, exec, s[2:3]
	s_and_saveexec_b64 s[2:3], vcc
	s_cbranch_execz .LBB232_90
.LBB232_109:
	v_mov_b32_e32 v18, 0x1f0
	v_lshl_add_u32 v18, v17, 2, v18
	ds_read_b32 v18, v18 offset:32
	s_waitcnt lgkmcnt(0)
	v_add_f32_e32 v15, v15, v18
	s_or_b64 exec, exec, s[2:3]
	s_and_saveexec_b64 s[2:3], vcc
	s_cbranch_execz .LBB232_91
.LBB232_110:
	v_mov_b32_e32 v18, 0x1f0
	v_lshl_add_u32 v18, v17, 2, v18
	ds_read_b32 v18, v18 offset:64
	s_waitcnt lgkmcnt(0)
	v_add_f32_e32 v4, v4, v18
	s_or_b64 exec, exec, s[2:3]
	s_and_saveexec_b64 s[2:3], vcc
	s_cbranch_execz .LBB232_92
.LBB232_111:
	v_mov_b32_e32 v18, 0x1f0
	v_lshl_add_u32 v18, v17, 2, v18
	ds_read_b32 v18, v18 offset:96
	s_waitcnt lgkmcnt(0)
	v_add_f32_e32 v5, v5, v18
	s_or_b64 exec, exec, s[2:3]
	s_and_saveexec_b64 s[2:3], vcc
	s_cbranch_execz .LBB232_93
.LBB232_112:
	v_mov_b32_e32 v18, 0x1f0
	v_lshl_add_u32 v18, v17, 2, v18
	ds_read_b32 v18, v18 offset:128
	s_waitcnt lgkmcnt(0)
	v_add_f32_e32 v2, v2, v18
	s_or_b64 exec, exec, s[2:3]
	s_and_saveexec_b64 s[2:3], vcc
	s_cbranch_execz .LBB232_94
.LBB232_113:
	v_mov_b32_e32 v18, 0x1f0
	v_lshl_add_u32 v18, v17, 2, v18
	ds_read_b32 v18, v18 offset:160
	s_waitcnt lgkmcnt(0)
	v_add_f32_e32 v3, v3, v18
	s_or_b64 exec, exec, s[2:3]
	s_and_saveexec_b64 s[2:3], vcc
	s_cbranch_execz .LBB232_95
.LBB232_114:
	v_mov_b32_e32 v18, 0x1f0
	v_lshl_add_u32 v18, v17, 2, v18
	ds_read_b32 v18, v18 offset:192
	s_waitcnt lgkmcnt(0)
	v_add_f32_e32 v12, v12, v18
	s_or_b64 exec, exec, s[2:3]
	s_and_saveexec_b64 s[2:3], vcc
	s_cbranch_execz .LBB232_96
.LBB232_115:
	v_mov_b32_e32 v18, 0x1f0
	v_lshl_add_u32 v18, v17, 2, v18
	ds_read_b32 v18, v18 offset:224
	s_waitcnt lgkmcnt(0)
	v_add_f32_e32 v13, v13, v18
	s_or_b64 exec, exec, s[2:3]
	s_and_saveexec_b64 s[2:3], vcc
	s_cbranch_execz .LBB232_97
.LBB232_116:
	v_mov_b32_e32 v18, 0x1f0
	v_lshl_add_u32 v18, v17, 2, v18
	ds_read_b32 v18, v18 offset:256
	s_waitcnt lgkmcnt(0)
	v_add_f32_e32 v10, v10, v18
	s_or_b64 exec, exec, s[2:3]
	s_and_saveexec_b64 s[2:3], vcc
	s_cbranch_execz .LBB232_98
.LBB232_117:
	v_mov_b32_e32 v18, 0x1f0
	v_lshl_add_u32 v18, v17, 2, v18
	ds_read_b32 v18, v18 offset:288
	s_waitcnt lgkmcnt(0)
	v_add_f32_e32 v11, v11, v18
	s_or_b64 exec, exec, s[2:3]
	s_and_saveexec_b64 s[2:3], vcc
	s_cbranch_execz .LBB232_99
.LBB232_118:
	v_mov_b32_e32 v18, 0x1f0
	v_lshl_add_u32 v18, v17, 2, v18
	ds_read_b32 v18, v18 offset:320
	s_waitcnt lgkmcnt(0)
	v_add_f32_e32 v8, v8, v18
	s_or_b64 exec, exec, s[2:3]
	s_and_saveexec_b64 s[2:3], vcc
	s_cbranch_execz .LBB232_100
.LBB232_119:
	v_mov_b32_e32 v18, 0x1f0
	v_lshl_add_u32 v18, v17, 2, v18
	ds_read_b32 v18, v18 offset:352
	s_waitcnt lgkmcnt(0)
	v_add_f32_e32 v9, v9, v18
	s_or_b64 exec, exec, s[2:3]
	s_and_saveexec_b64 s[2:3], vcc
	s_cbranch_execz .LBB232_101
.LBB232_120:
	v_mov_b32_e32 v18, 0x1f0
	v_lshl_add_u32 v18, v17, 2, v18
	ds_read_b32 v18, v18 offset:384
	s_waitcnt lgkmcnt(0)
	v_add_f32_e32 v6, v6, v18
	s_or_b64 exec, exec, s[2:3]
	s_and_saveexec_b64 s[2:3], vcc
	s_cbranch_execz .LBB232_102
.LBB232_121:
	v_mov_b32_e32 v18, 0x1f0
	v_lshl_add_u32 v18, v17, 2, v18
	ds_read_b32 v18, v18 offset:416
	s_waitcnt lgkmcnt(0)
	v_add_f32_e32 v7, v7, v18
	s_or_b64 exec, exec, s[2:3]
	s_and_saveexec_b64 s[2:3], vcc
	s_cbranch_execnz .LBB232_103
	s_branch .LBB232_104
	.section	.rodata,"a",@progbits
	.p2align	6, 0x0
	.amdhsa_kernel _ZN4vllm25paged_attention_v2_kernelIfhLi120ELi32ELi128ELNS_18Fp8KVCacheDataTypeE1ELb1ELi512EEEvPfS2_PT_PKS3_PKT0_S9_ifPKiSB_iPKfiiiSD_SD_iiiii
		.amdhsa_group_segment_fixed_size 496
		.amdhsa_private_segment_fixed_size 0
		.amdhsa_kernarg_size 400
		.amdhsa_user_sgpr_count 2
		.amdhsa_user_sgpr_dispatch_ptr 0
		.amdhsa_user_sgpr_queue_ptr 0
		.amdhsa_user_sgpr_kernarg_segment_ptr 1
		.amdhsa_user_sgpr_dispatch_id 0
		.amdhsa_user_sgpr_kernarg_preload_length 0
		.amdhsa_user_sgpr_kernarg_preload_offset 0
		.amdhsa_user_sgpr_private_segment_size 0
		.amdhsa_uses_dynamic_stack 0
		.amdhsa_enable_private_segment 0
		.amdhsa_system_sgpr_workgroup_id_x 1
		.amdhsa_system_sgpr_workgroup_id_y 1
		.amdhsa_system_sgpr_workgroup_id_z 1
		.amdhsa_system_sgpr_workgroup_info 0
		.amdhsa_system_vgpr_workitem_id 0
		.amdhsa_next_free_vgpr 100
		.amdhsa_next_free_sgpr 57
		.amdhsa_accum_offset 100
		.amdhsa_reserve_vcc 1
		.amdhsa_float_round_mode_32 0
		.amdhsa_float_round_mode_16_64 0
		.amdhsa_float_denorm_mode_32 3
		.amdhsa_float_denorm_mode_16_64 3
		.amdhsa_dx10_clamp 1
		.amdhsa_ieee_mode 1
		.amdhsa_fp16_overflow 0
		.amdhsa_tg_split 0
		.amdhsa_exception_fp_ieee_invalid_op 0
		.amdhsa_exception_fp_denorm_src 0
		.amdhsa_exception_fp_ieee_div_zero 0
		.amdhsa_exception_fp_ieee_overflow 0
		.amdhsa_exception_fp_ieee_underflow 0
		.amdhsa_exception_fp_ieee_inexact 0
		.amdhsa_exception_int_div_zero 0
	.end_amdhsa_kernel
	.section	.text._ZN4vllm25paged_attention_v2_kernelIfhLi120ELi32ELi128ELNS_18Fp8KVCacheDataTypeE1ELb1ELi512EEEvPfS2_PT_PKS3_PKT0_S9_ifPKiSB_iPKfiiiSD_SD_iiiii,"axG",@progbits,_ZN4vllm25paged_attention_v2_kernelIfhLi120ELi32ELi128ELNS_18Fp8KVCacheDataTypeE1ELb1ELi512EEEvPfS2_PT_PKS3_PKT0_S9_ifPKiSB_iPKfiiiSD_SD_iiiii,comdat
.Lfunc_end232:
	.size	_ZN4vllm25paged_attention_v2_kernelIfhLi120ELi32ELi128ELNS_18Fp8KVCacheDataTypeE1ELb1ELi512EEEvPfS2_PT_PKS3_PKT0_S9_ifPKiSB_iPKfiiiSD_SD_iiiii, .Lfunc_end232-_ZN4vllm25paged_attention_v2_kernelIfhLi120ELi32ELi128ELNS_18Fp8KVCacheDataTypeE1ELb1ELi512EEEvPfS2_PT_PKS3_PKT0_S9_ifPKiSB_iPKfiiiSD_SD_iiiii
                                        ; -- End function
	.section	.AMDGPU.csdata,"",@progbits
; Kernel info:
; codeLenInByte = 8868
; NumSgprs: 63
; NumVgprs: 100
; NumAgprs: 0
; TotalNumVgprs: 100
; ScratchSize: 0
; MemoryBound: 0
; FloatMode: 240
; IeeeMode: 1
; LDSByteSize: 496 bytes/workgroup (compile time only)
; SGPRBlocks: 7
; VGPRBlocks: 12
; NumSGPRsForWavesPerEU: 63
; NumVGPRsForWavesPerEU: 100
; AccumOffset: 100
; Occupancy: 4
; WaveLimiterHint : 1
; COMPUTE_PGM_RSRC2:SCRATCH_EN: 0
; COMPUTE_PGM_RSRC2:USER_SGPR: 2
; COMPUTE_PGM_RSRC2:TRAP_HANDLER: 0
; COMPUTE_PGM_RSRC2:TGID_X_EN: 1
; COMPUTE_PGM_RSRC2:TGID_Y_EN: 1
; COMPUTE_PGM_RSRC2:TGID_Z_EN: 1
; COMPUTE_PGM_RSRC2:TIDIG_COMP_CNT: 0
; COMPUTE_PGM_RSRC3_GFX90A:ACCUM_OFFSET: 24
; COMPUTE_PGM_RSRC3_GFX90A:TG_SPLIT: 0
	.section	.text._ZN4vllm25paged_attention_v2_kernelIfhLi128ELi32ELi128ELNS_18Fp8KVCacheDataTypeE1ELb1ELi512EEEvPfS2_PT_PKS3_PKT0_S9_ifPKiSB_iPKfiiiSD_SD_iiiii,"axG",@progbits,_ZN4vllm25paged_attention_v2_kernelIfhLi128ELi32ELi128ELNS_18Fp8KVCacheDataTypeE1ELb1ELi512EEEvPfS2_PT_PKS3_PKT0_S9_ifPKiSB_iPKfiiiSD_SD_iiiii,comdat
	.protected	_ZN4vllm25paged_attention_v2_kernelIfhLi128ELi32ELi128ELNS_18Fp8KVCacheDataTypeE1ELb1ELi512EEEvPfS2_PT_PKS3_PKT0_S9_ifPKiSB_iPKfiiiSD_SD_iiiii ; -- Begin function _ZN4vllm25paged_attention_v2_kernelIfhLi128ELi32ELi128ELNS_18Fp8KVCacheDataTypeE1ELb1ELi512EEEvPfS2_PT_PKS3_PKT0_S9_ifPKiSB_iPKfiiiSD_SD_iiiii
	.globl	_ZN4vllm25paged_attention_v2_kernelIfhLi128ELi32ELi128ELNS_18Fp8KVCacheDataTypeE1ELb1ELi512EEEvPfS2_PT_PKS3_PKT0_S9_ifPKiSB_iPKfiiiSD_SD_iiiii
	.p2align	8
	.type	_ZN4vllm25paged_attention_v2_kernelIfhLi128ELi32ELi128ELNS_18Fp8KVCacheDataTypeE1ELb1ELi512EEEvPfS2_PT_PKS3_PKT0_S9_ifPKiSB_iPKfiiiSD_SD_iiiii,@function
_ZN4vllm25paged_attention_v2_kernelIfhLi128ELi32ELi128ELNS_18Fp8KVCacheDataTypeE1ELb1ELi512EEEvPfS2_PT_PKS3_PKT0_S9_ifPKiSB_iPKfiiiSD_SD_iiiii: ; @_ZN4vllm25paged_attention_v2_kernelIfhLi128ELi32ELi128ELNS_18Fp8KVCacheDataTypeE1ELb1ELi512EEEvPfS2_PT_PKS3_PKT0_S9_ifPKiSB_iPKfiiiSD_SD_iiiii
; %bb.0:
	s_load_dwordx2 s[6:7], s[0:1], 0x40
	s_mov_b32 s36, s3
	s_ashr_i32 s37, s3, 31
	s_lshl_b64 s[8:9], s[36:37], 2
	s_waitcnt lgkmcnt(0)
	s_add_u32 s6, s6, s8
	s_addc_u32 s7, s7, s9
	s_load_dword s33, s[6:7], 0x0
	s_lshl_b32 s54, s4, 9
	s_waitcnt lgkmcnt(0)
	s_cmp_ge_i32 s54, s33
	s_cbranch_scc1 .LBB233_110
; %bb.1:
	s_load_dword s5, s[0:1], 0x90
	s_load_dwordx2 s[44:45], s[0:1], 0x30
	s_waitcnt lgkmcnt(0)
	s_abs_i32 s7, s5
	s_abs_i32 s3, s44
	v_cvt_f32_u32_e32 v1, s3
	s_sub_i32 s8, 0, s3
	s_xor_b32 s6, s5, s44
	s_ashr_i32 s6, s6, 31
	v_rcp_iflag_f32_e32 v1, v1
	s_nop 0
	v_mul_f32_e32 v1, 0x4f7ffffe, v1
	v_cvt_u32_f32_e32 v1, v1
	s_nop 0
	v_readfirstlane_b32 s9, v1
	s_mul_i32 s8, s8, s9
	s_mul_hi_u32 s8, s9, s8
	s_add_i32 s9, s9, s8
	s_mul_hi_u32 s8, s7, s9
	s_mul_i32 s9, s8, s3
	s_sub_i32 s7, s7, s9
	s_add_i32 s10, s8, 1
	s_sub_i32 s9, s7, s3
	s_cmp_ge_u32 s7, s3
	s_cselect_b32 s8, s10, s8
	s_cselect_b32 s7, s9, s7
	s_add_i32 s9, s8, 1
	s_cmp_ge_u32 s7, s3
	s_cselect_b32 s3, s9, s8
	s_xor_b32 s3, s3, s6
	s_sub_i32 s10, s3, s6
	s_abs_i32 s8, s10
	v_cvt_f32_u32_e32 v1, s8
	s_load_dwordx2 s[6:7], s[0:1], 0x50
	s_sub_i32 s11, 0, s8
	s_abs_i32 s9, s2
	v_rcp_iflag_f32_e32 v1, v1
	s_mov_b32 s3, 0
	v_mul_f32_e32 v1, 0x4f7ffffe, v1
	v_cvt_u32_f32_e32 v1, v1
	s_nop 0
	v_readfirstlane_b32 s12, v1
	s_mul_i32 s11, s11, s12
	s_mul_hi_u32 s11, s12, s11
	s_add_i32 s12, s12, s11
	s_waitcnt lgkmcnt(0)
	s_cmp_eq_u64 s[6:7], 0
	s_mul_hi_u32 s12, s9, s12
	s_cbranch_scc1 .LBB233_3
; %bb.2:
	s_ashr_i32 s3, s2, 31
	s_lshl_b64 s[14:15], s[2:3], 2
	s_add_u32 s6, s6, s14
	s_addc_u32 s7, s7, s15
	s_load_dword s3, s[6:7], 0x0
.LBB233_3:
	s_load_dwordx4 s[20:23], s[0:1], 0x58
	s_ashr_i32 s13, s2, 31
	s_ashr_i32 s16, s10, 31
	v_and_b32_e32 v2, 1, v0
	s_lshl_b32 s14, s2, 7
	v_cmp_gt_u32_e64 s[10:11], 64, v0
	v_lshlrev_b32_e32 v38, 2, v0
	s_and_saveexec_b64 s[6:7], s[10:11]
	s_cbranch_execz .LBB233_5
; %bb.4:
	s_load_dwordx2 s[18:19], s[0:1], 0x18
	s_waitcnt lgkmcnt(0)
	s_mul_i32 s24, s36, s20
	s_ashr_i32 s25, s24, 31
	s_lshl_b64 s[24:25], s[24:25], 2
	v_lshlrev_b32_e32 v1, 3, v0
	s_add_u32 s17, s18, s24
	s_addc_u32 s20, s19, s25
	s_ashr_i32 s15, s14, 31
	s_lshl_b64 s[18:19], s[14:15], 2
	s_add_u32 s18, s17, s18
	s_addc_u32 s19, s20, s19
	global_load_dwordx2 v[4:5], v1, s[18:19]
	v_and_b32_e32 v1, 0xff8, v38
	v_lshl_add_u32 v1, v2, 8, v1
	s_waitcnt vmcnt(0)
	ds_write_b64 v1, v[4:5]
.LBB233_5:
	s_or_b64 exec, exec, s[6:7]
	s_mul_i32 s7, s12, s8
	s_sub_i32 s7, s9, s7
	s_xor_b32 s6, s13, s16
	s_add_i32 s9, s12, 1
	s_sub_i32 s13, s7, s8
	s_load_dwordx4 s[24:27], s[0:1], 0x78
	s_cmp_ge_u32 s7, s8
	s_cselect_b32 s9, s9, s12
	s_cselect_b32 s7, s13, s7
	s_add_i32 s12, s9, 1
	s_cmp_ge_u32 s7, s8
	s_cselect_b32 s7, s12, s9
	s_load_dword s12, s[0:1], 0x88
	s_waitcnt lgkmcnt(0)
	s_abs_i32 s37, s27
	v_cvt_f32_u32_e32 v1, s37
	s_xor_b32 s7, s7, s6
	s_sub_i32 s53, s7, s6
	s_sub_i32 s6, 0, s37
	v_rcp_iflag_f32_e32 v1, v1
	s_add_i32 s13, s33, -1
	s_abs_i32 s8, s13
	v_mul_f32_e32 v1, 0x4f7ffffe, v1
	v_cvt_u32_f32_e32 v1, v1
	s_barrier
	v_readfirstlane_b32 s50, v1
	s_mul_i32 s6, s6, s50
	s_mul_hi_u32 s6, s50, s6
	s_add_i32 s50, s50, s6
	s_cmp_lt_i32 s12, 0
	s_mul_hi_u32 s9, s8, s50
	s_cbranch_scc0 .LBB233_7
; %bb.6:
	s_mul_i32 s6, s24, s44
	s_add_i32 s6, s53, s6
	s_mul_i32 s6, s6, s12
	s_sub_i32 s44, 1, s6
	s_mov_b64 s[6:7], 0
	s_branch .LBB233_8
.LBB233_7:
	s_mov_b64 s[6:7], -1
                                        ; implicit-def: $sgpr44
.LBB233_8:
	s_load_dwordx2 s[38:39], s[0:1], 0x38
	s_ashr_i32 s13, s13, 31
	s_andn2_b64 vcc, exec, s[6:7]
	s_ashr_i32 s27, s27, 31
	s_cbranch_vccnz .LBB233_10
; %bb.9:
	s_mul_i32 s6, s5, s24
	s_add_i32 s6, s6, s2
	s_mul_i32 s6, s6, s12
	s_add_i32 s44, s6, 1
.LBB233_10:
	s_load_dwordx2 s[42:43], s[0:1], 0x28
	s_load_dword s6, s[0:1], 0x48
	s_load_dwordx4 s[28:31], s[0:1], 0x0
	s_load_dwordx2 s[34:35], s[0:1], 0x10
	s_load_dword s15, s[0:1], 0x98
	s_load_dwordx4 s[16:19], s[0:1], 0x68
	s_mul_i32 s7, s9, s37
	s_waitcnt lgkmcnt(0)
	s_mul_i32 s40, s36, s6
	s_sub_i32 s7, s8, s7
	s_ashr_i32 s41, s40, 31
	s_xor_b32 s6, s13, s27
	s_add_i32 s8, s9, 1
	s_sub_i32 s12, s7, s37
	s_cmp_ge_u32 s7, s37
	s_cselect_b32 s8, s8, s9
	s_cselect_b32 s7, s12, s7
	s_add_i32 s9, s8, 1
	s_cmp_ge_u32 s7, s37
	s_cselect_b32 s7, s9, s8
	s_xor_b32 s7, s7, s6
	s_sub_i32 s52, s7, s6
	s_add_i32 s6, s33, 31
	s_ashr_i32 s7, s6, 31
	s_lshr_b32 s7, s7, 27
	s_add_i32 s6, s6, s7
	s_lshl_b32 s55, s4, 4
	s_ashr_i32 s51, s6, 5
	s_add_i32 s6, s55, 16
	v_lshrrev_b32_e32 v39, 6, v0
	s_min_i32 s24, s6, s51
	v_or_b32_e32 v30, s55, v39
	v_cmp_gt_i32_e64 s[6:7], s24, v30
	v_mov_b32_e32 v43, 0xff7fffff
	s_mul_i32 s53, s53, s22
	v_ashrrev_i32_e32 v31, 31, v30
	v_lshl_add_u32 v1, v39, 5, s54
	v_mbcnt_lo_u32_b32 v40, -1, 0
	s_and_saveexec_b64 s[22:23], s[6:7]
	s_cbranch_execz .LBB233_20
; %bb.11:
	s_load_dwordx2 s[0:1], s[0:1], 0x20
	s_sub_i32 s56, s52, s25
	s_ashr_i32 s8, s53, 31
	v_bfe_u32 v41, v0, 1, 5
	v_mov_b32_e32 v33, 0
	s_waitcnt lgkmcnt(0)
	s_add_u32 s0, s0, s53
	s_addc_u32 s1, s1, s8
	s_abs_i32 s57, s26
	v_cvt_f32_u32_e32 v3, s57
	v_lshlrev_b32_e32 v32, 4, v41
	v_lshl_add_u64 v[34:35], s[0:1], 0, v[32:33]
	s_sub_i32 s0, 0, s57
	v_rcp_iflag_f32_e32 v3, v3
	v_cmp_eq_u32_e32 vcc, 0, v2
	v_lshlrev_b32_e32 v42, 8, v2
	v_lshlrev_b32_e32 v32, 1, v2
	v_mul_f32_e32 v3, 0x4f7ffffe, v3
	v_cvt_u32_f32_e32 v3, v3
	v_mbcnt_hi_u32_b32 v49, -1, v40
	s_mov_b32 s58, s21
	v_cmp_neq_f32_e64 s[8:9], s3, 0
	v_mul_lo_u32 v2, s0, v3
	v_mul_hi_u32 v2, v3, v2
	v_add_u32_e32 v44, v3, v2
	v_lshlrev_b32_e32 v2, 2, v41
	s_lshl_b64 s[0:1], s[40:41], 2
	v_lshl_or_b32 v2, v39, 7, v2
	s_add_u32 s0, s38, s0
	v_add_u32_e32 v46, 0x210, v2
	v_subrev_u32_e32 v2, s33, v41
	s_addc_u32 s1, s39, s1
	v_add_u32_e32 v47, 1, v2
	v_and_b32_e32 v2, 64, v49
	v_lshl_add_u64 v[36:37], v[30:31], 2, s[0:1]
	v_lshl_add_u32 v45, v39, 5, s54
	s_mov_b64 s[46:47], 0
	v_mov_b32_e32 v48, 0xff7fffff
	v_xor_b32_e32 v50, 1, v49
	v_add_u32_e32 v51, 64, v2
	v_mov_b32_e32 v43, 0xff7fffff
	v_mov_b32_e32 v52, v30
	s_branch .LBB233_14
.LBB233_12:                             ;   in Loop: Header=BB233_14 Depth=1
	s_or_b64 exec, exec, s[48:49]
.LBB233_13:                             ;   in Loop: Header=BB233_14 Depth=1
	s_or_b64 exec, exec, s[12:13]
	v_add_u32_e32 v52, 2, v52
	v_cmp_le_i32_e64 s[0:1], s24, v52
	v_lshl_add_u64 v[36:37], v[36:37], 0, 8
	v_add_u32_e32 v45, 64, v45
	s_or_b64 s[46:47], s[0:1], s[46:47]
	v_add_u32_e32 v46, 0x100, v46
	s_andn2_b64 exec, exec, s[46:47]
	s_cbranch_execz .LBB233_19
.LBB233_14:                             ; =>This Inner Loop Header: Depth=1
	s_waitcnt lgkmcnt(0)
	v_sub_u32_e32 v3, 0, v45
	v_max_i32_e32 v3, v45, v3
	v_mul_hi_u32 v4, v3, s50
	v_mul_lo_u32 v5, v4, s37
	v_sub_u32_e32 v3, v3, v5
	v_add_u32_e32 v5, 1, v4
	v_cmp_le_u32_e64 s[0:1], s37, v3
	v_ashrrev_i32_e32 v2, 31, v45
	v_xor_b32_e32 v2, s27, v2
	v_cndmask_b32_e64 v4, v4, v5, s[0:1]
	v_subrev_u32_e32 v5, s37, v3
	v_cndmask_b32_e64 v3, v3, v5, s[0:1]
	v_add_u32_e32 v5, 1, v4
	v_cmp_le_u32_e64 s[0:1], s37, v3
	s_nop 1
	v_cndmask_b32_e64 v3, v4, v5, s[0:1]
	v_xor_b32_e32 v3, v3, v2
	v_sub_u32_e32 v2, v3, v2
	v_add_u32_e32 v3, s44, v2
	v_sub_u32_e32 v5, 0, v3
	v_ashrrev_i32_e32 v4, 31, v3
	v_max_i32_e32 v3, v3, v5
	v_mul_hi_u32 v5, v3, v44
	v_mul_lo_u32 v5, v5, s57
	v_sub_u32_e32 v3, v3, v5
	v_subrev_u32_e32 v5, s57, v3
	v_cmp_le_u32_e64 s[0:1], s57, v3
	v_cmp_ge_i32_e64 s[12:13], s56, v2
	s_nop 0
	v_cndmask_b32_e64 v3, v3, v5, s[0:1]
	v_subrev_u32_e32 v5, s57, v3
	v_cmp_le_u32_e64 s[0:1], s57, v3
	s_nop 1
	v_cndmask_b32_e64 v3, v3, v5, s[0:1]
	v_xor_b32_e32 v3, v3, v4
	v_sub_u32_e32 v3, v3, v4
	v_cmp_ne_u32_e64 s[0:1], 0, v3
	s_and_b64 s[0:1], s[0:1], s[12:13]
	s_and_b64 s[48:49], vcc, s[0:1]
	s_and_saveexec_b64 s[12:13], s[48:49]
	s_cbranch_execz .LBB233_16
; %bb.15:                               ;   in Loop: Header=BB233_14 Depth=1
	ds_write_b32 v46, v48
.LBB233_16:                             ;   in Loop: Header=BB233_14 Depth=1
	s_or_b64 exec, exec, s[12:13]
	s_xor_b64 s[0:1], s[0:1], -1
	s_and_saveexec_b64 s[12:13], s[0:1]
	s_cbranch_execz .LBB233_13
; %bb.17:                               ;   in Loop: Header=BB233_14 Depth=1
	global_load_dword v2, v[36:37], off
	s_waitcnt vmcnt(0)
	v_mad_i64_i32 v[2:3], s[0:1], v2, s58, v[34:35]
	v_lshl_add_u64 v[14:15], v[2:3], 0, v[32:33]
	global_load_ushort v2, v[14:15], off
	global_load_ushort v3, v[14:15], off offset:4
	global_load_ushort v61, v[14:15], off offset:8
	;; [unrolled: 1-line block ×12, first 2 shown]
	ds_read_b128 v[16:19], v42
	ds_read_b128 v[20:23], v42 offset:16
	global_load_ushort v77, v[14:15], off offset:1540
	global_load_ushort v78, v[14:15], off offset:1544
	ds_read_b128 v[24:27], v42 offset:32
	ds_read_b128 v[6:9], v42 offset:48
	s_load_dword s20, s[16:17], 0x0
	global_load_ushort v79, v[14:15], off offset:1548
	global_load_ushort v80, v[14:15], off offset:2048
	v_cmp_lt_i32_e64 s[0:1], v50, v51
	s_waitcnt vmcnt(16)
	v_cvt_pk_f32_fp8_e32 v[28:29], v2
	s_waitcnt vmcnt(15)
	v_cvt_pk_f32_fp8_e32 v[54:55], v3
	ds_read_b128 v[10:13], v42 offset:64
	ds_read_b128 v[2:5], v42 offset:80
	global_load_ushort v81, v[14:15], off offset:2052
	s_waitcnt lgkmcnt(0)
	v_pk_mul_f32 v[28:29], s[20:21], v[28:29] op_sel_hi:[0,1]
	v_pk_mul_f32 v[54:55], s[20:21], v[54:55] op_sel_hi:[0,1]
	v_mul_f32_e32 v53, v18, v54
	v_mul_f32_e32 v54, v19, v55
	v_fmac_f32_e32 v53, v16, v28
	v_fmac_f32_e32 v54, v17, v29
	global_load_ushort v56, v[14:15], off offset:2056
	global_load_ushort v57, v[14:15], off offset:2060
	;; [unrolled: 1-line block ×6, first 2 shown]
	s_waitcnt vmcnt(21)
	v_cvt_pk_f32_fp8_e32 v[16:17], v61
	s_waitcnt vmcnt(20)
	v_cvt_pk_f32_fp8_e32 v[18:19], v62
	;; [unrolled: 2-line block ×4, first 2 shown]
	v_pk_mul_f32 v[16:17], s[20:21], v[16:17] op_sel_hi:[0,1]
	v_pk_mul_f32 v[18:19], s[20:21], v[18:19] op_sel_hi:[0,1]
	v_fmac_f32_e32 v53, v20, v16
	v_fmac_f32_e32 v54, v21, v17
	;; [unrolled: 1-line block ×4, first 2 shown]
	v_pk_mul_f32 v[18:19], s[20:21], v[28:29] op_sel_hi:[0,1]
	global_load_ushort v67, v[14:15], off offset:3072
	global_load_ushort v61, v[14:15], off offset:3076
	;; [unrolled: 1-line block ×7, first 2 shown]
	v_pk_mul_f32 v[20:21], s[20:21], v[68:69] op_sel_hi:[0,1]
	v_fmac_f32_e32 v53, v24, v18
	v_fmac_f32_e32 v54, v25, v19
	;; [unrolled: 1-line block ×4, first 2 shown]
	ds_read_b128 v[18:21], v42 offset:96
	ds_read_b128 v[22:25], v42 offset:112
	global_load_ushort v82, v[14:15], off offset:3596
	s_waitcnt vmcnt(25)
	v_cvt_pk_f32_fp8_e32 v[16:17], v70
	s_waitcnt vmcnt(24)
	v_cvt_pk_f32_fp8_e32 v[14:15], v71
	;; [unrolled: 2-line block ×4, first 2 shown]
	v_pk_mul_f32 v[16:17], s[20:21], v[16:17] op_sel_hi:[0,1]
	v_fmac_f32_e32 v53, v6, v16
	v_fmac_f32_e32 v54, v7, v17
	v_cvt_pk_f32_fp8_e32 v[6:7], v72
	v_cvt_pk_f32_fp8_e32 v[16:17], v73
	v_pk_mul_f32 v[14:15], s[20:21], v[14:15] op_sel_hi:[0,1]
	v_fmac_f32_e32 v53, v8, v14
	v_fmac_f32_e32 v54, v9, v15
	v_cvt_pk_f32_fp8_e32 v[8:9], v74
	v_pk_mul_f32 v[6:7], s[20:21], v[6:7] op_sel_hi:[0,1]
	v_fmac_f32_e32 v53, v10, v6
	v_fmac_f32_e32 v54, v11, v7
	;; [unrolled: 4-line block ×3, first 2 shown]
	v_pk_mul_f32 v[6:7], s[20:21], v[8:9] op_sel_hi:[0,1]
	v_pk_mul_f32 v[8:9], s[20:21], v[68:69] op_sel_hi:[0,1]
	v_fmac_f32_e32 v53, v2, v6
	v_fmac_f32_e32 v54, v3, v7
	v_cvt_pk_f32_fp8_e32 v[12:13], v77
	v_fmac_f32_e32 v53, v4, v8
	v_fmac_f32_e32 v54, v5, v9
	v_cvt_pk_f32_fp8_e32 v[68:69], v78
	v_pk_mul_f32 v[10:11], s[20:21], v[10:11] op_sel_hi:[0,1]
	s_waitcnt lgkmcnt(1)
	v_fmac_f32_e32 v53, v18, v10
	v_fmac_f32_e32 v54, v19, v11
	v_cvt_pk_f32_fp8_e32 v[10:11], v79
	ds_read_b128 v[26:29], v42 offset:128
	ds_read_b128 v[14:17], v42 offset:144
	v_pk_mul_f32 v[12:13], s[20:21], v[12:13] op_sel_hi:[0,1]
	v_fmac_f32_e32 v53, v20, v12
	v_fmac_f32_e32 v54, v21, v13
	v_pk_mul_f32 v[12:13], s[20:21], v[68:69] op_sel_hi:[0,1]
	v_pk_mul_f32 v[10:11], s[20:21], v[10:11] op_sel_hi:[0,1]
	s_waitcnt lgkmcnt(2)
	v_fmac_f32_e32 v53, v22, v12
	v_fmac_f32_e32 v54, v23, v13
	;; [unrolled: 1-line block ×4, first 2 shown]
	v_pk_mul_f32 v[22:23], s[20:21], v[70:71] op_sel_hi:[0,1]
	ds_read_b128 v[6:9], v42 offset:160
	ds_read_b128 v[2:5], v42 offset:176
	s_waitcnt lgkmcnt(3)
	v_fmac_f32_e32 v53, v26, v22
	v_fmac_f32_e32 v54, v27, v23
	ds_read_b128 v[10:13], v42 offset:192
	ds_read_b128 v[18:21], v42 offset:208
	v_cndmask_b32_e64 v74, v49, v50, s[0:1]
	v_lshlrev_b32_e32 v74, 2, v74
	s_waitcnt vmcnt(14)
	v_cvt_pk_f32_fp8_e32 v[72:73], v81
	s_waitcnt vmcnt(13)
	v_cvt_pk_f32_fp8_e32 v[68:69], v56
	;; [unrolled: 2-line block ×4, first 2 shown]
	v_pk_mul_f32 v[24:25], s[20:21], v[72:73] op_sel_hi:[0,1]
	s_waitcnt vmcnt(10)
	v_cvt_pk_f32_fp8_e32 v[58:59], v59
	v_fmac_f32_e32 v53, v28, v24
	v_fmac_f32_e32 v54, v29, v25
	s_waitcnt vmcnt(9)
	v_cvt_pk_f32_fp8_e32 v[72:73], v60
	v_pk_mul_f32 v[68:69], s[20:21], v[68:69] op_sel_hi:[0,1]
	s_waitcnt lgkmcnt(4)
	v_fmac_f32_e32 v53, v14, v68
	v_fmac_f32_e32 v54, v15, v69
	s_waitcnt vmcnt(8)
	v_cvt_pk_f32_fp8_e32 v[14:15], v55
	v_pk_mul_f32 v[56:57], s[20:21], v[56:57] op_sel_hi:[0,1]
	s_waitcnt vmcnt(7)
	v_cvt_pk_f32_fp8_e32 v[68:69], v67
	v_fmac_f32_e32 v53, v16, v56
	v_fmac_f32_e32 v54, v17, v57
	v_pk_mul_f32 v[70:71], s[20:21], v[70:71] op_sel_hi:[0,1]
	s_waitcnt vmcnt(6)
	v_cvt_pk_f32_fp8_e32 v[16:17], v61
	s_waitcnt lgkmcnt(3)
	v_fmac_f32_e32 v53, v6, v70
	v_fmac_f32_e32 v54, v7, v71
	v_pk_mul_f32 v[58:59], s[20:21], v[58:59] op_sel_hi:[0,1]
	s_waitcnt vmcnt(5)
	v_cvt_pk_f32_fp8_e32 v[56:57], v62
	v_pk_mul_f32 v[70:71], s[20:21], v[72:73] op_sel_hi:[0,1]
	v_fmac_f32_e32 v53, v8, v58
	v_fmac_f32_e32 v54, v9, v59
	s_waitcnt vmcnt(4)
	v_cvt_pk_f32_fp8_e32 v[60:61], v63
	v_pk_mul_f32 v[14:15], s[20:21], v[14:15] op_sel_hi:[0,1]
	s_waitcnt lgkmcnt(2)
	v_fmac_f32_e32 v53, v2, v70
	v_fmac_f32_e32 v54, v3, v71
	s_waitcnt vmcnt(3)
	v_cvt_pk_f32_fp8_e32 v[62:63], v64
	v_pk_mul_f32 v[68:69], s[20:21], v[68:69] op_sel_hi:[0,1]
	v_fmac_f32_e32 v53, v4, v14
	v_fmac_f32_e32 v54, v5, v15
	ds_read_b128 v[22:25], v42 offset:224
	ds_read_b128 v[26:29], v42 offset:240
	s_waitcnt vmcnt(2)
	v_cvt_pk_f32_fp8_e32 v[64:65], v65
	v_pk_mul_f32 v[16:17], s[20:21], v[16:17] op_sel_hi:[0,1]
	s_waitcnt lgkmcnt(3)
	v_fmac_f32_e32 v53, v10, v68
	v_fmac_f32_e32 v54, v11, v69
	s_waitcnt vmcnt(1)
	v_cvt_pk_f32_fp8_e32 v[66:67], v66
	v_pk_mul_f32 v[56:57], s[20:21], v[56:57] op_sel_hi:[0,1]
	v_fmac_f32_e32 v53, v16, v12
	v_fmac_f32_e32 v54, v17, v13
	s_waitcnt vmcnt(0)
	v_cvt_pk_f32_fp8_e32 v[6:7], v82
	v_pk_mul_f32 v[60:61], s[20:21], v[60:61] op_sel_hi:[0,1]
	s_waitcnt lgkmcnt(2)
	v_fmac_f32_e32 v53, v56, v18
	v_fmac_f32_e32 v54, v57, v19
	v_pk_mul_f32 v[62:63], s[20:21], v[62:63] op_sel_hi:[0,1]
	v_fmac_f32_e32 v53, v60, v20
	v_fmac_f32_e32 v54, v61, v21
	v_pk_mul_f32 v[64:65], s[20:21], v[64:65] op_sel_hi:[0,1]
	s_waitcnt lgkmcnt(1)
	v_fmac_f32_e32 v53, v62, v22
	v_fmac_f32_e32 v54, v63, v23
	v_pk_mul_f32 v[66:67], s[20:21], v[66:67] op_sel_hi:[0,1]
	v_fmac_f32_e32 v53, v64, v24
	v_fmac_f32_e32 v54, v65, v25
	v_pk_mul_f32 v[6:7], s[20:21], v[6:7] op_sel_hi:[0,1]
	s_waitcnt lgkmcnt(0)
	v_fmac_f32_e32 v53, v66, v26
	v_fmac_f32_e32 v54, v67, v27
	;; [unrolled: 1-line block ×4, first 2 shown]
	v_add_f32_e32 v2, v53, v54
	ds_bpermute_b32 v3, v74, v2
	s_and_saveexec_b64 s[48:49], vcc
	s_cbranch_execz .LBB233_12
; %bb.18:                               ;   in Loop: Header=BB233_14 Depth=1
	v_add_u32_e32 v4, v47, v45
	v_cvt_f32_i32_e32 v4, v4
	s_waitcnt lgkmcnt(0)
	v_add_f32_e32 v2, v2, v3
	v_add_u32_e32 v5, v41, v45
	v_cmp_gt_i32_e64 s[0:1], s33, v5
	v_mul_f32_e32 v3, s3, v4
	v_cndmask_b32_e64 v3, 0, v3, s[8:9]
	v_fmac_f32_e32 v3, s45, v2
	v_cndmask_b32_e64 v2, 0, v3, s[0:1]
	ds_write_b32 v46, v2
	v_max_f32_e32 v2, v43, v43
	v_max_f32_e32 v2, v2, v3
	v_cndmask_b32_e64 v43, v43, v2, s[0:1]
	s_branch .LBB233_12
.LBB233_19:
	s_or_b64 exec, exec, s[46:47]
.LBB233_20:
	s_or_b64 exec, exec, s[22:23]
	v_mbcnt_hi_u32_b32 v4, -1, v40
	v_and_b32_e32 v2, 64, v4
	v_add_u32_e32 v8, 64, v2
	v_xor_b32_e32 v2, 32, v4
	v_cmp_lt_i32_e32 vcc, v2, v8
	v_xor_b32_e32 v6, 16, v4
	v_max_f32_e32 v5, v43, v43
	v_cndmask_b32_e32 v2, v4, v2, vcc
	v_lshlrev_b32_e32 v2, 2, v2
	s_waitcnt lgkmcnt(0)
	ds_bpermute_b32 v3, v2, v43
	v_cmp_lt_i32_e32 vcc, v6, v8
	v_xor_b32_e32 v7, 8, v4
	v_xor_b32_e32 v9, 4, v4
	v_and_b32_e32 v94, 63, v0
	s_waitcnt lgkmcnt(0)
	v_max_f32_e32 v3, v3, v3
	v_max_f32_e32 v5, v5, v3
	v_cndmask_b32_e32 v3, v4, v6, vcc
	v_lshlrev_b32_e32 v3, 2, v3
	ds_bpermute_b32 v6, v3, v5
	v_cmp_lt_i32_e32 vcc, v7, v8
	s_waitcnt lgkmcnt(0)
	v_max_f32_e32 v6, v6, v6
	v_max_f32_e32 v6, v5, v6
	v_cndmask_b32_e32 v5, v4, v7, vcc
	v_lshlrev_b32_e32 v5, 2, v5
	ds_bpermute_b32 v7, v5, v6
	v_cmp_lt_i32_e32 vcc, v9, v8
	s_waitcnt lgkmcnt(0)
	v_max_f32_e32 v7, v7, v7
	v_max_f32_e32 v6, v6, v7
	v_cndmask_b32_e32 v7, v4, v9, vcc
	v_lshlrev_b32_e32 v96, 2, v7
	ds_bpermute_b32 v7, v96, v6
	v_xor_b32_e32 v9, 2, v4
	v_cmp_lt_i32_e32 vcc, v9, v8
	s_waitcnt lgkmcnt(0)
	v_max_f32_e32 v7, v7, v7
	v_max_f32_e32 v7, v6, v7
	v_cndmask_b32_e32 v6, v4, v9, vcc
	v_lshlrev_b32_e32 v95, 2, v6
	ds_bpermute_b32 v9, v95, v7
	v_cmp_eq_u32_e32 vcc, 0, v94
	v_lshlrev_b32_e32 v6, 2, v39
	s_and_saveexec_b64 s[0:1], vcc
	s_cbranch_execz .LBB233_22
; %bb.21:
	s_waitcnt lgkmcnt(0)
	v_max_f32_e32 v9, v9, v9
	v_max_f32_e32 v7, v7, v7
	;; [unrolled: 1-line block ×3, first 2 shown]
	ds_write_b32 v6, v7 offset:512
.LBB233_22:
	s_or_b64 exec, exec, s[0:1]
	v_cmp_gt_u32_e64 s[0:1], 2, v94
	s_waitcnt lgkmcnt(0)
	v_mov_b32_e32 v9, 0xff7fffff
	v_lshlrev_b32_e32 v7, 2, v94
	s_barrier
	s_and_saveexec_b64 s[8:9], s[0:1]
	s_cbranch_execz .LBB233_24
; %bb.23:
	ds_read_b32 v9, v7 offset:512
.LBB233_24:
	s_or_b64 exec, exec, s[8:9]
	v_xor_b32_e32 v10, 1, v4
	v_cmp_lt_i32_e64 s[8:9], v10, v8
	s_sub_i32 s3, s24, s55
	s_lshl_b32 s3, s3, 5
	v_cndmask_b32_e64 v8, v4, v10, s[8:9]
	v_lshlrev_b32_e32 v97, 2, v8
	s_waitcnt lgkmcnt(0)
	ds_bpermute_b32 v8, v97, v9
	v_max_f32_e32 v9, v9, v9
	v_lshlrev_b32_e32 v4, 2, v4
	s_add_i32 s3, s3, s54
	s_min_i32 s20, s3, s33
	s_waitcnt lgkmcnt(0)
	v_max_f32_e32 v8, v8, v8
	v_max_f32_e32 v9, v9, v8
	v_and_b32_e32 v8, 0x100, v4
	ds_bpermute_b32 v4, v8, v9
	s_sub_i32 s3, s20, s54
	v_cmp_gt_i32_e64 s[8:9], s3, v0
	v_mov_b32_e32 v9, 0
	s_and_saveexec_b64 s[16:17], s[8:9]
	s_cbranch_execz .LBB233_28
; %bb.25:
	v_mov_b32_e32 v9, 0x210
	v_lshl_add_u32 v10, v0, 2, v9
	s_mov_b64 s[22:23], 0
	v_mov_b32_e32 v9, 0
	v_mov_b32_e32 v11, v0
.LBB233_26:                             ; =>This Inner Loop Header: Depth=1
	ds_read_b32 v12, v10
	v_add_u32_e32 v11, 0x80, v11
	v_cmp_le_i32_e64 s[12:13], s3, v11
	s_or_b64 s[22:23], s[12:13], s[22:23]
	s_waitcnt lgkmcnt(0)
	v_sub_f32_e32 v12, v12, v4
	v_mul_f32_e32 v12, 0x3fb8aa3b, v12
	v_exp_f32_e32 v12, v12
	ds_write_b32 v10, v12
	v_add_f32_e32 v9, v9, v12
	v_add_u32_e32 v10, 0x200, v10
	s_andn2_b64 exec, exec, s[22:23]
	s_cbranch_execnz .LBB233_26
; %bb.27:
	s_or_b64 exec, exec, s[22:23]
.LBB233_28:
	s_or_b64 exec, exec, s[16:17]
	ds_bpermute_b32 v2, v2, v9
	s_waitcnt lgkmcnt(0)
	v_add_f32_e32 v2, v9, v2
	ds_bpermute_b32 v3, v3, v2
	s_waitcnt lgkmcnt(0)
	v_add_f32_e32 v2, v2, v3
	;; [unrolled: 3-line block ×6, first 2 shown]
	s_and_saveexec_b64 s[12:13], vcc
	s_cbranch_execz .LBB233_30
; %bb.29:
	ds_write_b32 v6, v2 offset:520
.LBB233_30:
	s_or_b64 exec, exec, s[12:13]
	s_waitcnt lgkmcnt(0)
	s_barrier
	s_and_saveexec_b64 s[12:13], s[0:1]
	s_cbranch_execz .LBB233_32
; %bb.31:
	ds_read_b32 v2, v7 offset:520
.LBB233_32:
	s_or_b64 exec, exec, s[12:13]
	s_waitcnt lgkmcnt(0)
	ds_bpermute_b32 v3, v97, v2
	s_waitcnt lgkmcnt(0)
	v_add_f32_e32 v2, v2, v3
	ds_bpermute_b32 v5, v8, v2
	s_and_saveexec_b64 s[0:1], s[8:9]
	s_cbranch_execz .LBB233_45
; %bb.33:
	s_waitcnt lgkmcnt(0)
	v_add_f32_e32 v2, 0x358637bd, v5
	v_div_scale_f32 v3, s[8:9], v2, v2, 1.0
	v_rcp_f32_e32 v6, v3
	v_div_scale_f32 v7, vcc, 1.0, v2, 1.0
	s_movk_i32 s8, 0x7f
	v_fma_f32 v8, -v3, v6, 1.0
	v_fmac_f32_e32 v6, v8, v6
	v_mul_f32_e32 v8, v7, v6
	v_fma_f32 v9, -v3, v8, v7
	v_fmac_f32_e32 v8, v9, v6
	v_fma_f32 v3, -v3, v8, v7
	v_div_fmas_f32 v3, v3, v6, v8
	v_div_fixup_f32 v2, v3, v2, 1.0
	v_xad_u32 v3, v0, -1, s20
	v_subrev_u32_e32 v6, s54, v3
	v_cmp_lt_u32_e32 vcc, s8, v6
	s_mov_b64 s[12:13], -1
	v_mov_b32_e32 v3, v0
	s_and_saveexec_b64 s[8:9], vcc
	s_cbranch_execz .LBB233_42
; %bb.34:
	v_lshrrev_b32_e32 v6, 7, v6
	v_add_u32_e32 v8, -1, v6
	v_lshrrev_b32_e32 v7, 1, v8
	v_mov_b32_e32 v3, v2
	v_add_u32_e32 v7, 1, v7
	v_cmp_lt_u32_e32 vcc, 13, v8
	v_mov_b32_e32 v10, 0
	s_and_saveexec_b64 s[12:13], vcc
	s_cbranch_execz .LBB233_38
; %bb.35:
	v_mov_b32_e32 v9, 0x210
	v_and_b32_e32 v8, -8, v7
	v_lshl_add_u32 v9, v0, 2, v9
	s_mov_b32 s20, 0
	s_mov_b64 s[16:17], 0
.LBB233_36:                             ; =>This Inner Loop Header: Depth=1
	ds_read2st64_b32 v[10:11], v9 offset1:2
	ds_read2st64_b32 v[12:13], v9 offset0:4 offset1:6
	ds_read2st64_b32 v[14:15], v9 offset0:8 offset1:10
	;; [unrolled: 1-line block ×3, first 2 shown]
	v_add_u32_e32 v8, -8, v8
	s_waitcnt lgkmcnt(3)
	v_pk_mul_f32 v[10:11], v[2:3], v[10:11]
	s_waitcnt lgkmcnt(2)
	v_pk_mul_f32 v[12:13], v[2:3], v[12:13]
	ds_write2st64_b32 v9, v10, v11 offset1:2
	ds_write2st64_b32 v9, v12, v13 offset0:4 offset1:6
	ds_read2st64_b32 v[12:13], v9 offset0:16 offset1:18
	s_waitcnt lgkmcnt(4)
	v_pk_mul_f32 v[10:11], v[2:3], v[14:15]
	ds_write2st64_b32 v9, v10, v11 offset0:8 offset1:10
	s_waitcnt lgkmcnt(4)
	v_pk_mul_f32 v[10:11], v[2:3], v[16:17]
	ds_write2st64_b32 v9, v10, v11 offset0:12 offset1:14
	ds_read2st64_b32 v[10:11], v9 offset0:20 offset1:22
	s_waitcnt lgkmcnt(3)
	v_pk_mul_f32 v[12:13], v[2:3], v[12:13]
	ds_read2st64_b32 v[14:15], v9 offset0:24 offset1:26
	ds_write2st64_b32 v9, v12, v13 offset0:16 offset1:18
	ds_read2st64_b32 v[12:13], v9 offset0:28 offset1:30
	s_waitcnt lgkmcnt(3)
	v_pk_mul_f32 v[10:11], v[2:3], v[10:11]
	ds_write2st64_b32 v9, v10, v11 offset0:20 offset1:22
	s_waitcnt lgkmcnt(3)
	v_pk_mul_f32 v[10:11], v[2:3], v[14:15]
	ds_write2st64_b32 v9, v10, v11 offset0:24 offset1:26
	s_waitcnt lgkmcnt(2)
	v_pk_mul_f32 v[10:11], v[2:3], v[12:13]
	s_add_i32 s20, s20, 16
	v_cmp_eq_u32_e32 vcc, 0, v8
	ds_write2st64_b32 v9, v10, v11 offset0:28 offset1:30
	v_add_u32_e32 v9, 0x2000, v9
	s_or_b64 s[16:17], vcc, s[16:17]
	v_mov_b32_e32 v10, s20
	s_andn2_b64 exec, exec, s[16:17]
	s_cbranch_execnz .LBB233_36
; %bb.37:
	s_or_b64 exec, exec, s[16:17]
.LBB233_38:
	s_or_b64 exec, exec, s[12:13]
	v_and_b32_e32 v7, 7, v7
	v_cmp_ne_u32_e32 vcc, 0, v7
	s_and_saveexec_b64 s[12:13], vcc
	s_cbranch_execz .LBB233_41
; %bb.39:
	v_lshlrev_b32_e32 v8, 9, v10
	s_movk_i32 s16, 0x210
	v_add3_u32 v8, v8, v38, s16
	s_mov_b64 s[16:17], 0
.LBB233_40:                             ; =>This Inner Loop Header: Depth=1
	ds_read2st64_b32 v[10:11], v8 offset1:2
	v_add_u32_e32 v7, -1, v7
	v_cmp_eq_u32_e32 vcc, 0, v7
	s_or_b64 s[16:17], vcc, s[16:17]
	s_waitcnt lgkmcnt(0)
	v_pk_mul_f32 v[10:11], v[2:3], v[10:11]
	ds_write2st64_b32 v8, v10, v11 offset1:2
	v_add_u32_e32 v8, 0x400, v8
	s_andn2_b64 exec, exec, s[16:17]
	s_cbranch_execnz .LBB233_40
.LBB233_41:
	s_or_b64 exec, exec, s[12:13]
	v_add_u32_e32 v6, 1, v6
	v_and_b32_e32 v7, 0x3fffffe, v6
	v_cmp_ne_u32_e32 vcc, v6, v7
	v_lshl_add_u32 v3, v7, 7, v0
	s_orn2_b64 s[12:13], vcc, exec
.LBB233_42:
	s_or_b64 exec, exec, s[8:9]
	s_and_b64 exec, exec, s[12:13]
	s_cbranch_execz .LBB233_45
; %bb.43:
	v_mov_b32_e32 v6, 0x210
	v_lshl_add_u32 v6, v3, 2, v6
	s_mov_b64 s[8:9], 0
.LBB233_44:                             ; =>This Inner Loop Header: Depth=1
	ds_read_b32 v7, v6
	v_add_u32_e32 v3, 0x80, v3
	v_cmp_le_i32_e32 vcc, s3, v3
	s_or_b64 s[8:9], vcc, s[8:9]
	s_waitcnt lgkmcnt(0)
	v_mul_f32_e32 v7, v2, v7
	ds_write_b32 v6, v7
	v_add_u32_e32 v6, 0x200, v6
	s_andn2_b64 exec, exec, s[8:9]
	s_cbranch_execnz .LBB233_44
.LBB233_45:
	s_or_b64 exec, exec, s[0:1]
	s_mul_i32 s0, s15, s36
	v_cmp_eq_u32_e32 vcc, 0, v0
	s_mul_i32 s8, s0, s5
	s_waitcnt lgkmcnt(0)
	s_barrier
	s_and_saveexec_b64 s[0:1], vcc
	s_cbranch_execz .LBB233_47
; %bb.46:
	s_ashr_i32 s9, s8, 31
	s_lshl_b64 s[12:13], s[8:9], 2
	s_add_u32 s5, s30, s12
	s_mul_i32 s2, s15, s2
	s_addc_u32 s9, s31, s13
	s_ashr_i32 s3, s2, 31
	s_lshl_b64 s[2:3], s[2:3], 2
	s_add_u32 s20, s5, s2
	s_addc_u32 s9, s9, s3
	s_ashr_i32 s5, s4, 31
	s_lshl_b64 s[16:17], s[4:5], 2
	s_add_u32 s22, s20, s16
	s_addc_u32 s23, s9, s17
	s_add_u32 s5, s28, s12
	s_addc_u32 s9, s29, s13
	;; [unrolled: 2-line block ×3, first 2 shown]
	s_add_u32 s2, s2, s16
	v_mov_b32_e32 v2, 0
	s_addc_u32 s3, s3, s17
	global_store_dword v2, v4, s[22:23]
	global_store_dword v2, v5, s[2:3]
.LBB233_47:
	s_or_b64 exec, exec, s[0:1]
	v_mov_b32_e32 v20, 0
	v_and_b32_e32 v98, 7, v0
	v_mov_b32_e32 v21, 0
	v_mov_b32_e32 v18, 0
	;; [unrolled: 1-line block ×15, first 2 shown]
	s_and_saveexec_b64 s[2:3], s[6:7]
	s_cbranch_execz .LBB233_85
; %bb.48:
	s_sub_i32 s5, s52, s25
	s_ashr_i32 s0, s53, 31
	s_add_u32 s6, s42, s53
	s_addc_u32 s7, s43, s0
	s_abs_i32 s9, s26
	v_cvt_f32_u32_e32 v2, s9
	s_sub_i32 s0, 0, s9
	s_add_i32 s51, s51, -1
	v_mov_b32_e32 v23, 0
	v_rcp_iflag_f32_e32 v2, v2
	v_and_b32_e32 v99, 28, v38
	s_mov_b32 s25, s21
	v_and_b32_e32 v22, 0xfc, v38
	v_mul_f32_e32 v2, 0x4f7ffffe, v2
	v_cvt_u32_f32_e32 v2, v2
	v_or_b32_e32 v24, 0xf00, v38
	v_mov_b32_e32 v25, v23
	s_mov_b64 s[12:13], 0
	v_mul_lo_u32 v3, s0, v2
	v_mul_hi_u32 v3, v2, v3
	s_lshl_b64 s[0:1], s[40:41], 2
	v_add_u32_e32 v100, v2, v3
	s_add_u32 s0, s38, s0
	v_lshlrev_b32_e32 v2, 4, v98
	s_addc_u32 s1, s39, s1
	v_lshl_or_b32 v2, v39, 7, v2
	v_lshl_add_u64 v[26:27], v[30:31], 2, s[0:1]
	v_add_u32_e32 v31, 0x210, v2
	v_mov_b32_e32 v7, v23
	v_mov_b32_e32 v6, v23
	;; [unrolled: 1-line block ×16, first 2 shown]
	s_branch .LBB233_51
.LBB233_49:                             ;   in Loop: Header=BB233_51 Depth=1
	s_or_b64 exec, exec, s[0:1]
	v_mul_f32_e32 v93, v3, v93
	v_mul_f32_e32 v89, v3, v89
	;; [unrolled: 1-line block ×16, first 2 shown]
	v_fmac_f32_e32 v93, v2, v92
	v_fmac_f32_e32 v89, v2, v88
	;; [unrolled: 1-line block ×48, first 2 shown]
	v_add_f32_e32 v6, v6, v93
	v_add_f32_e32 v9, v9, v89
	;; [unrolled: 1-line block ×16, first 2 shown]
.LBB233_50:                             ;   in Loop: Header=BB233_51 Depth=1
	s_or_b64 exec, exec, s[16:17]
	v_add_u32_e32 v30, 2, v30
	v_cmp_le_i32_e32 vcc, s24, v30
	v_lshl_add_u64 v[26:27], v[26:27], 0, 8
	v_add_u32_e32 v1, 64, v1
	s_or_b64 s[12:13], vcc, s[12:13]
	v_add_u32_e32 v31, 0x100, v31
	s_andn2_b64 exec, exec, s[12:13]
	s_cbranch_execz .LBB233_84
.LBB233_51:                             ; =>This Inner Loop Header: Depth=1
	v_sub_u32_e32 v3, 0, v1
	v_max_i32_e32 v3, v1, v3
	v_mul_hi_u32 v4, v3, s50
	v_mul_lo_u32 v5, v4, s37
	v_sub_u32_e32 v3, v3, v5
	v_add_u32_e32 v5, 1, v4
	v_cmp_le_u32_e32 vcc, s37, v3
	v_ashrrev_i32_e32 v2, 31, v1
	v_xor_b32_e32 v2, s27, v2
	v_cndmask_b32_e32 v4, v4, v5, vcc
	v_subrev_u32_e32 v5, s37, v3
	v_cndmask_b32_e32 v3, v3, v5, vcc
	v_add_u32_e32 v5, 1, v4
	v_cmp_le_u32_e32 vcc, s37, v3
	s_nop 1
	v_cndmask_b32_e32 v3, v4, v5, vcc
	v_xor_b32_e32 v3, v3, v2
	v_sub_u32_e32 v2, v3, v2
	v_add_u32_e32 v3, s44, v2
	v_sub_u32_e32 v5, 0, v3
	v_ashrrev_i32_e32 v4, 31, v3
	v_max_i32_e32 v3, v3, v5
	v_mul_hi_u32 v5, v3, v100
	v_mul_lo_u32 v5, v5, s9
	v_sub_u32_e32 v3, v3, v5
	v_subrev_u32_e32 v5, s9, v3
	v_cmp_le_u32_e32 vcc, s9, v3
	v_cmp_lt_i32_e64 s[0:1], s5, v2
	s_nop 0
	v_cndmask_b32_e32 v3, v3, v5, vcc
	v_subrev_u32_e32 v5, s9, v3
	v_cmp_le_u32_e32 vcc, s9, v3
	s_nop 1
	v_cndmask_b32_e32 v3, v3, v5, vcc
	v_xor_b32_e32 v3, v3, v4
	v_sub_u32_e32 v3, v3, v4
	v_cmp_eq_u32_e32 vcc, 0, v3
	s_or_b64 s[0:1], vcc, s[0:1]
	s_and_saveexec_b64 s[16:17], s[0:1]
	s_cbranch_execz .LBB233_50
; %bb.52:                               ;   in Loop: Header=BB233_51 Depth=1
	global_load_dword v4, v[26:27], off
	v_mov_b64_e32 v[2:3], s[6:7]
	s_load_dword s20, s[18:19], 0x0
	v_add_u32_e32 v101, v99, v1
	v_cmp_eq_u32_e32 vcc, s51, v30
	v_add_u32_e32 v103, 1, v101
	v_add_u32_e32 v102, 2, v101
	;; [unrolled: 1-line block ×3, first 2 shown]
	s_waitcnt vmcnt(0)
	v_mad_i64_i32 v[42:43], s[0:1], v4, s25, v[2:3]
	v_lshl_add_u64 v[48:49], v[42:43], 0, v[22:23]
	global_load_dword v28, v[48:49], off
	ds_read_b128 v[2:5], v31
	s_waitcnt vmcnt(0)
	v_and_b32_e32 v29, 0xffff, v28
	v_lshrrev_b32_e32 v32, 16, v28
	v_cvt_pk_f32_fp8_e32 v[28:29], v29
	v_cvt_pk_f32_fp8_e32 v[34:35], v32
	s_waitcnt lgkmcnt(0)
	v_pk_mul_f32 v[32:33], s[20:21], v[28:29] op_sel_hi:[0,1]
	v_pk_mul_f32 v[28:29], s[20:21], v[34:35] op_sel_hi:[0,1]
	s_and_saveexec_b64 s[22:23], vcc
; %bb.53:                               ;   in Loop: Header=BB233_51 Depth=1
	v_cmp_gt_i32_e64 s[0:1], s33, v101
	s_nop 1
	v_cndmask_b32_e64 v32, 0, v32, s[0:1]
	v_cmp_gt_i32_e64 s[0:1], s33, v103
	s_nop 1
	v_cndmask_b32_e64 v33, 0, v33, s[0:1]
	;; [unrolled: 3-line block ×4, first 2 shown]
; %bb.54:                               ;   in Loop: Header=BB233_51 Depth=1
	s_or_b64 exec, exec, s[22:23]
	global_load_dword v34, v[48:49], off offset:256
	s_mov_b32 s21, s20
	s_waitcnt vmcnt(0)
	v_and_b32_e32 v35, 0xffff, v34
	v_lshrrev_b32_e32 v36, 16, v34
	v_cvt_pk_f32_fp8_e32 v[34:35], v35
	v_cvt_pk_f32_fp8_e32 v[38:39], v36
	v_pk_mul_f32 v[36:37], s[20:21], v[34:35]
	v_pk_mul_f32 v[34:35], s[20:21], v[38:39]
	s_and_saveexec_b64 s[22:23], vcc
; %bb.55:                               ;   in Loop: Header=BB233_51 Depth=1
	v_cmp_gt_i32_e64 s[0:1], s33, v101
	s_nop 1
	v_cndmask_b32_e64 v36, 0, v36, s[0:1]
	v_cmp_gt_i32_e64 s[0:1], s33, v103
	s_nop 1
	v_cndmask_b32_e64 v37, 0, v37, s[0:1]
	v_cmp_gt_i32_e64 s[0:1], s33, v102
	s_nop 1
	v_cndmask_b32_e64 v34, 0, v34, s[0:1]
	v_cmp_gt_i32_e64 s[0:1], s33, v104
	s_nop 1
	v_cndmask_b32_e64 v35, 0, v35, s[0:1]
; %bb.56:                               ;   in Loop: Header=BB233_51 Depth=1
	s_or_b64 exec, exec, s[22:23]
	global_load_dword v38, v[48:49], off offset:512
	s_waitcnt vmcnt(0)
	v_and_b32_e32 v39, 0xffff, v38
	v_lshrrev_b32_e32 v40, 16, v38
	v_cvt_pk_f32_fp8_e32 v[38:39], v39
	v_cvt_pk_f32_fp8_e32 v[44:45], v40
	v_pk_mul_f32 v[40:41], s[20:21], v[38:39]
	v_pk_mul_f32 v[38:39], s[20:21], v[44:45]
	s_and_saveexec_b64 s[22:23], vcc
; %bb.57:                               ;   in Loop: Header=BB233_51 Depth=1
	v_cmp_gt_i32_e64 s[0:1], s33, v101
	s_nop 1
	v_cndmask_b32_e64 v40, 0, v40, s[0:1]
	v_cmp_gt_i32_e64 s[0:1], s33, v103
	s_nop 1
	v_cndmask_b32_e64 v41, 0, v41, s[0:1]
	v_cmp_gt_i32_e64 s[0:1], s33, v102
	s_nop 1
	v_cndmask_b32_e64 v38, 0, v38, s[0:1]
	v_cmp_gt_i32_e64 s[0:1], s33, v104
	s_nop 1
	v_cndmask_b32_e64 v39, 0, v39, s[0:1]
; %bb.58:                               ;   in Loop: Header=BB233_51 Depth=1
	s_or_b64 exec, exec, s[22:23]
	global_load_dword v44, v[48:49], off offset:768
	;; [unrolled: 24-line block ×13, first 2 shown]
	s_waitcnt vmcnt(0)
	v_and_b32_e32 v49, 0xffff, v48
	v_lshrrev_b32_e32 v90, 16, v48
	v_cvt_pk_f32_fp8_e32 v[48:49], v49
	v_cvt_pk_f32_fp8_e32 v[90:91], v90
	v_pk_mul_f32 v[92:93], s[20:21], v[48:49]
	v_pk_mul_f32 v[90:91], s[20:21], v[90:91]
	s_and_saveexec_b64 s[22:23], vcc
; %bb.81:                               ;   in Loop: Header=BB233_51 Depth=1
	v_cmp_gt_i32_e64 s[0:1], s33, v101
	s_nop 1
	v_cndmask_b32_e64 v92, 0, v92, s[0:1]
	v_cmp_gt_i32_e64 s[0:1], s33, v103
	s_nop 1
	v_cndmask_b32_e64 v93, 0, v93, s[0:1]
	v_cmp_gt_i32_e64 s[0:1], s33, v102
	s_nop 1
	v_cndmask_b32_e64 v90, 0, v90, s[0:1]
	v_cmp_gt_i32_e64 s[0:1], s33, v104
	s_nop 1
	v_cndmask_b32_e64 v91, 0, v91, s[0:1]
; %bb.82:                               ;   in Loop: Header=BB233_51 Depth=1
	s_or_b64 exec, exec, s[22:23]
	v_lshl_add_u64 v[42:43], v[42:43], 0, v[24:25]
	global_load_dword v42, v[42:43], off
	s_waitcnt vmcnt(0)
	v_and_b32_e32 v43, 0xffff, v42
	v_lshrrev_b32_e32 v48, 16, v42
	v_cvt_pk_f32_fp8_e32 v[42:43], v43
	v_cvt_pk_f32_fp8_e32 v[106:107], v48
	v_pk_mul_f32 v[48:49], s[20:21], v[42:43]
	v_pk_mul_f32 v[42:43], s[20:21], v[106:107]
	s_and_saveexec_b64 s[0:1], vcc
	s_cbranch_execz .LBB233_49
; %bb.83:                               ;   in Loop: Header=BB233_51 Depth=1
	v_cmp_gt_i32_e32 vcc, s33, v101
	s_nop 1
	v_cndmask_b32_e32 v48, 0, v48, vcc
	v_cmp_gt_i32_e32 vcc, s33, v103
	s_nop 1
	v_cndmask_b32_e32 v49, 0, v49, vcc
	;; [unrolled: 3-line block ×4, first 2 shown]
	s_branch .LBB233_49
.LBB233_84:
	s_or_b64 exec, exec, s[12:13]
.LBB233_85:
	s_or_b64 exec, exec, s[2:3]
	ds_bpermute_b32 v4, v96, v18
	ds_bpermute_b32 v5, v96, v19
	;; [unrolled: 1-line block ×6, first 2 shown]
	s_waitcnt lgkmcnt(4)
	v_pk_add_f32 v[4:5], v[18:19], v[4:5]
	ds_bpermute_b32 v18, v95, v4
	ds_bpermute_b32 v19, v95, v5
	s_waitcnt lgkmcnt(4)
	v_pk_add_f32 v[2:3], v[20:21], v[2:3]
	s_waitcnt lgkmcnt(2)
	v_pk_add_f32 v[16:17], v[16:17], v[22:23]
	ds_bpermute_b32 v20, v95, v2
	ds_bpermute_b32 v21, v95, v3
	s_waitcnt lgkmcnt(2)
	v_pk_add_f32 v[4:5], v[4:5], v[18:19]
	ds_bpermute_b32 v18, v95, v16
	ds_bpermute_b32 v19, v95, v17
	ds_bpermute_b32 v24, v96, v14
	s_waitcnt lgkmcnt(3)
	v_pk_add_f32 v[2:3], v[2:3], v[20:21]
	ds_bpermute_b32 v20, v97, v2
	ds_bpermute_b32 v21, v97, v3
	s_waitcnt lgkmcnt(3)
	v_pk_add_f32 v[16:17], v[16:17], v[18:19]
	ds_bpermute_b32 v25, v96, v15
	ds_bpermute_b32 v18, v97, v16
	;; [unrolled: 1-line block ×5, first 2 shown]
	s_waitcnt lgkmcnt(4)
	v_pk_add_f32 v[24:25], v[14:15], v[24:25]
	v_pk_add_f32 v[14:15], v[2:3], v[20:21]
	s_waitcnt lgkmcnt(2)
	v_pk_add_f32 v[2:3], v[16:17], v[18:19]
	ds_bpermute_b32 v18, v96, v12
	ds_bpermute_b32 v19, v96, v13
	;; [unrolled: 1-line block ×4, first 2 shown]
	s_waitcnt lgkmcnt(4)
	v_pk_add_f32 v[4:5], v[4:5], v[22:23]
	ds_bpermute_b32 v22, v96, v10
	ds_bpermute_b32 v23, v96, v11
	s_waitcnt lgkmcnt(4)
	v_pk_add_f32 v[12:13], v[12:13], v[18:19]
	ds_bpermute_b32 v18, v95, v12
	ds_bpermute_b32 v19, v95, v13
	s_waitcnt lgkmcnt(4)
	v_pk_add_f32 v[16:17], v[24:25], v[26:27]
	s_waitcnt lgkmcnt(2)
	v_pk_add_f32 v[10:11], v[10:11], v[22:23]
	ds_bpermute_b32 v24, v96, v8
	ds_bpermute_b32 v25, v96, v9
	;; [unrolled: 1-line block ×4, first 2 shown]
	s_waitcnt lgkmcnt(4)
	v_pk_add_f32 v[18:19], v[12:13], v[18:19]
	ds_bpermute_b32 v12, v96, v6
	ds_bpermute_b32 v13, v96, v7
	s_waitcnt lgkmcnt(4)
	v_pk_add_f32 v[8:9], v[8:9], v[24:25]
	s_waitcnt lgkmcnt(2)
	v_pk_add_f32 v[22:23], v[10:11], v[22:23]
	ds_bpermute_b32 v10, v95, v8
	ds_bpermute_b32 v11, v95, v9
	s_waitcnt lgkmcnt(2)
	v_pk_add_f32 v[32:33], v[6:7], v[12:13]
	ds_bpermute_b32 v20, v97, v16
	ds_bpermute_b32 v21, v97, v17
	;; [unrolled: 1-line block ×6, first 2 shown]
	s_waitcnt lgkmcnt(6)
	v_pk_add_f32 v[28:29], v[8:9], v[10:11]
	ds_bpermute_b32 v24, v97, v22
	ds_bpermute_b32 v25, v97, v23
	;; [unrolled: 1-line block ×4, first 2 shown]
	s_waitcnt lgkmcnt(8)
	v_pk_add_f32 v[12:13], v[16:17], v[20:21]
	s_waitcnt lgkmcnt(6)
	v_pk_add_f32 v[16:17], v[32:33], v[34:35]
	;; [unrolled: 2-line block ×3, first 2 shown]
	ds_bpermute_b32 v18, v97, v16
	ds_bpermute_b32 v19, v97, v17
	v_and_b32_e32 v1, 0x3c7, v0
	s_waitcnt lgkmcnt(4)
	v_pk_add_f32 v[8:9], v[22:23], v[24:25]
	s_waitcnt lgkmcnt(2)
	v_pk_add_f32 v[6:7], v[28:29], v[30:31]
	v_cmp_ne_u32_e32 vcc, 64, v1
	s_waitcnt lgkmcnt(0)
	s_barrier
	s_and_saveexec_b64 s[0:1], vcc
	s_xor_b64 s[0:1], exec, s[0:1]
; %bb.86:
                                        ; implicit-def: $vgpr94
; %bb.87:
	s_or_saveexec_b64 s[0:1], s[0:1]
	v_pk_add_f32 v[16:17], v[16:17], v[18:19]
	s_xor_b64 exec, exec, s[0:1]
	s_cbranch_execz .LBB233_89
; %bb.88:
	v_lshrrev_b32_e32 v18, 1, v94
	v_add_u32_e32 v18, 0x210, v18
	ds_write2_b32 v18, v14, v15 offset1:8
	ds_write2_b32 v18, v4, v5 offset0:16 offset1:24
	ds_write2_b32 v18, v2, v3 offset0:32 offset1:40
	;; [unrolled: 1-line block ×7, first 2 shown]
.LBB233_89:
	s_or_b64 exec, exec, s[0:1]
	s_waitcnt lgkmcnt(0)
	s_barrier
	s_and_saveexec_b64 s[0:1], s[10:11]
	s_cbranch_execz .LBB233_108
; %bb.90:
	v_cmp_eq_u32_e32 vcc, 0, v98
	v_lshrrev_b32_e32 v18, 3, v0
	s_and_saveexec_b64 s[2:3], vcc
	s_cbranch_execnz .LBB233_111
; %bb.91:
	s_or_b64 exec, exec, s[2:3]
	s_and_saveexec_b64 s[2:3], vcc
	s_cbranch_execnz .LBB233_112
.LBB233_92:
	s_or_b64 exec, exec, s[2:3]
	s_and_saveexec_b64 s[2:3], vcc
	s_cbranch_execnz .LBB233_113
.LBB233_93:
	s_or_b64 exec, exec, s[2:3]
	s_and_saveexec_b64 s[2:3], vcc
	s_cbranch_execnz .LBB233_114
.LBB233_94:
	s_or_b64 exec, exec, s[2:3]
	s_and_saveexec_b64 s[2:3], vcc
	s_cbranch_execnz .LBB233_115
.LBB233_95:
	s_or_b64 exec, exec, s[2:3]
	s_and_saveexec_b64 s[2:3], vcc
	s_cbranch_execnz .LBB233_116
.LBB233_96:
	s_or_b64 exec, exec, s[2:3]
	s_and_saveexec_b64 s[2:3], vcc
	s_cbranch_execnz .LBB233_117
.LBB233_97:
	s_or_b64 exec, exec, s[2:3]
	s_and_saveexec_b64 s[2:3], vcc
	s_cbranch_execnz .LBB233_118
.LBB233_98:
	s_or_b64 exec, exec, s[2:3]
	s_and_saveexec_b64 s[2:3], vcc
	s_cbranch_execnz .LBB233_119
.LBB233_99:
	s_or_b64 exec, exec, s[2:3]
	s_and_saveexec_b64 s[2:3], vcc
	s_cbranch_execnz .LBB233_120
.LBB233_100:
	s_or_b64 exec, exec, s[2:3]
	s_and_saveexec_b64 s[2:3], vcc
	s_cbranch_execnz .LBB233_121
.LBB233_101:
	s_or_b64 exec, exec, s[2:3]
	s_and_saveexec_b64 s[2:3], vcc
	s_cbranch_execnz .LBB233_122
.LBB233_102:
	s_or_b64 exec, exec, s[2:3]
	s_and_saveexec_b64 s[2:3], vcc
	s_cbranch_execnz .LBB233_123
.LBB233_103:
	s_or_b64 exec, exec, s[2:3]
	s_and_saveexec_b64 s[2:3], vcc
	s_cbranch_execnz .LBB233_124
.LBB233_104:
	s_or_b64 exec, exec, s[2:3]
	s_and_saveexec_b64 s[2:3], vcc
	s_cbranch_execnz .LBB233_125
.LBB233_105:
	s_or_b64 exec, exec, s[2:3]
	s_and_saveexec_b64 s[2:3], vcc
	s_cbranch_execz .LBB233_107
.LBB233_106:
	v_mov_b32_e32 v19, 0x210
	v_lshl_add_u32 v18, v18, 2, v19
	ds_read_b32 v18, v18 offset:480
	s_waitcnt lgkmcnt(0)
	v_add_f32_e32 v17, v17, v18
.LBB233_107:
	s_or_b64 exec, exec, s[2:3]
.LBB233_108:
	s_or_b64 exec, exec, s[0:1]
	v_cmp_eq_u32_e32 vcc, 0, v1
	s_barrier
	s_and_saveexec_b64 s[0:1], vcc
	s_cbranch_execz .LBB233_110
; %bb.109:
	s_lshl_b32 s0, s8, 7
	s_ashr_i32 s1, s0, 31
	s_lshl_b64 s[0:1], s[0:1], 2
	s_add_u32 s2, s34, s0
	s_mul_i32 s0, s15, s14
	s_addc_u32 s3, s35, s1
	s_ashr_i32 s1, s0, 31
	s_lshl_b64 s[0:1], s[0:1], 2
	s_add_u32 s2, s2, s0
	s_addc_u32 s3, s3, s1
	s_lshl_b32 s0, s4, 7
	s_ashr_i32 s1, s0, 31
	s_lshl_b64 s[0:1], s[0:1], 2
	s_add_u32 s0, s2, s0
	s_addc_u32 s1, s3, s1
	v_lshrrev_b32_e32 v0, 1, v0
	global_store_dword v0, v14, s[0:1]
	global_store_dword v0, v15, s[0:1] offset:32
	global_store_dword v0, v4, s[0:1] offset:64
	global_store_dword v0, v5, s[0:1] offset:96
	global_store_dword v0, v2, s[0:1] offset:128
	global_store_dword v0, v3, s[0:1] offset:160
	global_store_dword v0, v12, s[0:1] offset:192
	global_store_dword v0, v13, s[0:1] offset:224
	global_store_dword v0, v10, s[0:1] offset:256
	global_store_dword v0, v11, s[0:1] offset:288
	global_store_dword v0, v8, s[0:1] offset:320
	global_store_dword v0, v9, s[0:1] offset:352
	global_store_dword v0, v6, s[0:1] offset:384
	global_store_dword v0, v7, s[0:1] offset:416
	global_store_dword v0, v16, s[0:1] offset:448
	global_store_dword v0, v17, s[0:1] offset:480
.LBB233_110:
	s_endpgm
.LBB233_111:
	v_mov_b32_e32 v19, 0x210
	v_lshl_add_u32 v19, v18, 2, v19
	ds_read_b32 v19, v19
	s_waitcnt lgkmcnt(0)
	v_add_f32_e32 v14, v14, v19
	s_or_b64 exec, exec, s[2:3]
	s_and_saveexec_b64 s[2:3], vcc
	s_cbranch_execz .LBB233_92
.LBB233_112:
	v_mov_b32_e32 v19, 0x210
	v_lshl_add_u32 v19, v18, 2, v19
	ds_read_b32 v19, v19 offset:32
	s_waitcnt lgkmcnt(0)
	v_add_f32_e32 v15, v15, v19
	s_or_b64 exec, exec, s[2:3]
	s_and_saveexec_b64 s[2:3], vcc
	s_cbranch_execz .LBB233_93
.LBB233_113:
	v_mov_b32_e32 v19, 0x210
	v_lshl_add_u32 v19, v18, 2, v19
	ds_read_b32 v19, v19 offset:64
	s_waitcnt lgkmcnt(0)
	v_add_f32_e32 v4, v4, v19
	s_or_b64 exec, exec, s[2:3]
	s_and_saveexec_b64 s[2:3], vcc
	s_cbranch_execz .LBB233_94
.LBB233_114:
	v_mov_b32_e32 v19, 0x210
	v_lshl_add_u32 v19, v18, 2, v19
	ds_read_b32 v19, v19 offset:96
	s_waitcnt lgkmcnt(0)
	v_add_f32_e32 v5, v5, v19
	s_or_b64 exec, exec, s[2:3]
	s_and_saveexec_b64 s[2:3], vcc
	s_cbranch_execz .LBB233_95
.LBB233_115:
	v_mov_b32_e32 v19, 0x210
	v_lshl_add_u32 v19, v18, 2, v19
	ds_read_b32 v19, v19 offset:128
	s_waitcnt lgkmcnt(0)
	v_add_f32_e32 v2, v2, v19
	s_or_b64 exec, exec, s[2:3]
	s_and_saveexec_b64 s[2:3], vcc
	s_cbranch_execz .LBB233_96
.LBB233_116:
	v_mov_b32_e32 v19, 0x210
	v_lshl_add_u32 v19, v18, 2, v19
	ds_read_b32 v19, v19 offset:160
	s_waitcnt lgkmcnt(0)
	v_add_f32_e32 v3, v3, v19
	s_or_b64 exec, exec, s[2:3]
	s_and_saveexec_b64 s[2:3], vcc
	s_cbranch_execz .LBB233_97
.LBB233_117:
	v_mov_b32_e32 v19, 0x210
	v_lshl_add_u32 v19, v18, 2, v19
	ds_read_b32 v19, v19 offset:192
	s_waitcnt lgkmcnt(0)
	v_add_f32_e32 v12, v12, v19
	s_or_b64 exec, exec, s[2:3]
	s_and_saveexec_b64 s[2:3], vcc
	s_cbranch_execz .LBB233_98
.LBB233_118:
	v_mov_b32_e32 v19, 0x210
	v_lshl_add_u32 v19, v18, 2, v19
	ds_read_b32 v19, v19 offset:224
	s_waitcnt lgkmcnt(0)
	v_add_f32_e32 v13, v13, v19
	s_or_b64 exec, exec, s[2:3]
	s_and_saveexec_b64 s[2:3], vcc
	s_cbranch_execz .LBB233_99
.LBB233_119:
	v_mov_b32_e32 v19, 0x210
	v_lshl_add_u32 v19, v18, 2, v19
	ds_read_b32 v19, v19 offset:256
	s_waitcnt lgkmcnt(0)
	v_add_f32_e32 v10, v10, v19
	s_or_b64 exec, exec, s[2:3]
	s_and_saveexec_b64 s[2:3], vcc
	s_cbranch_execz .LBB233_100
.LBB233_120:
	v_mov_b32_e32 v19, 0x210
	v_lshl_add_u32 v19, v18, 2, v19
	ds_read_b32 v19, v19 offset:288
	s_waitcnt lgkmcnt(0)
	v_add_f32_e32 v11, v11, v19
	s_or_b64 exec, exec, s[2:3]
	s_and_saveexec_b64 s[2:3], vcc
	s_cbranch_execz .LBB233_101
.LBB233_121:
	v_mov_b32_e32 v19, 0x210
	v_lshl_add_u32 v19, v18, 2, v19
	ds_read_b32 v19, v19 offset:320
	s_waitcnt lgkmcnt(0)
	v_add_f32_e32 v8, v8, v19
	s_or_b64 exec, exec, s[2:3]
	s_and_saveexec_b64 s[2:3], vcc
	s_cbranch_execz .LBB233_102
.LBB233_122:
	v_mov_b32_e32 v19, 0x210
	v_lshl_add_u32 v19, v18, 2, v19
	ds_read_b32 v19, v19 offset:352
	s_waitcnt lgkmcnt(0)
	v_add_f32_e32 v9, v9, v19
	s_or_b64 exec, exec, s[2:3]
	s_and_saveexec_b64 s[2:3], vcc
	s_cbranch_execz .LBB233_103
.LBB233_123:
	v_mov_b32_e32 v19, 0x210
	v_lshl_add_u32 v19, v18, 2, v19
	ds_read_b32 v19, v19 offset:384
	s_waitcnt lgkmcnt(0)
	v_add_f32_e32 v6, v6, v19
	s_or_b64 exec, exec, s[2:3]
	s_and_saveexec_b64 s[2:3], vcc
	s_cbranch_execz .LBB233_104
.LBB233_124:
	v_mov_b32_e32 v19, 0x210
	v_lshl_add_u32 v19, v18, 2, v19
	ds_read_b32 v19, v19 offset:416
	s_waitcnt lgkmcnt(0)
	v_add_f32_e32 v7, v7, v19
	s_or_b64 exec, exec, s[2:3]
	s_and_saveexec_b64 s[2:3], vcc
	s_cbranch_execz .LBB233_105
.LBB233_125:
	v_mov_b32_e32 v19, 0x210
	v_lshl_add_u32 v19, v18, 2, v19
	ds_read_b32 v19, v19 offset:448
	s_waitcnt lgkmcnt(0)
	v_add_f32_e32 v16, v16, v19
	s_or_b64 exec, exec, s[2:3]
	s_and_saveexec_b64 s[2:3], vcc
	s_cbranch_execnz .LBB233_106
	s_branch .LBB233_107
	.section	.rodata,"a",@progbits
	.p2align	6, 0x0
	.amdhsa_kernel _ZN4vllm25paged_attention_v2_kernelIfhLi128ELi32ELi128ELNS_18Fp8KVCacheDataTypeE1ELb1ELi512EEEvPfS2_PT_PKS3_PKT0_S9_ifPKiSB_iPKfiiiSD_SD_iiiii
		.amdhsa_group_segment_fixed_size 528
		.amdhsa_private_segment_fixed_size 0
		.amdhsa_kernarg_size 400
		.amdhsa_user_sgpr_count 2
		.amdhsa_user_sgpr_dispatch_ptr 0
		.amdhsa_user_sgpr_queue_ptr 0
		.amdhsa_user_sgpr_kernarg_segment_ptr 1
		.amdhsa_user_sgpr_dispatch_id 0
		.amdhsa_user_sgpr_kernarg_preload_length 0
		.amdhsa_user_sgpr_kernarg_preload_offset 0
		.amdhsa_user_sgpr_private_segment_size 0
		.amdhsa_uses_dynamic_stack 0
		.amdhsa_enable_private_segment 0
		.amdhsa_system_sgpr_workgroup_id_x 1
		.amdhsa_system_sgpr_workgroup_id_y 1
		.amdhsa_system_sgpr_workgroup_id_z 1
		.amdhsa_system_sgpr_workgroup_info 0
		.amdhsa_system_vgpr_workitem_id 0
		.amdhsa_next_free_vgpr 108
		.amdhsa_next_free_sgpr 59
		.amdhsa_accum_offset 108
		.amdhsa_reserve_vcc 1
		.amdhsa_float_round_mode_32 0
		.amdhsa_float_round_mode_16_64 0
		.amdhsa_float_denorm_mode_32 3
		.amdhsa_float_denorm_mode_16_64 3
		.amdhsa_dx10_clamp 1
		.amdhsa_ieee_mode 1
		.amdhsa_fp16_overflow 0
		.amdhsa_tg_split 0
		.amdhsa_exception_fp_ieee_invalid_op 0
		.amdhsa_exception_fp_denorm_src 0
		.amdhsa_exception_fp_ieee_div_zero 0
		.amdhsa_exception_fp_ieee_overflow 0
		.amdhsa_exception_fp_ieee_underflow 0
		.amdhsa_exception_fp_ieee_inexact 0
		.amdhsa_exception_int_div_zero 0
	.end_amdhsa_kernel
	.section	.text._ZN4vllm25paged_attention_v2_kernelIfhLi128ELi32ELi128ELNS_18Fp8KVCacheDataTypeE1ELb1ELi512EEEvPfS2_PT_PKS3_PKT0_S9_ifPKiSB_iPKfiiiSD_SD_iiiii,"axG",@progbits,_ZN4vllm25paged_attention_v2_kernelIfhLi128ELi32ELi128ELNS_18Fp8KVCacheDataTypeE1ELb1ELi512EEEvPfS2_PT_PKS3_PKT0_S9_ifPKiSB_iPKfiiiSD_SD_iiiii,comdat
.Lfunc_end233:
	.size	_ZN4vllm25paged_attention_v2_kernelIfhLi128ELi32ELi128ELNS_18Fp8KVCacheDataTypeE1ELb1ELi512EEEvPfS2_PT_PKS3_PKT0_S9_ifPKiSB_iPKfiiiSD_SD_iiiii, .Lfunc_end233-_ZN4vllm25paged_attention_v2_kernelIfhLi128ELi32ELi128ELNS_18Fp8KVCacheDataTypeE1ELb1ELi512EEEvPfS2_PT_PKS3_PKT0_S9_ifPKiSB_iPKfiiiSD_SD_iiiii
                                        ; -- End function
	.section	.AMDGPU.csdata,"",@progbits
; Kernel info:
; codeLenInByte = 9180
; NumSgprs: 65
; NumVgprs: 108
; NumAgprs: 0
; TotalNumVgprs: 108
; ScratchSize: 0
; MemoryBound: 0
; FloatMode: 240
; IeeeMode: 1
; LDSByteSize: 528 bytes/workgroup (compile time only)
; SGPRBlocks: 8
; VGPRBlocks: 13
; NumSGPRsForWavesPerEU: 65
; NumVGPRsForWavesPerEU: 108
; AccumOffset: 108
; Occupancy: 4
; WaveLimiterHint : 1
; COMPUTE_PGM_RSRC2:SCRATCH_EN: 0
; COMPUTE_PGM_RSRC2:USER_SGPR: 2
; COMPUTE_PGM_RSRC2:TRAP_HANDLER: 0
; COMPUTE_PGM_RSRC2:TGID_X_EN: 1
; COMPUTE_PGM_RSRC2:TGID_Y_EN: 1
; COMPUTE_PGM_RSRC2:TGID_Z_EN: 1
; COMPUTE_PGM_RSRC2:TIDIG_COMP_CNT: 0
; COMPUTE_PGM_RSRC3_GFX90A:ACCUM_OFFSET: 26
; COMPUTE_PGM_RSRC3_GFX90A:TG_SPLIT: 0
	.section	.text._ZN4vllm25paged_attention_v2_kernelIfhLi192ELi32ELi128ELNS_18Fp8KVCacheDataTypeE1ELb1ELi512EEEvPfS2_PT_PKS3_PKT0_S9_ifPKiSB_iPKfiiiSD_SD_iiiii,"axG",@progbits,_ZN4vllm25paged_attention_v2_kernelIfhLi192ELi32ELi128ELNS_18Fp8KVCacheDataTypeE1ELb1ELi512EEEvPfS2_PT_PKS3_PKT0_S9_ifPKiSB_iPKfiiiSD_SD_iiiii,comdat
	.protected	_ZN4vllm25paged_attention_v2_kernelIfhLi192ELi32ELi128ELNS_18Fp8KVCacheDataTypeE1ELb1ELi512EEEvPfS2_PT_PKS3_PKT0_S9_ifPKiSB_iPKfiiiSD_SD_iiiii ; -- Begin function _ZN4vllm25paged_attention_v2_kernelIfhLi192ELi32ELi128ELNS_18Fp8KVCacheDataTypeE1ELb1ELi512EEEvPfS2_PT_PKS3_PKT0_S9_ifPKiSB_iPKfiiiSD_SD_iiiii
	.globl	_ZN4vllm25paged_attention_v2_kernelIfhLi192ELi32ELi128ELNS_18Fp8KVCacheDataTypeE1ELb1ELi512EEEvPfS2_PT_PKS3_PKT0_S9_ifPKiSB_iPKfiiiSD_SD_iiiii
	.p2align	8
	.type	_ZN4vllm25paged_attention_v2_kernelIfhLi192ELi32ELi128ELNS_18Fp8KVCacheDataTypeE1ELb1ELi512EEEvPfS2_PT_PKS3_PKT0_S9_ifPKiSB_iPKfiiiSD_SD_iiiii,@function
_ZN4vllm25paged_attention_v2_kernelIfhLi192ELi32ELi128ELNS_18Fp8KVCacheDataTypeE1ELb1ELi512EEEvPfS2_PT_PKS3_PKT0_S9_ifPKiSB_iPKfiiiSD_SD_iiiii: ; @_ZN4vllm25paged_attention_v2_kernelIfhLi192ELi32ELi128ELNS_18Fp8KVCacheDataTypeE1ELb1ELi512EEEvPfS2_PT_PKS3_PKT0_S9_ifPKiSB_iPKfiiiSD_SD_iiiii
; %bb.0:
	s_load_dwordx2 s[6:7], s[0:1], 0x40
	s_mov_b32 s34, s3
	s_ashr_i32 s35, s3, 31
	s_lshl_b64 s[8:9], s[34:35], 2
	s_waitcnt lgkmcnt(0)
	s_add_u32 s6, s6, s8
	s_addc_u32 s7, s7, s9
	s_load_dword s33, s[6:7], 0x0
	s_lshl_b32 s60, s4, 9
	s_waitcnt lgkmcnt(0)
	s_cmp_ge_i32 s60, s33
	s_cbranch_scc1 .LBB234_134
; %bb.1:
	s_load_dword s5, s[0:1], 0x90
	s_load_dwordx2 s[42:43], s[0:1], 0x30
	v_mov_b32_e32 v16, v0
	s_waitcnt lgkmcnt(0)
	s_abs_i32 s7, s5
	s_abs_i32 s3, s42
	v_cvt_f32_u32_e32 v0, s3
	s_sub_i32 s8, 0, s3
	s_xor_b32 s6, s5, s42
	s_ashr_i32 s6, s6, 31
	v_rcp_iflag_f32_e32 v0, v0
	s_nop 0
	v_mul_f32_e32 v0, 0x4f7ffffe, v0
	v_cvt_u32_f32_e32 v0, v0
	s_nop 0
	v_readfirstlane_b32 s9, v0
	s_mul_i32 s8, s8, s9
	s_mul_hi_u32 s8, s9, s8
	s_add_i32 s9, s9, s8
	s_mul_hi_u32 s8, s7, s9
	s_mul_i32 s9, s8, s3
	s_sub_i32 s7, s7, s9
	s_add_i32 s10, s8, 1
	s_sub_i32 s9, s7, s3
	s_cmp_ge_u32 s7, s3
	s_cselect_b32 s8, s10, s8
	s_cselect_b32 s7, s9, s7
	s_add_i32 s9, s8, 1
	s_cmp_ge_u32 s7, s3
	s_cselect_b32 s3, s9, s8
	s_xor_b32 s3, s3, s6
	s_sub_i32 s12, s3, s6
	s_abs_i32 s8, s12
	v_cvt_f32_u32_e32 v0, s8
	s_load_dwordx2 s[6:7], s[0:1], 0x50
	s_sub_i32 s10, 0, s8
	s_abs_i32 s9, s2
	v_rcp_iflag_f32_e32 v0, v0
	s_mov_b32 s3, 0
	v_mul_f32_e32 v0, 0x4f7ffffe, v0
	v_cvt_u32_f32_e32 v0, v0
	s_nop 0
	v_readfirstlane_b32 s11, v0
	s_mul_i32 s10, s10, s11
	s_mul_hi_u32 s10, s11, s10
	s_add_i32 s11, s11, s10
	s_waitcnt lgkmcnt(0)
	s_cmp_eq_u64 s[6:7], 0
	s_mul_hi_u32 s10, s9, s11
	s_cbranch_scc1 .LBB234_3
; %bb.2:
	s_ashr_i32 s3, s2, 31
	s_lshl_b64 s[14:15], s[2:3], 2
	s_add_u32 s6, s6, s14
	s_addc_u32 s7, s7, s15
	s_load_dword s3, s[6:7], 0x0
.LBB234_3:
	s_load_dwordx4 s[16:19], s[0:1], 0x58
	s_movk_i32 s6, 0x60
	s_ashr_i32 s11, s2, 31
	s_ashr_i32 s12, s12, 31
	v_and_b32_e32 v0, 1, v16
	s_mul_i32 s28, s2, 0xc0
	v_cmp_gt_u32_e32 vcc, s6, v16
	v_lshlrev_b32_e32 v36, 2, v16
	s_and_saveexec_b64 s[6:7], vcc
	s_cbranch_execz .LBB234_5
; %bb.4:
	s_load_dwordx2 s[14:15], s[0:1], 0x18
	s_waitcnt lgkmcnt(0)
	s_mul_i32 s20, s34, s16
	s_ashr_i32 s21, s20, 31
	s_lshl_b64 s[20:21], s[20:21], 2
	v_lshlrev_b32_e32 v1, 3, v16
	s_add_u32 s13, s14, s20
	s_addc_u32 s16, s15, s21
	s_ashr_i32 s29, s28, 31
	s_lshl_b64 s[14:15], s[28:29], 2
	s_add_u32 s14, s13, s14
	s_addc_u32 s15, s16, s15
	global_load_dwordx2 v[2:3], v1, s[14:15]
	v_and_b32_e32 v1, 0xff8, v36
	s_movk_i32 s13, 0x180
	v_mad_u32_u24 v1, v0, s13, v1
	s_waitcnt vmcnt(0)
	ds_write_b64 v1, v[2:3]
.LBB234_5:
	s_or_b64 exec, exec, s[6:7]
	s_mul_i32 s7, s10, s8
	s_sub_i32 s7, s9, s7
	s_xor_b32 s6, s11, s12
	s_add_i32 s9, s10, 1
	s_sub_i32 s11, s7, s8
	s_load_dwordx4 s[20:23], s[0:1], 0x78
	s_cmp_ge_u32 s7, s8
	s_cselect_b32 s9, s9, s10
	s_cselect_b32 s7, s11, s7
	s_add_i32 s10, s9, 1
	s_cmp_ge_u32 s7, s8
	s_cselect_b32 s7, s10, s9
	s_load_dword s10, s[0:1], 0x88
	s_waitcnt lgkmcnt(0)
	s_abs_i32 s29, s23
	v_cvt_f32_u32_e32 v1, s29
	s_xor_b32 s7, s7, s6
	s_sub_i32 s59, s7, s6
	s_sub_i32 s6, 0, s29
	v_rcp_iflag_f32_e32 v1, v1
	s_add_i32 s11, s33, -1
	s_abs_i32 s8, s11
	v_mul_f32_e32 v1, 0x4f7ffffe, v1
	v_cvt_u32_f32_e32 v1, v1
	s_barrier
	v_readfirstlane_b32 s35, v1
	s_mul_i32 s6, s6, s35
	s_mul_hi_u32 s6, s35, s6
	s_add_i32 s35, s35, s6
	s_cmp_lt_i32 s10, 0
	s_mul_hi_u32 s9, s8, s35
	s_cbranch_scc0 .LBB234_7
; %bb.6:
	s_mul_i32 s6, s20, s42
	s_add_i32 s6, s59, s6
	s_mul_i32 s6, s6, s10
	s_sub_i32 s42, 1, s6
	s_mov_b64 s[6:7], 0
	s_branch .LBB234_8
.LBB234_7:
	s_mov_b64 s[6:7], -1
                                        ; implicit-def: $sgpr42
.LBB234_8:
	s_load_dwordx2 s[36:37], s[0:1], 0x38
	s_ashr_i32 s11, s11, 31
	s_andn2_b64 vcc, exec, s[6:7]
	s_ashr_i32 s23, s23, 31
	s_cbranch_vccnz .LBB234_10
; %bb.9:
	s_mul_i32 s6, s5, s20
	s_add_i32 s6, s6, s2
	s_mul_i32 s6, s6, s10
	s_add_i32 s42, s6, 1
.LBB234_10:
	s_load_dwordx2 s[40:41], s[0:1], 0x28
	s_load_dword s6, s[0:1], 0x48
	s_load_dwordx4 s[24:27], s[0:1], 0x0
	s_load_dwordx2 s[30:31], s[0:1], 0x10
	s_load_dword s20, s[0:1], 0x98
	s_load_dwordx4 s[12:15], s[0:1], 0x68
	s_mul_i32 s7, s9, s29
	s_waitcnt lgkmcnt(0)
	s_mul_i32 s38, s34, s6
	s_sub_i32 s7, s8, s7
	s_ashr_i32 s39, s38, 31
	s_xor_b32 s6, s11, s23
	s_add_i32 s8, s9, 1
	s_sub_i32 s10, s7, s29
	s_cmp_ge_u32 s7, s29
	s_cselect_b32 s8, s8, s9
	s_cselect_b32 s7, s10, s7
	s_add_i32 s9, s8, 1
	s_cmp_ge_u32 s7, s29
	s_cselect_b32 s7, s9, s8
	s_xor_b32 s7, s7, s6
	s_sub_i32 s58, s7, s6
	s_add_i32 s6, s33, 31
	s_ashr_i32 s7, s6, 31
	s_lshr_b32 s7, s7, 27
	s_add_i32 s6, s6, s7
	s_lshl_b32 s61, s4, 4
	s_ashr_i32 s57, s6, 5
	s_add_i32 s6, s61, 16
	v_lshrrev_b32_e32 v37, 6, v16
	s_min_i32 s56, s6, s57
	v_or_b32_e32 v22, s61, v37
	v_cmp_gt_i32_e64 s[8:9], s56, v22
	v_mov_b32_e32 v40, 0xff7fffff
	s_mul_i32 s59, s59, s18
	v_ashrrev_i32_e32 v23, 31, v22
	v_lshl_add_u32 v24, v37, 5, s60
	v_mbcnt_lo_u32_b32 v25, -1, 0
	s_mov_b64 s[18:19], exec
	s_and_b64 s[6:7], s[18:19], s[8:9]
	scratch_store_dword off, v16, off offset:112 ; 4-byte Folded Spill
	s_mov_b64 exec, s[6:7]
	s_cbranch_execz .LBB234_20
; %bb.11:
	s_load_dwordx2 s[0:1], s[0:1], 0x20
	s_sub_i32 s62, s58, s21
	s_ashr_i32 s6, s59, 31
	v_bfe_u32 v38, v16, 1, 5
	v_mov_b32_e32 v35, 0
	s_waitcnt lgkmcnt(0)
	s_add_u32 s0, s0, s59
	s_addc_u32 s1, s1, s6
	s_abs_i32 s63, s22
	v_cvt_f32_u32_e32 v1, s63
	v_lshlrev_b32_e32 v34, 4, v38
	v_lshl_add_u64 v[26:27], s[0:1], 0, v[34:35]
	s_sub_i32 s0, 0, s63
	v_rcp_iflag_f32_e32 v1, v1
	v_cmp_eq_u32_e32 vcc, 0, v0
	v_mul_u32_u24_e32 v39, 0x180, v0
	v_lshlrev_b32_e32 v34, 1, v0
	v_mul_f32_e32 v1, 0x4f7ffffe, v1
	v_cvt_u32_f32_e32 v1, v1
	v_mbcnt_hi_u32_b32 v46, -1, v25
	s_mov_b32 s64, s17
	v_cmp_neq_f32_e64 s[6:7], s3, 0
	v_mul_lo_u32 v0, s0, v1
	v_mul_hi_u32 v0, v1, v0
	v_add_u32_e32 v41, v1, v0
	v_lshlrev_b32_e32 v0, 2, v38
	s_lshl_b64 s[0:1], s[38:39], 2
	v_lshl_or_b32 v0, v37, 7, v0
	s_add_u32 s0, s36, s0
	v_add_u32_e32 v43, 0x310, v0
	v_subrev_u32_e32 v0, s33, v38
	s_addc_u32 s1, s37, s1
	v_add_u32_e32 v44, 1, v0
	v_and_b32_e32 v0, 64, v46
	v_lshl_add_u64 v[28:29], v[22:23], 2, s[0:1]
	v_lshl_add_u32 v42, v37, 5, s60
	s_mov_b64 s[44:45], 0
	v_mov_b32_e32 v45, 0xff7fffff
	s_mov_b64 s[46:47], 0x1000
	s_movk_i32 s65, 0x1000
	s_mov_b64 s[48:49], 0x1200
	s_mov_b64 s[50:51], 0x1400
	;; [unrolled: 1-line block ×3, first 2 shown]
	v_xor_b32_e32 v47, 1, v46
	v_add_u32_e32 v48, 64, v0
	v_mov_b32_e32 v40, 0xff7fffff
	v_mov_b32_e32 v49, v22
	s_branch .LBB234_14
.LBB234_12:                             ;   in Loop: Header=BB234_14 Depth=1
	s_or_b64 exec, exec, s[54:55]
.LBB234_13:                             ;   in Loop: Header=BB234_14 Depth=1
	s_or_b64 exec, exec, s[10:11]
	v_add_u32_e32 v49, 2, v49
	v_cmp_le_i32_e64 s[0:1], s56, v49
	v_lshl_add_u64 v[28:29], v[28:29], 0, 8
	v_add_u32_e32 v42, 64, v42
	s_or_b64 s[44:45], s[0:1], s[44:45]
	v_add_u32_e32 v43, 0x100, v43
	s_andn2_b64 exec, exec, s[44:45]
	s_cbranch_execz .LBB234_19
.LBB234_14:                             ; =>This Inner Loop Header: Depth=1
	s_waitcnt lgkmcnt(0)
	v_sub_u32_e32 v1, 0, v42
	v_max_i32_e32 v1, v42, v1
	v_mul_hi_u32 v2, v1, s35
	v_mul_lo_u32 v3, v2, s29
	v_sub_u32_e32 v1, v1, v3
	v_add_u32_e32 v3, 1, v2
	v_cmp_le_u32_e64 s[0:1], s29, v1
	v_ashrrev_i32_e32 v0, 31, v42
	v_xor_b32_e32 v0, s23, v0
	v_cndmask_b32_e64 v2, v2, v3, s[0:1]
	v_subrev_u32_e32 v3, s29, v1
	v_cndmask_b32_e64 v1, v1, v3, s[0:1]
	v_add_u32_e32 v3, 1, v2
	v_cmp_le_u32_e64 s[0:1], s29, v1
	s_nop 1
	v_cndmask_b32_e64 v1, v2, v3, s[0:1]
	v_xor_b32_e32 v1, v1, v0
	v_sub_u32_e32 v0, v1, v0
	v_add_u32_e32 v1, s42, v0
	v_sub_u32_e32 v3, 0, v1
	v_ashrrev_i32_e32 v2, 31, v1
	v_max_i32_e32 v1, v1, v3
	v_mul_hi_u32 v3, v1, v41
	v_mul_lo_u32 v3, v3, s63
	v_sub_u32_e32 v1, v1, v3
	v_subrev_u32_e32 v3, s63, v1
	v_cmp_le_u32_e64 s[0:1], s63, v1
	v_cmp_ge_i32_e64 s[10:11], s62, v0
	s_nop 0
	v_cndmask_b32_e64 v1, v1, v3, s[0:1]
	v_subrev_u32_e32 v3, s63, v1
	v_cmp_le_u32_e64 s[0:1], s63, v1
	s_nop 1
	v_cndmask_b32_e64 v1, v1, v3, s[0:1]
	v_xor_b32_e32 v1, v1, v2
	v_sub_u32_e32 v1, v1, v2
	v_cmp_ne_u32_e64 s[0:1], 0, v1
	s_and_b64 s[0:1], s[0:1], s[10:11]
	s_and_b64 s[54:55], vcc, s[0:1]
	s_and_saveexec_b64 s[10:11], s[54:55]
	s_cbranch_execz .LBB234_16
; %bb.15:                               ;   in Loop: Header=BB234_14 Depth=1
	ds_write_b32 v43, v45
.LBB234_16:                             ;   in Loop: Header=BB234_14 Depth=1
	s_or_b64 exec, exec, s[10:11]
	s_xor_b64 s[0:1], s[0:1], -1
	s_and_saveexec_b64 s[10:11], s[0:1]
	s_cbranch_execz .LBB234_13
; %bb.17:                               ;   in Loop: Header=BB234_14 Depth=1
	global_load_dword v0, v[28:29], off
	s_waitcnt vmcnt(0)
	v_mad_i64_i32 v[0:1], s[0:1], v0, s64, v[26:27]
	v_lshl_add_u64 v[30:31], v[0:1], 0, v[34:35]
	global_load_ushort v0, v[30:31], off
	global_load_ushort v1, v[30:31], off offset:4
	global_load_ushort v32, v[30:31], off offset:8
	;; [unrolled: 1-line block ×12, first 2 shown]
	ds_read_b128 v[58:61], v39
	ds_read_b128 v[18:21], v39 offset:16
	ds_read_b128 v[14:17], v39 offset:32
	;; [unrolled: 1-line block ×5, first 2 shown]
	s_load_dword s16, s[12:13], 0x0
	global_load_ushort v54, v[30:31], off offset:1540
	global_load_ushort v53, v[30:31], off offset:1544
	;; [unrolled: 1-line block ×3, first 2 shown]
	s_waitcnt vmcnt(15)
	v_cvt_pk_f32_fp8_e32 v[50:51], v0
	s_waitcnt vmcnt(14)
	v_cvt_pk_f32_fp8_e32 v[64:65], v1
	;; [unrolled: 2-line block ×4, first 2 shown]
	s_waitcnt lgkmcnt(0)
	v_pk_mul_f32 v[66:67], s[16:17], v[50:51] op_sel_hi:[0,1]
	v_pk_mul_f32 v[50:51], s[16:17], v[64:65] op_sel_hi:[0,1]
	v_mul_f32_e32 v50, v60, v50
	v_mul_f32_e32 v51, v61, v51
	v_fmac_f32_e32 v50, v58, v66
	v_fmac_f32_e32 v51, v59, v67
	global_load_ushort v75, v[30:31], off offset:2048
	global_load_ushort v76, v[30:31], off offset:2052
	global_load_ushort v57, v[30:31], off offset:2056
	global_load_ushort v58, v[30:31], off offset:2060
	global_load_ushort v59, v[30:31], off offset:2560
	global_load_ushort v60, v[30:31], off offset:2564
	global_load_ushort v61, v[30:31], off offset:2568
	global_load_ushort v55, v[30:31], off offset:2572
	s_waitcnt vmcnt(19)
	v_cvt_pk_f32_fp8_e32 v[64:65], v68
	s_waitcnt vmcnt(18)
	v_cvt_pk_f32_fp8_e32 v[66:67], v69
	v_pk_mul_f32 v[0:1], s[16:17], v[0:1] op_sel_hi:[0,1]
	v_pk_mul_f32 v[32:33], s[16:17], v[32:33] op_sel_hi:[0,1]
	v_fmac_f32_e32 v50, v18, v0
	v_fmac_f32_e32 v51, v19, v1
	;; [unrolled: 1-line block ×4, first 2 shown]
	v_pk_mul_f32 v[64:65], s[16:17], v[64:65] op_sel_hi:[0,1]
	v_fmac_f32_e32 v50, v14, v64
	v_fmac_f32_e32 v51, v15, v65
	v_pk_mul_f32 v[14:15], s[16:17], v[66:67] op_sel_hi:[0,1]
	v_fmac_f32_e32 v50, v16, v14
	v_fmac_f32_e32 v51, v17, v15
	s_waitcnt vmcnt(17)
	v_cvt_pk_f32_fp8_e32 v[14:15], v70
	s_waitcnt vmcnt(16)
	v_cvt_pk_f32_fp8_e32 v[66:67], v72
	v_add_co_u32_e64 v16, s[0:1], s65, v30
	v_pk_mul_f32 v[14:15], s[16:17], v[14:15] op_sel_hi:[0,1]
	v_lshl_add_u64 v[64:65], v[30:31], 0, s[46:47]
	v_addc_co_u32_e64 v17, s[0:1], 0, v31, s[0:1]
	v_fmac_f32_e32 v50, v10, v14
	v_fmac_f32_e32 v51, v11, v15
	v_pk_mul_f32 v[10:11], s[16:17], v[66:67] op_sel_hi:[0,1]
	global_load_ushort v33, v[30:31], off offset:3072
	global_load_ushort v1, v[30:31], off offset:3076
	;; [unrolled: 1-line block ×8, first 2 shown]
	v_lshl_add_u64 v[70:71], v[30:31], 0, s[48:49]
	global_load_ushort v14, v[64:65], off offset:4
	global_load_ushort v15, v[64:65], off offset:8
	v_fmac_f32_e32 v50, v12, v10
	v_fmac_f32_e32 v51, v13, v11
	global_load_ushort v12, v[16:17], off offset:512
	global_load_ushort v11, v[16:17], off offset:1024
	;; [unrolled: 1-line block ×4, first 2 shown]
	global_load_ushort v72, v[16:17], off
	global_load_ushort v77, v[64:65], off offset:12
	s_waitcnt vmcnt(31)
	v_cvt_pk_f32_fp8_e32 v[16:17], v56
	s_waitcnt vmcnt(30)
	v_cvt_pk_f32_fp8_e32 v[64:65], v62
	;; [unrolled: 2-line block ×4, first 2 shown]
	v_pk_mul_f32 v[16:17], s[16:17], v[16:17] op_sel_hi:[0,1]
	v_fmac_f32_e32 v50, v6, v16
	v_fmac_f32_e32 v51, v7, v17
	v_pk_mul_f32 v[6:7], s[16:17], v[64:65] op_sel_hi:[0,1]
	s_waitcnt vmcnt(27)
	v_cvt_pk_f32_fp8_e32 v[16:17], v74
	v_pk_mul_f32 v[62:63], s[16:17], v[62:63] op_sel_hi:[0,1]
	v_fmac_f32_e32 v50, v8, v6
	v_fmac_f32_e32 v51, v9, v7
	;; [unrolled: 1-line block ×4, first 2 shown]
	ds_read_b128 v[6:9], v39 offset:96
	ds_read_b128 v[62:65], v39 offset:112
	s_waitcnt vmcnt(26)
	v_cvt_pk_f32_fp8_e32 v[2:3], v54
	v_pk_mul_f32 v[66:67], s[16:17], v[66:67] op_sel_hi:[0,1]
	v_pk_mul_f32 v[16:17], s[16:17], v[16:17] op_sel_hi:[0,1]
	v_fmac_f32_e32 v50, v4, v66
	v_fmac_f32_e32 v51, v5, v67
	s_waitcnt lgkmcnt(1)
	v_fmac_f32_e32 v50, v6, v16
	v_fmac_f32_e32 v51, v7, v17
	v_pk_mul_f32 v[2:3], s[16:17], v[2:3] op_sel_hi:[0,1]
	ds_read_b128 v[4:7], v39 offset:128
	ds_read_b128 v[66:69], v39 offset:144
	v_fmac_f32_e32 v50, v8, v2
	v_fmac_f32_e32 v51, v9, v3
	v_lshl_add_u64 v[2:3], v[30:31], 0, s[50:51]
	global_load_ushort v73, v[70:71], off offset:8
	s_nop 0
	global_load_ushort v70, v[70:71], off offset:12
	s_nop 0
	global_load_ushort v71, v[2:3], off offset:4
	global_load_ushort v74, v[2:3], off offset:8
	;; [unrolled: 1-line block ×3, first 2 shown]
	s_waitcnt vmcnt(30)
	v_cvt_pk_f32_fp8_e32 v[8:9], v53
	s_waitcnt vmcnt(29)
	v_cvt_pk_f32_fp8_e32 v[2:3], v52
	v_cmp_lt_i32_e64 s[0:1], v47, v48
	v_pk_mul_f32 v[8:9], s[16:17], v[8:9] op_sel_hi:[0,1]
	s_waitcnt lgkmcnt(2)
	v_fmac_f32_e32 v50, v62, v8
	v_fmac_f32_e32 v51, v63, v9
	v_pk_mul_f32 v[2:3], s[16:17], v[2:3] op_sel_hi:[0,1]
	v_fmac_f32_e32 v50, v64, v2
	v_fmac_f32_e32 v51, v65, v3
	v_cndmask_b32_e64 v79, v46, v47, s[0:1]
	s_waitcnt vmcnt(28)
	v_cvt_pk_f32_fp8_e32 v[16:17], v75
	s_waitcnt vmcnt(27)
	v_cvt_pk_f32_fp8_e32 v[8:9], v76
	v_pk_mul_f32 v[16:17], s[16:17], v[16:17] op_sel_hi:[0,1]
	s_waitcnt lgkmcnt(1)
	v_fmac_f32_e32 v50, v4, v16
	v_fmac_f32_e32 v51, v5, v17
	v_lshl_add_u64 v[16:17], v[30:31], 0, s[52:53]
	ds_read_b128 v[62:65], v39 offset:160
	ds_read_b128 v[2:5], v39 offset:176
	global_load_ushort v75, v[16:17], off offset:4
	global_load_ushort v76, v[16:17], off offset:8
	;; [unrolled: 1-line block ×3, first 2 shown]
	v_pk_mul_f32 v[8:9], s[16:17], v[8:9] op_sel_hi:[0,1]
	v_fmac_f32_e32 v50, v6, v8
	v_fmac_f32_e32 v51, v7, v9
	s_waitcnt vmcnt(29)
	v_cvt_pk_f32_fp8_e32 v[6:7], v57
	s_waitcnt vmcnt(28)
	v_cvt_pk_f32_fp8_e32 v[8:9], v58
	;; [unrolled: 2-line block ×4, first 2 shown]
	v_pk_mul_f32 v[6:7], s[16:17], v[6:7] op_sel_hi:[0,1]
	s_waitcnt lgkmcnt(2)
	v_fmac_f32_e32 v50, v66, v6
	v_fmac_f32_e32 v51, v67, v7
	v_pk_mul_f32 v[8:9], s[16:17], v[8:9] op_sel_hi:[0,1]
	s_waitcnt vmcnt(24)
	v_cvt_pk_f32_fp8_e32 v[6:7], v55
	v_fmac_f32_e32 v50, v68, v8
	v_fmac_f32_e32 v51, v69, v9
	v_cvt_pk_f32_fp8_e32 v[52:53], v61
	v_pk_mul_f32 v[16:17], s[16:17], v[16:17] op_sel_hi:[0,1]
	s_waitcnt vmcnt(22)
	v_cvt_pk_f32_fp8_e32 v[8:9], v1
	s_waitcnt lgkmcnt(1)
	v_fmac_f32_e32 v50, v62, v16
	v_fmac_f32_e32 v51, v63, v17
	v_pk_mul_f32 v[30:31], s[16:17], v[30:31] op_sel_hi:[0,1]
	v_cvt_pk_f32_fp8_e32 v[54:55], v33
	v_fmac_f32_e32 v50, v64, v30
	v_fmac_f32_e32 v51, v65, v31
	v_pk_mul_f32 v[62:63], s[16:17], v[6:7] op_sel_hi:[0,1]
	v_pk_mul_f32 v[64:65], s[16:17], v[8:9] op_sel_hi:[0,1]
	ds_read_b128 v[6:9], v39 offset:192
	s_waitcnt vmcnt(16)
	v_cvt_pk_f32_fp8_e32 v[0:1], v0
	s_waitcnt vmcnt(15)
	v_cvt_pk_f32_fp8_e32 v[30:31], v14
	;; [unrolled: 2-line block ×3, first 2 shown]
	v_pk_mul_f32 v[52:53], s[16:17], v[52:53] op_sel_hi:[0,1]
	s_waitcnt lgkmcnt(1)
	v_fmac_f32_e32 v50, v2, v52
	v_fmac_f32_e32 v51, v3, v53
	v_pk_mul_f32 v[54:55], s[16:17], v[54:55] op_sel_hi:[0,1]
	v_fmac_f32_e32 v50, v4, v62
	v_fmac_f32_e32 v51, v5, v63
	ds_read_b128 v[2:5], v39 offset:208
	v_pk_mul_f32 v[66:67], s[16:17], v[0:1] op_sel_hi:[0,1]
	v_pk_mul_f32 v[0:1], s[16:17], v[30:31] op_sel_hi:[0,1]
	;; [unrolled: 1-line block ×3, first 2 shown]
	v_cvt_pk_f32_fp8_e32 v[60:61], v12
	s_waitcnt lgkmcnt(1)
	v_fmac_f32_e32 v50, v6, v54
	v_fmac_f32_e32 v51, v7, v55
	;; [unrolled: 1-line block ×3, first 2 shown]
	v_pk_mul_f32 v[54:55], s[16:17], v[60:61] op_sel_hi:[0,1]
	v_fmac_f32_e32 v51, v65, v9
	v_cvt_pk_f32_fp8_e32 v[56:57], v18
	v_cvt_pk_f32_fp8_e32 v[18:19], v19
	;; [unrolled: 1-line block ×4, first 2 shown]
	v_pk_mul_f32 v[56:57], s[16:17], v[56:57] op_sel_hi:[0,1]
	v_pk_mul_f32 v[18:19], s[16:17], v[18:19] op_sel_hi:[0,1]
	s_waitcnt lgkmcnt(0)
	v_fmac_f32_e32 v50, v56, v2
	v_fmac_f32_e32 v51, v57, v3
	s_waitcnt vmcnt(6)
	v_cvt_pk_f32_fp8_e32 v[6:7], v70
	s_waitcnt vmcnt(5)
	v_cvt_pk_f32_fp8_e32 v[8:9], v71
	v_pk_mul_f32 v[58:59], s[16:17], v[58:59] op_sel_hi:[0,1]
	v_fmac_f32_e32 v50, v18, v4
	v_pk_mul_f32 v[60:61], s[16:17], v[6:7] op_sel_hi:[0,1]
	v_cvt_pk_f32_fp8_e32 v[6:7], v11
	v_pk_mul_f32 v[70:71], s[16:17], v[8:9] op_sel_hi:[0,1]
	v_fmac_f32_e32 v51, v19, v5
	ds_read_b128 v[2:5], v39 offset:240
	v_pk_mul_f32 v[68:69], s[16:17], v[6:7] op_sel_hi:[0,1]
	ds_read_b128 v[6:9], v39 offset:224
	v_cvt_pk_f32_fp8_e32 v[32:33], v32
	v_pk_mul_f32 v[20:21], s[16:17], v[20:21] op_sel_hi:[0,1]
	v_cvt_pk_f32_fp8_e32 v[16:17], v72
	v_cvt_pk_f32_fp8_e32 v[14:15], v15
	s_waitcnt lgkmcnt(0)
	v_fmac_f32_e32 v50, v58, v6
	v_fmac_f32_e32 v51, v59, v7
	;; [unrolled: 1-line block ×4, first 2 shown]
	v_pk_mul_f32 v[32:33], s[16:17], v[32:33] op_sel_hi:[0,1]
	v_fmac_f32_e32 v50, v32, v2
	v_fmac_f32_e32 v51, v33, v3
	;; [unrolled: 1-line block ×4, first 2 shown]
	ds_read_b128 v[2:5], v39 offset:272
	v_pk_mul_f32 v[16:17], s[16:17], v[16:17] op_sel_hi:[0,1]
	s_waitcnt vmcnt(0)
	v_cvt_pk_f32_fp8_e32 v[6:7], v80
	v_pk_mul_f32 v[14:15], s[16:17], v[14:15] op_sel_hi:[0,1]
	v_cvt_pk_f32_fp8_e32 v[12:13], v13
	v_cvt_pk_f32_fp8_e32 v[52:53], v73
	v_pk_mul_f32 v[58:59], s[16:17], v[6:7] op_sel_hi:[0,1]
	ds_read_b128 v[6:9], v39 offset:256
	v_pk_mul_f32 v[12:13], s[16:17], v[12:13] op_sel_hi:[0,1]
	v_pk_mul_f32 v[52:53], s[16:17], v[52:53] op_sel_hi:[0,1]
	v_cvt_pk_f32_fp8_e32 v[62:63], v74
	v_cvt_pk_f32_fp8_e32 v[64:65], v78
	s_waitcnt lgkmcnt(0)
	v_fmac_f32_e32 v50, v16, v6
	v_fmac_f32_e32 v51, v17, v7
	;; [unrolled: 1-line block ×4, first 2 shown]
	ds_read_b128 v[6:9], v39 offset:288
	v_fmac_f32_e32 v50, v14, v2
	v_fmac_f32_e32 v51, v15, v3
	ds_read_b128 v[0:3], v39 offset:304
	v_fmac_f32_e32 v50, v30, v4
	v_fmac_f32_e32 v51, v31, v5
	s_waitcnt lgkmcnt(1)
	v_fmac_f32_e32 v50, v54, v6
	v_fmac_f32_e32 v51, v55, v7
	;; [unrolled: 1-line block ×4, first 2 shown]
	ds_read_b128 v[4:7], v39 offset:320
	s_waitcnt lgkmcnt(1)
	v_fmac_f32_e32 v50, v52, v0
	v_fmac_f32_e32 v51, v53, v1
	;; [unrolled: 1-line block ×4, first 2 shown]
	ds_read_b128 v[0:3], v39 offset:336
	s_waitcnt lgkmcnt(1)
	v_fmac_f32_e32 v50, v68, v4
	v_fmac_f32_e32 v51, v69, v5
	v_pk_mul_f32 v[62:63], s[16:17], v[62:63] op_sel_hi:[0,1]
	v_cvt_pk_f32_fp8_e32 v[10:11], v10
	v_fmac_f32_e32 v50, v70, v6
	v_fmac_f32_e32 v51, v71, v7
	ds_read_b128 v[4:7], v39 offset:352
	v_pk_mul_f32 v[64:65], s[16:17], v[64:65] op_sel_hi:[0,1]
	v_cvt_pk_f32_fp8_e32 v[18:19], v75
	s_waitcnt lgkmcnt(1)
	v_fmac_f32_e32 v50, v62, v0
	v_fmac_f32_e32 v51, v63, v1
	v_cvt_pk_f32_fp8_e32 v[56:57], v76
	v_fmac_f32_e32 v50, v64, v2
	v_fmac_f32_e32 v51, v65, v3
	ds_read_b128 v[0:3], v39 offset:368
	v_pk_mul_f32 v[10:11], s[16:17], v[10:11] op_sel_hi:[0,1]
	v_pk_mul_f32 v[18:19], s[16:17], v[18:19] op_sel_hi:[0,1]
	s_waitcnt lgkmcnt(1)
	v_fmac_f32_e32 v50, v10, v4
	v_fmac_f32_e32 v51, v11, v5
	v_pk_mul_f32 v[56:57], s[16:17], v[56:57] op_sel_hi:[0,1]
	v_fmac_f32_e32 v50, v18, v6
	v_fmac_f32_e32 v51, v19, v7
	s_waitcnt lgkmcnt(0)
	v_fmac_f32_e32 v50, v56, v0
	v_fmac_f32_e32 v51, v57, v1
	;; [unrolled: 1-line block ×4, first 2 shown]
	v_lshlrev_b32_e32 v72, 2, v79
	v_add_f32_e32 v0, v50, v51
	ds_bpermute_b32 v1, v72, v0
	s_and_saveexec_b64 s[54:55], vcc
	s_cbranch_execz .LBB234_12
; %bb.18:                               ;   in Loop: Header=BB234_14 Depth=1
	v_add_u32_e32 v2, v44, v42
	v_cvt_f32_i32_e32 v2, v2
	s_waitcnt lgkmcnt(0)
	v_add_f32_e32 v0, v0, v1
	v_add_u32_e32 v3, v38, v42
	v_cmp_gt_i32_e64 s[0:1], s33, v3
	v_mul_f32_e32 v1, s3, v2
	v_cndmask_b32_e64 v1, 0, v1, s[6:7]
	v_fmac_f32_e32 v1, s43, v0
	v_cndmask_b32_e64 v0, 0, v1, s[0:1]
	ds_write_b32 v43, v0
	v_max_f32_e32 v0, v40, v40
	v_max_f32_e32 v0, v0, v1
	v_cndmask_b32_e64 v40, v40, v0, s[0:1]
	s_branch .LBB234_12
.LBB234_19:
	s_or_b64 exec, exec, s[44:45]
	scratch_load_dword v16, off, off offset:112 ; 4-byte Folded Reload
.LBB234_20:
	s_or_b64 exec, exec, s[18:19]
	v_mbcnt_hi_u32_b32 v2, -1, v25
	v_and_b32_e32 v0, 64, v2
	v_add_u32_e32 v6, 64, v0
	v_xor_b32_e32 v0, 32, v2
	v_cmp_lt_i32_e32 vcc, v0, v6
	v_xor_b32_e32 v4, 16, v2
	v_max_f32_e32 v3, v40, v40
	v_cndmask_b32_e32 v0, v2, v0, vcc
	v_lshlrev_b32_e32 v0, 2, v0
	s_waitcnt lgkmcnt(0)
	ds_bpermute_b32 v1, v0, v40
	v_cmp_lt_i32_e32 vcc, v4, v6
	v_xor_b32_e32 v5, 8, v2
	v_xor_b32_e32 v7, 4, v2
	s_waitcnt vmcnt(0)
	v_and_b32_e32 v38, 63, v16
	s_waitcnt lgkmcnt(0)
	v_max_f32_e32 v1, v1, v1
	v_max_f32_e32 v3, v3, v1
	v_cndmask_b32_e32 v1, v2, v4, vcc
	v_lshlrev_b32_e32 v1, 2, v1
	ds_bpermute_b32 v4, v1, v3
	v_cmp_lt_i32_e32 vcc, v5, v6
	s_waitcnt lgkmcnt(0)
	v_max_f32_e32 v4, v4, v4
	v_max_f32_e32 v4, v3, v4
	v_cndmask_b32_e32 v3, v2, v5, vcc
	v_lshlrev_b32_e32 v3, 2, v3
	ds_bpermute_b32 v5, v3, v4
	v_cmp_lt_i32_e32 vcc, v7, v6
	s_waitcnt lgkmcnt(0)
	v_max_f32_e32 v5, v5, v5
	v_max_f32_e32 v4, v4, v5
	v_cndmask_b32_e32 v5, v2, v7, vcc
	v_lshlrev_b32_e32 v40, 2, v5
	ds_bpermute_b32 v5, v40, v4
	v_xor_b32_e32 v7, 2, v2
	v_cmp_lt_i32_e32 vcc, v7, v6
	s_waitcnt lgkmcnt(0)
	v_max_f32_e32 v5, v5, v5
	v_max_f32_e32 v5, v4, v5
	v_cndmask_b32_e32 v4, v2, v7, vcc
	v_lshlrev_b32_e32 v39, 2, v4
	ds_bpermute_b32 v7, v39, v5
	v_cmp_eq_u32_e32 vcc, 0, v38
	v_lshlrev_b32_e32 v4, 2, v37
	s_and_saveexec_b64 s[0:1], vcc
	s_cbranch_execz .LBB234_22
; %bb.21:
	s_waitcnt lgkmcnt(0)
	v_max_f32_e32 v7, v7, v7
	v_max_f32_e32 v5, v5, v5
	;; [unrolled: 1-line block ×3, first 2 shown]
	ds_write_b32 v4, v5 offset:768
.LBB234_22:
	s_or_b64 exec, exec, s[0:1]
	v_cmp_gt_u32_e64 s[0:1], 2, v38
	s_waitcnt lgkmcnt(0)
	v_mov_b32_e32 v7, 0xff7fffff
	v_lshlrev_b32_e32 v5, 2, v38
	s_barrier
	s_and_saveexec_b64 s[6:7], s[0:1]
	s_cbranch_execz .LBB234_24
; %bb.23:
	ds_read_b32 v7, v5 offset:768
.LBB234_24:
	s_or_b64 exec, exec, s[6:7]
	v_xor_b32_e32 v8, 1, v2
	v_cmp_lt_i32_e64 s[6:7], v8, v6
	s_sub_i32 s3, s56, s61
	s_lshl_b32 s3, s3, 5
	v_cndmask_b32_e64 v6, v2, v8, s[6:7]
	v_lshlrev_b32_e32 v41, 2, v6
	s_waitcnt lgkmcnt(0)
	ds_bpermute_b32 v6, v41, v7
	v_max_f32_e32 v7, v7, v7
	v_lshlrev_b32_e32 v2, 2, v2
	s_add_i32 s3, s3, s60
	s_min_i32 s16, s3, s33
	s_waitcnt lgkmcnt(0)
	v_max_f32_e32 v6, v6, v6
	v_max_f32_e32 v7, v7, v6
	v_and_b32_e32 v6, 0x100, v2
	ds_bpermute_b32 v2, v6, v7
	s_sub_i32 s3, s16, s60
	v_cmp_gt_i32_e64 s[6:7], s3, v16
	v_mov_b32_e32 v7, 0
	s_and_saveexec_b64 s[12:13], s[6:7]
	s_cbranch_execz .LBB234_28
; %bb.25:
	v_mov_b32_e32 v7, 0x310
	v_lshl_add_u32 v8, v16, 2, v7
	s_mov_b64 s[18:19], 0
	v_mov_b32_e32 v7, 0
	v_mov_b32_e32 v9, v16
.LBB234_26:                             ; =>This Inner Loop Header: Depth=1
	ds_read_b32 v10, v8
	v_add_u32_e32 v9, 0x80, v9
	v_cmp_le_i32_e64 s[10:11], s3, v9
	s_or_b64 s[18:19], s[10:11], s[18:19]
	s_waitcnt lgkmcnt(0)
	v_sub_f32_e32 v10, v10, v2
	v_mul_f32_e32 v10, 0x3fb8aa3b, v10
	v_exp_f32_e32 v10, v10
	ds_write_b32 v8, v10
	v_add_f32_e32 v7, v7, v10
	v_add_u32_e32 v8, 0x200, v8
	s_andn2_b64 exec, exec, s[18:19]
	s_cbranch_execnz .LBB234_26
; %bb.27:
	s_or_b64 exec, exec, s[18:19]
.LBB234_28:
	s_or_b64 exec, exec, s[12:13]
	ds_bpermute_b32 v0, v0, v7
	s_waitcnt lgkmcnt(0)
	v_add_f32_e32 v0, v7, v0
	ds_bpermute_b32 v1, v1, v0
	s_waitcnt lgkmcnt(0)
	v_add_f32_e32 v0, v0, v1
	;; [unrolled: 3-line block ×6, first 2 shown]
	s_and_saveexec_b64 s[10:11], vcc
	s_cbranch_execz .LBB234_30
; %bb.29:
	ds_write_b32 v4, v0 offset:776
.LBB234_30:
	s_or_b64 exec, exec, s[10:11]
	s_waitcnt lgkmcnt(0)
	s_barrier
	s_and_saveexec_b64 s[10:11], s[0:1]
	s_cbranch_execz .LBB234_32
; %bb.31:
	ds_read_b32 v0, v5 offset:776
.LBB234_32:
	s_or_b64 exec, exec, s[10:11]
	s_waitcnt lgkmcnt(0)
	ds_bpermute_b32 v1, v41, v0
	s_waitcnt lgkmcnt(0)
	v_add_f32_e32 v0, v0, v1
	ds_bpermute_b32 v3, v6, v0
	s_and_saveexec_b64 s[0:1], s[6:7]
	s_cbranch_execz .LBB234_45
; %bb.33:
	s_waitcnt lgkmcnt(0)
	v_add_f32_e32 v0, 0x358637bd, v3
	v_div_scale_f32 v1, s[6:7], v0, v0, 1.0
	v_rcp_f32_e32 v4, v1
	v_div_scale_f32 v5, vcc, 1.0, v0, 1.0
	s_movk_i32 s6, 0x7f
	v_fma_f32 v6, -v1, v4, 1.0
	v_fmac_f32_e32 v4, v6, v4
	v_mul_f32_e32 v6, v5, v4
	v_fma_f32 v7, -v1, v6, v5
	v_fmac_f32_e32 v6, v7, v4
	v_fma_f32 v1, -v1, v6, v5
	v_div_fmas_f32 v1, v1, v4, v6
	v_div_fixup_f32 v0, v1, v0, 1.0
	v_xad_u32 v1, v16, -1, s16
	v_subrev_u32_e32 v4, s60, v1
	v_cmp_lt_u32_e32 vcc, s6, v4
	s_mov_b64 s[10:11], -1
	v_mov_b32_e32 v1, v16
	s_and_saveexec_b64 s[6:7], vcc
	s_cbranch_execz .LBB234_42
; %bb.34:
	v_lshrrev_b32_e32 v4, 7, v4
	v_add_u32_e32 v6, -1, v4
	v_lshrrev_b32_e32 v5, 1, v6
	v_mov_b32_e32 v1, v0
	v_add_u32_e32 v5, 1, v5
	v_cmp_lt_u32_e32 vcc, 13, v6
	v_mov_b32_e32 v8, 0
	s_and_saveexec_b64 s[10:11], vcc
	s_cbranch_execz .LBB234_38
; %bb.35:
	v_mov_b32_e32 v7, 0x310
	v_and_b32_e32 v6, -8, v5
	v_lshl_add_u32 v7, v16, 2, v7
	s_mov_b32 s16, 0
	s_mov_b64 s[12:13], 0
.LBB234_36:                             ; =>This Inner Loop Header: Depth=1
	ds_read2st64_b32 v[8:9], v7 offset1:2
	ds_read2st64_b32 v[10:11], v7 offset0:4 offset1:6
	ds_read2st64_b32 v[12:13], v7 offset0:8 offset1:10
	;; [unrolled: 1-line block ×3, first 2 shown]
	v_add_u32_e32 v6, -8, v6
	s_waitcnt lgkmcnt(3)
	v_pk_mul_f32 v[8:9], v[0:1], v[8:9]
	s_waitcnt lgkmcnt(2)
	v_pk_mul_f32 v[10:11], v[0:1], v[10:11]
	ds_write2st64_b32 v7, v8, v9 offset1:2
	ds_write2st64_b32 v7, v10, v11 offset0:4 offset1:6
	ds_read2st64_b32 v[10:11], v7 offset0:16 offset1:18
	s_waitcnt lgkmcnt(4)
	v_pk_mul_f32 v[8:9], v[0:1], v[12:13]
	ds_write2st64_b32 v7, v8, v9 offset0:8 offset1:10
	s_waitcnt lgkmcnt(4)
	v_pk_mul_f32 v[8:9], v[0:1], v[14:15]
	ds_write2st64_b32 v7, v8, v9 offset0:12 offset1:14
	ds_read2st64_b32 v[8:9], v7 offset0:20 offset1:22
	s_waitcnt lgkmcnt(3)
	v_pk_mul_f32 v[10:11], v[0:1], v[10:11]
	ds_read2st64_b32 v[12:13], v7 offset0:24 offset1:26
	ds_write2st64_b32 v7, v10, v11 offset0:16 offset1:18
	ds_read2st64_b32 v[10:11], v7 offset0:28 offset1:30
	s_waitcnt lgkmcnt(3)
	v_pk_mul_f32 v[8:9], v[0:1], v[8:9]
	ds_write2st64_b32 v7, v8, v9 offset0:20 offset1:22
	s_waitcnt lgkmcnt(3)
	v_pk_mul_f32 v[8:9], v[0:1], v[12:13]
	ds_write2st64_b32 v7, v8, v9 offset0:24 offset1:26
	s_waitcnt lgkmcnt(2)
	v_pk_mul_f32 v[8:9], v[0:1], v[10:11]
	s_add_i32 s16, s16, 16
	v_cmp_eq_u32_e32 vcc, 0, v6
	ds_write2st64_b32 v7, v8, v9 offset0:28 offset1:30
	v_add_u32_e32 v7, 0x2000, v7
	s_or_b64 s[12:13], vcc, s[12:13]
	v_mov_b32_e32 v8, s16
	s_andn2_b64 exec, exec, s[12:13]
	s_cbranch_execnz .LBB234_36
; %bb.37:
	s_or_b64 exec, exec, s[12:13]
.LBB234_38:
	s_or_b64 exec, exec, s[10:11]
	v_and_b32_e32 v5, 7, v5
	v_cmp_ne_u32_e32 vcc, 0, v5
	s_and_saveexec_b64 s[10:11], vcc
	s_cbranch_execz .LBB234_41
; %bb.39:
	v_lshlrev_b32_e32 v6, 9, v8
	s_movk_i32 s12, 0x310
	v_add3_u32 v6, v6, v36, s12
	s_mov_b64 s[12:13], 0
.LBB234_40:                             ; =>This Inner Loop Header: Depth=1
	ds_read2st64_b32 v[8:9], v6 offset1:2
	v_add_u32_e32 v5, -1, v5
	v_cmp_eq_u32_e32 vcc, 0, v5
	s_or_b64 s[12:13], vcc, s[12:13]
	s_waitcnt lgkmcnt(0)
	v_pk_mul_f32 v[8:9], v[0:1], v[8:9]
	ds_write2st64_b32 v6, v8, v9 offset1:2
	v_add_u32_e32 v6, 0x400, v6
	s_andn2_b64 exec, exec, s[12:13]
	s_cbranch_execnz .LBB234_40
.LBB234_41:
	s_or_b64 exec, exec, s[10:11]
	v_add_u32_e32 v4, 1, v4
	v_and_b32_e32 v5, 0x3fffffe, v4
	v_cmp_ne_u32_e32 vcc, v4, v5
	v_lshl_add_u32 v1, v5, 7, v16
	s_orn2_b64 s[10:11], vcc, exec
.LBB234_42:
	s_or_b64 exec, exec, s[6:7]
	s_and_b64 exec, exec, s[10:11]
	s_cbranch_execz .LBB234_45
; %bb.43:
	v_mov_b32_e32 v4, 0x310
	v_lshl_add_u32 v4, v1, 2, v4
	s_mov_b64 s[6:7], 0
.LBB234_44:                             ; =>This Inner Loop Header: Depth=1
	ds_read_b32 v5, v4
	v_add_u32_e32 v1, 0x80, v1
	v_cmp_le_i32_e32 vcc, s3, v1
	s_or_b64 s[6:7], vcc, s[6:7]
	s_waitcnt lgkmcnt(0)
	v_mul_f32_e32 v5, v0, v5
	ds_write_b32 v4, v5
	v_add_u32_e32 v4, 0x200, v4
	s_andn2_b64 exec, exec, s[6:7]
	s_cbranch_execnz .LBB234_44
.LBB234_45:
	s_or_b64 exec, exec, s[0:1]
	s_mul_i32 s0, s20, s34
	v_cmp_eq_u32_e32 vcc, 0, v16
	s_mul_i32 s6, s0, s5
	s_waitcnt lgkmcnt(0)
	s_barrier
	s_and_saveexec_b64 s[0:1], vcc
	s_cbranch_execz .LBB234_47
; %bb.46:
	s_ashr_i32 s7, s6, 31
	s_lshl_b64 s[10:11], s[6:7], 2
	s_add_u32 s5, s26, s10
	s_mul_i32 s2, s20, s2
	s_addc_u32 s7, s27, s11
	s_ashr_i32 s3, s2, 31
	s_lshl_b64 s[2:3], s[2:3], 2
	s_add_u32 s16, s5, s2
	s_addc_u32 s7, s7, s3
	s_ashr_i32 s5, s4, 31
	s_lshl_b64 s[12:13], s[4:5], 2
	s_add_u32 s18, s16, s12
	s_addc_u32 s19, s7, s13
	s_add_u32 s5, s24, s10
	s_addc_u32 s7, s25, s11
	;; [unrolled: 2-line block ×3, first 2 shown]
	s_add_u32 s2, s2, s12
	v_mov_b32_e32 v0, 0
	s_addc_u32 s3, s3, s13
	global_store_dword v0, v2, s[18:19]
	global_store_dword v0, v3, s[2:3]
.LBB234_47:
	s_or_b64 exec, exec, s[0:1]
	v_mov_b32_e32 v30, 0
	v_and_b32_e32 v0, 7, v16
	v_mov_b32_e32 v31, 0
	v_mov_b32_e32 v28, 0
	;; [unrolled: 1-line block ×23, first 2 shown]
	scratch_store_dword off, v0, off offset:116 ; 4-byte Folded Spill
	s_and_saveexec_b64 s[2:3], s[8:9]
	s_cbranch_execz .LBB234_101
; %bb.48:
	v_and_b32_e32 v0, 28, v36
	v_mov_b32_e32 v3, 0
	scratch_store_dword off, v41, off offset:132 ; 4-byte Folded Spill
	scratch_store_dword off, v40, off offset:128 ; 4-byte Folded Spill
	;; [unrolled: 1-line block ×5, first 2 shown]
	v_and_b32_e32 v2, 0xfc, v36
	v_or_b32_e32 v0, 0xf00, v36
	v_mov_b32_e32 v1, v3
	scratch_store_dwordx2 off, v[0:1], off offset:40 ; 8-byte Folded Spill
	v_or_b32_e32 v0, 0x1000, v2
	s_sub_i32 s5, s58, s21
	s_ashr_i32 s0, s59, 31
	scratch_store_dwordx2 off, v[0:1], off offset:48 ; 8-byte Folded Spill
	v_or_b32_e32 v0, 0x1100, v2
	s_add_u32 s8, s40, s59
	scratch_store_dwordx2 off, v[0:1], off offset:56 ; 8-byte Folded Spill
	v_or_b32_e32 v0, 0x1200, v2
	s_addc_u32 s9, s41, s0
	scratch_store_dwordx2 off, v[0:1], off offset:64 ; 8-byte Folded Spill
	v_or_b32_e32 v0, 0x1300, v2
	s_abs_i32 s21, s22
	scratch_store_dwordx2 off, v[0:1], off offset:72 ; 8-byte Folded Spill
	v_cvt_f32_u32_e32 v0, s21
	s_sub_i32 s0, 0, s21
	s_add_i32 s57, s57, -1
	v_or_b32_e32 v4, 0x1400, v2
	v_rcp_iflag_f32_e32 v0, v0
	v_mov_b32_e32 v5, v3
	scratch_store_dwordx2 off, v[4:5], off offset:80 ; 8-byte Folded Spill
	v_or_b32_e32 v4, 0x1500, v2
	v_mul_f32_e32 v0, 0x4f7ffffe, v0
	v_cvt_u32_f32_e32 v0, v0
	scratch_store_dwordx2 off, v[4:5], off offset:88 ; 8-byte Folded Spill
	v_or_b32_e32 v4, 0x1600, v2
	s_mov_b32 s7, s17
	v_mul_lo_u32 v1, s0, v0
	v_mul_hi_u32 v1, v0, v1
	v_add_u32_e32 v0, v0, v1
	scratch_store_dword off, v0, off offset:24 ; 4-byte Folded Spill
	scratch_load_dword v0, off, off offset:116 ; 4-byte Folded Reload
	s_lshl_b64 s[0:1], s[38:39], 2
	s_add_u32 s0, s36, s0
	s_addc_u32 s1, s37, s1
	scratch_store_dwordx2 off, v[4:5], off offset:96 ; 8-byte Folded Spill
	v_or_b32_e32 v4, 0x1700, v2
	v_lshl_add_u64 v[52:53], v[22:23], 2, s[0:1]
	s_mov_b64 s[10:11], 0
	v_mov_b32_e32 v1, v3
	v_mov_b32_e32 v13, v3
	v_mov_b32_e32 v12, v3
	v_mov_b32_e32 v15, v3
	v_mov_b32_e32 v14, v3
	v_mov_b32_e32 v17, v3
	v_mov_b32_e32 v16, v3
	v_mov_b32_e32 v19, v3
	v_mov_b32_e32 v18, v3
	v_mov_b32_e32 v21, v3
	v_mov_b32_e32 v20, v3
	v_mov_b32_e32 v7, v3
	v_mov_b32_e32 v6, v3
	v_mov_b32_e32 v27, v3
	v_mov_b32_e32 v26, v3
	v_mov_b32_e32 v29, v3
	v_mov_b32_e32 v28, v3
	v_mov_b32_e32 v31, v3
	v_mov_b32_e32 v30, v3
	scratch_store_dwordx2 off, v[4:5], off offset:104 ; 8-byte Folded Spill
	s_waitcnt vmcnt(2)
	v_lshlrev_b32_e32 v0, 4, v0
	v_lshl_or_b32 v0, v37, 7, v0
	v_add_u32_e32 v23, 0x310, v0
	v_mov_b32_e32 v0, v3
	scratch_store_dwordx2 off, v[0:1], off  ; 8-byte Folded Spill
	scratch_store_dwordx2 off, v[0:1], off offset:8 ; 8-byte Folded Spill
	scratch_store_dwordx2 off, v[0:1], off offset:16 ; 8-byte Folded Spill
	;; [unrolled: 1-line block ×3, first 2 shown]
	s_branch .LBB234_51
.LBB234_49:                             ;   in Loop: Header=BB234_51 Depth=1
	s_or_b64 exec, exec, s[0:1]
	scratch_load_dwordx2 v[10:11], off, off ; 8-byte Folded Reload
	v_mul_f32_e32 v8, v3, v33
	v_fmac_f32_e32 v8, v2, v32
	scratch_load_dwordx2 v[32:33], off, off offset:8 ; 8-byte Folded Reload
	v_fmac_f32_e32 v8, v4, v50
	v_fmac_f32_e32 v8, v5, v51
	v_mul_f32_e32 v1, v3, v1
	v_fmac_f32_e32 v1, v2, v0
	v_mul_f32_e32 v0, v3, v127
	v_fmac_f32_e32 v0, v2, v126
	v_fmac_f32_e32 v0, v4, v124
	v_fmac_f32_e32 v0, v5, v125
	v_add_f32_e32 v13, v13, v0
	v_mul_f32_e32 v0, v3, v123
	v_fmac_f32_e32 v0, v2, v122
	v_fmac_f32_e32 v0, v4, v120
	v_fmac_f32_e32 v0, v5, v121
	v_add_f32_e32 v12, v12, v0
	;; [unrolled: 5-line block ×14, first 2 shown]
	v_mul_f32_e32 v0, v3, v69
	v_fmac_f32_e32 v0, v2, v68
	s_waitcnt vmcnt(1)
	v_add_f32_e32 v10, v10, v8
	v_mul_f32_e32 v8, v3, v49
	v_fmac_f32_e32 v8, v2, v48
	v_fmac_f32_e32 v8, v4, v46
	;; [unrolled: 1-line block ×3, first 2 shown]
	s_waitcnt vmcnt(0)
	v_add_f32_e32 v33, v33, v8
	v_mul_f32_e32 v8, v3, v45
	v_fmac_f32_e32 v8, v2, v44
	v_fmac_f32_e32 v8, v4, v42
	;; [unrolled: 1-line block ×3, first 2 shown]
	v_add_f32_e32 v32, v32, v8
	scratch_store_dwordx2 off, v[32:33], off offset:8 ; 8-byte Folded Spill
	scratch_load_dwordx2 v[32:33], off, off offset:16 ; 8-byte Folded Reload
	v_fmac_f32_e32 v0, v4, v66
	v_fmac_f32_e32 v0, v5, v67
	v_add_f32_e32 v29, v29, v0
	v_mul_f32_e32 v0, v3, v65
	v_fmac_f32_e32 v0, v2, v64
	v_fmac_f32_e32 v0, v4, v62
	v_fmac_f32_e32 v0, v5, v63
	v_add_f32_e32 v28, v28, v0
	v_mul_f32_e32 v0, v3, v61
	v_fmac_f32_e32 v0, v2, v60
	;; [unrolled: 5-line block ×3, first 2 shown]
	v_fmac_f32_e32 v0, v4, v54
	v_fmac_f32_e32 v0, v5, v55
	v_mul_f32_e32 v8, v3, v39
	v_add_f32_e32 v30, v30, v0
	v_mul_f32_e32 v0, v3, v41
	v_fmac_f32_e32 v8, v2, v38
	v_fmac_f32_e32 v0, v2, v40
	;; [unrolled: 1-line block ×8, first 2 shown]
	v_add_f32_e32 v11, v11, v0
	scratch_store_dwordx2 off, v[10:11], off ; 8-byte Folded Spill
	s_waitcnt vmcnt(1)
	v_add_f32_e32 v33, v33, v8
	v_add_f32_e32 v32, v32, v1
	scratch_store_dwordx2 off, v[32:33], off offset:16 ; 8-byte Folded Spill
.LBB234_50:                             ;   in Loop: Header=BB234_51 Depth=1
	s_or_b64 exec, exec, s[12:13]
	v_add_u32_e32 v22, 2, v22
	v_cmp_le_i32_e32 vcc, s56, v22
	v_lshl_add_u64 v[52:53], v[52:53], 0, 8
	v_add_u32_e32 v24, 64, v24
	s_or_b64 s[10:11], vcc, s[10:11]
	v_add_u32_e32 v23, 0x100, v23
	s_andn2_b64 exec, exec, s[10:11]
	s_cbranch_execz .LBB234_100
.LBB234_51:                             ; =>This Inner Loop Header: Depth=1
	v_sub_u32_e32 v1, 0, v24
	v_max_i32_e32 v1, v24, v1
	v_mul_hi_u32 v2, v1, s35
	v_mul_lo_u32 v3, v2, s29
	v_sub_u32_e32 v1, v1, v3
	v_add_u32_e32 v3, 1, v2
	v_cmp_le_u32_e32 vcc, s29, v1
	v_ashrrev_i32_e32 v0, 31, v24
	v_xor_b32_e32 v0, s23, v0
	v_cndmask_b32_e32 v2, v2, v3, vcc
	v_subrev_u32_e32 v3, s29, v1
	v_cndmask_b32_e32 v1, v1, v3, vcc
	v_add_u32_e32 v3, 1, v2
	v_cmp_le_u32_e32 vcc, s29, v1
	s_nop 1
	v_cndmask_b32_e32 v1, v2, v3, vcc
	v_xor_b32_e32 v1, v1, v0
	v_sub_u32_e32 v0, v1, v0
	v_add_u32_e32 v1, s42, v0
	v_sub_u32_e32 v3, 0, v1
	v_ashrrev_i32_e32 v2, 31, v1
	v_max_i32_e32 v1, v1, v3
	scratch_load_dword v3, off, off offset:24 ; 4-byte Folded Reload
	v_cmp_lt_i32_e64 s[0:1], s5, v0
	s_waitcnt vmcnt(0)
	v_mul_hi_u32 v3, v1, v3
	v_mul_lo_u32 v3, v3, s21
	v_sub_u32_e32 v1, v1, v3
	v_subrev_u32_e32 v3, s21, v1
	v_cmp_le_u32_e32 vcc, s21, v1
	s_nop 1
	v_cndmask_b32_e32 v1, v1, v3, vcc
	v_subrev_u32_e32 v3, s21, v1
	v_cmp_le_u32_e32 vcc, s21, v1
	s_nop 1
	v_cndmask_b32_e32 v1, v1, v3, vcc
	v_xor_b32_e32 v1, v1, v2
	v_sub_u32_e32 v1, v1, v2
	v_cmp_eq_u32_e32 vcc, 0, v1
	s_or_b64 s[0:1], vcc, s[0:1]
	s_and_saveexec_b64 s[12:13], s[0:1]
	s_cbranch_execz .LBB234_50
; %bb.52:                               ;   in Loop: Header=BB234_51 Depth=1
	global_load_dword v2, v[52:53], off
	v_mov_b64_e32 v[0:1], s[8:9]
	v_cmp_eq_u32_e32 vcc, s57, v22
	s_waitcnt vmcnt(0)
	v_mad_i64_i32 v[74:75], s[0:1], v2, s7, v[0:1]
	scratch_load_dwordx2 v[0:1], off, off offset:32 ; 8-byte Folded Reload
	s_waitcnt vmcnt(0)
	v_lshl_add_u64 v[104:105], v[74:75], 0, v[0:1]
	global_load_dword v0, v[104:105], off
	scratch_load_dword v1, off, off offset:28 ; 4-byte Folded Reload
	s_load_dword s16, s[14:15], 0x0
	ds_read_b128 v[2:5], v23
	s_waitcnt vmcnt(1)
	v_lshrrev_b32_e32 v8, 16, v0
	s_waitcnt vmcnt(0)
	v_add_u32_e32 v25, v1, v24
	v_and_b32_e32 v1, 0xffff, v0
	v_cvt_pk_f32_fp8_e32 v[0:1], v1
	v_cvt_pk_f32_fp8_e32 v[10:11], v8
	v_add_u32_e32 v9, 1, v25
	v_add_u32_e32 v8, 2, v25
	s_waitcnt lgkmcnt(0)
	v_pk_mul_f32 v[56:57], s[16:17], v[0:1] op_sel_hi:[0,1]
	v_pk_mul_f32 v[54:55], s[16:17], v[10:11] op_sel_hi:[0,1]
	v_add_u32_e32 v10, 3, v25
	s_and_saveexec_b64 s[18:19], vcc
; %bb.53:                               ;   in Loop: Header=BB234_51 Depth=1
	v_cmp_gt_i32_e64 s[0:1], s33, v25
	s_nop 1
	v_cndmask_b32_e64 v56, 0, v56, s[0:1]
	v_cmp_gt_i32_e64 s[0:1], s33, v9
	s_nop 1
	v_cndmask_b32_e64 v57, 0, v57, s[0:1]
	;; [unrolled: 3-line block ×4, first 2 shown]
; %bb.54:                               ;   in Loop: Header=BB234_51 Depth=1
	s_or_b64 exec, exec, s[18:19]
	global_load_dword v0, v[104:105], off offset:256
	s_mov_b32 s17, s16
	s_waitcnt vmcnt(0)
	v_and_b32_e32 v1, 0xffff, v0
	v_lshrrev_b32_e32 v11, 16, v0
	v_cvt_pk_f32_fp8_e32 v[0:1], v1
	v_cvt_pk_f32_fp8_e32 v[32:33], v11
	v_pk_mul_f32 v[60:61], s[16:17], v[0:1]
	v_pk_mul_f32 v[58:59], s[16:17], v[32:33]
	s_and_saveexec_b64 s[18:19], vcc
; %bb.55:                               ;   in Loop: Header=BB234_51 Depth=1
	v_cmp_gt_i32_e64 s[0:1], s33, v25
	s_nop 1
	v_cndmask_b32_e64 v60, 0, v60, s[0:1]
	v_cmp_gt_i32_e64 s[0:1], s33, v9
	s_nop 1
	v_cndmask_b32_e64 v61, 0, v61, s[0:1]
	v_cmp_gt_i32_e64 s[0:1], s33, v8
	s_nop 1
	v_cndmask_b32_e64 v58, 0, v58, s[0:1]
	v_cmp_gt_i32_e64 s[0:1], s33, v10
	s_nop 1
	v_cndmask_b32_e64 v59, 0, v59, s[0:1]
; %bb.56:                               ;   in Loop: Header=BB234_51 Depth=1
	s_or_b64 exec, exec, s[18:19]
	global_load_dword v0, v[104:105], off offset:512
	s_waitcnt vmcnt(0)
	v_and_b32_e32 v1, 0xffff, v0
	v_lshrrev_b32_e32 v11, 16, v0
	v_cvt_pk_f32_fp8_e32 v[0:1], v1
	v_cvt_pk_f32_fp8_e32 v[32:33], v11
	v_pk_mul_f32 v[64:65], s[16:17], v[0:1]
	v_pk_mul_f32 v[62:63], s[16:17], v[32:33]
	s_and_saveexec_b64 s[18:19], vcc
; %bb.57:                               ;   in Loop: Header=BB234_51 Depth=1
	v_cmp_gt_i32_e64 s[0:1], s33, v25
	s_nop 1
	v_cndmask_b32_e64 v64, 0, v64, s[0:1]
	v_cmp_gt_i32_e64 s[0:1], s33, v9
	s_nop 1
	v_cndmask_b32_e64 v65, 0, v65, s[0:1]
	v_cmp_gt_i32_e64 s[0:1], s33, v8
	s_nop 1
	v_cndmask_b32_e64 v62, 0, v62, s[0:1]
	v_cmp_gt_i32_e64 s[0:1], s33, v10
	s_nop 1
	v_cndmask_b32_e64 v63, 0, v63, s[0:1]
; %bb.58:                               ;   in Loop: Header=BB234_51 Depth=1
	s_or_b64 exec, exec, s[18:19]
	global_load_dword v0, v[104:105], off offset:768
	;; [unrolled: 24-line block ×13, first 2 shown]
	s_waitcnt vmcnt(0)
	v_and_b32_e32 v1, 0xffff, v0
	v_lshrrev_b32_e32 v11, 16, v0
	v_cvt_pk_f32_fp8_e32 v[0:1], v1
	v_cvt_pk_f32_fp8_e32 v[32:33], v11
	v_pk_mul_f32 v[114:115], s[16:17], v[0:1]
	v_pk_mul_f32 v[104:105], s[16:17], v[32:33]
	s_and_saveexec_b64 s[18:19], vcc
; %bb.81:                               ;   in Loop: Header=BB234_51 Depth=1
	v_cmp_gt_i32_e64 s[0:1], s33, v25
	s_nop 1
	v_cndmask_b32_e64 v114, 0, v114, s[0:1]
	v_cmp_gt_i32_e64 s[0:1], s33, v9
	s_nop 1
	v_cndmask_b32_e64 v115, 0, v115, s[0:1]
	v_cmp_gt_i32_e64 s[0:1], s33, v8
	s_nop 1
	v_cndmask_b32_e64 v104, 0, v104, s[0:1]
	v_cmp_gt_i32_e64 s[0:1], s33, v10
	s_nop 1
	v_cndmask_b32_e64 v105, 0, v105, s[0:1]
; %bb.82:                               ;   in Loop: Header=BB234_51 Depth=1
	s_or_b64 exec, exec, s[18:19]
	scratch_load_dwordx2 v[0:1], off, off offset:40 ; 8-byte Folded Reload
	s_waitcnt vmcnt(0)
	v_lshl_add_u64 v[0:1], v[74:75], 0, v[0:1]
	global_load_dword v0, v[0:1], off
	s_waitcnt vmcnt(0)
	v_and_b32_e32 v1, 0xffff, v0
	v_lshrrev_b32_e32 v11, 16, v0
	v_cvt_pk_f32_fp8_e32 v[0:1], v1
	v_cvt_pk_f32_fp8_e32 v[32:33], v11
	v_pk_mul_f32 v[118:119], s[16:17], v[0:1]
	v_pk_mul_f32 v[116:117], s[16:17], v[32:33]
	s_and_saveexec_b64 s[18:19], vcc
; %bb.83:                               ;   in Loop: Header=BB234_51 Depth=1
	v_cmp_gt_i32_e64 s[0:1], s33, v25
	s_nop 1
	v_cndmask_b32_e64 v118, 0, v118, s[0:1]
	v_cmp_gt_i32_e64 s[0:1], s33, v9
	s_nop 1
	v_cndmask_b32_e64 v119, 0, v119, s[0:1]
	v_cmp_gt_i32_e64 s[0:1], s33, v8
	s_nop 1
	v_cndmask_b32_e64 v116, 0, v116, s[0:1]
	v_cmp_gt_i32_e64 s[0:1], s33, v10
	s_nop 1
	v_cndmask_b32_e64 v117, 0, v117, s[0:1]
; %bb.84:                               ;   in Loop: Header=BB234_51 Depth=1
	s_or_b64 exec, exec, s[18:19]
	scratch_load_dwordx2 v[0:1], off, off offset:48 ; 8-byte Folded Reload
	s_waitcnt vmcnt(0)
	v_lshl_add_u64 v[0:1], v[74:75], 0, v[0:1]
	global_load_dword v0, v[0:1], off
	;; [unrolled: 27-line block ×9, first 2 shown]
	s_waitcnt vmcnt(0)
	v_and_b32_e32 v40, 0xffff, v11
	v_lshrrev_b32_e32 v11, 16, v11
	v_cvt_pk_f32_fp8_e32 v[40:41], v40
	v_cvt_pk_f32_fp8_e32 v[74:75], v11
	v_pk_mul_f32 v[40:41], s[16:17], v[40:41]
	v_pk_mul_f32 v[74:75], s[16:17], v[74:75]
	s_and_saveexec_b64 s[0:1], vcc
	s_cbranch_execz .LBB234_49
; %bb.99:                               ;   in Loop: Header=BB234_51 Depth=1
	v_cmp_gt_i32_e32 vcc, s33, v25
	s_nop 1
	v_cndmask_b32_e32 v40, 0, v40, vcc
	v_cmp_gt_i32_e32 vcc, s33, v9
	s_nop 1
	v_cndmask_b32_e32 v41, 0, v41, vcc
	v_cmp_gt_i32_e32 vcc, s33, v8
	s_nop 1
	v_cndmask_b32_e32 v74, 0, v74, vcc
	v_cmp_gt_i32_e32 vcc, s33, v10
	s_nop 1
	v_cndmask_b32_e32 v75, 0, v75, vcc
	s_branch .LBB234_49
.LBB234_100:
	s_or_b64 exec, exec, s[10:11]
	scratch_load_dword v38, off, off offset:120 ; 4-byte Folded Reload
	scratch_load_dword v39, off, off offset:124 ; 4-byte Folded Reload
	;; [unrolled: 1-line block ×4, first 2 shown]
	scratch_load_dwordx2 v[42:43], off, off ; 8-byte Folded Reload
	scratch_load_dwordx2 v[44:45], off, off offset:8 ; 8-byte Folded Reload
	scratch_load_dwordx2 v[46:47], off, off offset:16 ; 8-byte Folded Reload
.LBB234_101:
	s_or_b64 exec, exec, s[2:3]
	s_waitcnt vmcnt(4)
	ds_bpermute_b32 v2, v40, v28
	ds_bpermute_b32 v3, v40, v29
	ds_bpermute_b32 v0, v40, v30
	ds_bpermute_b32 v1, v40, v31
	ds_bpermute_b32 v10, v40, v26
	ds_bpermute_b32 v11, v40, v27
	s_waitcnt lgkmcnt(4)
	v_pk_add_f32 v[2:3], v[28:29], v[2:3]
	ds_bpermute_b32 v8, v39, v2
	ds_bpermute_b32 v9, v39, v3
	s_waitcnt lgkmcnt(4)
	v_pk_add_f32 v[0:1], v[30:31], v[0:1]
	ds_bpermute_b32 v4, v39, v0
	ds_bpermute_b32 v5, v39, v1
	;; [unrolled: 1-line block ×3, first 2 shown]
	s_waitcnt lgkmcnt(3)
	v_pk_add_f32 v[2:3], v[2:3], v[8:9]
	v_pk_add_f32 v[8:9], v[26:27], v[10:11]
	ds_bpermute_b32 v10, v39, v8
	ds_bpermute_b32 v11, v39, v9
	;; [unrolled: 1-line block ×3, first 2 shown]
	s_waitcnt lgkmcnt(4)
	v_pk_add_f32 v[0:1], v[0:1], v[4:5]
	s_waitcnt vmcnt(3)
	ds_bpermute_b32 v4, v41, v0
	ds_bpermute_b32 v5, v41, v1
	s_waitcnt lgkmcnt(3)
	v_pk_add_f32 v[8:9], v[8:9], v[10:11]
	ds_bpermute_b32 v24, v41, v2
	ds_bpermute_b32 v25, v41, v3
	;; [unrolled: 1-line block ×4, first 2 shown]
	s_waitcnt lgkmcnt(6)
	v_pk_add_f32 v[6:7], v[6:7], v[22:23]
	ds_bpermute_b32 v26, v39, v6
	ds_bpermute_b32 v27, v39, v7
	s_waitcnt lgkmcnt(6)
	v_pk_add_f32 v[22:23], v[0:1], v[4:5]
	s_waitcnt lgkmcnt(4)
	v_pk_add_f32 v[4:5], v[2:3], v[24:25]
	;; [unrolled: 2-line block ×3, first 2 shown]
	ds_bpermute_b32 v10, v40, v18
	ds_bpermute_b32 v11, v40, v19
	s_waitcnt lgkmcnt(2)
	v_pk_add_f32 v[0:1], v[6:7], v[26:27]
	ds_bpermute_b32 v6, v40, v20
	ds_bpermute_b32 v7, v40, v21
	;; [unrolled: 1-line block ×3, first 2 shown]
	s_waitcnt lgkmcnt(3)
	v_pk_add_f32 v[10:11], v[18:19], v[10:11]
	ds_bpermute_b32 v18, v39, v10
	ds_bpermute_b32 v19, v39, v11
	s_waitcnt lgkmcnt(3)
	v_pk_add_f32 v[6:7], v[20:21], v[6:7]
	ds_bpermute_b32 v25, v40, v17
	ds_bpermute_b32 v20, v39, v6
	;; [unrolled: 1-line block ×3, first 2 shown]
	s_waitcnt lgkmcnt(3)
	v_pk_add_f32 v[10:11], v[10:11], v[18:19]
	ds_bpermute_b32 v8, v41, v0
	s_waitcnt lgkmcnt(3)
	v_pk_add_f32 v[16:17], v[16:17], v[24:25]
	ds_bpermute_b32 v18, v39, v16
	;; [unrolled: 3-line block ×3, first 2 shown]
	ds_bpermute_b32 v24, v41, v10
	ds_bpermute_b32 v25, v41, v11
	;; [unrolled: 1-line block ×6, first 2 shown]
	s_waitcnt lgkmcnt(6)
	v_pk_add_f32 v[28:29], v[16:17], v[18:19]
	s_waitcnt lgkmcnt(4)
	v_pk_add_f32 v[16:17], v[10:11], v[24:25]
	s_waitcnt vmcnt(0)
	ds_bpermute_b32 v10, v40, v46
	ds_bpermute_b32 v11, v40, v47
	s_waitcnt lgkmcnt(4)
	v_pk_add_f32 v[18:19], v[6:7], v[26:27]
	ds_bpermute_b32 v6, v40, v12
	ds_bpermute_b32 v7, v40, v13
	s_waitcnt lgkmcnt(4)
	v_pk_add_f32 v[32:33], v[14:15], v[20:21]
	s_waitcnt lgkmcnt(2)
	v_pk_add_f32 v[10:11], v[46:47], v[10:11]
	ds_bpermute_b32 v9, v41, v1
	ds_bpermute_b32 v34, v39, v32
	;; [unrolled: 1-line block ×3, first 2 shown]
	s_waitcnt lgkmcnt(3)
	v_pk_add_f32 v[6:7], v[12:13], v[6:7]
	ds_bpermute_b32 v24, v39, v10
	ds_bpermute_b32 v25, v39, v11
	ds_bpermute_b32 v26, v40, v44
	ds_bpermute_b32 v27, v40, v45
	ds_bpermute_b32 v12, v39, v6
	ds_bpermute_b32 v13, v39, v7
	s_waitcnt lgkmcnt(8)
	v_pk_add_f32 v[20:21], v[0:1], v[8:9]
	s_waitcnt lgkmcnt(6)
	v_pk_add_f32 v[0:1], v[32:33], v[34:35]
	;; [unrolled: 2-line block ×4, first 2 shown]
	ds_bpermute_b32 v8, v41, v0
	ds_bpermute_b32 v9, v41, v1
	s_waitcnt lgkmcnt(2)
	v_pk_add_f32 v[6:7], v[6:7], v[12:13]
	ds_bpermute_b32 v12, v39, v10
	ds_bpermute_b32 v13, v39, v11
	;; [unrolled: 1-line block ×4, first 2 shown]
	s_waitcnt lgkmcnt(0)
	s_barrier
	v_pk_add_f32 v[32:33], v[10:11], v[12:13]
	v_pk_add_f32 v[12:13], v[0:1], v[8:9]
	;; [unrolled: 1-line block ×3, first 2 shown]
	scratch_load_dword v27, off, off offset:112 ; 4-byte Folded Reload
	ds_bpermute_b32 v30, v41, v28
	ds_bpermute_b32 v31, v41, v29
	;; [unrolled: 1-line block ×4, first 2 shown]
	s_waitcnt lgkmcnt(2)
	v_pk_add_f32 v[14:15], v[28:29], v[30:31]
	ds_bpermute_b32 v30, v40, v42
	ds_bpermute_b32 v31, v40, v43
	;; [unrolled: 1-line block ×4, first 2 shown]
	s_waitcnt lgkmcnt(2)
	v_pk_add_f32 v[30:31], v[42:43], v[30:31]
	ds_bpermute_b32 v36, v39, v30
	ds_bpermute_b32 v37, v39, v31
	s_waitcnt lgkmcnt(2)
	v_pk_add_f32 v[10:11], v[6:7], v[28:29]
	v_pk_add_f32 v[6:7], v[32:33], v[34:35]
	s_waitcnt lgkmcnt(0)
	v_pk_add_f32 v[0:1], v[30:31], v[36:37]
	ds_bpermute_b32 v24, v41, v0
	ds_bpermute_b32 v25, v41, v1
	s_waitcnt vmcnt(0)
	v_and_b32_e32 v26, 0x3c7, v27
	v_cmp_ne_u32_e32 vcc, 64, v26
	s_and_saveexec_b64 s[0:1], vcc
	s_xor_b64 s[0:1], exec, s[0:1]
; %bb.102:
                                        ; implicit-def: $vgpr38
; %bb.103:
	s_or_saveexec_b64 s[0:1], s[0:1]
	s_waitcnt lgkmcnt(0)
	v_pk_add_f32 v[24:25], v[0:1], v[24:25]
	s_xor_b64 exec, exec, s[0:1]
	s_cbranch_execz .LBB234_105
; %bb.104:
	v_lshrrev_b32_e32 v0, 1, v38
	v_add_u32_e32 v0, 0x310, v0
	ds_write2_b32 v0, v22, v23 offset1:8
	ds_write2_b32 v0, v4, v5 offset0:16 offset1:24
	ds_write2_b32 v0, v2, v3 offset0:32 offset1:40
	;; [unrolled: 1-line block ×11, first 2 shown]
.LBB234_105:
	s_or_b64 exec, exec, s[0:1]
	v_cmp_gt_u32_e32 vcc, 64, v27
	s_waitcnt lgkmcnt(0)
	s_barrier
	s_and_saveexec_b64 s[0:1], vcc
	s_cbranch_execz .LBB234_132
; %bb.106:
	scratch_load_dword v0, off, off offset:116 ; 4-byte Folded Reload
	s_waitcnt vmcnt(0)
	v_cmp_eq_u32_e32 vcc, 0, v0
	v_lshrrev_b32_e32 v0, 3, v27
	s_and_saveexec_b64 s[2:3], vcc
	s_cbranch_execnz .LBB234_135
; %bb.107:
	s_or_b64 exec, exec, s[2:3]
	s_and_saveexec_b64 s[2:3], vcc
	s_cbranch_execnz .LBB234_136
.LBB234_108:
	s_or_b64 exec, exec, s[2:3]
	s_and_saveexec_b64 s[2:3], vcc
	s_cbranch_execnz .LBB234_137
.LBB234_109:
	s_or_b64 exec, exec, s[2:3]
	s_and_saveexec_b64 s[2:3], vcc
	s_cbranch_execnz .LBB234_138
.LBB234_110:
	s_or_b64 exec, exec, s[2:3]
	s_and_saveexec_b64 s[2:3], vcc
	s_cbranch_execnz .LBB234_139
.LBB234_111:
	s_or_b64 exec, exec, s[2:3]
	s_and_saveexec_b64 s[2:3], vcc
	s_cbranch_execnz .LBB234_140
.LBB234_112:
	s_or_b64 exec, exec, s[2:3]
	s_and_saveexec_b64 s[2:3], vcc
	s_cbranch_execnz .LBB234_141
.LBB234_113:
	s_or_b64 exec, exec, s[2:3]
	s_and_saveexec_b64 s[2:3], vcc
	s_cbranch_execnz .LBB234_142
.LBB234_114:
	s_or_b64 exec, exec, s[2:3]
	s_and_saveexec_b64 s[2:3], vcc
	s_cbranch_execnz .LBB234_143
.LBB234_115:
	s_or_b64 exec, exec, s[2:3]
	s_and_saveexec_b64 s[2:3], vcc
	s_cbranch_execnz .LBB234_144
.LBB234_116:
	s_or_b64 exec, exec, s[2:3]
	s_and_saveexec_b64 s[2:3], vcc
	s_cbranch_execnz .LBB234_145
.LBB234_117:
	s_or_b64 exec, exec, s[2:3]
	s_and_saveexec_b64 s[2:3], vcc
	s_cbranch_execnz .LBB234_146
.LBB234_118:
	s_or_b64 exec, exec, s[2:3]
	s_and_saveexec_b64 s[2:3], vcc
	s_cbranch_execnz .LBB234_147
.LBB234_119:
	s_or_b64 exec, exec, s[2:3]
	s_and_saveexec_b64 s[2:3], vcc
	s_cbranch_execnz .LBB234_148
.LBB234_120:
	s_or_b64 exec, exec, s[2:3]
	s_and_saveexec_b64 s[2:3], vcc
	s_cbranch_execnz .LBB234_149
.LBB234_121:
	s_or_b64 exec, exec, s[2:3]
	s_and_saveexec_b64 s[2:3], vcc
	s_cbranch_execnz .LBB234_150
.LBB234_122:
	s_or_b64 exec, exec, s[2:3]
	s_and_saveexec_b64 s[2:3], vcc
	s_cbranch_execnz .LBB234_151
.LBB234_123:
	s_or_b64 exec, exec, s[2:3]
	s_and_saveexec_b64 s[2:3], vcc
	s_cbranch_execnz .LBB234_152
.LBB234_124:
	s_or_b64 exec, exec, s[2:3]
	s_and_saveexec_b64 s[2:3], vcc
	s_cbranch_execnz .LBB234_153
.LBB234_125:
	s_or_b64 exec, exec, s[2:3]
	s_and_saveexec_b64 s[2:3], vcc
	s_cbranch_execnz .LBB234_154
.LBB234_126:
	s_or_b64 exec, exec, s[2:3]
	s_and_saveexec_b64 s[2:3], vcc
	s_cbranch_execnz .LBB234_155
.LBB234_127:
	s_or_b64 exec, exec, s[2:3]
	s_and_saveexec_b64 s[2:3], vcc
	s_cbranch_execnz .LBB234_156
.LBB234_128:
	s_or_b64 exec, exec, s[2:3]
	s_and_saveexec_b64 s[2:3], vcc
	s_cbranch_execnz .LBB234_157
.LBB234_129:
	s_or_b64 exec, exec, s[2:3]
	s_and_saveexec_b64 s[2:3], vcc
	s_cbranch_execz .LBB234_131
.LBB234_130:
	v_mov_b32_e32 v1, 0x310
	v_lshl_add_u32 v0, v0, 2, v1
	ds_read_b32 v0, v0 offset:736
	s_waitcnt lgkmcnt(0)
	v_add_f32_e32 v25, v25, v0
.LBB234_131:
	s_or_b64 exec, exec, s[2:3]
.LBB234_132:
	s_or_b64 exec, exec, s[0:1]
	v_cmp_eq_u32_e32 vcc, 0, v26
	s_barrier
	s_and_saveexec_b64 s[0:1], vcc
	s_cbranch_execz .LBB234_134
; %bb.133:
	s_mul_i32 s0, s6, 0xc0
	s_ashr_i32 s1, s0, 31
	s_lshl_b64 s[0:1], s[0:1], 2
	s_add_u32 s2, s30, s0
	s_mul_i32 s0, s20, s28
	s_addc_u32 s3, s31, s1
	s_ashr_i32 s1, s0, 31
	s_lshl_b64 s[0:1], s[0:1], 2
	s_add_u32 s2, s2, s0
	s_mul_i32 s0, s4, 0xc0
	s_addc_u32 s3, s3, s1
	s_ashr_i32 s1, s0, 31
	s_lshl_b64 s[0:1], s[0:1], 2
	s_add_u32 s0, s2, s0
	s_addc_u32 s1, s3, s1
	v_lshrrev_b32_e32 v0, 1, v27
	global_store_dword v0, v22, s[0:1]
	global_store_dword v0, v23, s[0:1] offset:32
	global_store_dword v0, v4, s[0:1] offset:64
	;; [unrolled: 1-line block ×23, first 2 shown]
.LBB234_134:
	s_endpgm
.LBB234_135:
	v_mov_b32_e32 v1, 0x310
	v_lshl_add_u32 v1, v0, 2, v1
	ds_read_b32 v1, v1
	s_waitcnt lgkmcnt(0)
	v_add_f32_e32 v22, v22, v1
	s_or_b64 exec, exec, s[2:3]
	s_and_saveexec_b64 s[2:3], vcc
	s_cbranch_execz .LBB234_108
.LBB234_136:
	v_mov_b32_e32 v1, 0x310
	v_lshl_add_u32 v1, v0, 2, v1
	ds_read_b32 v1, v1 offset:32
	s_waitcnt lgkmcnt(0)
	v_add_f32_e32 v23, v23, v1
	s_or_b64 exec, exec, s[2:3]
	s_and_saveexec_b64 s[2:3], vcc
	s_cbranch_execz .LBB234_109
.LBB234_137:
	v_mov_b32_e32 v1, 0x310
	v_lshl_add_u32 v1, v0, 2, v1
	ds_read_b32 v1, v1 offset:64
	s_waitcnt lgkmcnt(0)
	v_add_f32_e32 v4, v4, v1
	s_or_b64 exec, exec, s[2:3]
	s_and_saveexec_b64 s[2:3], vcc
	s_cbranch_execz .LBB234_110
.LBB234_138:
	v_mov_b32_e32 v1, 0x310
	v_lshl_add_u32 v1, v0, 2, v1
	ds_read_b32 v1, v1 offset:96
	s_waitcnt lgkmcnt(0)
	v_add_f32_e32 v5, v5, v1
	s_or_b64 exec, exec, s[2:3]
	s_and_saveexec_b64 s[2:3], vcc
	s_cbranch_execz .LBB234_111
.LBB234_139:
	v_mov_b32_e32 v1, 0x310
	v_lshl_add_u32 v1, v0, 2, v1
	ds_read_b32 v1, v1 offset:128
	s_waitcnt lgkmcnt(0)
	v_add_f32_e32 v2, v2, v1
	s_or_b64 exec, exec, s[2:3]
	s_and_saveexec_b64 s[2:3], vcc
	s_cbranch_execz .LBB234_112
.LBB234_140:
	v_mov_b32_e32 v1, 0x310
	v_lshl_add_u32 v1, v0, 2, v1
	ds_read_b32 v1, v1 offset:160
	s_waitcnt lgkmcnt(0)
	v_add_f32_e32 v3, v3, v1
	s_or_b64 exec, exec, s[2:3]
	s_and_saveexec_b64 s[2:3], vcc
	s_cbranch_execz .LBB234_113
.LBB234_141:
	v_mov_b32_e32 v1, 0x310
	v_lshl_add_u32 v1, v0, 2, v1
	ds_read_b32 v1, v1 offset:192
	s_waitcnt lgkmcnt(0)
	v_add_f32_e32 v20, v20, v1
	s_or_b64 exec, exec, s[2:3]
	s_and_saveexec_b64 s[2:3], vcc
	s_cbranch_execz .LBB234_114
.LBB234_142:
	v_mov_b32_e32 v1, 0x310
	v_lshl_add_u32 v1, v0, 2, v1
	ds_read_b32 v1, v1 offset:224
	s_waitcnt lgkmcnt(0)
	v_add_f32_e32 v21, v21, v1
	s_or_b64 exec, exec, s[2:3]
	s_and_saveexec_b64 s[2:3], vcc
	s_cbranch_execz .LBB234_115
.LBB234_143:
	v_mov_b32_e32 v1, 0x310
	v_lshl_add_u32 v1, v0, 2, v1
	ds_read_b32 v1, v1 offset:256
	s_waitcnt lgkmcnt(0)
	v_add_f32_e32 v18, v18, v1
	s_or_b64 exec, exec, s[2:3]
	s_and_saveexec_b64 s[2:3], vcc
	s_cbranch_execz .LBB234_116
.LBB234_144:
	v_mov_b32_e32 v1, 0x310
	v_lshl_add_u32 v1, v0, 2, v1
	ds_read_b32 v1, v1 offset:288
	s_waitcnt lgkmcnt(0)
	v_add_f32_e32 v19, v19, v1
	s_or_b64 exec, exec, s[2:3]
	s_and_saveexec_b64 s[2:3], vcc
	s_cbranch_execz .LBB234_117
.LBB234_145:
	v_mov_b32_e32 v1, 0x310
	v_lshl_add_u32 v1, v0, 2, v1
	ds_read_b32 v1, v1 offset:320
	s_waitcnt lgkmcnt(0)
	v_add_f32_e32 v16, v16, v1
	s_or_b64 exec, exec, s[2:3]
	s_and_saveexec_b64 s[2:3], vcc
	s_cbranch_execz .LBB234_118
.LBB234_146:
	v_mov_b32_e32 v1, 0x310
	v_lshl_add_u32 v1, v0, 2, v1
	ds_read_b32 v1, v1 offset:352
	s_waitcnt lgkmcnt(0)
	v_add_f32_e32 v17, v17, v1
	s_or_b64 exec, exec, s[2:3]
	s_and_saveexec_b64 s[2:3], vcc
	s_cbranch_execz .LBB234_119
.LBB234_147:
	v_mov_b32_e32 v1, 0x310
	v_lshl_add_u32 v1, v0, 2, v1
	ds_read_b32 v1, v1 offset:384
	s_waitcnt lgkmcnt(0)
	v_add_f32_e32 v14, v14, v1
	s_or_b64 exec, exec, s[2:3]
	s_and_saveexec_b64 s[2:3], vcc
	s_cbranch_execz .LBB234_120
.LBB234_148:
	v_mov_b32_e32 v1, 0x310
	v_lshl_add_u32 v1, v0, 2, v1
	ds_read_b32 v1, v1 offset:416
	s_waitcnt lgkmcnt(0)
	v_add_f32_e32 v15, v15, v1
	s_or_b64 exec, exec, s[2:3]
	s_and_saveexec_b64 s[2:3], vcc
	s_cbranch_execz .LBB234_121
.LBB234_149:
	v_mov_b32_e32 v1, 0x310
	v_lshl_add_u32 v1, v0, 2, v1
	ds_read_b32 v1, v1 offset:448
	s_waitcnt lgkmcnt(0)
	v_add_f32_e32 v12, v12, v1
	s_or_b64 exec, exec, s[2:3]
	s_and_saveexec_b64 s[2:3], vcc
	s_cbranch_execz .LBB234_122
.LBB234_150:
	v_mov_b32_e32 v1, 0x310
	v_lshl_add_u32 v1, v0, 2, v1
	ds_read_b32 v1, v1 offset:480
	s_waitcnt lgkmcnt(0)
	v_add_f32_e32 v13, v13, v1
	s_or_b64 exec, exec, s[2:3]
	s_and_saveexec_b64 s[2:3], vcc
	s_cbranch_execz .LBB234_123
.LBB234_151:
	v_mov_b32_e32 v1, 0x310
	v_lshl_add_u32 v1, v0, 2, v1
	ds_read_b32 v1, v1 offset:512
	s_waitcnt lgkmcnt(0)
	v_add_f32_e32 v10, v10, v1
	s_or_b64 exec, exec, s[2:3]
	s_and_saveexec_b64 s[2:3], vcc
	s_cbranch_execz .LBB234_124
.LBB234_152:
	v_mov_b32_e32 v1, 0x310
	v_lshl_add_u32 v1, v0, 2, v1
	ds_read_b32 v1, v1 offset:544
	s_waitcnt lgkmcnt(0)
	v_add_f32_e32 v11, v11, v1
	s_or_b64 exec, exec, s[2:3]
	s_and_saveexec_b64 s[2:3], vcc
	s_cbranch_execz .LBB234_125
.LBB234_153:
	v_mov_b32_e32 v1, 0x310
	v_lshl_add_u32 v1, v0, 2, v1
	ds_read_b32 v1, v1 offset:576
	s_waitcnt lgkmcnt(0)
	v_add_f32_e32 v8, v8, v1
	s_or_b64 exec, exec, s[2:3]
	s_and_saveexec_b64 s[2:3], vcc
	s_cbranch_execz .LBB234_126
.LBB234_154:
	v_mov_b32_e32 v1, 0x310
	v_lshl_add_u32 v1, v0, 2, v1
	ds_read_b32 v1, v1 offset:608
	s_waitcnt lgkmcnt(0)
	v_add_f32_e32 v9, v9, v1
	s_or_b64 exec, exec, s[2:3]
	s_and_saveexec_b64 s[2:3], vcc
	s_cbranch_execz .LBB234_127
.LBB234_155:
	v_mov_b32_e32 v1, 0x310
	v_lshl_add_u32 v1, v0, 2, v1
	ds_read_b32 v1, v1 offset:640
	s_waitcnt lgkmcnt(0)
	v_add_f32_e32 v6, v6, v1
	s_or_b64 exec, exec, s[2:3]
	s_and_saveexec_b64 s[2:3], vcc
	s_cbranch_execz .LBB234_128
.LBB234_156:
	v_mov_b32_e32 v1, 0x310
	v_lshl_add_u32 v1, v0, 2, v1
	ds_read_b32 v1, v1 offset:672
	s_waitcnt lgkmcnt(0)
	v_add_f32_e32 v7, v7, v1
	s_or_b64 exec, exec, s[2:3]
	s_and_saveexec_b64 s[2:3], vcc
	s_cbranch_execz .LBB234_129
.LBB234_157:
	v_mov_b32_e32 v1, 0x310
	v_lshl_add_u32 v1, v0, 2, v1
	ds_read_b32 v1, v1 offset:704
	s_waitcnt lgkmcnt(0)
	v_add_f32_e32 v24, v24, v1
	s_or_b64 exec, exec, s[2:3]
	s_and_saveexec_b64 s[2:3], vcc
	s_cbranch_execnz .LBB234_130
	s_branch .LBB234_131
	.section	.rodata,"a",@progbits
	.p2align	6, 0x0
	.amdhsa_kernel _ZN4vllm25paged_attention_v2_kernelIfhLi192ELi32ELi128ELNS_18Fp8KVCacheDataTypeE1ELb1ELi512EEEvPfS2_PT_PKS3_PKT0_S9_ifPKiSB_iPKfiiiSD_SD_iiiii
		.amdhsa_group_segment_fixed_size 784
		.amdhsa_private_segment_fixed_size 140
		.amdhsa_kernarg_size 400
		.amdhsa_user_sgpr_count 2
		.amdhsa_user_sgpr_dispatch_ptr 0
		.amdhsa_user_sgpr_queue_ptr 0
		.amdhsa_user_sgpr_kernarg_segment_ptr 1
		.amdhsa_user_sgpr_dispatch_id 0
		.amdhsa_user_sgpr_kernarg_preload_length 0
		.amdhsa_user_sgpr_kernarg_preload_offset 0
		.amdhsa_user_sgpr_private_segment_size 0
		.amdhsa_uses_dynamic_stack 0
		.amdhsa_enable_private_segment 1
		.amdhsa_system_sgpr_workgroup_id_x 1
		.amdhsa_system_sgpr_workgroup_id_y 1
		.amdhsa_system_sgpr_workgroup_id_z 1
		.amdhsa_system_sgpr_workgroup_info 0
		.amdhsa_system_vgpr_workitem_id 0
		.amdhsa_next_free_vgpr 128
		.amdhsa_next_free_sgpr 66
		.amdhsa_accum_offset 128
		.amdhsa_reserve_vcc 1
		.amdhsa_float_round_mode_32 0
		.amdhsa_float_round_mode_16_64 0
		.amdhsa_float_denorm_mode_32 3
		.amdhsa_float_denorm_mode_16_64 3
		.amdhsa_dx10_clamp 1
		.amdhsa_ieee_mode 1
		.amdhsa_fp16_overflow 0
		.amdhsa_tg_split 0
		.amdhsa_exception_fp_ieee_invalid_op 0
		.amdhsa_exception_fp_denorm_src 0
		.amdhsa_exception_fp_ieee_div_zero 0
		.amdhsa_exception_fp_ieee_overflow 0
		.amdhsa_exception_fp_ieee_underflow 0
		.amdhsa_exception_fp_ieee_inexact 0
		.amdhsa_exception_int_div_zero 0
	.end_amdhsa_kernel
	.section	.text._ZN4vllm25paged_attention_v2_kernelIfhLi192ELi32ELi128ELNS_18Fp8KVCacheDataTypeE1ELb1ELi512EEEvPfS2_PT_PKS3_PKT0_S9_ifPKiSB_iPKfiiiSD_SD_iiiii,"axG",@progbits,_ZN4vllm25paged_attention_v2_kernelIfhLi192ELi32ELi128ELNS_18Fp8KVCacheDataTypeE1ELb1ELi512EEEvPfS2_PT_PKS3_PKT0_S9_ifPKiSB_iPKfiiiSD_SD_iiiii,comdat
.Lfunc_end234:
	.size	_ZN4vllm25paged_attention_v2_kernelIfhLi192ELi32ELi128ELNS_18Fp8KVCacheDataTypeE1ELb1ELi512EEEvPfS2_PT_PKS3_PKT0_S9_ifPKiSB_iPKfiiiSD_SD_iiiii, .Lfunc_end234-_ZN4vllm25paged_attention_v2_kernelIfhLi192ELi32ELi128ELNS_18Fp8KVCacheDataTypeE1ELb1ELi512EEEvPfS2_PT_PKS3_PKT0_S9_ifPKiSB_iPKfiiiSD_SD_iiiii
                                        ; -- End function
	.section	.AMDGPU.csdata,"",@progbits
; Kernel info:
; codeLenInByte = 12648
; NumSgprs: 72
; NumVgprs: 128
; NumAgprs: 0
; TotalNumVgprs: 128
; ScratchSize: 140
; MemoryBound: 0
; FloatMode: 240
; IeeeMode: 1
; LDSByteSize: 784 bytes/workgroup (compile time only)
; SGPRBlocks: 8
; VGPRBlocks: 15
; NumSGPRsForWavesPerEU: 72
; NumVGPRsForWavesPerEU: 128
; AccumOffset: 128
; Occupancy: 4
; WaveLimiterHint : 1
; COMPUTE_PGM_RSRC2:SCRATCH_EN: 1
; COMPUTE_PGM_RSRC2:USER_SGPR: 2
; COMPUTE_PGM_RSRC2:TRAP_HANDLER: 0
; COMPUTE_PGM_RSRC2:TGID_X_EN: 1
; COMPUTE_PGM_RSRC2:TGID_Y_EN: 1
; COMPUTE_PGM_RSRC2:TGID_Z_EN: 1
; COMPUTE_PGM_RSRC2:TIDIG_COMP_CNT: 0
; COMPUTE_PGM_RSRC3_GFX90A:ACCUM_OFFSET: 31
; COMPUTE_PGM_RSRC3_GFX90A:TG_SPLIT: 0
	.section	.text._ZN4vllm25paged_attention_v2_kernelIfhLi256ELi32ELi128ELNS_18Fp8KVCacheDataTypeE1ELb1ELi512EEEvPfS2_PT_PKS3_PKT0_S9_ifPKiSB_iPKfiiiSD_SD_iiiii,"axG",@progbits,_ZN4vllm25paged_attention_v2_kernelIfhLi256ELi32ELi128ELNS_18Fp8KVCacheDataTypeE1ELb1ELi512EEEvPfS2_PT_PKS3_PKT0_S9_ifPKiSB_iPKfiiiSD_SD_iiiii,comdat
	.protected	_ZN4vllm25paged_attention_v2_kernelIfhLi256ELi32ELi128ELNS_18Fp8KVCacheDataTypeE1ELb1ELi512EEEvPfS2_PT_PKS3_PKT0_S9_ifPKiSB_iPKfiiiSD_SD_iiiii ; -- Begin function _ZN4vllm25paged_attention_v2_kernelIfhLi256ELi32ELi128ELNS_18Fp8KVCacheDataTypeE1ELb1ELi512EEEvPfS2_PT_PKS3_PKT0_S9_ifPKiSB_iPKfiiiSD_SD_iiiii
	.globl	_ZN4vllm25paged_attention_v2_kernelIfhLi256ELi32ELi128ELNS_18Fp8KVCacheDataTypeE1ELb1ELi512EEEvPfS2_PT_PKS3_PKT0_S9_ifPKiSB_iPKfiiiSD_SD_iiiii
	.p2align	8
	.type	_ZN4vllm25paged_attention_v2_kernelIfhLi256ELi32ELi128ELNS_18Fp8KVCacheDataTypeE1ELb1ELi512EEEvPfS2_PT_PKS3_PKT0_S9_ifPKiSB_iPKfiiiSD_SD_iiiii,@function
_ZN4vllm25paged_attention_v2_kernelIfhLi256ELi32ELi128ELNS_18Fp8KVCacheDataTypeE1ELb1ELi512EEEvPfS2_PT_PKS3_PKT0_S9_ifPKiSB_iPKfiiiSD_SD_iiiii: ; @_ZN4vllm25paged_attention_v2_kernelIfhLi256ELi32ELi128ELNS_18Fp8KVCacheDataTypeE1ELb1ELi512EEEvPfS2_PT_PKS3_PKT0_S9_ifPKiSB_iPKfiiiSD_SD_iiiii
; %bb.0:
	s_load_dwordx2 s[6:7], s[0:1], 0x40
	s_mov_b32 s34, s3
	s_ashr_i32 s35, s3, 31
	s_lshl_b64 s[8:9], s[34:35], 2
	scratch_store_dword off, v0, off offset:188 ; 4-byte Folded Spill
	s_waitcnt lgkmcnt(0)
	s_add_u32 s6, s6, s8
	s_addc_u32 s7, s7, s9
	s_load_dword s33, s[6:7], 0x0
	s_lshl_b32 s68, s4, 9
	s_waitcnt lgkmcnt(0)
	s_cmp_ge_i32 s68, s33
	s_cbranch_scc1 .LBB235_158
; %bb.1:
	s_load_dword s5, s[0:1], 0x90
	s_load_dwordx2 s[42:43], s[0:1], 0x30
	s_waitcnt lgkmcnt(0)
	s_abs_i32 s7, s5
	s_abs_i32 s3, s42
	v_cvt_f32_u32_e32 v0, s3
	s_sub_i32 s8, 0, s3
	s_xor_b32 s6, s5, s42
	s_ashr_i32 s6, s6, 31
	v_rcp_iflag_f32_e32 v0, v0
	s_nop 0
	v_mul_f32_e32 v0, 0x4f7ffffe, v0
	v_cvt_u32_f32_e32 v0, v0
	s_nop 0
	v_readfirstlane_b32 s9, v0
	s_mul_i32 s8, s8, s9
	s_mul_hi_u32 s8, s9, s8
	s_add_i32 s9, s9, s8
	s_mul_hi_u32 s8, s7, s9
	s_mul_i32 s9, s8, s3
	s_sub_i32 s7, s7, s9
	s_add_i32 s10, s8, 1
	s_sub_i32 s9, s7, s3
	s_cmp_ge_u32 s7, s3
	s_cselect_b32 s8, s10, s8
	s_cselect_b32 s7, s9, s7
	s_add_i32 s9, s8, 1
	s_cmp_ge_u32 s7, s3
	s_cselect_b32 s3, s9, s8
	s_xor_b32 s3, s3, s6
	s_sub_i32 s12, s3, s6
	s_abs_i32 s8, s12
	v_cvt_f32_u32_e32 v0, s8
	s_load_dwordx2 s[6:7], s[0:1], 0x50
	s_sub_i32 s10, 0, s8
	s_abs_i32 s9, s2
	v_rcp_iflag_f32_e32 v0, v0
	s_mov_b32 s3, 0
	v_mul_f32_e32 v0, 0x4f7ffffe, v0
	v_cvt_u32_f32_e32 v0, v0
	s_nop 0
	v_readfirstlane_b32 s11, v0
	s_mul_i32 s10, s10, s11
	s_mul_hi_u32 s10, s11, s10
	s_add_i32 s11, s11, s10
	s_waitcnt lgkmcnt(0)
	s_cmp_eq_u64 s[6:7], 0
	s_mul_hi_u32 s10, s9, s11
	s_cbranch_scc1 .LBB235_3
; %bb.2:
	s_ashr_i32 s3, s2, 31
	s_lshl_b64 s[14:15], s[2:3], 2
	s_add_u32 s6, s6, s14
	s_addc_u32 s7, s7, s15
	s_load_dword s3, s[6:7], 0x0
.LBB235_3:
	scratch_load_dword v1, off, off offset:188 ; 4-byte Folded Reload
	s_load_dwordx4 s[20:23], s[0:1], 0x58
	s_movk_i32 s6, 0x80
	s_ashr_i32 s11, s2, 31
	s_ashr_i32 s12, s12, 31
	s_lshl_b32 s28, s2, 8
	s_waitcnt vmcnt(0)
	v_and_b32_e32 v0, 1, v1
	v_cmp_gt_u32_e32 vcc, s6, v1
	v_lshlrev_b32_e32 v40, 2, v1
	s_and_saveexec_b64 s[6:7], vcc
	s_cbranch_execz .LBB235_5
; %bb.4:
	scratch_load_dword v1, off, off offset:188 ; 4-byte Folded Reload
	s_load_dwordx2 s[14:15], s[0:1], 0x18
	s_waitcnt lgkmcnt(0)
	s_mul_i32 s16, s34, s20
	s_ashr_i32 s17, s16, 31
	s_lshl_b64 s[16:17], s[16:17], 2
	s_add_u32 s13, s14, s16
	s_addc_u32 s16, s15, s17
	s_ashr_i32 s29, s28, 31
	s_lshl_b64 s[14:15], s[28:29], 2
	s_add_u32 s14, s13, s14
	s_addc_u32 s15, s16, s15
	s_waitcnt vmcnt(0)
	v_lshlrev_b32_e32 v1, 3, v1
	global_load_dwordx2 v[2:3], v1, s[14:15]
	v_and_b32_e32 v1, 0xff8, v40
	v_lshl_add_u32 v1, v0, 9, v1
	s_waitcnt vmcnt(0)
	ds_write_b64 v1, v[2:3]
.LBB235_5:
	s_or_b64 exec, exec, s[6:7]
	s_mul_i32 s7, s10, s8
	s_sub_i32 s7, s9, s7
	s_xor_b32 s6, s11, s12
	s_add_i32 s9, s10, 1
	s_sub_i32 s11, s7, s8
	s_load_dwordx4 s[16:19], s[0:1], 0x78
	s_cmp_ge_u32 s7, s8
	s_cselect_b32 s9, s9, s10
	s_cselect_b32 s7, s11, s7
	s_add_i32 s10, s9, 1
	s_cmp_ge_u32 s7, s8
	s_cselect_b32 s7, s10, s9
	s_load_dword s10, s[0:1], 0x88
	s_waitcnt lgkmcnt(0)
	s_abs_i32 s29, s19
	v_cvt_f32_u32_e32 v1, s29
	s_xor_b32 s7, s7, s6
	s_sub_i32 s67, s7, s6
	s_sub_i32 s6, 0, s29
	v_rcp_iflag_f32_e32 v1, v1
	s_add_i32 s11, s33, -1
	s_abs_i32 s8, s11
	v_mul_f32_e32 v1, 0x4f7ffffe, v1
	v_cvt_u32_f32_e32 v1, v1
	s_barrier
	v_readfirstlane_b32 s35, v1
	s_mul_i32 s6, s6, s35
	s_mul_hi_u32 s6, s35, s6
	s_add_i32 s35, s35, s6
	s_cmp_lt_i32 s10, 0
	s_mul_hi_u32 s9, s8, s35
	s_cbranch_scc0 .LBB235_7
; %bb.6:
	s_mul_i32 s6, s16, s42
	s_add_i32 s6, s67, s6
	s_mul_i32 s6, s6, s10
	s_sub_i32 s42, 1, s6
	s_mov_b64 s[6:7], 0
	s_branch .LBB235_8
.LBB235_7:
	s_mov_b64 s[6:7], -1
                                        ; implicit-def: $sgpr42
.LBB235_8:
	s_load_dwordx2 s[36:37], s[0:1], 0x38
	s_ashr_i32 s11, s11, 31
	s_andn2_b64 vcc, exec, s[6:7]
	s_ashr_i32 s64, s19, 31
	s_cbranch_vccnz .LBB235_10
; %bb.9:
	s_mul_i32 s6, s5, s16
	s_add_i32 s6, s6, s2
	s_mul_i32 s6, s6, s10
	s_add_i32 s42, s6, 1
.LBB235_10:
	s_load_dwordx2 s[40:41], s[0:1], 0x28
	s_load_dword s6, s[0:1], 0x48
	s_load_dwordx4 s[24:27], s[0:1], 0x0
	s_load_dwordx2 s[30:31], s[0:1], 0x10
	s_load_dword s20, s[0:1], 0x98
	s_load_dwordx4 s[12:15], s[0:1], 0x68
	scratch_load_dword v1, off, off offset:188 ; 4-byte Folded Reload
	s_mul_i32 s7, s9, s29
	s_waitcnt lgkmcnt(0)
	s_mul_i32 s38, s34, s6
	s_sub_i32 s7, s8, s7
	s_ashr_i32 s39, s38, 31
	s_xor_b32 s6, s11, s64
	s_add_i32 s8, s9, 1
	s_sub_i32 s10, s7, s29
	s_cmp_ge_u32 s7, s29
	s_cselect_b32 s8, s8, s9
	s_cselect_b32 s7, s10, s7
	s_add_i32 s9, s8, 1
	s_cmp_ge_u32 s7, s29
	s_cselect_b32 s7, s9, s8
	s_xor_b32 s7, s7, s6
	s_sub_i32 s66, s7, s6
	s_add_i32 s6, s33, 31
	s_ashr_i32 s7, s6, 31
	s_lshr_b32 s7, s7, 27
	s_add_i32 s6, s6, s7
	s_lshl_b32 s69, s4, 4
	s_ashr_i32 s19, s6, 5
	s_add_i32 s6, s69, 16
	s_min_i32 s65, s6, s19
	v_mov_b32_e32 v46, 0xff7fffff
	s_mul_i32 s67, s67, s22
	v_mbcnt_lo_u32_b32 v42, -1, 0
	s_waitcnt vmcnt(0)
	v_lshrrev_b32_e32 v41, 6, v1
	v_or_b32_e32 v32, s69, v41
	v_cmp_gt_i32_e64 s[8:9], s65, v32
	v_ashrrev_i32_e32 v33, 31, v32
	v_lshl_add_u32 v86, v41, 5, s68
	s_and_saveexec_b64 s[22:23], s[8:9]
	s_cbranch_execz .LBB235_20
; %bb.11:
	scratch_load_dword v2, off, off offset:188 ; 4-byte Folded Reload
	s_load_dwordx2 s[0:1], s[0:1], 0x20
	s_sub_i32 s70, s66, s17
	s_ashr_i32 s6, s67, 31
	v_mov_b32_e32 v35, 0
	v_cmp_eq_u32_e32 vcc, 0, v0
	s_waitcnt lgkmcnt(0)
	s_add_u32 s0, s0, s67
	s_addc_u32 s1, s1, s6
	s_abs_i32 s71, s18
	v_cvt_f32_u32_e32 v1, s71
	v_lshlrev_b32_e32 v44, 9, v0
	v_mbcnt_hi_u32_b32 v51, -1, v42
	s_mov_b32 s72, s21
	v_rcp_iflag_f32_e32 v1, v1
	v_cmp_neq_f32_e64 s[6:7], s3, 0
	v_lshl_add_u32 v47, v41, 5, s68
	s_mov_b64 s[44:45], 0
	v_mul_f32_e32 v1, 0x4f7ffffe, v1
	v_cvt_u32_f32_e32 v1, v1
	v_mov_b32_e32 v50, 0xff7fffff
	s_mov_b64 s[46:47], 0x1000
	s_movk_i32 s73, 0x1000
	s_mov_b64 s[48:49], 0x1200
	s_mov_b64 s[50:51], 0x1400
	;; [unrolled: 1-line block ×7, first 2 shown]
	v_xor_b32_e32 v52, 1, v51
	v_mov_b32_e32 v46, 0xff7fffff
	v_mov_b32_e32 v54, v32
	s_waitcnt vmcnt(0)
	v_bfe_u32 v43, v2, 1, 5
	v_lshlrev_b32_e32 v34, 4, v43
	v_lshl_add_u64 v[36:37], s[0:1], 0, v[34:35]
	s_sub_i32 s0, 0, s71
	v_lshlrev_b32_e32 v34, 1, v0
	v_mul_lo_u32 v0, s0, v1
	v_mul_hi_u32 v0, v1, v0
	v_add_u32_e32 v45, v1, v0
	v_lshlrev_b32_e32 v0, 2, v43
	s_lshl_b64 s[0:1], s[38:39], 2
	v_lshl_or_b32 v0, v41, 7, v0
	s_add_u32 s0, s36, s0
	v_add_u32_e32 v48, 0x410, v0
	v_subrev_u32_e32 v0, s33, v43
	s_addc_u32 s1, s37, s1
	v_add_u32_e32 v49, 1, v0
	v_and_b32_e32 v0, 64, v51
	v_lshl_add_u64 v[38:39], v[32:33], 2, s[0:1]
	v_add_u32_e32 v53, 64, v0
	s_branch .LBB235_14
.LBB235_12:                             ;   in Loop: Header=BB235_14 Depth=1
	s_or_b64 exec, exec, s[62:63]
.LBB235_13:                             ;   in Loop: Header=BB235_14 Depth=1
	s_or_b64 exec, exec, s[10:11]
	v_add_u32_e32 v54, 2, v54
	v_cmp_le_i32_e64 s[0:1], s65, v54
	v_lshl_add_u64 v[38:39], v[38:39], 0, 8
	v_add_u32_e32 v47, 64, v47
	s_or_b64 s[44:45], s[0:1], s[44:45]
	v_add_u32_e32 v48, 0x100, v48
	s_andn2_b64 exec, exec, s[44:45]
	s_cbranch_execz .LBB235_19
.LBB235_14:                             ; =>This Inner Loop Header: Depth=1
	s_waitcnt lgkmcnt(0)
	v_sub_u32_e32 v1, 0, v47
	v_max_i32_e32 v1, v47, v1
	v_mul_hi_u32 v2, v1, s35
	v_mul_lo_u32 v3, v2, s29
	v_sub_u32_e32 v1, v1, v3
	v_add_u32_e32 v3, 1, v2
	v_cmp_le_u32_e64 s[0:1], s29, v1
	v_ashrrev_i32_e32 v0, 31, v47
	v_xor_b32_e32 v0, s64, v0
	v_cndmask_b32_e64 v2, v2, v3, s[0:1]
	v_subrev_u32_e32 v3, s29, v1
	v_cndmask_b32_e64 v1, v1, v3, s[0:1]
	v_add_u32_e32 v3, 1, v2
	v_cmp_le_u32_e64 s[0:1], s29, v1
	s_nop 1
	v_cndmask_b32_e64 v1, v2, v3, s[0:1]
	v_xor_b32_e32 v1, v1, v0
	v_sub_u32_e32 v0, v1, v0
	v_add_u32_e32 v1, s42, v0
	v_sub_u32_e32 v3, 0, v1
	v_ashrrev_i32_e32 v2, 31, v1
	v_max_i32_e32 v1, v1, v3
	v_mul_hi_u32 v3, v1, v45
	v_mul_lo_u32 v3, v3, s71
	v_sub_u32_e32 v1, v1, v3
	v_subrev_u32_e32 v3, s71, v1
	v_cmp_le_u32_e64 s[0:1], s71, v1
	v_cmp_ge_i32_e64 s[10:11], s70, v0
	s_nop 0
	v_cndmask_b32_e64 v1, v1, v3, s[0:1]
	v_subrev_u32_e32 v3, s71, v1
	v_cmp_le_u32_e64 s[0:1], s71, v1
	s_nop 1
	v_cndmask_b32_e64 v1, v1, v3, s[0:1]
	v_xor_b32_e32 v1, v1, v2
	v_sub_u32_e32 v1, v1, v2
	v_cmp_ne_u32_e64 s[0:1], 0, v1
	s_and_b64 s[0:1], s[0:1], s[10:11]
	s_and_b64 s[62:63], vcc, s[0:1]
	s_and_saveexec_b64 s[10:11], s[62:63]
	s_cbranch_execz .LBB235_16
; %bb.15:                               ;   in Loop: Header=BB235_14 Depth=1
	ds_write_b32 v48, v50
.LBB235_16:                             ;   in Loop: Header=BB235_14 Depth=1
	s_or_b64 exec, exec, s[10:11]
	s_xor_b64 s[0:1], s[0:1], -1
	s_and_saveexec_b64 s[10:11], s[0:1]
	s_cbranch_execz .LBB235_13
; %bb.17:                               ;   in Loop: Header=BB235_14 Depth=1
	global_load_dword v0, v[38:39], off
	s_waitcnt vmcnt(0)
	v_mad_i64_i32 v[0:1], s[0:1], v0, s72, v[36:37]
	v_lshl_add_u64 v[0:1], v[0:1], 0, v[34:35]
	global_load_ushort v10, v[0:1], off
	global_load_ushort v12, v[0:1], off offset:4
	global_load_ushort v14, v[0:1], off offset:8
	;; [unrolled: 1-line block ×13, first 2 shown]
	ds_read_b128 v[2:5], v44
	ds_read_b128 v[28:31], v44 offset:16
	ds_read_b128 v[24:27], v44 offset:32
	;; [unrolled: 1-line block ×5, first 2 shown]
	s_load_dword s16, s[12:13], 0x0
	global_load_ushort v60, v[0:1], off offset:1544
	global_load_ushort v58, v[0:1], off offset:1548
	;; [unrolled: 1-line block ×3, first 2 shown]
	s_waitcnt vmcnt(16)
	v_cvt_pk_f32_fp8_e32 v[10:11], v10
	s_waitcnt vmcnt(15)
	v_cvt_pk_f32_fp8_e32 v[12:13], v12
	;; [unrolled: 2-line block ×4, first 2 shown]
	s_waitcnt lgkmcnt(0)
	v_pk_mul_f32 v[10:11], s[16:17], v[10:11] op_sel_hi:[0,1]
	v_pk_mul_f32 v[12:13], s[16:17], v[12:13] op_sel_hi:[0,1]
	v_mul_f32_e32 v55, v4, v12
	v_mul_f32_e32 v56, v5, v13
	v_fmac_f32_e32 v55, v2, v10
	v_fmac_f32_e32 v56, v3, v11
	ds_read_b128 v[10:13], v44 offset:96
	ds_read_b128 v[2:5], v44 offset:112
	v_pk_mul_f32 v[72:73], s[16:17], v[14:15] op_sel_hi:[0,1]
	v_pk_mul_f32 v[14:15], s[16:17], v[70:71] op_sel_hi:[0,1]
	global_load_ushort v70, v[0:1], off offset:2052
	v_fmac_f32_e32 v55, v28, v72
	v_fmac_f32_e32 v56, v29, v73
	;; [unrolled: 1-line block ×4, first 2 shown]
	s_waitcnt vmcnt(13)
	v_cvt_pk_f32_fp8_e32 v[14:15], v65
	s_waitcnt vmcnt(12)
	v_cvt_pk_f32_fp8_e32 v[28:29], v66
	;; [unrolled: 2-line block ×4, first 2 shown]
	v_pk_mul_f32 v[14:15], s[16:17], v[14:15] op_sel_hi:[0,1]
	v_fmac_f32_e32 v55, v24, v14
	v_fmac_f32_e32 v56, v25, v15
	s_waitcnt vmcnt(9)
	v_cvt_pk_f32_fp8_e32 v[14:15], v68
	global_load_ushort v71, v[0:1], off offset:2056
	global_load_ushort v72, v[0:1], off offset:2060
	;; [unrolled: 1-line block ×4, first 2 shown]
	v_pk_mul_f32 v[24:25], s[16:17], v[28:29] op_sel_hi:[0,1]
	v_pk_mul_f32 v[28:29], s[16:17], v[30:31] op_sel_hi:[0,1]
	v_fmac_f32_e32 v55, v26, v24
	v_fmac_f32_e32 v56, v27, v25
	v_fmac_f32_e32 v55, v20, v28
	v_fmac_f32_e32 v56, v21, v29
	v_pk_mul_f32 v[20:21], s[16:17], v[66:67] op_sel_hi:[0,1]
	v_pk_mul_f32 v[14:15], s[16:17], v[14:15] op_sel_hi:[0,1]
	v_fmac_f32_e32 v55, v22, v20
	v_fmac_f32_e32 v56, v23, v21
	ds_read_b128 v[28:31], v44 offset:128
	ds_read_b128 v[24:27], v44 offset:144
	v_fmac_f32_e32 v55, v16, v14
	v_fmac_f32_e32 v56, v17, v15
	ds_read_b128 v[20:23], v44 offset:160
	ds_read_b128 v[14:17], v44 offset:176
	global_load_ushort v66, v[0:1], off offset:2568
	global_load_ushort v67, v[0:1], off offset:2572
	s_waitcnt vmcnt(14)
	v_cvt_pk_f32_fp8_e32 v[64:65], v64
	global_load_ushort v68, v[0:1], off offset:3072
	global_load_ushort v69, v[0:1], off offset:3076
	global_load_ushort v75, v[0:1], off offset:3080
	global_load_ushort v76, v[0:1], off offset:3084
	global_load_ushort v77, v[0:1], off offset:3584
	global_load_ushort v78, v[0:1], off offset:3588
	global_load_ushort v79, v[0:1], off offset:3592
	global_load_ushort v80, v[0:1], off offset:3596
	v_pk_mul_f32 v[64:65], s[16:17], v[64:65] op_sel_hi:[0,1]
	v_fmac_f32_e32 v55, v18, v64
	v_fmac_f32_e32 v56, v19, v65
	s_waitcnt vmcnt(21)
	v_cvt_pk_f32_fp8_e32 v[18:19], v63
	s_waitcnt vmcnt(20)
	v_cvt_pk_f32_fp8_e32 v[62:63], v62
	;; [unrolled: 2-line block ×3, first 2 shown]
	v_pk_mul_f32 v[18:19], s[16:17], v[18:19] op_sel_hi:[0,1]
	v_pk_mul_f32 v[62:63], s[16:17], v[62:63] op_sel_hi:[0,1]
	v_fmac_f32_e32 v55, v6, v18
	v_fmac_f32_e32 v56, v7, v19
	;; [unrolled: 1-line block ×4, first 2 shown]
	v_pk_mul_f32 v[8:9], s[16:17], v[64:65] op_sel_hi:[0,1]
	s_waitcnt lgkmcnt(5)
	v_fmac_f32_e32 v55, v10, v8
	v_add_co_u32_e64 v10, s[0:1], s73, v0
	v_fmac_f32_e32 v56, v11, v9
	s_nop 0
	v_addc_co_u32_e64 v11, s[0:1], 0, v1, s[0:1]
	s_waitcnt vmcnt(18)
	v_cvt_pk_f32_fp8_e32 v[6:7], v57
	global_load_ushort v64, v[10:11], off
	v_lshl_add_u64 v[8:9], v[0:1], 0, s[46:47]
	v_cmp_lt_i32_e64 s[0:1], v52, v53
	v_pk_mul_f32 v[6:7], s[16:17], v[6:7] op_sel_hi:[0,1]
	v_fmac_f32_e32 v55, v12, v6
	v_fmac_f32_e32 v56, v13, v7
	s_waitcnt vmcnt(18)
	v_cvt_pk_f32_fp8_e32 v[6:7], v60
	s_waitcnt vmcnt(17)
	v_cvt_pk_f32_fp8_e32 v[12:13], v58
	global_load_ushort v57, v[8:9], off offset:4
	global_load_ushort v58, v[8:9], off offset:8
	v_lshl_add_u64 v[60:61], v[0:1], 0, s[48:49]
	v_pk_mul_f32 v[6:7], s[16:17], v[6:7] op_sel_hi:[0,1]
	s_waitcnt lgkmcnt(4)
	v_fmac_f32_e32 v55, v2, v6
	v_fmac_f32_e32 v56, v3, v7
	s_waitcnt vmcnt(18)
	v_cvt_pk_f32_fp8_e32 v[2:3], v59
	v_pk_mul_f32 v[6:7], s[16:17], v[12:13] op_sel_hi:[0,1]
	v_fmac_f32_e32 v55, v4, v6
	v_fmac_f32_e32 v56, v5, v7
	v_pk_mul_f32 v[2:3], s[16:17], v[2:3] op_sel_hi:[0,1]
	s_waitcnt lgkmcnt(3)
	v_fmac_f32_e32 v55, v28, v2
	v_fmac_f32_e32 v56, v29, v3
	global_load_ushort v28, v[10:11], off offset:512
	global_load_ushort v19, v[10:11], off offset:1024
	;; [unrolled: 1-line block ×6, first 2 shown]
	v_cndmask_b32_e64 v12, v51, v52, s[0:1]
	v_lshlrev_b32_e32 v12, 2, v12
	s_waitcnt vmcnt(23)
	v_cvt_pk_f32_fp8_e32 v[4:5], v70
	v_pk_mul_f32 v[2:3], s[16:17], v[4:5] op_sel_hi:[0,1]
	v_fmac_f32_e32 v55, v30, v2
	v_fmac_f32_e32 v56, v31, v3
	s_waitcnt vmcnt(22)
	v_cvt_pk_f32_fp8_e32 v[2:3], v71
	s_waitcnt vmcnt(21)
	v_cvt_pk_f32_fp8_e32 v[4:5], v72
	;; [unrolled: 2-line block ×4, first 2 shown]
	v_pk_mul_f32 v[2:3], s[16:17], v[2:3] op_sel_hi:[0,1]
	v_pk_mul_f32 v[4:5], s[16:17], v[4:5] op_sel_hi:[0,1]
	s_waitcnt lgkmcnt(2)
	v_fmac_f32_e32 v55, v24, v2
	v_fmac_f32_e32 v56, v25, v3
	;; [unrolled: 1-line block ×4, first 2 shown]
	v_pk_mul_f32 v[26:27], s[16:17], v[30:31] op_sel_hi:[0,1]
	ds_read_b128 v[2:5], v44 offset:192
	ds_read_b128 v[6:9], v44 offset:208
	v_lshl_add_u64 v[24:25], v[0:1], 0, s[50:51]
	s_waitcnt lgkmcnt(3)
	v_fmac_f32_e32 v55, v20, v26
	v_fmac_f32_e32 v56, v21, v27
	global_load_ushort v70, v[60:61], off offset:8
	v_pk_mul_f32 v[30:31], s[16:17], v[62:63] op_sel_hi:[0,1]
	v_fmac_f32_e32 v55, v22, v30
	s_waitcnt vmcnt(19)
	v_cvt_pk_f32_fp8_e32 v[26:27], v66
	global_load_ushort v66, v[60:61], off offset:12
	global_load_ushort v71, v[24:25], off offset:4
	;; [unrolled: 1-line block ×3, first 2 shown]
	v_fmac_f32_e32 v56, v23, v31
	v_lshl_add_u64 v[20:21], v[0:1], 0, s[52:53]
	v_pk_mul_f32 v[26:27], s[16:17], v[26:27] op_sel_hi:[0,1]
	s_waitcnt vmcnt(21)
	v_cvt_pk_f32_fp8_e32 v[30:31], v67
	s_waitcnt lgkmcnt(2)
	v_fmac_f32_e32 v55, v14, v26
	v_fmac_f32_e32 v56, v15, v27
	s_waitcnt vmcnt(20)
	v_cvt_pk_f32_fp8_e32 v[14:15], v68
	s_waitcnt vmcnt(19)
	v_cvt_pk_f32_fp8_e32 v[26:27], v69
	global_load_ushort v67, v[24:25], off offset:12
	global_load_ushort v68, v[20:21], off offset:4
	;; [unrolled: 1-line block ×4, first 2 shown]
	v_lshl_add_u64 v[22:23], v[0:1], 0, s[54:55]
	v_pk_mul_f32 v[30:31], s[16:17], v[30:31] op_sel_hi:[0,1]
	s_waitcnt vmcnt(22)
	v_cvt_pk_f32_fp8_e32 v[24:25], v75
	v_fmac_f32_e32 v55, v16, v30
	v_fmac_f32_e32 v56, v17, v31
	s_waitcnt vmcnt(21)
	v_cvt_pk_f32_fp8_e32 v[16:17], v76
	global_load_ushort v74, v[22:23], off offset:4
	global_load_ushort v75, v[22:23], off offset:8
	;; [unrolled: 1-line block ×3, first 2 shown]
	v_pk_mul_f32 v[14:15], s[16:17], v[14:15] op_sel_hi:[0,1]
	s_waitcnt vmcnt(22)
	v_cvt_pk_f32_fp8_e32 v[60:61], v78
	s_waitcnt lgkmcnt(1)
	v_fmac_f32_e32 v55, v2, v14
	v_fmac_f32_e32 v56, v3, v15
	v_pk_mul_f32 v[26:27], s[16:17], v[26:27] op_sel_hi:[0,1]
	v_cvt_pk_f32_fp8_e32 v[30:31], v77
	v_pk_mul_f32 v[14:15], s[16:17], v[60:61] op_sel_hi:[0,1]
	v_fmac_f32_e32 v55, v26, v4
	s_waitcnt vmcnt(19)
	v_cvt_pk_f32_fp8_e32 v[2:3], v64
	v_fmac_f32_e32 v56, v27, v5
	v_lshl_add_u64 v[64:65], v[0:1], 0, s[56:57]
	v_cvt_pk_f32_fp8_e32 v[62:63], v79
	v_pk_mul_f32 v[60:61], s[16:17], v[2:3] op_sel_hi:[0,1]
	v_pk_mul_f32 v[24:25], s[16:17], v[24:25] op_sel_hi:[0,1]
	;; [unrolled: 1-line block ×3, first 2 shown]
	s_waitcnt vmcnt(18)
	v_cvt_pk_f32_fp8_e32 v[26:27], v57
	global_load_ushort v57, v[10:11], off offset:2560
	global_load_ushort v77, v[64:65], off offset:4
	ds_read_b128 v[2:5], v44 offset:224
	global_load_ushort v78, v[64:65], off offset:8
	global_load_ushort v79, v[64:65], off offset:12
	s_waitcnt lgkmcnt(1)
	v_fmac_f32_e32 v55, v24, v6
	v_fmac_f32_e32 v56, v25, v7
	v_pk_mul_f32 v[30:31], s[16:17], v[30:31] op_sel_hi:[0,1]
	v_fmac_f32_e32 v55, v16, v8
	v_fmac_f32_e32 v56, v17, v9
	v_cvt_pk_f32_fp8_e32 v[20:21], v80
	ds_read_b128 v[6:9], v44 offset:240
	s_waitcnt lgkmcnt(1)
	v_fmac_f32_e32 v55, v30, v2
	v_fmac_f32_e32 v56, v31, v3
	global_load_ushort v80, v[10:11], off offset:3072
	v_fmac_f32_e32 v55, v14, v4
	v_fmac_f32_e32 v56, v15, v5
	v_lshl_add_u64 v[4:5], v[0:1], 0, s[58:59]
	global_load_ushort v81, v[4:5], off offset:4
	global_load_ushort v82, v[4:5], off offset:8
	;; [unrolled: 1-line block ×3, first 2 shown]
	s_waitcnt vmcnt(20)
	v_cvt_pk_f32_fp8_e32 v[2:3], v59
	v_lshl_add_u64 v[4:5], v[0:1], 0, s[60:61]
	global_load_ushort v84, v[10:11], off offset:3584
	v_pk_mul_f32 v[22:23], s[16:17], v[62:63] op_sel_hi:[0,1]
	v_pk_mul_f32 v[14:15], s[16:17], v[2:3] op_sel_hi:[0,1]
	ds_read_b128 v[0:3], v44 offset:256
	global_load_ushort v85, v[4:5], off offset:4
	global_load_ushort v87, v[4:5], off offset:8
	;; [unrolled: 1-line block ×3, first 2 shown]
	v_pk_mul_f32 v[20:21], s[16:17], v[20:21] op_sel_hi:[0,1]
	s_waitcnt lgkmcnt(1)
	v_fmac_f32_e32 v55, v22, v6
	v_fmac_f32_e32 v56, v23, v7
	;; [unrolled: 1-line block ×4, first 2 shown]
	s_waitcnt lgkmcnt(0)
	v_fmac_f32_e32 v55, v60, v0
	v_fmac_f32_e32 v56, v61, v1
	v_pk_mul_f32 v[16:17], s[16:17], v[26:27] op_sel_hi:[0,1]
	v_fmac_f32_e32 v55, v16, v2
	v_fmac_f32_e32 v56, v17, v3
	v_cvt_pk_f32_fp8_e32 v[62:63], v58
	ds_read_b128 v[4:7], v44 offset:272
	v_cvt_pk_f32_fp8_e32 v[26:27], v28
	s_waitcnt vmcnt(23)
	v_cvt_pk_f32_fp8_e32 v[10:11], v29
	v_pk_mul_f32 v[24:25], s[16:17], v[62:63] op_sel_hi:[0,1]
	v_pk_mul_f32 v[20:21], s[16:17], v[26:27] op_sel_hi:[0,1]
	;; [unrolled: 1-line block ×3, first 2 shown]
	s_waitcnt vmcnt(21)
	v_cvt_pk_f32_fp8_e32 v[0:1], v66
	s_waitcnt vmcnt(20)
	v_cvt_pk_f32_fp8_e32 v[2:3], v71
	v_cvt_pk_f32_fp8_e32 v[8:9], v70
	s_waitcnt vmcnt(19)
	v_cvt_pk_f32_fp8_e32 v[16:17], v72
	v_pk_mul_f32 v[22:23], s[16:17], v[0:1] op_sel_hi:[0,1]
	v_cvt_pk_f32_fp8_e32 v[0:1], v19
	v_pk_mul_f32 v[30:31], s[16:17], v[2:3] op_sel_hi:[0,1]
	v_pk_mul_f32 v[8:9], s[16:17], v[8:9] op_sel_hi:[0,1]
	v_cvt_pk_f32_fp8_e32 v[18:19], v18
	v_pk_mul_f32 v[28:29], s[16:17], v[0:1] op_sel_hi:[0,1]
	ds_read_b128 v[0:3], v44 offset:288
	s_waitcnt lgkmcnt(1)
	v_fmac_f32_e32 v55, v24, v4
	v_fmac_f32_e32 v56, v25, v5
	;; [unrolled: 1-line block ×4, first 2 shown]
	s_waitcnt vmcnt(16)
	v_cvt_pk_f32_fp8_e32 v[24:25], v69
	s_waitcnt lgkmcnt(0)
	v_fmac_f32_e32 v55, v20, v0
	v_fmac_f32_e32 v56, v21, v1
	s_waitcnt vmcnt(15)
	v_cvt_pk_f32_fp8_e32 v[0:1], v73
	v_pk_mul_f32 v[20:21], s[16:17], v[24:25] op_sel_hi:[0,1]
	v_fmac_f32_e32 v55, v10, v2
	v_fmac_f32_e32 v56, v11, v3
	v_pk_mul_f32 v[24:25], s[16:17], v[0:1] op_sel_hi:[0,1]
	v_cvt_pk_f32_fp8_e32 v[0:1], v13
	s_waitcnt vmcnt(14)
	v_cvt_pk_f32_fp8_e32 v[2:3], v74
	ds_read_b128 v[4:7], v44 offset:304
	v_cvt_pk_f32_fp8_e32 v[26:27], v67
	v_pk_mul_f32 v[60:61], s[16:17], v[0:1] op_sel_hi:[0,1]
	v_pk_mul_f32 v[62:63], s[16:17], v[2:3] op_sel_hi:[0,1]
	ds_read_b128 v[0:3], v44 offset:320
	s_waitcnt lgkmcnt(1)
	v_fmac_f32_e32 v55, v8, v4
	v_fmac_f32_e32 v56, v9, v5
	;; [unrolled: 1-line block ×4, first 2 shown]
	s_waitcnt lgkmcnt(0)
	v_fmac_f32_e32 v55, v28, v0
	s_waitcnt vmcnt(11)
	v_cvt_pk_f32_fp8_e32 v[64:65], v57
	v_fmac_f32_e32 v56, v29, v1
	v_fmac_f32_e32 v55, v30, v2
	;; [unrolled: 1-line block ×3, first 2 shown]
	s_waitcnt vmcnt(8)
	v_cvt_pk_f32_fp8_e32 v[0:1], v79
	v_pk_mul_f32 v[28:29], s[16:17], v[64:65] op_sel_hi:[0,1]
	ds_read_b128 v[4:7], v44 offset:336
	v_cvt_pk_f32_fp8_e32 v[14:15], v68
	v_pk_mul_f32 v[64:65], s[16:17], v[0:1] op_sel_hi:[0,1]
	v_pk_mul_f32 v[16:17], s[16:17], v[16:17] op_sel_hi:[0,1]
	;; [unrolled: 1-line block ×5, first 2 shown]
	v_cvt_pk_f32_fp8_e32 v[10:11], v75
	s_waitcnt vmcnt(7)
	v_cvt_pk_f32_fp8_e32 v[0:1], v80
	v_cvt_pk_f32_fp8_e32 v[58:59], v76
	s_waitcnt vmcnt(6)
	v_cvt_pk_f32_fp8_e32 v[2:3], v81
	v_pk_mul_f32 v[10:11], s[16:17], v[10:11] op_sel_hi:[0,1]
	v_pk_mul_f32 v[68:69], s[16:17], v[0:1] op_sel_hi:[0,1]
	;; [unrolled: 1-line block ×4, first 2 shown]
	ds_read_b128 v[0:3], v44 offset:352
	s_waitcnt lgkmcnt(1)
	v_fmac_f32_e32 v55, v16, v4
	v_fmac_f32_e32 v56, v17, v5
	;; [unrolled: 1-line block ×4, first 2 shown]
	s_waitcnt vmcnt(3)
	v_cvt_pk_f32_fp8_e32 v[72:73], v84
	ds_read_b128 v[4:7], v44 offset:368
	s_waitcnt lgkmcnt(1)
	v_fmac_f32_e32 v55, v18, v0
	v_fmac_f32_e32 v56, v19, v1
	s_waitcnt vmcnt(0)
	v_cvt_pk_f32_fp8_e32 v[0:1], v88
	v_pk_mul_f32 v[18:19], s[16:17], v[72:73] op_sel_hi:[0,1]
	v_fmac_f32_e32 v55, v14, v2
	v_fmac_f32_e32 v56, v15, v3
	v_pk_mul_f32 v[72:73], s[16:17], v[0:1] op_sel_hi:[0,1]
	ds_read_b128 v[0:3], v44 offset:384
	s_waitcnt lgkmcnt(1)
	v_fmac_f32_e32 v55, v20, v4
	v_fmac_f32_e32 v56, v21, v5
	;; [unrolled: 1-line block ×4, first 2 shown]
	ds_read_b128 v[4:7], v44 offset:400
	s_waitcnt lgkmcnt(1)
	v_fmac_f32_e32 v55, v60, v0
	v_fmac_f32_e32 v56, v61, v1
	;; [unrolled: 1-line block ×4, first 2 shown]
	ds_read_b128 v[0:3], v44 offset:416
	v_cvt_pk_f32_fp8_e32 v[8:9], v77
	s_waitcnt lgkmcnt(1)
	v_fmac_f32_e32 v55, v10, v4
	v_fmac_f32_e32 v56, v11, v5
	v_cvt_pk_f32_fp8_e32 v[22:23], v78
	v_fmac_f32_e32 v55, v58, v6
	v_fmac_f32_e32 v56, v59, v7
	ds_read_b128 v[4:7], v44 offset:432
	v_pk_mul_f32 v[8:9], s[16:17], v[8:9] op_sel_hi:[0,1]
	s_waitcnt lgkmcnt(1)
	v_fmac_f32_e32 v55, v28, v0
	v_fmac_f32_e32 v56, v29, v1
	v_pk_mul_f32 v[22:23], s[16:17], v[22:23] op_sel_hi:[0,1]
	v_fmac_f32_e32 v55, v8, v2
	v_fmac_f32_e32 v56, v9, v3
	ds_read_b128 v[0:3], v44 offset:448
	s_waitcnt lgkmcnt(1)
	v_fmac_f32_e32 v55, v22, v4
	v_fmac_f32_e32 v56, v23, v5
	v_cvt_pk_f32_fp8_e32 v[30:31], v82
	v_fmac_f32_e32 v55, v64, v6
	v_fmac_f32_e32 v56, v65, v7
	ds_read_b128 v[4:7], v44 offset:464
	v_cvt_pk_f32_fp8_e32 v[66:67], v83
	s_waitcnt lgkmcnt(1)
	v_fmac_f32_e32 v55, v68, v0
	v_fmac_f32_e32 v56, v69, v1
	v_pk_mul_f32 v[30:31], s[16:17], v[30:31] op_sel_hi:[0,1]
	v_fmac_f32_e32 v55, v70, v2
	v_fmac_f32_e32 v56, v71, v3
	ds_read_b128 v[0:3], v44 offset:480
	v_pk_mul_f32 v[66:67], s[16:17], v[66:67] op_sel_hi:[0,1]
	v_cvt_pk_f32_fp8_e32 v[16:17], v85
	s_waitcnt lgkmcnt(1)
	v_fmac_f32_e32 v55, v30, v4
	v_fmac_f32_e32 v56, v31, v5
	v_cvt_pk_f32_fp8_e32 v[26:27], v87
	v_fmac_f32_e32 v55, v66, v6
	v_fmac_f32_e32 v56, v67, v7
	ds_read_b128 v[4:7], v44 offset:496
	v_pk_mul_f32 v[16:17], s[16:17], v[16:17] op_sel_hi:[0,1]
	s_waitcnt lgkmcnt(1)
	v_fmac_f32_e32 v55, v18, v0
	v_fmac_f32_e32 v56, v19, v1
	v_pk_mul_f32 v[26:27], s[16:17], v[26:27] op_sel_hi:[0,1]
	v_fmac_f32_e32 v55, v16, v2
	v_fmac_f32_e32 v56, v17, v3
	s_waitcnt lgkmcnt(0)
	v_fmac_f32_e32 v55, v26, v4
	v_fmac_f32_e32 v56, v27, v5
	;; [unrolled: 1-line block ×4, first 2 shown]
	v_add_f32_e32 v0, v55, v56
	ds_bpermute_b32 v1, v12, v0
	s_and_saveexec_b64 s[62:63], vcc
	s_cbranch_execz .LBB235_12
; %bb.18:                               ;   in Loop: Header=BB235_14 Depth=1
	v_add_u32_e32 v2, v49, v47
	v_cvt_f32_i32_e32 v2, v2
	s_waitcnt lgkmcnt(0)
	v_add_f32_e32 v0, v0, v1
	v_add_u32_e32 v3, v43, v47
	v_cmp_gt_i32_e64 s[0:1], s33, v3
	v_mul_f32_e32 v1, s3, v2
	v_cndmask_b32_e64 v1, 0, v1, s[6:7]
	v_fmac_f32_e32 v1, s43, v0
	v_cndmask_b32_e64 v0, 0, v1, s[0:1]
	ds_write_b32 v48, v0
	v_max_f32_e32 v0, v46, v46
	v_max_f32_e32 v0, v0, v1
	v_cndmask_b32_e64 v46, v46, v0, s[0:1]
	s_branch .LBB235_12
.LBB235_19:
	s_or_b64 exec, exec, s[44:45]
.LBB235_20:
	s_or_b64 exec, exec, s[22:23]
	v_mbcnt_hi_u32_b32 v2, -1, v42
	v_and_b32_e32 v0, 64, v2
	v_add_u32_e32 v6, 64, v0
	v_xor_b32_e32 v0, 32, v2
	v_cmp_lt_i32_e32 vcc, v0, v6
	v_xor_b32_e32 v4, 16, v2
	v_max_f32_e32 v3, v46, v46
	v_cndmask_b32_e32 v0, v2, v0, vcc
	v_lshlrev_b32_e32 v0, 2, v0
	s_waitcnt lgkmcnt(0)
	ds_bpermute_b32 v1, v0, v46
	v_cmp_lt_i32_e32 vcc, v4, v6
	v_xor_b32_e32 v5, 8, v2
	v_xor_b32_e32 v7, 4, v2
	s_waitcnt lgkmcnt(0)
	v_max_f32_e32 v1, v1, v1
	v_max_f32_e32 v3, v3, v1
	v_cndmask_b32_e32 v1, v2, v4, vcc
	v_lshlrev_b32_e32 v1, 2, v1
	ds_bpermute_b32 v4, v1, v3
	v_cmp_lt_i32_e32 vcc, v5, v6
	s_waitcnt lgkmcnt(0)
	v_max_f32_e32 v4, v4, v4
	v_max_f32_e32 v4, v3, v4
	v_cndmask_b32_e32 v3, v2, v5, vcc
	v_lshlrev_b32_e32 v3, 2, v3
	ds_bpermute_b32 v5, v3, v4
	v_cmp_lt_i32_e32 vcc, v7, v6
	s_waitcnt lgkmcnt(0)
	v_max_f32_e32 v5, v5, v5
	v_max_f32_e32 v4, v4, v5
	v_cndmask_b32_e32 v5, v2, v7, vcc
	v_lshlrev_b32_e32 v42, 2, v5
	ds_bpermute_b32 v5, v42, v4
	v_xor_b32_e32 v7, 2, v2
	v_cmp_lt_i32_e32 vcc, v7, v6
	s_waitcnt lgkmcnt(0)
	v_max_f32_e32 v5, v5, v5
	v_max_f32_e32 v5, v4, v5
	v_cndmask_b32_e32 v4, v2, v7, vcc
	v_lshlrev_b32_e32 v43, 2, v4
	scratch_load_dword v4, off, off offset:188 ; 4-byte Folded Reload
	ds_bpermute_b32 v7, v43, v5
	s_waitcnt vmcnt(0)
	v_and_b32_e32 v44, 63, v4
	v_cmp_eq_u32_e32 vcc, 0, v44
	v_lshlrev_b32_e32 v4, 2, v41
	s_and_saveexec_b64 s[0:1], vcc
	s_cbranch_execz .LBB235_22
; %bb.21:
	s_waitcnt lgkmcnt(0)
	v_max_f32_e32 v7, v7, v7
	v_max_f32_e32 v5, v5, v5
	v_max_f32_e32 v5, v5, v7
	ds_write_b32 v4, v5 offset:1024
.LBB235_22:
	s_or_b64 exec, exec, s[0:1]
	v_cmp_gt_u32_e64 s[0:1], 2, v44
	s_waitcnt lgkmcnt(0)
	v_mov_b32_e32 v7, 0xff7fffff
	v_lshlrev_b32_e32 v5, 2, v44
	s_barrier
	s_and_saveexec_b64 s[6:7], s[0:1]
	s_cbranch_execz .LBB235_24
; %bb.23:
	ds_read_b32 v7, v5 offset:1024
.LBB235_24:
	s_or_b64 exec, exec, s[6:7]
	v_xor_b32_e32 v8, 1, v2
	v_cmp_lt_i32_e64 s[6:7], v8, v6
	s_sub_i32 s3, s65, s69
	s_lshl_b32 s3, s3, 5
	v_cndmask_b32_e64 v6, v2, v8, s[6:7]
	v_lshlrev_b32_e32 v45, 2, v6
	s_waitcnt lgkmcnt(0)
	ds_bpermute_b32 v6, v45, v7
	v_max_f32_e32 v7, v7, v7
	v_lshlrev_b32_e32 v2, 2, v2
	s_add_i32 s3, s3, s68
	s_min_i32 s16, s3, s33
	s_waitcnt lgkmcnt(0)
	v_max_f32_e32 v6, v6, v6
	v_max_f32_e32 v7, v7, v6
	v_and_b32_e32 v6, 0x100, v2
	ds_bpermute_b32 v2, v6, v7
	scratch_load_dword v7, off, off offset:188 ; 4-byte Folded Reload
	s_sub_i32 s3, s16, s68
	s_waitcnt vmcnt(0)
	v_cmp_gt_i32_e64 s[6:7], s3, v7
	v_mov_b32_e32 v7, 0
	s_and_saveexec_b64 s[12:13], s[6:7]
	s_cbranch_execz .LBB235_28
; %bb.25:
	scratch_load_dword v9, off, off offset:188 ; 4-byte Folded Reload
	v_mov_b32_e32 v7, 0x410
	s_mov_b64 s[22:23], 0
	s_waitcnt vmcnt(0)
	v_lshl_add_u32 v8, v9, 2, v7
	v_mov_b32_e32 v7, 0
.LBB235_26:                             ; =>This Inner Loop Header: Depth=1
	ds_read_b32 v10, v8
	v_add_u32_e32 v9, 0x80, v9
	v_cmp_le_i32_e64 s[10:11], s3, v9
	s_or_b64 s[22:23], s[10:11], s[22:23]
	s_waitcnt lgkmcnt(0)
	v_sub_f32_e32 v10, v10, v2
	v_mul_f32_e32 v10, 0x3fb8aa3b, v10
	v_exp_f32_e32 v10, v10
	ds_write_b32 v8, v10
	v_add_f32_e32 v7, v7, v10
	v_add_u32_e32 v8, 0x200, v8
	s_andn2_b64 exec, exec, s[22:23]
	s_cbranch_execnz .LBB235_26
; %bb.27:
	s_or_b64 exec, exec, s[22:23]
.LBB235_28:
	s_or_b64 exec, exec, s[12:13]
	ds_bpermute_b32 v0, v0, v7
	s_waitcnt lgkmcnt(0)
	v_add_f32_e32 v0, v7, v0
	ds_bpermute_b32 v1, v1, v0
	s_waitcnt lgkmcnt(0)
	v_add_f32_e32 v0, v0, v1
	;; [unrolled: 3-line block ×6, first 2 shown]
	s_and_saveexec_b64 s[10:11], vcc
	s_cbranch_execz .LBB235_30
; %bb.29:
	ds_write_b32 v4, v0 offset:1032
.LBB235_30:
	s_or_b64 exec, exec, s[10:11]
	s_waitcnt lgkmcnt(0)
	s_barrier
	s_and_saveexec_b64 s[10:11], s[0:1]
	s_cbranch_execz .LBB235_32
; %bb.31:
	ds_read_b32 v0, v5 offset:1032
.LBB235_32:
	s_or_b64 exec, exec, s[10:11]
	s_waitcnt lgkmcnt(0)
	ds_bpermute_b32 v1, v45, v0
	s_waitcnt lgkmcnt(0)
	v_add_f32_e32 v0, v0, v1
	ds_bpermute_b32 v3, v6, v0
	s_and_saveexec_b64 s[0:1], s[6:7]
	s_cbranch_execz .LBB235_45
; %bb.33:
	s_waitcnt lgkmcnt(0)
	v_add_f32_e32 v0, 0x358637bd, v3
	v_div_scale_f32 v1, s[6:7], v0, v0, 1.0
	v_rcp_f32_e32 v4, v1
	v_div_scale_f32 v5, vcc, 1.0, v0, 1.0
	s_movk_i32 s6, 0x7f
	v_fma_f32 v6, -v1, v4, 1.0
	v_fmac_f32_e32 v4, v6, v4
	v_mul_f32_e32 v6, v5, v4
	v_fma_f32 v7, -v1, v6, v5
	v_fmac_f32_e32 v6, v7, v4
	v_fma_f32 v1, -v1, v6, v5
	scratch_load_dword v5, off, off offset:188 ; 4-byte Folded Reload
	v_div_fmas_f32 v1, v1, v4, v6
	v_div_fixup_f32 v0, v1, v0, 1.0
	s_mov_b64 s[10:11], -1
	s_waitcnt vmcnt(0)
	v_xad_u32 v1, v5, -1, s16
	v_subrev_u32_e32 v4, s68, v1
	v_cmp_lt_u32_e32 vcc, s6, v4
	v_mov_b32_e32 v1, v5
	s_and_saveexec_b64 s[6:7], vcc
	s_cbranch_execz .LBB235_42
; %bb.34:
	v_lshrrev_b32_e32 v4, 7, v4
	v_add_u32_e32 v6, -1, v4
	v_lshrrev_b32_e32 v5, 1, v6
	v_mov_b32_e32 v1, v0
	v_add_u32_e32 v5, 1, v5
	v_cmp_lt_u32_e32 vcc, 13, v6
	v_mov_b32_e32 v8, 0
	s_and_saveexec_b64 s[10:11], vcc
	s_cbranch_execz .LBB235_38
; %bb.35:
	scratch_load_dword v8, off, off offset:188 ; 4-byte Folded Reload
	v_mov_b32_e32 v7, 0x410
	v_and_b32_e32 v6, -8, v5
	s_mov_b32 s16, 0
	s_mov_b64 s[12:13], 0
	s_waitcnt vmcnt(0)
	v_lshl_add_u32 v7, v8, 2, v7
.LBB235_36:                             ; =>This Inner Loop Header: Depth=1
	ds_read2st64_b32 v[8:9], v7 offset1:2
	ds_read2st64_b32 v[10:11], v7 offset0:4 offset1:6
	ds_read2st64_b32 v[12:13], v7 offset0:8 offset1:10
	;; [unrolled: 1-line block ×3, first 2 shown]
	v_add_u32_e32 v6, -8, v6
	s_waitcnt lgkmcnt(3)
	v_pk_mul_f32 v[8:9], v[0:1], v[8:9]
	s_waitcnt lgkmcnt(2)
	v_pk_mul_f32 v[10:11], v[0:1], v[10:11]
	ds_write2st64_b32 v7, v8, v9 offset1:2
	ds_write2st64_b32 v7, v10, v11 offset0:4 offset1:6
	ds_read2st64_b32 v[10:11], v7 offset0:16 offset1:18
	s_waitcnt lgkmcnt(4)
	v_pk_mul_f32 v[8:9], v[0:1], v[12:13]
	ds_write2st64_b32 v7, v8, v9 offset0:8 offset1:10
	s_waitcnt lgkmcnt(4)
	v_pk_mul_f32 v[8:9], v[0:1], v[14:15]
	ds_write2st64_b32 v7, v8, v9 offset0:12 offset1:14
	ds_read2st64_b32 v[8:9], v7 offset0:20 offset1:22
	s_waitcnt lgkmcnt(3)
	v_pk_mul_f32 v[10:11], v[0:1], v[10:11]
	ds_read2st64_b32 v[12:13], v7 offset0:24 offset1:26
	ds_write2st64_b32 v7, v10, v11 offset0:16 offset1:18
	ds_read2st64_b32 v[10:11], v7 offset0:28 offset1:30
	s_waitcnt lgkmcnt(3)
	v_pk_mul_f32 v[8:9], v[0:1], v[8:9]
	ds_write2st64_b32 v7, v8, v9 offset0:20 offset1:22
	s_waitcnt lgkmcnt(3)
	v_pk_mul_f32 v[8:9], v[0:1], v[12:13]
	ds_write2st64_b32 v7, v8, v9 offset0:24 offset1:26
	s_waitcnt lgkmcnt(2)
	v_pk_mul_f32 v[8:9], v[0:1], v[10:11]
	s_add_i32 s16, s16, 16
	v_cmp_eq_u32_e32 vcc, 0, v6
	ds_write2st64_b32 v7, v8, v9 offset0:28 offset1:30
	v_add_u32_e32 v7, 0x2000, v7
	s_or_b64 s[12:13], vcc, s[12:13]
	v_mov_b32_e32 v8, s16
	s_andn2_b64 exec, exec, s[12:13]
	s_cbranch_execnz .LBB235_36
; %bb.37:
	s_or_b64 exec, exec, s[12:13]
.LBB235_38:
	s_or_b64 exec, exec, s[10:11]
	v_and_b32_e32 v5, 7, v5
	v_cmp_ne_u32_e32 vcc, 0, v5
	s_and_saveexec_b64 s[10:11], vcc
	s_cbranch_execz .LBB235_41
; %bb.39:
	v_lshlrev_b32_e32 v6, 9, v8
	s_movk_i32 s12, 0x410
	v_add3_u32 v6, v6, v40, s12
	s_mov_b64 s[12:13], 0
.LBB235_40:                             ; =>This Inner Loop Header: Depth=1
	ds_read2st64_b32 v[8:9], v6 offset1:2
	v_add_u32_e32 v5, -1, v5
	v_cmp_eq_u32_e32 vcc, 0, v5
	s_or_b64 s[12:13], vcc, s[12:13]
	s_waitcnt lgkmcnt(0)
	v_pk_mul_f32 v[8:9], v[0:1], v[8:9]
	ds_write2st64_b32 v6, v8, v9 offset1:2
	v_add_u32_e32 v6, 0x400, v6
	s_andn2_b64 exec, exec, s[12:13]
	s_cbranch_execnz .LBB235_40
.LBB235_41:
	s_or_b64 exec, exec, s[10:11]
	scratch_load_dword v1, off, off offset:188 ; 4-byte Folded Reload
	v_add_u32_e32 v4, 1, v4
	v_and_b32_e32 v5, 0x3fffffe, v4
	v_cmp_ne_u32_e32 vcc, v4, v5
	s_orn2_b64 s[10:11], vcc, exec
	s_waitcnt vmcnt(0)
	v_lshl_add_u32 v1, v5, 7, v1
.LBB235_42:
	s_or_b64 exec, exec, s[6:7]
	s_and_b64 exec, exec, s[10:11]
	s_cbranch_execz .LBB235_45
; %bb.43:
	v_mov_b32_e32 v4, 0x410
	v_lshl_add_u32 v4, v1, 2, v4
	s_mov_b64 s[6:7], 0
.LBB235_44:                             ; =>This Inner Loop Header: Depth=1
	ds_read_b32 v5, v4
	v_add_u32_e32 v1, 0x80, v1
	v_cmp_le_i32_e32 vcc, s3, v1
	s_or_b64 s[6:7], vcc, s[6:7]
	s_waitcnt lgkmcnt(0)
	v_mul_f32_e32 v5, v0, v5
	ds_write_b32 v4, v5
	v_add_u32_e32 v4, 0x200, v4
	s_andn2_b64 exec, exec, s[6:7]
	s_cbranch_execnz .LBB235_44
.LBB235_45:
	s_or_b64 exec, exec, s[0:1]
	s_waitcnt lgkmcnt(0)
	s_barrier
	scratch_load_dword v0, off, off offset:188 ; 4-byte Folded Reload
	s_mul_i32 s0, s20, s34
	s_mul_i32 s6, s0, s5
	s_waitcnt vmcnt(0)
	v_cmp_eq_u32_e32 vcc, 0, v0
	s_and_saveexec_b64 s[0:1], vcc
	s_cbranch_execz .LBB235_47
; %bb.46:
	s_ashr_i32 s7, s6, 31
	s_lshl_b64 s[10:11], s[6:7], 2
	s_add_u32 s5, s26, s10
	s_mul_i32 s2, s20, s2
	s_addc_u32 s7, s27, s11
	s_ashr_i32 s3, s2, 31
	s_lshl_b64 s[2:3], s[2:3], 2
	s_add_u32 s16, s5, s2
	s_addc_u32 s7, s7, s3
	s_ashr_i32 s5, s4, 31
	s_lshl_b64 s[12:13], s[4:5], 2
	s_add_u32 s22, s16, s12
	s_addc_u32 s23, s7, s13
	s_add_u32 s5, s24, s10
	s_addc_u32 s7, s25, s11
	;; [unrolled: 2-line block ×3, first 2 shown]
	s_add_u32 s2, s2, s12
	v_mov_b32_e32 v0, 0
	s_addc_u32 s3, s3, s13
	global_store_dword v0, v2, s[22:23]
	global_store_dword v0, v3, s[2:3]
.LBB235_47:
	s_or_b64 exec, exec, s[0:1]
	scratch_load_dword v0, off, off offset:188 ; 4-byte Folded Reload
	v_mov_b32_e32 v4, 0
	v_mov_b32_e32 v5, 0
	;; [unrolled: 1-line block ×32, first 2 shown]
	s_waitcnt vmcnt(0)
	v_and_b32_e32 v0, 7, v0
	scratch_store_dword off, v0, off offset:340 ; 4-byte Folded Spill
	s_and_saveexec_b64 s[2:3], s[8:9]
	s_cbranch_execz .LBB235_117
; %bb.48:
	v_and_b32_e32 v0, 28, v40
	v_mov_b32_e32 v3, 0
	scratch_store_dword off, v45, off offset:356 ; 4-byte Folded Spill
	scratch_store_dword off, v42, off offset:352 ; 4-byte Folded Spill
	;; [unrolled: 1-line block ×5, first 2 shown]
	v_and_b32_e32 v2, 0xfc, v40
	v_or_b32_e32 v0, 0xf00, v40
	v_mov_b32_e32 v1, v3
	scratch_store_dwordx2 off, v[0:1], off offset:204 ; 8-byte Folded Spill
	v_or_b32_e32 v0, 0x1000, v2
	scratch_store_dwordx2 off, v[0:1], off offset:212 ; 8-byte Folded Spill
	v_or_b32_e32 v0, 0x1100, v2
	;; [unrolled: 2-line block ×9, first 2 shown]
	s_sub_i32 s5, s66, s17
	s_ashr_i32 s0, s67, 31
	scratch_store_dwordx2 off, v[0:1], off offset:276 ; 8-byte Folded Spill
	v_or_b32_e32 v0, 0x1900, v2
	s_add_u32 s8, s40, s67
	scratch_store_dwordx2 off, v[0:1], off offset:284 ; 8-byte Folded Spill
	v_or_b32_e32 v0, 0x1a00, v2
	s_addc_u32 s9, s41, s0
	scratch_store_dwordx2 off, v[0:1], off offset:292 ; 8-byte Folded Spill
	v_or_b32_e32 v0, 0x1b00, v2
	s_abs_i32 s22, s18
	scratch_store_dwordx2 off, v[0:1], off offset:300 ; 8-byte Folded Spill
	v_cvt_f32_u32_e32 v0, s22
	s_sub_i32 s0, 0, s22
	s_mov_b32 s7, s21
	s_add_i32 s21, s19, -1
	v_rcp_iflag_f32_e32 v0, v0
	v_or_b32_e32 v4, 0x1c00, v2
	v_mov_b32_e32 v5, v3
	scratch_store_dwordx2 off, v[4:5], off offset:308 ; 8-byte Folded Spill
	v_mul_f32_e32 v0, 0x4f7ffffe, v0
	v_cvt_u32_f32_e32 v0, v0
	v_or_b32_e32 v4, 0x1d00, v2
	scratch_store_dwordx2 off, v[4:5], off offset:316 ; 8-byte Folded Spill
	v_or_b32_e32 v4, 0x1e00, v2
	v_mul_lo_u32 v1, s0, v0
	v_mul_hi_u32 v1, v0, v1
	v_add_u32_e32 v0, v0, v1
	scratch_store_dword off, v0, off offset:176 ; 4-byte Folded Spill
	scratch_load_dword v0, off, off offset:340 ; 4-byte Folded Reload
	s_lshl_b64 s[0:1], s[38:39], 2
	s_add_u32 s0, s36, s0
	s_addc_u32 s1, s37, s1
	scratch_store_dwordx2 off, v[4:5], off offset:324 ; 8-byte Folded Spill
	v_or_b32_e32 v4, 0x1f00, v40
	v_lshl_add_u64 v[76:77], v[32:33], 2, s[0:1]
	s_mov_b64 s[10:11], 0
	v_mov_b32_e32 v1, v3
	v_mov_b32_e32 v7, v3
	;; [unrolled: 1-line block ×3, first 2 shown]
	scratch_store_dwordx2 off, v[4:5], off offset:332 ; 8-byte Folded Spill
	s_waitcnt vmcnt(2)
	v_lshlrev_b32_e32 v0, 4, v0
	v_lshl_or_b32 v0, v41, 7, v0
	v_add_u32_e32 v33, 0x410, v0
	v_mov_b32_e32 v0, v3
	scratch_store_dwordx2 off, v[0:1], off offset:56 ; 8-byte Folded Spill
	scratch_store_dwordx2 off, v[0:1], off offset:64 ; 8-byte Folded Spill
	;; [unrolled: 1-line block ×16, first 2 shown]
	s_branch .LBB235_51
.LBB235_49:                             ;   in Loop: Header=BB235_51 Depth=1
	s_or_b64 exec, exec, s[0:1]
	v_mul_f32_e32 v15, v3, v15
	v_mul_f32_e32 v11, v3, v11
	v_fmac_f32_e32 v15, v2, v14
	v_fmac_f32_e32 v11, v2, v10
	;; [unrolled: 1-line block ×6, first 2 shown]
	scratch_load_dwordx2 v[8:9], off, off offset:56 ; 8-byte Folded Reload
	scratch_load_dwordx2 v[12:13], off, off offset:64 ; 8-byte Folded Reload
	v_mul_f32_e32 v81, v3, v81
	v_mul_f32_e32 v39, v3, v39
	v_fmac_f32_e32 v81, v2, v80
	v_fmac_f32_e32 v39, v2, v38
	v_fmac_f32_e32 v81, v4, v78
	v_fmac_f32_e32 v39, v4, v36
	v_fmac_f32_e32 v81, v5, v79
	v_fmac_f32_e32 v39, v5, v37
	v_mul_f32_e32 v35, v3, v35
	v_mul_f32_e32 v29, v3, v29
	v_fmac_f32_e32 v35, v2, v34
	v_fmac_f32_e32 v29, v2, v28
	v_fmac_f32_e32 v35, v4, v30
	v_fmac_f32_e32 v29, v4, v26
	v_fmac_f32_e32 v35, v5, v31
	v_fmac_f32_e32 v29, v5, v27
	v_mul_f32_e32 v23, v3, v23
	v_mul_f32_e32 v19, v3, v19
	v_fmac_f32_e32 v23, v2, v22
	v_fmac_f32_e32 v19, v2, v18
	v_fmac_f32_e32 v23, v4, v20
	v_fmac_f32_e32 v19, v4, v16
	v_fmac_f32_e32 v23, v5, v21
	v_fmac_f32_e32 v19, v5, v17
	v_mul_f32_e32 v7, v3, v7
	v_fmac_f32_e32 v7, v2, v6
	v_mul_f32_e32 v6, v3, v75
	v_fmac_f32_e32 v6, v2, v74
	v_fmac_f32_e32 v7, v4, v40
	;; [unrolled: 1-line block ×5, first 2 shown]
	v_mul_f32_e32 v1, v3, v1
	v_fmac_f32_e32 v1, v2, v0
	v_mul_f32_e32 v0, v3, v127
	v_fmac_f32_e32 v0, v2, v126
	v_fmac_f32_e32 v0, v4, v124
	v_fmac_f32_e32 v0, v5, v125
	v_fmac_f32_e32 v1, v4, v42
	v_fmac_f32_e32 v1, v5, v43
	v_mul_f32_e32 v85, v3, v85
	v_fmac_f32_e32 v85, v2, v84
	v_fmac_f32_e32 v85, v4, v82
	;; [unrolled: 1-line block ×3, first 2 shown]
	s_waitcnt vmcnt(0)
	v_add_f32_e32 v13, v13, v81
	v_add_f32_e32 v12, v12, v39
	scratch_store_dwordx2 off, v[12:13], off offset:64 ; 8-byte Folded Spill
	scratch_load_dwordx2 v[12:13], off, off offset:72 ; 8-byte Folded Reload
	s_waitcnt vmcnt(0)
	v_add_f32_e32 v13, v13, v35
	v_add_f32_e32 v12, v12, v29
	scratch_store_dwordx2 off, v[12:13], off offset:72 ; 8-byte Folded Spill
	scratch_load_dwordx2 v[12:13], off, off offset:80 ; 8-byte Folded Reload
	s_waitcnt vmcnt(0)
	v_add_f32_e32 v13, v13, v23
	v_add_f32_e32 v12, v12, v19
	scratch_store_dwordx2 off, v[12:13], off offset:80 ; 8-byte Folded Spill
	scratch_load_dwordx2 v[12:13], off, off offset:88 ; 8-byte Folded Reload
	s_waitcnt vmcnt(0)
	v_add_f32_e32 v12, v12, v11
	scratch_load_dwordx2 v[10:11], off, off offset:96 ; 8-byte Folded Reload
	v_add_f32_e32 v13, v13, v15
	scratch_store_dwordx2 off, v[12:13], off offset:88 ; 8-byte Folded Spill
	scratch_load_dwordx2 v[12:13], off, off offset:8 ; 8-byte Folded Reload
	s_waitcnt vmcnt(2)
	v_add_f32_e32 v11, v11, v7
	v_add_f32_e32 v10, v10, v6
	scratch_store_dwordx2 off, v[10:11], off offset:96 ; 8-byte Folded Spill
	scratch_load_dwordx2 v[10:11], off, off offset:104 ; 8-byte Folded Reload
	v_mul_f32_e32 v6, v3, v71
	v_fmac_f32_e32 v6, v2, v70
	v_fmac_f32_e32 v6, v4, v68
	v_fmac_f32_e32 v6, v5, v69
	s_waitcnt vmcnt(0)
	v_add_f32_e32 v11, v11, v6
	v_mul_f32_e32 v6, v3, v67
	v_fmac_f32_e32 v6, v2, v66
	v_fmac_f32_e32 v6, v4, v64
	v_fmac_f32_e32 v6, v5, v65
	v_add_f32_e32 v10, v10, v6
	scratch_store_dwordx2 off, v[10:11], off offset:104 ; 8-byte Folded Spill
	scratch_load_dwordx2 v[10:11], off, off offset:112 ; 8-byte Folded Reload
	v_mul_f32_e32 v6, v3, v63
	v_fmac_f32_e32 v6, v2, v62
	v_fmac_f32_e32 v6, v4, v60
	v_fmac_f32_e32 v6, v5, v61
	s_waitcnt vmcnt(0)
	v_add_f32_e32 v11, v11, v6
	v_mul_f32_e32 v6, v3, v59
	v_fmac_f32_e32 v6, v2, v58
	v_fmac_f32_e32 v6, v4, v56
	v_fmac_f32_e32 v6, v5, v57
	;; [unrolled: 13-line block ×3, first 2 shown]
	v_add_f32_e32 v10, v10, v6
	scratch_store_dwordx2 off, v[10:11], off offset:120 ; 8-byte Folded Spill
	scratch_load_dwordx2 v[10:11], off, off offset:128 ; 8-byte Folded Reload
	v_mul_f32_e32 v6, v3, v47
	v_fmac_f32_e32 v6, v2, v46
	v_fmac_f32_e32 v6, v4, v44
	;; [unrolled: 1-line block ×3, first 2 shown]
	s_waitcnt vmcnt(0)
	v_add_f32_e32 v11, v11, v6
	scratch_load_dwordx2 v[6:7], off, off offset:136 ; 8-byte Folded Reload
	v_add_f32_e32 v10, v10, v1
	scratch_store_dwordx2 off, v[10:11], off offset:128 ; 8-byte Folded Spill
	scratch_load_dwordx2 v[10:11], off, off offset:40 ; 8-byte Folded Reload
	s_waitcnt vmcnt(2)
	v_add_f32_e32 v7, v7, v0
	v_mul_f32_e32 v0, v3, v123
	v_fmac_f32_e32 v0, v2, v122
	v_fmac_f32_e32 v0, v4, v120
	v_fmac_f32_e32 v0, v5, v121
	v_add_f32_e32 v6, v6, v0
	scratch_store_dwordx2 off, v[6:7], off offset:136 ; 8-byte Folded Spill
	scratch_load_dwordx2 v[6:7], off, off offset:144 ; 8-byte Folded Reload
	v_mul_f32_e32 v0, v3, v119
	v_fmac_f32_e32 v0, v2, v118
	v_fmac_f32_e32 v0, v4, v116
	v_fmac_f32_e32 v0, v5, v117
	s_waitcnt vmcnt(0)
	v_add_f32_e32 v7, v7, v0
	v_mul_f32_e32 v0, v3, v115
	v_fmac_f32_e32 v0, v2, v114
	v_fmac_f32_e32 v0, v4, v112
	v_fmac_f32_e32 v0, v5, v113
	v_add_f32_e32 v6, v6, v0
	scratch_store_dwordx2 off, v[6:7], off offset:144 ; 8-byte Folded Spill
	scratch_load_dwordx2 v[6:7], off, off offset:152 ; 8-byte Folded Reload
	v_mul_f32_e32 v0, v3, v111
	v_fmac_f32_e32 v0, v2, v110
	v_fmac_f32_e32 v0, v4, v108
	v_fmac_f32_e32 v0, v5, v109
	;; [unrolled: 13-line block ×3, first 2 shown]
	s_waitcnt vmcnt(0)
	v_add_f32_e32 v7, v7, v0
	v_mul_f32_e32 v0, v3, v97
	v_fmac_f32_e32 v0, v2, v96
	v_fmac_f32_e32 v0, v4, v94
	;; [unrolled: 1-line block ×3, first 2 shown]
	v_add_f32_e32 v6, v6, v0
	scratch_store_dwordx2 off, v[6:7], off offset:160 ; 8-byte Folded Spill
	scratch_load_dwordx2 v[6:7], off, off offset:48 ; 8-byte Folded Reload
	v_mul_f32_e32 v0, v3, v93
	v_fmac_f32_e32 v0, v2, v92
	s_waitcnt vmcnt(0)
	v_fmac_f32_e32 v0, v4, v6
	v_fmac_f32_e32 v0, v5, v7
	scratch_load_dwordx2 v[6:7], off, off offset:180 ; 8-byte Folded Reload
	s_waitcnt vmcnt(0)
	v_add_f32_e32 v7, v7, v0
	v_mul_f32_e32 v0, v3, v11
	v_fmac_f32_e32 v0, v2, v10
	scratch_load_dwordx2 v[10:11], off, off offset:32 ; 8-byte Folded Reload
	s_waitcnt vmcnt(0)
	v_fmac_f32_e32 v0, v4, v10
	v_fmac_f32_e32 v0, v5, v11
	scratch_load_dwordx2 v[10:11], off, off offset:24 ; 8-byte Folded Reload
	v_add_f32_e32 v6, v6, v0
	s_waitcnt vmcnt(0)
	v_mul_f32_e32 v0, v3, v11
	v_fmac_f32_e32 v0, v2, v10
	scratch_load_dwordx2 v[10:11], off, off offset:16 ; 8-byte Folded Reload
	s_waitcnt vmcnt(0)
	v_fmac_f32_e32 v0, v4, v10
	v_fmac_f32_e32 v0, v5, v11
	scratch_load_dwordx2 v[10:11], off, off offset:168 ; 8-byte Folded Reload
	s_waitcnt vmcnt(0)
	v_add_f32_e32 v11, v11, v0
	v_mul_f32_e32 v0, v3, v13
	v_fmac_f32_e32 v0, v2, v12
	scratch_load_dwordx2 v[12:13], off, off ; 8-byte Folded Reload
	v_add_f32_e32 v8, v8, v85
	s_waitcnt vmcnt(0)
	v_fmac_f32_e32 v0, v4, v12
	v_fmac_f32_e32 v0, v5, v13
	v_add_f32_e32 v10, v10, v0
	v_mul_f32_e32 v0, v3, v25
	v_fmac_f32_e32 v0, v2, v24
	v_fmac_f32_e32 v0, v4, v104
	;; [unrolled: 1-line block ×3, first 2 shown]
	v_add_f32_e32 v9, v9, v0
	scratch_store_dwordx2 off, v[10:11], off offset:168 ; 8-byte Folded Spill
	scratch_store_dwordx2 off, v[8:9], off offset:56 ; 8-byte Folded Spill
.LBB235_50:                             ;   in Loop: Header=BB235_51 Depth=1
	s_or_b64 exec, exec, s[12:13]
	v_add_u32_e32 v32, 2, v32
	v_cmp_le_i32_e32 vcc, s65, v32
	v_lshl_add_u64 v[76:77], v[76:77], 0, 8
	v_add_u32_e32 v86, 64, v86
	s_or_b64 s[10:11], vcc, s[10:11]
	v_add_u32_e32 v33, 0x100, v33
	s_andn2_b64 exec, exec, s[10:11]
	s_cbranch_execz .LBB235_116
.LBB235_51:                             ; =>This Inner Loop Header: Depth=1
	v_sub_u32_e32 v1, 0, v86
	v_max_i32_e32 v1, v86, v1
	v_mul_hi_u32 v2, v1, s35
	v_mul_lo_u32 v3, v2, s29
	v_sub_u32_e32 v1, v1, v3
	v_add_u32_e32 v3, 1, v2
	v_cmp_le_u32_e32 vcc, s29, v1
	v_ashrrev_i32_e32 v0, 31, v86
	v_xor_b32_e32 v0, s64, v0
	v_cndmask_b32_e32 v2, v2, v3, vcc
	v_subrev_u32_e32 v3, s29, v1
	v_cndmask_b32_e32 v1, v1, v3, vcc
	v_add_u32_e32 v3, 1, v2
	v_cmp_le_u32_e32 vcc, s29, v1
	s_nop 1
	v_cndmask_b32_e32 v1, v2, v3, vcc
	v_xor_b32_e32 v1, v1, v0
	v_sub_u32_e32 v0, v1, v0
	v_add_u32_e32 v1, s42, v0
	v_sub_u32_e32 v3, 0, v1
	v_ashrrev_i32_e32 v2, 31, v1
	v_max_i32_e32 v1, v1, v3
	scratch_load_dword v3, off, off offset:176 ; 4-byte Folded Reload
	v_cmp_lt_i32_e64 s[0:1], s5, v0
	s_waitcnt vmcnt(0)
	v_mul_hi_u32 v3, v1, v3
	v_mul_lo_u32 v3, v3, s22
	v_sub_u32_e32 v1, v1, v3
	v_subrev_u32_e32 v3, s22, v1
	v_cmp_le_u32_e32 vcc, s22, v1
	s_nop 1
	v_cndmask_b32_e32 v1, v1, v3, vcc
	v_subrev_u32_e32 v3, s22, v1
	v_cmp_le_u32_e32 vcc, s22, v1
	s_nop 1
	v_cndmask_b32_e32 v1, v1, v3, vcc
	v_xor_b32_e32 v1, v1, v2
	v_sub_u32_e32 v1, v1, v2
	v_cmp_eq_u32_e32 vcc, 0, v1
	s_or_b64 s[0:1], vcc, s[0:1]
	s_and_saveexec_b64 s[12:13], s[0:1]
	s_cbranch_execz .LBB235_50
; %bb.52:                               ;   in Loop: Header=BB235_51 Depth=1
	global_load_dword v2, v[76:77], off
	v_mov_b64_e32 v[0:1], s[8:9]
	scratch_store_dwordx2 off, v[6:7], off offset:180 ; 8-byte Folded Spill
	v_cmp_eq_u32_e32 vcc, s21, v32
	s_waitcnt vmcnt(1)
	v_mad_i64_i32 v[104:105], s[0:1], v2, s7, v[0:1]
	scratch_load_dwordx2 v[0:1], off, off offset:196 ; 8-byte Folded Reload
	s_waitcnt vmcnt(0)
	v_lshl_add_u64 v[48:49], v[104:105], 0, v[0:1]
	global_load_dword v0, v[48:49], off
	scratch_load_dword v1, off, off offset:192 ; 4-byte Folded Reload
	s_load_dword s16, s[14:15], 0x0
	ds_read_b128 v[2:5], v33
	s_waitcnt vmcnt(1)
	v_lshrrev_b32_e32 v6, 16, v0
	s_waitcnt vmcnt(0)
	v_add_u32_e32 v87, v1, v86
	v_and_b32_e32 v1, 0xffff, v0
	v_cvt_pk_f32_fp8_e32 v[0:1], v1
	v_cvt_pk_f32_fp8_e32 v[6:7], v6
	v_add_u32_e32 v89, 1, v87
	v_add_u32_e32 v88, 2, v87
	s_waitcnt lgkmcnt(0)
	v_pk_mul_f32 v[0:1], s[16:17], v[0:1] op_sel_hi:[0,1]
	scratch_store_dwordx2 off, v[0:1], off offset:8 ; 8-byte Folded Spill
	v_pk_mul_f32 v[0:1], s[16:17], v[6:7] op_sel_hi:[0,1]
	v_add_u32_e32 v90, 3, v87
	scratch_store_dwordx2 off, v[0:1], off  ; 8-byte Folded Spill
	s_and_saveexec_b64 s[18:19], vcc
	s_cbranch_execz .LBB235_54
; %bb.53:                               ;   in Loop: Header=BB235_51 Depth=1
	scratch_load_dwordx2 v[0:1], off, off offset:8 ; 8-byte Folded Reload
	v_cmp_gt_i32_e64 s[0:1], s33, v87
	s_waitcnt vmcnt(0)
	s_nop 0
	v_cndmask_b32_e64 v0, 0, v0, s[0:1]
	v_cmp_gt_i32_e64 s[0:1], s33, v89
	s_nop 1
	v_cndmask_b32_e64 v1, 0, v1, s[0:1]
	scratch_store_dwordx2 off, v[0:1], off offset:8 ; 8-byte Folded Spill
	scratch_load_dwordx2 v[0:1], off, off   ; 8-byte Folded Reload
	v_cmp_gt_i32_e64 s[0:1], s33, v88
	s_waitcnt vmcnt(0)
	s_nop 0
	v_cndmask_b32_e64 v0, 0, v0, s[0:1]
	v_cmp_gt_i32_e64 s[0:1], s33, v90
	s_nop 1
	v_cndmask_b32_e64 v1, 0, v1, s[0:1]
	scratch_store_dwordx2 off, v[0:1], off  ; 8-byte Folded Spill
.LBB235_54:                             ;   in Loop: Header=BB235_51 Depth=1
	s_or_b64 exec, exec, s[18:19]
	global_load_dword v0, v[48:49], off offset:256
	s_mov_b32 s17, s16
	s_waitcnt vmcnt(0)
	v_and_b32_e32 v1, 0xffff, v0
	v_lshrrev_b32_e32 v6, 16, v0
	v_cvt_pk_f32_fp8_e32 v[0:1], v1
	v_cvt_pk_f32_fp8_e32 v[6:7], v6
	v_pk_mul_f32 v[0:1], s[16:17], v[0:1]
	scratch_store_dwordx2 off, v[0:1], off offset:24 ; 8-byte Folded Spill
	v_pk_mul_f32 v[0:1], s[16:17], v[6:7]
	scratch_store_dwordx2 off, v[0:1], off offset:16 ; 8-byte Folded Spill
	s_and_saveexec_b64 s[18:19], vcc
	s_cbranch_execz .LBB235_56
; %bb.55:                               ;   in Loop: Header=BB235_51 Depth=1
	scratch_load_dwordx2 v[0:1], off, off offset:24 ; 8-byte Folded Reload
	v_cmp_gt_i32_e64 s[0:1], s33, v87
	s_waitcnt vmcnt(0)
	s_nop 0
	v_cndmask_b32_e64 v0, 0, v0, s[0:1]
	v_cmp_gt_i32_e64 s[0:1], s33, v89
	s_nop 1
	v_cndmask_b32_e64 v1, 0, v1, s[0:1]
	scratch_store_dwordx2 off, v[0:1], off offset:24 ; 8-byte Folded Spill
	scratch_load_dwordx2 v[0:1], off, off offset:16 ; 8-byte Folded Reload
	v_cmp_gt_i32_e64 s[0:1], s33, v88
	s_waitcnt vmcnt(0)
	s_nop 0
	v_cndmask_b32_e64 v0, 0, v0, s[0:1]
	v_cmp_gt_i32_e64 s[0:1], s33, v90
	s_nop 1
	v_cndmask_b32_e64 v1, 0, v1, s[0:1]
	scratch_store_dwordx2 off, v[0:1], off offset:16 ; 8-byte Folded Spill
.LBB235_56:                             ;   in Loop: Header=BB235_51 Depth=1
	s_or_b64 exec, exec, s[18:19]
	global_load_dword v0, v[48:49], off offset:512
	s_waitcnt vmcnt(0)
	v_and_b32_e32 v1, 0xffff, v0
	v_lshrrev_b32_e32 v6, 16, v0
	v_cvt_pk_f32_fp8_e32 v[0:1], v1
	v_cvt_pk_f32_fp8_e32 v[6:7], v6
	v_pk_mul_f32 v[0:1], s[16:17], v[0:1]
	scratch_store_dwordx2 off, v[0:1], off offset:40 ; 8-byte Folded Spill
	v_pk_mul_f32 v[0:1], s[16:17], v[6:7]
	scratch_store_dwordx2 off, v[0:1], off offset:32 ; 8-byte Folded Spill
	s_and_saveexec_b64 s[18:19], vcc
	s_cbranch_execz .LBB235_58
; %bb.57:                               ;   in Loop: Header=BB235_51 Depth=1
	scratch_load_dwordx2 v[0:1], off, off offset:40 ; 8-byte Folded Reload
	v_cmp_gt_i32_e64 s[0:1], s33, v87
	s_waitcnt vmcnt(0)
	s_nop 0
	v_cndmask_b32_e64 v0, 0, v0, s[0:1]
	v_cmp_gt_i32_e64 s[0:1], s33, v89
	s_nop 1
	v_cndmask_b32_e64 v1, 0, v1, s[0:1]
	scratch_store_dwordx2 off, v[0:1], off offset:40 ; 8-byte Folded Spill
	scratch_load_dwordx2 v[0:1], off, off offset:32 ; 8-byte Folded Reload
	v_cmp_gt_i32_e64 s[0:1], s33, v88
	s_waitcnt vmcnt(0)
	s_nop 0
	v_cndmask_b32_e64 v0, 0, v0, s[0:1]
	v_cmp_gt_i32_e64 s[0:1], s33, v90
	s_nop 1
	v_cndmask_b32_e64 v1, 0, v1, s[0:1]
	scratch_store_dwordx2 off, v[0:1], off offset:32 ; 8-byte Folded Spill
.LBB235_58:                             ;   in Loop: Header=BB235_51 Depth=1
	s_or_b64 exec, exec, s[18:19]
	global_load_dword v0, v[48:49], off offset:768
	s_waitcnt vmcnt(0)
	v_and_b32_e32 v1, 0xffff, v0
	v_lshrrev_b32_e32 v6, 16, v0
	v_cvt_pk_f32_fp8_e32 v[0:1], v1
	v_cvt_pk_f32_fp8_e32 v[6:7], v6
	v_pk_mul_f32 v[92:93], s[16:17], v[0:1]
	v_pk_mul_f32 v[0:1], s[16:17], v[6:7]
	scratch_store_dwordx2 off, v[0:1], off offset:48 ; 8-byte Folded Spill
	s_and_saveexec_b64 s[18:19], vcc
	s_cbranch_execz .LBB235_60
; %bb.59:                               ;   in Loop: Header=BB235_51 Depth=1
	scratch_load_dwordx2 v[0:1], off, off offset:48 ; 8-byte Folded Reload
	v_cmp_gt_i32_e64 s[0:1], s33, v87
	s_nop 1
	v_cndmask_b32_e64 v92, 0, v92, s[0:1]
	v_cmp_gt_i32_e64 s[0:1], s33, v89
	s_nop 1
	v_cndmask_b32_e64 v93, 0, v93, s[0:1]
	v_cmp_gt_i32_e64 s[0:1], s33, v88
	s_waitcnt vmcnt(0)
	s_nop 0
	v_cndmask_b32_e64 v0, 0, v0, s[0:1]
	v_cmp_gt_i32_e64 s[0:1], s33, v90
	s_nop 1
	v_cndmask_b32_e64 v1, 0, v1, s[0:1]
	scratch_store_dwordx2 off, v[0:1], off offset:48 ; 8-byte Folded Spill
.LBB235_60:                             ;   in Loop: Header=BB235_51 Depth=1
	s_or_b64 exec, exec, s[18:19]
	global_load_dword v0, v[48:49], off offset:1024
	s_waitcnt vmcnt(0)
	v_and_b32_e32 v1, 0xffff, v0
	v_lshrrev_b32_e32 v6, 16, v0
	v_cvt_pk_f32_fp8_e32 v[0:1], v1
	v_cvt_pk_f32_fp8_e32 v[6:7], v6
	v_pk_mul_f32 v[96:97], s[16:17], v[0:1]
	v_pk_mul_f32 v[94:95], s[16:17], v[6:7]
	s_and_saveexec_b64 s[18:19], vcc
; %bb.61:                               ;   in Loop: Header=BB235_51 Depth=1
	v_cmp_gt_i32_e64 s[0:1], s33, v87
	s_nop 1
	v_cndmask_b32_e64 v96, 0, v96, s[0:1]
	v_cmp_gt_i32_e64 s[0:1], s33, v89
	s_nop 1
	v_cndmask_b32_e64 v97, 0, v97, s[0:1]
	v_cmp_gt_i32_e64 s[0:1], s33, v88
	s_nop 1
	v_cndmask_b32_e64 v94, 0, v94, s[0:1]
	v_cmp_gt_i32_e64 s[0:1], s33, v90
	s_nop 1
	v_cndmask_b32_e64 v95, 0, v95, s[0:1]
; %bb.62:                               ;   in Loop: Header=BB235_51 Depth=1
	s_or_b64 exec, exec, s[18:19]
	global_load_dword v0, v[48:49], off offset:1280
	s_waitcnt vmcnt(0)
	v_and_b32_e32 v1, 0xffff, v0
	v_lshrrev_b32_e32 v6, 16, v0
	v_cvt_pk_f32_fp8_e32 v[0:1], v1
	v_cvt_pk_f32_fp8_e32 v[6:7], v6
	v_pk_mul_f32 v[100:101], s[16:17], v[0:1]
	v_pk_mul_f32 v[98:99], s[16:17], v[6:7]
	s_and_saveexec_b64 s[18:19], vcc
; %bb.63:                               ;   in Loop: Header=BB235_51 Depth=1
	v_cmp_gt_i32_e64 s[0:1], s33, v87
	s_nop 1
	v_cndmask_b32_e64 v100, 0, v100, s[0:1]
	v_cmp_gt_i32_e64 s[0:1], s33, v89
	s_nop 1
	v_cndmask_b32_e64 v101, 0, v101, s[0:1]
	v_cmp_gt_i32_e64 s[0:1], s33, v88
	s_nop 1
	v_cndmask_b32_e64 v98, 0, v98, s[0:1]
	v_cmp_gt_i32_e64 s[0:1], s33, v90
	s_nop 1
	v_cndmask_b32_e64 v99, 0, v99, s[0:1]
; %bb.64:                               ;   in Loop: Header=BB235_51 Depth=1
	;; [unrolled: 24-line block ×11, first 2 shown]
	s_or_b64 exec, exec, s[18:19]
	scratch_load_dwordx2 v[6:7], off, off offset:204 ; 8-byte Folded Reload
	s_waitcnt vmcnt(0)
	v_lshl_add_u64 v[6:7], v[104:105], 0, v[6:7]
	global_load_dword v6, v[6:7], off
	s_waitcnt vmcnt(0)
	v_and_b32_e32 v7, 0xffff, v6
	v_lshrrev_b32_e32 v8, 16, v6
	v_cvt_pk_f32_fp8_e32 v[6:7], v7
	v_cvt_pk_f32_fp8_e32 v[8:9], v8
	v_pk_mul_f32 v[54:55], s[16:17], v[6:7]
	v_pk_mul_f32 v[52:53], s[16:17], v[8:9]
	s_and_saveexec_b64 s[18:19], vcc
; %bb.83:                               ;   in Loop: Header=BB235_51 Depth=1
	v_cmp_gt_i32_e64 s[0:1], s33, v87
	s_nop 1
	v_cndmask_b32_e64 v54, 0, v54, s[0:1]
	v_cmp_gt_i32_e64 s[0:1], s33, v89
	s_nop 1
	v_cndmask_b32_e64 v55, 0, v55, s[0:1]
	v_cmp_gt_i32_e64 s[0:1], s33, v88
	s_nop 1
	v_cndmask_b32_e64 v52, 0, v52, s[0:1]
	v_cmp_gt_i32_e64 s[0:1], s33, v90
	s_nop 1
	v_cndmask_b32_e64 v53, 0, v53, s[0:1]
; %bb.84:                               ;   in Loop: Header=BB235_51 Depth=1
	s_or_b64 exec, exec, s[18:19]
	scratch_load_dwordx2 v[6:7], off, off offset:212 ; 8-byte Folded Reload
	s_waitcnt vmcnt(0)
	v_lshl_add_u64 v[6:7], v[104:105], 0, v[6:7]
	global_load_dword v6, v[6:7], off
	s_waitcnt vmcnt(0)
	v_and_b32_e32 v7, 0xffff, v6
	v_lshrrev_b32_e32 v8, 16, v6
	v_cvt_pk_f32_fp8_e32 v[6:7], v7
	v_cvt_pk_f32_fp8_e32 v[8:9], v8
	v_pk_mul_f32 v[58:59], s[16:17], v[6:7]
	v_pk_mul_f32 v[56:57], s[16:17], v[8:9]
	s_and_saveexec_b64 s[18:19], vcc
; %bb.85:                               ;   in Loop: Header=BB235_51 Depth=1
	v_cmp_gt_i32_e64 s[0:1], s33, v87
	s_nop 1
	v_cndmask_b32_e64 v58, 0, v58, s[0:1]
	v_cmp_gt_i32_e64 s[0:1], s33, v89
	s_nop 1
	v_cndmask_b32_e64 v59, 0, v59, s[0:1]
	v_cmp_gt_i32_e64 s[0:1], s33, v88
	s_nop 1
	v_cndmask_b32_e64 v56, 0, v56, s[0:1]
	v_cmp_gt_i32_e64 s[0:1], s33, v90
	s_nop 1
	v_cndmask_b32_e64 v57, 0, v57, s[0:1]
; %bb.86:                               ;   in Loop: Header=BB235_51 Depth=1
	s_or_b64 exec, exec, s[18:19]
	scratch_load_dwordx2 v[6:7], off, off offset:220 ; 8-byte Folded Reload
	s_waitcnt vmcnt(0)
	v_lshl_add_u64 v[6:7], v[104:105], 0, v[6:7]
	global_load_dword v6, v[6:7], off
	s_waitcnt vmcnt(0)
	v_and_b32_e32 v7, 0xffff, v6
	v_lshrrev_b32_e32 v8, 16, v6
	v_cvt_pk_f32_fp8_e32 v[6:7], v7
	v_cvt_pk_f32_fp8_e32 v[8:9], v8
	v_pk_mul_f32 v[62:63], s[16:17], v[6:7]
	v_pk_mul_f32 v[60:61], s[16:17], v[8:9]
	s_and_saveexec_b64 s[18:19], vcc
; %bb.87:                               ;   in Loop: Header=BB235_51 Depth=1
	v_cmp_gt_i32_e64 s[0:1], s33, v87
	s_nop 1
	v_cndmask_b32_e64 v62, 0, v62, s[0:1]
	v_cmp_gt_i32_e64 s[0:1], s33, v89
	s_nop 1
	v_cndmask_b32_e64 v63, 0, v63, s[0:1]
	v_cmp_gt_i32_e64 s[0:1], s33, v88
	s_nop 1
	v_cndmask_b32_e64 v60, 0, v60, s[0:1]
	v_cmp_gt_i32_e64 s[0:1], s33, v90
	s_nop 1
	v_cndmask_b32_e64 v61, 0, v61, s[0:1]
; %bb.88:                               ;   in Loop: Header=BB235_51 Depth=1
	s_or_b64 exec, exec, s[18:19]
	scratch_load_dwordx2 v[6:7], off, off offset:228 ; 8-byte Folded Reload
	s_waitcnt vmcnt(0)
	v_lshl_add_u64 v[6:7], v[104:105], 0, v[6:7]
	global_load_dword v6, v[6:7], off
	s_waitcnt vmcnt(0)
	v_and_b32_e32 v7, 0xffff, v6
	v_lshrrev_b32_e32 v8, 16, v6
	v_cvt_pk_f32_fp8_e32 v[6:7], v7
	v_cvt_pk_f32_fp8_e32 v[8:9], v8
	v_pk_mul_f32 v[66:67], s[16:17], v[6:7]
	v_pk_mul_f32 v[64:65], s[16:17], v[8:9]
	s_and_saveexec_b64 s[18:19], vcc
; %bb.89:                               ;   in Loop: Header=BB235_51 Depth=1
	v_cmp_gt_i32_e64 s[0:1], s33, v87
	s_nop 1
	v_cndmask_b32_e64 v66, 0, v66, s[0:1]
	v_cmp_gt_i32_e64 s[0:1], s33, v89
	s_nop 1
	v_cndmask_b32_e64 v67, 0, v67, s[0:1]
	v_cmp_gt_i32_e64 s[0:1], s33, v88
	s_nop 1
	v_cndmask_b32_e64 v64, 0, v64, s[0:1]
	v_cmp_gt_i32_e64 s[0:1], s33, v90
	s_nop 1
	v_cndmask_b32_e64 v65, 0, v65, s[0:1]
; %bb.90:                               ;   in Loop: Header=BB235_51 Depth=1
	s_or_b64 exec, exec, s[18:19]
	scratch_load_dwordx2 v[6:7], off, off offset:236 ; 8-byte Folded Reload
	s_waitcnt vmcnt(0)
	v_lshl_add_u64 v[6:7], v[104:105], 0, v[6:7]
	global_load_dword v6, v[6:7], off
	s_waitcnt vmcnt(0)
	v_and_b32_e32 v7, 0xffff, v6
	v_lshrrev_b32_e32 v8, 16, v6
	v_cvt_pk_f32_fp8_e32 v[6:7], v7
	v_cvt_pk_f32_fp8_e32 v[8:9], v8
	v_pk_mul_f32 v[70:71], s[16:17], v[6:7]
	v_pk_mul_f32 v[68:69], s[16:17], v[8:9]
	s_and_saveexec_b64 s[18:19], vcc
; %bb.91:                               ;   in Loop: Header=BB235_51 Depth=1
	v_cmp_gt_i32_e64 s[0:1], s33, v87
	s_nop 1
	v_cndmask_b32_e64 v70, 0, v70, s[0:1]
	v_cmp_gt_i32_e64 s[0:1], s33, v89
	s_nop 1
	v_cndmask_b32_e64 v71, 0, v71, s[0:1]
	v_cmp_gt_i32_e64 s[0:1], s33, v88
	s_nop 1
	v_cndmask_b32_e64 v68, 0, v68, s[0:1]
	v_cmp_gt_i32_e64 s[0:1], s33, v90
	s_nop 1
	v_cndmask_b32_e64 v69, 0, v69, s[0:1]
; %bb.92:                               ;   in Loop: Header=BB235_51 Depth=1
	s_or_b64 exec, exec, s[18:19]
	scratch_load_dwordx2 v[6:7], off, off offset:244 ; 8-byte Folded Reload
	s_waitcnt vmcnt(0)
	v_lshl_add_u64 v[6:7], v[104:105], 0, v[6:7]
	global_load_dword v6, v[6:7], off
	s_waitcnt vmcnt(0)
	v_and_b32_e32 v7, 0xffff, v6
	v_lshrrev_b32_e32 v8, 16, v6
	v_cvt_pk_f32_fp8_e32 v[6:7], v7
	v_cvt_pk_f32_fp8_e32 v[8:9], v8
	v_pk_mul_f32 v[74:75], s[16:17], v[6:7]
	v_pk_mul_f32 v[72:73], s[16:17], v[8:9]
	s_and_saveexec_b64 s[18:19], vcc
; %bb.93:                               ;   in Loop: Header=BB235_51 Depth=1
	v_cmp_gt_i32_e64 s[0:1], s33, v87
	s_nop 1
	v_cndmask_b32_e64 v74, 0, v74, s[0:1]
	v_cmp_gt_i32_e64 s[0:1], s33, v89
	s_nop 1
	v_cndmask_b32_e64 v75, 0, v75, s[0:1]
	v_cmp_gt_i32_e64 s[0:1], s33, v88
	s_nop 1
	v_cndmask_b32_e64 v72, 0, v72, s[0:1]
	v_cmp_gt_i32_e64 s[0:1], s33, v90
	s_nop 1
	v_cndmask_b32_e64 v73, 0, v73, s[0:1]
; %bb.94:                               ;   in Loop: Header=BB235_51 Depth=1
	s_or_b64 exec, exec, s[18:19]
	scratch_load_dwordx2 v[6:7], off, off offset:252 ; 8-byte Folded Reload
	s_waitcnt vmcnt(0)
	v_lshl_add_u64 v[6:7], v[104:105], 0, v[6:7]
	global_load_dword v6, v[6:7], off
	s_waitcnt vmcnt(0)
	v_and_b32_e32 v7, 0xffff, v6
	v_lshrrev_b32_e32 v8, 16, v6
	v_cvt_pk_f32_fp8_e32 v[6:7], v7
	v_cvt_pk_f32_fp8_e32 v[8:9], v8
	v_pk_mul_f32 v[6:7], s[16:17], v[6:7]
	v_pk_mul_f32 v[40:41], s[16:17], v[8:9]
	s_and_saveexec_b64 s[18:19], vcc
; %bb.95:                               ;   in Loop: Header=BB235_51 Depth=1
	v_cmp_gt_i32_e64 s[0:1], s33, v87
	s_nop 1
	v_cndmask_b32_e64 v6, 0, v6, s[0:1]
	v_cmp_gt_i32_e64 s[0:1], s33, v89
	s_nop 1
	v_cndmask_b32_e64 v7, 0, v7, s[0:1]
	v_cmp_gt_i32_e64 s[0:1], s33, v88
	s_nop 1
	v_cndmask_b32_e64 v40, 0, v40, s[0:1]
	v_cmp_gt_i32_e64 s[0:1], s33, v90
	s_nop 1
	v_cndmask_b32_e64 v41, 0, v41, s[0:1]
; %bb.96:                               ;   in Loop: Header=BB235_51 Depth=1
	s_or_b64 exec, exec, s[18:19]
	scratch_load_dwordx2 v[8:9], off, off offset:260 ; 8-byte Folded Reload
	s_waitcnt vmcnt(0)
	v_lshl_add_u64 v[8:9], v[104:105], 0, v[8:9]
	global_load_dword v8, v[8:9], off
	s_waitcnt vmcnt(0)
	v_and_b32_e32 v9, 0xffff, v8
	v_lshrrev_b32_e32 v10, 16, v8
	v_cvt_pk_f32_fp8_e32 v[8:9], v9
	v_cvt_pk_f32_fp8_e32 v[12:13], v10
	v_pk_mul_f32 v[10:11], s[16:17], v[8:9]
	v_pk_mul_f32 v[8:9], s[16:17], v[12:13]
	s_and_saveexec_b64 s[18:19], vcc
; %bb.97:                               ;   in Loop: Header=BB235_51 Depth=1
	v_cmp_gt_i32_e64 s[0:1], s33, v87
	s_nop 1
	v_cndmask_b32_e64 v10, 0, v10, s[0:1]
	v_cmp_gt_i32_e64 s[0:1], s33, v89
	s_nop 1
	v_cndmask_b32_e64 v11, 0, v11, s[0:1]
	v_cmp_gt_i32_e64 s[0:1], s33, v88
	s_nop 1
	v_cndmask_b32_e64 v8, 0, v8, s[0:1]
	v_cmp_gt_i32_e64 s[0:1], s33, v90
	s_nop 1
	v_cndmask_b32_e64 v9, 0, v9, s[0:1]
; %bb.98:                               ;   in Loop: Header=BB235_51 Depth=1
	s_or_b64 exec, exec, s[18:19]
	scratch_load_dwordx2 v[12:13], off, off offset:268 ; 8-byte Folded Reload
	s_waitcnt vmcnt(0)
	v_lshl_add_u64 v[12:13], v[104:105], 0, v[12:13]
	global_load_dword v12, v[12:13], off
	s_waitcnt vmcnt(0)
	v_and_b32_e32 v13, 0xffff, v12
	v_lshrrev_b32_e32 v14, 16, v12
	v_cvt_pk_f32_fp8_e32 v[12:13], v13
	v_cvt_pk_f32_fp8_e32 v[16:17], v14
	v_pk_mul_f32 v[14:15], s[16:17], v[12:13]
	v_pk_mul_f32 v[12:13], s[16:17], v[16:17]
	s_and_saveexec_b64 s[18:19], vcc
; %bb.99:                               ;   in Loop: Header=BB235_51 Depth=1
	v_cmp_gt_i32_e64 s[0:1], s33, v87
	s_nop 1
	v_cndmask_b32_e64 v14, 0, v14, s[0:1]
	v_cmp_gt_i32_e64 s[0:1], s33, v89
	s_nop 1
	v_cndmask_b32_e64 v15, 0, v15, s[0:1]
	v_cmp_gt_i32_e64 s[0:1], s33, v88
	s_nop 1
	v_cndmask_b32_e64 v12, 0, v12, s[0:1]
	v_cmp_gt_i32_e64 s[0:1], s33, v90
	s_nop 1
	v_cndmask_b32_e64 v13, 0, v13, s[0:1]
; %bb.100:                              ;   in Loop: Header=BB235_51 Depth=1
	s_or_b64 exec, exec, s[18:19]
	scratch_load_dwordx2 v[16:17], off, off offset:276 ; 8-byte Folded Reload
	s_waitcnt vmcnt(0)
	v_lshl_add_u64 v[16:17], v[104:105], 0, v[16:17]
	global_load_dword v16, v[16:17], off
	s_waitcnt vmcnt(0)
	v_and_b32_e32 v17, 0xffff, v16
	v_lshrrev_b32_e32 v18, 16, v16
	v_cvt_pk_f32_fp8_e32 v[16:17], v17
	v_cvt_pk_f32_fp8_e32 v[20:21], v18
	v_pk_mul_f32 v[18:19], s[16:17], v[16:17]
	v_pk_mul_f32 v[16:17], s[16:17], v[20:21]
	s_and_saveexec_b64 s[18:19], vcc
; %bb.101:                              ;   in Loop: Header=BB235_51 Depth=1
	v_cmp_gt_i32_e64 s[0:1], s33, v87
	s_nop 1
	v_cndmask_b32_e64 v18, 0, v18, s[0:1]
	v_cmp_gt_i32_e64 s[0:1], s33, v89
	s_nop 1
	v_cndmask_b32_e64 v19, 0, v19, s[0:1]
	v_cmp_gt_i32_e64 s[0:1], s33, v88
	s_nop 1
	v_cndmask_b32_e64 v16, 0, v16, s[0:1]
	v_cmp_gt_i32_e64 s[0:1], s33, v90
	s_nop 1
	v_cndmask_b32_e64 v17, 0, v17, s[0:1]
; %bb.102:                              ;   in Loop: Header=BB235_51 Depth=1
	s_or_b64 exec, exec, s[18:19]
	scratch_load_dwordx2 v[20:21], off, off offset:284 ; 8-byte Folded Reload
	s_waitcnt vmcnt(0)
	v_lshl_add_u64 v[20:21], v[104:105], 0, v[20:21]
	global_load_dword v20, v[20:21], off
	s_waitcnt vmcnt(0)
	v_and_b32_e32 v21, 0xffff, v20
	v_lshrrev_b32_e32 v22, 16, v20
	v_cvt_pk_f32_fp8_e32 v[20:21], v21
	v_cvt_pk_f32_fp8_e32 v[24:25], v22
	v_pk_mul_f32 v[22:23], s[16:17], v[20:21]
	v_pk_mul_f32 v[20:21], s[16:17], v[24:25]
	s_and_saveexec_b64 s[18:19], vcc
; %bb.103:                              ;   in Loop: Header=BB235_51 Depth=1
	v_cmp_gt_i32_e64 s[0:1], s33, v87
	s_nop 1
	v_cndmask_b32_e64 v22, 0, v22, s[0:1]
	v_cmp_gt_i32_e64 s[0:1], s33, v89
	s_nop 1
	v_cndmask_b32_e64 v23, 0, v23, s[0:1]
	v_cmp_gt_i32_e64 s[0:1], s33, v88
	s_nop 1
	v_cndmask_b32_e64 v20, 0, v20, s[0:1]
	v_cmp_gt_i32_e64 s[0:1], s33, v90
	s_nop 1
	v_cndmask_b32_e64 v21, 0, v21, s[0:1]
; %bb.104:                              ;   in Loop: Header=BB235_51 Depth=1
	s_or_b64 exec, exec, s[18:19]
	scratch_load_dwordx2 v[24:25], off, off offset:292 ; 8-byte Folded Reload
	s_waitcnt vmcnt(0)
	v_lshl_add_u64 v[24:25], v[104:105], 0, v[24:25]
	global_load_dword v24, v[24:25], off
	s_waitcnt vmcnt(0)
	v_and_b32_e32 v25, 0xffff, v24
	v_lshrrev_b32_e32 v26, 16, v24
	v_cvt_pk_f32_fp8_e32 v[24:25], v25
	v_cvt_pk_f32_fp8_e32 v[26:27], v26
	v_pk_mul_f32 v[28:29], s[16:17], v[24:25]
	v_pk_mul_f32 v[26:27], s[16:17], v[26:27]
	s_and_saveexec_b64 s[18:19], vcc
; %bb.105:                              ;   in Loop: Header=BB235_51 Depth=1
	v_cmp_gt_i32_e64 s[0:1], s33, v87
	s_nop 1
	v_cndmask_b32_e64 v28, 0, v28, s[0:1]
	v_cmp_gt_i32_e64 s[0:1], s33, v89
	s_nop 1
	v_cndmask_b32_e64 v29, 0, v29, s[0:1]
	v_cmp_gt_i32_e64 s[0:1], s33, v88
	s_nop 1
	v_cndmask_b32_e64 v26, 0, v26, s[0:1]
	v_cmp_gt_i32_e64 s[0:1], s33, v90
	s_nop 1
	v_cndmask_b32_e64 v27, 0, v27, s[0:1]
; %bb.106:                              ;   in Loop: Header=BB235_51 Depth=1
	s_or_b64 exec, exec, s[18:19]
	scratch_load_dwordx2 v[24:25], off, off offset:300 ; 8-byte Folded Reload
	s_waitcnt vmcnt(0)
	v_lshl_add_u64 v[24:25], v[104:105], 0, v[24:25]
	global_load_dword v24, v[24:25], off
	s_waitcnt vmcnt(0)
	v_and_b32_e32 v25, 0xffff, v24
	v_lshrrev_b32_e32 v30, 16, v24
	v_cvt_pk_f32_fp8_e32 v[24:25], v25
	v_cvt_pk_f32_fp8_e32 v[30:31], v30
	v_pk_mul_f32 v[34:35], s[16:17], v[24:25]
	v_pk_mul_f32 v[30:31], s[16:17], v[30:31]
	s_and_saveexec_b64 s[18:19], vcc
; %bb.107:                              ;   in Loop: Header=BB235_51 Depth=1
	v_cmp_gt_i32_e64 s[0:1], s33, v87
	s_nop 1
	v_cndmask_b32_e64 v34, 0, v34, s[0:1]
	v_cmp_gt_i32_e64 s[0:1], s33, v89
	s_nop 1
	v_cndmask_b32_e64 v35, 0, v35, s[0:1]
	v_cmp_gt_i32_e64 s[0:1], s33, v88
	s_nop 1
	v_cndmask_b32_e64 v30, 0, v30, s[0:1]
	v_cmp_gt_i32_e64 s[0:1], s33, v90
	s_nop 1
	v_cndmask_b32_e64 v31, 0, v31, s[0:1]
; %bb.108:                              ;   in Loop: Header=BB235_51 Depth=1
	s_or_b64 exec, exec, s[18:19]
	scratch_load_dwordx2 v[24:25], off, off offset:308 ; 8-byte Folded Reload
	s_waitcnt vmcnt(0)
	v_lshl_add_u64 v[24:25], v[104:105], 0, v[24:25]
	global_load_dword v24, v[24:25], off
	s_waitcnt vmcnt(0)
	v_and_b32_e32 v25, 0xffff, v24
	v_lshrrev_b32_e32 v36, 16, v24
	v_cvt_pk_f32_fp8_e32 v[24:25], v25
	v_cvt_pk_f32_fp8_e32 v[36:37], v36
	v_pk_mul_f32 v[38:39], s[16:17], v[24:25]
	v_pk_mul_f32 v[36:37], s[16:17], v[36:37]
	s_and_saveexec_b64 s[18:19], vcc
; %bb.109:                              ;   in Loop: Header=BB235_51 Depth=1
	v_cmp_gt_i32_e64 s[0:1], s33, v87
	s_nop 1
	v_cndmask_b32_e64 v38, 0, v38, s[0:1]
	v_cmp_gt_i32_e64 s[0:1], s33, v89
	s_nop 1
	v_cndmask_b32_e64 v39, 0, v39, s[0:1]
	v_cmp_gt_i32_e64 s[0:1], s33, v88
	s_nop 1
	v_cndmask_b32_e64 v36, 0, v36, s[0:1]
	v_cmp_gt_i32_e64 s[0:1], s33, v90
	s_nop 1
	v_cndmask_b32_e64 v37, 0, v37, s[0:1]
; %bb.110:                              ;   in Loop: Header=BB235_51 Depth=1
	s_or_b64 exec, exec, s[18:19]
	scratch_load_dwordx2 v[24:25], off, off offset:316 ; 8-byte Folded Reload
	s_waitcnt vmcnt(0)
	v_lshl_add_u64 v[24:25], v[104:105], 0, v[24:25]
	global_load_dword v24, v[24:25], off
	s_waitcnt vmcnt(0)
	v_and_b32_e32 v25, 0xffff, v24
	v_lshrrev_b32_e32 v78, 16, v24
	v_cvt_pk_f32_fp8_e32 v[24:25], v25
	v_cvt_pk_f32_fp8_e32 v[78:79], v78
	v_pk_mul_f32 v[80:81], s[16:17], v[24:25]
	v_pk_mul_f32 v[78:79], s[16:17], v[78:79]
	s_and_saveexec_b64 s[18:19], vcc
; %bb.111:                              ;   in Loop: Header=BB235_51 Depth=1
	v_cmp_gt_i32_e64 s[0:1], s33, v87
	s_nop 1
	v_cndmask_b32_e64 v80, 0, v80, s[0:1]
	v_cmp_gt_i32_e64 s[0:1], s33, v89
	s_nop 1
	v_cndmask_b32_e64 v81, 0, v81, s[0:1]
	v_cmp_gt_i32_e64 s[0:1], s33, v88
	s_nop 1
	v_cndmask_b32_e64 v78, 0, v78, s[0:1]
	v_cmp_gt_i32_e64 s[0:1], s33, v90
	s_nop 1
	v_cndmask_b32_e64 v79, 0, v79, s[0:1]
; %bb.112:                              ;   in Loop: Header=BB235_51 Depth=1
	s_or_b64 exec, exec, s[18:19]
	scratch_load_dwordx2 v[24:25], off, off offset:324 ; 8-byte Folded Reload
	s_waitcnt vmcnt(0)
	v_lshl_add_u64 v[24:25], v[104:105], 0, v[24:25]
	global_load_dword v24, v[24:25], off
	s_waitcnt vmcnt(0)
	v_and_b32_e32 v25, 0xffff, v24
	v_lshrrev_b32_e32 v82, 16, v24
	v_cvt_pk_f32_fp8_e32 v[24:25], v25
	v_cvt_pk_f32_fp8_e32 v[82:83], v82
	v_pk_mul_f32 v[84:85], s[16:17], v[24:25]
	v_pk_mul_f32 v[82:83], s[16:17], v[82:83]
	s_and_saveexec_b64 s[18:19], vcc
; %bb.113:                              ;   in Loop: Header=BB235_51 Depth=1
	v_cmp_gt_i32_e64 s[0:1], s33, v87
	s_nop 1
	v_cndmask_b32_e64 v84, 0, v84, s[0:1]
	v_cmp_gt_i32_e64 s[0:1], s33, v89
	s_nop 1
	v_cndmask_b32_e64 v85, 0, v85, s[0:1]
	;; [unrolled: 3-line block ×4, first 2 shown]
; %bb.114:                              ;   in Loop: Header=BB235_51 Depth=1
	s_or_b64 exec, exec, s[18:19]
	scratch_load_dwordx2 v[24:25], off, off offset:332 ; 8-byte Folded Reload
	s_waitcnt vmcnt(0)
	v_lshl_add_u64 v[24:25], v[104:105], 0, v[24:25]
	global_load_dword v24, v[24:25], off
	s_waitcnt vmcnt(0)
	v_and_b32_e32 v25, 0xffff, v24
	v_lshrrev_b32_e32 v91, 16, v24
	v_cvt_pk_f32_fp8_e32 v[24:25], v25
	v_cvt_pk_f32_fp8_e32 v[104:105], v91
	v_pk_mul_f32 v[24:25], s[16:17], v[24:25]
	v_pk_mul_f32 v[104:105], s[16:17], v[104:105]
	s_and_saveexec_b64 s[0:1], vcc
	s_cbranch_execz .LBB235_49
; %bb.115:                              ;   in Loop: Header=BB235_51 Depth=1
	v_cmp_gt_i32_e32 vcc, s33, v87
	s_nop 1
	v_cndmask_b32_e32 v24, 0, v24, vcc
	v_cmp_gt_i32_e32 vcc, s33, v89
	s_nop 1
	v_cndmask_b32_e32 v25, 0, v25, vcc
	;; [unrolled: 3-line block ×4, first 2 shown]
	s_branch .LBB235_49
.LBB235_116:
	s_or_b64 exec, exec, s[10:11]
	scratch_load_dword v44, off, off offset:344 ; 4-byte Folded Reload
	scratch_load_dword v43, off, off offset:348 ; 4-byte Folded Reload
	;; [unrolled: 1-line block ×4, first 2 shown]
	scratch_load_dwordx2 v[46:47], off, off offset:56 ; 8-byte Folded Reload
	scratch_load_dwordx2 v[48:49], off, off offset:64 ; 8-byte Folded Reload
	;; [unrolled: 1-line block ×15, first 2 shown]
.LBB235_117:
	s_or_b64 exec, exec, s[2:3]
	s_waitcnt vmcnt(0)
	ds_bpermute_b32 v0, v42, v4
	ds_bpermute_b32 v1, v42, v5
	;; [unrolled: 1-line block ×6, first 2 shown]
	s_waitcnt lgkmcnt(4)
	v_pk_add_f32 v[0:1], v[4:5], v[0:1]
	ds_bpermute_b32 v4, v43, v0
	s_waitcnt lgkmcnt(3)
	v_pk_add_f32 v[2:3], v[6:7], v[2:3]
	ds_bpermute_b32 v5, v43, v1
	ds_bpermute_b32 v6, v43, v2
	;; [unrolled: 1-line block ×5, first 2 shown]
	s_waitcnt lgkmcnt(4)
	v_pk_add_f32 v[0:1], v[0:1], v[4:5]
	ds_bpermute_b32 v4, v45, v0
	s_waitcnt lgkmcnt(3)
	v_pk_add_f32 v[2:3], v[2:3], v[6:7]
	ds_bpermute_b32 v5, v45, v1
	v_pk_add_f32 v[6:7], v[10:11], v[8:9]
	ds_bpermute_b32 v10, v45, v2
	ds_bpermute_b32 v11, v45, v3
	s_waitcnt lgkmcnt(4)
	v_pk_add_f32 v[12:13], v[14:15], v[12:13]
	s_waitcnt lgkmcnt(2)
	v_pk_add_f32 v[30:31], v[0:1], v[4:5]
	ds_bpermute_b32 v14, v43, v12
	ds_bpermute_b32 v15, v43, v13
	s_waitcnt lgkmcnt(2)
	v_pk_add_f32 v[4:5], v[2:3], v[10:11]
	ds_bpermute_b32 v10, v42, v16
	ds_bpermute_b32 v11, v42, v17
	;; [unrolled: 1-line block ×4, first 2 shown]
	s_waitcnt lgkmcnt(4)
	v_pk_add_f32 v[0:1], v[12:13], v[14:15]
	s_waitcnt lgkmcnt(0)
	v_pk_add_f32 v[10:11], v[16:17], v[10:11]
	ds_bpermute_b32 v14, v43, v10
	ds_bpermute_b32 v15, v43, v11
	;; [unrolled: 1-line block ×4, first 2 shown]
	v_pk_add_f32 v[6:7], v[6:7], v[8:9]
	ds_bpermute_b32 v8, v45, v6
	ds_bpermute_b32 v9, v45, v7
	s_waitcnt lgkmcnt(4)
	v_pk_add_f32 v[10:11], v[10:11], v[14:15]
	s_waitcnt lgkmcnt(2)
	v_pk_add_f32 v[14:15], v[18:19], v[16:17]
	ds_bpermute_b32 v16, v43, v14
	ds_bpermute_b32 v17, v43, v15
	;; [unrolled: 1-line block ×4, first 2 shown]
	s_waitcnt lgkmcnt(4)
	v_pk_add_f32 v[2:3], v[6:7], v[8:9]
	ds_bpermute_b32 v6, v42, v20
	ds_bpermute_b32 v7, v42, v21
	s_waitcnt lgkmcnt(4)
	v_pk_add_f32 v[14:15], v[14:15], v[16:17]
	s_waitcnt lgkmcnt(2)
	v_pk_add_f32 v[24:25], v[10:11], v[18:19]
	ds_bpermute_b32 v10, v42, v38
	ds_bpermute_b32 v11, v42, v39
	s_waitcnt lgkmcnt(2)
	v_pk_add_f32 v[6:7], v[20:21], v[6:7]
	ds_bpermute_b32 v20, v42, v22
	ds_bpermute_b32 v21, v42, v23
	;; [unrolled: 1-line block ×4, first 2 shown]
	s_waitcnt lgkmcnt(4)
	v_pk_add_f32 v[10:11], v[38:39], v[10:11]
	ds_bpermute_b32 v8, v45, v0
	s_waitcnt lgkmcnt(3)
	v_pk_add_f32 v[20:21], v[22:23], v[20:21]
	ds_bpermute_b32 v9, v45, v1
	;; [unrolled: 3-line block ×3, first 2 shown]
	ds_bpermute_b32 v15, v43, v11
	ds_bpermute_b32 v16, v42, v34
	;; [unrolled: 1-line block ×5, first 2 shown]
	s_waitcnt lgkmcnt(4)
	v_pk_add_f32 v[10:11], v[10:11], v[14:15]
	v_pk_add_f32 v[28:29], v[0:1], v[8:9]
	s_waitcnt lgkmcnt(2)
	v_pk_add_f32 v[14:15], v[34:35], v[16:17]
	ds_bpermute_b32 v16, v43, v14
	s_waitcnt lgkmcnt(1)
	v_pk_add_f32 v[0:1], v[20:21], v[32:33]
	ds_bpermute_b32 v17, v43, v15
	ds_bpermute_b32 v32, v45, v10
	ds_bpermute_b32 v33, v45, v11
	ds_bpermute_b32 v18, v42, v36
	ds_bpermute_b32 v19, v42, v37
	s_waitcnt lgkmcnt(4)
	v_pk_add_f32 v[14:15], v[14:15], v[16:17]
	ds_bpermute_b32 v34, v45, v14
	s_waitcnt lgkmcnt(3)
	v_pk_add_f32 v[16:17], v[10:11], v[32:33]
	ds_bpermute_b32 v10, v42, v50
	ds_bpermute_b32 v11, v42, v51
	;; [unrolled: 1-line block ×3, first 2 shown]
	s_waitcnt lgkmcnt(4)
	v_pk_add_f32 v[36:37], v[36:37], v[18:19]
	ds_bpermute_b32 v8, v45, v0
	ds_bpermute_b32 v9, v45, v1
	s_waitcnt lgkmcnt(3)
	v_pk_add_f32 v[10:11], v[50:51], v[10:11]
	s_waitcnt lgkmcnt(2)
	v_pk_add_f32 v[14:15], v[14:15], v[34:35]
	ds_bpermute_b32 v32, v43, v10
	ds_bpermute_b32 v33, v43, v11
	;; [unrolled: 1-line block ×6, first 2 shown]
	s_waitcnt lgkmcnt(4)
	v_pk_add_f32 v[32:33], v[10:11], v[32:33]
	v_pk_add_f32 v[20:21], v[0:1], v[8:9]
	s_waitcnt lgkmcnt(2)
	v_pk_add_f32 v[10:11], v[48:49], v[34:35]
	ds_bpermute_b32 v34, v43, v10
	ds_bpermute_b32 v35, v43, v11
	s_waitcnt lgkmcnt(2)
	v_pk_add_f32 v[0:1], v[36:37], v[38:39]
	ds_bpermute_b32 v8, v45, v0
	ds_bpermute_b32 v9, v45, v1
	s_barrier
	s_waitcnt lgkmcnt(2)
	v_pk_add_f32 v[34:35], v[10:11], v[34:35]
	ds_bpermute_b32 v40, v45, v34
	ds_bpermute_b32 v41, v45, v35
	s_waitcnt lgkmcnt(2)
	v_pk_add_f32 v[10:11], v[0:1], v[8:9]
	s_waitcnt lgkmcnt(0)
	ds_bpermute_b32 v12, v43, v6
	ds_bpermute_b32 v13, v43, v7
	v_pk_add_f32 v[0:1], v[34:35], v[40:41]
	scratch_load_dword v34, off, off offset:188 ; 4-byte Folded Reload
	ds_bpermute_b32 v38, v42, v46
	ds_bpermute_b32 v39, v42, v47
	s_waitcnt lgkmcnt(2)
	v_pk_add_f32 v[6:7], v[6:7], v[12:13]
	ds_bpermute_b32 v12, v45, v6
	ds_bpermute_b32 v13, v45, v7
	;; [unrolled: 1-line block ×3, first 2 shown]
	s_waitcnt lgkmcnt(3)
	v_pk_add_f32 v[38:39], v[46:47], v[38:39]
	ds_bpermute_b32 v37, v45, v33
	s_waitcnt lgkmcnt(2)
	v_pk_add_f32 v[26:27], v[6:7], v[12:13]
	ds_bpermute_b32 v6, v42, v54
	ds_bpermute_b32 v7, v42, v55
	s_waitcnt lgkmcnt(0)
	v_pk_add_f32 v[6:7], v[54:55], v[6:7]
	ds_bpermute_b32 v12, v43, v6
	;; [unrolled: 4-line block ×4, first 2 shown]
	ds_bpermute_b32 v7, v42, v53
	ds_bpermute_b32 v42, v43, v38
	s_waitcnt lgkmcnt(1)
	v_pk_add_f32 v[6:7], v[52:53], v[6:7]
	ds_bpermute_b32 v12, v43, v6
	ds_bpermute_b32 v13, v43, v7
	;; [unrolled: 1-line block ×3, first 2 shown]
	s_waitcnt lgkmcnt(1)
	v_pk_add_f32 v[6:7], v[6:7], v[12:13]
	ds_bpermute_b32 v12, v45, v6
	ds_bpermute_b32 v13, v45, v7
	s_waitcnt lgkmcnt(0)
	v_pk_add_f32 v[8:9], v[6:7], v[12:13]
	v_pk_add_f32 v[12:13], v[38:39], v[42:43]
	;; [unrolled: 1-line block ×3, first 2 shown]
	ds_bpermute_b32 v32, v45, v12
	ds_bpermute_b32 v33, v45, v13
	s_waitcnt vmcnt(0)
	v_and_b32_e32 v34, 0x3c7, v34
	v_cmp_ne_u32_e32 vcc, 64, v34
	s_and_saveexec_b64 s[0:1], vcc
	s_xor_b64 s[0:1], exec, s[0:1]
; %bb.118:
                                        ; implicit-def: $vgpr44
; %bb.119:
	s_or_saveexec_b64 s[0:1], s[0:1]
	s_waitcnt lgkmcnt(0)
	v_pk_add_f32 v[12:13], v[12:13], v[32:33]
	s_xor_b64 exec, exec, s[0:1]
	s_cbranch_execz .LBB235_121
; %bb.120:
	v_lshrrev_b32_e32 v32, 1, v44
	v_add_u32_e32 v32, 0x410, v32
	ds_write2_b32 v32, v30, v31 offset1:8
	ds_write2_b32 v32, v4, v5 offset0:16 offset1:24
	ds_write2_b32 v32, v2, v3 offset0:32 offset1:40
	ds_write2_b32 v32, v28, v29 offset0:48 offset1:56
	ds_write2_b32 v32, v26, v27 offset0:64 offset1:72
	ds_write2_b32 v32, v24, v25 offset0:80 offset1:88
	ds_write2_b32 v32, v22, v23 offset0:96 offset1:104
	ds_write2_b32 v32, v20, v21 offset0:112 offset1:120
	ds_write2_b32 v32, v18, v19 offset0:128 offset1:136
	ds_write2_b32 v32, v16, v17 offset0:144 offset1:152
	ds_write2_b32 v32, v14, v15 offset0:160 offset1:168
	ds_write2_b32 v32, v10, v11 offset0:176 offset1:184
	ds_write2_b32 v32, v8, v9 offset0:192 offset1:200
	ds_write2_b32 v32, v6, v7 offset0:208 offset1:216
	ds_write2_b32 v32, v0, v1 offset0:224 offset1:232
	ds_write2_b32 v32, v12, v13 offset0:240 offset1:248
.LBB235_121:
	s_or_b64 exec, exec, s[0:1]
	s_waitcnt lgkmcnt(0)
	s_barrier
	scratch_load_dword v32, off, off offset:188 ; 4-byte Folded Reload
	s_waitcnt vmcnt(0)
	v_cmp_gt_u32_e32 vcc, 64, v32
	s_and_saveexec_b64 s[0:1], vcc
	s_cbranch_execz .LBB235_156
; %bb.122:
	scratch_load_dword v32, off, off offset:340 ; 4-byte Folded Reload
	s_waitcnt vmcnt(0)
	v_cmp_eq_u32_e32 vcc, 0, v32
	scratch_load_dword v32, off, off offset:188 ; 4-byte Folded Reload
	s_waitcnt vmcnt(0)
	v_lshrrev_b32_e32 v32, 3, v32
	s_and_saveexec_b64 s[2:3], vcc
	s_cbranch_execnz .LBB235_159
; %bb.123:
	s_or_b64 exec, exec, s[2:3]
	s_and_saveexec_b64 s[2:3], vcc
	s_cbranch_execnz .LBB235_160
.LBB235_124:
	s_or_b64 exec, exec, s[2:3]
	s_and_saveexec_b64 s[2:3], vcc
	s_cbranch_execnz .LBB235_161
.LBB235_125:
	s_or_b64 exec, exec, s[2:3]
	s_and_saveexec_b64 s[2:3], vcc
	s_cbranch_execnz .LBB235_162
.LBB235_126:
	s_or_b64 exec, exec, s[2:3]
	s_and_saveexec_b64 s[2:3], vcc
	s_cbranch_execnz .LBB235_163
.LBB235_127:
	s_or_b64 exec, exec, s[2:3]
	s_and_saveexec_b64 s[2:3], vcc
	s_cbranch_execnz .LBB235_164
.LBB235_128:
	s_or_b64 exec, exec, s[2:3]
	s_and_saveexec_b64 s[2:3], vcc
	s_cbranch_execnz .LBB235_165
.LBB235_129:
	s_or_b64 exec, exec, s[2:3]
	s_and_saveexec_b64 s[2:3], vcc
	s_cbranch_execnz .LBB235_166
.LBB235_130:
	s_or_b64 exec, exec, s[2:3]
	s_and_saveexec_b64 s[2:3], vcc
	s_cbranch_execnz .LBB235_167
.LBB235_131:
	s_or_b64 exec, exec, s[2:3]
	s_and_saveexec_b64 s[2:3], vcc
	s_cbranch_execnz .LBB235_168
.LBB235_132:
	s_or_b64 exec, exec, s[2:3]
	s_and_saveexec_b64 s[2:3], vcc
	s_cbranch_execnz .LBB235_169
.LBB235_133:
	s_or_b64 exec, exec, s[2:3]
	s_and_saveexec_b64 s[2:3], vcc
	s_cbranch_execnz .LBB235_170
.LBB235_134:
	s_or_b64 exec, exec, s[2:3]
	s_and_saveexec_b64 s[2:3], vcc
	s_cbranch_execnz .LBB235_171
.LBB235_135:
	s_or_b64 exec, exec, s[2:3]
	s_and_saveexec_b64 s[2:3], vcc
	s_cbranch_execnz .LBB235_172
.LBB235_136:
	s_or_b64 exec, exec, s[2:3]
	s_and_saveexec_b64 s[2:3], vcc
	s_cbranch_execnz .LBB235_173
.LBB235_137:
	s_or_b64 exec, exec, s[2:3]
	s_and_saveexec_b64 s[2:3], vcc
	s_cbranch_execnz .LBB235_174
.LBB235_138:
	s_or_b64 exec, exec, s[2:3]
	s_and_saveexec_b64 s[2:3], vcc
	s_cbranch_execnz .LBB235_175
.LBB235_139:
	s_or_b64 exec, exec, s[2:3]
	s_and_saveexec_b64 s[2:3], vcc
	s_cbranch_execnz .LBB235_176
.LBB235_140:
	s_or_b64 exec, exec, s[2:3]
	s_and_saveexec_b64 s[2:3], vcc
	s_cbranch_execnz .LBB235_177
.LBB235_141:
	s_or_b64 exec, exec, s[2:3]
	s_and_saveexec_b64 s[2:3], vcc
	s_cbranch_execnz .LBB235_178
.LBB235_142:
	s_or_b64 exec, exec, s[2:3]
	s_and_saveexec_b64 s[2:3], vcc
	s_cbranch_execnz .LBB235_179
.LBB235_143:
	s_or_b64 exec, exec, s[2:3]
	s_and_saveexec_b64 s[2:3], vcc
	s_cbranch_execnz .LBB235_180
.LBB235_144:
	s_or_b64 exec, exec, s[2:3]
	s_and_saveexec_b64 s[2:3], vcc
	s_cbranch_execnz .LBB235_181
.LBB235_145:
	s_or_b64 exec, exec, s[2:3]
	s_and_saveexec_b64 s[2:3], vcc
	s_cbranch_execnz .LBB235_182
.LBB235_146:
	s_or_b64 exec, exec, s[2:3]
	s_and_saveexec_b64 s[2:3], vcc
	s_cbranch_execnz .LBB235_183
.LBB235_147:
	s_or_b64 exec, exec, s[2:3]
	s_and_saveexec_b64 s[2:3], vcc
	s_cbranch_execnz .LBB235_184
.LBB235_148:
	s_or_b64 exec, exec, s[2:3]
	s_and_saveexec_b64 s[2:3], vcc
	s_cbranch_execnz .LBB235_185
.LBB235_149:
	s_or_b64 exec, exec, s[2:3]
	s_and_saveexec_b64 s[2:3], vcc
	s_cbranch_execnz .LBB235_186
.LBB235_150:
	s_or_b64 exec, exec, s[2:3]
	s_and_saveexec_b64 s[2:3], vcc
	s_cbranch_execnz .LBB235_187
.LBB235_151:
	s_or_b64 exec, exec, s[2:3]
	s_and_saveexec_b64 s[2:3], vcc
	s_cbranch_execnz .LBB235_188
.LBB235_152:
	s_or_b64 exec, exec, s[2:3]
	s_and_saveexec_b64 s[2:3], vcc
	s_cbranch_execnz .LBB235_189
.LBB235_153:
	s_or_b64 exec, exec, s[2:3]
	s_and_saveexec_b64 s[2:3], vcc
	s_cbranch_execz .LBB235_155
.LBB235_154:
	v_mov_b32_e32 v33, 0x410
	v_lshl_add_u32 v32, v32, 2, v33
	ds_read_b32 v32, v32 offset:992
	s_waitcnt lgkmcnt(0)
	v_add_f32_e32 v13, v13, v32
.LBB235_155:
	s_or_b64 exec, exec, s[2:3]
.LBB235_156:
	s_or_b64 exec, exec, s[0:1]
	v_cmp_eq_u32_e32 vcc, 0, v34
	s_barrier
	s_and_saveexec_b64 s[0:1], vcc
	s_cbranch_execz .LBB235_158
; %bb.157:
	scratch_load_dword v32, off, off offset:188 ; 4-byte Folded Reload
	s_lshl_b32 s0, s6, 8
	s_ashr_i32 s1, s0, 31
	s_lshl_b64 s[0:1], s[0:1], 2
	s_add_u32 s2, s30, s0
	s_mul_i32 s0, s20, s28
	s_addc_u32 s3, s31, s1
	s_ashr_i32 s1, s0, 31
	s_lshl_b64 s[0:1], s[0:1], 2
	s_add_u32 s2, s2, s0
	s_addc_u32 s3, s3, s1
	s_lshl_b32 s0, s4, 8
	s_ashr_i32 s1, s0, 31
	s_lshl_b64 s[0:1], s[0:1], 2
	s_add_u32 s0, s2, s0
	s_addc_u32 s1, s3, s1
	s_waitcnt vmcnt(0)
	v_lshrrev_b32_e32 v32, 1, v32
	global_store_dword v32, v30, s[0:1]
	global_store_dword v32, v31, s[0:1] offset:32
	global_store_dword v32, v4, s[0:1] offset:64
	;; [unrolled: 1-line block ×31, first 2 shown]
.LBB235_158:
	s_endpgm
.LBB235_159:
	v_mov_b32_e32 v33, 0x410
	v_lshl_add_u32 v33, v32, 2, v33
	ds_read_b32 v33, v33
	s_waitcnt lgkmcnt(0)
	v_add_f32_e32 v30, v30, v33
	s_or_b64 exec, exec, s[2:3]
	s_and_saveexec_b64 s[2:3], vcc
	s_cbranch_execz .LBB235_124
.LBB235_160:
	v_mov_b32_e32 v33, 0x410
	v_lshl_add_u32 v33, v32, 2, v33
	ds_read_b32 v33, v33 offset:32
	s_waitcnt lgkmcnt(0)
	v_add_f32_e32 v31, v31, v33
	s_or_b64 exec, exec, s[2:3]
	s_and_saveexec_b64 s[2:3], vcc
	s_cbranch_execz .LBB235_125
.LBB235_161:
	v_mov_b32_e32 v33, 0x410
	v_lshl_add_u32 v33, v32, 2, v33
	ds_read_b32 v33, v33 offset:64
	s_waitcnt lgkmcnt(0)
	v_add_f32_e32 v4, v4, v33
	s_or_b64 exec, exec, s[2:3]
	s_and_saveexec_b64 s[2:3], vcc
	s_cbranch_execz .LBB235_126
.LBB235_162:
	v_mov_b32_e32 v33, 0x410
	v_lshl_add_u32 v33, v32, 2, v33
	ds_read_b32 v33, v33 offset:96
	s_waitcnt lgkmcnt(0)
	v_add_f32_e32 v5, v5, v33
	s_or_b64 exec, exec, s[2:3]
	s_and_saveexec_b64 s[2:3], vcc
	s_cbranch_execz .LBB235_127
.LBB235_163:
	v_mov_b32_e32 v33, 0x410
	v_lshl_add_u32 v33, v32, 2, v33
	ds_read_b32 v33, v33 offset:128
	s_waitcnt lgkmcnt(0)
	v_add_f32_e32 v2, v2, v33
	s_or_b64 exec, exec, s[2:3]
	s_and_saveexec_b64 s[2:3], vcc
	s_cbranch_execz .LBB235_128
.LBB235_164:
	v_mov_b32_e32 v33, 0x410
	v_lshl_add_u32 v33, v32, 2, v33
	ds_read_b32 v33, v33 offset:160
	s_waitcnt lgkmcnt(0)
	v_add_f32_e32 v3, v3, v33
	s_or_b64 exec, exec, s[2:3]
	s_and_saveexec_b64 s[2:3], vcc
	s_cbranch_execz .LBB235_129
.LBB235_165:
	v_mov_b32_e32 v33, 0x410
	v_lshl_add_u32 v33, v32, 2, v33
	ds_read_b32 v33, v33 offset:192
	s_waitcnt lgkmcnt(0)
	v_add_f32_e32 v28, v28, v33
	s_or_b64 exec, exec, s[2:3]
	s_and_saveexec_b64 s[2:3], vcc
	s_cbranch_execz .LBB235_130
.LBB235_166:
	v_mov_b32_e32 v33, 0x410
	v_lshl_add_u32 v33, v32, 2, v33
	ds_read_b32 v33, v33 offset:224
	s_waitcnt lgkmcnt(0)
	v_add_f32_e32 v29, v29, v33
	s_or_b64 exec, exec, s[2:3]
	s_and_saveexec_b64 s[2:3], vcc
	s_cbranch_execz .LBB235_131
.LBB235_167:
	v_mov_b32_e32 v33, 0x410
	v_lshl_add_u32 v33, v32, 2, v33
	ds_read_b32 v33, v33 offset:256
	s_waitcnt lgkmcnt(0)
	v_add_f32_e32 v26, v26, v33
	s_or_b64 exec, exec, s[2:3]
	s_and_saveexec_b64 s[2:3], vcc
	s_cbranch_execz .LBB235_132
.LBB235_168:
	v_mov_b32_e32 v33, 0x410
	v_lshl_add_u32 v33, v32, 2, v33
	ds_read_b32 v33, v33 offset:288
	s_waitcnt lgkmcnt(0)
	v_add_f32_e32 v27, v27, v33
	s_or_b64 exec, exec, s[2:3]
	s_and_saveexec_b64 s[2:3], vcc
	s_cbranch_execz .LBB235_133
.LBB235_169:
	v_mov_b32_e32 v33, 0x410
	v_lshl_add_u32 v33, v32, 2, v33
	ds_read_b32 v33, v33 offset:320
	s_waitcnt lgkmcnt(0)
	v_add_f32_e32 v24, v24, v33
	s_or_b64 exec, exec, s[2:3]
	s_and_saveexec_b64 s[2:3], vcc
	s_cbranch_execz .LBB235_134
.LBB235_170:
	v_mov_b32_e32 v33, 0x410
	v_lshl_add_u32 v33, v32, 2, v33
	ds_read_b32 v33, v33 offset:352
	s_waitcnt lgkmcnt(0)
	v_add_f32_e32 v25, v25, v33
	s_or_b64 exec, exec, s[2:3]
	s_and_saveexec_b64 s[2:3], vcc
	s_cbranch_execz .LBB235_135
.LBB235_171:
	v_mov_b32_e32 v33, 0x410
	v_lshl_add_u32 v33, v32, 2, v33
	ds_read_b32 v33, v33 offset:384
	s_waitcnt lgkmcnt(0)
	v_add_f32_e32 v22, v22, v33
	s_or_b64 exec, exec, s[2:3]
	s_and_saveexec_b64 s[2:3], vcc
	s_cbranch_execz .LBB235_136
.LBB235_172:
	v_mov_b32_e32 v33, 0x410
	v_lshl_add_u32 v33, v32, 2, v33
	ds_read_b32 v33, v33 offset:416
	s_waitcnt lgkmcnt(0)
	v_add_f32_e32 v23, v23, v33
	s_or_b64 exec, exec, s[2:3]
	s_and_saveexec_b64 s[2:3], vcc
	s_cbranch_execz .LBB235_137
.LBB235_173:
	v_mov_b32_e32 v33, 0x410
	v_lshl_add_u32 v33, v32, 2, v33
	ds_read_b32 v33, v33 offset:448
	s_waitcnt lgkmcnt(0)
	v_add_f32_e32 v20, v20, v33
	s_or_b64 exec, exec, s[2:3]
	s_and_saveexec_b64 s[2:3], vcc
	s_cbranch_execz .LBB235_138
.LBB235_174:
	v_mov_b32_e32 v33, 0x410
	v_lshl_add_u32 v33, v32, 2, v33
	ds_read_b32 v33, v33 offset:480
	s_waitcnt lgkmcnt(0)
	v_add_f32_e32 v21, v21, v33
	s_or_b64 exec, exec, s[2:3]
	s_and_saveexec_b64 s[2:3], vcc
	s_cbranch_execz .LBB235_139
.LBB235_175:
	v_mov_b32_e32 v33, 0x410
	v_lshl_add_u32 v33, v32, 2, v33
	ds_read_b32 v33, v33 offset:512
	s_waitcnt lgkmcnt(0)
	v_add_f32_e32 v18, v18, v33
	s_or_b64 exec, exec, s[2:3]
	s_and_saveexec_b64 s[2:3], vcc
	s_cbranch_execz .LBB235_140
.LBB235_176:
	v_mov_b32_e32 v33, 0x410
	v_lshl_add_u32 v33, v32, 2, v33
	ds_read_b32 v33, v33 offset:544
	s_waitcnt lgkmcnt(0)
	v_add_f32_e32 v19, v19, v33
	s_or_b64 exec, exec, s[2:3]
	s_and_saveexec_b64 s[2:3], vcc
	s_cbranch_execz .LBB235_141
.LBB235_177:
	v_mov_b32_e32 v33, 0x410
	v_lshl_add_u32 v33, v32, 2, v33
	ds_read_b32 v33, v33 offset:576
	s_waitcnt lgkmcnt(0)
	v_add_f32_e32 v16, v16, v33
	s_or_b64 exec, exec, s[2:3]
	s_and_saveexec_b64 s[2:3], vcc
	s_cbranch_execz .LBB235_142
.LBB235_178:
	v_mov_b32_e32 v33, 0x410
	v_lshl_add_u32 v33, v32, 2, v33
	ds_read_b32 v33, v33 offset:608
	s_waitcnt lgkmcnt(0)
	v_add_f32_e32 v17, v17, v33
	s_or_b64 exec, exec, s[2:3]
	s_and_saveexec_b64 s[2:3], vcc
	s_cbranch_execz .LBB235_143
.LBB235_179:
	v_mov_b32_e32 v33, 0x410
	v_lshl_add_u32 v33, v32, 2, v33
	ds_read_b32 v33, v33 offset:640
	s_waitcnt lgkmcnt(0)
	v_add_f32_e32 v14, v14, v33
	s_or_b64 exec, exec, s[2:3]
	s_and_saveexec_b64 s[2:3], vcc
	s_cbranch_execz .LBB235_144
.LBB235_180:
	v_mov_b32_e32 v33, 0x410
	v_lshl_add_u32 v33, v32, 2, v33
	ds_read_b32 v33, v33 offset:672
	s_waitcnt lgkmcnt(0)
	v_add_f32_e32 v15, v15, v33
	s_or_b64 exec, exec, s[2:3]
	s_and_saveexec_b64 s[2:3], vcc
	s_cbranch_execz .LBB235_145
.LBB235_181:
	v_mov_b32_e32 v33, 0x410
	v_lshl_add_u32 v33, v32, 2, v33
	ds_read_b32 v33, v33 offset:704
	s_waitcnt lgkmcnt(0)
	v_add_f32_e32 v10, v10, v33
	s_or_b64 exec, exec, s[2:3]
	s_and_saveexec_b64 s[2:3], vcc
	s_cbranch_execz .LBB235_146
.LBB235_182:
	v_mov_b32_e32 v33, 0x410
	v_lshl_add_u32 v33, v32, 2, v33
	ds_read_b32 v33, v33 offset:736
	s_waitcnt lgkmcnt(0)
	v_add_f32_e32 v11, v11, v33
	s_or_b64 exec, exec, s[2:3]
	s_and_saveexec_b64 s[2:3], vcc
	s_cbranch_execz .LBB235_147
.LBB235_183:
	v_mov_b32_e32 v33, 0x410
	v_lshl_add_u32 v33, v32, 2, v33
	ds_read_b32 v33, v33 offset:768
	s_waitcnt lgkmcnt(0)
	v_add_f32_e32 v8, v8, v33
	s_or_b64 exec, exec, s[2:3]
	s_and_saveexec_b64 s[2:3], vcc
	s_cbranch_execz .LBB235_148
.LBB235_184:
	v_mov_b32_e32 v33, 0x410
	v_lshl_add_u32 v33, v32, 2, v33
	ds_read_b32 v33, v33 offset:800
	s_waitcnt lgkmcnt(0)
	v_add_f32_e32 v9, v9, v33
	s_or_b64 exec, exec, s[2:3]
	s_and_saveexec_b64 s[2:3], vcc
	s_cbranch_execz .LBB235_149
.LBB235_185:
	v_mov_b32_e32 v33, 0x410
	v_lshl_add_u32 v33, v32, 2, v33
	ds_read_b32 v33, v33 offset:832
	s_waitcnt lgkmcnt(0)
	v_add_f32_e32 v6, v6, v33
	s_or_b64 exec, exec, s[2:3]
	s_and_saveexec_b64 s[2:3], vcc
	s_cbranch_execz .LBB235_150
.LBB235_186:
	v_mov_b32_e32 v33, 0x410
	v_lshl_add_u32 v33, v32, 2, v33
	ds_read_b32 v33, v33 offset:864
	s_waitcnt lgkmcnt(0)
	v_add_f32_e32 v7, v7, v33
	s_or_b64 exec, exec, s[2:3]
	s_and_saveexec_b64 s[2:3], vcc
	s_cbranch_execz .LBB235_151
.LBB235_187:
	v_mov_b32_e32 v33, 0x410
	v_lshl_add_u32 v33, v32, 2, v33
	ds_read_b32 v33, v33 offset:896
	s_waitcnt lgkmcnt(0)
	v_add_f32_e32 v0, v0, v33
	s_or_b64 exec, exec, s[2:3]
	s_and_saveexec_b64 s[2:3], vcc
	s_cbranch_execz .LBB235_152
.LBB235_188:
	v_mov_b32_e32 v33, 0x410
	v_lshl_add_u32 v33, v32, 2, v33
	ds_read_b32 v33, v33 offset:928
	s_waitcnt lgkmcnt(0)
	v_add_f32_e32 v1, v1, v33
	s_or_b64 exec, exec, s[2:3]
	s_and_saveexec_b64 s[2:3], vcc
	s_cbranch_execz .LBB235_153
.LBB235_189:
	v_mov_b32_e32 v33, 0x410
	v_lshl_add_u32 v33, v32, 2, v33
	ds_read_b32 v33, v33 offset:960
	s_waitcnt lgkmcnt(0)
	v_add_f32_e32 v12, v12, v33
	s_or_b64 exec, exec, s[2:3]
	s_and_saveexec_b64 s[2:3], vcc
	s_cbranch_execnz .LBB235_154
	s_branch .LBB235_155
	.section	.rodata,"a",@progbits
	.p2align	6, 0x0
	.amdhsa_kernel _ZN4vllm25paged_attention_v2_kernelIfhLi256ELi32ELi128ELNS_18Fp8KVCacheDataTypeE1ELb1ELi512EEEvPfS2_PT_PKS3_PKT0_S9_ifPKiSB_iPKfiiiSD_SD_iiiii
		.amdhsa_group_segment_fixed_size 1040
		.amdhsa_private_segment_fixed_size 364
		.amdhsa_kernarg_size 400
		.amdhsa_user_sgpr_count 2
		.amdhsa_user_sgpr_dispatch_ptr 0
		.amdhsa_user_sgpr_queue_ptr 0
		.amdhsa_user_sgpr_kernarg_segment_ptr 1
		.amdhsa_user_sgpr_dispatch_id 0
		.amdhsa_user_sgpr_kernarg_preload_length 0
		.amdhsa_user_sgpr_kernarg_preload_offset 0
		.amdhsa_user_sgpr_private_segment_size 0
		.amdhsa_uses_dynamic_stack 0
		.amdhsa_enable_private_segment 1
		.amdhsa_system_sgpr_workgroup_id_x 1
		.amdhsa_system_sgpr_workgroup_id_y 1
		.amdhsa_system_sgpr_workgroup_id_z 1
		.amdhsa_system_sgpr_workgroup_info 0
		.amdhsa_system_vgpr_workitem_id 0
		.amdhsa_next_free_vgpr 128
		.amdhsa_next_free_sgpr 74
		.amdhsa_accum_offset 128
		.amdhsa_reserve_vcc 1
		.amdhsa_float_round_mode_32 0
		.amdhsa_float_round_mode_16_64 0
		.amdhsa_float_denorm_mode_32 3
		.amdhsa_float_denorm_mode_16_64 3
		.amdhsa_dx10_clamp 1
		.amdhsa_ieee_mode 1
		.amdhsa_fp16_overflow 0
		.amdhsa_tg_split 0
		.amdhsa_exception_fp_ieee_invalid_op 0
		.amdhsa_exception_fp_denorm_src 0
		.amdhsa_exception_fp_ieee_div_zero 0
		.amdhsa_exception_fp_ieee_overflow 0
		.amdhsa_exception_fp_ieee_underflow 0
		.amdhsa_exception_fp_ieee_inexact 0
		.amdhsa_exception_int_div_zero 0
	.end_amdhsa_kernel
	.section	.text._ZN4vllm25paged_attention_v2_kernelIfhLi256ELi32ELi128ELNS_18Fp8KVCacheDataTypeE1ELb1ELi512EEEvPfS2_PT_PKS3_PKT0_S9_ifPKiSB_iPKfiiiSD_SD_iiiii,"axG",@progbits,_ZN4vllm25paged_attention_v2_kernelIfhLi256ELi32ELi128ELNS_18Fp8KVCacheDataTypeE1ELb1ELi512EEEvPfS2_PT_PKS3_PKT0_S9_ifPKiSB_iPKfiiiSD_SD_iiiii,comdat
.Lfunc_end235:
	.size	_ZN4vllm25paged_attention_v2_kernelIfhLi256ELi32ELi128ELNS_18Fp8KVCacheDataTypeE1ELb1ELi512EEEvPfS2_PT_PKS3_PKT0_S9_ifPKiSB_iPKfiiiSD_SD_iiiii, .Lfunc_end235-_ZN4vllm25paged_attention_v2_kernelIfhLi256ELi32ELi128ELNS_18Fp8KVCacheDataTypeE1ELb1ELi512EEEvPfS2_PT_PKS3_PKT0_S9_ifPKiSB_iPKfiiiSD_SD_iiiii
                                        ; -- End function
	.section	.AMDGPU.csdata,"",@progbits
; Kernel info:
; codeLenInByte = 16556
; NumSgprs: 80
; NumVgprs: 128
; NumAgprs: 0
; TotalNumVgprs: 128
; ScratchSize: 364
; MemoryBound: 0
; FloatMode: 240
; IeeeMode: 1
; LDSByteSize: 1040 bytes/workgroup (compile time only)
; SGPRBlocks: 9
; VGPRBlocks: 15
; NumSGPRsForWavesPerEU: 80
; NumVGPRsForWavesPerEU: 128
; AccumOffset: 128
; Occupancy: 4
; WaveLimiterHint : 1
; COMPUTE_PGM_RSRC2:SCRATCH_EN: 1
; COMPUTE_PGM_RSRC2:USER_SGPR: 2
; COMPUTE_PGM_RSRC2:TRAP_HANDLER: 0
; COMPUTE_PGM_RSRC2:TGID_X_EN: 1
; COMPUTE_PGM_RSRC2:TGID_Y_EN: 1
; COMPUTE_PGM_RSRC2:TGID_Z_EN: 1
; COMPUTE_PGM_RSRC2:TIDIG_COMP_CNT: 0
; COMPUTE_PGM_RSRC3_GFX90A:ACCUM_OFFSET: 31
; COMPUTE_PGM_RSRC3_GFX90A:TG_SPLIT: 0
	.section	.text._ZN4vllm25paged_attention_v2_kernelIfhLi32ELi32ELi128ELNS_18Fp8KVCacheDataTypeE1ELb0ELi512EEEvPfS2_PT_PKS3_PKT0_S9_ifPKiSB_iPKfiiiSD_SD_iiiii,"axG",@progbits,_ZN4vllm25paged_attention_v2_kernelIfhLi32ELi32ELi128ELNS_18Fp8KVCacheDataTypeE1ELb0ELi512EEEvPfS2_PT_PKS3_PKT0_S9_ifPKiSB_iPKfiiiSD_SD_iiiii,comdat
	.protected	_ZN4vllm25paged_attention_v2_kernelIfhLi32ELi32ELi128ELNS_18Fp8KVCacheDataTypeE1ELb0ELi512EEEvPfS2_PT_PKS3_PKT0_S9_ifPKiSB_iPKfiiiSD_SD_iiiii ; -- Begin function _ZN4vllm25paged_attention_v2_kernelIfhLi32ELi32ELi128ELNS_18Fp8KVCacheDataTypeE1ELb0ELi512EEEvPfS2_PT_PKS3_PKT0_S9_ifPKiSB_iPKfiiiSD_SD_iiiii
	.globl	_ZN4vllm25paged_attention_v2_kernelIfhLi32ELi32ELi128ELNS_18Fp8KVCacheDataTypeE1ELb0ELi512EEEvPfS2_PT_PKS3_PKT0_S9_ifPKiSB_iPKfiiiSD_SD_iiiii
	.p2align	8
	.type	_ZN4vllm25paged_attention_v2_kernelIfhLi32ELi32ELi128ELNS_18Fp8KVCacheDataTypeE1ELb0ELi512EEEvPfS2_PT_PKS3_PKT0_S9_ifPKiSB_iPKfiiiSD_SD_iiiii,@function
_ZN4vllm25paged_attention_v2_kernelIfhLi32ELi32ELi128ELNS_18Fp8KVCacheDataTypeE1ELb0ELi512EEEvPfS2_PT_PKS3_PKT0_S9_ifPKiSB_iPKfiiiSD_SD_iiiii: ; @_ZN4vllm25paged_attention_v2_kernelIfhLi32ELi32ELi128ELNS_18Fp8KVCacheDataTypeE1ELb0ELi512EEEvPfS2_PT_PKS3_PKT0_S9_ifPKiSB_iPKfiiiSD_SD_iiiii
; %bb.0:
	s_load_dwordx2 s[6:7], s[0:1], 0x40
	s_mov_b32 s28, s3
	s_ashr_i32 s29, s3, 31
	s_lshl_b64 s[8:9], s[28:29], 2
	s_waitcnt lgkmcnt(0)
	s_add_u32 s6, s6, s8
	s_addc_u32 s7, s7, s9
	s_load_dword s29, s[6:7], 0x0
	s_lshl_b32 s42, s4, 9
	s_waitcnt lgkmcnt(0)
	s_cmp_ge_i32 s42, s29
	s_cbranch_scc1 .LBB236_63
; %bb.1:
	s_load_dword s5, s[0:1], 0x90
	s_load_dwordx2 s[10:11], s[0:1], 0x30
	s_waitcnt lgkmcnt(0)
	s_abs_i32 s7, s5
	s_abs_i32 s3, s10
	v_cvt_f32_u32_e32 v1, s3
	s_sub_i32 s8, 0, s3
	s_xor_b32 s6, s5, s10
	s_ashr_i32 s6, s6, 31
	v_rcp_iflag_f32_e32 v1, v1
	s_nop 0
	v_mul_f32_e32 v1, 0x4f7ffffe, v1
	v_cvt_u32_f32_e32 v1, v1
	s_nop 0
	v_readfirstlane_b32 s9, v1
	s_mul_i32 s8, s8, s9
	s_mul_hi_u32 s8, s9, s8
	s_add_i32 s9, s9, s8
	s_mul_hi_u32 s8, s7, s9
	s_mul_i32 s9, s8, s3
	s_sub_i32 s7, s7, s9
	s_add_i32 s10, s8, 1
	s_sub_i32 s9, s7, s3
	s_cmp_ge_u32 s7, s3
	s_cselect_b32 s8, s10, s8
	s_cselect_b32 s7, s9, s7
	s_add_i32 s9, s8, 1
	s_cmp_ge_u32 s7, s3
	s_cselect_b32 s3, s9, s8
	s_xor_b32 s3, s3, s6
	s_sub_i32 s12, s3, s6
	s_abs_i32 s8, s12
	v_cvt_f32_u32_e32 v1, s8
	s_load_dwordx2 s[6:7], s[0:1], 0x50
	s_sub_i32 s3, 0, s8
	s_abs_i32 s9, s2
	v_rcp_iflag_f32_e32 v1, v1
	s_mov_b32 s10, 0
	v_mul_f32_e32 v1, 0x4f7ffffe, v1
	v_cvt_u32_f32_e32 v1, v1
	s_nop 0
	v_readfirstlane_b32 s13, v1
	s_mul_i32 s3, s3, s13
	s_mul_hi_u32 s3, s13, s3
	s_add_i32 s13, s13, s3
	s_waitcnt lgkmcnt(0)
	s_cmp_eq_u64 s[6:7], 0
	s_mul_hi_u32 s16, s9, s13
	s_cbranch_scc1 .LBB236_3
; %bb.2:
	s_ashr_i32 s3, s2, 31
	s_lshl_b64 s[14:15], s[2:3], 2
	s_add_u32 s6, s6, s14
	s_addc_u32 s7, s7, s15
	s_load_dword s10, s[6:7], 0x0
.LBB236_3:
	s_ashr_i32 s18, s12, 31
	s_load_dwordx4 s[12:15], s[0:1], 0x58
	s_ashr_i32 s17, s2, 31
	v_and_b32_e32 v24, 1, v0
	s_lshl_b32 s24, s2, 5
	v_cmp_gt_u32_e32 vcc, 16, v0
	v_lshlrev_b32_e32 v1, 2, v0
	s_and_saveexec_b64 s[6:7], vcc
	s_cbranch_execz .LBB236_5
; %bb.4:
	s_load_dwordx2 s[20:21], s[0:1], 0x18
	s_waitcnt lgkmcnt(0)
	s_mul_i32 s22, s28, s12
	s_ashr_i32 s23, s22, 31
	s_lshl_b64 s[22:23], s[22:23], 2
	v_lshlrev_b32_e32 v2, 3, v0
	s_add_u32 s3, s20, s22
	s_addc_u32 s12, s21, s23
	s_ashr_i32 s25, s24, 31
	s_lshl_b64 s[20:21], s[24:25], 2
	s_add_u32 s20, s3, s20
	s_addc_u32 s21, s12, s21
	global_load_dwordx2 v[2:3], v2, s[20:21]
	v_and_b32_e32 v4, 0xff8, v1
	v_lshl_add_u32 v4, v24, 6, v4
	s_waitcnt vmcnt(0)
	ds_write_b64 v4, v[2:3]
.LBB236_5:
	s_or_b64 exec, exec, s[6:7]
	s_add_i32 s3, s29, 31
	s_ashr_i32 s6, s3, 31
	s_lshr_b32 s6, s6, 27
	s_add_i32 s3, s3, s6
	s_waitcnt lgkmcnt(0)
	s_ashr_i32 s12, s3, 5
	s_lshl_b32 s3, s4, 4
	s_mul_i32 s7, s16, s8
	s_add_i32 s6, s3, 16
	s_sub_i32 s7, s9, s7
	s_min_i32 s33, s6, s12
	s_xor_b32 s6, s17, s18
	s_add_i32 s9, s16, 1
	s_sub_i32 s15, s7, s8
	s_cmp_ge_u32 s7, s8
	s_cselect_b32 s9, s9, s16
	s_cselect_b32 s7, s15, s7
	s_add_i32 s15, s9, 1
	s_cmp_ge_u32 s7, s8
	s_load_dwordx2 s[30:31], s[0:1], 0x38
	s_load_dword s8, s[0:1], 0x48
	v_lshrrev_b32_e32 v26, 6, v0
	s_cselect_b32 s7, s15, s9
	s_xor_b32 s7, s7, s6
	v_or_b32_e32 v18, s3, v26
	s_waitcnt lgkmcnt(0)
	s_mul_i32 s34, s28, s8
	s_sub_i32 s43, s7, s6
	s_ashr_i32 s35, s34, 31
	v_cmp_gt_i32_e64 s[6:7], s33, v18
	v_cmp_le_i32_e32 vcc, s33, v18
	v_mbcnt_lo_u32_b32 v25, -1, 0
	s_barrier
	s_waitcnt lgkmcnt(0)
                                        ; implicit-def: $sgpr15
                                        ; implicit-def: $vgpr27
                                        ; implicit-def: $vgpr28
	s_and_saveexec_b64 s[8:9], vcc
	s_xor_b64 s[8:9], exec, s[8:9]
; %bb.6:
	v_mbcnt_hi_u32_b32 v27, -1, v25
	v_and_b32_e32 v2, 64, v27
	v_add_u32_e32 v28, 64, v2
	s_mov_b32 s15, 0xff7fffff
                                        ; implicit-def: $vgpr24
                                        ; implicit-def: $vgpr25
; %bb.7:
	s_or_saveexec_b64 s[38:39], s[8:9]
	s_load_dwordx4 s[20:23], s[0:1], 0x0
	s_load_dwordx2 s[26:27], s[0:1], 0x10
	s_load_dword s25, s[0:1], 0x98
	s_load_dwordx2 s[36:37], s[0:1], 0x28
	s_load_dwordx4 s[16:19], s[0:1], 0x68
	v_mov_b32_e32 v29, s15
	s_mul_i32 s43, s43, s14
	v_ashrrev_i32_e32 v19, 31, v18
	s_xor_b64 exec, exec, s[38:39]
	s_cbranch_execz .LBB236_13
; %bb.8:
	s_load_dwordx2 s[0:1], s[0:1], 0x20
	v_lshlrev_b32_e32 v14, 6, v24
	v_mbcnt_hi_u32_b32 v27, -1, v25
	s_ashr_i32 s8, s43, 31
	ds_read_b128 v[2:5], v14
	ds_read_b128 v[6:9], v14 offset:16
	ds_read_b128 v[10:13], v14 offset:32
	;; [unrolled: 1-line block ×3, first 2 shown]
	v_and_b32_e32 v28, 64, v27
	v_bfe_u32 v29, v0, 1, 5
	s_waitcnt lgkmcnt(0)
	s_add_u32 s0, s0, s43
	v_xor_b32_e32 v25, 1, v27
	v_add_u32_e32 v28, 64, v28
	s_load_dword s14, s[16:17], 0x0
	v_lshlrev_b32_e32 v20, 4, v29
	s_addc_u32 s1, s1, s8
	v_mov_b32_e32 v21, 0
	v_cmp_lt_i32_e32 vcc, v25, v28
	v_lshl_add_u64 v[22:23], s[0:1], 0, v[20:21]
	v_lshlrev_b32_e32 v20, 1, v24
	v_cndmask_b32_e32 v25, v27, v25, vcc
	v_cmp_eq_u32_e32 vcc, 0, v24
	s_sub_i32 s45, 1, s29
	v_lshlrev_b32_e32 v24, 5, v26
	s_lshl_b64 s[8:9], s[34:35], 2
	v_add3_u32 v31, s42, v24, v29
	v_lshlrev_b32_e32 v24, 2, v29
	s_add_u32 s8, s30, s8
	v_lshl_or_b32 v24, v26, 7, v24
	s_addc_u32 s9, s31, s9
	s_mov_b32 s44, s13
	v_lshlrev_b32_e32 v30, 2, v25
	v_cmp_neq_f32_e64 s[0:1], s10, 0
	s_waitcnt lgkmcnt(0)
	s_mov_b32 s15, s14
	v_add_u32_e32 v32, 0x90, v24
	v_lshl_add_u64 v[24:25], v[18:19], 2, s[8:9]
	s_mov_b64 s[16:17], 0
	v_mov_b32_e32 v29, 0xff7fffff
	v_mov_b32_e32 v33, v18
	s_branch .LBB236_10
.LBB236_9:                              ;   in Loop: Header=BB236_10 Depth=1
	s_or_b64 exec, exec, s[40:41]
	v_add_u32_e32 v33, 2, v33
	v_cmp_le_i32_e64 s[8:9], s33, v33
	v_add_u32_e32 v31, 64, v31
	v_add_u32_e32 v32, 0x100, v32
	s_or_b64 s[16:17], s[8:9], s[16:17]
	v_lshl_add_u64 v[24:25], v[24:25], 0, 8
	s_andn2_b64 exec, exec, s[16:17]
	s_cbranch_execz .LBB236_12
.LBB236_10:                             ; =>This Inner Loop Header: Depth=1
	global_load_dword v34, v[24:25], off
	s_waitcnt vmcnt(0) lgkmcnt(0)
	v_mad_i64_i32 v[34:35], s[8:9], v34, s44, v[22:23]
	v_lshl_add_u64 v[34:35], v[34:35], 0, v[20:21]
	global_load_ushort v36, v[34:35], off
	global_load_ushort v37, v[34:35], off offset:4
	global_load_ushort v38, v[34:35], off offset:8
	;; [unrolled: 1-line block ×7, first 2 shown]
	s_waitcnt vmcnt(7)
	v_cvt_pk_f32_fp8_e32 v[34:35], v36
	s_waitcnt vmcnt(6)
	v_cvt_pk_f32_fp8_e32 v[36:37], v37
	;; [unrolled: 2-line block ×5, first 2 shown]
	v_pk_mul_f32 v[36:37], s[14:15], v[36:37]
	s_waitcnt vmcnt(2)
	v_cvt_pk_f32_fp8_e32 v[44:45], v44
	v_pk_mul_f32 v[34:35], s[14:15], v[34:35]
	v_mul_f32_e32 v36, v4, v36
	v_mul_f32_e32 v37, v5, v37
	s_waitcnt vmcnt(1)
	v_cvt_pk_f32_fp8_e32 v[46:47], v46
	v_pk_mul_f32 v[38:39], s[14:15], v[38:39]
	v_fmac_f32_e32 v36, v2, v34
	v_fmac_f32_e32 v37, v3, v35
	s_waitcnt vmcnt(0)
	v_cvt_pk_f32_fp8_e32 v[48:49], v48
	v_pk_mul_f32 v[40:41], s[14:15], v[40:41]
	v_fmac_f32_e32 v36, v6, v38
	v_fmac_f32_e32 v37, v7, v39
	v_pk_mul_f32 v[42:43], s[14:15], v[42:43]
	v_fmac_f32_e32 v36, v8, v40
	v_fmac_f32_e32 v37, v9, v41
	;; [unrolled: 3-line block ×5, first 2 shown]
	v_fmac_f32_e32 v36, v16, v48
	v_fmac_f32_e32 v37, v17, v49
	v_add_f32_e32 v34, v36, v37
	ds_bpermute_b32 v35, v30, v34
	s_and_saveexec_b64 s[40:41], vcc
	s_cbranch_execz .LBB236_9
; %bb.11:                               ;   in Loop: Header=BB236_10 Depth=1
	v_add_u32_e32 v36, s45, v31
	v_cvt_f32_i32_e32 v36, v36
	s_waitcnt lgkmcnt(0)
	v_add_f32_e32 v34, v34, v35
	v_cmp_gt_i32_e64 s[8:9], s29, v31
	v_max_f32_e32 v35, v29, v29
	v_mul_f32_e32 v36, s10, v36
	v_cndmask_b32_e64 v36, 0, v36, s[0:1]
	v_fmac_f32_e32 v36, s11, v34
	v_cndmask_b32_e64 v34, 0, v36, s[8:9]
	ds_write_b32 v32, v34
	v_max_f32_e32 v34, v35, v36
	v_cndmask_b32_e64 v29, v29, v34, s[8:9]
	s_branch .LBB236_9
.LBB236_12:
	s_or_b64 exec, exec, s[16:17]
.LBB236_13:
	s_or_b64 exec, exec, s[38:39]
	v_xor_b32_e32 v2, 32, v27
	v_cmp_lt_i32_e32 vcc, v2, v28
	v_xor_b32_e32 v5, 16, v27
	v_max_f32_e32 v4, v29, v29
	v_cndmask_b32_e32 v2, v27, v2, vcc
	v_lshlrev_b32_e32 v2, 2, v2
	ds_bpermute_b32 v3, v2, v29
	v_cmp_lt_i32_e32 vcc, v5, v28
	v_xor_b32_e32 v6, 8, v27
	v_xor_b32_e32 v7, 4, v27
	v_and_b32_e32 v32, 63, v0
	s_waitcnt lgkmcnt(0)
	v_max_f32_e32 v3, v3, v3
	v_max_f32_e32 v4, v4, v3
	v_cndmask_b32_e32 v3, v27, v5, vcc
	v_lshlrev_b32_e32 v3, 2, v3
	ds_bpermute_b32 v5, v3, v4
	v_cmp_lt_i32_e32 vcc, v6, v28
	s_waitcnt lgkmcnt(0)
	v_max_f32_e32 v5, v5, v5
	v_max_f32_e32 v4, v4, v5
	v_cndmask_b32_e32 v5, v27, v6, vcc
	v_lshlrev_b32_e32 v5, 2, v5
	ds_bpermute_b32 v6, v5, v4
	v_cmp_lt_i32_e32 vcc, v7, v28
	s_waitcnt lgkmcnt(0)
	v_max_f32_e32 v6, v6, v6
	v_max_f32_e32 v4, v4, v6
	v_cndmask_b32_e32 v6, v27, v7, vcc
	v_lshlrev_b32_e32 v34, 2, v6
	ds_bpermute_b32 v6, v34, v4
	v_xor_b32_e32 v7, 2, v27
	v_cmp_lt_i32_e32 vcc, v7, v28
	s_waitcnt lgkmcnt(0)
	v_max_f32_e32 v6, v6, v6
	v_max_f32_e32 v4, v4, v6
	v_cndmask_b32_e32 v6, v27, v7, vcc
	v_lshlrev_b32_e32 v33, 2, v6
	ds_bpermute_b32 v7, v33, v4
	v_cmp_eq_u32_e32 vcc, 0, v32
	v_lshlrev_b32_e32 v6, 2, v26
	s_and_saveexec_b64 s[0:1], vcc
	s_cbranch_execz .LBB236_15
; %bb.14:
	s_waitcnt lgkmcnt(0)
	v_max_f32_e32 v7, v7, v7
	v_max_f32_e32 v4, v4, v4
	;; [unrolled: 1-line block ×3, first 2 shown]
	ds_write_b32 v6, v4 offset:128
.LBB236_15:
	s_or_b64 exec, exec, s[0:1]
	v_cmp_gt_u32_e64 s[0:1], 2, v32
	v_mov_b32_e32 v4, 0xff7fffff
	s_waitcnt lgkmcnt(0)
	v_lshlrev_b32_e32 v7, 2, v32
	s_barrier
	s_and_saveexec_b64 s[8:9], s[0:1]
	s_cbranch_execz .LBB236_17
; %bb.16:
	ds_read_b32 v4, v7 offset:128
.LBB236_17:
	s_or_b64 exec, exec, s[8:9]
	v_xor_b32_e32 v8, 1, v27
	v_cmp_lt_i32_e64 s[8:9], v8, v28
	s_sub_i32 s3, s33, s3
	s_lshl_b32 s3, s3, 5
	v_cndmask_b32_e64 v8, v27, v8, s[8:9]
	v_lshlrev_b32_e32 v35, 2, v8
	s_waitcnt lgkmcnt(0)
	ds_bpermute_b32 v8, v35, v4
	v_max_f32_e32 v4, v4, v4
	s_add_i32 s3, s3, s42
	s_min_i32 s38, s3, s29
	s_sub_i32 s3, s38, s42
	s_waitcnt lgkmcnt(0)
	v_max_f32_e32 v8, v8, v8
	v_max_f32_e32 v4, v4, v8
	v_lshlrev_b32_e32 v8, 2, v27
	v_and_b32_e32 v8, 0xffffff00, v8
	ds_bpermute_b32 v4, v8, v4
	v_cmp_gt_i32_e64 s[8:9], s3, v0
	v_mov_b32_e32 v9, 0
	s_and_saveexec_b64 s[14:15], s[8:9]
	s_cbranch_execz .LBB236_21
; %bb.18:
	v_mov_b32_e32 v9, 0x90
	v_lshl_add_u32 v10, v0, 2, v9
	s_mov_b64 s[16:17], 0
	v_mov_b32_e32 v9, 0
	v_mov_b32_e32 v11, v0
.LBB236_19:                             ; =>This Inner Loop Header: Depth=1
	ds_read_b32 v12, v10
	v_add_u32_e32 v11, 0x80, v11
	v_cmp_le_i32_e64 s[10:11], s3, v11
	s_or_b64 s[16:17], s[10:11], s[16:17]
	s_waitcnt lgkmcnt(0)
	v_sub_f32_e32 v12, v12, v4
	v_mul_f32_e32 v12, 0x3fb8aa3b, v12
	v_exp_f32_e32 v12, v12
	ds_write_b32 v10, v12
	v_add_f32_e32 v9, v9, v12
	v_add_u32_e32 v10, 0x200, v10
	s_andn2_b64 exec, exec, s[16:17]
	s_cbranch_execnz .LBB236_19
; %bb.20:
	s_or_b64 exec, exec, s[16:17]
.LBB236_21:
	s_or_b64 exec, exec, s[14:15]
	ds_bpermute_b32 v2, v2, v9
	s_waitcnt lgkmcnt(0)
	v_add_f32_e32 v2, v9, v2
	ds_bpermute_b32 v3, v3, v2
	s_waitcnt lgkmcnt(0)
	v_add_f32_e32 v2, v2, v3
	;; [unrolled: 3-line block ×6, first 2 shown]
	s_and_saveexec_b64 s[10:11], vcc
	s_cbranch_execz .LBB236_23
; %bb.22:
	ds_write_b32 v6, v2 offset:136
.LBB236_23:
	s_or_b64 exec, exec, s[10:11]
	s_waitcnt lgkmcnt(0)
	s_barrier
	s_and_saveexec_b64 s[10:11], s[0:1]
	s_cbranch_execz .LBB236_25
; %bb.24:
	ds_read_b32 v2, v7 offset:136
.LBB236_25:
	s_or_b64 exec, exec, s[10:11]
	s_waitcnt lgkmcnt(0)
	ds_bpermute_b32 v3, v35, v2
	s_waitcnt lgkmcnt(0)
	v_add_f32_e32 v2, v2, v3
	ds_bpermute_b32 v5, v8, v2
	s_and_saveexec_b64 s[0:1], s[8:9]
	s_cbranch_execz .LBB236_38
; %bb.26:
	s_waitcnt lgkmcnt(0)
	v_add_f32_e32 v2, 0x358637bd, v5
	v_div_scale_f32 v3, s[8:9], v2, v2, 1.0
	v_rcp_f32_e32 v6, v3
	v_div_scale_f32 v7, vcc, 1.0, v2, 1.0
	s_movk_i32 s8, 0x7f
	v_fma_f32 v8, -v3, v6, 1.0
	v_fmac_f32_e32 v6, v8, v6
	v_mul_f32_e32 v8, v7, v6
	v_fma_f32 v9, -v3, v8, v7
	v_fmac_f32_e32 v8, v9, v6
	v_fma_f32 v3, -v3, v8, v7
	v_div_fmas_f32 v3, v3, v6, v8
	v_div_fixup_f32 v2, v3, v2, 1.0
	v_xad_u32 v3, v0, -1, s38
	v_subrev_u32_e32 v6, s42, v3
	v_cmp_lt_u32_e32 vcc, s8, v6
	s_mov_b64 s[10:11], -1
	v_mov_b32_e32 v3, v0
	s_and_saveexec_b64 s[8:9], vcc
	s_cbranch_execz .LBB236_35
; %bb.27:
	v_lshrrev_b32_e32 v6, 7, v6
	v_add_u32_e32 v8, -1, v6
	v_lshrrev_b32_e32 v7, 1, v8
	v_mov_b32_e32 v3, v2
	v_add_u32_e32 v7, 1, v7
	v_cmp_lt_u32_e32 vcc, 13, v8
	v_mov_b32_e32 v10, 0
	s_and_saveexec_b64 s[10:11], vcc
	s_cbranch_execz .LBB236_31
; %bb.28:
	v_mov_b32_e32 v9, 0x90
	v_and_b32_e32 v8, -8, v7
	v_lshl_add_u32 v9, v0, 2, v9
	s_mov_b32 s16, 0
	s_mov_b64 s[14:15], 0
.LBB236_29:                             ; =>This Inner Loop Header: Depth=1
	ds_read2st64_b32 v[10:11], v9 offset1:2
	ds_read2st64_b32 v[12:13], v9 offset0:4 offset1:6
	ds_read2st64_b32 v[14:15], v9 offset0:8 offset1:10
	ds_read2st64_b32 v[16:17], v9 offset0:12 offset1:14
	v_add_u32_e32 v8, -8, v8
	s_waitcnt lgkmcnt(3)
	v_pk_mul_f32 v[10:11], v[2:3], v[10:11]
	s_waitcnt lgkmcnt(2)
	v_pk_mul_f32 v[12:13], v[2:3], v[12:13]
	ds_write2st64_b32 v9, v10, v11 offset1:2
	ds_write2st64_b32 v9, v12, v13 offset0:4 offset1:6
	ds_read2st64_b32 v[12:13], v9 offset0:16 offset1:18
	s_waitcnt lgkmcnt(4)
	v_pk_mul_f32 v[10:11], v[2:3], v[14:15]
	ds_write2st64_b32 v9, v10, v11 offset0:8 offset1:10
	s_waitcnt lgkmcnt(4)
	v_pk_mul_f32 v[10:11], v[2:3], v[16:17]
	ds_write2st64_b32 v9, v10, v11 offset0:12 offset1:14
	ds_read2st64_b32 v[10:11], v9 offset0:20 offset1:22
	s_waitcnt lgkmcnt(3)
	v_pk_mul_f32 v[12:13], v[2:3], v[12:13]
	ds_read2st64_b32 v[14:15], v9 offset0:24 offset1:26
	ds_write2st64_b32 v9, v12, v13 offset0:16 offset1:18
	ds_read2st64_b32 v[12:13], v9 offset0:28 offset1:30
	s_waitcnt lgkmcnt(3)
	v_pk_mul_f32 v[10:11], v[2:3], v[10:11]
	ds_write2st64_b32 v9, v10, v11 offset0:20 offset1:22
	s_waitcnt lgkmcnt(3)
	v_pk_mul_f32 v[10:11], v[2:3], v[14:15]
	ds_write2st64_b32 v9, v10, v11 offset0:24 offset1:26
	s_waitcnt lgkmcnt(2)
	v_pk_mul_f32 v[10:11], v[2:3], v[12:13]
	s_add_i32 s16, s16, 16
	v_cmp_eq_u32_e32 vcc, 0, v8
	ds_write2st64_b32 v9, v10, v11 offset0:28 offset1:30
	v_add_u32_e32 v9, 0x2000, v9
	s_or_b64 s[14:15], vcc, s[14:15]
	v_mov_b32_e32 v10, s16
	s_andn2_b64 exec, exec, s[14:15]
	s_cbranch_execnz .LBB236_29
; %bb.30:
	s_or_b64 exec, exec, s[14:15]
.LBB236_31:
	s_or_b64 exec, exec, s[10:11]
	v_and_b32_e32 v7, 7, v7
	v_cmp_ne_u32_e32 vcc, 0, v7
	s_and_saveexec_b64 s[10:11], vcc
	s_cbranch_execz .LBB236_34
; %bb.32:
	v_lshlrev_b32_e32 v8, 9, v10
	s_movk_i32 s14, 0x90
	v_add3_u32 v8, v8, v1, s14
	s_mov_b64 s[14:15], 0
.LBB236_33:                             ; =>This Inner Loop Header: Depth=1
	ds_read2st64_b32 v[10:11], v8 offset1:2
	v_add_u32_e32 v7, -1, v7
	v_cmp_eq_u32_e32 vcc, 0, v7
	s_or_b64 s[14:15], vcc, s[14:15]
	s_waitcnt lgkmcnt(0)
	v_pk_mul_f32 v[10:11], v[2:3], v[10:11]
	ds_write2st64_b32 v8, v10, v11 offset1:2
	v_add_u32_e32 v8, 0x400, v8
	s_andn2_b64 exec, exec, s[14:15]
	s_cbranch_execnz .LBB236_33
.LBB236_34:
	s_or_b64 exec, exec, s[10:11]
	v_add_u32_e32 v6, 1, v6
	v_and_b32_e32 v7, 0x3fffffe, v6
	v_cmp_ne_u32_e32 vcc, v6, v7
	v_lshl_add_u32 v3, v7, 7, v0
	s_orn2_b64 s[10:11], vcc, exec
.LBB236_35:
	s_or_b64 exec, exec, s[8:9]
	s_and_b64 exec, exec, s[10:11]
	s_cbranch_execz .LBB236_38
; %bb.36:
	v_mov_b32_e32 v6, 0x90
	v_lshl_add_u32 v6, v3, 2, v6
	s_mov_b64 s[8:9], 0
.LBB236_37:                             ; =>This Inner Loop Header: Depth=1
	ds_read_b32 v7, v6
	v_add_u32_e32 v3, 0x80, v3
	v_cmp_le_i32_e32 vcc, s3, v3
	s_or_b64 s[8:9], vcc, s[8:9]
	s_waitcnt lgkmcnt(0)
	v_mul_f32_e32 v7, v2, v7
	ds_write_b32 v6, v7
	v_add_u32_e32 v6, 0x200, v6
	s_andn2_b64 exec, exec, s[8:9]
	s_cbranch_execnz .LBB236_37
.LBB236_38:
	s_or_b64 exec, exec, s[0:1]
	s_mul_i32 s0, s25, s28
	v_cmp_eq_u32_e32 vcc, 0, v0
	s_mul_i32 s8, s0, s5
	s_waitcnt lgkmcnt(0)
	s_barrier
	s_and_saveexec_b64 s[0:1], vcc
	s_cbranch_execz .LBB236_40
; %bb.39:
	s_ashr_i32 s9, s8, 31
	s_lshl_b64 s[10:11], s[8:9], 2
	s_add_u32 s5, s22, s10
	s_mul_i32 s2, s25, s2
	s_addc_u32 s9, s23, s11
	s_ashr_i32 s3, s2, 31
	s_lshl_b64 s[2:3], s[2:3], 2
	s_add_u32 s16, s5, s2
	s_addc_u32 s9, s9, s3
	s_ashr_i32 s5, s4, 31
	s_lshl_b64 s[14:15], s[4:5], 2
	s_add_u32 s16, s16, s14
	s_addc_u32 s17, s9, s15
	s_add_u32 s5, s20, s10
	s_addc_u32 s9, s21, s11
	;; [unrolled: 2-line block ×3, first 2 shown]
	s_add_u32 s2, s2, s14
	v_mov_b32_e32 v2, 0
	s_addc_u32 s3, s3, s15
	global_store_dword v2, v4, s[16:17]
	global_store_dword v2, v5, s[2:3]
.LBB236_40:
	s_or_b64 exec, exec, s[0:1]
	v_mov_b32_e32 v9, 0
	v_and_b32_e32 v36, 7, v0
	v_mov_b32_e32 v8, 0
	v_mov_b32_e32 v7, 0
	;; [unrolled: 1-line block ×3, first 2 shown]
	s_and_saveexec_b64 s[2:3], s[6:7]
	s_cbranch_execz .LBB236_52
; %bb.41:
	s_ashr_i32 s1, s43, 31
	s_load_dword s6, s[18:19], 0x0
	s_add_u32 s0, s36, s43
	s_addc_u32 s1, s37, s1
	v_and_b32_e32 v6, 0xfc, v1
	v_mov_b32_e32 v7, 0
	v_and_b32_e32 v2, 28, v1
	s_add_i32 s9, s12, -1
	v_lshl_add_u64 v[10:11], s[0:1], 0, v[6:7]
	v_lshl_add_u32 v1, v26, 5, s42
	s_lshl_b64 s[0:1], s[34:35], 2
	v_add3_u32 v1, v1, v2, 3
	v_lshlrev_b32_e32 v2, 4, v36
	s_add_u32 s0, s30, s0
	v_lshl_or_b32 v2, v26, 7, v2
	s_addc_u32 s1, s31, s1
	s_mov_b32 s5, s13
	s_waitcnt lgkmcnt(0)
	s_mov_b32 s7, s6
	v_add_u32_e32 v37, 0x90, v2
	v_lshl_add_u64 v[12:13], v[18:19], 2, s[0:1]
	s_mov_b64 s[10:11], 0
	v_mov_b32_e32 v6, v7
	v_mov_b32_e32 v8, v7
	;; [unrolled: 1-line block ×3, first 2 shown]
	s_branch .LBB236_43
.LBB236_42:                             ;   in Loop: Header=BB236_43 Depth=1
	s_or_b64 exec, exec, s[0:1]
	s_waitcnt lgkmcnt(0)
	v_mul_f32_e32 v17, v3, v17
	v_fmac_f32_e32 v17, v2, v16
	v_fmac_f32_e32 v17, v4, v14
	v_mul_f32_e32 v14, v3, v25
	v_fmac_f32_e32 v14, v2, v24
	v_fmac_f32_e32 v14, v4, v22
	;; [unrolled: 1-line block ×3, first 2 shown]
	v_add_f32_e32 v7, v7, v14
	v_mul_f32_e32 v14, v3, v29
	v_mul_f32_e32 v3, v3, v31
	v_fmac_f32_e32 v14, v2, v28
	v_fmac_f32_e32 v3, v2, v30
	;; [unrolled: 1-line block ×4, first 2 shown]
	v_add_u32_e32 v18, 2, v18
	v_fmac_f32_e32 v17, v5, v15
	v_fmac_f32_e32 v14, v5, v27
	;; [unrolled: 1-line block ×3, first 2 shown]
	v_cmp_le_i32_e32 vcc, s33, v18
	v_add_f32_e32 v6, v6, v17
	v_add_f32_e32 v8, v8, v14
	;; [unrolled: 1-line block ×3, first 2 shown]
	v_add_u32_e32 v1, 64, v1
	v_add_u32_e32 v37, 0x100, v37
	s_or_b64 s[10:11], vcc, s[10:11]
	v_lshl_add_u64 v[12:13], v[12:13], 0, 8
	s_andn2_b64 exec, exec, s[10:11]
	s_cbranch_execz .LBB236_51
.LBB236_43:                             ; =>This Inner Loop Header: Depth=1
	global_load_dword v2, v[12:13], off
	v_add_u32_e32 v19, -3, v1
	v_cmp_eq_u32_e32 vcc, s9, v18
	v_add_u32_e32 v38, -2, v1
	v_add_u32_e32 v39, -1, v1
	s_waitcnt vmcnt(0)
	v_mad_i64_i32 v[20:21], s[0:1], v2, s5, v[10:11]
	global_load_dword v14, v[20:21], off
	ds_read_b128 v[2:5], v37
	s_waitcnt vmcnt(0)
	v_and_b32_e32 v15, 0xffff, v14
	v_lshrrev_b32_e32 v16, 16, v14
	v_cvt_pk_f32_fp8_e32 v[14:15], v15
	v_cvt_pk_f32_fp8_e32 v[22:23], v16
	v_pk_mul_f32 v[16:17], s[6:7], v[14:15]
	v_pk_mul_f32 v[14:15], s[6:7], v[22:23]
	s_and_saveexec_b64 s[12:13], vcc
; %bb.44:                               ;   in Loop: Header=BB236_43 Depth=1
	v_cmp_gt_i32_e64 s[0:1], s29, v19
	s_nop 1
	v_cndmask_b32_e64 v16, 0, v16, s[0:1]
	v_cmp_gt_i32_e64 s[0:1], s29, v38
	s_nop 1
	v_cndmask_b32_e64 v17, 0, v17, s[0:1]
	v_cmp_gt_i32_e64 s[0:1], s29, v39
	s_nop 1
	v_cndmask_b32_e64 v14, 0, v14, s[0:1]
	v_cmp_gt_i32_e64 s[0:1], s29, v1
	s_nop 1
	v_cndmask_b32_e64 v15, 0, v15, s[0:1]
; %bb.45:                               ;   in Loop: Header=BB236_43 Depth=1
	s_or_b64 exec, exec, s[12:13]
	global_load_dword v22, v[20:21], off offset:256
	s_waitcnt vmcnt(0)
	v_and_b32_e32 v23, 0xffff, v22
	v_lshrrev_b32_e32 v24, 16, v22
	v_cvt_pk_f32_fp8_e32 v[22:23], v23
	v_cvt_pk_f32_fp8_e32 v[26:27], v24
	v_pk_mul_f32 v[24:25], s[6:7], v[22:23]
	v_pk_mul_f32 v[22:23], s[6:7], v[26:27]
	s_and_saveexec_b64 s[12:13], vcc
; %bb.46:                               ;   in Loop: Header=BB236_43 Depth=1
	v_cmp_gt_i32_e64 s[0:1], s29, v19
	s_nop 1
	v_cndmask_b32_e64 v24, 0, v24, s[0:1]
	v_cmp_gt_i32_e64 s[0:1], s29, v38
	s_nop 1
	v_cndmask_b32_e64 v25, 0, v25, s[0:1]
	v_cmp_gt_i32_e64 s[0:1], s29, v39
	s_nop 1
	v_cndmask_b32_e64 v22, 0, v22, s[0:1]
	v_cmp_gt_i32_e64 s[0:1], s29, v1
	s_nop 1
	v_cndmask_b32_e64 v23, 0, v23, s[0:1]
; %bb.47:                               ;   in Loop: Header=BB236_43 Depth=1
	s_or_b64 exec, exec, s[12:13]
	global_load_dword v26, v[20:21], off offset:512
	s_waitcnt vmcnt(0)
	v_and_b32_e32 v27, 0xffff, v26
	v_lshrrev_b32_e32 v28, 16, v26
	v_cvt_pk_f32_fp8_e32 v[26:27], v27
	v_cvt_pk_f32_fp8_e32 v[30:31], v28
	v_pk_mul_f32 v[28:29], s[6:7], v[26:27]
	v_pk_mul_f32 v[26:27], s[6:7], v[30:31]
	s_and_saveexec_b64 s[12:13], vcc
; %bb.48:                               ;   in Loop: Header=BB236_43 Depth=1
	v_cmp_gt_i32_e64 s[0:1], s29, v19
	s_nop 1
	v_cndmask_b32_e64 v28, 0, v28, s[0:1]
	v_cmp_gt_i32_e64 s[0:1], s29, v38
	s_nop 1
	v_cndmask_b32_e64 v29, 0, v29, s[0:1]
	v_cmp_gt_i32_e64 s[0:1], s29, v39
	s_nop 1
	v_cndmask_b32_e64 v26, 0, v26, s[0:1]
	v_cmp_gt_i32_e64 s[0:1], s29, v1
	s_nop 1
	v_cndmask_b32_e64 v27, 0, v27, s[0:1]
; %bb.49:                               ;   in Loop: Header=BB236_43 Depth=1
	s_or_b64 exec, exec, s[12:13]
	global_load_dword v20, v[20:21], off offset:768
	s_waitcnt vmcnt(0)
	v_and_b32_e32 v21, 0xffff, v20
	v_lshrrev_b32_e32 v30, 16, v20
	v_cvt_pk_f32_fp8_e32 v[20:21], v21
	v_cvt_pk_f32_fp8_e32 v[40:41], v30
	v_pk_mul_f32 v[30:31], s[6:7], v[20:21]
	v_pk_mul_f32 v[20:21], s[6:7], v[40:41]
	s_and_saveexec_b64 s[0:1], vcc
	s_cbranch_execz .LBB236_42
; %bb.50:                               ;   in Loop: Header=BB236_43 Depth=1
	v_cmp_gt_i32_e32 vcc, s29, v19
	s_nop 1
	v_cndmask_b32_e32 v30, 0, v30, vcc
	v_cmp_gt_i32_e32 vcc, s29, v38
	s_nop 1
	v_cndmask_b32_e32 v31, 0, v31, vcc
	;; [unrolled: 3-line block ×4, first 2 shown]
	s_branch .LBB236_42
.LBB236_51:
	s_or_b64 exec, exec, s[10:11]
.LBB236_52:
	s_or_b64 exec, exec, s[2:3]
	ds_bpermute_b32 v2, v34, v6
	ds_bpermute_b32 v3, v34, v7
	;; [unrolled: 1-line block ×4, first 2 shown]
	v_and_b32_e32 v1, 0x3c7, v0
	v_cmp_eq_u32_e32 vcc, 64, v1
	s_waitcnt lgkmcnt(2)
	v_pk_add_f32 v[2:3], v[6:7], v[2:3]
	ds_bpermute_b32 v6, v33, v2
	s_waitcnt lgkmcnt(1)
	v_pk_add_f32 v[4:5], v[8:9], v[4:5]
	ds_bpermute_b32 v7, v33, v3
	ds_bpermute_b32 v8, v33, v4
	;; [unrolled: 1-line block ×3, first 2 shown]
	s_waitcnt lgkmcnt(0)
	s_barrier
	v_pk_add_f32 v[2:3], v[2:3], v[6:7]
	ds_bpermute_b32 v6, v35, v2
	v_pk_add_f32 v[4:5], v[4:5], v[8:9]
	ds_bpermute_b32 v7, v35, v3
	ds_bpermute_b32 v8, v35, v4
	;; [unrolled: 1-line block ×3, first 2 shown]
	s_waitcnt lgkmcnt(0)
	v_pk_add_f32 v[2:3], v[2:3], v[6:7]
	v_pk_add_f32 v[4:5], v[4:5], v[8:9]
	s_and_saveexec_b64 s[0:1], vcc
	s_cbranch_execz .LBB236_54
; %bb.53:
	v_lshrrev_b32_e32 v6, 1, v32
	v_add_u32_e32 v6, 0x90, v6
	ds_write2_b32 v6, v2, v3 offset1:8
	ds_write2_b32 v6, v4, v5 offset0:16 offset1:24
.LBB236_54:
	s_or_b64 exec, exec, s[0:1]
	v_cmp_gt_u32_e32 vcc, 64, v0
	s_waitcnt lgkmcnt(0)
	s_barrier
	s_and_saveexec_b64 s[0:1], vcc
	s_cbranch_execz .LBB236_61
; %bb.55:
	v_cmp_eq_u32_e32 vcc, 0, v36
	v_lshrrev_b32_e32 v6, 3, v0
	s_and_saveexec_b64 s[2:3], vcc
	s_cbranch_execnz .LBB236_64
; %bb.56:
	s_or_b64 exec, exec, s[2:3]
	s_and_saveexec_b64 s[2:3], vcc
	s_cbranch_execnz .LBB236_65
.LBB236_57:
	s_or_b64 exec, exec, s[2:3]
	s_and_saveexec_b64 s[2:3], vcc
	s_cbranch_execnz .LBB236_66
.LBB236_58:
	s_or_b64 exec, exec, s[2:3]
	s_and_saveexec_b64 s[2:3], vcc
	s_cbranch_execz .LBB236_60
.LBB236_59:
	v_mov_b32_e32 v7, 0x90
	v_lshl_add_u32 v6, v6, 2, v7
	ds_read_b32 v6, v6 offset:96
	s_waitcnt lgkmcnt(0)
	v_add_f32_e32 v5, v5, v6
.LBB236_60:
	s_or_b64 exec, exec, s[2:3]
.LBB236_61:
	s_or_b64 exec, exec, s[0:1]
	v_cmp_eq_u32_e32 vcc, 0, v1
	s_barrier
	s_and_saveexec_b64 s[0:1], vcc
	s_cbranch_execz .LBB236_63
; %bb.62:
	s_lshl_b32 s0, s8, 5
	s_ashr_i32 s1, s0, 31
	s_lshl_b64 s[0:1], s[0:1], 2
	s_add_u32 s2, s26, s0
	s_mul_i32 s0, s25, s24
	s_addc_u32 s3, s27, s1
	s_ashr_i32 s1, s0, 31
	s_lshl_b64 s[0:1], s[0:1], 2
	s_add_u32 s2, s2, s0
	s_addc_u32 s3, s3, s1
	s_lshl_b32 s0, s4, 5
	s_ashr_i32 s1, s0, 31
	s_lshl_b64 s[0:1], s[0:1], 2
	s_add_u32 s0, s2, s0
	s_addc_u32 s1, s3, s1
	v_lshrrev_b32_e32 v0, 1, v0
	global_store_dword v0, v2, s[0:1]
	global_store_dword v0, v3, s[0:1] offset:32
	global_store_dword v0, v4, s[0:1] offset:64
	;; [unrolled: 1-line block ×3, first 2 shown]
.LBB236_63:
	s_endpgm
.LBB236_64:
	v_mov_b32_e32 v7, 0x90
	v_lshl_add_u32 v7, v6, 2, v7
	ds_read_b32 v7, v7
	s_waitcnt lgkmcnt(0)
	v_add_f32_e32 v2, v2, v7
	s_or_b64 exec, exec, s[2:3]
	s_and_saveexec_b64 s[2:3], vcc
	s_cbranch_execz .LBB236_57
.LBB236_65:
	v_mov_b32_e32 v7, 0x90
	v_lshl_add_u32 v7, v6, 2, v7
	ds_read_b32 v7, v7 offset:32
	s_waitcnt lgkmcnt(0)
	v_add_f32_e32 v3, v3, v7
	s_or_b64 exec, exec, s[2:3]
	s_and_saveexec_b64 s[2:3], vcc
	s_cbranch_execz .LBB236_58
.LBB236_66:
	v_mov_b32_e32 v7, 0x90
	v_lshl_add_u32 v7, v6, 2, v7
	ds_read_b32 v7, v7 offset:64
	s_waitcnt lgkmcnt(0)
	v_add_f32_e32 v4, v4, v7
	s_or_b64 exec, exec, s[2:3]
	s_and_saveexec_b64 s[2:3], vcc
	s_cbranch_execnz .LBB236_59
	s_branch .LBB236_60
	.section	.rodata,"a",@progbits
	.p2align	6, 0x0
	.amdhsa_kernel _ZN4vllm25paged_attention_v2_kernelIfhLi32ELi32ELi128ELNS_18Fp8KVCacheDataTypeE1ELb0ELi512EEEvPfS2_PT_PKS3_PKT0_S9_ifPKiSB_iPKfiiiSD_SD_iiiii
		.amdhsa_group_segment_fixed_size 144
		.amdhsa_private_segment_fixed_size 0
		.amdhsa_kernarg_size 400
		.amdhsa_user_sgpr_count 2
		.amdhsa_user_sgpr_dispatch_ptr 0
		.amdhsa_user_sgpr_queue_ptr 0
		.amdhsa_user_sgpr_kernarg_segment_ptr 1
		.amdhsa_user_sgpr_dispatch_id 0
		.amdhsa_user_sgpr_kernarg_preload_length 0
		.amdhsa_user_sgpr_kernarg_preload_offset 0
		.amdhsa_user_sgpr_private_segment_size 0
		.amdhsa_uses_dynamic_stack 0
		.amdhsa_enable_private_segment 0
		.amdhsa_system_sgpr_workgroup_id_x 1
		.amdhsa_system_sgpr_workgroup_id_y 1
		.amdhsa_system_sgpr_workgroup_id_z 1
		.amdhsa_system_sgpr_workgroup_info 0
		.amdhsa_system_vgpr_workitem_id 0
		.amdhsa_next_free_vgpr 50
		.amdhsa_next_free_sgpr 46
		.amdhsa_accum_offset 52
		.amdhsa_reserve_vcc 1
		.amdhsa_float_round_mode_32 0
		.amdhsa_float_round_mode_16_64 0
		.amdhsa_float_denorm_mode_32 3
		.amdhsa_float_denorm_mode_16_64 3
		.amdhsa_dx10_clamp 1
		.amdhsa_ieee_mode 1
		.amdhsa_fp16_overflow 0
		.amdhsa_tg_split 0
		.amdhsa_exception_fp_ieee_invalid_op 0
		.amdhsa_exception_fp_denorm_src 0
		.amdhsa_exception_fp_ieee_div_zero 0
		.amdhsa_exception_fp_ieee_overflow 0
		.amdhsa_exception_fp_ieee_underflow 0
		.amdhsa_exception_fp_ieee_inexact 0
		.amdhsa_exception_int_div_zero 0
	.end_amdhsa_kernel
	.section	.text._ZN4vllm25paged_attention_v2_kernelIfhLi32ELi32ELi128ELNS_18Fp8KVCacheDataTypeE1ELb0ELi512EEEvPfS2_PT_PKS3_PKT0_S9_ifPKiSB_iPKfiiiSD_SD_iiiii,"axG",@progbits,_ZN4vllm25paged_attention_v2_kernelIfhLi32ELi32ELi128ELNS_18Fp8KVCacheDataTypeE1ELb0ELi512EEEvPfS2_PT_PKS3_PKT0_S9_ifPKiSB_iPKfiiiSD_SD_iiiii,comdat
.Lfunc_end236:
	.size	_ZN4vllm25paged_attention_v2_kernelIfhLi32ELi32ELi128ELNS_18Fp8KVCacheDataTypeE1ELb0ELi512EEEvPfS2_PT_PKS3_PKT0_S9_ifPKiSB_iPKfiiiSD_SD_iiiii, .Lfunc_end236-_ZN4vllm25paged_attention_v2_kernelIfhLi32ELi32ELi128ELNS_18Fp8KVCacheDataTypeE1ELb0ELi512EEEvPfS2_PT_PKS3_PKT0_S9_ifPKiSB_iPKfiiiSD_SD_iiiii
                                        ; -- End function
	.section	.AMDGPU.csdata,"",@progbits
; Kernel info:
; codeLenInByte = 4248
; NumSgprs: 52
; NumVgprs: 50
; NumAgprs: 0
; TotalNumVgprs: 50
; ScratchSize: 0
; MemoryBound: 0
; FloatMode: 240
; IeeeMode: 1
; LDSByteSize: 144 bytes/workgroup (compile time only)
; SGPRBlocks: 6
; VGPRBlocks: 6
; NumSGPRsForWavesPerEU: 52
; NumVGPRsForWavesPerEU: 50
; AccumOffset: 52
; Occupancy: 8
; WaveLimiterHint : 1
; COMPUTE_PGM_RSRC2:SCRATCH_EN: 0
; COMPUTE_PGM_RSRC2:USER_SGPR: 2
; COMPUTE_PGM_RSRC2:TRAP_HANDLER: 0
; COMPUTE_PGM_RSRC2:TGID_X_EN: 1
; COMPUTE_PGM_RSRC2:TGID_Y_EN: 1
; COMPUTE_PGM_RSRC2:TGID_Z_EN: 1
; COMPUTE_PGM_RSRC2:TIDIG_COMP_CNT: 0
; COMPUTE_PGM_RSRC3_GFX90A:ACCUM_OFFSET: 12
; COMPUTE_PGM_RSRC3_GFX90A:TG_SPLIT: 0
	.section	.text._ZN4vllm25paged_attention_v2_kernelIfhLi64ELi32ELi128ELNS_18Fp8KVCacheDataTypeE1ELb0ELi512EEEvPfS2_PT_PKS3_PKT0_S9_ifPKiSB_iPKfiiiSD_SD_iiiii,"axG",@progbits,_ZN4vllm25paged_attention_v2_kernelIfhLi64ELi32ELi128ELNS_18Fp8KVCacheDataTypeE1ELb0ELi512EEEvPfS2_PT_PKS3_PKT0_S9_ifPKiSB_iPKfiiiSD_SD_iiiii,comdat
	.protected	_ZN4vllm25paged_attention_v2_kernelIfhLi64ELi32ELi128ELNS_18Fp8KVCacheDataTypeE1ELb0ELi512EEEvPfS2_PT_PKS3_PKT0_S9_ifPKiSB_iPKfiiiSD_SD_iiiii ; -- Begin function _ZN4vllm25paged_attention_v2_kernelIfhLi64ELi32ELi128ELNS_18Fp8KVCacheDataTypeE1ELb0ELi512EEEvPfS2_PT_PKS3_PKT0_S9_ifPKiSB_iPKfiiiSD_SD_iiiii
	.globl	_ZN4vllm25paged_attention_v2_kernelIfhLi64ELi32ELi128ELNS_18Fp8KVCacheDataTypeE1ELb0ELi512EEEvPfS2_PT_PKS3_PKT0_S9_ifPKiSB_iPKfiiiSD_SD_iiiii
	.p2align	8
	.type	_ZN4vllm25paged_attention_v2_kernelIfhLi64ELi32ELi128ELNS_18Fp8KVCacheDataTypeE1ELb0ELi512EEEvPfS2_PT_PKS3_PKT0_S9_ifPKiSB_iPKfiiiSD_SD_iiiii,@function
_ZN4vllm25paged_attention_v2_kernelIfhLi64ELi32ELi128ELNS_18Fp8KVCacheDataTypeE1ELb0ELi512EEEvPfS2_PT_PKS3_PKT0_S9_ifPKiSB_iPKfiiiSD_SD_iiiii: ; @_ZN4vllm25paged_attention_v2_kernelIfhLi64ELi32ELi128ELNS_18Fp8KVCacheDataTypeE1ELb0ELi512EEEvPfS2_PT_PKS3_PKT0_S9_ifPKiSB_iPKfiiiSD_SD_iiiii
; %bb.0:
	s_load_dwordx2 s[6:7], s[0:1], 0x40
	s_mov_b32 s28, s3
	s_ashr_i32 s29, s3, 31
	s_lshl_b64 s[8:9], s[28:29], 2
	s_waitcnt lgkmcnt(0)
	s_add_u32 s6, s6, s8
	s_addc_u32 s7, s7, s9
	s_load_dword s29, s[6:7], 0x0
	s_lshl_b32 s42, s4, 9
	s_waitcnt lgkmcnt(0)
	s_cmp_ge_i32 s42, s29
	s_cbranch_scc1 .LBB237_75
; %bb.1:
	s_load_dword s5, s[0:1], 0x90
	s_load_dwordx2 s[10:11], s[0:1], 0x30
	s_waitcnt lgkmcnt(0)
	s_abs_i32 s7, s5
	s_abs_i32 s3, s10
	v_cvt_f32_u32_e32 v1, s3
	s_sub_i32 s8, 0, s3
	s_xor_b32 s6, s5, s10
	s_ashr_i32 s6, s6, 31
	v_rcp_iflag_f32_e32 v1, v1
	s_nop 0
	v_mul_f32_e32 v1, 0x4f7ffffe, v1
	v_cvt_u32_f32_e32 v1, v1
	s_nop 0
	v_readfirstlane_b32 s9, v1
	s_mul_i32 s8, s8, s9
	s_mul_hi_u32 s8, s9, s8
	s_add_i32 s9, s9, s8
	s_mul_hi_u32 s8, s7, s9
	s_mul_i32 s9, s8, s3
	s_sub_i32 s7, s7, s9
	s_add_i32 s10, s8, 1
	s_sub_i32 s9, s7, s3
	s_cmp_ge_u32 s7, s3
	s_cselect_b32 s8, s10, s8
	s_cselect_b32 s7, s9, s7
	s_add_i32 s9, s8, 1
	s_cmp_ge_u32 s7, s3
	s_cselect_b32 s3, s9, s8
	s_xor_b32 s3, s3, s6
	s_sub_i32 s12, s3, s6
	s_abs_i32 s8, s12
	v_cvt_f32_u32_e32 v1, s8
	s_load_dwordx2 s[6:7], s[0:1], 0x50
	s_sub_i32 s3, 0, s8
	s_abs_i32 s9, s2
	v_rcp_iflag_f32_e32 v1, v1
	s_mov_b32 s10, 0
	v_mul_f32_e32 v1, 0x4f7ffffe, v1
	v_cvt_u32_f32_e32 v1, v1
	s_nop 0
	v_readfirstlane_b32 s13, v1
	s_mul_i32 s3, s3, s13
	s_mul_hi_u32 s3, s13, s3
	s_add_i32 s13, s13, s3
	s_waitcnt lgkmcnt(0)
	s_cmp_eq_u64 s[6:7], 0
	s_mul_hi_u32 s16, s9, s13
	s_cbranch_scc1 .LBB237_3
; %bb.2:
	s_ashr_i32 s3, s2, 31
	s_lshl_b64 s[14:15], s[2:3], 2
	s_add_u32 s6, s6, s14
	s_addc_u32 s7, s7, s15
	s_load_dword s10, s[6:7], 0x0
.LBB237_3:
	s_ashr_i32 s18, s12, 31
	s_load_dwordx4 s[12:15], s[0:1], 0x58
	s_ashr_i32 s17, s2, 31
	v_and_b32_e32 v40, 1, v0
	s_lshl_b32 s24, s2, 6
	v_cmp_gt_u32_e32 vcc, 32, v0
	v_lshlrev_b32_e32 v42, 2, v0
	s_and_saveexec_b64 s[6:7], vcc
	s_cbranch_execz .LBB237_5
; %bb.4:
	s_load_dwordx2 s[20:21], s[0:1], 0x18
	s_waitcnt lgkmcnt(0)
	s_mul_i32 s22, s28, s12
	s_ashr_i32 s23, s22, 31
	s_lshl_b64 s[22:23], s[22:23], 2
	v_lshlrev_b32_e32 v1, 3, v0
	s_add_u32 s3, s20, s22
	s_addc_u32 s12, s21, s23
	s_ashr_i32 s25, s24, 31
	s_lshl_b64 s[20:21], s[24:25], 2
	s_add_u32 s20, s3, s20
	s_addc_u32 s21, s12, s21
	global_load_dwordx2 v[2:3], v1, s[20:21]
	v_and_b32_e32 v1, 0xff8, v42
	v_lshl_add_u32 v1, v40, 7, v1
	s_waitcnt vmcnt(0)
	ds_write_b64 v1, v[2:3]
.LBB237_5:
	s_or_b64 exec, exec, s[6:7]
	s_add_i32 s3, s29, 31
	s_ashr_i32 s6, s3, 31
	s_lshr_b32 s6, s6, 27
	s_add_i32 s3, s3, s6
	s_waitcnt lgkmcnt(0)
	s_ashr_i32 s12, s3, 5
	s_lshl_b32 s3, s4, 4
	s_mul_i32 s7, s16, s8
	s_add_i32 s6, s3, 16
	s_sub_i32 s7, s9, s7
	s_min_i32 s33, s6, s12
	s_xor_b32 s6, s17, s18
	s_add_i32 s9, s16, 1
	s_sub_i32 s15, s7, s8
	s_cmp_ge_u32 s7, s8
	s_cselect_b32 s9, s9, s16
	s_cselect_b32 s7, s15, s7
	s_add_i32 s15, s9, 1
	s_cmp_ge_u32 s7, s8
	s_load_dwordx2 s[30:31], s[0:1], 0x38
	s_load_dword s8, s[0:1], 0x48
	v_lshrrev_b32_e32 v43, 6, v0
	s_cselect_b32 s7, s15, s9
	s_xor_b32 s7, s7, s6
	v_or_b32_e32 v34, s3, v43
	s_waitcnt lgkmcnt(0)
	s_mul_i32 s34, s28, s8
	s_sub_i32 s43, s7, s6
	s_ashr_i32 s35, s34, 31
	v_cmp_gt_i32_e64 s[8:9], s33, v34
	v_cmp_le_i32_e32 vcc, s33, v34
	v_mbcnt_lo_u32_b32 v41, -1, 0
	s_barrier
	s_waitcnt lgkmcnt(0)
                                        ; implicit-def: $sgpr15
                                        ; implicit-def: $vgpr44
                                        ; implicit-def: $vgpr45
	s_and_saveexec_b64 s[6:7], vcc
	s_xor_b64 s[6:7], exec, s[6:7]
; %bb.6:
	v_mbcnt_hi_u32_b32 v44, -1, v41
	v_and_b32_e32 v1, 64, v44
	v_add_u32_e32 v45, 64, v1
	s_mov_b32 s15, 0xff7fffff
                                        ; implicit-def: $vgpr40
                                        ; implicit-def: $vgpr41
; %bb.7:
	s_or_saveexec_b64 s[38:39], s[6:7]
	s_load_dwordx4 s[20:23], s[0:1], 0x0
	s_load_dwordx2 s[26:27], s[0:1], 0x10
	s_load_dword s25, s[0:1], 0x98
	s_load_dwordx2 s[36:37], s[0:1], 0x28
	s_load_dwordx4 s[16:19], s[0:1], 0x68
	v_mov_b32_e32 v1, s15
	s_mul_i32 s43, s43, s14
	v_ashrrev_i32_e32 v35, 31, v34
	s_xor_b64 exec, exec, s[38:39]
	s_cbranch_execz .LBB237_13
; %bb.8:
	v_lshlrev_b32_e32 v30, 7, v40
	s_load_dwordx2 s[0:1], s[0:1], 0x20
	ds_read_b128 v[2:5], v30
	ds_read_b128 v[6:9], v30 offset:16
	ds_read_b128 v[10:13], v30 offset:32
	;; [unrolled: 1-line block ×7, first 2 shown]
	v_mbcnt_hi_u32_b32 v44, -1, v41
	s_ashr_i32 s6, s43, 31
	v_and_b32_e32 v45, 64, v44
	v_bfe_u32 v1, v0, 1, 5
	s_waitcnt lgkmcnt(0)
	s_add_u32 s0, s0, s43
	v_xor_b32_e32 v41, 1, v44
	v_add_u32_e32 v45, 64, v45
	s_load_dword s14, s[16:17], 0x0
	v_lshlrev_b32_e32 v36, 4, v1
	s_addc_u32 s1, s1, s6
	v_mov_b32_e32 v37, 0
	v_cmp_lt_i32_e32 vcc, v41, v45
	v_lshl_add_u64 v[38:39], s[0:1], 0, v[36:37]
	v_lshlrev_b32_e32 v36, 1, v40
	v_cndmask_b32_e32 v41, v44, v41, vcc
	v_cmp_eq_u32_e32 vcc, 0, v40
	s_sub_i32 s45, 1, s29
	v_lshlrev_b32_e32 v40, 5, v43
	s_lshl_b64 s[0:1], s[34:35], 2
	v_add3_u32 v47, s42, v40, v1
	v_lshlrev_b32_e32 v1, 2, v1
	s_add_u32 s0, s30, s0
	v_lshl_or_b32 v1, v43, 7, v1
	s_addc_u32 s1, s31, s1
	s_mov_b32 s44, s13
	v_lshlrev_b32_e32 v46, 2, v41
	v_cmp_neq_f32_e64 s[6:7], s10, 0
	s_waitcnt lgkmcnt(0)
	s_mov_b32 s15, s14
	v_add_u32_e32 v48, 0x110, v1
	v_lshl_add_u64 v[40:41], v[34:35], 2, s[0:1]
	s_mov_b64 s[16:17], 0
	v_mov_b32_e32 v1, 0xff7fffff
	v_mov_b32_e32 v49, v34
	s_branch .LBB237_10
.LBB237_9:                              ;   in Loop: Header=BB237_10 Depth=1
	s_or_b64 exec, exec, s[40:41]
	v_add_u32_e32 v49, 2, v49
	v_cmp_le_i32_e64 s[0:1], s33, v49
	v_add_u32_e32 v47, 64, v47
	v_add_u32_e32 v48, 0x100, v48
	s_or_b64 s[16:17], s[0:1], s[16:17]
	v_lshl_add_u64 v[40:41], v[40:41], 0, 8
	s_andn2_b64 exec, exec, s[16:17]
	s_cbranch_execz .LBB237_12
.LBB237_10:                             ; =>This Inner Loop Header: Depth=1
	global_load_dword v50, v[40:41], off
	s_waitcnt vmcnt(0) lgkmcnt(0)
	v_mad_i64_i32 v[50:51], s[0:1], v50, s44, v[38:39]
	v_lshl_add_u64 v[50:51], v[50:51], 0, v[36:37]
	global_load_ushort v54, v[50:51], off offset:8
	global_load_ushort v56, v[50:51], off offset:12
	global_load_ushort v58, v[50:51], off offset:512
	global_load_ushort v60, v[50:51], off offset:516
	global_load_ushort v62, v[50:51], off offset:520
	global_load_ushort v64, v[50:51], off offset:524
	global_load_ushort v52, v[50:51], off offset:4
	global_load_ushort v53, v[50:51], off
	global_load_ushort v66, v[50:51], off offset:1024
	global_load_ushort v68, v[50:51], off offset:1028
	global_load_ushort v70, v[50:51], off offset:1032
	global_load_ushort v72, v[50:51], off offset:1036
	global_load_ushort v74, v[50:51], off offset:1536
	global_load_ushort v76, v[50:51], off offset:1540
	global_load_ushort v78, v[50:51], off offset:1544
	global_load_ushort v80, v[50:51], off offset:1548
	s_waitcnt vmcnt(15)
	v_cvt_pk_f32_fp8_e32 v[54:55], v54
	s_waitcnt vmcnt(14)
	v_cvt_pk_f32_fp8_e32 v[56:57], v56
	;; [unrolled: 2-line block ×5, first 2 shown]
	v_pk_mul_f32 v[54:55], s[14:15], v[54:55]
	s_waitcnt vmcnt(9)
	v_cvt_pk_f32_fp8_e32 v[50:51], v52
	s_waitcnt vmcnt(8)
	v_cvt_pk_f32_fp8_e32 v[52:53], v53
	v_cvt_pk_f32_fp8_e32 v[64:65], v64
	v_pk_mul_f32 v[56:57], s[14:15], v[56:57]
	v_pk_mul_f32 v[50:51], s[14:15], v[50:51]
	;; [unrolled: 1-line block ×3, first 2 shown]
	v_mul_f32_e32 v50, v4, v50
	v_mul_f32_e32 v51, v5, v51
	v_fmac_f32_e32 v50, v2, v52
	v_fmac_f32_e32 v51, v3, v53
	;; [unrolled: 1-line block ×4, first 2 shown]
	s_waitcnt vmcnt(7)
	v_cvt_pk_f32_fp8_e32 v[66:67], v66
	v_pk_mul_f32 v[58:59], s[14:15], v[58:59]
	v_fmac_f32_e32 v50, v8, v56
	v_fmac_f32_e32 v51, v9, v57
	s_waitcnt vmcnt(6)
	v_cvt_pk_f32_fp8_e32 v[68:69], v68
	v_pk_mul_f32 v[60:61], s[14:15], v[60:61]
	v_fmac_f32_e32 v50, v10, v58
	v_fmac_f32_e32 v51, v11, v59
	;; [unrolled: 5-line block ×8, first 2 shown]
	v_pk_mul_f32 v[74:75], s[14:15], v[74:75]
	v_fmac_f32_e32 v50, v24, v72
	v_fmac_f32_e32 v51, v25, v73
	v_pk_mul_f32 v[76:77], s[14:15], v[76:77]
	v_fmac_f32_e32 v50, v26, v74
	v_fmac_f32_e32 v51, v27, v75
	;; [unrolled: 3-line block ×4, first 2 shown]
	v_fmac_f32_e32 v50, v32, v80
	v_fmac_f32_e32 v51, v33, v81
	v_add_f32_e32 v50, v50, v51
	ds_bpermute_b32 v51, v46, v50
	s_and_saveexec_b64 s[40:41], vcc
	s_cbranch_execz .LBB237_9
; %bb.11:                               ;   in Loop: Header=BB237_10 Depth=1
	v_add_u32_e32 v52, s45, v47
	v_cvt_f32_i32_e32 v52, v52
	s_waitcnt lgkmcnt(0)
	v_add_f32_e32 v50, v50, v51
	v_cmp_gt_i32_e64 s[0:1], s29, v47
	v_max_f32_e32 v51, v1, v1
	v_mul_f32_e32 v52, s10, v52
	v_cndmask_b32_e64 v52, 0, v52, s[6:7]
	v_fmac_f32_e32 v52, s11, v50
	v_cndmask_b32_e64 v50, 0, v52, s[0:1]
	ds_write_b32 v48, v50
	v_max_f32_e32 v50, v51, v52
	v_cndmask_b32_e64 v1, v1, v50, s[0:1]
	s_branch .LBB237_9
.LBB237_12:
	s_or_b64 exec, exec, s[16:17]
.LBB237_13:
	s_or_b64 exec, exec, s[38:39]
	v_xor_b32_e32 v2, 32, v44
	v_cmp_lt_i32_e32 vcc, v2, v45
	v_xor_b32_e32 v4, 16, v44
	v_xor_b32_e32 v5, 8, v44
	v_cndmask_b32_e32 v2, v44, v2, vcc
	v_lshlrev_b32_e32 v2, 2, v2
	ds_bpermute_b32 v3, v2, v1
	v_max_f32_e32 v1, v1, v1
	v_cmp_lt_i32_e32 vcc, v4, v45
	v_xor_b32_e32 v6, 4, v44
	s_waitcnt lgkmcnt(0)
	v_max_f32_e32 v3, v3, v3
	v_max_f32_e32 v1, v1, v3
	v_cndmask_b32_e32 v3, v44, v4, vcc
	v_lshlrev_b32_e32 v3, 2, v3
	ds_bpermute_b32 v4, v3, v1
	v_cmp_lt_i32_e32 vcc, v5, v45
	s_waitcnt lgkmcnt(0)
	v_max_f32_e32 v4, v4, v4
	v_max_f32_e32 v1, v1, v4
	v_cndmask_b32_e32 v4, v44, v5, vcc
	v_lshlrev_b32_e32 v5, 2, v4
	ds_bpermute_b32 v4, v5, v1
	v_cmp_lt_i32_e32 vcc, v6, v45
	s_waitcnt lgkmcnt(0)
	v_max_f32_e32 v4, v4, v4
	v_max_f32_e32 v1, v1, v4
	v_cndmask_b32_e32 v4, v44, v6, vcc
	v_lshlrev_b32_e32 v53, 2, v4
	ds_bpermute_b32 v4, v53, v1
	v_xor_b32_e32 v6, 2, v44
	v_cmp_lt_i32_e32 vcc, v6, v45
	s_waitcnt lgkmcnt(0)
	v_max_f32_e32 v4, v4, v4
	v_max_f32_e32 v4, v1, v4
	v_cndmask_b32_e32 v1, v44, v6, vcc
	v_lshlrev_b32_e32 v52, 2, v1
	ds_bpermute_b32 v7, v52, v4
	v_and_b32_e32 v1, 63, v0
	v_cmp_eq_u32_e32 vcc, 0, v1
	v_lshlrev_b32_e32 v6, 2, v43
	s_and_saveexec_b64 s[0:1], vcc
	s_cbranch_execz .LBB237_15
; %bb.14:
	s_waitcnt lgkmcnt(0)
	v_max_f32_e32 v7, v7, v7
	v_max_f32_e32 v4, v4, v4
	;; [unrolled: 1-line block ×3, first 2 shown]
	ds_write_b32 v6, v4 offset:256
.LBB237_15:
	s_or_b64 exec, exec, s[0:1]
	v_cmp_gt_u32_e64 s[0:1], 2, v1
	v_mov_b32_e32 v4, 0xff7fffff
	s_waitcnt lgkmcnt(0)
	v_lshlrev_b32_e32 v7, 2, v1
	s_barrier
	s_and_saveexec_b64 s[6:7], s[0:1]
	s_cbranch_execz .LBB237_17
; %bb.16:
	ds_read_b32 v4, v7 offset:256
.LBB237_17:
	s_or_b64 exec, exec, s[6:7]
	v_xor_b32_e32 v8, 1, v44
	v_cmp_lt_i32_e64 s[6:7], v8, v45
	s_sub_i32 s3, s33, s3
	s_lshl_b32 s3, s3, 5
	v_cndmask_b32_e64 v8, v44, v8, s[6:7]
	v_lshlrev_b32_e32 v54, 2, v8
	s_waitcnt lgkmcnt(0)
	ds_bpermute_b32 v8, v54, v4
	v_max_f32_e32 v4, v4, v4
	s_add_i32 s3, s3, s42
	s_min_i32 s38, s3, s29
	s_sub_i32 s3, s38, s42
	s_waitcnt lgkmcnt(0)
	v_max_f32_e32 v8, v8, v8
	v_max_f32_e32 v4, v4, v8
	v_lshlrev_b32_e32 v8, 2, v44
	v_and_b32_e32 v8, 0xffffff00, v8
	ds_bpermute_b32 v4, v8, v4
	v_cmp_gt_i32_e64 s[6:7], s3, v0
	v_mov_b32_e32 v9, 0
	s_and_saveexec_b64 s[14:15], s[6:7]
	s_cbranch_execz .LBB237_21
; %bb.18:
	v_mov_b32_e32 v9, 0x110
	v_lshl_add_u32 v10, v0, 2, v9
	s_mov_b64 s[16:17], 0
	v_mov_b32_e32 v9, 0
	v_mov_b32_e32 v11, v0
.LBB237_19:                             ; =>This Inner Loop Header: Depth=1
	ds_read_b32 v12, v10
	v_add_u32_e32 v11, 0x80, v11
	v_cmp_le_i32_e64 s[10:11], s3, v11
	s_or_b64 s[16:17], s[10:11], s[16:17]
	s_waitcnt lgkmcnt(0)
	v_sub_f32_e32 v12, v12, v4
	v_mul_f32_e32 v12, 0x3fb8aa3b, v12
	v_exp_f32_e32 v12, v12
	ds_write_b32 v10, v12
	v_add_f32_e32 v9, v9, v12
	v_add_u32_e32 v10, 0x200, v10
	s_andn2_b64 exec, exec, s[16:17]
	s_cbranch_execnz .LBB237_19
; %bb.20:
	s_or_b64 exec, exec, s[16:17]
.LBB237_21:
	s_or_b64 exec, exec, s[14:15]
	ds_bpermute_b32 v2, v2, v9
	s_waitcnt lgkmcnt(0)
	v_add_f32_e32 v2, v9, v2
	ds_bpermute_b32 v3, v3, v2
	s_waitcnt lgkmcnt(0)
	v_add_f32_e32 v2, v2, v3
	;; [unrolled: 3-line block ×6, first 2 shown]
	s_and_saveexec_b64 s[10:11], vcc
	s_cbranch_execz .LBB237_23
; %bb.22:
	ds_write_b32 v6, v2 offset:264
.LBB237_23:
	s_or_b64 exec, exec, s[10:11]
	s_waitcnt lgkmcnt(0)
	s_barrier
	s_and_saveexec_b64 s[10:11], s[0:1]
	s_cbranch_execz .LBB237_25
; %bb.24:
	ds_read_b32 v2, v7 offset:264
.LBB237_25:
	s_or_b64 exec, exec, s[10:11]
	s_waitcnt lgkmcnt(0)
	ds_bpermute_b32 v3, v54, v2
	s_waitcnt lgkmcnt(0)
	v_add_f32_e32 v2, v2, v3
	ds_bpermute_b32 v5, v8, v2
	s_and_saveexec_b64 s[0:1], s[6:7]
	s_cbranch_execz .LBB237_38
; %bb.26:
	s_waitcnt lgkmcnt(0)
	v_add_f32_e32 v2, 0x358637bd, v5
	v_div_scale_f32 v3, s[6:7], v2, v2, 1.0
	v_rcp_f32_e32 v6, v3
	v_div_scale_f32 v7, vcc, 1.0, v2, 1.0
	s_movk_i32 s6, 0x7f
	v_fma_f32 v8, -v3, v6, 1.0
	v_fmac_f32_e32 v6, v8, v6
	v_mul_f32_e32 v8, v7, v6
	v_fma_f32 v9, -v3, v8, v7
	v_fmac_f32_e32 v8, v9, v6
	v_fma_f32 v3, -v3, v8, v7
	v_div_fmas_f32 v3, v3, v6, v8
	v_div_fixup_f32 v2, v3, v2, 1.0
	v_xad_u32 v3, v0, -1, s38
	v_subrev_u32_e32 v6, s42, v3
	v_cmp_lt_u32_e32 vcc, s6, v6
	s_mov_b64 s[10:11], -1
	v_mov_b32_e32 v3, v0
	s_and_saveexec_b64 s[6:7], vcc
	s_cbranch_execz .LBB237_35
; %bb.27:
	v_lshrrev_b32_e32 v6, 7, v6
	v_add_u32_e32 v8, -1, v6
	v_lshrrev_b32_e32 v7, 1, v8
	v_mov_b32_e32 v3, v2
	v_add_u32_e32 v7, 1, v7
	v_cmp_lt_u32_e32 vcc, 13, v8
	v_mov_b32_e32 v10, 0
	s_and_saveexec_b64 s[10:11], vcc
	s_cbranch_execz .LBB237_31
; %bb.28:
	v_mov_b32_e32 v9, 0x110
	v_and_b32_e32 v8, -8, v7
	v_lshl_add_u32 v9, v0, 2, v9
	s_mov_b32 s16, 0
	s_mov_b64 s[14:15], 0
.LBB237_29:                             ; =>This Inner Loop Header: Depth=1
	ds_read2st64_b32 v[10:11], v9 offset1:2
	ds_read2st64_b32 v[12:13], v9 offset0:4 offset1:6
	ds_read2st64_b32 v[14:15], v9 offset0:8 offset1:10
	;; [unrolled: 1-line block ×3, first 2 shown]
	v_add_u32_e32 v8, -8, v8
	s_waitcnt lgkmcnt(3)
	v_pk_mul_f32 v[10:11], v[2:3], v[10:11]
	s_waitcnt lgkmcnt(2)
	v_pk_mul_f32 v[12:13], v[2:3], v[12:13]
	ds_write2st64_b32 v9, v10, v11 offset1:2
	ds_write2st64_b32 v9, v12, v13 offset0:4 offset1:6
	ds_read2st64_b32 v[12:13], v9 offset0:16 offset1:18
	s_waitcnt lgkmcnt(4)
	v_pk_mul_f32 v[10:11], v[2:3], v[14:15]
	ds_write2st64_b32 v9, v10, v11 offset0:8 offset1:10
	s_waitcnt lgkmcnt(4)
	v_pk_mul_f32 v[10:11], v[2:3], v[16:17]
	ds_write2st64_b32 v9, v10, v11 offset0:12 offset1:14
	ds_read2st64_b32 v[10:11], v9 offset0:20 offset1:22
	s_waitcnt lgkmcnt(3)
	v_pk_mul_f32 v[12:13], v[2:3], v[12:13]
	ds_read2st64_b32 v[14:15], v9 offset0:24 offset1:26
	ds_write2st64_b32 v9, v12, v13 offset0:16 offset1:18
	ds_read2st64_b32 v[12:13], v9 offset0:28 offset1:30
	s_waitcnt lgkmcnt(3)
	v_pk_mul_f32 v[10:11], v[2:3], v[10:11]
	ds_write2st64_b32 v9, v10, v11 offset0:20 offset1:22
	s_waitcnt lgkmcnt(3)
	v_pk_mul_f32 v[10:11], v[2:3], v[14:15]
	ds_write2st64_b32 v9, v10, v11 offset0:24 offset1:26
	s_waitcnt lgkmcnt(2)
	v_pk_mul_f32 v[10:11], v[2:3], v[12:13]
	s_add_i32 s16, s16, 16
	v_cmp_eq_u32_e32 vcc, 0, v8
	ds_write2st64_b32 v9, v10, v11 offset0:28 offset1:30
	v_add_u32_e32 v9, 0x2000, v9
	s_or_b64 s[14:15], vcc, s[14:15]
	v_mov_b32_e32 v10, s16
	s_andn2_b64 exec, exec, s[14:15]
	s_cbranch_execnz .LBB237_29
; %bb.30:
	s_or_b64 exec, exec, s[14:15]
.LBB237_31:
	s_or_b64 exec, exec, s[10:11]
	v_and_b32_e32 v7, 7, v7
	v_cmp_ne_u32_e32 vcc, 0, v7
	s_and_saveexec_b64 s[10:11], vcc
	s_cbranch_execz .LBB237_34
; %bb.32:
	v_lshlrev_b32_e32 v8, 9, v10
	s_movk_i32 s14, 0x110
	v_add3_u32 v8, v8, v42, s14
	s_mov_b64 s[14:15], 0
.LBB237_33:                             ; =>This Inner Loop Header: Depth=1
	ds_read2st64_b32 v[10:11], v8 offset1:2
	v_add_u32_e32 v7, -1, v7
	v_cmp_eq_u32_e32 vcc, 0, v7
	s_or_b64 s[14:15], vcc, s[14:15]
	s_waitcnt lgkmcnt(0)
	v_pk_mul_f32 v[10:11], v[2:3], v[10:11]
	ds_write2st64_b32 v8, v10, v11 offset1:2
	v_add_u32_e32 v8, 0x400, v8
	s_andn2_b64 exec, exec, s[14:15]
	s_cbranch_execnz .LBB237_33
.LBB237_34:
	s_or_b64 exec, exec, s[10:11]
	v_add_u32_e32 v6, 1, v6
	v_and_b32_e32 v7, 0x3fffffe, v6
	v_cmp_ne_u32_e32 vcc, v6, v7
	v_lshl_add_u32 v3, v7, 7, v0
	s_orn2_b64 s[10:11], vcc, exec
.LBB237_35:
	s_or_b64 exec, exec, s[6:7]
	s_and_b64 exec, exec, s[10:11]
	s_cbranch_execz .LBB237_38
; %bb.36:
	v_mov_b32_e32 v6, 0x110
	v_lshl_add_u32 v6, v3, 2, v6
	s_mov_b64 s[6:7], 0
.LBB237_37:                             ; =>This Inner Loop Header: Depth=1
	ds_read_b32 v7, v6
	v_add_u32_e32 v3, 0x80, v3
	v_cmp_le_i32_e32 vcc, s3, v3
	s_or_b64 s[6:7], vcc, s[6:7]
	s_waitcnt lgkmcnt(0)
	v_mul_f32_e32 v7, v2, v7
	ds_write_b32 v6, v7
	v_add_u32_e32 v6, 0x200, v6
	s_andn2_b64 exec, exec, s[6:7]
	s_cbranch_execnz .LBB237_37
.LBB237_38:
	s_or_b64 exec, exec, s[0:1]
	s_mul_i32 s0, s25, s28
	v_cmp_eq_u32_e32 vcc, 0, v0
	s_mul_i32 s6, s0, s5
	s_waitcnt lgkmcnt(0)
	s_barrier
	s_and_saveexec_b64 s[0:1], vcc
	s_cbranch_execz .LBB237_40
; %bb.39:
	s_ashr_i32 s7, s6, 31
	s_lshl_b64 s[10:11], s[6:7], 2
	s_add_u32 s5, s22, s10
	s_mul_i32 s2, s25, s2
	s_addc_u32 s7, s23, s11
	s_ashr_i32 s3, s2, 31
	s_lshl_b64 s[2:3], s[2:3], 2
	s_add_u32 s16, s5, s2
	s_addc_u32 s7, s7, s3
	s_ashr_i32 s5, s4, 31
	s_lshl_b64 s[14:15], s[4:5], 2
	s_add_u32 s16, s16, s14
	s_addc_u32 s17, s7, s15
	s_add_u32 s5, s20, s10
	s_addc_u32 s7, s21, s11
	;; [unrolled: 2-line block ×3, first 2 shown]
	s_add_u32 s2, s2, s14
	v_mov_b32_e32 v2, 0
	s_addc_u32 s3, s3, s15
	global_store_dword v2, v4, s[16:17]
	global_store_dword v2, v5, s[2:3]
.LBB237_40:
	s_or_b64 exec, exec, s[0:1]
	v_mov_b32_e32 v7, 0
	v_and_b32_e32 v55, 7, v0
	v_mov_b32_e32 v6, 0
	v_mov_b32_e32 v9, 0
	;; [unrolled: 1-line block ×7, first 2 shown]
	s_and_saveexec_b64 s[2:3], s[8:9]
	s_cbranch_execz .LBB237_60
; %bb.41:
	s_ashr_i32 s1, s43, 31
	s_load_dword s8, s[18:19], 0x0
	s_add_u32 s0, s36, s43
	s_addc_u32 s1, s37, s1
	v_and_b32_e32 v10, 0xfc, v42
	v_mov_b32_e32 v11, 0
	v_and_b32_e32 v2, 28, v42
	s_add_i32 s7, s12, -1
	v_lshl_add_u64 v[14:15], s[0:1], 0, v[10:11]
	v_lshl_add_u32 v3, v43, 5, s42
	s_lshl_b64 s[0:1], s[34:35], 2
	v_add3_u32 v56, v3, v2, 3
	v_lshlrev_b32_e32 v2, 4, v55
	s_add_u32 s0, s30, s0
	v_lshl_or_b32 v2, v43, 7, v2
	s_addc_u32 s1, s31, s1
	s_mov_b32 s5, s13
	s_waitcnt lgkmcnt(0)
	s_mov_b32 s9, s8
	v_add_u32_e32 v57, 0x110, v2
	v_lshl_add_u64 v[16:17], v[34:35], 2, s[0:1]
	s_mov_b64 s[10:11], 0
	v_mov_b32_e32 v10, v11
	v_mov_b32_e32 v12, v11
	;; [unrolled: 1-line block ×7, first 2 shown]
	s_branch .LBB237_43
.LBB237_42:                             ;   in Loop: Header=BB237_43 Depth=1
	s_or_b64 exec, exec, s[0:1]
	s_waitcnt lgkmcnt(0)
	v_mul_f32_e32 v21, v3, v21
	v_fmac_f32_e32 v21, v2, v20
	v_fmac_f32_e32 v21, v4, v18
	v_mul_f32_e32 v18, v3, v27
	v_fmac_f32_e32 v18, v2, v26
	v_fmac_f32_e32 v18, v4, v24
	v_fmac_f32_e32 v18, v5, v25
	v_add_f32_e32 v11, v11, v18
	v_mul_f32_e32 v18, v3, v31
	v_fmac_f32_e32 v18, v2, v30
	v_fmac_f32_e32 v18, v4, v28
	v_fmac_f32_e32 v18, v5, v29
	v_add_f32_e32 v12, v12, v18
	;; [unrolled: 5-line block ×5, first 2 shown]
	v_mul_f32_e32 v18, v3, v49
	v_mul_f32_e32 v3, v3, v51
	v_fmac_f32_e32 v18, v2, v48
	v_fmac_f32_e32 v3, v2, v50
	;; [unrolled: 1-line block ×4, first 2 shown]
	v_add_u32_e32 v34, 2, v34
	v_fmac_f32_e32 v21, v5, v19
	v_fmac_f32_e32 v18, v5, v47
	;; [unrolled: 1-line block ×3, first 2 shown]
	v_cmp_le_i32_e32 vcc, s33, v34
	v_add_f32_e32 v10, v10, v21
	v_add_f32_e32 v6, v6, v18
	;; [unrolled: 1-line block ×3, first 2 shown]
	v_add_u32_e32 v56, 64, v56
	v_add_u32_e32 v57, 0x100, v57
	s_or_b64 s[10:11], vcc, s[10:11]
	v_lshl_add_u64 v[16:17], v[16:17], 0, 8
	s_andn2_b64 exec, exec, s[10:11]
	s_cbranch_execz .LBB237_59
.LBB237_43:                             ; =>This Inner Loop Header: Depth=1
	global_load_dword v2, v[16:17], off
	v_add_u32_e32 v35, -3, v56
	v_cmp_eq_u32_e32 vcc, s7, v34
	v_add_u32_e32 v58, -2, v56
	v_add_u32_e32 v59, -1, v56
	s_waitcnt vmcnt(0)
	v_mad_i64_i32 v[22:23], s[0:1], v2, s5, v[14:15]
	global_load_dword v18, v[22:23], off
	ds_read_b128 v[2:5], v57
	s_waitcnt vmcnt(0)
	v_and_b32_e32 v19, 0xffff, v18
	v_lshrrev_b32_e32 v20, 16, v18
	v_cvt_pk_f32_fp8_e32 v[18:19], v19
	v_cvt_pk_f32_fp8_e32 v[24:25], v20
	v_pk_mul_f32 v[20:21], s[8:9], v[18:19]
	v_pk_mul_f32 v[18:19], s[8:9], v[24:25]
	s_and_saveexec_b64 s[12:13], vcc
; %bb.44:                               ;   in Loop: Header=BB237_43 Depth=1
	v_cmp_gt_i32_e64 s[0:1], s29, v35
	s_nop 1
	v_cndmask_b32_e64 v20, 0, v20, s[0:1]
	v_cmp_gt_i32_e64 s[0:1], s29, v58
	s_nop 1
	v_cndmask_b32_e64 v21, 0, v21, s[0:1]
	v_cmp_gt_i32_e64 s[0:1], s29, v59
	s_nop 1
	v_cndmask_b32_e64 v18, 0, v18, s[0:1]
	v_cmp_gt_i32_e64 s[0:1], s29, v56
	s_nop 1
	v_cndmask_b32_e64 v19, 0, v19, s[0:1]
; %bb.45:                               ;   in Loop: Header=BB237_43 Depth=1
	s_or_b64 exec, exec, s[12:13]
	global_load_dword v24, v[22:23], off offset:256
	s_waitcnt vmcnt(0)
	v_and_b32_e32 v25, 0xffff, v24
	v_lshrrev_b32_e32 v26, 16, v24
	v_cvt_pk_f32_fp8_e32 v[24:25], v25
	v_cvt_pk_f32_fp8_e32 v[28:29], v26
	v_pk_mul_f32 v[26:27], s[8:9], v[24:25]
	v_pk_mul_f32 v[24:25], s[8:9], v[28:29]
	s_and_saveexec_b64 s[12:13], vcc
; %bb.46:                               ;   in Loop: Header=BB237_43 Depth=1
	v_cmp_gt_i32_e64 s[0:1], s29, v35
	s_nop 1
	v_cndmask_b32_e64 v26, 0, v26, s[0:1]
	v_cmp_gt_i32_e64 s[0:1], s29, v58
	s_nop 1
	v_cndmask_b32_e64 v27, 0, v27, s[0:1]
	v_cmp_gt_i32_e64 s[0:1], s29, v59
	s_nop 1
	v_cndmask_b32_e64 v24, 0, v24, s[0:1]
	v_cmp_gt_i32_e64 s[0:1], s29, v56
	s_nop 1
	v_cndmask_b32_e64 v25, 0, v25, s[0:1]
; %bb.47:                               ;   in Loop: Header=BB237_43 Depth=1
	s_or_b64 exec, exec, s[12:13]
	global_load_dword v28, v[22:23], off offset:512
	;; [unrolled: 24-line block ×7, first 2 shown]
	s_waitcnt vmcnt(0)
	v_and_b32_e32 v23, 0xffff, v22
	v_lshrrev_b32_e32 v50, 16, v22
	v_cvt_pk_f32_fp8_e32 v[22:23], v23
	v_cvt_pk_f32_fp8_e32 v[60:61], v50
	v_pk_mul_f32 v[50:51], s[8:9], v[22:23]
	v_pk_mul_f32 v[22:23], s[8:9], v[60:61]
	s_and_saveexec_b64 s[0:1], vcc
	s_cbranch_execz .LBB237_42
; %bb.58:                               ;   in Loop: Header=BB237_43 Depth=1
	v_cmp_gt_i32_e32 vcc, s29, v35
	s_nop 1
	v_cndmask_b32_e32 v50, 0, v50, vcc
	v_cmp_gt_i32_e32 vcc, s29, v58
	s_nop 1
	v_cndmask_b32_e32 v51, 0, v51, vcc
	;; [unrolled: 3-line block ×4, first 2 shown]
	s_branch .LBB237_42
.LBB237_59:
	s_or_b64 exec, exec, s[10:11]
.LBB237_60:
	s_or_b64 exec, exec, s[2:3]
	ds_bpermute_b32 v4, v53, v12
	ds_bpermute_b32 v5, v53, v13
	;; [unrolled: 1-line block ×6, first 2 shown]
	s_waitcnt lgkmcnt(4)
	v_pk_add_f32 v[4:5], v[12:13], v[4:5]
	ds_bpermute_b32 v12, v52, v4
	ds_bpermute_b32 v13, v52, v5
	s_waitcnt lgkmcnt(4)
	v_pk_add_f32 v[2:3], v[10:11], v[2:3]
	ds_bpermute_b32 v10, v52, v2
	ds_bpermute_b32 v11, v52, v3
	s_waitcnt lgkmcnt(4)
	v_pk_add_f32 v[8:9], v[8:9], v[14:15]
	s_waitcnt lgkmcnt(2)
	v_pk_add_f32 v[4:5], v[4:5], v[12:13]
	ds_bpermute_b32 v12, v53, v6
	ds_bpermute_b32 v13, v53, v7
	;; [unrolled: 1-line block ×4, first 2 shown]
	s_waitcnt lgkmcnt(4)
	v_pk_add_f32 v[2:3], v[2:3], v[10:11]
	ds_bpermute_b32 v10, v54, v2
	s_waitcnt lgkmcnt(3)
	v_pk_add_f32 v[6:7], v[6:7], v[12:13]
	ds_bpermute_b32 v12, v52, v6
	ds_bpermute_b32 v13, v52, v7
	;; [unrolled: 1-line block ×3, first 2 shown]
	s_waitcnt lgkmcnt(4)
	v_pk_add_f32 v[14:15], v[8:9], v[14:15]
	ds_bpermute_b32 v16, v54, v4
	ds_bpermute_b32 v17, v54, v5
	s_waitcnt lgkmcnt(3)
	v_pk_add_f32 v[12:13], v[6:7], v[12:13]
	ds_bpermute_b32 v18, v54, v14
	ds_bpermute_b32 v19, v54, v15
	;; [unrolled: 1-line block ×4, first 2 shown]
	s_waitcnt lgkmcnt(6)
	v_pk_add_f32 v[8:9], v[2:3], v[10:11]
	v_and_b32_e32 v10, 0x3c7, v0
	s_waitcnt lgkmcnt(4)
	v_pk_add_f32 v[6:7], v[4:5], v[16:17]
	s_waitcnt lgkmcnt(2)
	v_pk_add_f32 v[2:3], v[14:15], v[18:19]
	;; [unrolled: 2-line block ×3, first 2 shown]
	v_cmp_eq_u32_e32 vcc, 64, v10
	s_barrier
	s_and_saveexec_b64 s[0:1], vcc
	s_cbranch_execz .LBB237_62
; %bb.61:
	v_lshrrev_b32_e32 v1, 1, v1
	v_add_u32_e32 v1, 0x110, v1
	ds_write2_b32 v1, v8, v9 offset1:8
	ds_write2_b32 v1, v6, v7 offset0:16 offset1:24
	ds_write2_b32 v1, v2, v3 offset0:32 offset1:40
	;; [unrolled: 1-line block ×3, first 2 shown]
.LBB237_62:
	s_or_b64 exec, exec, s[0:1]
	v_cmp_gt_u32_e32 vcc, 64, v0
	s_waitcnt lgkmcnt(0)
	s_barrier
	s_and_saveexec_b64 s[0:1], vcc
	s_cbranch_execz .LBB237_73
; %bb.63:
	v_cmp_eq_u32_e32 vcc, 0, v55
	v_lshrrev_b32_e32 v1, 3, v0
	s_and_saveexec_b64 s[2:3], vcc
	s_cbranch_execnz .LBB237_76
; %bb.64:
	s_or_b64 exec, exec, s[2:3]
	s_and_saveexec_b64 s[2:3], vcc
	s_cbranch_execnz .LBB237_77
.LBB237_65:
	s_or_b64 exec, exec, s[2:3]
	s_and_saveexec_b64 s[2:3], vcc
	s_cbranch_execnz .LBB237_78
.LBB237_66:
	s_or_b64 exec, exec, s[2:3]
	s_and_saveexec_b64 s[2:3], vcc
	s_cbranch_execnz .LBB237_79
.LBB237_67:
	s_or_b64 exec, exec, s[2:3]
	s_and_saveexec_b64 s[2:3], vcc
	s_cbranch_execnz .LBB237_80
.LBB237_68:
	s_or_b64 exec, exec, s[2:3]
	s_and_saveexec_b64 s[2:3], vcc
	s_cbranch_execnz .LBB237_81
.LBB237_69:
	s_or_b64 exec, exec, s[2:3]
	s_and_saveexec_b64 s[2:3], vcc
	s_cbranch_execnz .LBB237_82
.LBB237_70:
	s_or_b64 exec, exec, s[2:3]
	s_and_saveexec_b64 s[2:3], vcc
	s_cbranch_execz .LBB237_72
.LBB237_71:
	v_mov_b32_e32 v11, 0x110
	v_lshl_add_u32 v1, v1, 2, v11
	ds_read_b32 v1, v1 offset:224
	s_waitcnt lgkmcnt(0)
	v_add_f32_e32 v5, v5, v1
.LBB237_72:
	s_or_b64 exec, exec, s[2:3]
.LBB237_73:
	s_or_b64 exec, exec, s[0:1]
	v_cmp_eq_u32_e32 vcc, 0, v10
	s_barrier
	s_and_saveexec_b64 s[0:1], vcc
	s_cbranch_execz .LBB237_75
; %bb.74:
	s_lshl_b32 s0, s6, 6
	s_ashr_i32 s1, s0, 31
	s_lshl_b64 s[0:1], s[0:1], 2
	s_add_u32 s2, s26, s0
	s_mul_i32 s0, s25, s24
	s_addc_u32 s3, s27, s1
	s_ashr_i32 s1, s0, 31
	s_lshl_b64 s[0:1], s[0:1], 2
	s_add_u32 s2, s2, s0
	s_addc_u32 s3, s3, s1
	s_lshl_b32 s0, s4, 6
	s_ashr_i32 s1, s0, 31
	s_lshl_b64 s[0:1], s[0:1], 2
	s_add_u32 s0, s2, s0
	s_addc_u32 s1, s3, s1
	v_lshrrev_b32_e32 v0, 1, v0
	global_store_dword v0, v8, s[0:1]
	global_store_dword v0, v9, s[0:1] offset:32
	global_store_dword v0, v6, s[0:1] offset:64
	;; [unrolled: 1-line block ×7, first 2 shown]
.LBB237_75:
	s_endpgm
.LBB237_76:
	v_mov_b32_e32 v11, 0x110
	v_lshl_add_u32 v11, v1, 2, v11
	ds_read_b32 v11, v11
	s_waitcnt lgkmcnt(0)
	v_add_f32_e32 v8, v8, v11
	s_or_b64 exec, exec, s[2:3]
	s_and_saveexec_b64 s[2:3], vcc
	s_cbranch_execz .LBB237_65
.LBB237_77:
	v_mov_b32_e32 v11, 0x110
	v_lshl_add_u32 v11, v1, 2, v11
	ds_read_b32 v11, v11 offset:32
	s_waitcnt lgkmcnt(0)
	v_add_f32_e32 v9, v9, v11
	s_or_b64 exec, exec, s[2:3]
	s_and_saveexec_b64 s[2:3], vcc
	s_cbranch_execz .LBB237_66
.LBB237_78:
	v_mov_b32_e32 v11, 0x110
	v_lshl_add_u32 v11, v1, 2, v11
	ds_read_b32 v11, v11 offset:64
	s_waitcnt lgkmcnt(0)
	v_add_f32_e32 v6, v6, v11
	s_or_b64 exec, exec, s[2:3]
	s_and_saveexec_b64 s[2:3], vcc
	s_cbranch_execz .LBB237_67
.LBB237_79:
	v_mov_b32_e32 v11, 0x110
	v_lshl_add_u32 v11, v1, 2, v11
	ds_read_b32 v11, v11 offset:96
	s_waitcnt lgkmcnt(0)
	v_add_f32_e32 v7, v7, v11
	s_or_b64 exec, exec, s[2:3]
	s_and_saveexec_b64 s[2:3], vcc
	s_cbranch_execz .LBB237_68
.LBB237_80:
	v_mov_b32_e32 v11, 0x110
	v_lshl_add_u32 v11, v1, 2, v11
	ds_read_b32 v11, v11 offset:128
	s_waitcnt lgkmcnt(0)
	v_add_f32_e32 v2, v2, v11
	s_or_b64 exec, exec, s[2:3]
	s_and_saveexec_b64 s[2:3], vcc
	s_cbranch_execz .LBB237_69
.LBB237_81:
	v_mov_b32_e32 v11, 0x110
	v_lshl_add_u32 v11, v1, 2, v11
	ds_read_b32 v11, v11 offset:160
	s_waitcnt lgkmcnt(0)
	v_add_f32_e32 v3, v3, v11
	s_or_b64 exec, exec, s[2:3]
	s_and_saveexec_b64 s[2:3], vcc
	s_cbranch_execz .LBB237_70
.LBB237_82:
	v_mov_b32_e32 v11, 0x110
	v_lshl_add_u32 v11, v1, 2, v11
	ds_read_b32 v11, v11 offset:192
	s_waitcnt lgkmcnt(0)
	v_add_f32_e32 v4, v4, v11
	s_or_b64 exec, exec, s[2:3]
	s_and_saveexec_b64 s[2:3], vcc
	s_cbranch_execnz .LBB237_71
	s_branch .LBB237_72
	.section	.rodata,"a",@progbits
	.p2align	6, 0x0
	.amdhsa_kernel _ZN4vllm25paged_attention_v2_kernelIfhLi64ELi32ELi128ELNS_18Fp8KVCacheDataTypeE1ELb0ELi512EEEvPfS2_PT_PKS3_PKT0_S9_ifPKiSB_iPKfiiiSD_SD_iiiii
		.amdhsa_group_segment_fixed_size 272
		.amdhsa_private_segment_fixed_size 0
		.amdhsa_kernarg_size 400
		.amdhsa_user_sgpr_count 2
		.amdhsa_user_sgpr_dispatch_ptr 0
		.amdhsa_user_sgpr_queue_ptr 0
		.amdhsa_user_sgpr_kernarg_segment_ptr 1
		.amdhsa_user_sgpr_dispatch_id 0
		.amdhsa_user_sgpr_kernarg_preload_length 0
		.amdhsa_user_sgpr_kernarg_preload_offset 0
		.amdhsa_user_sgpr_private_segment_size 0
		.amdhsa_uses_dynamic_stack 0
		.amdhsa_enable_private_segment 0
		.amdhsa_system_sgpr_workgroup_id_x 1
		.amdhsa_system_sgpr_workgroup_id_y 1
		.amdhsa_system_sgpr_workgroup_id_z 1
		.amdhsa_system_sgpr_workgroup_info 0
		.amdhsa_system_vgpr_workitem_id 0
		.amdhsa_next_free_vgpr 82
		.amdhsa_next_free_sgpr 46
		.amdhsa_accum_offset 84
		.amdhsa_reserve_vcc 1
		.amdhsa_float_round_mode_32 0
		.amdhsa_float_round_mode_16_64 0
		.amdhsa_float_denorm_mode_32 3
		.amdhsa_float_denorm_mode_16_64 3
		.amdhsa_dx10_clamp 1
		.amdhsa_ieee_mode 1
		.amdhsa_fp16_overflow 0
		.amdhsa_tg_split 0
		.amdhsa_exception_fp_ieee_invalid_op 0
		.amdhsa_exception_fp_denorm_src 0
		.amdhsa_exception_fp_ieee_div_zero 0
		.amdhsa_exception_fp_ieee_overflow 0
		.amdhsa_exception_fp_ieee_underflow 0
		.amdhsa_exception_fp_ieee_inexact 0
		.amdhsa_exception_int_div_zero 0
	.end_amdhsa_kernel
	.section	.text._ZN4vllm25paged_attention_v2_kernelIfhLi64ELi32ELi128ELNS_18Fp8KVCacheDataTypeE1ELb0ELi512EEEvPfS2_PT_PKS3_PKT0_S9_ifPKiSB_iPKfiiiSD_SD_iiiii,"axG",@progbits,_ZN4vllm25paged_attention_v2_kernelIfhLi64ELi32ELi128ELNS_18Fp8KVCacheDataTypeE1ELb0ELi512EEEvPfS2_PT_PKS3_PKT0_S9_ifPKiSB_iPKfiiiSD_SD_iiiii,comdat
.Lfunc_end237:
	.size	_ZN4vllm25paged_attention_v2_kernelIfhLi64ELi32ELi128ELNS_18Fp8KVCacheDataTypeE1ELb0ELi512EEEvPfS2_PT_PKS3_PKT0_S9_ifPKiSB_iPKfiiiSD_SD_iiiii, .Lfunc_end237-_ZN4vllm25paged_attention_v2_kernelIfhLi64ELi32ELi128ELNS_18Fp8KVCacheDataTypeE1ELb0ELi512EEEvPfS2_PT_PKS3_PKT0_S9_ifPKiSB_iPKfiiiSD_SD_iiiii
                                        ; -- End function
	.section	.AMDGPU.csdata,"",@progbits
; Kernel info:
; codeLenInByte = 5636
; NumSgprs: 52
; NumVgprs: 82
; NumAgprs: 0
; TotalNumVgprs: 82
; ScratchSize: 0
; MemoryBound: 0
; FloatMode: 240
; IeeeMode: 1
; LDSByteSize: 272 bytes/workgroup (compile time only)
; SGPRBlocks: 6
; VGPRBlocks: 10
; NumSGPRsForWavesPerEU: 52
; NumVGPRsForWavesPerEU: 82
; AccumOffset: 84
; Occupancy: 5
; WaveLimiterHint : 1
; COMPUTE_PGM_RSRC2:SCRATCH_EN: 0
; COMPUTE_PGM_RSRC2:USER_SGPR: 2
; COMPUTE_PGM_RSRC2:TRAP_HANDLER: 0
; COMPUTE_PGM_RSRC2:TGID_X_EN: 1
; COMPUTE_PGM_RSRC2:TGID_Y_EN: 1
; COMPUTE_PGM_RSRC2:TGID_Z_EN: 1
; COMPUTE_PGM_RSRC2:TIDIG_COMP_CNT: 0
; COMPUTE_PGM_RSRC3_GFX90A:ACCUM_OFFSET: 20
; COMPUTE_PGM_RSRC3_GFX90A:TG_SPLIT: 0
	.section	.text._ZN4vllm25paged_attention_v2_kernelIfhLi80ELi32ELi128ELNS_18Fp8KVCacheDataTypeE1ELb0ELi512EEEvPfS2_PT_PKS3_PKT0_S9_ifPKiSB_iPKfiiiSD_SD_iiiii,"axG",@progbits,_ZN4vllm25paged_attention_v2_kernelIfhLi80ELi32ELi128ELNS_18Fp8KVCacheDataTypeE1ELb0ELi512EEEvPfS2_PT_PKS3_PKT0_S9_ifPKiSB_iPKfiiiSD_SD_iiiii,comdat
	.protected	_ZN4vllm25paged_attention_v2_kernelIfhLi80ELi32ELi128ELNS_18Fp8KVCacheDataTypeE1ELb0ELi512EEEvPfS2_PT_PKS3_PKT0_S9_ifPKiSB_iPKfiiiSD_SD_iiiii ; -- Begin function _ZN4vllm25paged_attention_v2_kernelIfhLi80ELi32ELi128ELNS_18Fp8KVCacheDataTypeE1ELb0ELi512EEEvPfS2_PT_PKS3_PKT0_S9_ifPKiSB_iPKfiiiSD_SD_iiiii
	.globl	_ZN4vllm25paged_attention_v2_kernelIfhLi80ELi32ELi128ELNS_18Fp8KVCacheDataTypeE1ELb0ELi512EEEvPfS2_PT_PKS3_PKT0_S9_ifPKiSB_iPKfiiiSD_SD_iiiii
	.p2align	8
	.type	_ZN4vllm25paged_attention_v2_kernelIfhLi80ELi32ELi128ELNS_18Fp8KVCacheDataTypeE1ELb0ELi512EEEvPfS2_PT_PKS3_PKT0_S9_ifPKiSB_iPKfiiiSD_SD_iiiii,@function
_ZN4vllm25paged_attention_v2_kernelIfhLi80ELi32ELi128ELNS_18Fp8KVCacheDataTypeE1ELb0ELi512EEEvPfS2_PT_PKS3_PKT0_S9_ifPKiSB_iPKfiiiSD_SD_iiiii: ; @_ZN4vllm25paged_attention_v2_kernelIfhLi80ELi32ELi128ELNS_18Fp8KVCacheDataTypeE1ELb0ELi512EEEvPfS2_PT_PKS3_PKT0_S9_ifPKiSB_iPKfiiiSD_SD_iiiii
; %bb.0:
	s_load_dwordx2 s[6:7], s[0:1], 0x40
	s_mov_b32 s28, s3
	s_ashr_i32 s29, s3, 31
	s_lshl_b64 s[8:9], s[28:29], 2
	s_waitcnt lgkmcnt(0)
	s_add_u32 s6, s6, s8
	s_addc_u32 s7, s7, s9
	s_load_dword s29, s[6:7], 0x0
	s_lshl_b32 s42, s4, 9
	s_waitcnt lgkmcnt(0)
	s_cmp_ge_i32 s42, s29
	s_cbranch_scc1 .LBB238_83
; %bb.1:
	s_load_dword s5, s[0:1], 0x90
	s_load_dwordx2 s[10:11], s[0:1], 0x30
	s_waitcnt lgkmcnt(0)
	s_abs_i32 s7, s5
	s_abs_i32 s3, s10
	v_cvt_f32_u32_e32 v1, s3
	s_sub_i32 s8, 0, s3
	s_xor_b32 s6, s5, s10
	s_ashr_i32 s6, s6, 31
	v_rcp_iflag_f32_e32 v1, v1
	s_nop 0
	v_mul_f32_e32 v1, 0x4f7ffffe, v1
	v_cvt_u32_f32_e32 v1, v1
	s_nop 0
	v_readfirstlane_b32 s9, v1
	s_mul_i32 s8, s8, s9
	s_mul_hi_u32 s8, s9, s8
	s_add_i32 s9, s9, s8
	s_mul_hi_u32 s8, s7, s9
	s_mul_i32 s9, s8, s3
	s_sub_i32 s7, s7, s9
	s_add_i32 s10, s8, 1
	s_sub_i32 s9, s7, s3
	s_cmp_ge_u32 s7, s3
	s_cselect_b32 s8, s10, s8
	s_cselect_b32 s7, s9, s7
	s_add_i32 s9, s8, 1
	s_cmp_ge_u32 s7, s3
	s_cselect_b32 s3, s9, s8
	s_xor_b32 s3, s3, s6
	s_sub_i32 s12, s3, s6
	s_abs_i32 s8, s12
	v_cvt_f32_u32_e32 v1, s8
	s_load_dwordx2 s[6:7], s[0:1], 0x50
	s_sub_i32 s3, 0, s8
	s_abs_i32 s9, s2
	v_rcp_iflag_f32_e32 v1, v1
	s_mov_b32 s10, 0
	v_mul_f32_e32 v1, 0x4f7ffffe, v1
	v_cvt_u32_f32_e32 v1, v1
	s_nop 0
	v_readfirstlane_b32 s13, v1
	s_mul_i32 s3, s3, s13
	s_mul_hi_u32 s3, s13, s3
	s_add_i32 s13, s13, s3
	s_waitcnt lgkmcnt(0)
	s_cmp_eq_u64 s[6:7], 0
	s_mul_hi_u32 s16, s9, s13
	s_cbranch_scc1 .LBB238_3
; %bb.2:
	s_ashr_i32 s3, s2, 31
	s_lshl_b64 s[14:15], s[2:3], 2
	s_add_u32 s6, s6, s14
	s_addc_u32 s7, s7, s15
	s_load_dword s10, s[6:7], 0x0
.LBB238_3:
	s_ashr_i32 s18, s12, 31
	s_load_dwordx4 s[12:15], s[0:1], 0x58
	s_ashr_i32 s17, s2, 31
	v_and_b32_e32 v48, 1, v0
	s_mul_i32 s24, s2, 0x50
	v_cmp_gt_u32_e32 vcc, 40, v0
	v_lshlrev_b32_e32 v52, 2, v0
	s_and_saveexec_b64 s[6:7], vcc
	s_cbranch_execz .LBB238_5
; %bb.4:
	s_load_dwordx2 s[20:21], s[0:1], 0x18
	s_waitcnt lgkmcnt(0)
	s_mul_i32 s22, s28, s12
	s_ashr_i32 s23, s22, 31
	s_lshl_b64 s[22:23], s[22:23], 2
	v_lshlrev_b32_e32 v1, 3, v0
	s_add_u32 s3, s20, s22
	s_addc_u32 s12, s21, s23
	s_ashr_i32 s25, s24, 31
	s_lshl_b64 s[20:21], s[24:25], 2
	s_add_u32 s20, s3, s20
	s_addc_u32 s21, s12, s21
	global_load_dwordx2 v[2:3], v1, s[20:21]
	v_and_b32_e32 v1, 0xff8, v52
	s_movk_i32 s3, 0xa0
	v_mad_u32_u24 v1, v48, s3, v1
	s_waitcnt vmcnt(0)
	ds_write_b64 v1, v[2:3]
.LBB238_5:
	s_or_b64 exec, exec, s[6:7]
	s_add_i32 s3, s29, 31
	s_ashr_i32 s6, s3, 31
	s_lshr_b32 s6, s6, 27
	s_add_i32 s3, s3, s6
	s_waitcnt lgkmcnt(0)
	s_ashr_i32 s12, s3, 5
	s_lshl_b32 s3, s4, 4
	s_mul_i32 s7, s16, s8
	s_add_i32 s6, s3, 16
	s_sub_i32 s7, s9, s7
	s_min_i32 s33, s6, s12
	s_xor_b32 s6, s17, s18
	s_add_i32 s9, s16, 1
	s_sub_i32 s15, s7, s8
	s_cmp_ge_u32 s7, s8
	s_cselect_b32 s9, s9, s16
	s_cselect_b32 s7, s15, s7
	s_add_i32 s15, s9, 1
	s_cmp_ge_u32 s7, s8
	s_load_dwordx2 s[30:31], s[0:1], 0x38
	s_load_dword s8, s[0:1], 0x48
	v_lshrrev_b32_e32 v53, 6, v0
	s_cselect_b32 s7, s15, s9
	s_xor_b32 s7, s7, s6
	v_or_b32_e32 v42, s3, v53
	s_waitcnt lgkmcnt(0)
	s_mul_i32 s34, s28, s8
	s_sub_i32 s43, s7, s6
	s_ashr_i32 s35, s34, 31
	v_cmp_gt_i32_e64 s[8:9], s33, v42
	v_cmp_le_i32_e32 vcc, s33, v42
	v_mbcnt_lo_u32_b32 v49, -1, 0
	s_barrier
	s_waitcnt lgkmcnt(0)
                                        ; implicit-def: $sgpr15
                                        ; implicit-def: $vgpr54
                                        ; implicit-def: $vgpr55
	s_and_saveexec_b64 s[6:7], vcc
	s_xor_b64 s[6:7], exec, s[6:7]
; %bb.6:
	v_mbcnt_hi_u32_b32 v54, -1, v49
	v_and_b32_e32 v1, 64, v54
	v_add_u32_e32 v55, 64, v1
	s_mov_b32 s15, 0xff7fffff
                                        ; implicit-def: $vgpr48
                                        ; implicit-def: $vgpr49
; %bb.7:
	s_or_saveexec_b64 s[38:39], s[6:7]
	s_load_dwordx4 s[20:23], s[0:1], 0x0
	s_load_dwordx2 s[26:27], s[0:1], 0x10
	s_load_dword s25, s[0:1], 0x98
	s_load_dwordx2 s[36:37], s[0:1], 0x28
	s_load_dwordx4 s[16:19], s[0:1], 0x68
	v_mov_b32_e32 v1, s15
	s_mul_i32 s43, s43, s14
	v_ashrrev_i32_e32 v43, 31, v42
	s_xor_b64 exec, exec, s[38:39]
	s_cbranch_execz .LBB238_13
; %bb.8:
	v_mul_u32_u24_e32 v38, 0xa0, v48
	ds_read_b128 v[2:5], v38
	ds_read_b128 v[6:9], v38 offset:16
	ds_read_b128 v[10:13], v38 offset:32
	;; [unrolled: 1-line block ×9, first 2 shown]
	s_load_dwordx2 s[0:1], s[0:1], 0x20
	v_mbcnt_hi_u32_b32 v54, -1, v49
	s_ashr_i32 s6, s43, 31
	v_and_b32_e32 v50, 64, v54
	v_bfe_u32 v1, v0, 1, 5
	s_waitcnt lgkmcnt(0)
	s_add_u32 s0, s0, s43
	v_xor_b32_e32 v49, 1, v54
	v_add_u32_e32 v55, 64, v50
	s_load_dword s14, s[16:17], 0x0
	v_lshlrev_b32_e32 v44, 4, v1
	s_addc_u32 s1, s1, s6
	v_mov_b32_e32 v45, 0
	v_cmp_lt_i32_e32 vcc, v49, v55
	v_lshl_add_u64 v[46:47], s[0:1], 0, v[44:45]
	v_lshlrev_b32_e32 v44, 1, v48
	v_cndmask_b32_e32 v49, v54, v49, vcc
	v_cmp_eq_u32_e32 vcc, 0, v48
	s_sub_i32 s45, 1, s29
	v_lshlrev_b32_e32 v48, 5, v53
	s_lshl_b64 s[0:1], s[34:35], 2
	v_add3_u32 v57, s42, v48, v1
	v_lshlrev_b32_e32 v1, 2, v1
	s_add_u32 s0, s30, s0
	v_lshl_or_b32 v1, v53, 7, v1
	s_addc_u32 s1, s31, s1
	s_mov_b32 s44, s13
	v_lshlrev_b32_e32 v56, 2, v49
	v_cmp_neq_f32_e64 s[6:7], s10, 0
	s_waitcnt lgkmcnt(0)
	s_mov_b32 s15, s14
	v_add_u32_e32 v58, 0x150, v1
	v_lshl_add_u64 v[48:49], v[42:43], 2, s[0:1]
	s_mov_b64 s[16:17], 0
	v_mov_b32_e32 v1, 0xff7fffff
	v_mov_b32_e32 v59, v42
	s_branch .LBB238_10
.LBB238_9:                              ;   in Loop: Header=BB238_10 Depth=1
	s_or_b64 exec, exec, s[40:41]
	v_add_u32_e32 v59, 2, v59
	v_cmp_le_i32_e64 s[0:1], s33, v59
	v_add_u32_e32 v57, 64, v57
	v_add_u32_e32 v58, 0x100, v58
	s_or_b64 s[16:17], s[0:1], s[16:17]
	v_lshl_add_u64 v[48:49], v[48:49], 0, 8
	s_andn2_b64 exec, exec, s[16:17]
	s_cbranch_execz .LBB238_12
.LBB238_10:                             ; =>This Inner Loop Header: Depth=1
	global_load_dword v50, v[48:49], off
	s_waitcnt vmcnt(0) lgkmcnt(0)
	v_mad_i64_i32 v[50:51], s[0:1], v50, s44, v[46:47]
	v_lshl_add_u64 v[50:51], v[50:51], 0, v[44:45]
	global_load_ushort v62, v[50:51], off offset:8
	global_load_ushort v64, v[50:51], off offset:12
	;; [unrolled: 1-line block ×7, first 2 shown]
	global_load_ushort v61, v[50:51], off
	global_load_ushort v74, v[50:51], off offset:1024
	global_load_ushort v75, v[50:51], off offset:1028
	;; [unrolled: 1-line block ×12, first 2 shown]
	s_waitcnt vmcnt(19)
	v_cvt_pk_f32_fp8_e32 v[62:63], v62
	s_waitcnt vmcnt(18)
	v_cvt_pk_f32_fp8_e32 v[64:65], v64
	;; [unrolled: 2-line block ×5, first 2 shown]
	v_pk_mul_f32 v[62:63], s[14:15], v[62:63]
	s_waitcnt vmcnt(13)
	v_cvt_pk_f32_fp8_e32 v[50:51], v60
	s_waitcnt vmcnt(12)
	v_cvt_pk_f32_fp8_e32 v[60:61], v61
	v_cvt_pk_f32_fp8_e32 v[72:73], v72
	v_pk_mul_f32 v[64:65], s[14:15], v[64:65]
	v_pk_mul_f32 v[50:51], s[14:15], v[50:51]
	;; [unrolled: 1-line block ×3, first 2 shown]
	v_mul_f32_e32 v86, v4, v50
	v_mul_f32_e32 v87, v5, v51
	v_fmac_f32_e32 v86, v2, v60
	v_fmac_f32_e32 v87, v3, v61
	;; [unrolled: 1-line block ×4, first 2 shown]
	s_waitcnt vmcnt(11)
	v_cvt_pk_f32_fp8_e32 v[50:51], v74
	v_fmac_f32_e32 v86, v8, v64
	v_fmac_f32_e32 v87, v9, v65
	v_pk_mul_f32 v[66:67], s[14:15], v[66:67]
	s_waitcnt vmcnt(10)
	v_cvt_pk_f32_fp8_e32 v[60:61], v75
	v_fmac_f32_e32 v86, v10, v66
	v_fmac_f32_e32 v87, v11, v67
	v_pk_mul_f32 v[68:69], s[14:15], v[68:69]
	;; [unrolled: 5-line block ×4, first 2 shown]
	s_waitcnt vmcnt(7)
	v_cvt_pk_f32_fp8_e32 v[76:77], v78
	v_pk_mul_f32 v[50:51], s[14:15], v[50:51]
	v_fmac_f32_e32 v86, v16, v72
	v_fmac_f32_e32 v87, v17, v73
	s_waitcnt vmcnt(6)
	v_cvt_pk_f32_fp8_e32 v[64:65], v79
	v_pk_mul_f32 v[60:61], s[14:15], v[60:61]
	v_fmac_f32_e32 v86, v18, v50
	v_fmac_f32_e32 v87, v19, v51
	;; [unrolled: 5-line block ×8, first 2 shown]
	v_pk_mul_f32 v[80:81], s[14:15], v[80:81]
	v_fmac_f32_e32 v86, v32, v66
	v_fmac_f32_e32 v87, v33, v67
	v_pk_mul_f32 v[68:69], s[14:15], v[68:69]
	v_fmac_f32_e32 v86, v34, v80
	v_fmac_f32_e32 v87, v35, v81
	;; [unrolled: 3-line block ×4, first 2 shown]
	v_fmac_f32_e32 v86, v40, v70
	v_fmac_f32_e32 v87, v41, v71
	v_add_f32_e32 v50, v86, v87
	ds_bpermute_b32 v51, v56, v50
	s_and_saveexec_b64 s[40:41], vcc
	s_cbranch_execz .LBB238_9
; %bb.11:                               ;   in Loop: Header=BB238_10 Depth=1
	v_add_u32_e32 v60, s45, v57
	v_cvt_f32_i32_e32 v60, v60
	s_waitcnt lgkmcnt(0)
	v_add_f32_e32 v50, v50, v51
	v_cmp_gt_i32_e64 s[0:1], s29, v57
	v_max_f32_e32 v51, v1, v1
	v_mul_f32_e32 v60, s10, v60
	v_cndmask_b32_e64 v60, 0, v60, s[6:7]
	v_fmac_f32_e32 v60, s11, v50
	v_cndmask_b32_e64 v50, 0, v60, s[0:1]
	ds_write_b32 v58, v50
	v_max_f32_e32 v50, v51, v60
	v_cndmask_b32_e64 v1, v1, v50, s[0:1]
	s_branch .LBB238_9
.LBB238_12:
	s_or_b64 exec, exec, s[16:17]
.LBB238_13:
	s_or_b64 exec, exec, s[38:39]
	v_xor_b32_e32 v2, 32, v54
	v_cmp_lt_i32_e32 vcc, v2, v55
	v_xor_b32_e32 v4, 16, v54
	v_xor_b32_e32 v5, 8, v54
	v_cndmask_b32_e32 v2, v54, v2, vcc
	v_lshlrev_b32_e32 v2, 2, v2
	ds_bpermute_b32 v3, v2, v1
	v_max_f32_e32 v1, v1, v1
	v_cmp_lt_i32_e32 vcc, v4, v55
	v_xor_b32_e32 v6, 4, v54
	s_waitcnt lgkmcnt(0)
	v_max_f32_e32 v3, v3, v3
	v_max_f32_e32 v1, v1, v3
	v_cndmask_b32_e32 v3, v54, v4, vcc
	v_lshlrev_b32_e32 v3, 2, v3
	ds_bpermute_b32 v4, v3, v1
	v_cmp_lt_i32_e32 vcc, v5, v55
	s_waitcnt lgkmcnt(0)
	v_max_f32_e32 v4, v4, v4
	v_max_f32_e32 v1, v1, v4
	v_cndmask_b32_e32 v4, v54, v5, vcc
	v_lshlrev_b32_e32 v5, 2, v4
	ds_bpermute_b32 v4, v5, v1
	v_cmp_lt_i32_e32 vcc, v6, v55
	s_waitcnt lgkmcnt(0)
	v_max_f32_e32 v4, v4, v4
	v_max_f32_e32 v1, v1, v4
	v_cndmask_b32_e32 v4, v54, v6, vcc
	v_lshlrev_b32_e32 v62, 2, v4
	ds_bpermute_b32 v4, v62, v1
	v_xor_b32_e32 v6, 2, v54
	v_cmp_lt_i32_e32 vcc, v6, v55
	s_waitcnt lgkmcnt(0)
	v_max_f32_e32 v4, v4, v4
	v_max_f32_e32 v4, v1, v4
	v_cndmask_b32_e32 v1, v54, v6, vcc
	v_lshlrev_b32_e32 v63, 2, v1
	ds_bpermute_b32 v7, v63, v4
	v_and_b32_e32 v1, 63, v0
	v_cmp_eq_u32_e32 vcc, 0, v1
	v_lshlrev_b32_e32 v6, 2, v53
	s_and_saveexec_b64 s[0:1], vcc
	s_cbranch_execz .LBB238_15
; %bb.14:
	s_waitcnt lgkmcnt(0)
	v_max_f32_e32 v7, v7, v7
	v_max_f32_e32 v4, v4, v4
	;; [unrolled: 1-line block ×3, first 2 shown]
	ds_write_b32 v6, v4 offset:320
.LBB238_15:
	s_or_b64 exec, exec, s[0:1]
	v_cmp_gt_u32_e64 s[0:1], 2, v1
	v_mov_b32_e32 v4, 0xff7fffff
	s_waitcnt lgkmcnt(0)
	v_lshlrev_b32_e32 v7, 2, v1
	s_barrier
	s_and_saveexec_b64 s[6:7], s[0:1]
	s_cbranch_execz .LBB238_17
; %bb.16:
	ds_read_b32 v4, v7 offset:320
.LBB238_17:
	s_or_b64 exec, exec, s[6:7]
	v_xor_b32_e32 v8, 1, v54
	v_cmp_lt_i32_e64 s[6:7], v8, v55
	s_sub_i32 s3, s33, s3
	s_lshl_b32 s3, s3, 5
	v_cndmask_b32_e64 v8, v54, v8, s[6:7]
	v_lshlrev_b32_e32 v64, 2, v8
	s_waitcnt lgkmcnt(0)
	ds_bpermute_b32 v8, v64, v4
	v_max_f32_e32 v4, v4, v4
	s_add_i32 s3, s3, s42
	s_min_i32 s38, s3, s29
	s_sub_i32 s3, s38, s42
	s_waitcnt lgkmcnt(0)
	v_max_f32_e32 v8, v8, v8
	v_max_f32_e32 v4, v4, v8
	v_lshlrev_b32_e32 v8, 2, v54
	v_and_b32_e32 v8, 0xffffff00, v8
	ds_bpermute_b32 v4, v8, v4
	v_cmp_gt_i32_e64 s[6:7], s3, v0
	v_mov_b32_e32 v9, 0
	s_and_saveexec_b64 s[14:15], s[6:7]
	s_cbranch_execz .LBB238_21
; %bb.18:
	v_mov_b32_e32 v9, 0x150
	v_lshl_add_u32 v10, v0, 2, v9
	s_mov_b64 s[16:17], 0
	v_mov_b32_e32 v9, 0
	v_mov_b32_e32 v11, v0
.LBB238_19:                             ; =>This Inner Loop Header: Depth=1
	ds_read_b32 v12, v10
	v_add_u32_e32 v11, 0x80, v11
	v_cmp_le_i32_e64 s[10:11], s3, v11
	s_or_b64 s[16:17], s[10:11], s[16:17]
	s_waitcnt lgkmcnt(0)
	v_sub_f32_e32 v12, v12, v4
	v_mul_f32_e32 v12, 0x3fb8aa3b, v12
	v_exp_f32_e32 v12, v12
	ds_write_b32 v10, v12
	v_add_f32_e32 v9, v9, v12
	v_add_u32_e32 v10, 0x200, v10
	s_andn2_b64 exec, exec, s[16:17]
	s_cbranch_execnz .LBB238_19
; %bb.20:
	s_or_b64 exec, exec, s[16:17]
.LBB238_21:
	s_or_b64 exec, exec, s[14:15]
	ds_bpermute_b32 v2, v2, v9
	s_waitcnt lgkmcnt(0)
	v_add_f32_e32 v2, v9, v2
	ds_bpermute_b32 v3, v3, v2
	s_waitcnt lgkmcnt(0)
	v_add_f32_e32 v2, v2, v3
	;; [unrolled: 3-line block ×6, first 2 shown]
	s_and_saveexec_b64 s[10:11], vcc
	s_cbranch_execz .LBB238_23
; %bb.22:
	ds_write_b32 v6, v2 offset:328
.LBB238_23:
	s_or_b64 exec, exec, s[10:11]
	s_waitcnt lgkmcnt(0)
	s_barrier
	s_and_saveexec_b64 s[10:11], s[0:1]
	s_cbranch_execz .LBB238_25
; %bb.24:
	ds_read_b32 v2, v7 offset:328
.LBB238_25:
	s_or_b64 exec, exec, s[10:11]
	s_waitcnt lgkmcnt(0)
	ds_bpermute_b32 v3, v64, v2
	s_waitcnt lgkmcnt(0)
	v_add_f32_e32 v2, v2, v3
	ds_bpermute_b32 v5, v8, v2
	s_and_saveexec_b64 s[0:1], s[6:7]
	s_cbranch_execz .LBB238_38
; %bb.26:
	s_waitcnt lgkmcnt(0)
	v_add_f32_e32 v2, 0x358637bd, v5
	v_div_scale_f32 v3, s[6:7], v2, v2, 1.0
	v_rcp_f32_e32 v6, v3
	v_div_scale_f32 v7, vcc, 1.0, v2, 1.0
	s_movk_i32 s6, 0x7f
	v_fma_f32 v8, -v3, v6, 1.0
	v_fmac_f32_e32 v6, v8, v6
	v_mul_f32_e32 v8, v7, v6
	v_fma_f32 v9, -v3, v8, v7
	v_fmac_f32_e32 v8, v9, v6
	v_fma_f32 v3, -v3, v8, v7
	v_div_fmas_f32 v3, v3, v6, v8
	v_div_fixup_f32 v2, v3, v2, 1.0
	v_xad_u32 v3, v0, -1, s38
	v_subrev_u32_e32 v6, s42, v3
	v_cmp_lt_u32_e32 vcc, s6, v6
	s_mov_b64 s[10:11], -1
	v_mov_b32_e32 v3, v0
	s_and_saveexec_b64 s[6:7], vcc
	s_cbranch_execz .LBB238_35
; %bb.27:
	v_lshrrev_b32_e32 v6, 7, v6
	v_add_u32_e32 v8, -1, v6
	v_lshrrev_b32_e32 v7, 1, v8
	v_mov_b32_e32 v3, v2
	v_add_u32_e32 v7, 1, v7
	v_cmp_lt_u32_e32 vcc, 13, v8
	v_mov_b32_e32 v10, 0
	s_and_saveexec_b64 s[10:11], vcc
	s_cbranch_execz .LBB238_31
; %bb.28:
	v_mov_b32_e32 v9, 0x150
	v_and_b32_e32 v8, -8, v7
	v_lshl_add_u32 v9, v0, 2, v9
	s_mov_b32 s16, 0
	s_mov_b64 s[14:15], 0
.LBB238_29:                             ; =>This Inner Loop Header: Depth=1
	ds_read2st64_b32 v[10:11], v9 offset1:2
	ds_read2st64_b32 v[12:13], v9 offset0:4 offset1:6
	ds_read2st64_b32 v[14:15], v9 offset0:8 offset1:10
	ds_read2st64_b32 v[16:17], v9 offset0:12 offset1:14
	v_add_u32_e32 v8, -8, v8
	s_waitcnt lgkmcnt(3)
	v_pk_mul_f32 v[10:11], v[2:3], v[10:11]
	s_waitcnt lgkmcnt(2)
	v_pk_mul_f32 v[12:13], v[2:3], v[12:13]
	ds_write2st64_b32 v9, v10, v11 offset1:2
	ds_write2st64_b32 v9, v12, v13 offset0:4 offset1:6
	ds_read2st64_b32 v[12:13], v9 offset0:16 offset1:18
	s_waitcnt lgkmcnt(4)
	v_pk_mul_f32 v[10:11], v[2:3], v[14:15]
	ds_write2st64_b32 v9, v10, v11 offset0:8 offset1:10
	s_waitcnt lgkmcnt(4)
	v_pk_mul_f32 v[10:11], v[2:3], v[16:17]
	ds_write2st64_b32 v9, v10, v11 offset0:12 offset1:14
	ds_read2st64_b32 v[10:11], v9 offset0:20 offset1:22
	s_waitcnt lgkmcnt(3)
	v_pk_mul_f32 v[12:13], v[2:3], v[12:13]
	ds_read2st64_b32 v[14:15], v9 offset0:24 offset1:26
	ds_write2st64_b32 v9, v12, v13 offset0:16 offset1:18
	ds_read2st64_b32 v[12:13], v9 offset0:28 offset1:30
	s_waitcnt lgkmcnt(3)
	v_pk_mul_f32 v[10:11], v[2:3], v[10:11]
	ds_write2st64_b32 v9, v10, v11 offset0:20 offset1:22
	s_waitcnt lgkmcnt(3)
	v_pk_mul_f32 v[10:11], v[2:3], v[14:15]
	ds_write2st64_b32 v9, v10, v11 offset0:24 offset1:26
	s_waitcnt lgkmcnt(2)
	v_pk_mul_f32 v[10:11], v[2:3], v[12:13]
	s_add_i32 s16, s16, 16
	v_cmp_eq_u32_e32 vcc, 0, v8
	ds_write2st64_b32 v9, v10, v11 offset0:28 offset1:30
	v_add_u32_e32 v9, 0x2000, v9
	s_or_b64 s[14:15], vcc, s[14:15]
	v_mov_b32_e32 v10, s16
	s_andn2_b64 exec, exec, s[14:15]
	s_cbranch_execnz .LBB238_29
; %bb.30:
	s_or_b64 exec, exec, s[14:15]
.LBB238_31:
	s_or_b64 exec, exec, s[10:11]
	v_and_b32_e32 v7, 7, v7
	v_cmp_ne_u32_e32 vcc, 0, v7
	s_and_saveexec_b64 s[10:11], vcc
	s_cbranch_execz .LBB238_34
; %bb.32:
	v_lshlrev_b32_e32 v8, 9, v10
	s_movk_i32 s14, 0x150
	v_add3_u32 v8, v8, v52, s14
	s_mov_b64 s[14:15], 0
.LBB238_33:                             ; =>This Inner Loop Header: Depth=1
	ds_read2st64_b32 v[10:11], v8 offset1:2
	v_add_u32_e32 v7, -1, v7
	v_cmp_eq_u32_e32 vcc, 0, v7
	s_or_b64 s[14:15], vcc, s[14:15]
	s_waitcnt lgkmcnt(0)
	v_pk_mul_f32 v[10:11], v[2:3], v[10:11]
	ds_write2st64_b32 v8, v10, v11 offset1:2
	v_add_u32_e32 v8, 0x400, v8
	s_andn2_b64 exec, exec, s[14:15]
	s_cbranch_execnz .LBB238_33
.LBB238_34:
	s_or_b64 exec, exec, s[10:11]
	v_add_u32_e32 v6, 1, v6
	v_and_b32_e32 v7, 0x3fffffe, v6
	v_cmp_ne_u32_e32 vcc, v6, v7
	v_lshl_add_u32 v3, v7, 7, v0
	s_orn2_b64 s[10:11], vcc, exec
.LBB238_35:
	s_or_b64 exec, exec, s[6:7]
	s_and_b64 exec, exec, s[10:11]
	s_cbranch_execz .LBB238_38
; %bb.36:
	v_mov_b32_e32 v6, 0x150
	v_lshl_add_u32 v6, v3, 2, v6
	s_mov_b64 s[6:7], 0
.LBB238_37:                             ; =>This Inner Loop Header: Depth=1
	ds_read_b32 v7, v6
	v_add_u32_e32 v3, 0x80, v3
	v_cmp_le_i32_e32 vcc, s3, v3
	s_or_b64 s[6:7], vcc, s[6:7]
	s_waitcnt lgkmcnt(0)
	v_mul_f32_e32 v7, v2, v7
	ds_write_b32 v6, v7
	v_add_u32_e32 v6, 0x200, v6
	s_andn2_b64 exec, exec, s[6:7]
	s_cbranch_execnz .LBB238_37
.LBB238_38:
	s_or_b64 exec, exec, s[0:1]
	s_mul_i32 s0, s25, s28
	v_cmp_eq_u32_e32 vcc, 0, v0
	s_mul_i32 s6, s0, s5
	s_waitcnt lgkmcnt(0)
	s_barrier
	s_and_saveexec_b64 s[0:1], vcc
	s_cbranch_execz .LBB238_40
; %bb.39:
	s_ashr_i32 s7, s6, 31
	s_lshl_b64 s[10:11], s[6:7], 2
	s_add_u32 s5, s22, s10
	s_mul_i32 s2, s25, s2
	s_addc_u32 s7, s23, s11
	s_ashr_i32 s3, s2, 31
	s_lshl_b64 s[2:3], s[2:3], 2
	s_add_u32 s16, s5, s2
	s_addc_u32 s7, s7, s3
	s_ashr_i32 s5, s4, 31
	s_lshl_b64 s[14:15], s[4:5], 2
	s_add_u32 s16, s16, s14
	s_addc_u32 s17, s7, s15
	s_add_u32 s5, s20, s10
	s_addc_u32 s7, s21, s11
	;; [unrolled: 2-line block ×3, first 2 shown]
	s_add_u32 s2, s2, s14
	v_mov_b32_e32 v2, 0
	s_addc_u32 s3, s3, s15
	global_store_dword v2, v4, s[16:17]
	global_store_dword v2, v5, s[2:3]
.LBB238_40:
	s_or_b64 exec, exec, s[0:1]
	v_mov_b32_e32 v7, 0
	v_and_b32_e32 v65, 7, v0
	v_mov_b32_e32 v6, 0
	v_mov_b32_e32 v9, 0
	;; [unrolled: 1-line block ×9, first 2 shown]
	s_and_saveexec_b64 s[2:3], s[8:9]
	s_cbranch_execz .LBB238_64
; %bb.41:
	s_ashr_i32 s1, s43, 31
	s_load_dword s8, s[18:19], 0x0
	s_add_u32 s0, s36, s43
	s_addc_u32 s1, s37, s1
	v_and_b32_e32 v6, 0xfc, v52
	v_mov_b32_e32 v7, 0
	v_and_b32_e32 v2, 28, v52
	s_add_i32 s7, s12, -1
	v_lshl_add_u64 v[16:17], s[0:1], 0, v[6:7]
	v_lshl_add_u32 v3, v53, 5, s42
	s_lshl_b64 s[0:1], s[34:35], 2
	v_add3_u32 v66, v3, v2, 3
	v_lshlrev_b32_e32 v2, 4, v65
	s_add_u32 s0, s30, s0
	v_lshl_or_b32 v2, v53, 7, v2
	s_addc_u32 s1, s31, s1
	s_mov_b32 s5, s13
	s_waitcnt lgkmcnt(0)
	s_mov_b32 s9, s8
	v_add_u32_e32 v67, 0x150, v2
	v_lshl_add_u64 v[18:19], v[42:43], 2, s[0:1]
	s_mov_b64 s[10:11], 0
	v_mov_b32_e32 v6, v7
	v_mov_b32_e32 v9, v7
	;; [unrolled: 1-line block ×9, first 2 shown]
	s_branch .LBB238_43
.LBB238_42:                             ;   in Loop: Header=BB238_43 Depth=1
	s_or_b64 exec, exec, s[0:1]
	s_waitcnt lgkmcnt(0)
	v_mul_f32_e32 v43, v3, v61
	v_fmac_f32_e32 v43, v2, v60
	v_fmac_f32_e32 v43, v4, v58
	v_fmac_f32_e32 v43, v5, v59
	v_add_f32_e32 v6, v6, v43
	v_mul_f32_e32 v43, v3, v55
	v_fmac_f32_e32 v43, v2, v54
	v_fmac_f32_e32 v43, v4, v52
	v_fmac_f32_e32 v43, v5, v53
	v_add_f32_e32 v9, v9, v43
	;; [unrolled: 5-line block ×3, first 2 shown]
	v_mul_f32_e32 v43, v3, v47
	v_mul_f32_e32 v41, v3, v41
	;; [unrolled: 1-line block ×7, first 2 shown]
	v_fmac_f32_e32 v43, v2, v46
	v_fmac_f32_e32 v41, v2, v40
	;; [unrolled: 1-line block ×14, first 2 shown]
	v_add_u32_e32 v42, 2, v42
	v_fmac_f32_e32 v43, v5, v45
	v_fmac_f32_e32 v41, v5, v39
	;; [unrolled: 1-line block ×7, first 2 shown]
	v_cmp_le_i32_e32 vcc, s33, v42
	v_add_f32_e32 v11, v11, v43
	v_add_f32_e32 v10, v10, v41
	;; [unrolled: 1-line block ×7, first 2 shown]
	v_add_u32_e32 v66, 64, v66
	v_add_u32_e32 v67, 0x100, v67
	s_or_b64 s[10:11], vcc, s[10:11]
	v_lshl_add_u64 v[18:19], v[18:19], 0, 8
	s_andn2_b64 exec, exec, s[10:11]
	s_cbranch_execz .LBB238_63
.LBB238_43:                             ; =>This Inner Loop Header: Depth=1
	global_load_dword v2, v[18:19], off
	v_add_u32_e32 v43, -3, v66
	v_cmp_eq_u32_e32 vcc, s7, v42
	v_add_u32_e32 v68, -2, v66
	v_add_u32_e32 v69, -1, v66
	s_waitcnt vmcnt(0)
	v_mad_i64_i32 v[28:29], s[0:1], v2, s5, v[16:17]
	global_load_dword v20, v[28:29], off
	ds_read_b128 v[2:5], v67
	s_waitcnt vmcnt(0)
	v_and_b32_e32 v21, 0xffff, v20
	v_lshrrev_b32_e32 v22, 16, v20
	v_cvt_pk_f32_fp8_e32 v[20:21], v21
	v_cvt_pk_f32_fp8_e32 v[24:25], v22
	v_pk_mul_f32 v[22:23], s[8:9], v[20:21]
	v_pk_mul_f32 v[20:21], s[8:9], v[24:25]
	s_and_saveexec_b64 s[12:13], vcc
; %bb.44:                               ;   in Loop: Header=BB238_43 Depth=1
	v_cmp_gt_i32_e64 s[0:1], s29, v43
	s_nop 1
	v_cndmask_b32_e64 v22, 0, v22, s[0:1]
	v_cmp_gt_i32_e64 s[0:1], s29, v68
	s_nop 1
	v_cndmask_b32_e64 v23, 0, v23, s[0:1]
	v_cmp_gt_i32_e64 s[0:1], s29, v69
	s_nop 1
	v_cndmask_b32_e64 v20, 0, v20, s[0:1]
	v_cmp_gt_i32_e64 s[0:1], s29, v66
	s_nop 1
	v_cndmask_b32_e64 v21, 0, v21, s[0:1]
; %bb.45:                               ;   in Loop: Header=BB238_43 Depth=1
	s_or_b64 exec, exec, s[12:13]
	global_load_dword v24, v[28:29], off offset:256
	s_waitcnt vmcnt(0)
	v_and_b32_e32 v25, 0xffff, v24
	v_lshrrev_b32_e32 v26, 16, v24
	v_cvt_pk_f32_fp8_e32 v[24:25], v25
	v_cvt_pk_f32_fp8_e32 v[30:31], v26
	v_pk_mul_f32 v[26:27], s[8:9], v[24:25]
	v_pk_mul_f32 v[24:25], s[8:9], v[30:31]
	s_and_saveexec_b64 s[12:13], vcc
; %bb.46:                               ;   in Loop: Header=BB238_43 Depth=1
	v_cmp_gt_i32_e64 s[0:1], s29, v43
	s_nop 1
	v_cndmask_b32_e64 v26, 0, v26, s[0:1]
	v_cmp_gt_i32_e64 s[0:1], s29, v68
	s_nop 1
	v_cndmask_b32_e64 v27, 0, v27, s[0:1]
	v_cmp_gt_i32_e64 s[0:1], s29, v69
	s_nop 1
	v_cndmask_b32_e64 v24, 0, v24, s[0:1]
	v_cmp_gt_i32_e64 s[0:1], s29, v66
	s_nop 1
	v_cndmask_b32_e64 v25, 0, v25, s[0:1]
; %bb.47:                               ;   in Loop: Header=BB238_43 Depth=1
	s_or_b64 exec, exec, s[12:13]
	global_load_dword v30, v[28:29], off offset:512
	;; [unrolled: 24-line block ×9, first 2 shown]
	s_waitcnt vmcnt(0)
	v_and_b32_e32 v29, 0xffff, v28
	v_lshrrev_b32_e32 v56, 16, v28
	v_cvt_pk_f32_fp8_e32 v[28:29], v29
	v_cvt_pk_f32_fp8_e32 v[70:71], v56
	v_pk_mul_f32 v[56:57], s[8:9], v[28:29]
	v_pk_mul_f32 v[28:29], s[8:9], v[70:71]
	s_and_saveexec_b64 s[0:1], vcc
	s_cbranch_execz .LBB238_42
; %bb.62:                               ;   in Loop: Header=BB238_43 Depth=1
	v_cmp_gt_i32_e32 vcc, s29, v43
	s_nop 1
	v_cndmask_b32_e32 v56, 0, v56, vcc
	v_cmp_gt_i32_e32 vcc, s29, v68
	s_nop 1
	v_cndmask_b32_e32 v57, 0, v57, vcc
	;; [unrolled: 3-line block ×4, first 2 shown]
	s_branch .LBB238_42
.LBB238_63:
	s_or_b64 exec, exec, s[10:11]
.LBB238_64:
	s_or_b64 exec, exec, s[2:3]
	ds_bpermute_b32 v2, v62, v14
	ds_bpermute_b32 v3, v62, v15
	;; [unrolled: 1-line block ×6, first 2 shown]
	s_waitcnt lgkmcnt(4)
	v_pk_add_f32 v[2:3], v[14:15], v[2:3]
	ds_bpermute_b32 v14, v63, v2
	ds_bpermute_b32 v15, v63, v3
	s_waitcnt lgkmcnt(4)
	v_pk_add_f32 v[4:5], v[12:13], v[4:5]
	s_waitcnt lgkmcnt(2)
	v_pk_add_f32 v[10:11], v[10:11], v[16:17]
	ds_bpermute_b32 v18, v62, v8
	ds_bpermute_b32 v19, v62, v9
	s_waitcnt lgkmcnt(2)
	v_pk_add_f32 v[2:3], v[2:3], v[14:15]
	ds_bpermute_b32 v14, v63, v4
	ds_bpermute_b32 v15, v63, v5
	;; [unrolled: 1-line block ×6, first 2 shown]
	s_waitcnt lgkmcnt(6)
	v_pk_add_f32 v[8:9], v[8:9], v[18:19]
	s_waitcnt lgkmcnt(4)
	v_pk_add_f32 v[4:5], v[4:5], v[14:15]
	;; [unrolled: 2-line block ×3, first 2 shown]
	ds_bpermute_b32 v16, v63, v8
	ds_bpermute_b32 v17, v63, v9
	s_waitcnt lgkmcnt(2)
	v_pk_add_f32 v[20:21], v[6:7], v[20:21]
	ds_bpermute_b32 v14, v64, v4
	ds_bpermute_b32 v15, v64, v5
	;; [unrolled: 1-line block ×8, first 2 shown]
	s_waitcnt lgkmcnt(8)
	v_pk_add_f32 v[16:17], v[8:9], v[16:17]
	ds_bpermute_b32 v22, v64, v16
	ds_bpermute_b32 v23, v64, v17
	s_waitcnt lgkmcnt(8)
	v_pk_add_f32 v[6:7], v[4:5], v[14:15]
	s_waitcnt lgkmcnt(6)
	v_pk_add_f32 v[4:5], v[10:11], v[18:19]
	;; [unrolled: 2-line block ×4, first 2 shown]
	ds_bpermute_b32 v12, v64, v10
	ds_bpermute_b32 v13, v64, v11
	v_and_b32_e32 v14, 0x3c7, v0
	s_waitcnt lgkmcnt(2)
	v_pk_add_f32 v[2:3], v[16:17], v[22:23]
	v_cmp_ne_u32_e32 vcc, 64, v14
	s_waitcnt lgkmcnt(0)
	s_barrier
	s_and_saveexec_b64 s[0:1], vcc
	s_xor_b64 s[0:1], exec, s[0:1]
; %bb.65:
                                        ; implicit-def: $vgpr1
; %bb.66:
	s_or_saveexec_b64 s[0:1], s[0:1]
	v_pk_add_f32 v[10:11], v[10:11], v[12:13]
	s_xor_b64 exec, exec, s[0:1]
	s_cbranch_execz .LBB238_68
; %bb.67:
	v_lshrrev_b32_e32 v1, 1, v1
	v_add_u32_e32 v1, 0x150, v1
	ds_write2_b32 v1, v8, v9 offset1:8
	ds_write2_b32 v1, v6, v7 offset0:16 offset1:24
	ds_write2_b32 v1, v4, v5 offset0:32 offset1:40
	;; [unrolled: 1-line block ×4, first 2 shown]
.LBB238_68:
	s_or_b64 exec, exec, s[0:1]
	v_cmp_gt_u32_e32 vcc, 64, v0
	s_waitcnt lgkmcnt(0)
	s_barrier
	s_and_saveexec_b64 s[0:1], vcc
	s_cbranch_execz .LBB238_81
; %bb.69:
	v_cmp_eq_u32_e32 vcc, 0, v65
	v_lshrrev_b32_e32 v1, 3, v0
	s_and_saveexec_b64 s[2:3], vcc
	s_cbranch_execnz .LBB238_84
; %bb.70:
	s_or_b64 exec, exec, s[2:3]
	s_and_saveexec_b64 s[2:3], vcc
	s_cbranch_execnz .LBB238_85
.LBB238_71:
	s_or_b64 exec, exec, s[2:3]
	s_and_saveexec_b64 s[2:3], vcc
	s_cbranch_execnz .LBB238_86
.LBB238_72:
	s_or_b64 exec, exec, s[2:3]
	s_and_saveexec_b64 s[2:3], vcc
	s_cbranch_execnz .LBB238_87
.LBB238_73:
	s_or_b64 exec, exec, s[2:3]
	s_and_saveexec_b64 s[2:3], vcc
	s_cbranch_execnz .LBB238_88
.LBB238_74:
	s_or_b64 exec, exec, s[2:3]
	s_and_saveexec_b64 s[2:3], vcc
	s_cbranch_execnz .LBB238_89
.LBB238_75:
	s_or_b64 exec, exec, s[2:3]
	s_and_saveexec_b64 s[2:3], vcc
	s_cbranch_execnz .LBB238_90
.LBB238_76:
	s_or_b64 exec, exec, s[2:3]
	s_and_saveexec_b64 s[2:3], vcc
	s_cbranch_execnz .LBB238_91
.LBB238_77:
	s_or_b64 exec, exec, s[2:3]
	s_and_saveexec_b64 s[2:3], vcc
	s_cbranch_execnz .LBB238_92
.LBB238_78:
	s_or_b64 exec, exec, s[2:3]
	s_and_saveexec_b64 s[2:3], vcc
	s_cbranch_execz .LBB238_80
.LBB238_79:
	v_mov_b32_e32 v12, 0x150
	v_lshl_add_u32 v1, v1, 2, v12
	ds_read_b32 v1, v1 offset:288
	s_waitcnt lgkmcnt(0)
	v_add_f32_e32 v11, v11, v1
.LBB238_80:
	s_or_b64 exec, exec, s[2:3]
.LBB238_81:
	s_or_b64 exec, exec, s[0:1]
	v_cmp_eq_u32_e32 vcc, 0, v14
	s_barrier
	s_and_saveexec_b64 s[0:1], vcc
	s_cbranch_execz .LBB238_83
; %bb.82:
	s_mul_i32 s0, s6, 0x50
	s_ashr_i32 s1, s0, 31
	s_lshl_b64 s[0:1], s[0:1], 2
	s_add_u32 s2, s26, s0
	s_mul_i32 s0, s25, s24
	s_addc_u32 s3, s27, s1
	s_ashr_i32 s1, s0, 31
	s_lshl_b64 s[0:1], s[0:1], 2
	s_add_u32 s2, s2, s0
	s_mul_i32 s0, s4, 0x50
	s_addc_u32 s3, s3, s1
	s_ashr_i32 s1, s0, 31
	s_lshl_b64 s[0:1], s[0:1], 2
	s_add_u32 s0, s2, s0
	s_addc_u32 s1, s3, s1
	v_lshrrev_b32_e32 v0, 1, v0
	global_store_dword v0, v8, s[0:1]
	global_store_dword v0, v9, s[0:1] offset:32
	global_store_dword v0, v6, s[0:1] offset:64
	global_store_dword v0, v7, s[0:1] offset:96
	global_store_dword v0, v4, s[0:1] offset:128
	global_store_dword v0, v5, s[0:1] offset:160
	global_store_dword v0, v2, s[0:1] offset:192
	global_store_dword v0, v3, s[0:1] offset:224
	global_store_dword v0, v10, s[0:1] offset:256
	global_store_dword v0, v11, s[0:1] offset:288
.LBB238_83:
	s_endpgm
.LBB238_84:
	v_mov_b32_e32 v12, 0x150
	v_lshl_add_u32 v12, v1, 2, v12
	ds_read_b32 v12, v12
	s_waitcnt lgkmcnt(0)
	v_add_f32_e32 v8, v8, v12
	s_or_b64 exec, exec, s[2:3]
	s_and_saveexec_b64 s[2:3], vcc
	s_cbranch_execz .LBB238_71
.LBB238_85:
	v_mov_b32_e32 v12, 0x150
	v_lshl_add_u32 v12, v1, 2, v12
	ds_read_b32 v12, v12 offset:32
	s_waitcnt lgkmcnt(0)
	v_add_f32_e32 v9, v9, v12
	s_or_b64 exec, exec, s[2:3]
	s_and_saveexec_b64 s[2:3], vcc
	s_cbranch_execz .LBB238_72
.LBB238_86:
	v_mov_b32_e32 v12, 0x150
	v_lshl_add_u32 v12, v1, 2, v12
	ds_read_b32 v12, v12 offset:64
	s_waitcnt lgkmcnt(0)
	v_add_f32_e32 v6, v6, v12
	s_or_b64 exec, exec, s[2:3]
	s_and_saveexec_b64 s[2:3], vcc
	s_cbranch_execz .LBB238_73
.LBB238_87:
	v_mov_b32_e32 v12, 0x150
	v_lshl_add_u32 v12, v1, 2, v12
	ds_read_b32 v12, v12 offset:96
	s_waitcnt lgkmcnt(0)
	v_add_f32_e32 v7, v7, v12
	s_or_b64 exec, exec, s[2:3]
	s_and_saveexec_b64 s[2:3], vcc
	s_cbranch_execz .LBB238_74
.LBB238_88:
	v_mov_b32_e32 v12, 0x150
	v_lshl_add_u32 v12, v1, 2, v12
	ds_read_b32 v12, v12 offset:128
	s_waitcnt lgkmcnt(0)
	v_add_f32_e32 v4, v4, v12
	s_or_b64 exec, exec, s[2:3]
	s_and_saveexec_b64 s[2:3], vcc
	s_cbranch_execz .LBB238_75
.LBB238_89:
	v_mov_b32_e32 v12, 0x150
	v_lshl_add_u32 v12, v1, 2, v12
	ds_read_b32 v12, v12 offset:160
	s_waitcnt lgkmcnt(0)
	v_add_f32_e32 v5, v5, v12
	s_or_b64 exec, exec, s[2:3]
	s_and_saveexec_b64 s[2:3], vcc
	s_cbranch_execz .LBB238_76
.LBB238_90:
	v_mov_b32_e32 v12, 0x150
	v_lshl_add_u32 v12, v1, 2, v12
	ds_read_b32 v12, v12 offset:192
	s_waitcnt lgkmcnt(0)
	v_add_f32_e32 v2, v2, v12
	s_or_b64 exec, exec, s[2:3]
	s_and_saveexec_b64 s[2:3], vcc
	s_cbranch_execz .LBB238_77
.LBB238_91:
	v_mov_b32_e32 v12, 0x150
	v_lshl_add_u32 v12, v1, 2, v12
	ds_read_b32 v12, v12 offset:224
	s_waitcnt lgkmcnt(0)
	v_add_f32_e32 v3, v3, v12
	s_or_b64 exec, exec, s[2:3]
	s_and_saveexec_b64 s[2:3], vcc
	s_cbranch_execz .LBB238_78
.LBB238_92:
	v_mov_b32_e32 v12, 0x150
	v_lshl_add_u32 v12, v1, 2, v12
	ds_read_b32 v12, v12 offset:256
	s_waitcnt lgkmcnt(0)
	v_add_f32_e32 v10, v10, v12
	s_or_b64 exec, exec, s[2:3]
	s_and_saveexec_b64 s[2:3], vcc
	s_cbranch_execnz .LBB238_79
	s_branch .LBB238_80
	.section	.rodata,"a",@progbits
	.p2align	6, 0x0
	.amdhsa_kernel _ZN4vllm25paged_attention_v2_kernelIfhLi80ELi32ELi128ELNS_18Fp8KVCacheDataTypeE1ELb0ELi512EEEvPfS2_PT_PKS3_PKT0_S9_ifPKiSB_iPKfiiiSD_SD_iiiii
		.amdhsa_group_segment_fixed_size 336
		.amdhsa_private_segment_fixed_size 0
		.amdhsa_kernarg_size 400
		.amdhsa_user_sgpr_count 2
		.amdhsa_user_sgpr_dispatch_ptr 0
		.amdhsa_user_sgpr_queue_ptr 0
		.amdhsa_user_sgpr_kernarg_segment_ptr 1
		.amdhsa_user_sgpr_dispatch_id 0
		.amdhsa_user_sgpr_kernarg_preload_length 0
		.amdhsa_user_sgpr_kernarg_preload_offset 0
		.amdhsa_user_sgpr_private_segment_size 0
		.amdhsa_uses_dynamic_stack 0
		.amdhsa_enable_private_segment 0
		.amdhsa_system_sgpr_workgroup_id_x 1
		.amdhsa_system_sgpr_workgroup_id_y 1
		.amdhsa_system_sgpr_workgroup_id_z 1
		.amdhsa_system_sgpr_workgroup_info 0
		.amdhsa_system_vgpr_workitem_id 0
		.amdhsa_next_free_vgpr 88
		.amdhsa_next_free_sgpr 46
		.amdhsa_accum_offset 88
		.amdhsa_reserve_vcc 1
		.amdhsa_float_round_mode_32 0
		.amdhsa_float_round_mode_16_64 0
		.amdhsa_float_denorm_mode_32 3
		.amdhsa_float_denorm_mode_16_64 3
		.amdhsa_dx10_clamp 1
		.amdhsa_ieee_mode 1
		.amdhsa_fp16_overflow 0
		.amdhsa_tg_split 0
		.amdhsa_exception_fp_ieee_invalid_op 0
		.amdhsa_exception_fp_denorm_src 0
		.amdhsa_exception_fp_ieee_div_zero 0
		.amdhsa_exception_fp_ieee_overflow 0
		.amdhsa_exception_fp_ieee_underflow 0
		.amdhsa_exception_fp_ieee_inexact 0
		.amdhsa_exception_int_div_zero 0
	.end_amdhsa_kernel
	.section	.text._ZN4vllm25paged_attention_v2_kernelIfhLi80ELi32ELi128ELNS_18Fp8KVCacheDataTypeE1ELb0ELi512EEEvPfS2_PT_PKS3_PKT0_S9_ifPKiSB_iPKfiiiSD_SD_iiiii,"axG",@progbits,_ZN4vllm25paged_attention_v2_kernelIfhLi80ELi32ELi128ELNS_18Fp8KVCacheDataTypeE1ELb0ELi512EEEvPfS2_PT_PKS3_PKT0_S9_ifPKiSB_iPKfiiiSD_SD_iiiii,comdat
.Lfunc_end238:
	.size	_ZN4vllm25paged_attention_v2_kernelIfhLi80ELi32ELi128ELNS_18Fp8KVCacheDataTypeE1ELb0ELi512EEEvPfS2_PT_PKS3_PKT0_S9_ifPKiSB_iPKfiiiSD_SD_iiiii, .Lfunc_end238-_ZN4vllm25paged_attention_v2_kernelIfhLi80ELi32ELi128ELNS_18Fp8KVCacheDataTypeE1ELb0ELi512EEEvPfS2_PT_PKS3_PKT0_S9_ifPKiSB_iPKfiiiSD_SD_iiiii
                                        ; -- End function
	.section	.AMDGPU.csdata,"",@progbits
; Kernel info:
; codeLenInByte = 6360
; NumSgprs: 52
; NumVgprs: 88
; NumAgprs: 0
; TotalNumVgprs: 88
; ScratchSize: 0
; MemoryBound: 0
; FloatMode: 240
; IeeeMode: 1
; LDSByteSize: 336 bytes/workgroup (compile time only)
; SGPRBlocks: 6
; VGPRBlocks: 10
; NumSGPRsForWavesPerEU: 52
; NumVGPRsForWavesPerEU: 88
; AccumOffset: 88
; Occupancy: 5
; WaveLimiterHint : 1
; COMPUTE_PGM_RSRC2:SCRATCH_EN: 0
; COMPUTE_PGM_RSRC2:USER_SGPR: 2
; COMPUTE_PGM_RSRC2:TRAP_HANDLER: 0
; COMPUTE_PGM_RSRC2:TGID_X_EN: 1
; COMPUTE_PGM_RSRC2:TGID_Y_EN: 1
; COMPUTE_PGM_RSRC2:TGID_Z_EN: 1
; COMPUTE_PGM_RSRC2:TIDIG_COMP_CNT: 0
; COMPUTE_PGM_RSRC3_GFX90A:ACCUM_OFFSET: 21
; COMPUTE_PGM_RSRC3_GFX90A:TG_SPLIT: 0
	.section	.text._ZN4vllm25paged_attention_v2_kernelIfhLi96ELi32ELi128ELNS_18Fp8KVCacheDataTypeE1ELb0ELi512EEEvPfS2_PT_PKS3_PKT0_S9_ifPKiSB_iPKfiiiSD_SD_iiiii,"axG",@progbits,_ZN4vllm25paged_attention_v2_kernelIfhLi96ELi32ELi128ELNS_18Fp8KVCacheDataTypeE1ELb0ELi512EEEvPfS2_PT_PKS3_PKT0_S9_ifPKiSB_iPKfiiiSD_SD_iiiii,comdat
	.protected	_ZN4vllm25paged_attention_v2_kernelIfhLi96ELi32ELi128ELNS_18Fp8KVCacheDataTypeE1ELb0ELi512EEEvPfS2_PT_PKS3_PKT0_S9_ifPKiSB_iPKfiiiSD_SD_iiiii ; -- Begin function _ZN4vllm25paged_attention_v2_kernelIfhLi96ELi32ELi128ELNS_18Fp8KVCacheDataTypeE1ELb0ELi512EEEvPfS2_PT_PKS3_PKT0_S9_ifPKiSB_iPKfiiiSD_SD_iiiii
	.globl	_ZN4vllm25paged_attention_v2_kernelIfhLi96ELi32ELi128ELNS_18Fp8KVCacheDataTypeE1ELb0ELi512EEEvPfS2_PT_PKS3_PKT0_S9_ifPKiSB_iPKfiiiSD_SD_iiiii
	.p2align	8
	.type	_ZN4vllm25paged_attention_v2_kernelIfhLi96ELi32ELi128ELNS_18Fp8KVCacheDataTypeE1ELb0ELi512EEEvPfS2_PT_PKS3_PKT0_S9_ifPKiSB_iPKfiiiSD_SD_iiiii,@function
_ZN4vllm25paged_attention_v2_kernelIfhLi96ELi32ELi128ELNS_18Fp8KVCacheDataTypeE1ELb0ELi512EEEvPfS2_PT_PKS3_PKT0_S9_ifPKiSB_iPKfiiiSD_SD_iiiii: ; @_ZN4vllm25paged_attention_v2_kernelIfhLi96ELi32ELi128ELNS_18Fp8KVCacheDataTypeE1ELb0ELi512EEEvPfS2_PT_PKS3_PKT0_S9_ifPKiSB_iPKfiiiSD_SD_iiiii
; %bb.0:
	s_load_dwordx2 s[6:7], s[0:1], 0x40
	s_mov_b32 s28, s3
	s_ashr_i32 s29, s3, 31
	s_lshl_b64 s[8:9], s[28:29], 2
	s_waitcnt lgkmcnt(0)
	s_add_u32 s6, s6, s8
	s_addc_u32 s7, s7, s9
	s_load_dword s29, s[6:7], 0x0
	s_lshl_b32 s42, s4, 9
	s_waitcnt lgkmcnt(0)
	s_cmp_ge_i32 s42, s29
	s_cbranch_scc1 .LBB239_89
; %bb.1:
	s_load_dword s5, s[0:1], 0x90
	s_load_dwordx2 s[10:11], s[0:1], 0x30
	s_waitcnt lgkmcnt(0)
	s_abs_i32 s7, s5
	s_abs_i32 s3, s10
	v_cvt_f32_u32_e32 v1, s3
	s_sub_i32 s8, 0, s3
	s_xor_b32 s6, s5, s10
	s_ashr_i32 s6, s6, 31
	v_rcp_iflag_f32_e32 v1, v1
	s_nop 0
	v_mul_f32_e32 v1, 0x4f7ffffe, v1
	v_cvt_u32_f32_e32 v1, v1
	s_nop 0
	v_readfirstlane_b32 s9, v1
	s_mul_i32 s8, s8, s9
	s_mul_hi_u32 s8, s9, s8
	s_add_i32 s9, s9, s8
	s_mul_hi_u32 s8, s7, s9
	s_mul_i32 s9, s8, s3
	s_sub_i32 s7, s7, s9
	s_add_i32 s10, s8, 1
	s_sub_i32 s9, s7, s3
	s_cmp_ge_u32 s7, s3
	s_cselect_b32 s8, s10, s8
	s_cselect_b32 s7, s9, s7
	s_add_i32 s9, s8, 1
	s_cmp_ge_u32 s7, s3
	s_cselect_b32 s3, s9, s8
	s_xor_b32 s3, s3, s6
	s_sub_i32 s12, s3, s6
	s_abs_i32 s8, s12
	v_cvt_f32_u32_e32 v1, s8
	s_load_dwordx2 s[6:7], s[0:1], 0x50
	s_sub_i32 s3, 0, s8
	s_abs_i32 s9, s2
	v_rcp_iflag_f32_e32 v1, v1
	s_mov_b32 s10, 0
	v_mul_f32_e32 v1, 0x4f7ffffe, v1
	v_cvt_u32_f32_e32 v1, v1
	s_nop 0
	v_readfirstlane_b32 s13, v1
	s_mul_i32 s3, s3, s13
	s_mul_hi_u32 s3, s13, s3
	s_add_i32 s13, s13, s3
	s_waitcnt lgkmcnt(0)
	s_cmp_eq_u64 s[6:7], 0
	s_mul_hi_u32 s16, s9, s13
	s_cbranch_scc1 .LBB239_3
; %bb.2:
	s_ashr_i32 s3, s2, 31
	s_lshl_b64 s[14:15], s[2:3], 2
	s_add_u32 s6, s6, s14
	s_addc_u32 s7, s7, s15
	s_load_dword s10, s[6:7], 0x0
.LBB239_3:
	s_ashr_i32 s18, s12, 31
	s_load_dwordx4 s[12:15], s[0:1], 0x58
	s_ashr_i32 s17, s2, 31
	v_and_b32_e32 v42, 1, v0
	s_mul_i32 s24, s2, 0x60
	v_cmp_gt_u32_e32 vcc, 48, v0
	v_lshlrev_b32_e32 v60, 2, v0
	s_and_saveexec_b64 s[6:7], vcc
	s_cbranch_execz .LBB239_5
; %bb.4:
	s_load_dwordx2 s[20:21], s[0:1], 0x18
	s_waitcnt lgkmcnt(0)
	s_mul_i32 s22, s28, s12
	s_ashr_i32 s23, s22, 31
	s_lshl_b64 s[22:23], s[22:23], 2
	v_lshlrev_b32_e32 v1, 3, v0
	s_add_u32 s3, s20, s22
	s_addc_u32 s12, s21, s23
	s_ashr_i32 s25, s24, 31
	s_lshl_b64 s[20:21], s[24:25], 2
	s_add_u32 s20, s3, s20
	s_addc_u32 s21, s12, s21
	global_load_dwordx2 v[2:3], v1, s[20:21]
	v_and_b32_e32 v1, 0xff8, v60
	s_movk_i32 s3, 0xc0
	v_mad_u32_u24 v1, v42, s3, v1
	s_waitcnt vmcnt(0)
	ds_write_b64 v1, v[2:3]
.LBB239_5:
	s_or_b64 exec, exec, s[6:7]
	s_add_i32 s3, s29, 31
	s_ashr_i32 s6, s3, 31
	s_lshr_b32 s6, s6, 27
	s_add_i32 s3, s3, s6
	s_waitcnt lgkmcnt(0)
	s_ashr_i32 s12, s3, 5
	s_lshl_b32 s3, s4, 4
	s_mul_i32 s7, s16, s8
	s_add_i32 s6, s3, 16
	s_sub_i32 s7, s9, s7
	s_min_i32 s33, s6, s12
	s_xor_b32 s6, s17, s18
	s_add_i32 s9, s16, 1
	s_sub_i32 s15, s7, s8
	s_cmp_ge_u32 s7, s8
	s_cselect_b32 s9, s9, s16
	s_cselect_b32 s7, s15, s7
	s_add_i32 s15, s9, 1
	s_cmp_ge_u32 s7, s8
	s_load_dwordx2 s[30:31], s[0:1], 0x38
	s_load_dword s8, s[0:1], 0x48
	v_lshrrev_b32_e32 v61, 6, v0
	s_cselect_b32 s7, s15, s9
	s_xor_b32 s7, s7, s6
	v_or_b32_e32 v50, s3, v61
	s_waitcnt lgkmcnt(0)
	s_mul_i32 s34, s28, s8
	s_sub_i32 s43, s7, s6
	s_ashr_i32 s35, s34, 31
	v_cmp_gt_i32_e64 s[8:9], s33, v50
	v_cmp_le_i32_e32 vcc, s33, v50
	v_mbcnt_lo_u32_b32 v43, -1, 0
	s_barrier
	s_waitcnt lgkmcnt(0)
                                        ; implicit-def: $sgpr15
                                        ; implicit-def: $vgpr62
                                        ; implicit-def: $vgpr63
	s_and_saveexec_b64 s[6:7], vcc
	s_xor_b64 s[6:7], exec, s[6:7]
; %bb.6:
	v_mbcnt_hi_u32_b32 v62, -1, v43
	v_and_b32_e32 v1, 64, v62
	v_add_u32_e32 v63, 64, v1
	s_mov_b32 s15, 0xff7fffff
                                        ; implicit-def: $vgpr42
                                        ; implicit-def: $vgpr43
; %bb.7:
	s_or_saveexec_b64 s[38:39], s[6:7]
	s_load_dwordx4 s[20:23], s[0:1], 0x0
	s_load_dwordx2 s[26:27], s[0:1], 0x10
	s_load_dword s25, s[0:1], 0x98
	s_load_dwordx2 s[36:37], s[0:1], 0x28
	s_load_dwordx4 s[16:19], s[0:1], 0x68
	v_mov_b32_e32 v1, s15
	s_mul_i32 s43, s43, s14
	v_ashrrev_i32_e32 v51, 31, v50
	s_xor_b64 exec, exec, s[38:39]
	s_cbranch_execz .LBB239_13
; %bb.8:
	v_mul_u32_u24_e32 v46, 0xc0, v42
	s_load_dwordx2 s[0:1], s[0:1], 0x20
	ds_read_b128 v[2:5], v46
	ds_read_b128 v[6:9], v46 offset:16
	ds_read_b128 v[10:13], v46 offset:32
	;; [unrolled: 1-line block ×9, first 2 shown]
	v_mbcnt_hi_u32_b32 v62, -1, v43
	s_ashr_i32 s6, s43, 31
	v_and_b32_e32 v44, 64, v62
	v_bfe_u32 v1, v0, 1, 5
	s_waitcnt lgkmcnt(0)
	s_add_u32 s0, s0, s43
	v_xor_b32_e32 v43, 1, v62
	v_add_u32_e32 v63, 64, v44
	v_lshlrev_b32_e32 v52, 4, v1
	s_addc_u32 s1, s1, s6
	v_mov_b32_e32 v53, 0
	v_cmp_lt_i32_e32 vcc, v43, v63
	v_lshl_add_u64 v[54:55], s[0:1], 0, v[52:53]
	v_lshlrev_b32_e32 v52, 1, v42
	s_load_dword s14, s[16:17], 0x0
	v_cndmask_b32_e32 v43, v62, v43, vcc
	v_cmp_eq_u32_e32 vcc, 0, v42
	v_lshlrev_b32_e32 v42, 5, v61
	v_lshlrev_b32_e32 v64, 2, v43
	v_add3_u32 v65, s42, v42, v1
	ds_read_b128 v[42:45], v46 offset:160
	ds_read_b128 v[46:49], v46 offset:176
	s_sub_i32 s45, 1, s29
	s_lshl_b64 s[0:1], s[34:35], 2
	v_lshlrev_b32_e32 v1, 2, v1
	s_add_u32 s0, s30, s0
	v_lshl_or_b32 v1, v61, 7, v1
	s_addc_u32 s1, s31, s1
	s_mov_b32 s44, s13
	v_cmp_neq_f32_e64 s[6:7], s10, 0
	s_waitcnt lgkmcnt(0)
	s_mov_b32 s15, s14
	v_add_u32_e32 v66, 0x190, v1
	v_lshl_add_u64 v[56:57], v[50:51], 2, s[0:1]
	s_mov_b64 s[16:17], 0
	v_mov_b32_e32 v1, 0xff7fffff
	v_mov_b32_e32 v67, v50
	s_branch .LBB239_10
.LBB239_9:                              ;   in Loop: Header=BB239_10 Depth=1
	s_or_b64 exec, exec, s[40:41]
	v_add_u32_e32 v67, 2, v67
	v_cmp_le_i32_e64 s[0:1], s33, v67
	v_add_u32_e32 v65, 64, v65
	v_add_u32_e32 v66, 0x100, v66
	s_or_b64 s[16:17], s[0:1], s[16:17]
	v_lshl_add_u64 v[56:57], v[56:57], 0, 8
	s_andn2_b64 exec, exec, s[16:17]
	s_cbranch_execz .LBB239_12
.LBB239_10:                             ; =>This Inner Loop Header: Depth=1
	global_load_dword v58, v[56:57], off
	s_waitcnt vmcnt(0) lgkmcnt(0)
	v_mad_i64_i32 v[58:59], s[0:1], v58, s44, v[54:55]
	v_lshl_add_u64 v[58:59], v[58:59], 0, v[52:53]
	global_load_ushort v70, v[58:59], off offset:8
	global_load_ushort v72, v[58:59], off offset:12
	;; [unrolled: 1-line block ×7, first 2 shown]
	global_load_ushort v69, v[58:59], off
	global_load_ushort v82, v[58:59], off offset:1024
	global_load_ushort v84, v[58:59], off offset:1028
	;; [unrolled: 1-line block ×16, first 2 shown]
	s_waitcnt vmcnt(23)
	v_cvt_pk_f32_fp8_e32 v[70:71], v70
	s_waitcnt vmcnt(22)
	v_cvt_pk_f32_fp8_e32 v[72:73], v72
	;; [unrolled: 2-line block ×5, first 2 shown]
	v_pk_mul_f32 v[70:71], s[14:15], v[70:71]
	s_waitcnt vmcnt(17)
	v_cvt_pk_f32_fp8_e32 v[58:59], v68
	s_waitcnt vmcnt(16)
	v_cvt_pk_f32_fp8_e32 v[68:69], v69
	v_cvt_pk_f32_fp8_e32 v[80:81], v80
	v_pk_mul_f32 v[72:73], s[14:15], v[72:73]
	v_pk_mul_f32 v[58:59], s[14:15], v[58:59]
	;; [unrolled: 1-line block ×3, first 2 shown]
	v_mul_f32_e32 v102, v4, v58
	v_mul_f32_e32 v103, v5, v59
	v_fmac_f32_e32 v102, v2, v68
	v_fmac_f32_e32 v103, v3, v69
	;; [unrolled: 1-line block ×4, first 2 shown]
	s_waitcnt vmcnt(15)
	v_cvt_pk_f32_fp8_e32 v[82:83], v82
	v_fmac_f32_e32 v102, v8, v72
	v_fmac_f32_e32 v103, v9, v73
	v_pk_mul_f32 v[74:75], s[14:15], v[74:75]
	s_waitcnt vmcnt(14)
	v_cvt_pk_f32_fp8_e32 v[84:85], v84
	v_fmac_f32_e32 v102, v10, v74
	v_fmac_f32_e32 v103, v11, v75
	v_pk_mul_f32 v[76:77], s[14:15], v[76:77]
	;; [unrolled: 5-line block ×4, first 2 shown]
	s_waitcnt vmcnt(11)
	v_cvt_pk_f32_fp8_e32 v[58:59], v90
	v_pk_mul_f32 v[82:83], s[14:15], v[82:83]
	v_fmac_f32_e32 v102, v16, v80
	v_fmac_f32_e32 v103, v17, v81
	s_waitcnt vmcnt(10)
	v_cvt_pk_f32_fp8_e32 v[68:69], v91
	v_pk_mul_f32 v[84:85], s[14:15], v[84:85]
	v_fmac_f32_e32 v102, v18, v82
	v_fmac_f32_e32 v103, v19, v83
	;; [unrolled: 5-line block ×12, first 2 shown]
	v_pk_mul_f32 v[96:97], s[14:15], v[96:97]
	v_fmac_f32_e32 v102, v40, v74
	v_fmac_f32_e32 v103, v41, v75
	v_pk_mul_f32 v[76:77], s[14:15], v[76:77]
	v_fmac_f32_e32 v102, v42, v96
	v_fmac_f32_e32 v103, v43, v97
	;; [unrolled: 3-line block ×4, first 2 shown]
	v_fmac_f32_e32 v102, v48, v78
	v_fmac_f32_e32 v103, v49, v79
	v_add_f32_e32 v58, v102, v103
	ds_bpermute_b32 v59, v64, v58
	s_and_saveexec_b64 s[40:41], vcc
	s_cbranch_execz .LBB239_9
; %bb.11:                               ;   in Loop: Header=BB239_10 Depth=1
	v_add_u32_e32 v68, s45, v65
	v_cvt_f32_i32_e32 v68, v68
	s_waitcnt lgkmcnt(0)
	v_add_f32_e32 v58, v58, v59
	v_cmp_gt_i32_e64 s[0:1], s29, v65
	v_max_f32_e32 v59, v1, v1
	v_mul_f32_e32 v68, s10, v68
	v_cndmask_b32_e64 v68, 0, v68, s[6:7]
	v_fmac_f32_e32 v68, s11, v58
	v_cndmask_b32_e64 v58, 0, v68, s[0:1]
	ds_write_b32 v66, v58
	v_max_f32_e32 v58, v59, v68
	v_cndmask_b32_e64 v1, v1, v58, s[0:1]
	s_branch .LBB239_9
.LBB239_12:
	s_or_b64 exec, exec, s[16:17]
.LBB239_13:
	s_or_b64 exec, exec, s[38:39]
	v_xor_b32_e32 v2, 32, v62
	v_cmp_lt_i32_e32 vcc, v2, v63
	v_xor_b32_e32 v4, 16, v62
	v_xor_b32_e32 v5, 8, v62
	v_cndmask_b32_e32 v2, v62, v2, vcc
	v_lshlrev_b32_e32 v2, 2, v2
	ds_bpermute_b32 v3, v2, v1
	v_max_f32_e32 v1, v1, v1
	v_cmp_lt_i32_e32 vcc, v4, v63
	v_xor_b32_e32 v6, 4, v62
	s_waitcnt lgkmcnt(0)
	v_max_f32_e32 v3, v3, v3
	v_max_f32_e32 v1, v1, v3
	v_cndmask_b32_e32 v3, v62, v4, vcc
	v_lshlrev_b32_e32 v3, 2, v3
	ds_bpermute_b32 v4, v3, v1
	v_cmp_lt_i32_e32 vcc, v5, v63
	s_waitcnt lgkmcnt(0)
	v_max_f32_e32 v4, v4, v4
	v_max_f32_e32 v1, v1, v4
	v_cndmask_b32_e32 v4, v62, v5, vcc
	v_lshlrev_b32_e32 v5, 2, v4
	ds_bpermute_b32 v4, v5, v1
	v_cmp_lt_i32_e32 vcc, v6, v63
	s_waitcnt lgkmcnt(0)
	v_max_f32_e32 v4, v4, v4
	v_max_f32_e32 v1, v1, v4
	v_cndmask_b32_e32 v4, v62, v6, vcc
	v_lshlrev_b32_e32 v72, 2, v4
	ds_bpermute_b32 v4, v72, v1
	v_xor_b32_e32 v6, 2, v62
	v_cmp_lt_i32_e32 vcc, v6, v63
	s_waitcnt lgkmcnt(0)
	v_max_f32_e32 v4, v4, v4
	v_max_f32_e32 v4, v1, v4
	v_cndmask_b32_e32 v1, v62, v6, vcc
	v_lshlrev_b32_e32 v73, 2, v1
	ds_bpermute_b32 v7, v73, v4
	v_and_b32_e32 v1, 63, v0
	v_cmp_eq_u32_e32 vcc, 0, v1
	v_lshlrev_b32_e32 v6, 2, v61
	s_and_saveexec_b64 s[0:1], vcc
	s_cbranch_execz .LBB239_15
; %bb.14:
	s_waitcnt lgkmcnt(0)
	v_max_f32_e32 v7, v7, v7
	v_max_f32_e32 v4, v4, v4
	;; [unrolled: 1-line block ×3, first 2 shown]
	ds_write_b32 v6, v4 offset:384
.LBB239_15:
	s_or_b64 exec, exec, s[0:1]
	v_cmp_gt_u32_e64 s[0:1], 2, v1
	v_mov_b32_e32 v4, 0xff7fffff
	s_waitcnt lgkmcnt(0)
	v_lshlrev_b32_e32 v7, 2, v1
	s_barrier
	s_and_saveexec_b64 s[6:7], s[0:1]
	s_cbranch_execz .LBB239_17
; %bb.16:
	ds_read_b32 v4, v7 offset:384
.LBB239_17:
	s_or_b64 exec, exec, s[6:7]
	v_xor_b32_e32 v8, 1, v62
	v_cmp_lt_i32_e64 s[6:7], v8, v63
	s_sub_i32 s3, s33, s3
	s_lshl_b32 s3, s3, 5
	v_cndmask_b32_e64 v8, v62, v8, s[6:7]
	v_lshlrev_b32_e32 v74, 2, v8
	s_waitcnt lgkmcnt(0)
	ds_bpermute_b32 v8, v74, v4
	v_max_f32_e32 v4, v4, v4
	s_add_i32 s3, s3, s42
	s_min_i32 s38, s3, s29
	s_sub_i32 s3, s38, s42
	s_waitcnt lgkmcnt(0)
	v_max_f32_e32 v8, v8, v8
	v_max_f32_e32 v4, v4, v8
	v_lshlrev_b32_e32 v8, 2, v62
	v_and_b32_e32 v8, 0xffffff00, v8
	ds_bpermute_b32 v4, v8, v4
	v_cmp_gt_i32_e64 s[6:7], s3, v0
	v_mov_b32_e32 v9, 0
	s_and_saveexec_b64 s[14:15], s[6:7]
	s_cbranch_execz .LBB239_21
; %bb.18:
	v_mov_b32_e32 v9, 0x190
	v_lshl_add_u32 v10, v0, 2, v9
	s_mov_b64 s[16:17], 0
	v_mov_b32_e32 v9, 0
	v_mov_b32_e32 v11, v0
.LBB239_19:                             ; =>This Inner Loop Header: Depth=1
	ds_read_b32 v12, v10
	v_add_u32_e32 v11, 0x80, v11
	v_cmp_le_i32_e64 s[10:11], s3, v11
	s_or_b64 s[16:17], s[10:11], s[16:17]
	s_waitcnt lgkmcnt(0)
	v_sub_f32_e32 v12, v12, v4
	v_mul_f32_e32 v12, 0x3fb8aa3b, v12
	v_exp_f32_e32 v12, v12
	ds_write_b32 v10, v12
	v_add_f32_e32 v9, v9, v12
	v_add_u32_e32 v10, 0x200, v10
	s_andn2_b64 exec, exec, s[16:17]
	s_cbranch_execnz .LBB239_19
; %bb.20:
	s_or_b64 exec, exec, s[16:17]
.LBB239_21:
	s_or_b64 exec, exec, s[14:15]
	ds_bpermute_b32 v2, v2, v9
	s_waitcnt lgkmcnt(0)
	v_add_f32_e32 v2, v9, v2
	ds_bpermute_b32 v3, v3, v2
	s_waitcnt lgkmcnt(0)
	v_add_f32_e32 v2, v2, v3
	;; [unrolled: 3-line block ×6, first 2 shown]
	s_and_saveexec_b64 s[10:11], vcc
	s_cbranch_execz .LBB239_23
; %bb.22:
	ds_write_b32 v6, v2 offset:392
.LBB239_23:
	s_or_b64 exec, exec, s[10:11]
	s_waitcnt lgkmcnt(0)
	s_barrier
	s_and_saveexec_b64 s[10:11], s[0:1]
	s_cbranch_execz .LBB239_25
; %bb.24:
	ds_read_b32 v2, v7 offset:392
.LBB239_25:
	s_or_b64 exec, exec, s[10:11]
	s_waitcnt lgkmcnt(0)
	ds_bpermute_b32 v3, v74, v2
	s_waitcnt lgkmcnt(0)
	v_add_f32_e32 v2, v2, v3
	ds_bpermute_b32 v5, v8, v2
	s_and_saveexec_b64 s[0:1], s[6:7]
	s_cbranch_execz .LBB239_38
; %bb.26:
	s_waitcnt lgkmcnt(0)
	v_add_f32_e32 v2, 0x358637bd, v5
	v_div_scale_f32 v3, s[6:7], v2, v2, 1.0
	v_rcp_f32_e32 v6, v3
	v_div_scale_f32 v7, vcc, 1.0, v2, 1.0
	s_movk_i32 s6, 0x7f
	v_fma_f32 v8, -v3, v6, 1.0
	v_fmac_f32_e32 v6, v8, v6
	v_mul_f32_e32 v8, v7, v6
	v_fma_f32 v9, -v3, v8, v7
	v_fmac_f32_e32 v8, v9, v6
	v_fma_f32 v3, -v3, v8, v7
	v_div_fmas_f32 v3, v3, v6, v8
	v_div_fixup_f32 v2, v3, v2, 1.0
	v_xad_u32 v3, v0, -1, s38
	v_subrev_u32_e32 v6, s42, v3
	v_cmp_lt_u32_e32 vcc, s6, v6
	s_mov_b64 s[10:11], -1
	v_mov_b32_e32 v3, v0
	s_and_saveexec_b64 s[6:7], vcc
	s_cbranch_execz .LBB239_35
; %bb.27:
	v_lshrrev_b32_e32 v6, 7, v6
	v_add_u32_e32 v8, -1, v6
	v_lshrrev_b32_e32 v7, 1, v8
	v_mov_b32_e32 v3, v2
	v_add_u32_e32 v7, 1, v7
	v_cmp_lt_u32_e32 vcc, 13, v8
	v_mov_b32_e32 v10, 0
	s_and_saveexec_b64 s[10:11], vcc
	s_cbranch_execz .LBB239_31
; %bb.28:
	v_mov_b32_e32 v9, 0x190
	v_and_b32_e32 v8, -8, v7
	v_lshl_add_u32 v9, v0, 2, v9
	s_mov_b32 s16, 0
	s_mov_b64 s[14:15], 0
.LBB239_29:                             ; =>This Inner Loop Header: Depth=1
	ds_read2st64_b32 v[10:11], v9 offset1:2
	ds_read2st64_b32 v[12:13], v9 offset0:4 offset1:6
	ds_read2st64_b32 v[14:15], v9 offset0:8 offset1:10
	;; [unrolled: 1-line block ×3, first 2 shown]
	v_add_u32_e32 v8, -8, v8
	s_waitcnt lgkmcnt(3)
	v_pk_mul_f32 v[10:11], v[2:3], v[10:11]
	s_waitcnt lgkmcnt(2)
	v_pk_mul_f32 v[12:13], v[2:3], v[12:13]
	ds_write2st64_b32 v9, v10, v11 offset1:2
	ds_write2st64_b32 v9, v12, v13 offset0:4 offset1:6
	ds_read2st64_b32 v[12:13], v9 offset0:16 offset1:18
	s_waitcnt lgkmcnt(4)
	v_pk_mul_f32 v[10:11], v[2:3], v[14:15]
	ds_write2st64_b32 v9, v10, v11 offset0:8 offset1:10
	s_waitcnt lgkmcnt(4)
	v_pk_mul_f32 v[10:11], v[2:3], v[16:17]
	ds_write2st64_b32 v9, v10, v11 offset0:12 offset1:14
	ds_read2st64_b32 v[10:11], v9 offset0:20 offset1:22
	s_waitcnt lgkmcnt(3)
	v_pk_mul_f32 v[12:13], v[2:3], v[12:13]
	ds_read2st64_b32 v[14:15], v9 offset0:24 offset1:26
	ds_write2st64_b32 v9, v12, v13 offset0:16 offset1:18
	ds_read2st64_b32 v[12:13], v9 offset0:28 offset1:30
	s_waitcnt lgkmcnt(3)
	v_pk_mul_f32 v[10:11], v[2:3], v[10:11]
	ds_write2st64_b32 v9, v10, v11 offset0:20 offset1:22
	s_waitcnt lgkmcnt(3)
	v_pk_mul_f32 v[10:11], v[2:3], v[14:15]
	ds_write2st64_b32 v9, v10, v11 offset0:24 offset1:26
	s_waitcnt lgkmcnt(2)
	v_pk_mul_f32 v[10:11], v[2:3], v[12:13]
	s_add_i32 s16, s16, 16
	v_cmp_eq_u32_e32 vcc, 0, v8
	ds_write2st64_b32 v9, v10, v11 offset0:28 offset1:30
	v_add_u32_e32 v9, 0x2000, v9
	s_or_b64 s[14:15], vcc, s[14:15]
	v_mov_b32_e32 v10, s16
	s_andn2_b64 exec, exec, s[14:15]
	s_cbranch_execnz .LBB239_29
; %bb.30:
	s_or_b64 exec, exec, s[14:15]
.LBB239_31:
	s_or_b64 exec, exec, s[10:11]
	v_and_b32_e32 v7, 7, v7
	v_cmp_ne_u32_e32 vcc, 0, v7
	s_and_saveexec_b64 s[10:11], vcc
	s_cbranch_execz .LBB239_34
; %bb.32:
	v_lshlrev_b32_e32 v8, 9, v10
	s_movk_i32 s14, 0x190
	v_add3_u32 v8, v8, v60, s14
	s_mov_b64 s[14:15], 0
.LBB239_33:                             ; =>This Inner Loop Header: Depth=1
	ds_read2st64_b32 v[10:11], v8 offset1:2
	v_add_u32_e32 v7, -1, v7
	v_cmp_eq_u32_e32 vcc, 0, v7
	s_or_b64 s[14:15], vcc, s[14:15]
	s_waitcnt lgkmcnt(0)
	v_pk_mul_f32 v[10:11], v[2:3], v[10:11]
	ds_write2st64_b32 v8, v10, v11 offset1:2
	v_add_u32_e32 v8, 0x400, v8
	s_andn2_b64 exec, exec, s[14:15]
	s_cbranch_execnz .LBB239_33
.LBB239_34:
	s_or_b64 exec, exec, s[10:11]
	v_add_u32_e32 v6, 1, v6
	v_and_b32_e32 v7, 0x3fffffe, v6
	v_cmp_ne_u32_e32 vcc, v6, v7
	v_lshl_add_u32 v3, v7, 7, v0
	s_orn2_b64 s[10:11], vcc, exec
.LBB239_35:
	s_or_b64 exec, exec, s[6:7]
	s_and_b64 exec, exec, s[10:11]
	s_cbranch_execz .LBB239_38
; %bb.36:
	v_mov_b32_e32 v6, 0x190
	v_lshl_add_u32 v6, v3, 2, v6
	s_mov_b64 s[6:7], 0
.LBB239_37:                             ; =>This Inner Loop Header: Depth=1
	ds_read_b32 v7, v6
	v_add_u32_e32 v3, 0x80, v3
	v_cmp_le_i32_e32 vcc, s3, v3
	s_or_b64 s[6:7], vcc, s[6:7]
	s_waitcnt lgkmcnt(0)
	v_mul_f32_e32 v7, v2, v7
	ds_write_b32 v6, v7
	v_add_u32_e32 v6, 0x200, v6
	s_andn2_b64 exec, exec, s[6:7]
	s_cbranch_execnz .LBB239_37
.LBB239_38:
	s_or_b64 exec, exec, s[0:1]
	s_mul_i32 s0, s25, s28
	v_cmp_eq_u32_e32 vcc, 0, v0
	s_mul_i32 s6, s0, s5
	s_waitcnt lgkmcnt(0)
	s_barrier
	s_and_saveexec_b64 s[0:1], vcc
	s_cbranch_execz .LBB239_40
; %bb.39:
	s_ashr_i32 s7, s6, 31
	s_lshl_b64 s[10:11], s[6:7], 2
	s_add_u32 s5, s22, s10
	s_mul_i32 s2, s25, s2
	s_addc_u32 s7, s23, s11
	s_ashr_i32 s3, s2, 31
	s_lshl_b64 s[2:3], s[2:3], 2
	s_add_u32 s16, s5, s2
	s_addc_u32 s7, s7, s3
	s_ashr_i32 s5, s4, 31
	s_lshl_b64 s[14:15], s[4:5], 2
	s_add_u32 s16, s16, s14
	s_addc_u32 s17, s7, s15
	s_add_u32 s5, s20, s10
	s_addc_u32 s7, s21, s11
	;; [unrolled: 2-line block ×3, first 2 shown]
	s_add_u32 s2, s2, s14
	v_mov_b32_e32 v2, 0
	s_addc_u32 s3, s3, s15
	global_store_dword v2, v4, s[16:17]
	global_store_dword v2, v5, s[2:3]
.LBB239_40:
	s_or_b64 exec, exec, s[0:1]
	v_mov_b32_e32 v7, 0
	v_and_b32_e32 v75, 7, v0
	v_mov_b32_e32 v6, 0
	v_mov_b32_e32 v9, 0
	;; [unrolled: 1-line block ×11, first 2 shown]
	s_and_saveexec_b64 s[2:3], s[8:9]
	s_cbranch_execz .LBB239_68
; %bb.41:
	s_ashr_i32 s1, s43, 31
	s_load_dword s8, s[18:19], 0x0
	s_add_u32 s0, s36, s43
	s_addc_u32 s1, s37, s1
	v_and_b32_e32 v6, 0xfc, v60
	v_mov_b32_e32 v7, 0
	v_and_b32_e32 v2, 28, v60
	s_add_i32 s7, s12, -1
	v_lshl_add_u64 v[18:19], s[0:1], 0, v[6:7]
	v_lshl_add_u32 v3, v61, 5, s42
	s_lshl_b64 s[0:1], s[34:35], 2
	v_add3_u32 v76, v3, v2, 3
	v_lshlrev_b32_e32 v2, 4, v75
	s_add_u32 s0, s30, s0
	v_lshl_or_b32 v2, v61, 7, v2
	s_addc_u32 s1, s31, s1
	s_mov_b32 s5, s13
	s_waitcnt lgkmcnt(0)
	s_mov_b32 s9, s8
	v_add_u32_e32 v77, 0x190, v2
	v_lshl_add_u64 v[20:21], v[50:51], 2, s[0:1]
	s_mov_b64 s[10:11], 0
	v_mov_b32_e32 v6, v7
	v_mov_b32_e32 v9, v7
	v_mov_b32_e32 v8, v7
	v_mov_b32_e32 v11, v7
	v_mov_b32_e32 v10, v7
	v_mov_b32_e32 v13, v7
	v_mov_b32_e32 v12, v7
	v_mov_b32_e32 v15, v7
	v_mov_b32_e32 v14, v7
	v_mov_b32_e32 v17, v7
	v_mov_b32_e32 v16, v7
	s_branch .LBB239_43
.LBB239_42:                             ;   in Loop: Header=BB239_43 Depth=1
	s_or_b64 exec, exec, s[0:1]
	s_waitcnt lgkmcnt(0)
	v_mul_f32_e32 v51, v3, v71
	v_fmac_f32_e32 v51, v2, v70
	v_fmac_f32_e32 v51, v4, v68
	v_fmac_f32_e32 v51, v5, v69
	v_add_f32_e32 v6, v6, v51
	v_mul_f32_e32 v51, v3, v65
	v_fmac_f32_e32 v51, v2, v64
	v_fmac_f32_e32 v51, v4, v62
	v_fmac_f32_e32 v51, v5, v63
	v_add_f32_e32 v9, v9, v51
	;; [unrolled: 5-line block ×4, first 2 shown]
	v_mul_f32_e32 v51, v3, v53
	v_mul_f32_e32 v47, v3, v47
	;; [unrolled: 1-line block ×8, first 2 shown]
	v_fmac_f32_e32 v51, v2, v52
	v_fmac_f32_e32 v47, v2, v46
	v_fmac_f32_e32 v43, v2, v42
	v_fmac_f32_e32 v39, v2, v38
	v_fmac_f32_e32 v33, v2, v32
	v_fmac_f32_e32 v29, v2, v28
	v_fmac_f32_e32 v25, v2, v24
	v_fmac_f32_e32 v3, v2, v66
	v_fmac_f32_e32 v51, v4, v48
	v_fmac_f32_e32 v47, v4, v44
	v_fmac_f32_e32 v43, v4, v40
	v_fmac_f32_e32 v39, v4, v36
	v_fmac_f32_e32 v33, v4, v30
	v_fmac_f32_e32 v29, v4, v26
	v_fmac_f32_e32 v25, v4, v22
	v_fmac_f32_e32 v3, v4, v34
	v_add_u32_e32 v50, 2, v50
	v_fmac_f32_e32 v51, v5, v49
	v_fmac_f32_e32 v47, v5, v45
	;; [unrolled: 1-line block ×8, first 2 shown]
	v_cmp_le_i32_e32 vcc, s33, v50
	v_add_f32_e32 v10, v10, v51
	v_add_f32_e32 v13, v13, v47
	v_add_f32_e32 v12, v12, v43
	v_add_f32_e32 v15, v15, v39
	v_add_f32_e32 v14, v14, v33
	v_add_f32_e32 v17, v17, v29
	v_add_f32_e32 v16, v16, v25
	v_add_f32_e32 v7, v7, v3
	v_add_u32_e32 v76, 64, v76
	v_add_u32_e32 v77, 0x100, v77
	s_or_b64 s[10:11], vcc, s[10:11]
	v_lshl_add_u64 v[20:21], v[20:21], 0, 8
	s_andn2_b64 exec, exec, s[10:11]
	s_cbranch_execz .LBB239_67
.LBB239_43:                             ; =>This Inner Loop Header: Depth=1
	global_load_dword v2, v[20:21], off
	v_add_u32_e32 v51, -3, v76
	v_cmp_eq_u32_e32 vcc, s7, v50
	v_add_u32_e32 v78, -2, v76
	v_add_u32_e32 v79, -1, v76
	s_waitcnt vmcnt(0)
	v_mad_i64_i32 v[34:35], s[0:1], v2, s5, v[18:19]
	global_load_dword v22, v[34:35], off
	ds_read_b128 v[2:5], v77
	s_waitcnt vmcnt(0)
	v_and_b32_e32 v23, 0xffff, v22
	v_lshrrev_b32_e32 v24, 16, v22
	v_cvt_pk_f32_fp8_e32 v[22:23], v23
	v_cvt_pk_f32_fp8_e32 v[26:27], v24
	v_pk_mul_f32 v[24:25], s[8:9], v[22:23]
	v_pk_mul_f32 v[22:23], s[8:9], v[26:27]
	s_and_saveexec_b64 s[12:13], vcc
; %bb.44:                               ;   in Loop: Header=BB239_43 Depth=1
	v_cmp_gt_i32_e64 s[0:1], s29, v51
	s_nop 1
	v_cndmask_b32_e64 v24, 0, v24, s[0:1]
	v_cmp_gt_i32_e64 s[0:1], s29, v78
	s_nop 1
	v_cndmask_b32_e64 v25, 0, v25, s[0:1]
	v_cmp_gt_i32_e64 s[0:1], s29, v79
	s_nop 1
	v_cndmask_b32_e64 v22, 0, v22, s[0:1]
	v_cmp_gt_i32_e64 s[0:1], s29, v76
	s_nop 1
	v_cndmask_b32_e64 v23, 0, v23, s[0:1]
; %bb.45:                               ;   in Loop: Header=BB239_43 Depth=1
	s_or_b64 exec, exec, s[12:13]
	global_load_dword v26, v[34:35], off offset:256
	s_waitcnt vmcnt(0)
	v_and_b32_e32 v27, 0xffff, v26
	v_lshrrev_b32_e32 v28, 16, v26
	v_cvt_pk_f32_fp8_e32 v[26:27], v27
	v_cvt_pk_f32_fp8_e32 v[30:31], v28
	v_pk_mul_f32 v[28:29], s[8:9], v[26:27]
	v_pk_mul_f32 v[26:27], s[8:9], v[30:31]
	s_and_saveexec_b64 s[12:13], vcc
; %bb.46:                               ;   in Loop: Header=BB239_43 Depth=1
	v_cmp_gt_i32_e64 s[0:1], s29, v51
	s_nop 1
	v_cndmask_b32_e64 v28, 0, v28, s[0:1]
	v_cmp_gt_i32_e64 s[0:1], s29, v78
	s_nop 1
	v_cndmask_b32_e64 v29, 0, v29, s[0:1]
	v_cmp_gt_i32_e64 s[0:1], s29, v79
	s_nop 1
	v_cndmask_b32_e64 v26, 0, v26, s[0:1]
	v_cmp_gt_i32_e64 s[0:1], s29, v76
	s_nop 1
	v_cndmask_b32_e64 v27, 0, v27, s[0:1]
; %bb.47:                               ;   in Loop: Header=BB239_43 Depth=1
	s_or_b64 exec, exec, s[12:13]
	global_load_dword v30, v[34:35], off offset:512
	;; [unrolled: 24-line block ×11, first 2 shown]
	s_waitcnt vmcnt(0)
	v_and_b32_e32 v35, 0xffff, v34
	v_lshrrev_b32_e32 v66, 16, v34
	v_cvt_pk_f32_fp8_e32 v[34:35], v35
	v_cvt_pk_f32_fp8_e32 v[80:81], v66
	v_pk_mul_f32 v[66:67], s[8:9], v[34:35]
	v_pk_mul_f32 v[34:35], s[8:9], v[80:81]
	s_and_saveexec_b64 s[0:1], vcc
	s_cbranch_execz .LBB239_42
; %bb.66:                               ;   in Loop: Header=BB239_43 Depth=1
	v_cmp_gt_i32_e32 vcc, s29, v51
	s_nop 1
	v_cndmask_b32_e32 v66, 0, v66, vcc
	v_cmp_gt_i32_e32 vcc, s29, v78
	s_nop 1
	v_cndmask_b32_e32 v67, 0, v67, vcc
	;; [unrolled: 3-line block ×4, first 2 shown]
	s_branch .LBB239_42
.LBB239_67:
	s_or_b64 exec, exec, s[10:11]
.LBB239_68:
	s_or_b64 exec, exec, s[2:3]
	ds_bpermute_b32 v2, v72, v16
	ds_bpermute_b32 v3, v72, v17
	;; [unrolled: 1-line block ×6, first 2 shown]
	s_waitcnt lgkmcnt(4)
	v_pk_add_f32 v[2:3], v[16:17], v[2:3]
	ds_bpermute_b32 v16, v73, v2
	ds_bpermute_b32 v17, v73, v3
	s_waitcnt lgkmcnt(4)
	v_pk_add_f32 v[12:13], v[12:13], v[18:19]
	ds_bpermute_b32 v20, v72, v8
	ds_bpermute_b32 v21, v72, v9
	s_waitcnt lgkmcnt(4)
	v_pk_add_f32 v[4:5], v[14:15], v[4:5]
	s_waitcnt lgkmcnt(2)
	v_pk_add_f32 v[2:3], v[2:3], v[16:17]
	ds_bpermute_b32 v16, v74, v2
	ds_bpermute_b32 v17, v74, v3
	;; [unrolled: 1-line block ×6, first 2 shown]
	s_waitcnt lgkmcnt(4)
	v_pk_add_f32 v[2:3], v[2:3], v[16:17]
	ds_bpermute_b32 v16, v72, v10
	ds_bpermute_b32 v17, v72, v11
	;; [unrolled: 1-line block ×4, first 2 shown]
	v_pk_add_f32 v[8:9], v[8:9], v[20:21]
	s_waitcnt lgkmcnt(6)
	v_pk_add_f32 v[12:13], v[12:13], v[18:19]
	s_waitcnt lgkmcnt(2)
	v_pk_add_f32 v[10:11], v[10:11], v[16:17]
	ds_bpermute_b32 v16, v73, v10
	ds_bpermute_b32 v17, v73, v11
	v_pk_add_f32 v[22:23], v[6:7], v[22:23]
	s_waitcnt lgkmcnt(2)
	v_pk_add_f32 v[4:5], v[4:5], v[14:15]
	ds_bpermute_b32 v18, v74, v12
	ds_bpermute_b32 v19, v74, v13
	s_waitcnt lgkmcnt(2)
	v_pk_add_f32 v[16:17], v[10:11], v[16:17]
	ds_bpermute_b32 v10, v73, v8
	ds_bpermute_b32 v11, v73, v9
	;; [unrolled: 1-line block ×8, first 2 shown]
	s_waitcnt lgkmcnt(6)
	v_pk_add_f32 v[24:25], v[8:9], v[10:11]
	ds_bpermute_b32 v26, v74, v24
	ds_bpermute_b32 v27, v74, v25
	v_pk_add_f32 v[8:9], v[12:13], v[18:19]
	s_waitcnt lgkmcnt(6)
	v_pk_add_f32 v[12:13], v[22:23], v[28:29]
	s_waitcnt lgkmcnt(4)
	v_pk_add_f32 v[10:11], v[4:5], v[14:15]
	ds_bpermute_b32 v14, v74, v12
	ds_bpermute_b32 v15, v74, v13
	s_waitcnt lgkmcnt(4)
	v_pk_add_f32 v[6:7], v[16:17], v[20:21]
	v_and_b32_e32 v16, 0x3c7, v0
	s_waitcnt lgkmcnt(2)
	v_pk_add_f32 v[4:5], v[24:25], v[26:27]
	v_cmp_ne_u32_e32 vcc, 64, v16
	s_waitcnt lgkmcnt(0)
	s_barrier
	s_and_saveexec_b64 s[0:1], vcc
	s_xor_b64 s[0:1], exec, s[0:1]
; %bb.69:
                                        ; implicit-def: $vgpr1
; %bb.70:
	s_or_saveexec_b64 s[0:1], s[0:1]
	v_pk_add_f32 v[12:13], v[12:13], v[14:15]
	s_xor_b64 exec, exec, s[0:1]
	s_cbranch_execz .LBB239_72
; %bb.71:
	v_lshrrev_b32_e32 v1, 1, v1
	v_add_u32_e32 v1, 0x190, v1
	ds_write2_b32 v1, v2, v3 offset1:8
	ds_write2_b32 v1, v10, v11 offset0:16 offset1:24
	ds_write2_b32 v1, v8, v9 offset0:32 offset1:40
	;; [unrolled: 1-line block ×5, first 2 shown]
.LBB239_72:
	s_or_b64 exec, exec, s[0:1]
	v_cmp_gt_u32_e32 vcc, 64, v0
	s_waitcnt lgkmcnt(0)
	s_barrier
	s_and_saveexec_b64 s[0:1], vcc
	s_cbranch_execz .LBB239_87
; %bb.73:
	v_cmp_eq_u32_e32 vcc, 0, v75
	v_lshrrev_b32_e32 v1, 3, v0
	s_and_saveexec_b64 s[2:3], vcc
	s_cbranch_execnz .LBB239_90
; %bb.74:
	s_or_b64 exec, exec, s[2:3]
	s_and_saveexec_b64 s[2:3], vcc
	s_cbranch_execnz .LBB239_91
.LBB239_75:
	s_or_b64 exec, exec, s[2:3]
	s_and_saveexec_b64 s[2:3], vcc
	s_cbranch_execnz .LBB239_92
.LBB239_76:
	s_or_b64 exec, exec, s[2:3]
	s_and_saveexec_b64 s[2:3], vcc
	s_cbranch_execnz .LBB239_93
.LBB239_77:
	s_or_b64 exec, exec, s[2:3]
	s_and_saveexec_b64 s[2:3], vcc
	s_cbranch_execnz .LBB239_94
.LBB239_78:
	s_or_b64 exec, exec, s[2:3]
	s_and_saveexec_b64 s[2:3], vcc
	s_cbranch_execnz .LBB239_95
.LBB239_79:
	s_or_b64 exec, exec, s[2:3]
	s_and_saveexec_b64 s[2:3], vcc
	s_cbranch_execnz .LBB239_96
.LBB239_80:
	s_or_b64 exec, exec, s[2:3]
	s_and_saveexec_b64 s[2:3], vcc
	s_cbranch_execnz .LBB239_97
.LBB239_81:
	s_or_b64 exec, exec, s[2:3]
	s_and_saveexec_b64 s[2:3], vcc
	s_cbranch_execnz .LBB239_98
.LBB239_82:
	s_or_b64 exec, exec, s[2:3]
	s_and_saveexec_b64 s[2:3], vcc
	s_cbranch_execnz .LBB239_99
.LBB239_83:
	s_or_b64 exec, exec, s[2:3]
	s_and_saveexec_b64 s[2:3], vcc
	s_cbranch_execnz .LBB239_100
.LBB239_84:
	s_or_b64 exec, exec, s[2:3]
	s_and_saveexec_b64 s[2:3], vcc
	s_cbranch_execz .LBB239_86
.LBB239_85:
	v_mov_b32_e32 v14, 0x190
	v_lshl_add_u32 v1, v1, 2, v14
	ds_read_b32 v1, v1 offset:352
	s_waitcnt lgkmcnt(0)
	v_add_f32_e32 v13, v13, v1
.LBB239_86:
	s_or_b64 exec, exec, s[2:3]
.LBB239_87:
	s_or_b64 exec, exec, s[0:1]
	v_cmp_eq_u32_e32 vcc, 0, v16
	s_barrier
	s_and_saveexec_b64 s[0:1], vcc
	s_cbranch_execz .LBB239_89
; %bb.88:
	s_mul_i32 s0, s6, 0x60
	s_ashr_i32 s1, s0, 31
	s_lshl_b64 s[0:1], s[0:1], 2
	s_add_u32 s2, s26, s0
	s_mul_i32 s0, s25, s24
	s_addc_u32 s3, s27, s1
	s_ashr_i32 s1, s0, 31
	s_lshl_b64 s[0:1], s[0:1], 2
	s_add_u32 s2, s2, s0
	s_mul_i32 s0, s4, 0x60
	s_addc_u32 s3, s3, s1
	s_ashr_i32 s1, s0, 31
	s_lshl_b64 s[0:1], s[0:1], 2
	s_add_u32 s0, s2, s0
	s_addc_u32 s1, s3, s1
	v_lshrrev_b32_e32 v0, 1, v0
	global_store_dword v0, v2, s[0:1]
	global_store_dword v0, v3, s[0:1] offset:32
	global_store_dword v0, v10, s[0:1] offset:64
	;; [unrolled: 1-line block ×11, first 2 shown]
.LBB239_89:
	s_endpgm
.LBB239_90:
	v_mov_b32_e32 v14, 0x190
	v_lshl_add_u32 v14, v1, 2, v14
	ds_read_b32 v14, v14
	s_waitcnt lgkmcnt(0)
	v_add_f32_e32 v2, v2, v14
	s_or_b64 exec, exec, s[2:3]
	s_and_saveexec_b64 s[2:3], vcc
	s_cbranch_execz .LBB239_75
.LBB239_91:
	v_mov_b32_e32 v14, 0x190
	v_lshl_add_u32 v14, v1, 2, v14
	ds_read_b32 v14, v14 offset:32
	s_waitcnt lgkmcnt(0)
	v_add_f32_e32 v3, v3, v14
	s_or_b64 exec, exec, s[2:3]
	s_and_saveexec_b64 s[2:3], vcc
	s_cbranch_execz .LBB239_76
.LBB239_92:
	v_mov_b32_e32 v14, 0x190
	v_lshl_add_u32 v14, v1, 2, v14
	ds_read_b32 v14, v14 offset:64
	s_waitcnt lgkmcnt(0)
	v_add_f32_e32 v10, v10, v14
	s_or_b64 exec, exec, s[2:3]
	s_and_saveexec_b64 s[2:3], vcc
	s_cbranch_execz .LBB239_77
.LBB239_93:
	v_mov_b32_e32 v14, 0x190
	v_lshl_add_u32 v14, v1, 2, v14
	ds_read_b32 v14, v14 offset:96
	s_waitcnt lgkmcnt(0)
	v_add_f32_e32 v11, v11, v14
	s_or_b64 exec, exec, s[2:3]
	s_and_saveexec_b64 s[2:3], vcc
	s_cbranch_execz .LBB239_78
.LBB239_94:
	v_mov_b32_e32 v14, 0x190
	v_lshl_add_u32 v14, v1, 2, v14
	ds_read_b32 v14, v14 offset:128
	s_waitcnt lgkmcnt(0)
	v_add_f32_e32 v8, v8, v14
	s_or_b64 exec, exec, s[2:3]
	s_and_saveexec_b64 s[2:3], vcc
	s_cbranch_execz .LBB239_79
.LBB239_95:
	v_mov_b32_e32 v14, 0x190
	v_lshl_add_u32 v14, v1, 2, v14
	ds_read_b32 v14, v14 offset:160
	s_waitcnt lgkmcnt(0)
	v_add_f32_e32 v9, v9, v14
	s_or_b64 exec, exec, s[2:3]
	s_and_saveexec_b64 s[2:3], vcc
	s_cbranch_execz .LBB239_80
.LBB239_96:
	v_mov_b32_e32 v14, 0x190
	v_lshl_add_u32 v14, v1, 2, v14
	ds_read_b32 v14, v14 offset:192
	s_waitcnt lgkmcnt(0)
	v_add_f32_e32 v6, v6, v14
	s_or_b64 exec, exec, s[2:3]
	s_and_saveexec_b64 s[2:3], vcc
	s_cbranch_execz .LBB239_81
.LBB239_97:
	v_mov_b32_e32 v14, 0x190
	v_lshl_add_u32 v14, v1, 2, v14
	ds_read_b32 v14, v14 offset:224
	s_waitcnt lgkmcnt(0)
	v_add_f32_e32 v7, v7, v14
	s_or_b64 exec, exec, s[2:3]
	s_and_saveexec_b64 s[2:3], vcc
	s_cbranch_execz .LBB239_82
.LBB239_98:
	v_mov_b32_e32 v14, 0x190
	v_lshl_add_u32 v14, v1, 2, v14
	ds_read_b32 v14, v14 offset:256
	s_waitcnt lgkmcnt(0)
	v_add_f32_e32 v4, v4, v14
	s_or_b64 exec, exec, s[2:3]
	s_and_saveexec_b64 s[2:3], vcc
	s_cbranch_execz .LBB239_83
.LBB239_99:
	v_mov_b32_e32 v14, 0x190
	v_lshl_add_u32 v14, v1, 2, v14
	ds_read_b32 v14, v14 offset:288
	s_waitcnt lgkmcnt(0)
	v_add_f32_e32 v5, v5, v14
	s_or_b64 exec, exec, s[2:3]
	s_and_saveexec_b64 s[2:3], vcc
	s_cbranch_execz .LBB239_84
.LBB239_100:
	v_mov_b32_e32 v14, 0x190
	v_lshl_add_u32 v14, v1, 2, v14
	ds_read_b32 v14, v14 offset:320
	s_waitcnt lgkmcnt(0)
	v_add_f32_e32 v12, v12, v14
	s_or_b64 exec, exec, s[2:3]
	s_and_saveexec_b64 s[2:3], vcc
	s_cbranch_execnz .LBB239_85
	s_branch .LBB239_86
	.section	.rodata,"a",@progbits
	.p2align	6, 0x0
	.amdhsa_kernel _ZN4vllm25paged_attention_v2_kernelIfhLi96ELi32ELi128ELNS_18Fp8KVCacheDataTypeE1ELb0ELi512EEEvPfS2_PT_PKS3_PKT0_S9_ifPKiSB_iPKfiiiSD_SD_iiiii
		.amdhsa_group_segment_fixed_size 400
		.amdhsa_private_segment_fixed_size 0
		.amdhsa_kernarg_size 400
		.amdhsa_user_sgpr_count 2
		.amdhsa_user_sgpr_dispatch_ptr 0
		.amdhsa_user_sgpr_queue_ptr 0
		.amdhsa_user_sgpr_kernarg_segment_ptr 1
		.amdhsa_user_sgpr_dispatch_id 0
		.amdhsa_user_sgpr_kernarg_preload_length 0
		.amdhsa_user_sgpr_kernarg_preload_offset 0
		.amdhsa_user_sgpr_private_segment_size 0
		.amdhsa_uses_dynamic_stack 0
		.amdhsa_enable_private_segment 0
		.amdhsa_system_sgpr_workgroup_id_x 1
		.amdhsa_system_sgpr_workgroup_id_y 1
		.amdhsa_system_sgpr_workgroup_id_z 1
		.amdhsa_system_sgpr_workgroup_info 0
		.amdhsa_system_vgpr_workitem_id 0
		.amdhsa_next_free_vgpr 104
		.amdhsa_next_free_sgpr 46
		.amdhsa_accum_offset 104
		.amdhsa_reserve_vcc 1
		.amdhsa_float_round_mode_32 0
		.amdhsa_float_round_mode_16_64 0
		.amdhsa_float_denorm_mode_32 3
		.amdhsa_float_denorm_mode_16_64 3
		.amdhsa_dx10_clamp 1
		.amdhsa_ieee_mode 1
		.amdhsa_fp16_overflow 0
		.amdhsa_tg_split 0
		.amdhsa_exception_fp_ieee_invalid_op 0
		.amdhsa_exception_fp_denorm_src 0
		.amdhsa_exception_fp_ieee_div_zero 0
		.amdhsa_exception_fp_ieee_overflow 0
		.amdhsa_exception_fp_ieee_underflow 0
		.amdhsa_exception_fp_ieee_inexact 0
		.amdhsa_exception_int_div_zero 0
	.end_amdhsa_kernel
	.section	.text._ZN4vllm25paged_attention_v2_kernelIfhLi96ELi32ELi128ELNS_18Fp8KVCacheDataTypeE1ELb0ELi512EEEvPfS2_PT_PKS3_PKT0_S9_ifPKiSB_iPKfiiiSD_SD_iiiii,"axG",@progbits,_ZN4vllm25paged_attention_v2_kernelIfhLi96ELi32ELi128ELNS_18Fp8KVCacheDataTypeE1ELb0ELi512EEEvPfS2_PT_PKS3_PKT0_S9_ifPKiSB_iPKfiiiSD_SD_iiiii,comdat
.Lfunc_end239:
	.size	_ZN4vllm25paged_attention_v2_kernelIfhLi96ELi32ELi128ELNS_18Fp8KVCacheDataTypeE1ELb0ELi512EEEvPfS2_PT_PKS3_PKT0_S9_ifPKiSB_iPKfiiiSD_SD_iiiii, .Lfunc_end239-_ZN4vllm25paged_attention_v2_kernelIfhLi96ELi32ELi128ELNS_18Fp8KVCacheDataTypeE1ELb0ELi512EEEvPfS2_PT_PKS3_PKT0_S9_ifPKiSB_iPKfiiiSD_SD_iiiii
                                        ; -- End function
	.section	.AMDGPU.csdata,"",@progbits
; Kernel info:
; codeLenInByte = 7040
; NumSgprs: 52
; NumVgprs: 104
; NumAgprs: 0
; TotalNumVgprs: 104
; ScratchSize: 0
; MemoryBound: 0
; FloatMode: 240
; IeeeMode: 1
; LDSByteSize: 400 bytes/workgroup (compile time only)
; SGPRBlocks: 6
; VGPRBlocks: 12
; NumSGPRsForWavesPerEU: 52
; NumVGPRsForWavesPerEU: 104
; AccumOffset: 104
; Occupancy: 4
; WaveLimiterHint : 1
; COMPUTE_PGM_RSRC2:SCRATCH_EN: 0
; COMPUTE_PGM_RSRC2:USER_SGPR: 2
; COMPUTE_PGM_RSRC2:TRAP_HANDLER: 0
; COMPUTE_PGM_RSRC2:TGID_X_EN: 1
; COMPUTE_PGM_RSRC2:TGID_Y_EN: 1
; COMPUTE_PGM_RSRC2:TGID_Z_EN: 1
; COMPUTE_PGM_RSRC2:TIDIG_COMP_CNT: 0
; COMPUTE_PGM_RSRC3_GFX90A:ACCUM_OFFSET: 25
; COMPUTE_PGM_RSRC3_GFX90A:TG_SPLIT: 0
	.section	.text._ZN4vllm25paged_attention_v2_kernelIfhLi112ELi32ELi128ELNS_18Fp8KVCacheDataTypeE1ELb0ELi512EEEvPfS2_PT_PKS3_PKT0_S9_ifPKiSB_iPKfiiiSD_SD_iiiii,"axG",@progbits,_ZN4vllm25paged_attention_v2_kernelIfhLi112ELi32ELi128ELNS_18Fp8KVCacheDataTypeE1ELb0ELi512EEEvPfS2_PT_PKS3_PKT0_S9_ifPKiSB_iPKfiiiSD_SD_iiiii,comdat
	.protected	_ZN4vllm25paged_attention_v2_kernelIfhLi112ELi32ELi128ELNS_18Fp8KVCacheDataTypeE1ELb0ELi512EEEvPfS2_PT_PKS3_PKT0_S9_ifPKiSB_iPKfiiiSD_SD_iiiii ; -- Begin function _ZN4vllm25paged_attention_v2_kernelIfhLi112ELi32ELi128ELNS_18Fp8KVCacheDataTypeE1ELb0ELi512EEEvPfS2_PT_PKS3_PKT0_S9_ifPKiSB_iPKfiiiSD_SD_iiiii
	.globl	_ZN4vllm25paged_attention_v2_kernelIfhLi112ELi32ELi128ELNS_18Fp8KVCacheDataTypeE1ELb0ELi512EEEvPfS2_PT_PKS3_PKT0_S9_ifPKiSB_iPKfiiiSD_SD_iiiii
	.p2align	8
	.type	_ZN4vllm25paged_attention_v2_kernelIfhLi112ELi32ELi128ELNS_18Fp8KVCacheDataTypeE1ELb0ELi512EEEvPfS2_PT_PKS3_PKT0_S9_ifPKiSB_iPKfiiiSD_SD_iiiii,@function
_ZN4vllm25paged_attention_v2_kernelIfhLi112ELi32ELi128ELNS_18Fp8KVCacheDataTypeE1ELb0ELi512EEEvPfS2_PT_PKS3_PKT0_S9_ifPKiSB_iPKfiiiSD_SD_iiiii: ; @_ZN4vllm25paged_attention_v2_kernelIfhLi112ELi32ELi128ELNS_18Fp8KVCacheDataTypeE1ELb0ELi512EEEvPfS2_PT_PKS3_PKT0_S9_ifPKiSB_iPKfiiiSD_SD_iiiii
; %bb.0:
	s_load_dwordx2 s[6:7], s[0:1], 0x40
	s_mov_b32 s28, s3
	s_ashr_i32 s29, s3, 31
	s_lshl_b64 s[8:9], s[28:29], 2
	s_waitcnt lgkmcnt(0)
	s_add_u32 s6, s6, s8
	s_addc_u32 s7, s7, s9
	s_load_dword s29, s[6:7], 0x0
	s_lshl_b32 s42, s4, 9
	s_waitcnt lgkmcnt(0)
	s_cmp_ge_i32 s42, s29
	s_cbranch_scc1 .LBB240_95
; %bb.1:
	s_load_dword s5, s[0:1], 0x90
	s_load_dwordx2 s[10:11], s[0:1], 0x30
	s_waitcnt lgkmcnt(0)
	s_abs_i32 s7, s5
	s_abs_i32 s3, s10
	v_cvt_f32_u32_e32 v1, s3
	s_sub_i32 s8, 0, s3
	s_xor_b32 s6, s5, s10
	s_ashr_i32 s6, s6, 31
	v_rcp_iflag_f32_e32 v1, v1
	s_nop 0
	v_mul_f32_e32 v1, 0x4f7ffffe, v1
	v_cvt_u32_f32_e32 v1, v1
	s_nop 0
	v_readfirstlane_b32 s9, v1
	s_mul_i32 s8, s8, s9
	s_mul_hi_u32 s8, s9, s8
	s_add_i32 s9, s9, s8
	s_mul_hi_u32 s8, s7, s9
	s_mul_i32 s9, s8, s3
	s_sub_i32 s7, s7, s9
	s_add_i32 s10, s8, 1
	s_sub_i32 s9, s7, s3
	s_cmp_ge_u32 s7, s3
	s_cselect_b32 s8, s10, s8
	s_cselect_b32 s7, s9, s7
	s_add_i32 s9, s8, 1
	s_cmp_ge_u32 s7, s3
	s_cselect_b32 s3, s9, s8
	s_xor_b32 s3, s3, s6
	s_sub_i32 s12, s3, s6
	s_abs_i32 s8, s12
	v_cvt_f32_u32_e32 v1, s8
	s_load_dwordx2 s[6:7], s[0:1], 0x50
	s_sub_i32 s3, 0, s8
	s_abs_i32 s9, s2
	v_rcp_iflag_f32_e32 v1, v1
	s_mov_b32 s10, 0
	v_mul_f32_e32 v1, 0x4f7ffffe, v1
	v_cvt_u32_f32_e32 v1, v1
	s_nop 0
	v_readfirstlane_b32 s13, v1
	s_mul_i32 s3, s3, s13
	s_mul_hi_u32 s3, s13, s3
	s_add_i32 s13, s13, s3
	s_waitcnt lgkmcnt(0)
	s_cmp_eq_u64 s[6:7], 0
	s_mul_hi_u32 s16, s9, s13
	s_cbranch_scc1 .LBB240_3
; %bb.2:
	s_ashr_i32 s3, s2, 31
	s_lshl_b64 s[14:15], s[2:3], 2
	s_add_u32 s6, s6, s14
	s_addc_u32 s7, s7, s15
	s_load_dword s10, s[6:7], 0x0
.LBB240_3:
	s_ashr_i32 s18, s12, 31
	s_load_dwordx4 s[12:15], s[0:1], 0x58
	s_ashr_i32 s17, s2, 31
	v_and_b32_e32 v42, 1, v0
	s_mul_i32 s24, s2, 0x70
	v_cmp_gt_u32_e32 vcc, 56, v0
	v_lshlrev_b32_e32 v68, 2, v0
	s_and_saveexec_b64 s[6:7], vcc
	s_cbranch_execz .LBB240_5
; %bb.4:
	s_load_dwordx2 s[20:21], s[0:1], 0x18
	s_waitcnt lgkmcnt(0)
	s_mul_i32 s22, s28, s12
	s_ashr_i32 s23, s22, 31
	s_lshl_b64 s[22:23], s[22:23], 2
	v_lshlrev_b32_e32 v1, 3, v0
	s_add_u32 s3, s20, s22
	s_addc_u32 s12, s21, s23
	s_ashr_i32 s25, s24, 31
	s_lshl_b64 s[20:21], s[24:25], 2
	s_add_u32 s20, s3, s20
	s_addc_u32 s21, s12, s21
	global_load_dwordx2 v[2:3], v1, s[20:21]
	v_and_b32_e32 v1, 0xff8, v68
	s_movk_i32 s3, 0xe0
	v_mad_u32_u24 v1, v42, s3, v1
	s_waitcnt vmcnt(0)
	ds_write_b64 v1, v[2:3]
.LBB240_5:
	s_or_b64 exec, exec, s[6:7]
	s_add_i32 s3, s29, 31
	s_ashr_i32 s6, s3, 31
	s_lshr_b32 s6, s6, 27
	s_add_i32 s3, s3, s6
	s_waitcnt lgkmcnt(0)
	s_ashr_i32 s12, s3, 5
	s_lshl_b32 s3, s4, 4
	s_mul_i32 s7, s16, s8
	s_add_i32 s6, s3, 16
	s_sub_i32 s7, s9, s7
	s_min_i32 s33, s6, s12
	s_xor_b32 s6, s17, s18
	s_add_i32 s9, s16, 1
	s_sub_i32 s15, s7, s8
	s_cmp_ge_u32 s7, s8
	s_cselect_b32 s9, s9, s16
	s_cselect_b32 s7, s15, s7
	s_add_i32 s15, s9, 1
	s_cmp_ge_u32 s7, s8
	s_load_dwordx2 s[30:31], s[0:1], 0x38
	s_load_dword s8, s[0:1], 0x48
	v_lshrrev_b32_e32 v69, 6, v0
	s_cselect_b32 s7, s15, s9
	s_xor_b32 s7, s7, s6
	v_or_b32_e32 v58, s3, v69
	s_waitcnt lgkmcnt(0)
	s_mul_i32 s34, s28, s8
	s_sub_i32 s43, s7, s6
	s_ashr_i32 s35, s34, 31
	v_cmp_gt_i32_e64 s[8:9], s33, v58
	v_cmp_le_i32_e32 vcc, s33, v58
	v_mbcnt_lo_u32_b32 v1, -1, 0
	s_barrier
	s_waitcnt lgkmcnt(0)
                                        ; implicit-def: $sgpr15
                                        ; implicit-def: $vgpr70
                                        ; implicit-def: $vgpr71
	s_and_saveexec_b64 s[6:7], vcc
	s_xor_b64 s[6:7], exec, s[6:7]
; %bb.6:
	v_mbcnt_hi_u32_b32 v70, -1, v1
	v_and_b32_e32 v1, 64, v70
	v_add_u32_e32 v71, 64, v1
	s_mov_b32 s15, 0xff7fffff
                                        ; implicit-def: $vgpr42
                                        ; implicit-def: $vgpr1
; %bb.7:
	s_or_saveexec_b64 s[38:39], s[6:7]
	s_load_dwordx4 s[20:23], s[0:1], 0x0
	s_load_dwordx2 s[26:27], s[0:1], 0x10
	s_load_dword s25, s[0:1], 0x98
	s_load_dwordx2 s[36:37], s[0:1], 0x28
	s_load_dwordx4 s[16:19], s[0:1], 0x68
	v_mov_b32_e32 v72, s15
	s_mul_i32 s43, s43, s14
	v_ashrrev_i32_e32 v59, 31, v58
	s_xor_b64 exec, exec, s[38:39]
	s_cbranch_execz .LBB240_13
; %bb.8:
	s_load_dwordx2 s[0:1], s[0:1], 0x20
	v_mul_u32_u24_e32 v54, 0xe0, v42
	v_mbcnt_hi_u32_b32 v70, -1, v1
	s_ashr_i32 s6, s43, 31
	ds_read_b128 v[2:5], v54
	ds_read_b128 v[6:9], v54 offset:16
	ds_read_b128 v[10:13], v54 offset:32
	;; [unrolled: 1-line block ×9, first 2 shown]
	v_and_b32_e32 v44, 64, v70
	v_bfe_u32 v43, v0, 1, 5
	s_waitcnt lgkmcnt(0)
	s_add_u32 s0, s0, s43
	v_xor_b32_e32 v1, 1, v70
	v_add_u32_e32 v71, 64, v44
	v_lshlrev_b32_e32 v60, 4, v43
	s_addc_u32 s1, s1, s6
	v_mov_b32_e32 v61, 0
	v_cmp_lt_i32_e32 vcc, v1, v71
	v_lshl_add_u64 v[62:63], s[0:1], 0, v[60:61]
	v_lshlrev_b32_e32 v60, 1, v42
	v_cndmask_b32_e32 v1, v70, v1, vcc
	v_cmp_eq_u32_e32 vcc, 0, v42
	v_lshlrev_b32_e32 v42, 5, v69
	v_add3_u32 v73, s42, v42, v43
	v_lshlrev_b32_e32 v42, 2, v43
	v_lshl_or_b32 v42, v69, 7, v42
	s_load_dword s14, s[16:17], 0x0
	v_add_u32_e32 v74, 0x1d0, v42
	ds_read_b128 v[42:45], v54 offset:160
	ds_read_b128 v[46:49], v54 offset:176
	;; [unrolled: 1-line block ×4, first 2 shown]
	s_sub_i32 s45, 1, s29
	s_lshl_b64 s[0:1], s[34:35], 2
	s_add_u32 s0, s30, s0
	s_addc_u32 s1, s31, s1
	s_mov_b32 s44, s13
	v_lshlrev_b32_e32 v1, 2, v1
	v_cmp_neq_f32_e64 s[6:7], s10, 0
	s_waitcnt lgkmcnt(0)
	s_mov_b32 s15, s14
	v_lshl_add_u64 v[64:65], v[58:59], 2, s[0:1]
	s_mov_b64 s[16:17], 0
	v_mov_b32_e32 v72, 0xff7fffff
	v_mov_b32_e32 v75, v58
	s_branch .LBB240_10
.LBB240_9:                              ;   in Loop: Header=BB240_10 Depth=1
	s_or_b64 exec, exec, s[40:41]
	v_add_u32_e32 v75, 2, v75
	v_cmp_le_i32_e64 s[0:1], s33, v75
	v_add_u32_e32 v73, 64, v73
	v_add_u32_e32 v74, 0x100, v74
	s_or_b64 s[16:17], s[0:1], s[16:17]
	v_lshl_add_u64 v[64:65], v[64:65], 0, 8
	s_andn2_b64 exec, exec, s[16:17]
	s_cbranch_execz .LBB240_12
.LBB240_10:                             ; =>This Inner Loop Header: Depth=1
	global_load_dword v66, v[64:65], off
	s_waitcnt vmcnt(0) lgkmcnt(0)
	v_mad_i64_i32 v[66:67], s[0:1], v66, s44, v[62:63]
	v_lshl_add_u64 v[66:67], v[66:67], 0, v[60:61]
	global_load_ushort v82, v[66:67], off offset:4
	global_load_ushort v81, v[66:67], off offset:8
	;; [unrolled: 1-line block ×7, first 2 shown]
	global_load_ushort v84, v[66:67], off
	global_load_ushort v86, v[66:67], off offset:1024
	global_load_ushort v87, v[66:67], off offset:1028
	;; [unrolled: 1-line block ×20, first 2 shown]
	s_waitcnt vmcnt(27)
	v_cvt_pk_f32_fp8_e32 v[82:83], v82
	s_waitcnt vmcnt(26)
	v_cvt_pk_f32_fp8_e32 v[66:67], v81
	;; [unrolled: 2-line block ×3, first 2 shown]
	v_pk_mul_f32 v[82:83], s[14:15], v[82:83]
	v_pk_mul_f32 v[66:67], s[14:15], v[66:67]
	v_mul_f32_e32 v102, v4, v82
	s_waitcnt vmcnt(20)
	v_cvt_pk_f32_fp8_e32 v[84:85], v84
	v_mul_f32_e32 v103, v5, v83
	v_pk_mul_f32 v[80:81], s[14:15], v[80:81]
	v_pk_mul_f32 v[82:83], s[14:15], v[84:85]
	s_nop 0
	v_fmac_f32_e32 v102, v2, v82
	v_fmac_f32_e32 v103, v3, v83
	;; [unrolled: 1-line block ×4, first 2 shown]
	v_cvt_pk_f32_fp8_e32 v[66:67], v79
	v_cvt_pk_f32_fp8_e32 v[78:79], v78
	s_waitcnt vmcnt(17)
	v_cvt_pk_f32_fp8_e32 v[82:83], v88
	s_waitcnt vmcnt(15)
	v_cvt_pk_f32_fp8_e32 v[84:85], v90
	v_pk_mul_f32 v[66:67], s[14:15], v[66:67]
	v_pk_mul_f32 v[78:79], s[14:15], v[78:79]
	v_fmac_f32_e32 v102, v8, v66
	v_fmac_f32_e32 v103, v9, v67
	v_cvt_pk_f32_fp8_e32 v[66:67], v77
	v_cvt_pk_f32_fp8_e32 v[76:77], v76
	v_fmac_f32_e32 v102, v10, v80
	v_fmac_f32_e32 v103, v11, v81
	v_cvt_pk_f32_fp8_e32 v[80:81], v86
	v_pk_mul_f32 v[66:67], s[14:15], v[66:67]
	v_pk_mul_f32 v[76:77], s[14:15], v[76:77]
	v_fmac_f32_e32 v102, v12, v66
	v_fmac_f32_e32 v103, v13, v67
	v_cvt_pk_f32_fp8_e32 v[66:67], v87
	v_fmac_f32_e32 v102, v14, v78
	v_fmac_f32_e32 v103, v15, v79
	v_cvt_pk_f32_fp8_e32 v[78:79], v89
	v_fmac_f32_e32 v102, v16, v76
	v_fmac_f32_e32 v103, v17, v77
	v_pk_mul_f32 v[80:81], s[14:15], v[80:81]
	s_waitcnt vmcnt(14)
	v_cvt_pk_f32_fp8_e32 v[76:77], v91
	v_fmac_f32_e32 v102, v18, v80
	v_fmac_f32_e32 v103, v19, v81
	v_pk_mul_f32 v[66:67], s[14:15], v[66:67]
	s_waitcnt vmcnt(13)
	;; [unrolled: 5-line block ×8, first 2 shown]
	v_cvt_pk_f32_fp8_e32 v[92:93], v98
	v_pk_mul_f32 v[88:89], s[14:15], v[88:89]
	v_fmac_f32_e32 v102, v32, v80
	v_fmac_f32_e32 v103, v33, v81
	s_waitcnt vmcnt(6)
	v_cvt_pk_f32_fp8_e32 v[78:79], v99
	v_pk_mul_f32 v[66:67], s[14:15], v[66:67]
	v_fmac_f32_e32 v102, v34, v88
	v_fmac_f32_e32 v103, v35, v89
	s_waitcnt vmcnt(5)
	;; [unrolled: 5-line block ×7, first 2 shown]
	v_cvt_pk_f32_fp8_e32 v[86:87], v107
	v_pk_mul_f32 v[84:85], s[14:15], v[84:85]
	v_fmac_f32_e32 v102, v46, v94
	v_fmac_f32_e32 v103, v47, v95
	v_pk_mul_f32 v[96:97], s[14:15], v[96:97]
	v_fmac_f32_e32 v102, v48, v84
	v_fmac_f32_e32 v103, v49, v85
	;; [unrolled: 3-line block ×5, first 2 shown]
	v_fmac_f32_e32 v102, v56, v86
	v_fmac_f32_e32 v103, v57, v87
	v_add_f32_e32 v66, v102, v103
	ds_bpermute_b32 v67, v1, v66
	s_and_saveexec_b64 s[40:41], vcc
	s_cbranch_execz .LBB240_9
; %bb.11:                               ;   in Loop: Header=BB240_10 Depth=1
	v_add_u32_e32 v76, s45, v73
	v_cvt_f32_i32_e32 v76, v76
	s_waitcnt lgkmcnt(0)
	v_add_f32_e32 v66, v66, v67
	v_cmp_gt_i32_e64 s[0:1], s29, v73
	v_max_f32_e32 v67, v72, v72
	v_mul_f32_e32 v76, s10, v76
	v_cndmask_b32_e64 v76, 0, v76, s[6:7]
	v_fmac_f32_e32 v76, s11, v66
	v_cndmask_b32_e64 v66, 0, v76, s[0:1]
	ds_write_b32 v74, v66
	v_max_f32_e32 v66, v67, v76
	v_cndmask_b32_e64 v72, v72, v66, s[0:1]
	s_branch .LBB240_9
.LBB240_12:
	s_or_b64 exec, exec, s[16:17]
.LBB240_13:
	s_or_b64 exec, exec, s[38:39]
	v_xor_b32_e32 v1, 32, v70
	v_cmp_lt_i32_e32 vcc, v1, v71
	v_xor_b32_e32 v4, 16, v70
	v_max_f32_e32 v3, v72, v72
	v_cndmask_b32_e32 v1, v70, v1, vcc
	v_lshlrev_b32_e32 v2, 2, v1
	ds_bpermute_b32 v1, v2, v72
	v_cmp_lt_i32_e32 vcc, v4, v71
	v_xor_b32_e32 v5, 8, v70
	v_xor_b32_e32 v6, 4, v70
	s_waitcnt lgkmcnt(0)
	v_max_f32_e32 v1, v1, v1
	v_max_f32_e32 v1, v3, v1
	v_cndmask_b32_e32 v3, v70, v4, vcc
	v_lshlrev_b32_e32 v3, 2, v3
	ds_bpermute_b32 v4, v3, v1
	v_cmp_lt_i32_e32 vcc, v5, v71
	s_waitcnt lgkmcnt(0)
	v_max_f32_e32 v4, v4, v4
	v_max_f32_e32 v1, v1, v4
	v_cndmask_b32_e32 v4, v70, v5, vcc
	v_lshlrev_b32_e32 v5, 2, v4
	ds_bpermute_b32 v4, v5, v1
	v_cmp_lt_i32_e32 vcc, v6, v71
	s_waitcnt lgkmcnt(0)
	v_max_f32_e32 v4, v4, v4
	v_max_f32_e32 v1, v1, v4
	v_cndmask_b32_e32 v4, v70, v6, vcc
	v_lshlrev_b32_e32 v83, 2, v4
	ds_bpermute_b32 v4, v83, v1
	v_xor_b32_e32 v6, 2, v70
	v_cmp_lt_i32_e32 vcc, v6, v71
	s_waitcnt lgkmcnt(0)
	v_max_f32_e32 v4, v4, v4
	v_max_f32_e32 v4, v1, v4
	v_cndmask_b32_e32 v1, v70, v6, vcc
	v_lshlrev_b32_e32 v82, 2, v1
	ds_bpermute_b32 v7, v82, v4
	v_and_b32_e32 v1, 63, v0
	v_cmp_eq_u32_e32 vcc, 0, v1
	v_lshlrev_b32_e32 v6, 2, v69
	s_and_saveexec_b64 s[0:1], vcc
	s_cbranch_execz .LBB240_15
; %bb.14:
	s_waitcnt lgkmcnt(0)
	v_max_f32_e32 v7, v7, v7
	v_max_f32_e32 v4, v4, v4
	;; [unrolled: 1-line block ×3, first 2 shown]
	ds_write_b32 v6, v4 offset:448
.LBB240_15:
	s_or_b64 exec, exec, s[0:1]
	v_cmp_gt_u32_e64 s[0:1], 2, v1
	v_mov_b32_e32 v4, 0xff7fffff
	s_waitcnt lgkmcnt(0)
	v_lshlrev_b32_e32 v7, 2, v1
	s_barrier
	s_and_saveexec_b64 s[6:7], s[0:1]
	s_cbranch_execz .LBB240_17
; %bb.16:
	ds_read_b32 v4, v7 offset:448
.LBB240_17:
	s_or_b64 exec, exec, s[6:7]
	v_xor_b32_e32 v8, 1, v70
	v_cmp_lt_i32_e64 s[6:7], v8, v71
	s_sub_i32 s3, s33, s3
	s_lshl_b32 s3, s3, 5
	v_cndmask_b32_e64 v8, v70, v8, s[6:7]
	v_lshlrev_b32_e32 v84, 2, v8
	s_waitcnt lgkmcnt(0)
	ds_bpermute_b32 v8, v84, v4
	v_max_f32_e32 v4, v4, v4
	s_add_i32 s3, s3, s42
	s_min_i32 s38, s3, s29
	s_sub_i32 s3, s38, s42
	s_waitcnt lgkmcnt(0)
	v_max_f32_e32 v8, v8, v8
	v_max_f32_e32 v4, v4, v8
	v_lshlrev_b32_e32 v8, 2, v70
	v_and_b32_e32 v8, 0xffffff00, v8
	ds_bpermute_b32 v4, v8, v4
	v_cmp_gt_i32_e64 s[6:7], s3, v0
	v_mov_b32_e32 v9, 0
	s_and_saveexec_b64 s[14:15], s[6:7]
	s_cbranch_execz .LBB240_21
; %bb.18:
	v_mov_b32_e32 v9, 0x1d0
	v_lshl_add_u32 v10, v0, 2, v9
	s_mov_b64 s[16:17], 0
	v_mov_b32_e32 v9, 0
	v_mov_b32_e32 v11, v0
.LBB240_19:                             ; =>This Inner Loop Header: Depth=1
	ds_read_b32 v12, v10
	v_add_u32_e32 v11, 0x80, v11
	v_cmp_le_i32_e64 s[10:11], s3, v11
	s_or_b64 s[16:17], s[10:11], s[16:17]
	s_waitcnt lgkmcnt(0)
	v_sub_f32_e32 v12, v12, v4
	v_mul_f32_e32 v12, 0x3fb8aa3b, v12
	v_exp_f32_e32 v12, v12
	ds_write_b32 v10, v12
	v_add_f32_e32 v9, v9, v12
	v_add_u32_e32 v10, 0x200, v10
	s_andn2_b64 exec, exec, s[16:17]
	s_cbranch_execnz .LBB240_19
; %bb.20:
	s_or_b64 exec, exec, s[16:17]
.LBB240_21:
	s_or_b64 exec, exec, s[14:15]
	ds_bpermute_b32 v2, v2, v9
	s_waitcnt lgkmcnt(0)
	v_add_f32_e32 v2, v9, v2
	ds_bpermute_b32 v3, v3, v2
	s_waitcnt lgkmcnt(0)
	v_add_f32_e32 v2, v2, v3
	;; [unrolled: 3-line block ×6, first 2 shown]
	s_and_saveexec_b64 s[10:11], vcc
	s_cbranch_execz .LBB240_23
; %bb.22:
	ds_write_b32 v6, v2 offset:456
.LBB240_23:
	s_or_b64 exec, exec, s[10:11]
	s_waitcnt lgkmcnt(0)
	s_barrier
	s_and_saveexec_b64 s[10:11], s[0:1]
	s_cbranch_execz .LBB240_25
; %bb.24:
	ds_read_b32 v2, v7 offset:456
.LBB240_25:
	s_or_b64 exec, exec, s[10:11]
	s_waitcnt lgkmcnt(0)
	ds_bpermute_b32 v3, v84, v2
	s_waitcnt lgkmcnt(0)
	v_add_f32_e32 v2, v2, v3
	ds_bpermute_b32 v5, v8, v2
	s_and_saveexec_b64 s[0:1], s[6:7]
	s_cbranch_execz .LBB240_38
; %bb.26:
	s_waitcnt lgkmcnt(0)
	v_add_f32_e32 v2, 0x358637bd, v5
	v_div_scale_f32 v3, s[6:7], v2, v2, 1.0
	v_rcp_f32_e32 v6, v3
	v_div_scale_f32 v7, vcc, 1.0, v2, 1.0
	s_movk_i32 s6, 0x7f
	v_fma_f32 v8, -v3, v6, 1.0
	v_fmac_f32_e32 v6, v8, v6
	v_mul_f32_e32 v8, v7, v6
	v_fma_f32 v9, -v3, v8, v7
	v_fmac_f32_e32 v8, v9, v6
	v_fma_f32 v3, -v3, v8, v7
	v_div_fmas_f32 v3, v3, v6, v8
	v_div_fixup_f32 v2, v3, v2, 1.0
	v_xad_u32 v3, v0, -1, s38
	v_subrev_u32_e32 v6, s42, v3
	v_cmp_lt_u32_e32 vcc, s6, v6
	s_mov_b64 s[10:11], -1
	v_mov_b32_e32 v3, v0
	s_and_saveexec_b64 s[6:7], vcc
	s_cbranch_execz .LBB240_35
; %bb.27:
	v_lshrrev_b32_e32 v6, 7, v6
	v_add_u32_e32 v8, -1, v6
	v_lshrrev_b32_e32 v7, 1, v8
	v_mov_b32_e32 v3, v2
	v_add_u32_e32 v7, 1, v7
	v_cmp_lt_u32_e32 vcc, 13, v8
	v_mov_b32_e32 v10, 0
	s_and_saveexec_b64 s[10:11], vcc
	s_cbranch_execz .LBB240_31
; %bb.28:
	v_mov_b32_e32 v9, 0x1d0
	v_and_b32_e32 v8, -8, v7
	v_lshl_add_u32 v9, v0, 2, v9
	s_mov_b32 s16, 0
	s_mov_b64 s[14:15], 0
.LBB240_29:                             ; =>This Inner Loop Header: Depth=1
	ds_read2st64_b32 v[10:11], v9 offset1:2
	ds_read2st64_b32 v[12:13], v9 offset0:4 offset1:6
	ds_read2st64_b32 v[14:15], v9 offset0:8 offset1:10
	;; [unrolled: 1-line block ×3, first 2 shown]
	v_add_u32_e32 v8, -8, v8
	s_waitcnt lgkmcnt(3)
	v_pk_mul_f32 v[10:11], v[2:3], v[10:11]
	s_waitcnt lgkmcnt(2)
	v_pk_mul_f32 v[12:13], v[2:3], v[12:13]
	ds_write2st64_b32 v9, v10, v11 offset1:2
	ds_write2st64_b32 v9, v12, v13 offset0:4 offset1:6
	ds_read2st64_b32 v[12:13], v9 offset0:16 offset1:18
	s_waitcnt lgkmcnt(4)
	v_pk_mul_f32 v[10:11], v[2:3], v[14:15]
	ds_write2st64_b32 v9, v10, v11 offset0:8 offset1:10
	s_waitcnt lgkmcnt(4)
	v_pk_mul_f32 v[10:11], v[2:3], v[16:17]
	ds_write2st64_b32 v9, v10, v11 offset0:12 offset1:14
	ds_read2st64_b32 v[10:11], v9 offset0:20 offset1:22
	s_waitcnt lgkmcnt(3)
	v_pk_mul_f32 v[12:13], v[2:3], v[12:13]
	ds_read2st64_b32 v[14:15], v9 offset0:24 offset1:26
	ds_write2st64_b32 v9, v12, v13 offset0:16 offset1:18
	ds_read2st64_b32 v[12:13], v9 offset0:28 offset1:30
	s_waitcnt lgkmcnt(3)
	v_pk_mul_f32 v[10:11], v[2:3], v[10:11]
	ds_write2st64_b32 v9, v10, v11 offset0:20 offset1:22
	s_waitcnt lgkmcnt(3)
	v_pk_mul_f32 v[10:11], v[2:3], v[14:15]
	ds_write2st64_b32 v9, v10, v11 offset0:24 offset1:26
	s_waitcnt lgkmcnt(2)
	v_pk_mul_f32 v[10:11], v[2:3], v[12:13]
	s_add_i32 s16, s16, 16
	v_cmp_eq_u32_e32 vcc, 0, v8
	ds_write2st64_b32 v9, v10, v11 offset0:28 offset1:30
	v_add_u32_e32 v9, 0x2000, v9
	s_or_b64 s[14:15], vcc, s[14:15]
	v_mov_b32_e32 v10, s16
	s_andn2_b64 exec, exec, s[14:15]
	s_cbranch_execnz .LBB240_29
; %bb.30:
	s_or_b64 exec, exec, s[14:15]
.LBB240_31:
	s_or_b64 exec, exec, s[10:11]
	v_and_b32_e32 v7, 7, v7
	v_cmp_ne_u32_e32 vcc, 0, v7
	s_and_saveexec_b64 s[10:11], vcc
	s_cbranch_execz .LBB240_34
; %bb.32:
	v_lshlrev_b32_e32 v8, 9, v10
	s_movk_i32 s14, 0x1d0
	v_add3_u32 v8, v8, v68, s14
	s_mov_b64 s[14:15], 0
.LBB240_33:                             ; =>This Inner Loop Header: Depth=1
	ds_read2st64_b32 v[10:11], v8 offset1:2
	v_add_u32_e32 v7, -1, v7
	v_cmp_eq_u32_e32 vcc, 0, v7
	s_or_b64 s[14:15], vcc, s[14:15]
	s_waitcnt lgkmcnt(0)
	v_pk_mul_f32 v[10:11], v[2:3], v[10:11]
	ds_write2st64_b32 v8, v10, v11 offset1:2
	v_add_u32_e32 v8, 0x400, v8
	s_andn2_b64 exec, exec, s[14:15]
	s_cbranch_execnz .LBB240_33
.LBB240_34:
	s_or_b64 exec, exec, s[10:11]
	v_add_u32_e32 v6, 1, v6
	v_and_b32_e32 v7, 0x3fffffe, v6
	v_cmp_ne_u32_e32 vcc, v6, v7
	v_lshl_add_u32 v3, v7, 7, v0
	s_orn2_b64 s[10:11], vcc, exec
.LBB240_35:
	s_or_b64 exec, exec, s[6:7]
	s_and_b64 exec, exec, s[10:11]
	s_cbranch_execz .LBB240_38
; %bb.36:
	v_mov_b32_e32 v6, 0x1d0
	v_lshl_add_u32 v6, v3, 2, v6
	s_mov_b64 s[6:7], 0
.LBB240_37:                             ; =>This Inner Loop Header: Depth=1
	ds_read_b32 v7, v6
	v_add_u32_e32 v3, 0x80, v3
	v_cmp_le_i32_e32 vcc, s3, v3
	s_or_b64 s[6:7], vcc, s[6:7]
	s_waitcnt lgkmcnt(0)
	v_mul_f32_e32 v7, v2, v7
	ds_write_b32 v6, v7
	v_add_u32_e32 v6, 0x200, v6
	s_andn2_b64 exec, exec, s[6:7]
	s_cbranch_execnz .LBB240_37
.LBB240_38:
	s_or_b64 exec, exec, s[0:1]
	s_mul_i32 s0, s25, s28
	v_cmp_eq_u32_e32 vcc, 0, v0
	s_mul_i32 s6, s0, s5
	s_waitcnt lgkmcnt(0)
	s_barrier
	s_and_saveexec_b64 s[0:1], vcc
	s_cbranch_execz .LBB240_40
; %bb.39:
	s_ashr_i32 s7, s6, 31
	s_lshl_b64 s[10:11], s[6:7], 2
	s_add_u32 s5, s22, s10
	s_mul_i32 s2, s25, s2
	s_addc_u32 s7, s23, s11
	s_ashr_i32 s3, s2, 31
	s_lshl_b64 s[2:3], s[2:3], 2
	s_add_u32 s16, s5, s2
	s_addc_u32 s7, s7, s3
	s_ashr_i32 s5, s4, 31
	s_lshl_b64 s[14:15], s[4:5], 2
	s_add_u32 s16, s16, s14
	s_addc_u32 s17, s7, s15
	s_add_u32 s5, s20, s10
	s_addc_u32 s7, s21, s11
	;; [unrolled: 2-line block ×3, first 2 shown]
	s_add_u32 s2, s2, s14
	v_mov_b32_e32 v2, 0
	s_addc_u32 s3, s3, s15
	global_store_dword v2, v4, s[16:17]
	global_store_dword v2, v5, s[2:3]
.LBB240_40:
	s_or_b64 exec, exec, s[0:1]
	v_mov_b32_e32 v18, 0
	v_and_b32_e32 v85, 7, v0
	v_mov_b32_e32 v19, 0
	v_mov_b32_e32 v16, 0
	;; [unrolled: 1-line block ×13, first 2 shown]
	s_and_saveexec_b64 s[2:3], s[8:9]
	s_cbranch_execz .LBB240_72
; %bb.41:
	s_ashr_i32 s1, s43, 31
	s_load_dword s8, s[18:19], 0x0
	s_add_u32 s0, s36, s43
	s_addc_u32 s1, s37, s1
	v_and_b32_e32 v6, 0xfc, v68
	v_mov_b32_e32 v7, 0
	v_and_b32_e32 v2, 28, v68
	s_add_i32 s7, s12, -1
	v_lshl_add_u64 v[20:21], s[0:1], 0, v[6:7]
	v_lshl_add_u32 v3, v69, 5, s42
	s_lshl_b64 s[0:1], s[34:35], 2
	v_add3_u32 v86, v3, v2, 3
	v_lshlrev_b32_e32 v2, 4, v85
	s_add_u32 s0, s30, s0
	v_lshl_or_b32 v2, v69, 7, v2
	s_addc_u32 s1, s31, s1
	s_mov_b32 s5, s13
	s_waitcnt lgkmcnt(0)
	s_mov_b32 s9, s8
	v_add_u32_e32 v87, 0x1d0, v2
	v_lshl_add_u64 v[22:23], v[58:59], 2, s[0:1]
	s_mov_b64 s[10:11], 0
	v_mov_b32_e32 v6, v7
	v_mov_b32_e32 v9, v7
	;; [unrolled: 1-line block ×13, first 2 shown]
	s_branch .LBB240_43
.LBB240_42:                             ;   in Loop: Header=BB240_43 Depth=1
	s_or_b64 exec, exec, s[0:1]
	s_waitcnt lgkmcnt(0)
	v_mul_f32_e32 v59, v3, v81
	v_fmac_f32_e32 v59, v2, v80
	v_fmac_f32_e32 v59, v4, v78
	v_fmac_f32_e32 v59, v5, v79
	v_add_f32_e32 v6, v6, v59
	v_mul_f32_e32 v59, v3, v77
	v_fmac_f32_e32 v59, v2, v76
	v_fmac_f32_e32 v59, v4, v74
	v_fmac_f32_e32 v59, v5, v75
	v_add_f32_e32 v9, v9, v59
	;; [unrolled: 5-line block ×4, first 2 shown]
	v_mul_f32_e32 v59, v3, v63
	v_mul_f32_e32 v57, v3, v57
	;; [unrolled: 1-line block ×10, first 2 shown]
	v_fmac_f32_e32 v59, v2, v62
	v_fmac_f32_e32 v57, v2, v56
	;; [unrolled: 1-line block ×20, first 2 shown]
	v_add_u32_e32 v58, 2, v58
	v_fmac_f32_e32 v59, v5, v61
	v_fmac_f32_e32 v57, v5, v55
	;; [unrolled: 1-line block ×10, first 2 shown]
	v_cmp_le_i32_e32 vcc, s33, v58
	v_add_f32_e32 v10, v10, v59
	v_add_f32_e32 v13, v13, v57
	;; [unrolled: 1-line block ×10, first 2 shown]
	v_add_u32_e32 v86, 64, v86
	v_add_u32_e32 v87, 0x100, v87
	s_or_b64 s[10:11], vcc, s[10:11]
	v_lshl_add_u64 v[22:23], v[22:23], 0, 8
	s_andn2_b64 exec, exec, s[10:11]
	s_cbranch_execz .LBB240_71
.LBB240_43:                             ; =>This Inner Loop Header: Depth=1
	global_load_dword v2, v[22:23], off
	v_add_u32_e32 v59, -3, v86
	v_cmp_eq_u32_e32 vcc, s7, v58
	v_add_u32_e32 v88, -2, v86
	v_add_u32_e32 v89, -1, v86
	s_waitcnt vmcnt(0)
	v_mad_i64_i32 v[36:37], s[0:1], v2, s5, v[20:21]
	global_load_dword v24, v[36:37], off
	ds_read_b128 v[2:5], v87
	s_waitcnt vmcnt(0)
	v_and_b32_e32 v25, 0xffff, v24
	v_lshrrev_b32_e32 v26, 16, v24
	v_cvt_pk_f32_fp8_e32 v[24:25], v25
	v_cvt_pk_f32_fp8_e32 v[28:29], v26
	v_pk_mul_f32 v[26:27], s[8:9], v[24:25]
	v_pk_mul_f32 v[24:25], s[8:9], v[28:29]
	s_and_saveexec_b64 s[12:13], vcc
; %bb.44:                               ;   in Loop: Header=BB240_43 Depth=1
	v_cmp_gt_i32_e64 s[0:1], s29, v59
	s_nop 1
	v_cndmask_b32_e64 v26, 0, v26, s[0:1]
	v_cmp_gt_i32_e64 s[0:1], s29, v88
	s_nop 1
	v_cndmask_b32_e64 v27, 0, v27, s[0:1]
	v_cmp_gt_i32_e64 s[0:1], s29, v89
	s_nop 1
	v_cndmask_b32_e64 v24, 0, v24, s[0:1]
	v_cmp_gt_i32_e64 s[0:1], s29, v86
	s_nop 1
	v_cndmask_b32_e64 v25, 0, v25, s[0:1]
; %bb.45:                               ;   in Loop: Header=BB240_43 Depth=1
	s_or_b64 exec, exec, s[12:13]
	global_load_dword v28, v[36:37], off offset:256
	s_waitcnt vmcnt(0)
	v_and_b32_e32 v29, 0xffff, v28
	v_lshrrev_b32_e32 v30, 16, v28
	v_cvt_pk_f32_fp8_e32 v[28:29], v29
	v_cvt_pk_f32_fp8_e32 v[32:33], v30
	v_pk_mul_f32 v[30:31], s[8:9], v[28:29]
	v_pk_mul_f32 v[28:29], s[8:9], v[32:33]
	s_and_saveexec_b64 s[12:13], vcc
; %bb.46:                               ;   in Loop: Header=BB240_43 Depth=1
	v_cmp_gt_i32_e64 s[0:1], s29, v59
	s_nop 1
	v_cndmask_b32_e64 v30, 0, v30, s[0:1]
	v_cmp_gt_i32_e64 s[0:1], s29, v88
	s_nop 1
	v_cndmask_b32_e64 v31, 0, v31, s[0:1]
	v_cmp_gt_i32_e64 s[0:1], s29, v89
	s_nop 1
	v_cndmask_b32_e64 v28, 0, v28, s[0:1]
	v_cmp_gt_i32_e64 s[0:1], s29, v86
	s_nop 1
	v_cndmask_b32_e64 v29, 0, v29, s[0:1]
; %bb.47:                               ;   in Loop: Header=BB240_43 Depth=1
	s_or_b64 exec, exec, s[12:13]
	global_load_dword v32, v[36:37], off offset:512
	;; [unrolled: 24-line block ×13, first 2 shown]
	s_waitcnt vmcnt(0)
	v_and_b32_e32 v37, 0xffff, v36
	v_lshrrev_b32_e32 v72, 16, v36
	v_cvt_pk_f32_fp8_e32 v[36:37], v37
	v_cvt_pk_f32_fp8_e32 v[90:91], v72
	v_pk_mul_f32 v[72:73], s[8:9], v[36:37]
	v_pk_mul_f32 v[36:37], s[8:9], v[90:91]
	s_and_saveexec_b64 s[0:1], vcc
	s_cbranch_execz .LBB240_42
; %bb.70:                               ;   in Loop: Header=BB240_43 Depth=1
	v_cmp_gt_i32_e32 vcc, s29, v59
	s_nop 1
	v_cndmask_b32_e32 v72, 0, v72, vcc
	v_cmp_gt_i32_e32 vcc, s29, v88
	s_nop 1
	v_cndmask_b32_e32 v73, 0, v73, vcc
	;; [unrolled: 3-line block ×4, first 2 shown]
	s_branch .LBB240_42
.LBB240_71:
	s_or_b64 exec, exec, s[10:11]
.LBB240_72:
	s_or_b64 exec, exec, s[2:3]
	ds_bpermute_b32 v2, v83, v18
	ds_bpermute_b32 v3, v83, v19
	;; [unrolled: 1-line block ×6, first 2 shown]
	s_waitcnt lgkmcnt(4)
	v_pk_add_f32 v[2:3], v[18:19], v[2:3]
	ds_bpermute_b32 v18, v82, v2
	s_waitcnt lgkmcnt(3)
	v_pk_add_f32 v[4:5], v[16:17], v[4:5]
	ds_bpermute_b32 v19, v82, v3
	ds_bpermute_b32 v16, v82, v4
	;; [unrolled: 1-line block ×3, first 2 shown]
	s_waitcnt lgkmcnt(4)
	v_pk_add_f32 v[14:15], v[14:15], v[20:21]
	ds_bpermute_b32 v20, v82, v14
	s_waitcnt lgkmcnt(3)
	v_pk_add_f32 v[2:3], v[2:3], v[18:19]
	ds_bpermute_b32 v18, v84, v2
	;; [unrolled: 3-line block ×3, first 2 shown]
	ds_bpermute_b32 v22, v84, v16
	ds_bpermute_b32 v23, v84, v17
	;; [unrolled: 1-line block ×3, first 2 shown]
	s_waitcnt lgkmcnt(0)
	v_pk_add_f32 v[4:5], v[2:3], v[18:19]
	s_barrier
	v_pk_add_f32 v[2:3], v[16:17], v[22:23]
	ds_bpermute_b32 v16, v83, v12
	ds_bpermute_b32 v17, v83, v13
	v_pk_add_f32 v[14:15], v[14:15], v[20:21]
	ds_bpermute_b32 v20, v83, v10
	ds_bpermute_b32 v21, v83, v11
	;; [unrolled: 1-line block ×3, first 2 shown]
	s_waitcnt lgkmcnt(3)
	v_pk_add_f32 v[12:13], v[12:13], v[16:17]
	ds_bpermute_b32 v16, v82, v12
	ds_bpermute_b32 v17, v82, v13
	s_waitcnt lgkmcnt(3)
	v_pk_add_f32 v[10:11], v[10:11], v[20:21]
	ds_bpermute_b32 v23, v83, v9
	ds_bpermute_b32 v20, v82, v10
	;; [unrolled: 1-line block ×3, first 2 shown]
	s_waitcnt lgkmcnt(3)
	v_pk_add_f32 v[16:17], v[12:13], v[16:17]
	ds_bpermute_b32 v12, v83, v6
	ds_bpermute_b32 v13, v83, v7
	s_waitcnt lgkmcnt(4)
	v_pk_add_f32 v[8:9], v[8:9], v[22:23]
	s_waitcnt lgkmcnt(2)
	v_pk_add_f32 v[20:21], v[10:11], v[20:21]
	ds_bpermute_b32 v10, v82, v8
	ds_bpermute_b32 v11, v82, v9
	s_waitcnt lgkmcnt(2)
	v_pk_add_f32 v[30:31], v[6:7], v[12:13]
	ds_bpermute_b32 v18, v84, v14
	ds_bpermute_b32 v19, v84, v15
	;; [unrolled: 1-line block ×6, first 2 shown]
	s_waitcnt lgkmcnt(6)
	v_pk_add_f32 v[26:27], v[8:9], v[10:11]
	ds_bpermute_b32 v22, v84, v20
	ds_bpermute_b32 v23, v84, v21
	;; [unrolled: 1-line block ×4, first 2 shown]
	s_waitcnt lgkmcnt(8)
	v_pk_add_f32 v[12:13], v[14:15], v[18:19]
	s_waitcnt lgkmcnt(6)
	v_pk_add_f32 v[14:15], v[30:31], v[32:33]
	;; [unrolled: 2-line block ×3, first 2 shown]
	ds_bpermute_b32 v16, v84, v14
	ds_bpermute_b32 v17, v84, v15
	v_and_b32_e32 v18, 0x3c7, v0
	s_waitcnt lgkmcnt(4)
	v_pk_add_f32 v[8:9], v[20:21], v[22:23]
	s_waitcnt lgkmcnt(2)
	v_pk_add_f32 v[6:7], v[26:27], v[28:29]
	v_cmp_ne_u32_e32 vcc, 64, v18
	s_waitcnt lgkmcnt(0)
	s_and_saveexec_b64 s[0:1], vcc
	s_xor_b64 s[0:1], exec, s[0:1]
; %bb.73:
                                        ; implicit-def: $vgpr1
; %bb.74:
	s_or_saveexec_b64 s[0:1], s[0:1]
	v_pk_add_f32 v[14:15], v[14:15], v[16:17]
	s_xor_b64 exec, exec, s[0:1]
	s_cbranch_execz .LBB240_76
; %bb.75:
	v_lshrrev_b32_e32 v1, 1, v1
	v_add_u32_e32 v1, 0x1d0, v1
	ds_write2_b32 v1, v4, v5 offset1:8
	ds_write2_b32 v1, v2, v3 offset0:16 offset1:24
	ds_write2_b32 v1, v12, v13 offset0:32 offset1:40
	;; [unrolled: 1-line block ×6, first 2 shown]
.LBB240_76:
	s_or_b64 exec, exec, s[0:1]
	v_cmp_gt_u32_e32 vcc, 64, v0
	s_waitcnt lgkmcnt(0)
	s_barrier
	s_and_saveexec_b64 s[0:1], vcc
	s_cbranch_execz .LBB240_93
; %bb.77:
	v_cmp_eq_u32_e32 vcc, 0, v85
	v_lshrrev_b32_e32 v1, 3, v0
	s_and_saveexec_b64 s[2:3], vcc
	s_cbranch_execnz .LBB240_96
; %bb.78:
	s_or_b64 exec, exec, s[2:3]
	s_and_saveexec_b64 s[2:3], vcc
	s_cbranch_execnz .LBB240_97
.LBB240_79:
	s_or_b64 exec, exec, s[2:3]
	s_and_saveexec_b64 s[2:3], vcc
	s_cbranch_execnz .LBB240_98
.LBB240_80:
	s_or_b64 exec, exec, s[2:3]
	s_and_saveexec_b64 s[2:3], vcc
	s_cbranch_execnz .LBB240_99
.LBB240_81:
	s_or_b64 exec, exec, s[2:3]
	s_and_saveexec_b64 s[2:3], vcc
	s_cbranch_execnz .LBB240_100
.LBB240_82:
	s_or_b64 exec, exec, s[2:3]
	s_and_saveexec_b64 s[2:3], vcc
	s_cbranch_execnz .LBB240_101
.LBB240_83:
	s_or_b64 exec, exec, s[2:3]
	s_and_saveexec_b64 s[2:3], vcc
	s_cbranch_execnz .LBB240_102
.LBB240_84:
	s_or_b64 exec, exec, s[2:3]
	s_and_saveexec_b64 s[2:3], vcc
	s_cbranch_execnz .LBB240_103
.LBB240_85:
	s_or_b64 exec, exec, s[2:3]
	s_and_saveexec_b64 s[2:3], vcc
	s_cbranch_execnz .LBB240_104
.LBB240_86:
	s_or_b64 exec, exec, s[2:3]
	s_and_saveexec_b64 s[2:3], vcc
	s_cbranch_execnz .LBB240_105
.LBB240_87:
	s_or_b64 exec, exec, s[2:3]
	s_and_saveexec_b64 s[2:3], vcc
	s_cbranch_execnz .LBB240_106
.LBB240_88:
	s_or_b64 exec, exec, s[2:3]
	s_and_saveexec_b64 s[2:3], vcc
	s_cbranch_execnz .LBB240_107
.LBB240_89:
	s_or_b64 exec, exec, s[2:3]
	s_and_saveexec_b64 s[2:3], vcc
	s_cbranch_execnz .LBB240_108
.LBB240_90:
	s_or_b64 exec, exec, s[2:3]
	s_and_saveexec_b64 s[2:3], vcc
	s_cbranch_execz .LBB240_92
.LBB240_91:
	v_mov_b32_e32 v16, 0x1d0
	v_lshl_add_u32 v1, v1, 2, v16
	ds_read_b32 v1, v1 offset:416
	s_waitcnt lgkmcnt(0)
	v_add_f32_e32 v15, v15, v1
.LBB240_92:
	s_or_b64 exec, exec, s[2:3]
.LBB240_93:
	s_or_b64 exec, exec, s[0:1]
	v_cmp_eq_u32_e32 vcc, 0, v18
	s_barrier
	s_and_saveexec_b64 s[0:1], vcc
	s_cbranch_execz .LBB240_95
; %bb.94:
	s_mul_i32 s0, s6, 0x70
	s_ashr_i32 s1, s0, 31
	s_lshl_b64 s[0:1], s[0:1], 2
	s_add_u32 s2, s26, s0
	s_mul_i32 s0, s25, s24
	s_addc_u32 s3, s27, s1
	s_ashr_i32 s1, s0, 31
	s_lshl_b64 s[0:1], s[0:1], 2
	s_add_u32 s2, s2, s0
	s_mul_i32 s0, s4, 0x70
	s_addc_u32 s3, s3, s1
	s_ashr_i32 s1, s0, 31
	s_lshl_b64 s[0:1], s[0:1], 2
	s_add_u32 s0, s2, s0
	s_addc_u32 s1, s3, s1
	v_lshrrev_b32_e32 v0, 1, v0
	global_store_dword v0, v4, s[0:1]
	global_store_dword v0, v5, s[0:1] offset:32
	global_store_dword v0, v2, s[0:1] offset:64
	;; [unrolled: 1-line block ×13, first 2 shown]
.LBB240_95:
	s_endpgm
.LBB240_96:
	v_mov_b32_e32 v16, 0x1d0
	v_lshl_add_u32 v16, v1, 2, v16
	ds_read_b32 v16, v16
	s_waitcnt lgkmcnt(0)
	v_add_f32_e32 v4, v4, v16
	s_or_b64 exec, exec, s[2:3]
	s_and_saveexec_b64 s[2:3], vcc
	s_cbranch_execz .LBB240_79
.LBB240_97:
	v_mov_b32_e32 v16, 0x1d0
	v_lshl_add_u32 v16, v1, 2, v16
	ds_read_b32 v16, v16 offset:32
	s_waitcnt lgkmcnt(0)
	v_add_f32_e32 v5, v5, v16
	s_or_b64 exec, exec, s[2:3]
	s_and_saveexec_b64 s[2:3], vcc
	s_cbranch_execz .LBB240_80
.LBB240_98:
	v_mov_b32_e32 v16, 0x1d0
	v_lshl_add_u32 v16, v1, 2, v16
	ds_read_b32 v16, v16 offset:64
	s_waitcnt lgkmcnt(0)
	v_add_f32_e32 v2, v2, v16
	s_or_b64 exec, exec, s[2:3]
	s_and_saveexec_b64 s[2:3], vcc
	s_cbranch_execz .LBB240_81
.LBB240_99:
	v_mov_b32_e32 v16, 0x1d0
	v_lshl_add_u32 v16, v1, 2, v16
	ds_read_b32 v16, v16 offset:96
	s_waitcnt lgkmcnt(0)
	v_add_f32_e32 v3, v3, v16
	s_or_b64 exec, exec, s[2:3]
	s_and_saveexec_b64 s[2:3], vcc
	s_cbranch_execz .LBB240_82
.LBB240_100:
	v_mov_b32_e32 v16, 0x1d0
	v_lshl_add_u32 v16, v1, 2, v16
	ds_read_b32 v16, v16 offset:128
	s_waitcnt lgkmcnt(0)
	v_add_f32_e32 v12, v12, v16
	s_or_b64 exec, exec, s[2:3]
	s_and_saveexec_b64 s[2:3], vcc
	s_cbranch_execz .LBB240_83
.LBB240_101:
	v_mov_b32_e32 v16, 0x1d0
	v_lshl_add_u32 v16, v1, 2, v16
	ds_read_b32 v16, v16 offset:160
	s_waitcnt lgkmcnt(0)
	v_add_f32_e32 v13, v13, v16
	s_or_b64 exec, exec, s[2:3]
	s_and_saveexec_b64 s[2:3], vcc
	s_cbranch_execz .LBB240_84
.LBB240_102:
	v_mov_b32_e32 v16, 0x1d0
	v_lshl_add_u32 v16, v1, 2, v16
	ds_read_b32 v16, v16 offset:192
	s_waitcnt lgkmcnt(0)
	v_add_f32_e32 v10, v10, v16
	s_or_b64 exec, exec, s[2:3]
	s_and_saveexec_b64 s[2:3], vcc
	s_cbranch_execz .LBB240_85
.LBB240_103:
	v_mov_b32_e32 v16, 0x1d0
	v_lshl_add_u32 v16, v1, 2, v16
	ds_read_b32 v16, v16 offset:224
	s_waitcnt lgkmcnt(0)
	v_add_f32_e32 v11, v11, v16
	s_or_b64 exec, exec, s[2:3]
	s_and_saveexec_b64 s[2:3], vcc
	s_cbranch_execz .LBB240_86
.LBB240_104:
	v_mov_b32_e32 v16, 0x1d0
	v_lshl_add_u32 v16, v1, 2, v16
	ds_read_b32 v16, v16 offset:256
	s_waitcnt lgkmcnt(0)
	v_add_f32_e32 v8, v8, v16
	s_or_b64 exec, exec, s[2:3]
	s_and_saveexec_b64 s[2:3], vcc
	s_cbranch_execz .LBB240_87
.LBB240_105:
	v_mov_b32_e32 v16, 0x1d0
	v_lshl_add_u32 v16, v1, 2, v16
	ds_read_b32 v16, v16 offset:288
	s_waitcnt lgkmcnt(0)
	v_add_f32_e32 v9, v9, v16
	s_or_b64 exec, exec, s[2:3]
	s_and_saveexec_b64 s[2:3], vcc
	s_cbranch_execz .LBB240_88
.LBB240_106:
	v_mov_b32_e32 v16, 0x1d0
	v_lshl_add_u32 v16, v1, 2, v16
	ds_read_b32 v16, v16 offset:320
	s_waitcnt lgkmcnt(0)
	v_add_f32_e32 v6, v6, v16
	s_or_b64 exec, exec, s[2:3]
	s_and_saveexec_b64 s[2:3], vcc
	s_cbranch_execz .LBB240_89
.LBB240_107:
	v_mov_b32_e32 v16, 0x1d0
	v_lshl_add_u32 v16, v1, 2, v16
	ds_read_b32 v16, v16 offset:352
	s_waitcnt lgkmcnt(0)
	v_add_f32_e32 v7, v7, v16
	s_or_b64 exec, exec, s[2:3]
	s_and_saveexec_b64 s[2:3], vcc
	s_cbranch_execz .LBB240_90
.LBB240_108:
	v_mov_b32_e32 v16, 0x1d0
	v_lshl_add_u32 v16, v1, 2, v16
	ds_read_b32 v16, v16 offset:384
	s_waitcnt lgkmcnt(0)
	v_add_f32_e32 v14, v14, v16
	s_or_b64 exec, exec, s[2:3]
	s_and_saveexec_b64 s[2:3], vcc
	s_cbranch_execnz .LBB240_91
	s_branch .LBB240_92
	.section	.rodata,"a",@progbits
	.p2align	6, 0x0
	.amdhsa_kernel _ZN4vllm25paged_attention_v2_kernelIfhLi112ELi32ELi128ELNS_18Fp8KVCacheDataTypeE1ELb0ELi512EEEvPfS2_PT_PKS3_PKT0_S9_ifPKiSB_iPKfiiiSD_SD_iiiii
		.amdhsa_group_segment_fixed_size 464
		.amdhsa_private_segment_fixed_size 0
		.amdhsa_kernarg_size 400
		.amdhsa_user_sgpr_count 2
		.amdhsa_user_sgpr_dispatch_ptr 0
		.amdhsa_user_sgpr_queue_ptr 0
		.amdhsa_user_sgpr_kernarg_segment_ptr 1
		.amdhsa_user_sgpr_dispatch_id 0
		.amdhsa_user_sgpr_kernarg_preload_length 0
		.amdhsa_user_sgpr_kernarg_preload_offset 0
		.amdhsa_user_sgpr_private_segment_size 0
		.amdhsa_uses_dynamic_stack 0
		.amdhsa_enable_private_segment 0
		.amdhsa_system_sgpr_workgroup_id_x 1
		.amdhsa_system_sgpr_workgroup_id_y 1
		.amdhsa_system_sgpr_workgroup_id_z 1
		.amdhsa_system_sgpr_workgroup_info 0
		.amdhsa_system_vgpr_workitem_id 0
		.amdhsa_next_free_vgpr 108
		.amdhsa_next_free_sgpr 46
		.amdhsa_accum_offset 108
		.amdhsa_reserve_vcc 1
		.amdhsa_float_round_mode_32 0
		.amdhsa_float_round_mode_16_64 0
		.amdhsa_float_denorm_mode_32 3
		.amdhsa_float_denorm_mode_16_64 3
		.amdhsa_dx10_clamp 1
		.amdhsa_ieee_mode 1
		.amdhsa_fp16_overflow 0
		.amdhsa_tg_split 0
		.amdhsa_exception_fp_ieee_invalid_op 0
		.amdhsa_exception_fp_denorm_src 0
		.amdhsa_exception_fp_ieee_div_zero 0
		.amdhsa_exception_fp_ieee_overflow 0
		.amdhsa_exception_fp_ieee_underflow 0
		.amdhsa_exception_fp_ieee_inexact 0
		.amdhsa_exception_int_div_zero 0
	.end_amdhsa_kernel
	.section	.text._ZN4vllm25paged_attention_v2_kernelIfhLi112ELi32ELi128ELNS_18Fp8KVCacheDataTypeE1ELb0ELi512EEEvPfS2_PT_PKS3_PKT0_S9_ifPKiSB_iPKfiiiSD_SD_iiiii,"axG",@progbits,_ZN4vllm25paged_attention_v2_kernelIfhLi112ELi32ELi128ELNS_18Fp8KVCacheDataTypeE1ELb0ELi512EEEvPfS2_PT_PKS3_PKT0_S9_ifPKiSB_iPKfiiiSD_SD_iiiii,comdat
.Lfunc_end240:
	.size	_ZN4vllm25paged_attention_v2_kernelIfhLi112ELi32ELi128ELNS_18Fp8KVCacheDataTypeE1ELb0ELi512EEEvPfS2_PT_PKS3_PKT0_S9_ifPKiSB_iPKfiiiSD_SD_iiiii, .Lfunc_end240-_ZN4vllm25paged_attention_v2_kernelIfhLi112ELi32ELi128ELNS_18Fp8KVCacheDataTypeE1ELb0ELi512EEEvPfS2_PT_PKS3_PKT0_S9_ifPKiSB_iPKfiiiSD_SD_iiiii
                                        ; -- End function
	.section	.AMDGPU.csdata,"",@progbits
; Kernel info:
; codeLenInByte = 7716
; NumSgprs: 52
; NumVgprs: 108
; NumAgprs: 0
; TotalNumVgprs: 108
; ScratchSize: 0
; MemoryBound: 0
; FloatMode: 240
; IeeeMode: 1
; LDSByteSize: 464 bytes/workgroup (compile time only)
; SGPRBlocks: 6
; VGPRBlocks: 13
; NumSGPRsForWavesPerEU: 52
; NumVGPRsForWavesPerEU: 108
; AccumOffset: 108
; Occupancy: 4
; WaveLimiterHint : 1
; COMPUTE_PGM_RSRC2:SCRATCH_EN: 0
; COMPUTE_PGM_RSRC2:USER_SGPR: 2
; COMPUTE_PGM_RSRC2:TRAP_HANDLER: 0
; COMPUTE_PGM_RSRC2:TGID_X_EN: 1
; COMPUTE_PGM_RSRC2:TGID_Y_EN: 1
; COMPUTE_PGM_RSRC2:TGID_Z_EN: 1
; COMPUTE_PGM_RSRC2:TIDIG_COMP_CNT: 0
; COMPUTE_PGM_RSRC3_GFX90A:ACCUM_OFFSET: 26
; COMPUTE_PGM_RSRC3_GFX90A:TG_SPLIT: 0
	.section	.text._ZN4vllm25paged_attention_v2_kernelIfhLi120ELi32ELi128ELNS_18Fp8KVCacheDataTypeE1ELb0ELi512EEEvPfS2_PT_PKS3_PKT0_S9_ifPKiSB_iPKfiiiSD_SD_iiiii,"axG",@progbits,_ZN4vllm25paged_attention_v2_kernelIfhLi120ELi32ELi128ELNS_18Fp8KVCacheDataTypeE1ELb0ELi512EEEvPfS2_PT_PKS3_PKT0_S9_ifPKiSB_iPKfiiiSD_SD_iiiii,comdat
	.protected	_ZN4vllm25paged_attention_v2_kernelIfhLi120ELi32ELi128ELNS_18Fp8KVCacheDataTypeE1ELb0ELi512EEEvPfS2_PT_PKS3_PKT0_S9_ifPKiSB_iPKfiiiSD_SD_iiiii ; -- Begin function _ZN4vllm25paged_attention_v2_kernelIfhLi120ELi32ELi128ELNS_18Fp8KVCacheDataTypeE1ELb0ELi512EEEvPfS2_PT_PKS3_PKT0_S9_ifPKiSB_iPKfiiiSD_SD_iiiii
	.globl	_ZN4vllm25paged_attention_v2_kernelIfhLi120ELi32ELi128ELNS_18Fp8KVCacheDataTypeE1ELb0ELi512EEEvPfS2_PT_PKS3_PKT0_S9_ifPKiSB_iPKfiiiSD_SD_iiiii
	.p2align	8
	.type	_ZN4vllm25paged_attention_v2_kernelIfhLi120ELi32ELi128ELNS_18Fp8KVCacheDataTypeE1ELb0ELi512EEEvPfS2_PT_PKS3_PKT0_S9_ifPKiSB_iPKfiiiSD_SD_iiiii,@function
_ZN4vllm25paged_attention_v2_kernelIfhLi120ELi32ELi128ELNS_18Fp8KVCacheDataTypeE1ELb0ELi512EEEvPfS2_PT_PKS3_PKT0_S9_ifPKiSB_iPKfiiiSD_SD_iiiii: ; @_ZN4vllm25paged_attention_v2_kernelIfhLi120ELi32ELi128ELNS_18Fp8KVCacheDataTypeE1ELb0ELi512EEEvPfS2_PT_PKS3_PKT0_S9_ifPKiSB_iPKfiiiSD_SD_iiiii
; %bb.0:
	s_load_dwordx2 s[6:7], s[0:1], 0x40
	s_mov_b32 s28, s3
	s_ashr_i32 s29, s3, 31
	s_lshl_b64 s[8:9], s[28:29], 2
	s_waitcnt lgkmcnt(0)
	s_add_u32 s6, s6, s8
	s_addc_u32 s7, s7, s9
	s_load_dword s29, s[6:7], 0x0
	s_lshl_b32 s42, s4, 9
	s_waitcnt lgkmcnt(0)
	s_cmp_ge_i32 s42, s29
	s_cbranch_scc1 .LBB241_98
; %bb.1:
	s_load_dword s5, s[0:1], 0x90
	s_load_dwordx2 s[10:11], s[0:1], 0x30
	s_waitcnt lgkmcnt(0)
	s_abs_i32 s7, s5
	s_abs_i32 s3, s10
	v_cvt_f32_u32_e32 v1, s3
	s_sub_i32 s8, 0, s3
	s_xor_b32 s6, s5, s10
	s_ashr_i32 s6, s6, 31
	v_rcp_iflag_f32_e32 v1, v1
	s_nop 0
	v_mul_f32_e32 v1, 0x4f7ffffe, v1
	v_cvt_u32_f32_e32 v1, v1
	s_nop 0
	v_readfirstlane_b32 s9, v1
	s_mul_i32 s8, s8, s9
	s_mul_hi_u32 s8, s9, s8
	s_add_i32 s9, s9, s8
	s_mul_hi_u32 s8, s7, s9
	s_mul_i32 s9, s8, s3
	s_sub_i32 s7, s7, s9
	s_add_i32 s10, s8, 1
	s_sub_i32 s9, s7, s3
	s_cmp_ge_u32 s7, s3
	s_cselect_b32 s8, s10, s8
	s_cselect_b32 s7, s9, s7
	s_add_i32 s9, s8, 1
	s_cmp_ge_u32 s7, s3
	s_cselect_b32 s3, s9, s8
	s_xor_b32 s3, s3, s6
	s_sub_i32 s12, s3, s6
	s_abs_i32 s8, s12
	v_cvt_f32_u32_e32 v1, s8
	s_load_dwordx2 s[6:7], s[0:1], 0x50
	s_sub_i32 s3, 0, s8
	s_abs_i32 s9, s2
	v_rcp_iflag_f32_e32 v1, v1
	s_mov_b32 s10, 0
	v_mul_f32_e32 v1, 0x4f7ffffe, v1
	v_cvt_u32_f32_e32 v1, v1
	s_nop 0
	v_readfirstlane_b32 s13, v1
	s_mul_i32 s3, s3, s13
	s_mul_hi_u32 s3, s13, s3
	s_add_i32 s13, s13, s3
	s_waitcnt lgkmcnt(0)
	s_cmp_eq_u64 s[6:7], 0
	s_mul_hi_u32 s16, s9, s13
	s_cbranch_scc1 .LBB241_3
; %bb.2:
	s_ashr_i32 s3, s2, 31
	s_lshl_b64 s[14:15], s[2:3], 2
	s_add_u32 s6, s6, s14
	s_addc_u32 s7, s7, s15
	s_load_dword s10, s[6:7], 0x0
.LBB241_3:
	s_ashr_i32 s18, s12, 31
	s_load_dwordx4 s[12:15], s[0:1], 0x58
	s_ashr_i32 s17, s2, 31
	v_and_b32_e32 v42, 1, v0
	s_mul_i32 s24, s2, 0x78
	v_cmp_gt_u32_e32 vcc, 60, v0
	v_lshlrev_b32_e32 v72, 2, v0
	s_and_saveexec_b64 s[6:7], vcc
	s_cbranch_execz .LBB241_5
; %bb.4:
	s_load_dwordx2 s[20:21], s[0:1], 0x18
	s_waitcnt lgkmcnt(0)
	s_mul_i32 s22, s28, s12
	s_ashr_i32 s23, s22, 31
	s_lshl_b64 s[22:23], s[22:23], 2
	v_lshlrev_b32_e32 v1, 3, v0
	s_add_u32 s3, s20, s22
	s_addc_u32 s12, s21, s23
	s_ashr_i32 s25, s24, 31
	s_lshl_b64 s[20:21], s[24:25], 2
	s_add_u32 s20, s3, s20
	s_addc_u32 s21, s12, s21
	global_load_dwordx2 v[2:3], v1, s[20:21]
	v_and_b32_e32 v1, 0xff8, v72
	s_movk_i32 s3, 0xf0
	v_mad_u32_u24 v1, v42, s3, v1
	s_waitcnt vmcnt(0)
	ds_write_b64 v1, v[2:3]
.LBB241_5:
	s_or_b64 exec, exec, s[6:7]
	s_add_i32 s3, s29, 31
	s_ashr_i32 s6, s3, 31
	s_lshr_b32 s6, s6, 27
	s_add_i32 s3, s3, s6
	s_waitcnt lgkmcnt(0)
	s_ashr_i32 s12, s3, 5
	s_lshl_b32 s3, s4, 4
	s_mul_i32 s7, s16, s8
	s_add_i32 s6, s3, 16
	s_sub_i32 s7, s9, s7
	s_min_i32 s33, s6, s12
	s_xor_b32 s6, s17, s18
	s_add_i32 s9, s16, 1
	s_sub_i32 s15, s7, s8
	s_cmp_ge_u32 s7, s8
	s_cselect_b32 s9, s9, s16
	s_cselect_b32 s7, s15, s7
	s_add_i32 s15, s9, 1
	s_cmp_ge_u32 s7, s8
	s_load_dwordx2 s[30:31], s[0:1], 0x38
	s_load_dword s8, s[0:1], 0x48
	v_lshrrev_b32_e32 v73, 6, v0
	s_cselect_b32 s7, s15, s9
	s_xor_b32 s7, s7, s6
	v_or_b32_e32 v62, s3, v73
	s_waitcnt lgkmcnt(0)
	s_mul_i32 s34, s28, s8
	s_sub_i32 s43, s7, s6
	s_ashr_i32 s35, s34, 31
	v_cmp_gt_i32_e64 s[8:9], s33, v62
	v_cmp_le_i32_e32 vcc, s33, v62
	v_mbcnt_lo_u32_b32 v1, -1, 0
	s_barrier
	s_waitcnt lgkmcnt(0)
                                        ; implicit-def: $sgpr15
                                        ; implicit-def: $vgpr74
                                        ; implicit-def: $vgpr75
	s_and_saveexec_b64 s[6:7], vcc
	s_xor_b64 s[6:7], exec, s[6:7]
; %bb.6:
	v_mbcnt_hi_u32_b32 v74, -1, v1
	v_and_b32_e32 v1, 64, v74
	v_add_u32_e32 v75, 64, v1
	s_mov_b32 s15, 0xff7fffff
                                        ; implicit-def: $vgpr42
                                        ; implicit-def: $vgpr1
; %bb.7:
	s_or_saveexec_b64 s[38:39], s[6:7]
	s_load_dwordx4 s[20:23], s[0:1], 0x0
	s_load_dwordx2 s[26:27], s[0:1], 0x10
	s_load_dword s25, s[0:1], 0x98
	s_load_dwordx2 s[36:37], s[0:1], 0x28
	s_load_dwordx4 s[16:19], s[0:1], 0x68
	v_mov_b32_e32 v76, s15
	s_mul_i32 s43, s43, s14
	v_ashrrev_i32_e32 v63, 31, v62
	s_xor_b64 exec, exec, s[38:39]
	s_cbranch_execz .LBB241_13
; %bb.8:
	s_load_dwordx2 s[0:1], s[0:1], 0x20
	v_mbcnt_hi_u32_b32 v74, -1, v1
	s_ashr_i32 s6, s43, 31
	v_mul_u32_u24_e32 v58, 0xf0, v42
	v_and_b32_e32 v44, 64, v74
	v_bfe_u32 v43, v0, 1, 5
	s_waitcnt lgkmcnt(0)
	s_add_u32 s0, s0, s43
	ds_read_b128 v[2:5], v58
	ds_read_b128 v[6:9], v58 offset:16
	ds_read_b128 v[10:13], v58 offset:32
	;; [unrolled: 1-line block ×9, first 2 shown]
	v_xor_b32_e32 v1, 1, v74
	v_add_u32_e32 v75, 64, v44
	v_lshlrev_b32_e32 v64, 4, v43
	s_addc_u32 s1, s1, s6
	v_mov_b32_e32 v65, 0
	v_cmp_lt_i32_e32 vcc, v1, v75
	v_lshl_add_u64 v[66:67], s[0:1], 0, v[64:65]
	v_lshlrev_b32_e32 v64, 1, v42
	v_cndmask_b32_e32 v1, v74, v1, vcc
	v_cmp_eq_u32_e32 vcc, 0, v42
	v_lshlrev_b32_e32 v42, 5, v73
	v_add3_u32 v77, s42, v42, v43
	v_lshlrev_b32_e32 v42, 2, v43
	v_lshl_or_b32 v42, v73, 7, v42
	s_load_dword s14, s[16:17], 0x0
	v_add_u32_e32 v78, 0x1f0, v42
	ds_read_b128 v[42:45], v58 offset:160
	ds_read_b128 v[46:49], v58 offset:176
	;; [unrolled: 1-line block ×5, first 2 shown]
	s_sub_i32 s45, 1, s29
	s_lshl_b64 s[0:1], s[34:35], 2
	s_add_u32 s0, s30, s0
	s_addc_u32 s1, s31, s1
	s_mov_b32 s44, s13
	v_lshlrev_b32_e32 v1, 2, v1
	v_cmp_neq_f32_e64 s[6:7], s10, 0
	s_waitcnt lgkmcnt(0)
	s_mov_b32 s15, s14
	v_lshl_add_u64 v[68:69], v[62:63], 2, s[0:1]
	s_mov_b64 s[16:17], 0
	v_mov_b32_e32 v76, 0xff7fffff
	v_mov_b32_e32 v79, v62
	s_branch .LBB241_10
.LBB241_9:                              ;   in Loop: Header=BB241_10 Depth=1
	s_or_b64 exec, exec, s[40:41]
	v_add_u32_e32 v79, 2, v79
	v_cmp_le_i32_e64 s[0:1], s33, v79
	v_add_u32_e32 v77, 64, v77
	v_add_u32_e32 v78, 0x100, v78
	s_or_b64 s[16:17], s[0:1], s[16:17]
	v_lshl_add_u64 v[68:69], v[68:69], 0, 8
	s_andn2_b64 exec, exec, s[16:17]
	s_cbranch_execz .LBB241_12
.LBB241_10:                             ; =>This Inner Loop Header: Depth=1
	global_load_dword v70, v[68:69], off
	s_waitcnt vmcnt(0) lgkmcnt(0)
	v_mad_i64_i32 v[70:71], s[0:1], v70, s44, v[66:67]
	v_lshl_add_u64 v[70:71], v[70:71], 0, v[64:65]
	global_load_ushort v80, v[70:71], off offset:4
	global_load_ushort v84, v[70:71], off offset:8
	;; [unrolled: 1-line block ×7, first 2 shown]
	global_load_ushort v82, v[70:71], off
	s_waitcnt vmcnt(7)
	v_cvt_pk_f32_fp8_e32 v[80:81], v80
	v_pk_mul_f32 v[80:81], s[14:15], v[80:81]
	s_nop 0
	v_mul_f32_e32 v80, v4, v80
	v_mul_f32_e32 v81, v5, v81
	s_waitcnt vmcnt(0)
	v_cvt_pk_f32_fp8_e32 v[82:83], v82
	v_pk_mul_f32 v[82:83], s[14:15], v[82:83]
	s_nop 0
	v_fmac_f32_e32 v80, v2, v82
	v_fmac_f32_e32 v81, v3, v83
	v_cvt_pk_f32_fp8_e32 v[82:83], v84
	global_load_ushort v84, v[70:71], off offset:1024
	v_pk_mul_f32 v[82:83], s[14:15], v[82:83]
	s_nop 0
	v_fmac_f32_e32 v80, v6, v82
	v_fmac_f32_e32 v81, v7, v83
	v_cvt_pk_f32_fp8_e32 v[82:83], v85
	global_load_ushort v85, v[70:71], off offset:1028
	;; [unrolled: 6-line block ×3, first 2 shown]
	v_pk_mul_f32 v[82:83], s[14:15], v[82:83]
	s_nop 0
	v_fmac_f32_e32 v80, v10, v82
	v_fmac_f32_e32 v81, v11, v83
	v_cvt_pk_f32_fp8_e32 v[82:83], v87
	v_pk_mul_f32 v[82:83], s[14:15], v[82:83]
	s_nop 0
	v_fmac_f32_e32 v80, v12, v82
	v_fmac_f32_e32 v81, v13, v83
	v_cvt_pk_f32_fp8_e32 v[82:83], v88
	;; [unrolled: 5-line block ×3, first 2 shown]
	global_load_ushort v87, v[70:71], off offset:1036
	global_load_ushort v88, v[70:71], off offset:1536
	global_load_ushort v89, v[70:71], off offset:1540
	global_load_ushort v90, v[70:71], off offset:1544
	global_load_ushort v91, v[70:71], off offset:1548
	v_pk_mul_f32 v[82:83], s[14:15], v[82:83]
	s_nop 0
	v_fmac_f32_e32 v80, v16, v82
	v_fmac_f32_e32 v81, v17, v83
	s_waitcnt vmcnt(7)
	v_cvt_pk_f32_fp8_e32 v[82:83], v84
	global_load_ushort v84, v[70:71], off offset:2048
	v_pk_mul_f32 v[82:83], s[14:15], v[82:83]
	s_nop 0
	v_fmac_f32_e32 v80, v18, v82
	v_fmac_f32_e32 v81, v19, v83
	s_waitcnt vmcnt(7)
	v_cvt_pk_f32_fp8_e32 v[82:83], v85
	global_load_ushort v85, v[70:71], off offset:2052
	;; [unrolled: 7-line block ×3, first 2 shown]
	v_pk_mul_f32 v[82:83], s[14:15], v[82:83]
	s_nop 0
	v_fmac_f32_e32 v80, v22, v82
	v_fmac_f32_e32 v81, v23, v83
	s_waitcnt vmcnt(7)
	v_cvt_pk_f32_fp8_e32 v[82:83], v87
	v_pk_mul_f32 v[82:83], s[14:15], v[82:83]
	s_nop 0
	v_fmac_f32_e32 v80, v24, v82
	v_fmac_f32_e32 v81, v25, v83
	s_waitcnt vmcnt(6)
	v_cvt_pk_f32_fp8_e32 v[82:83], v88
	;; [unrolled: 6-line block ×5, first 2 shown]
	global_load_ushort v87, v[70:71], off offset:2060
	global_load_ushort v88, v[70:71], off offset:2560
	;; [unrolled: 1-line block ×5, first 2 shown]
	v_pk_mul_f32 v[82:83], s[14:15], v[82:83]
	s_nop 0
	v_fmac_f32_e32 v80, v32, v82
	v_fmac_f32_e32 v81, v33, v83
	s_waitcnt vmcnt(7)
	v_cvt_pk_f32_fp8_e32 v[82:83], v84
	v_pk_mul_f32 v[82:83], s[14:15], v[82:83]
	s_nop 0
	v_fmac_f32_e32 v80, v34, v82
	v_fmac_f32_e32 v81, v35, v83
	s_waitcnt vmcnt(6)
	v_cvt_pk_f32_fp8_e32 v[82:83], v85
	;; [unrolled: 6-line block ×3, first 2 shown]
	global_load_ushort v86, v[70:71], off offset:3072
	v_pk_mul_f32 v[82:83], s[14:15], v[82:83]
	s_nop 0
	v_fmac_f32_e32 v80, v38, v82
	v_fmac_f32_e32 v81, v39, v83
	s_waitcnt vmcnt(5)
	v_cvt_pk_f32_fp8_e32 v[82:83], v87
	s_waitcnt vmcnt(2)
	v_cvt_pk_f32_fp8_e32 v[84:85], v90
	v_pk_mul_f32 v[82:83], s[14:15], v[82:83]
	v_pk_mul_f32 v[84:85], s[14:15], v[84:85]
	v_fmac_f32_e32 v80, v40, v82
	v_fmac_f32_e32 v81, v41, v83
	v_cvt_pk_f32_fp8_e32 v[82:83], v88
	v_pk_mul_f32 v[82:83], s[14:15], v[82:83]
	s_nop 0
	v_fmac_f32_e32 v80, v42, v82
	v_fmac_f32_e32 v81, v43, v83
	v_cvt_pk_f32_fp8_e32 v[82:83], v89
	v_pk_mul_f32 v[82:83], s[14:15], v[82:83]
	s_nop 0
	v_fmac_f32_e32 v80, v44, v82
	v_fmac_f32_e32 v81, v45, v83
	;; [unrolled: 1-line block ×4, first 2 shown]
	global_load_ushort v84, v[70:71], off offset:3076
	global_load_ushort v85, v[70:71], off offset:3080
	;; [unrolled: 1-line block ×5, first 2 shown]
	s_waitcnt vmcnt(6)
	v_cvt_pk_f32_fp8_e32 v[82:83], v91
	v_pk_mul_f32 v[82:83], s[14:15], v[82:83]
	s_nop 0
	v_fmac_f32_e32 v80, v48, v82
	v_fmac_f32_e32 v81, v49, v83
	s_waitcnt vmcnt(5)
	v_cvt_pk_f32_fp8_e32 v[70:71], v86
	v_pk_mul_f32 v[70:71], s[14:15], v[70:71]
	s_nop 0
	v_fmac_f32_e32 v80, v50, v70
	v_fmac_f32_e32 v81, v51, v71
	s_waitcnt vmcnt(4)
	v_cvt_pk_f32_fp8_e32 v[70:71], v84
	s_waitcnt vmcnt(3)
	v_cvt_pk_f32_fp8_e32 v[82:83], v85
	;; [unrolled: 2-line block ×3, first 2 shown]
	v_pk_mul_f32 v[70:71], s[14:15], v[70:71]
	s_nop 0
	v_fmac_f32_e32 v80, v52, v70
	v_fmac_f32_e32 v81, v53, v71
	v_cvt_pk_f32_fp8_e32 v[70:71], v87
	v_pk_mul_f32 v[82:83], s[14:15], v[82:83]
	v_pk_mul_f32 v[84:85], s[14:15], v[84:85]
	v_fmac_f32_e32 v80, v54, v82
	v_fmac_f32_e32 v81, v55, v83
	s_waitcnt vmcnt(0)
	v_cvt_pk_f32_fp8_e32 v[82:83], v89
	v_pk_mul_f32 v[70:71], s[14:15], v[70:71]
	v_pk_mul_f32 v[82:83], s[14:15], v[82:83]
	v_fmac_f32_e32 v80, v56, v70
	v_fmac_f32_e32 v81, v57, v71
	;; [unrolled: 1-line block ×6, first 2 shown]
	v_add_f32_e32 v70, v80, v81
	ds_bpermute_b32 v71, v1, v70
	s_and_saveexec_b64 s[40:41], vcc
	s_cbranch_execz .LBB241_9
; %bb.11:                               ;   in Loop: Header=BB241_10 Depth=1
	v_add_u32_e32 v80, s45, v77
	v_cvt_f32_i32_e32 v80, v80
	s_waitcnt lgkmcnt(0)
	v_add_f32_e32 v70, v70, v71
	v_cmp_gt_i32_e64 s[0:1], s29, v77
	v_max_f32_e32 v71, v76, v76
	v_mul_f32_e32 v80, s10, v80
	v_cndmask_b32_e64 v80, 0, v80, s[6:7]
	v_fmac_f32_e32 v80, s11, v70
	v_cndmask_b32_e64 v70, 0, v80, s[0:1]
	ds_write_b32 v78, v70
	v_max_f32_e32 v70, v71, v80
	v_cndmask_b32_e64 v76, v76, v70, s[0:1]
	s_branch .LBB241_9
.LBB241_12:
	s_or_b64 exec, exec, s[16:17]
.LBB241_13:
	s_or_b64 exec, exec, s[38:39]
	v_xor_b32_e32 v1, 32, v74
	v_cmp_lt_i32_e32 vcc, v1, v75
	v_xor_b32_e32 v4, 16, v74
	v_max_f32_e32 v3, v76, v76
	v_cndmask_b32_e32 v1, v74, v1, vcc
	v_lshlrev_b32_e32 v2, 2, v1
	ds_bpermute_b32 v1, v2, v76
	v_cmp_lt_i32_e32 vcc, v4, v75
	v_xor_b32_e32 v5, 8, v74
	v_xor_b32_e32 v6, 4, v74
	s_waitcnt lgkmcnt(0)
	v_max_f32_e32 v1, v1, v1
	v_max_f32_e32 v1, v3, v1
	v_cndmask_b32_e32 v3, v74, v4, vcc
	v_lshlrev_b32_e32 v3, 2, v3
	ds_bpermute_b32 v4, v3, v1
	v_cmp_lt_i32_e32 vcc, v5, v75
	s_waitcnt lgkmcnt(0)
	v_max_f32_e32 v4, v4, v4
	v_max_f32_e32 v1, v1, v4
	v_cndmask_b32_e32 v4, v74, v5, vcc
	v_lshlrev_b32_e32 v5, 2, v4
	ds_bpermute_b32 v4, v5, v1
	v_cmp_lt_i32_e32 vcc, v6, v75
	s_waitcnt lgkmcnt(0)
	v_max_f32_e32 v4, v4, v4
	v_max_f32_e32 v1, v1, v4
	v_cndmask_b32_e32 v4, v74, v6, vcc
	v_lshlrev_b32_e32 v88, 2, v4
	ds_bpermute_b32 v4, v88, v1
	v_xor_b32_e32 v6, 2, v74
	v_cmp_lt_i32_e32 vcc, v6, v75
	s_waitcnt lgkmcnt(0)
	v_max_f32_e32 v4, v4, v4
	v_max_f32_e32 v4, v1, v4
	v_cndmask_b32_e32 v1, v74, v6, vcc
	v_lshlrev_b32_e32 v89, 2, v1
	ds_bpermute_b32 v7, v89, v4
	v_and_b32_e32 v1, 63, v0
	v_cmp_eq_u32_e32 vcc, 0, v1
	v_lshlrev_b32_e32 v6, 2, v73
	s_and_saveexec_b64 s[0:1], vcc
	s_cbranch_execz .LBB241_15
; %bb.14:
	s_waitcnt lgkmcnt(0)
	v_max_f32_e32 v7, v7, v7
	v_max_f32_e32 v4, v4, v4
	;; [unrolled: 1-line block ×3, first 2 shown]
	ds_write_b32 v6, v4 offset:480
.LBB241_15:
	s_or_b64 exec, exec, s[0:1]
	v_cmp_gt_u32_e64 s[0:1], 2, v1
	v_mov_b32_e32 v4, 0xff7fffff
	s_waitcnt lgkmcnt(0)
	v_lshlrev_b32_e32 v7, 2, v1
	s_barrier
	s_and_saveexec_b64 s[6:7], s[0:1]
	s_cbranch_execz .LBB241_17
; %bb.16:
	ds_read_b32 v4, v7 offset:480
.LBB241_17:
	s_or_b64 exec, exec, s[6:7]
	v_xor_b32_e32 v8, 1, v74
	v_cmp_lt_i32_e64 s[6:7], v8, v75
	s_sub_i32 s3, s33, s3
	s_lshl_b32 s3, s3, 5
	v_cndmask_b32_e64 v8, v74, v8, s[6:7]
	v_lshlrev_b32_e32 v90, 2, v8
	s_waitcnt lgkmcnt(0)
	ds_bpermute_b32 v8, v90, v4
	v_max_f32_e32 v4, v4, v4
	s_add_i32 s3, s3, s42
	s_min_i32 s38, s3, s29
	s_sub_i32 s3, s38, s42
	s_waitcnt lgkmcnt(0)
	v_max_f32_e32 v8, v8, v8
	v_max_f32_e32 v4, v4, v8
	v_lshlrev_b32_e32 v8, 2, v74
	v_and_b32_e32 v8, 0xffffff00, v8
	ds_bpermute_b32 v4, v8, v4
	v_cmp_gt_i32_e64 s[6:7], s3, v0
	v_mov_b32_e32 v9, 0
	s_and_saveexec_b64 s[14:15], s[6:7]
	s_cbranch_execz .LBB241_21
; %bb.18:
	v_mov_b32_e32 v9, 0x1f0
	v_lshl_add_u32 v10, v0, 2, v9
	s_mov_b64 s[16:17], 0
	v_mov_b32_e32 v9, 0
	v_mov_b32_e32 v11, v0
.LBB241_19:                             ; =>This Inner Loop Header: Depth=1
	ds_read_b32 v12, v10
	v_add_u32_e32 v11, 0x80, v11
	v_cmp_le_i32_e64 s[10:11], s3, v11
	s_or_b64 s[16:17], s[10:11], s[16:17]
	s_waitcnt lgkmcnt(0)
	v_sub_f32_e32 v12, v12, v4
	v_mul_f32_e32 v12, 0x3fb8aa3b, v12
	v_exp_f32_e32 v12, v12
	ds_write_b32 v10, v12
	v_add_f32_e32 v9, v9, v12
	v_add_u32_e32 v10, 0x200, v10
	s_andn2_b64 exec, exec, s[16:17]
	s_cbranch_execnz .LBB241_19
; %bb.20:
	s_or_b64 exec, exec, s[16:17]
.LBB241_21:
	s_or_b64 exec, exec, s[14:15]
	ds_bpermute_b32 v2, v2, v9
	s_waitcnt lgkmcnt(0)
	v_add_f32_e32 v2, v9, v2
	ds_bpermute_b32 v3, v3, v2
	s_waitcnt lgkmcnt(0)
	v_add_f32_e32 v2, v2, v3
	;; [unrolled: 3-line block ×6, first 2 shown]
	s_and_saveexec_b64 s[10:11], vcc
	s_cbranch_execz .LBB241_23
; %bb.22:
	ds_write_b32 v6, v2 offset:488
.LBB241_23:
	s_or_b64 exec, exec, s[10:11]
	s_waitcnt lgkmcnt(0)
	s_barrier
	s_and_saveexec_b64 s[10:11], s[0:1]
	s_cbranch_execz .LBB241_25
; %bb.24:
	ds_read_b32 v2, v7 offset:488
.LBB241_25:
	s_or_b64 exec, exec, s[10:11]
	s_waitcnt lgkmcnt(0)
	ds_bpermute_b32 v3, v90, v2
	s_waitcnt lgkmcnt(0)
	v_add_f32_e32 v2, v2, v3
	ds_bpermute_b32 v5, v8, v2
	s_and_saveexec_b64 s[0:1], s[6:7]
	s_cbranch_execz .LBB241_38
; %bb.26:
	s_waitcnt lgkmcnt(0)
	v_add_f32_e32 v2, 0x358637bd, v5
	v_div_scale_f32 v3, s[6:7], v2, v2, 1.0
	v_rcp_f32_e32 v6, v3
	v_div_scale_f32 v7, vcc, 1.0, v2, 1.0
	s_movk_i32 s6, 0x7f
	v_fma_f32 v8, -v3, v6, 1.0
	v_fmac_f32_e32 v6, v8, v6
	v_mul_f32_e32 v8, v7, v6
	v_fma_f32 v9, -v3, v8, v7
	v_fmac_f32_e32 v8, v9, v6
	v_fma_f32 v3, -v3, v8, v7
	v_div_fmas_f32 v3, v3, v6, v8
	v_div_fixup_f32 v2, v3, v2, 1.0
	v_xad_u32 v3, v0, -1, s38
	v_subrev_u32_e32 v6, s42, v3
	v_cmp_lt_u32_e32 vcc, s6, v6
	s_mov_b64 s[10:11], -1
	v_mov_b32_e32 v3, v0
	s_and_saveexec_b64 s[6:7], vcc
	s_cbranch_execz .LBB241_35
; %bb.27:
	v_lshrrev_b32_e32 v6, 7, v6
	v_add_u32_e32 v8, -1, v6
	v_lshrrev_b32_e32 v7, 1, v8
	v_mov_b32_e32 v3, v2
	v_add_u32_e32 v7, 1, v7
	v_cmp_lt_u32_e32 vcc, 13, v8
	v_mov_b32_e32 v10, 0
	s_and_saveexec_b64 s[10:11], vcc
	s_cbranch_execz .LBB241_31
; %bb.28:
	v_mov_b32_e32 v9, 0x1f0
	v_and_b32_e32 v8, -8, v7
	v_lshl_add_u32 v9, v0, 2, v9
	s_mov_b32 s16, 0
	s_mov_b64 s[14:15], 0
.LBB241_29:                             ; =>This Inner Loop Header: Depth=1
	ds_read2st64_b32 v[10:11], v9 offset1:2
	ds_read2st64_b32 v[12:13], v9 offset0:4 offset1:6
	ds_read2st64_b32 v[14:15], v9 offset0:8 offset1:10
	;; [unrolled: 1-line block ×3, first 2 shown]
	v_add_u32_e32 v8, -8, v8
	s_waitcnt lgkmcnt(3)
	v_pk_mul_f32 v[10:11], v[2:3], v[10:11]
	s_waitcnt lgkmcnt(2)
	v_pk_mul_f32 v[12:13], v[2:3], v[12:13]
	ds_write2st64_b32 v9, v10, v11 offset1:2
	ds_write2st64_b32 v9, v12, v13 offset0:4 offset1:6
	ds_read2st64_b32 v[12:13], v9 offset0:16 offset1:18
	s_waitcnt lgkmcnt(4)
	v_pk_mul_f32 v[10:11], v[2:3], v[14:15]
	ds_write2st64_b32 v9, v10, v11 offset0:8 offset1:10
	s_waitcnt lgkmcnt(4)
	v_pk_mul_f32 v[10:11], v[2:3], v[16:17]
	ds_write2st64_b32 v9, v10, v11 offset0:12 offset1:14
	ds_read2st64_b32 v[10:11], v9 offset0:20 offset1:22
	s_waitcnt lgkmcnt(3)
	v_pk_mul_f32 v[12:13], v[2:3], v[12:13]
	ds_read2st64_b32 v[14:15], v9 offset0:24 offset1:26
	ds_write2st64_b32 v9, v12, v13 offset0:16 offset1:18
	ds_read2st64_b32 v[12:13], v9 offset0:28 offset1:30
	s_waitcnt lgkmcnt(3)
	v_pk_mul_f32 v[10:11], v[2:3], v[10:11]
	ds_write2st64_b32 v9, v10, v11 offset0:20 offset1:22
	s_waitcnt lgkmcnt(3)
	v_pk_mul_f32 v[10:11], v[2:3], v[14:15]
	ds_write2st64_b32 v9, v10, v11 offset0:24 offset1:26
	s_waitcnt lgkmcnt(2)
	v_pk_mul_f32 v[10:11], v[2:3], v[12:13]
	s_add_i32 s16, s16, 16
	v_cmp_eq_u32_e32 vcc, 0, v8
	ds_write2st64_b32 v9, v10, v11 offset0:28 offset1:30
	v_add_u32_e32 v9, 0x2000, v9
	s_or_b64 s[14:15], vcc, s[14:15]
	v_mov_b32_e32 v10, s16
	s_andn2_b64 exec, exec, s[14:15]
	s_cbranch_execnz .LBB241_29
; %bb.30:
	s_or_b64 exec, exec, s[14:15]
.LBB241_31:
	s_or_b64 exec, exec, s[10:11]
	v_and_b32_e32 v7, 7, v7
	v_cmp_ne_u32_e32 vcc, 0, v7
	s_and_saveexec_b64 s[10:11], vcc
	s_cbranch_execz .LBB241_34
; %bb.32:
	v_lshlrev_b32_e32 v8, 9, v10
	s_movk_i32 s14, 0x1f0
	v_add3_u32 v8, v8, v72, s14
	s_mov_b64 s[14:15], 0
.LBB241_33:                             ; =>This Inner Loop Header: Depth=1
	ds_read2st64_b32 v[10:11], v8 offset1:2
	v_add_u32_e32 v7, -1, v7
	v_cmp_eq_u32_e32 vcc, 0, v7
	s_or_b64 s[14:15], vcc, s[14:15]
	s_waitcnt lgkmcnt(0)
	v_pk_mul_f32 v[10:11], v[2:3], v[10:11]
	ds_write2st64_b32 v8, v10, v11 offset1:2
	v_add_u32_e32 v8, 0x400, v8
	s_andn2_b64 exec, exec, s[14:15]
	s_cbranch_execnz .LBB241_33
.LBB241_34:
	s_or_b64 exec, exec, s[10:11]
	v_add_u32_e32 v6, 1, v6
	v_and_b32_e32 v7, 0x3fffffe, v6
	v_cmp_ne_u32_e32 vcc, v6, v7
	v_lshl_add_u32 v3, v7, 7, v0
	s_orn2_b64 s[10:11], vcc, exec
.LBB241_35:
	s_or_b64 exec, exec, s[6:7]
	s_and_b64 exec, exec, s[10:11]
	s_cbranch_execz .LBB241_38
; %bb.36:
	v_mov_b32_e32 v6, 0x1f0
	v_lshl_add_u32 v6, v3, 2, v6
	s_mov_b64 s[6:7], 0
.LBB241_37:                             ; =>This Inner Loop Header: Depth=1
	ds_read_b32 v7, v6
	v_add_u32_e32 v3, 0x80, v3
	v_cmp_le_i32_e32 vcc, s3, v3
	s_or_b64 s[6:7], vcc, s[6:7]
	s_waitcnt lgkmcnt(0)
	v_mul_f32_e32 v7, v2, v7
	ds_write_b32 v6, v7
	v_add_u32_e32 v6, 0x200, v6
	s_andn2_b64 exec, exec, s[6:7]
	s_cbranch_execnz .LBB241_37
.LBB241_38:
	s_or_b64 exec, exec, s[0:1]
	s_mul_i32 s0, s25, s28
	v_cmp_eq_u32_e32 vcc, 0, v0
	s_mul_i32 s6, s0, s5
	s_waitcnt lgkmcnt(0)
	s_barrier
	s_and_saveexec_b64 s[0:1], vcc
	s_cbranch_execz .LBB241_40
; %bb.39:
	s_ashr_i32 s7, s6, 31
	s_lshl_b64 s[10:11], s[6:7], 2
	s_add_u32 s5, s22, s10
	s_mul_i32 s2, s25, s2
	s_addc_u32 s7, s23, s11
	s_ashr_i32 s3, s2, 31
	s_lshl_b64 s[2:3], s[2:3], 2
	s_add_u32 s16, s5, s2
	s_addc_u32 s7, s7, s3
	s_ashr_i32 s5, s4, 31
	s_lshl_b64 s[14:15], s[4:5], 2
	s_add_u32 s16, s16, s14
	s_addc_u32 s17, s7, s15
	s_add_u32 s5, s20, s10
	s_addc_u32 s7, s21, s11
	;; [unrolled: 2-line block ×3, first 2 shown]
	s_add_u32 s2, s2, s14
	v_mov_b32_e32 v2, 0
	s_addc_u32 s3, s3, s15
	global_store_dword v2, v4, s[16:17]
	global_store_dword v2, v5, s[2:3]
.LBB241_40:
	s_or_b64 exec, exec, s[0:1]
	v_mov_b32_e32 v20, 0
	v_and_b32_e32 v91, 7, v0
	v_mov_b32_e32 v21, 0
	v_mov_b32_e32 v18, 0
	;; [unrolled: 1-line block ×14, first 2 shown]
	s_and_saveexec_b64 s[2:3], s[8:9]
	s_cbranch_execz .LBB241_74
; %bb.41:
	s_ashr_i32 s1, s43, 31
	s_load_dword s8, s[18:19], 0x0
	s_add_u32 s0, s36, s43
	s_addc_u32 s1, s37, s1
	v_and_b32_e32 v6, 0xfc, v72
	v_mov_b32_e32 v7, 0
	v_and_b32_e32 v2, 28, v72
	s_add_i32 s7, s12, -1
	v_lshl_add_u64 v[22:23], s[0:1], 0, v[6:7]
	v_lshl_add_u32 v3, v73, 5, s42
	s_lshl_b64 s[0:1], s[34:35], 2
	v_add3_u32 v6, v3, v2, 3
	v_lshlrev_b32_e32 v2, 4, v91
	s_add_u32 s0, s30, s0
	v_lshl_or_b32 v2, v73, 7, v2
	s_addc_u32 s1, s31, s1
	s_mov_b32 s5, s13
	s_waitcnt lgkmcnt(0)
	s_mov_b32 s9, s8
	v_add_u32_e32 v92, 0x1f0, v2
	v_lshl_add_u64 v[24:25], v[62:63], 2, s[0:1]
	s_mov_b64 s[10:11], 0
	v_mov_b32_e32 v9, v7
	v_mov_b32_e32 v8, v7
	;; [unrolled: 1-line block ×14, first 2 shown]
	s_branch .LBB241_43
.LBB241_42:                             ;   in Loop: Header=BB241_43 Depth=1
	s_or_b64 exec, exec, s[0:1]
	s_waitcnt lgkmcnt(0)
	v_mul_f32_e32 v63, v3, v87
	v_fmac_f32_e32 v63, v2, v86
	v_fmac_f32_e32 v63, v4, v84
	v_fmac_f32_e32 v63, v5, v85
	v_add_f32_e32 v9, v9, v63
	v_mul_f32_e32 v63, v3, v83
	v_fmac_f32_e32 v63, v2, v82
	v_fmac_f32_e32 v63, v4, v80
	v_fmac_f32_e32 v63, v5, v81
	v_add_f32_e32 v8, v8, v63
	;; [unrolled: 5-line block ×5, first 2 shown]
	v_mul_f32_e32 v63, v3, v65
	v_mul_f32_e32 v59, v3, v59
	;; [unrolled: 1-line block ×10, first 2 shown]
	v_fmac_f32_e32 v63, v2, v64
	v_fmac_f32_e32 v59, v2, v58
	;; [unrolled: 1-line block ×20, first 2 shown]
	v_add_u32_e32 v62, 2, v62
	v_fmac_f32_e32 v63, v5, v61
	v_fmac_f32_e32 v59, v5, v57
	;; [unrolled: 1-line block ×10, first 2 shown]
	v_cmp_le_i32_e32 vcc, s33, v62
	v_add_f32_e32 v12, v12, v63
	v_add_f32_e32 v15, v15, v59
	;; [unrolled: 1-line block ×10, first 2 shown]
	v_add_u32_e32 v6, 64, v6
	v_add_u32_e32 v92, 0x100, v92
	s_or_b64 s[10:11], vcc, s[10:11]
	v_lshl_add_u64 v[24:25], v[24:25], 0, 8
	s_andn2_b64 exec, exec, s[10:11]
	s_cbranch_execz .LBB241_73
.LBB241_43:                             ; =>This Inner Loop Header: Depth=1
	global_load_dword v2, v[24:25], off
	v_add_u32_e32 v63, -3, v6
	v_cmp_eq_u32_e32 vcc, s7, v62
	v_add_u32_e32 v93, -2, v6
	v_add_u32_e32 v94, -1, v6
	s_waitcnt vmcnt(0)
	v_mad_i64_i32 v[38:39], s[0:1], v2, s5, v[22:23]
	global_load_dword v26, v[38:39], off
	ds_read_b128 v[2:5], v92
	s_waitcnt vmcnt(0)
	v_and_b32_e32 v27, 0xffff, v26
	v_lshrrev_b32_e32 v28, 16, v26
	v_cvt_pk_f32_fp8_e32 v[26:27], v27
	v_cvt_pk_f32_fp8_e32 v[30:31], v28
	v_pk_mul_f32 v[28:29], s[8:9], v[26:27]
	v_pk_mul_f32 v[26:27], s[8:9], v[30:31]
	s_and_saveexec_b64 s[12:13], vcc
; %bb.44:                               ;   in Loop: Header=BB241_43 Depth=1
	v_cmp_gt_i32_e64 s[0:1], s29, v63
	s_nop 1
	v_cndmask_b32_e64 v28, 0, v28, s[0:1]
	v_cmp_gt_i32_e64 s[0:1], s29, v93
	s_nop 1
	v_cndmask_b32_e64 v29, 0, v29, s[0:1]
	v_cmp_gt_i32_e64 s[0:1], s29, v94
	s_nop 1
	v_cndmask_b32_e64 v26, 0, v26, s[0:1]
	v_cmp_gt_i32_e64 s[0:1], s29, v6
	s_nop 1
	v_cndmask_b32_e64 v27, 0, v27, s[0:1]
; %bb.45:                               ;   in Loop: Header=BB241_43 Depth=1
	s_or_b64 exec, exec, s[12:13]
	global_load_dword v30, v[38:39], off offset:256
	s_waitcnt vmcnt(0)
	v_and_b32_e32 v31, 0xffff, v30
	v_lshrrev_b32_e32 v32, 16, v30
	v_cvt_pk_f32_fp8_e32 v[30:31], v31
	v_cvt_pk_f32_fp8_e32 v[34:35], v32
	v_pk_mul_f32 v[32:33], s[8:9], v[30:31]
	v_pk_mul_f32 v[30:31], s[8:9], v[34:35]
	s_and_saveexec_b64 s[12:13], vcc
; %bb.46:                               ;   in Loop: Header=BB241_43 Depth=1
	v_cmp_gt_i32_e64 s[0:1], s29, v63
	s_nop 1
	v_cndmask_b32_e64 v32, 0, v32, s[0:1]
	v_cmp_gt_i32_e64 s[0:1], s29, v93
	s_nop 1
	v_cndmask_b32_e64 v33, 0, v33, s[0:1]
	v_cmp_gt_i32_e64 s[0:1], s29, v94
	s_nop 1
	v_cndmask_b32_e64 v30, 0, v30, s[0:1]
	v_cmp_gt_i32_e64 s[0:1], s29, v6
	s_nop 1
	v_cndmask_b32_e64 v31, 0, v31, s[0:1]
; %bb.47:                               ;   in Loop: Header=BB241_43 Depth=1
	s_or_b64 exec, exec, s[12:13]
	global_load_dword v34, v[38:39], off offset:512
	;; [unrolled: 24-line block ×14, first 2 shown]
	s_waitcnt vmcnt(0)
	v_and_b32_e32 v39, 0xffff, v38
	v_lshrrev_b32_e32 v78, 16, v38
	v_cvt_pk_f32_fp8_e32 v[38:39], v39
	v_cvt_pk_f32_fp8_e32 v[96:97], v78
	v_pk_mul_f32 v[78:79], s[8:9], v[38:39]
	v_pk_mul_f32 v[38:39], s[8:9], v[96:97]
	s_and_saveexec_b64 s[0:1], vcc
	s_cbranch_execz .LBB241_42
; %bb.72:                               ;   in Loop: Header=BB241_43 Depth=1
	v_cmp_gt_i32_e32 vcc, s29, v63
	s_nop 1
	v_cndmask_b32_e32 v78, 0, v78, vcc
	v_cmp_gt_i32_e32 vcc, s29, v93
	s_nop 1
	v_cndmask_b32_e32 v79, 0, v79, vcc
	v_cmp_gt_i32_e32 vcc, s29, v94
	s_nop 1
	v_cndmask_b32_e32 v38, 0, v38, vcc
	v_cmp_gt_i32_e32 vcc, s29, v6
	s_nop 1
	v_cndmask_b32_e32 v39, 0, v39, vcc
	s_branch .LBB241_42
.LBB241_73:
	s_or_b64 exec, exec, s[10:11]
.LBB241_74:
	s_or_b64 exec, exec, s[2:3]
	ds_bpermute_b32 v4, v88, v18
	ds_bpermute_b32 v5, v88, v19
	;; [unrolled: 1-line block ×6, first 2 shown]
	s_waitcnt lgkmcnt(4)
	v_pk_add_f32 v[4:5], v[18:19], v[4:5]
	ds_bpermute_b32 v18, v89, v4
	ds_bpermute_b32 v19, v89, v5
	s_waitcnt lgkmcnt(4)
	v_pk_add_f32 v[2:3], v[20:21], v[2:3]
	s_waitcnt lgkmcnt(2)
	v_pk_add_f32 v[16:17], v[16:17], v[22:23]
	ds_bpermute_b32 v20, v89, v2
	ds_bpermute_b32 v21, v89, v3
	s_waitcnt lgkmcnt(2)
	v_pk_add_f32 v[4:5], v[4:5], v[18:19]
	ds_bpermute_b32 v18, v89, v16
	ds_bpermute_b32 v19, v89, v17
	;; [unrolled: 1-line block ×3, first 2 shown]
	s_waitcnt lgkmcnt(3)
	v_pk_add_f32 v[2:3], v[2:3], v[20:21]
	ds_bpermute_b32 v29, v88, v13
	ds_bpermute_b32 v20, v90, v2
	s_waitcnt lgkmcnt(3)
	v_pk_add_f32 v[16:17], v[16:17], v[18:19]
	ds_bpermute_b32 v21, v90, v3
	ds_bpermute_b32 v24, v88, v14
	;; [unrolled: 1-line block ×5, first 2 shown]
	s_waitcnt lgkmcnt(6)
	v_pk_add_f32 v[12:13], v[12:13], v[28:29]
	ds_bpermute_b32 v22, v90, v4
	ds_bpermute_b32 v23, v90, v5
	s_waitcnt lgkmcnt(4)
	v_pk_add_f32 v[24:25], v[14:15], v[24:25]
	v_pk_add_f32 v[14:15], v[2:3], v[20:21]
	s_waitcnt lgkmcnt(2)
	v_pk_add_f32 v[2:3], v[16:17], v[18:19]
	ds_bpermute_b32 v18, v89, v12
	ds_bpermute_b32 v19, v89, v13
	s_waitcnt lgkmcnt(2)
	v_pk_add_f32 v[4:5], v[4:5], v[22:23]
	ds_bpermute_b32 v22, v88, v10
	ds_bpermute_b32 v23, v88, v11
	;; [unrolled: 1-line block ×3, first 2 shown]
	s_waitcnt lgkmcnt(3)
	v_pk_add_f32 v[18:19], v[12:13], v[18:19]
	ds_bpermute_b32 v12, v88, v8
	ds_bpermute_b32 v13, v88, v9
	;; [unrolled: 1-line block ×4, first 2 shown]
	s_waitcnt lgkmcnt(5)
	v_pk_add_f32 v[10:11], v[10:11], v[22:23]
	ds_bpermute_b32 v22, v89, v10
	s_waitcnt lgkmcnt(3)
	v_pk_add_f32 v[8:9], v[8:9], v[12:13]
	s_waitcnt lgkmcnt(2)
	v_pk_add_f32 v[16:17], v[24:25], v[26:27]
	ds_bpermute_b32 v23, v89, v11
	ds_bpermute_b32 v12, v89, v8
	;; [unrolled: 1-line block ×3, first 2 shown]
	s_waitcnt lgkmcnt(4)
	v_add_f32_e32 v32, v7, v6
	ds_bpermute_b32 v20, v90, v16
	ds_bpermute_b32 v21, v90, v17
	;; [unrolled: 1-line block ×5, first 2 shown]
	s_waitcnt lgkmcnt(7)
	v_pk_add_f32 v[22:23], v[10:11], v[22:23]
	s_waitcnt lgkmcnt(5)
	v_pk_add_f32 v[28:29], v[8:9], v[12:13]
	ds_bpermute_b32 v26, v90, v22
	ds_bpermute_b32 v27, v90, v23
	;; [unrolled: 1-line block ×4, first 2 shown]
	s_waitcnt lgkmcnt(7)
	v_pk_add_f32 v[12:13], v[16:17], v[20:21]
	s_waitcnt lgkmcnt(6)
	v_add_f32_e32 v17, v32, v33
	s_waitcnt lgkmcnt(4)
	v_pk_add_f32 v[10:11], v[18:19], v[24:25]
	ds_bpermute_b32 v18, v90, v17
	v_and_b32_e32 v16, 0x3c7, v0
	s_waitcnt lgkmcnt(3)
	v_pk_add_f32 v[8:9], v[22:23], v[26:27]
	s_waitcnt lgkmcnt(1)
	v_pk_add_f32 v[6:7], v[28:29], v[30:31]
	v_cmp_ne_u32_e32 vcc, 64, v16
	s_waitcnt lgkmcnt(0)
	s_barrier
	s_and_saveexec_b64 s[0:1], vcc
	s_xor_b64 s[0:1], exec, s[0:1]
; %bb.75:
                                        ; implicit-def: $vgpr1
; %bb.76:
	s_or_saveexec_b64 s[0:1], s[0:1]
	v_add_f32_e32 v17, v17, v18
	s_xor_b64 exec, exec, s[0:1]
	s_cbranch_execz .LBB241_78
; %bb.77:
	v_lshrrev_b32_e32 v1, 1, v1
	v_add_u32_e32 v1, 0x1f0, v1
	ds_write2_b32 v1, v14, v15 offset1:8
	ds_write2_b32 v1, v4, v5 offset0:16 offset1:24
	ds_write2_b32 v1, v2, v3 offset0:32 offset1:40
	;; [unrolled: 1-line block ×6, first 2 shown]
	ds_write_b32 v1, v17 offset:448
.LBB241_78:
	s_or_b64 exec, exec, s[0:1]
	v_cmp_gt_u32_e32 vcc, 64, v0
	s_waitcnt lgkmcnt(0)
	s_barrier
	s_and_saveexec_b64 s[0:1], vcc
	s_cbranch_execz .LBB241_96
; %bb.79:
	v_cmp_eq_u32_e32 vcc, 0, v91
	v_lshrrev_b32_e32 v1, 3, v0
	s_and_saveexec_b64 s[2:3], vcc
	s_cbranch_execnz .LBB241_99
; %bb.80:
	s_or_b64 exec, exec, s[2:3]
	s_and_saveexec_b64 s[2:3], vcc
	s_cbranch_execnz .LBB241_100
.LBB241_81:
	s_or_b64 exec, exec, s[2:3]
	s_and_saveexec_b64 s[2:3], vcc
	s_cbranch_execnz .LBB241_101
.LBB241_82:
	s_or_b64 exec, exec, s[2:3]
	s_and_saveexec_b64 s[2:3], vcc
	s_cbranch_execnz .LBB241_102
.LBB241_83:
	s_or_b64 exec, exec, s[2:3]
	s_and_saveexec_b64 s[2:3], vcc
	s_cbranch_execnz .LBB241_103
.LBB241_84:
	s_or_b64 exec, exec, s[2:3]
	s_and_saveexec_b64 s[2:3], vcc
	s_cbranch_execnz .LBB241_104
.LBB241_85:
	s_or_b64 exec, exec, s[2:3]
	s_and_saveexec_b64 s[2:3], vcc
	s_cbranch_execnz .LBB241_105
.LBB241_86:
	s_or_b64 exec, exec, s[2:3]
	s_and_saveexec_b64 s[2:3], vcc
	s_cbranch_execnz .LBB241_106
.LBB241_87:
	s_or_b64 exec, exec, s[2:3]
	s_and_saveexec_b64 s[2:3], vcc
	s_cbranch_execnz .LBB241_107
.LBB241_88:
	s_or_b64 exec, exec, s[2:3]
	s_and_saveexec_b64 s[2:3], vcc
	s_cbranch_execnz .LBB241_108
.LBB241_89:
	s_or_b64 exec, exec, s[2:3]
	s_and_saveexec_b64 s[2:3], vcc
	s_cbranch_execnz .LBB241_109
.LBB241_90:
	s_or_b64 exec, exec, s[2:3]
	s_and_saveexec_b64 s[2:3], vcc
	s_cbranch_execnz .LBB241_110
.LBB241_91:
	s_or_b64 exec, exec, s[2:3]
	s_and_saveexec_b64 s[2:3], vcc
	s_cbranch_execnz .LBB241_111
.LBB241_92:
	s_or_b64 exec, exec, s[2:3]
	s_and_saveexec_b64 s[2:3], vcc
	s_cbranch_execnz .LBB241_112
.LBB241_93:
	s_or_b64 exec, exec, s[2:3]
	s_and_saveexec_b64 s[2:3], vcc
	s_cbranch_execz .LBB241_95
.LBB241_94:
	v_mov_b32_e32 v18, 0x1f0
	v_lshl_add_u32 v1, v1, 2, v18
	ds_read_b32 v1, v1 offset:448
	s_waitcnt lgkmcnt(0)
	v_add_f32_e32 v17, v17, v1
.LBB241_95:
	s_or_b64 exec, exec, s[2:3]
.LBB241_96:
	s_or_b64 exec, exec, s[0:1]
	v_cmp_eq_u32_e32 vcc, 0, v16
	s_barrier
	s_and_saveexec_b64 s[0:1], vcc
	s_cbranch_execz .LBB241_98
; %bb.97:
	s_mul_i32 s0, s6, 0x78
	s_ashr_i32 s1, s0, 31
	s_lshl_b64 s[0:1], s[0:1], 2
	s_add_u32 s2, s26, s0
	s_mul_i32 s0, s25, s24
	s_addc_u32 s3, s27, s1
	s_ashr_i32 s1, s0, 31
	s_lshl_b64 s[0:1], s[0:1], 2
	s_add_u32 s2, s2, s0
	s_mul_i32 s0, s4, 0x78
	s_addc_u32 s3, s3, s1
	s_ashr_i32 s1, s0, 31
	s_lshl_b64 s[0:1], s[0:1], 2
	s_add_u32 s0, s2, s0
	s_addc_u32 s1, s3, s1
	v_lshrrev_b32_e32 v0, 1, v0
	global_store_dword v0, v14, s[0:1]
	global_store_dword v0, v15, s[0:1] offset:32
	global_store_dword v0, v4, s[0:1] offset:64
	;; [unrolled: 1-line block ×14, first 2 shown]
.LBB241_98:
	s_endpgm
.LBB241_99:
	v_mov_b32_e32 v18, 0x1f0
	v_lshl_add_u32 v18, v1, 2, v18
	ds_read_b32 v18, v18
	s_waitcnt lgkmcnt(0)
	v_add_f32_e32 v14, v14, v18
	s_or_b64 exec, exec, s[2:3]
	s_and_saveexec_b64 s[2:3], vcc
	s_cbranch_execz .LBB241_81
.LBB241_100:
	v_mov_b32_e32 v18, 0x1f0
	v_lshl_add_u32 v18, v1, 2, v18
	ds_read_b32 v18, v18 offset:32
	s_waitcnt lgkmcnt(0)
	v_add_f32_e32 v15, v15, v18
	s_or_b64 exec, exec, s[2:3]
	s_and_saveexec_b64 s[2:3], vcc
	s_cbranch_execz .LBB241_82
.LBB241_101:
	v_mov_b32_e32 v18, 0x1f0
	v_lshl_add_u32 v18, v1, 2, v18
	ds_read_b32 v18, v18 offset:64
	s_waitcnt lgkmcnt(0)
	v_add_f32_e32 v4, v4, v18
	s_or_b64 exec, exec, s[2:3]
	s_and_saveexec_b64 s[2:3], vcc
	s_cbranch_execz .LBB241_83
.LBB241_102:
	v_mov_b32_e32 v18, 0x1f0
	v_lshl_add_u32 v18, v1, 2, v18
	ds_read_b32 v18, v18 offset:96
	s_waitcnt lgkmcnt(0)
	v_add_f32_e32 v5, v5, v18
	s_or_b64 exec, exec, s[2:3]
	s_and_saveexec_b64 s[2:3], vcc
	s_cbranch_execz .LBB241_84
.LBB241_103:
	v_mov_b32_e32 v18, 0x1f0
	v_lshl_add_u32 v18, v1, 2, v18
	ds_read_b32 v18, v18 offset:128
	s_waitcnt lgkmcnt(0)
	v_add_f32_e32 v2, v2, v18
	s_or_b64 exec, exec, s[2:3]
	s_and_saveexec_b64 s[2:3], vcc
	s_cbranch_execz .LBB241_85
.LBB241_104:
	v_mov_b32_e32 v18, 0x1f0
	v_lshl_add_u32 v18, v1, 2, v18
	ds_read_b32 v18, v18 offset:160
	s_waitcnt lgkmcnt(0)
	v_add_f32_e32 v3, v3, v18
	s_or_b64 exec, exec, s[2:3]
	s_and_saveexec_b64 s[2:3], vcc
	s_cbranch_execz .LBB241_86
.LBB241_105:
	v_mov_b32_e32 v18, 0x1f0
	v_lshl_add_u32 v18, v1, 2, v18
	ds_read_b32 v18, v18 offset:192
	s_waitcnt lgkmcnt(0)
	v_add_f32_e32 v12, v12, v18
	s_or_b64 exec, exec, s[2:3]
	s_and_saveexec_b64 s[2:3], vcc
	s_cbranch_execz .LBB241_87
.LBB241_106:
	v_mov_b32_e32 v18, 0x1f0
	v_lshl_add_u32 v18, v1, 2, v18
	ds_read_b32 v18, v18 offset:224
	s_waitcnt lgkmcnt(0)
	v_add_f32_e32 v13, v13, v18
	s_or_b64 exec, exec, s[2:3]
	s_and_saveexec_b64 s[2:3], vcc
	s_cbranch_execz .LBB241_88
.LBB241_107:
	v_mov_b32_e32 v18, 0x1f0
	v_lshl_add_u32 v18, v1, 2, v18
	ds_read_b32 v18, v18 offset:256
	s_waitcnt lgkmcnt(0)
	v_add_f32_e32 v10, v10, v18
	s_or_b64 exec, exec, s[2:3]
	s_and_saveexec_b64 s[2:3], vcc
	s_cbranch_execz .LBB241_89
.LBB241_108:
	v_mov_b32_e32 v18, 0x1f0
	v_lshl_add_u32 v18, v1, 2, v18
	ds_read_b32 v18, v18 offset:288
	s_waitcnt lgkmcnt(0)
	v_add_f32_e32 v11, v11, v18
	s_or_b64 exec, exec, s[2:3]
	s_and_saveexec_b64 s[2:3], vcc
	s_cbranch_execz .LBB241_90
.LBB241_109:
	v_mov_b32_e32 v18, 0x1f0
	v_lshl_add_u32 v18, v1, 2, v18
	ds_read_b32 v18, v18 offset:320
	s_waitcnt lgkmcnt(0)
	v_add_f32_e32 v8, v8, v18
	s_or_b64 exec, exec, s[2:3]
	s_and_saveexec_b64 s[2:3], vcc
	s_cbranch_execz .LBB241_91
.LBB241_110:
	v_mov_b32_e32 v18, 0x1f0
	v_lshl_add_u32 v18, v1, 2, v18
	ds_read_b32 v18, v18 offset:352
	s_waitcnt lgkmcnt(0)
	v_add_f32_e32 v9, v9, v18
	s_or_b64 exec, exec, s[2:3]
	s_and_saveexec_b64 s[2:3], vcc
	s_cbranch_execz .LBB241_92
.LBB241_111:
	v_mov_b32_e32 v18, 0x1f0
	v_lshl_add_u32 v18, v1, 2, v18
	ds_read_b32 v18, v18 offset:384
	s_waitcnt lgkmcnt(0)
	v_add_f32_e32 v6, v6, v18
	s_or_b64 exec, exec, s[2:3]
	s_and_saveexec_b64 s[2:3], vcc
	s_cbranch_execz .LBB241_93
.LBB241_112:
	v_mov_b32_e32 v18, 0x1f0
	v_lshl_add_u32 v18, v1, 2, v18
	ds_read_b32 v18, v18 offset:416
	s_waitcnt lgkmcnt(0)
	v_add_f32_e32 v7, v7, v18
	s_or_b64 exec, exec, s[2:3]
	s_and_saveexec_b64 s[2:3], vcc
	s_cbranch_execnz .LBB241_94
	s_branch .LBB241_95
	.section	.rodata,"a",@progbits
	.p2align	6, 0x0
	.amdhsa_kernel _ZN4vllm25paged_attention_v2_kernelIfhLi120ELi32ELi128ELNS_18Fp8KVCacheDataTypeE1ELb0ELi512EEEvPfS2_PT_PKS3_PKT0_S9_ifPKiSB_iPKfiiiSD_SD_iiiii
		.amdhsa_group_segment_fixed_size 496
		.amdhsa_private_segment_fixed_size 0
		.amdhsa_kernarg_size 400
		.amdhsa_user_sgpr_count 2
		.amdhsa_user_sgpr_dispatch_ptr 0
		.amdhsa_user_sgpr_queue_ptr 0
		.amdhsa_user_sgpr_kernarg_segment_ptr 1
		.amdhsa_user_sgpr_dispatch_id 0
		.amdhsa_user_sgpr_kernarg_preload_length 0
		.amdhsa_user_sgpr_kernarg_preload_offset 0
		.amdhsa_user_sgpr_private_segment_size 0
		.amdhsa_uses_dynamic_stack 0
		.amdhsa_enable_private_segment 0
		.amdhsa_system_sgpr_workgroup_id_x 1
		.amdhsa_system_sgpr_workgroup_id_y 1
		.amdhsa_system_sgpr_workgroup_id_z 1
		.amdhsa_system_sgpr_workgroup_info 0
		.amdhsa_system_vgpr_workitem_id 0
		.amdhsa_next_free_vgpr 98
		.amdhsa_next_free_sgpr 46
		.amdhsa_accum_offset 100
		.amdhsa_reserve_vcc 1
		.amdhsa_float_round_mode_32 0
		.amdhsa_float_round_mode_16_64 0
		.amdhsa_float_denorm_mode_32 3
		.amdhsa_float_denorm_mode_16_64 3
		.amdhsa_dx10_clamp 1
		.amdhsa_ieee_mode 1
		.amdhsa_fp16_overflow 0
		.amdhsa_tg_split 0
		.amdhsa_exception_fp_ieee_invalid_op 0
		.amdhsa_exception_fp_denorm_src 0
		.amdhsa_exception_fp_ieee_div_zero 0
		.amdhsa_exception_fp_ieee_overflow 0
		.amdhsa_exception_fp_ieee_underflow 0
		.amdhsa_exception_fp_ieee_inexact 0
		.amdhsa_exception_int_div_zero 0
	.end_amdhsa_kernel
	.section	.text._ZN4vllm25paged_attention_v2_kernelIfhLi120ELi32ELi128ELNS_18Fp8KVCacheDataTypeE1ELb0ELi512EEEvPfS2_PT_PKS3_PKT0_S9_ifPKiSB_iPKfiiiSD_SD_iiiii,"axG",@progbits,_ZN4vllm25paged_attention_v2_kernelIfhLi120ELi32ELi128ELNS_18Fp8KVCacheDataTypeE1ELb0ELi512EEEvPfS2_PT_PKS3_PKT0_S9_ifPKiSB_iPKfiiiSD_SD_iiiii,comdat
.Lfunc_end241:
	.size	_ZN4vllm25paged_attention_v2_kernelIfhLi120ELi32ELi128ELNS_18Fp8KVCacheDataTypeE1ELb0ELi512EEEvPfS2_PT_PKS3_PKT0_S9_ifPKiSB_iPKfiiiSD_SD_iiiii, .Lfunc_end241-_ZN4vllm25paged_attention_v2_kernelIfhLi120ELi32ELi128ELNS_18Fp8KVCacheDataTypeE1ELb0ELi512EEEvPfS2_PT_PKS3_PKT0_S9_ifPKiSB_iPKfiiiSD_SD_iiiii
                                        ; -- End function
	.section	.AMDGPU.csdata,"",@progbits
; Kernel info:
; codeLenInByte = 8160
; NumSgprs: 52
; NumVgprs: 98
; NumAgprs: 0
; TotalNumVgprs: 98
; ScratchSize: 0
; MemoryBound: 0
; FloatMode: 240
; IeeeMode: 1
; LDSByteSize: 496 bytes/workgroup (compile time only)
; SGPRBlocks: 6
; VGPRBlocks: 12
; NumSGPRsForWavesPerEU: 52
; NumVGPRsForWavesPerEU: 98
; AccumOffset: 100
; Occupancy: 4
; WaveLimiterHint : 1
; COMPUTE_PGM_RSRC2:SCRATCH_EN: 0
; COMPUTE_PGM_RSRC2:USER_SGPR: 2
; COMPUTE_PGM_RSRC2:TRAP_HANDLER: 0
; COMPUTE_PGM_RSRC2:TGID_X_EN: 1
; COMPUTE_PGM_RSRC2:TGID_Y_EN: 1
; COMPUTE_PGM_RSRC2:TGID_Z_EN: 1
; COMPUTE_PGM_RSRC2:TIDIG_COMP_CNT: 0
; COMPUTE_PGM_RSRC3_GFX90A:ACCUM_OFFSET: 24
; COMPUTE_PGM_RSRC3_GFX90A:TG_SPLIT: 0
	.section	.text._ZN4vllm25paged_attention_v2_kernelIfhLi128ELi32ELi128ELNS_18Fp8KVCacheDataTypeE1ELb0ELi512EEEvPfS2_PT_PKS3_PKT0_S9_ifPKiSB_iPKfiiiSD_SD_iiiii,"axG",@progbits,_ZN4vllm25paged_attention_v2_kernelIfhLi128ELi32ELi128ELNS_18Fp8KVCacheDataTypeE1ELb0ELi512EEEvPfS2_PT_PKS3_PKT0_S9_ifPKiSB_iPKfiiiSD_SD_iiiii,comdat
	.protected	_ZN4vllm25paged_attention_v2_kernelIfhLi128ELi32ELi128ELNS_18Fp8KVCacheDataTypeE1ELb0ELi512EEEvPfS2_PT_PKS3_PKT0_S9_ifPKiSB_iPKfiiiSD_SD_iiiii ; -- Begin function _ZN4vllm25paged_attention_v2_kernelIfhLi128ELi32ELi128ELNS_18Fp8KVCacheDataTypeE1ELb0ELi512EEEvPfS2_PT_PKS3_PKT0_S9_ifPKiSB_iPKfiiiSD_SD_iiiii
	.globl	_ZN4vllm25paged_attention_v2_kernelIfhLi128ELi32ELi128ELNS_18Fp8KVCacheDataTypeE1ELb0ELi512EEEvPfS2_PT_PKS3_PKT0_S9_ifPKiSB_iPKfiiiSD_SD_iiiii
	.p2align	8
	.type	_ZN4vllm25paged_attention_v2_kernelIfhLi128ELi32ELi128ELNS_18Fp8KVCacheDataTypeE1ELb0ELi512EEEvPfS2_PT_PKS3_PKT0_S9_ifPKiSB_iPKfiiiSD_SD_iiiii,@function
_ZN4vllm25paged_attention_v2_kernelIfhLi128ELi32ELi128ELNS_18Fp8KVCacheDataTypeE1ELb0ELi512EEEvPfS2_PT_PKS3_PKT0_S9_ifPKiSB_iPKfiiiSD_SD_iiiii: ; @_ZN4vllm25paged_attention_v2_kernelIfhLi128ELi32ELi128ELNS_18Fp8KVCacheDataTypeE1ELb0ELi512EEEvPfS2_PT_PKS3_PKT0_S9_ifPKiSB_iPKfiiiSD_SD_iiiii
; %bb.0:
	s_load_dwordx2 s[6:7], s[0:1], 0x40
	s_mov_b32 s28, s3
	s_ashr_i32 s29, s3, 31
	s_lshl_b64 s[8:9], s[28:29], 2
	s_waitcnt lgkmcnt(0)
	s_add_u32 s6, s6, s8
	s_addc_u32 s7, s7, s9
	s_load_dword s29, s[6:7], 0x0
	s_lshl_b32 s33, s4, 9
	s_waitcnt lgkmcnt(0)
	s_cmp_ge_i32 s33, s29
	s_cbranch_scc1 .LBB242_101
; %bb.1:
	s_load_dword s5, s[0:1], 0x90
	s_load_dwordx2 s[38:39], s[0:1], 0x30
	s_waitcnt lgkmcnt(0)
	s_abs_i32 s7, s5
	s_abs_i32 s3, s38
	v_cvt_f32_u32_e32 v1, s3
	s_sub_i32 s8, 0, s3
	s_xor_b32 s6, s5, s38
	s_ashr_i32 s6, s6, 31
	v_rcp_iflag_f32_e32 v1, v1
	s_mov_b32 s38, 0
	v_mul_f32_e32 v1, 0x4f7ffffe, v1
	v_cvt_u32_f32_e32 v1, v1
	s_nop 0
	v_readfirstlane_b32 s9, v1
	s_mul_i32 s8, s8, s9
	s_mul_hi_u32 s8, s9, s8
	s_add_i32 s9, s9, s8
	s_mul_hi_u32 s8, s7, s9
	s_mul_i32 s9, s8, s3
	s_sub_i32 s7, s7, s9
	s_add_i32 s10, s8, 1
	s_sub_i32 s9, s7, s3
	s_cmp_ge_u32 s7, s3
	s_cselect_b32 s8, s10, s8
	s_cselect_b32 s7, s9, s7
	s_add_i32 s9, s8, 1
	s_cmp_ge_u32 s7, s3
	s_cselect_b32 s3, s9, s8
	s_xor_b32 s3, s3, s6
	s_sub_i32 s10, s3, s6
	s_abs_i32 s8, s10
	v_cvt_f32_u32_e32 v1, s8
	s_load_dwordx2 s[6:7], s[0:1], 0x50
	s_sub_i32 s3, 0, s8
	s_abs_i32 s9, s2
	v_rcp_iflag_f32_e32 v1, v1
	s_nop 0
	v_mul_f32_e32 v1, 0x4f7ffffe, v1
	v_cvt_u32_f32_e32 v1, v1
	s_nop 0
	v_readfirstlane_b32 s11, v1
	s_mul_i32 s3, s3, s11
	s_mul_hi_u32 s3, s11, s3
	s_add_i32 s11, s11, s3
	s_waitcnt lgkmcnt(0)
	s_cmp_eq_u64 s[6:7], 0
	s_mul_hi_u32 s12, s9, s11
	s_cbranch_scc1 .LBB242_3
; %bb.2:
	s_ashr_i32 s3, s2, 31
	s_lshl_b64 s[14:15], s[2:3], 2
	s_add_u32 s6, s6, s14
	s_addc_u32 s7, s7, s15
	s_load_dword s38, s[6:7], 0x0
.LBB242_3:
	s_load_dwordx4 s[16:19], s[0:1], 0x58
	s_ashr_i32 s13, s2, 31
	s_ashr_i32 s14, s10, 31
	v_and_b32_e32 v42, 1, v0
	s_lshl_b32 s24, s2, 7
	v_cmp_gt_u32_e64 s[10:11], 64, v0
	v_lshlrev_b32_e32 v80, 2, v0
	s_and_saveexec_b64 s[6:7], s[10:11]
	s_cbranch_execz .LBB242_5
; %bb.4:
	s_load_dwordx2 s[20:21], s[0:1], 0x18
	s_waitcnt lgkmcnt(0)
	s_mul_i32 s22, s28, s16
	s_ashr_i32 s23, s22, 31
	s_lshl_b64 s[22:23], s[22:23], 2
	v_lshlrev_b32_e32 v1, 3, v0
	s_add_u32 s3, s20, s22
	s_addc_u32 s15, s21, s23
	s_ashr_i32 s25, s24, 31
	s_lshl_b64 s[20:21], s[24:25], 2
	s_add_u32 s20, s3, s20
	s_addc_u32 s21, s15, s21
	global_load_dwordx2 v[2:3], v1, s[20:21]
	v_and_b32_e32 v1, 0xff8, v80
	v_lshl_add_u32 v1, v42, 8, v1
	s_waitcnt vmcnt(0)
	ds_write_b64 v1, v[2:3]
.LBB242_5:
	s_or_b64 exec, exec, s[6:7]
	s_add_i32 s3, s29, 31
	s_ashr_i32 s6, s3, 31
	s_lshr_b32 s6, s6, 27
	s_add_i32 s3, s3, s6
	s_ashr_i32 s44, s3, 5
	s_lshl_b32 s3, s4, 4
	s_mul_i32 s7, s12, s8
	s_add_i32 s6, s3, 16
	s_sub_i32 s7, s9, s7
	s_min_i32 s25, s6, s44
	s_xor_b32 s6, s13, s14
	s_add_i32 s9, s12, 1
	s_sub_i32 s13, s7, s8
	s_cmp_ge_u32 s7, s8
	s_cselect_b32 s9, s9, s12
	s_cselect_b32 s7, s13, s7
	s_add_i32 s12, s9, 1
	s_cmp_ge_u32 s7, s8
	s_load_dwordx2 s[30:31], s[0:1], 0x38
	s_load_dword s8, s[0:1], 0x48
	v_lshrrev_b32_e32 v81, 6, v0
	s_cselect_b32 s7, s12, s9
	s_xor_b32 s7, s7, s6
	v_or_b32_e32 v66, s3, v81
	s_waitcnt lgkmcnt(0)
	s_mul_i32 s34, s28, s8
	s_sub_i32 s45, s7, s6
	s_ashr_i32 s35, s34, 31
	v_cmp_gt_i32_e64 s[6:7], s25, v66
	v_cmp_le_i32_e32 vcc, s25, v66
	v_mbcnt_lo_u32_b32 v1, -1, 0
	s_barrier
	s_waitcnt lgkmcnt(0)
                                        ; implicit-def: $sgpr19
                                        ; implicit-def: $vgpr82
                                        ; implicit-def: $vgpr83
	s_and_saveexec_b64 s[8:9], vcc
	s_xor_b64 s[8:9], exec, s[8:9]
; %bb.6:
	v_mbcnt_hi_u32_b32 v82, -1, v1
	v_and_b32_e32 v1, 64, v82
	v_add_u32_e32 v83, 64, v1
	s_mov_b32 s19, 0xff7fffff
                                        ; implicit-def: $vgpr42
                                        ; implicit-def: $vgpr1
; %bb.7:
	s_or_saveexec_b64 s[40:41], s[8:9]
	s_load_dwordx4 s[20:23], s[0:1], 0x0
	s_load_dwordx2 s[26:27], s[0:1], 0x10
	s_load_dword s16, s[0:1], 0x98
	s_load_dwordx2 s[36:37], s[0:1], 0x28
	s_load_dwordx4 s[12:15], s[0:1], 0x68
	v_mov_b32_e32 v84, s19
	s_mul_i32 s45, s45, s18
	v_ashrrev_i32_e32 v67, 31, v66
	s_xor_b64 exec, exec, s[40:41]
	s_cbranch_execz .LBB242_13
; %bb.8:
	s_load_dwordx2 s[0:1], s[0:1], 0x20
	v_mbcnt_hi_u32_b32 v82, -1, v1
	s_ashr_i32 s8, s45, 31
	v_and_b32_e32 v44, 64, v82
	v_bfe_u32 v43, v0, 1, 5
	s_waitcnt lgkmcnt(0)
	s_add_u32 s0, s0, s45
	v_lshlrev_b32_e32 v62, 8, v42
	v_xor_b32_e32 v1, 1, v82
	v_add_u32_e32 v83, 64, v44
	v_lshlrev_b32_e32 v68, 4, v43
	s_addc_u32 s1, s1, s8
	v_mov_b32_e32 v69, 0
	ds_read_b128 v[2:5], v62
	ds_read_b128 v[6:9], v62 offset:16
	ds_read_b128 v[10:13], v62 offset:32
	ds_read_b128 v[14:17], v62 offset:48
	ds_read_b128 v[18:21], v62 offset:64
	ds_read_b128 v[22:25], v62 offset:80
	ds_read_b128 v[26:29], v62 offset:96
	ds_read_b128 v[30:33], v62 offset:112
	ds_read_b128 v[34:37], v62 offset:128
	ds_read_b128 v[38:41], v62 offset:144
	v_cmp_lt_i32_e32 vcc, v1, v83
	v_lshl_add_u64 v[70:71], s[0:1], 0, v[68:69]
	v_lshlrev_b32_e32 v68, 1, v42
	v_cndmask_b32_e32 v1, v82, v1, vcc
	v_cmp_eq_u32_e32 vcc, 0, v42
	v_lshlrev_b32_e32 v42, 5, v81
	v_add3_u32 v85, s33, v42, v43
	v_lshlrev_b32_e32 v42, 2, v43
	v_lshl_or_b32 v42, v81, 7, v42
	s_load_dword s12, s[12:13], 0x0
	v_add_u32_e32 v86, 0x210, v42
	ds_read_b128 v[42:45], v62 offset:160
	ds_read_b128 v[46:49], v62 offset:176
	;; [unrolled: 1-line block ×6, first 2 shown]
	s_sub_i32 s47, 1, s29
	s_lshl_b64 s[0:1], s[34:35], 2
	s_add_u32 s0, s30, s0
	s_addc_u32 s1, s31, s1
	s_mov_b32 s46, s17
	v_lshlrev_b32_e32 v1, 2, v1
	v_cmp_neq_f32_e64 s[8:9], s38, 0
	s_waitcnt lgkmcnt(0)
	s_mov_b32 s13, s12
	v_lshl_add_u64 v[72:73], v[66:67], 2, s[0:1]
	s_mov_b64 s[18:19], 0
	v_mov_b32_e32 v84, 0xff7fffff
	v_mov_b32_e32 v87, v66
	s_branch .LBB242_10
.LBB242_9:                              ;   in Loop: Header=BB242_10 Depth=1
	s_or_b64 exec, exec, s[42:43]
	v_add_u32_e32 v87, 2, v87
	v_cmp_le_i32_e64 s[0:1], s25, v87
	v_add_u32_e32 v85, 64, v85
	v_add_u32_e32 v86, 0x100, v86
	s_or_b64 s[18:19], s[0:1], s[18:19]
	v_lshl_add_u64 v[72:73], v[72:73], 0, 8
	s_andn2_b64 exec, exec, s[18:19]
	s_cbranch_execz .LBB242_12
.LBB242_10:                             ; =>This Inner Loop Header: Depth=1
	global_load_dword v74, v[72:73], off
	s_waitcnt vmcnt(0) lgkmcnt(0)
	v_mad_i64_i32 v[74:75], s[0:1], v74, s46, v[70:71]
	v_lshl_add_u64 v[74:75], v[74:75], 0, v[68:69]
	global_load_ushort v76, v[74:75], off offset:4
	global_load_ushort v78, v[74:75], off
	global_load_ushort v92, v[74:75], off offset:8
	global_load_ushort v93, v[74:75], off offset:12
	;; [unrolled: 1-line block ×14, first 2 shown]
	s_waitcnt vmcnt(15)
	v_cvt_pk_f32_fp8_e32 v[76:77], v76
	s_waitcnt vmcnt(14)
	v_cvt_pk_f32_fp8_e32 v[78:79], v78
	v_pk_mul_f32 v[76:77], s[12:13], v[76:77]
	s_nop 0
	v_mul_f32_e32 v88, v4, v76
	v_mul_f32_e32 v89, v5, v77
	s_waitcnt vmcnt(13)
	v_cvt_pk_f32_fp8_e32 v[76:77], v92
	v_pk_mul_f32 v[78:79], s[12:13], v[78:79]
	s_waitcnt vmcnt(9)
	v_cvt_pk_f32_fp8_e32 v[96:97], v96
	v_fmac_f32_e32 v88, v2, v78
	v_fmac_f32_e32 v89, v3, v79
	v_cvt_pk_f32_fp8_e32 v[78:79], v93
	v_cvt_pk_f32_fp8_e32 v[92:93], v94
	v_cvt_pk_f32_fp8_e32 v[94:95], v95
	v_pk_mul_f32 v[76:77], s[12:13], v[76:77]
	s_nop 0
	v_fmac_f32_e32 v88, v6, v76
	v_fmac_f32_e32 v89, v7, v77
	v_pk_mul_f32 v[76:77], s[12:13], v[78:79]
	s_waitcnt vmcnt(8)
	v_cvt_pk_f32_fp8_e32 v[78:79], v98
	v_fmac_f32_e32 v88, v8, v76
	v_fmac_f32_e32 v89, v9, v77
	v_pk_mul_f32 v[76:77], s[12:13], v[92:93]
	v_pk_mul_f32 v[92:93], s[12:13], v[94:95]
	v_fmac_f32_e32 v88, v10, v76
	v_pk_mul_f32 v[94:95], s[12:13], v[96:97]
	v_fmac_f32_e32 v88, v12, v92
	v_fmac_f32_e32 v88, v14, v94
	global_load_ushort v94, v[74:75], off offset:2048
	s_waitcnt vmcnt(8)
	v_cvt_pk_f32_fp8_e32 v[98:99], v99
	v_fmac_f32_e32 v89, v11, v77
	v_fmac_f32_e32 v89, v13, v93
	s_waitcnt vmcnt(7)
	v_cvt_pk_f32_fp8_e32 v[76:77], v100
	v_pk_mul_f32 v[96:97], s[12:13], v[78:79]
	v_fmac_f32_e32 v89, v15, v95
	v_pk_mul_f32 v[78:79], s[12:13], v[98:99]
	v_fmac_f32_e32 v88, v16, v96
	v_fmac_f32_e32 v89, v17, v97
	global_load_ushort v95, v[74:75], off offset:2052
	global_load_ushort v96, v[74:75], off offset:2056
	;; [unrolled: 1-line block ×7, first 2 shown]
	v_fmac_f32_e32 v88, v18, v78
	v_fmac_f32_e32 v89, v19, v79
	s_waitcnt vmcnt(13)
	v_cvt_pk_f32_fp8_e32 v[78:79], v101
	global_load_ushort v101, v[74:75], off offset:3072
	v_pk_mul_f32 v[76:77], s[12:13], v[76:77]
	s_waitcnt vmcnt(12)
	v_cvt_pk_f32_fp8_e32 v[92:93], v103
	v_fmac_f32_e32 v88, v20, v76
	v_fmac_f32_e32 v89, v21, v77
	v_cvt_pk_f32_fp8_e32 v[76:77], v102
	global_load_ushort v102, v[74:75], off offset:3076
	global_load_ushort v103, v[74:75], off offset:3080
	v_pk_mul_f32 v[78:79], s[12:13], v[78:79]
	v_pk_mul_f32 v[76:77], s[12:13], v[76:77]
	v_fmac_f32_e32 v88, v22, v78
	v_fmac_f32_e32 v89, v23, v79
	s_waitcnt vmcnt(13)
	v_cvt_pk_f32_fp8_e32 v[78:79], v104
	global_load_ushort v104, v[74:75], off offset:3084
	global_load_ushort v106, v[74:75], off offset:3584
	;; [unrolled: 1-line block ×5, first 2 shown]
	s_waitcnt vmcnt(17)
	v_cvt_pk_f32_fp8_e32 v[74:75], v91
	v_fmac_f32_e32 v88, v24, v76
	v_fmac_f32_e32 v89, v25, v77
	v_pk_mul_f32 v[76:77], s[12:13], v[92:93]
	v_pk_mul_f32 v[74:75], s[12:13], v[74:75]
	v_fmac_f32_e32 v88, v26, v76
	v_fmac_f32_e32 v89, v27, v77
	v_pk_mul_f32 v[76:77], s[12:13], v[78:79]
	s_waitcnt vmcnt(13)
	v_cvt_pk_f32_fp8_e32 v[78:79], v96
	v_fmac_f32_e32 v88, v28, v76
	v_fmac_f32_e32 v89, v29, v77
	;; [unrolled: 1-line block ×4, first 2 shown]
	v_cvt_pk_f32_fp8_e32 v[74:75], v90
	v_cvt_pk_f32_fp8_e32 v[76:77], v94
	s_waitcnt vmcnt(11)
	v_cvt_pk_f32_fp8_e32 v[90:91], v98
	s_waitcnt vmcnt(9)
	v_cvt_pk_f32_fp8_e32 v[92:93], v100
	v_pk_mul_f32 v[74:75], s[12:13], v[74:75]
	v_pk_mul_f32 v[76:77], s[12:13], v[76:77]
	v_fmac_f32_e32 v88, v32, v74
	v_fmac_f32_e32 v89, v33, v75
	v_cvt_pk_f32_fp8_e32 v[74:75], v95
	v_fmac_f32_e32 v88, v34, v76
	v_fmac_f32_e32 v89, v35, v77
	v_cvt_pk_f32_fp8_e32 v[76:77], v97
	v_pk_mul_f32 v[74:75], s[12:13], v[74:75]
	v_pk_mul_f32 v[78:79], s[12:13], v[78:79]
	v_fmac_f32_e32 v88, v36, v74
	v_fmac_f32_e32 v89, v37, v75
	v_cvt_pk_f32_fp8_e32 v[74:75], v99
	v_fmac_f32_e32 v88, v38, v78
	v_fmac_f32_e32 v89, v39, v79
	s_waitcnt vmcnt(8)
	v_cvt_pk_f32_fp8_e32 v[78:79], v105
	v_pk_mul_f32 v[76:77], s[12:13], v[76:77]
	s_waitcnt vmcnt(7)
	v_cvt_pk_f32_fp8_e32 v[94:95], v101
	v_fmac_f32_e32 v88, v40, v76
	v_fmac_f32_e32 v89, v41, v77
	v_pk_mul_f32 v[90:91], s[12:13], v[90:91]
	s_waitcnt vmcnt(6)
	v_cvt_pk_f32_fp8_e32 v[76:77], v102
	v_fmac_f32_e32 v88, v42, v90
	v_fmac_f32_e32 v89, v43, v91
	;; [unrolled: 5-line block ×4, first 2 shown]
	v_pk_mul_f32 v[78:79], s[12:13], v[78:79]
	s_waitcnt vmcnt(3)
	v_cvt_pk_f32_fp8_e32 v[98:99], v106
	v_pk_mul_f32 v[94:95], s[12:13], v[94:95]
	v_fmac_f32_e32 v88, v48, v78
	v_fmac_f32_e32 v89, v49, v79
	s_waitcnt vmcnt(2)
	v_cvt_pk_f32_fp8_e32 v[74:75], v107
	v_pk_mul_f32 v[76:77], s[12:13], v[76:77]
	v_fmac_f32_e32 v88, v50, v94
	v_fmac_f32_e32 v89, v51, v95
	;; [unrolled: 5-line block ×4, first 2 shown]
	v_pk_mul_f32 v[98:99], s[12:13], v[98:99]
	v_fmac_f32_e32 v88, v56, v90
	v_fmac_f32_e32 v89, v57, v91
	v_pk_mul_f32 v[74:75], s[12:13], v[74:75]
	v_fmac_f32_e32 v88, v58, v98
	v_fmac_f32_e32 v89, v59, v99
	;; [unrolled: 3-line block ×4, first 2 shown]
	v_fmac_f32_e32 v88, v64, v92
	v_fmac_f32_e32 v89, v65, v93
	v_add_f32_e32 v74, v88, v89
	ds_bpermute_b32 v75, v1, v74
	s_and_saveexec_b64 s[42:43], vcc
	s_cbranch_execz .LBB242_9
; %bb.11:                               ;   in Loop: Header=BB242_10 Depth=1
	v_add_u32_e32 v76, s47, v85
	v_cvt_f32_i32_e32 v76, v76
	s_waitcnt lgkmcnt(0)
	v_add_f32_e32 v74, v74, v75
	v_cmp_gt_i32_e64 s[0:1], s29, v85
	v_max_f32_e32 v75, v84, v84
	v_mul_f32_e32 v76, s38, v76
	v_cndmask_b32_e64 v76, 0, v76, s[8:9]
	v_fmac_f32_e32 v76, s39, v74
	v_cndmask_b32_e64 v74, 0, v76, s[0:1]
	ds_write_b32 v86, v74
	v_max_f32_e32 v74, v75, v76
	v_cndmask_b32_e64 v84, v84, v74, s[0:1]
	s_branch .LBB242_9
.LBB242_12:
	s_or_b64 exec, exec, s[18:19]
.LBB242_13:
	s_or_b64 exec, exec, s[40:41]
	v_xor_b32_e32 v1, 32, v82
	v_cmp_lt_i32_e32 vcc, v1, v83
	v_xor_b32_e32 v4, 16, v82
	v_max_f32_e32 v3, v84, v84
	v_cndmask_b32_e32 v1, v82, v1, vcc
	v_lshlrev_b32_e32 v2, 2, v1
	ds_bpermute_b32 v1, v2, v84
	v_cmp_lt_i32_e32 vcc, v4, v83
	v_xor_b32_e32 v5, 8, v82
	v_xor_b32_e32 v6, 4, v82
	s_waitcnt lgkmcnt(0)
	v_max_f32_e32 v1, v1, v1
	v_max_f32_e32 v1, v3, v1
	v_cndmask_b32_e32 v3, v82, v4, vcc
	v_lshlrev_b32_e32 v3, 2, v3
	ds_bpermute_b32 v4, v3, v1
	v_cmp_lt_i32_e32 vcc, v5, v83
	s_waitcnt lgkmcnt(0)
	v_max_f32_e32 v4, v4, v4
	v_max_f32_e32 v1, v1, v4
	v_cndmask_b32_e32 v4, v82, v5, vcc
	v_lshlrev_b32_e32 v5, 2, v4
	ds_bpermute_b32 v4, v5, v1
	v_cmp_lt_i32_e32 vcc, v6, v83
	s_waitcnt lgkmcnt(0)
	v_max_f32_e32 v4, v4, v4
	v_max_f32_e32 v1, v1, v4
	v_cndmask_b32_e32 v4, v82, v6, vcc
	v_lshlrev_b32_e32 v97, 2, v4
	ds_bpermute_b32 v4, v97, v1
	v_xor_b32_e32 v6, 2, v82
	v_cmp_lt_i32_e32 vcc, v6, v83
	s_waitcnt lgkmcnt(0)
	v_max_f32_e32 v4, v4, v4
	v_max_f32_e32 v4, v1, v4
	v_cndmask_b32_e32 v1, v82, v6, vcc
	v_lshlrev_b32_e32 v96, 2, v1
	ds_bpermute_b32 v7, v96, v4
	v_and_b32_e32 v1, 63, v0
	v_cmp_eq_u32_e32 vcc, 0, v1
	v_lshlrev_b32_e32 v6, 2, v81
	s_and_saveexec_b64 s[0:1], vcc
	s_cbranch_execz .LBB242_15
; %bb.14:
	s_waitcnt lgkmcnt(0)
	v_max_f32_e32 v7, v7, v7
	v_max_f32_e32 v4, v4, v4
	;; [unrolled: 1-line block ×3, first 2 shown]
	ds_write_b32 v6, v4 offset:512
.LBB242_15:
	s_or_b64 exec, exec, s[0:1]
	v_cmp_gt_u32_e64 s[0:1], 2, v1
	v_mov_b32_e32 v4, 0xff7fffff
	s_waitcnt lgkmcnt(0)
	v_lshlrev_b32_e32 v7, 2, v1
	s_barrier
	s_and_saveexec_b64 s[8:9], s[0:1]
	s_cbranch_execz .LBB242_17
; %bb.16:
	ds_read_b32 v4, v7 offset:512
.LBB242_17:
	s_or_b64 exec, exec, s[8:9]
	v_xor_b32_e32 v8, 1, v82
	v_cmp_lt_i32_e64 s[8:9], v8, v83
	s_sub_i32 s3, s25, s3
	s_lshl_b32 s3, s3, 5
	v_cndmask_b32_e64 v8, v82, v8, s[8:9]
	v_lshlrev_b32_e32 v98, 2, v8
	s_waitcnt lgkmcnt(0)
	ds_bpermute_b32 v8, v98, v4
	v_max_f32_e32 v4, v4, v4
	s_add_i32 s3, s3, s33
	s_min_i32 s40, s3, s29
	s_sub_i32 s3, s40, s33
	s_waitcnt lgkmcnt(0)
	v_max_f32_e32 v8, v8, v8
	v_max_f32_e32 v4, v4, v8
	v_lshlrev_b32_e32 v8, 2, v82
	v_and_b32_e32 v8, 0xffffff00, v8
	ds_bpermute_b32 v4, v8, v4
	v_cmp_gt_i32_e64 s[8:9], s3, v0
	v_mov_b32_e32 v9, 0
	s_and_saveexec_b64 s[18:19], s[8:9]
	s_cbranch_execz .LBB242_21
; %bb.18:
	v_mov_b32_e32 v9, 0x210
	v_lshl_add_u32 v10, v0, 2, v9
	s_mov_b64 s[38:39], 0
	v_mov_b32_e32 v9, 0
	v_mov_b32_e32 v11, v0
.LBB242_19:                             ; =>This Inner Loop Header: Depth=1
	ds_read_b32 v12, v10
	v_add_u32_e32 v11, 0x80, v11
	v_cmp_le_i32_e64 s[12:13], s3, v11
	s_or_b64 s[38:39], s[12:13], s[38:39]
	s_waitcnt lgkmcnt(0)
	v_sub_f32_e32 v12, v12, v4
	v_mul_f32_e32 v12, 0x3fb8aa3b, v12
	v_exp_f32_e32 v12, v12
	ds_write_b32 v10, v12
	v_add_f32_e32 v9, v9, v12
	v_add_u32_e32 v10, 0x200, v10
	s_andn2_b64 exec, exec, s[38:39]
	s_cbranch_execnz .LBB242_19
; %bb.20:
	s_or_b64 exec, exec, s[38:39]
.LBB242_21:
	s_or_b64 exec, exec, s[18:19]
	ds_bpermute_b32 v2, v2, v9
	s_waitcnt lgkmcnt(0)
	v_add_f32_e32 v2, v9, v2
	ds_bpermute_b32 v3, v3, v2
	s_waitcnt lgkmcnt(0)
	v_add_f32_e32 v2, v2, v3
	;; [unrolled: 3-line block ×6, first 2 shown]
	s_and_saveexec_b64 s[12:13], vcc
	s_cbranch_execz .LBB242_23
; %bb.22:
	ds_write_b32 v6, v2 offset:520
.LBB242_23:
	s_or_b64 exec, exec, s[12:13]
	s_waitcnt lgkmcnt(0)
	s_barrier
	s_and_saveexec_b64 s[12:13], s[0:1]
	s_cbranch_execz .LBB242_25
; %bb.24:
	ds_read_b32 v2, v7 offset:520
.LBB242_25:
	s_or_b64 exec, exec, s[12:13]
	s_waitcnt lgkmcnt(0)
	ds_bpermute_b32 v3, v98, v2
	s_waitcnt lgkmcnt(0)
	v_add_f32_e32 v2, v2, v3
	ds_bpermute_b32 v5, v8, v2
	s_and_saveexec_b64 s[0:1], s[8:9]
	s_cbranch_execz .LBB242_38
; %bb.26:
	s_waitcnt lgkmcnt(0)
	v_add_f32_e32 v2, 0x358637bd, v5
	v_div_scale_f32 v3, s[8:9], v2, v2, 1.0
	v_rcp_f32_e32 v6, v3
	v_div_scale_f32 v7, vcc, 1.0, v2, 1.0
	s_movk_i32 s8, 0x7f
	v_fma_f32 v8, -v3, v6, 1.0
	v_fmac_f32_e32 v6, v8, v6
	v_mul_f32_e32 v8, v7, v6
	v_fma_f32 v9, -v3, v8, v7
	v_fmac_f32_e32 v8, v9, v6
	v_fma_f32 v3, -v3, v8, v7
	v_div_fmas_f32 v3, v3, v6, v8
	v_div_fixup_f32 v2, v3, v2, 1.0
	v_xad_u32 v3, v0, -1, s40
	v_subrev_u32_e32 v6, s33, v3
	v_cmp_lt_u32_e32 vcc, s8, v6
	s_mov_b64 s[12:13], -1
	v_mov_b32_e32 v3, v0
	s_and_saveexec_b64 s[8:9], vcc
	s_cbranch_execz .LBB242_35
; %bb.27:
	v_lshrrev_b32_e32 v6, 7, v6
	v_add_u32_e32 v8, -1, v6
	v_lshrrev_b32_e32 v7, 1, v8
	v_mov_b32_e32 v3, v2
	v_add_u32_e32 v7, 1, v7
	v_cmp_lt_u32_e32 vcc, 13, v8
	v_mov_b32_e32 v10, 0
	s_and_saveexec_b64 s[12:13], vcc
	s_cbranch_execz .LBB242_31
; %bb.28:
	v_mov_b32_e32 v9, 0x210
	v_and_b32_e32 v8, -8, v7
	v_lshl_add_u32 v9, v0, 2, v9
	s_mov_b32 s38, 0
	s_mov_b64 s[18:19], 0
.LBB242_29:                             ; =>This Inner Loop Header: Depth=1
	ds_read2st64_b32 v[10:11], v9 offset1:2
	ds_read2st64_b32 v[12:13], v9 offset0:4 offset1:6
	ds_read2st64_b32 v[14:15], v9 offset0:8 offset1:10
	;; [unrolled: 1-line block ×3, first 2 shown]
	v_add_u32_e32 v8, -8, v8
	s_waitcnt lgkmcnt(3)
	v_pk_mul_f32 v[10:11], v[2:3], v[10:11]
	s_waitcnt lgkmcnt(2)
	v_pk_mul_f32 v[12:13], v[2:3], v[12:13]
	ds_write2st64_b32 v9, v10, v11 offset1:2
	ds_write2st64_b32 v9, v12, v13 offset0:4 offset1:6
	ds_read2st64_b32 v[12:13], v9 offset0:16 offset1:18
	s_waitcnt lgkmcnt(4)
	v_pk_mul_f32 v[10:11], v[2:3], v[14:15]
	ds_write2st64_b32 v9, v10, v11 offset0:8 offset1:10
	s_waitcnt lgkmcnt(4)
	v_pk_mul_f32 v[10:11], v[2:3], v[16:17]
	ds_write2st64_b32 v9, v10, v11 offset0:12 offset1:14
	ds_read2st64_b32 v[10:11], v9 offset0:20 offset1:22
	s_waitcnt lgkmcnt(3)
	v_pk_mul_f32 v[12:13], v[2:3], v[12:13]
	ds_read2st64_b32 v[14:15], v9 offset0:24 offset1:26
	ds_write2st64_b32 v9, v12, v13 offset0:16 offset1:18
	ds_read2st64_b32 v[12:13], v9 offset0:28 offset1:30
	s_waitcnt lgkmcnt(3)
	v_pk_mul_f32 v[10:11], v[2:3], v[10:11]
	ds_write2st64_b32 v9, v10, v11 offset0:20 offset1:22
	s_waitcnt lgkmcnt(3)
	v_pk_mul_f32 v[10:11], v[2:3], v[14:15]
	ds_write2st64_b32 v9, v10, v11 offset0:24 offset1:26
	s_waitcnt lgkmcnt(2)
	v_pk_mul_f32 v[10:11], v[2:3], v[12:13]
	s_add_i32 s38, s38, 16
	v_cmp_eq_u32_e32 vcc, 0, v8
	ds_write2st64_b32 v9, v10, v11 offset0:28 offset1:30
	v_add_u32_e32 v9, 0x2000, v9
	s_or_b64 s[18:19], vcc, s[18:19]
	v_mov_b32_e32 v10, s38
	s_andn2_b64 exec, exec, s[18:19]
	s_cbranch_execnz .LBB242_29
; %bb.30:
	s_or_b64 exec, exec, s[18:19]
.LBB242_31:
	s_or_b64 exec, exec, s[12:13]
	v_and_b32_e32 v7, 7, v7
	v_cmp_ne_u32_e32 vcc, 0, v7
	s_and_saveexec_b64 s[12:13], vcc
	s_cbranch_execz .LBB242_34
; %bb.32:
	v_lshlrev_b32_e32 v8, 9, v10
	s_movk_i32 s18, 0x210
	v_add3_u32 v8, v8, v80, s18
	s_mov_b64 s[18:19], 0
.LBB242_33:                             ; =>This Inner Loop Header: Depth=1
	ds_read2st64_b32 v[10:11], v8 offset1:2
	v_add_u32_e32 v7, -1, v7
	v_cmp_eq_u32_e32 vcc, 0, v7
	s_or_b64 s[18:19], vcc, s[18:19]
	s_waitcnt lgkmcnt(0)
	v_pk_mul_f32 v[10:11], v[2:3], v[10:11]
	ds_write2st64_b32 v8, v10, v11 offset1:2
	v_add_u32_e32 v8, 0x400, v8
	s_andn2_b64 exec, exec, s[18:19]
	s_cbranch_execnz .LBB242_33
.LBB242_34:
	s_or_b64 exec, exec, s[12:13]
	v_add_u32_e32 v6, 1, v6
	v_and_b32_e32 v7, 0x3fffffe, v6
	v_cmp_ne_u32_e32 vcc, v6, v7
	v_lshl_add_u32 v3, v7, 7, v0
	s_orn2_b64 s[12:13], vcc, exec
.LBB242_35:
	s_or_b64 exec, exec, s[8:9]
	s_and_b64 exec, exec, s[12:13]
	s_cbranch_execz .LBB242_38
; %bb.36:
	v_mov_b32_e32 v6, 0x210
	v_lshl_add_u32 v6, v3, 2, v6
	s_mov_b64 s[8:9], 0
.LBB242_37:                             ; =>This Inner Loop Header: Depth=1
	ds_read_b32 v7, v6
	v_add_u32_e32 v3, 0x80, v3
	v_cmp_le_i32_e32 vcc, s3, v3
	s_or_b64 s[8:9], vcc, s[8:9]
	s_waitcnt lgkmcnt(0)
	v_mul_f32_e32 v7, v2, v7
	ds_write_b32 v6, v7
	v_add_u32_e32 v6, 0x200, v6
	s_andn2_b64 exec, exec, s[8:9]
	s_cbranch_execnz .LBB242_37
.LBB242_38:
	s_or_b64 exec, exec, s[0:1]
	s_mul_i32 s0, s16, s28
	v_cmp_eq_u32_e32 vcc, 0, v0
	s_mul_i32 s8, s0, s5
	s_waitcnt lgkmcnt(0)
	s_barrier
	s_and_saveexec_b64 s[0:1], vcc
	s_cbranch_execz .LBB242_40
; %bb.39:
	s_ashr_i32 s9, s8, 31
	s_lshl_b64 s[12:13], s[8:9], 2
	s_add_u32 s5, s22, s12
	s_mul_i32 s2, s16, s2
	s_addc_u32 s9, s23, s13
	s_ashr_i32 s3, s2, 31
	s_lshl_b64 s[2:3], s[2:3], 2
	s_add_u32 s22, s5, s2
	s_addc_u32 s9, s9, s3
	s_ashr_i32 s5, s4, 31
	s_lshl_b64 s[18:19], s[4:5], 2
	s_add_u32 s22, s22, s18
	s_addc_u32 s23, s9, s19
	s_add_u32 s5, s20, s12
	s_addc_u32 s9, s21, s13
	s_add_u32 s2, s5, s2
	s_addc_u32 s3, s9, s3
	s_add_u32 s2, s2, s18
	v_mov_b32_e32 v2, 0
	s_addc_u32 s3, s3, s19
	global_store_dword v2, v4, s[22:23]
	global_store_dword v2, v5, s[2:3]
.LBB242_40:
	s_or_b64 exec, exec, s[0:1]
	v_mov_b32_e32 v20, 0
	v_and_b32_e32 v99, 7, v0
	v_mov_b32_e32 v21, 0
	v_mov_b32_e32 v18, 0
	v_mov_b32_e32 v19, 0
	v_mov_b32_e32 v16, 0
	v_mov_b32_e32 v17, 0
	v_mov_b32_e32 v14, 0
	v_mov_b32_e32 v15, 0
	v_mov_b32_e32 v12, 0
	v_mov_b32_e32 v13, 0
	v_mov_b32_e32 v10, 0
	v_mov_b32_e32 v11, 0
	v_mov_b32_e32 v8, 0
	v_mov_b32_e32 v9, 0
	v_mov_b32_e32 v6, 0
	v_mov_b32_e32 v7, 0
	s_and_saveexec_b64 s[2:3], s[6:7]
	s_cbranch_execz .LBB242_76
; %bb.41:
	s_load_dword s6, s[14:15], 0x0
	s_ashr_i32 s1, s45, 31
	s_add_u32 s0, s36, s45
	v_and_b32_e32 v2, 28, v80
	s_addc_u32 s1, s37, s1
	s_add_i32 s44, s44, -1
	v_lshl_add_u32 v3, v81, 5, s33
	s_lshl_b64 s[12:13], s[34:35], 2
	v_add3_u32 v100, v3, v2, 3
	v_lshlrev_b32_e32 v2, 4, v99
	s_add_u32 s12, s30, s12
	v_mov_b32_e32 v23, 0
	v_lshl_or_b32 v2, v81, 7, v2
	s_addc_u32 s13, s31, s13
	s_mov_b32 s5, s17
	s_waitcnt lgkmcnt(0)
	s_mov_b32 s7, s6
	v_and_b32_e32 v22, 0xfc, v80
	v_or_b32_e32 v24, 0xf00, v80
	v_mov_b32_e32 v25, v23
	v_add_u32_e32 v101, 0x210, v2
	v_lshl_add_u64 v[26:27], v[66:67], 2, s[12:13]
	s_mov_b64 s[12:13], 0
	v_mov_b64_e32 v[28:29], s[0:1]
	v_mov_b32_e32 v7, v23
	v_mov_b32_e32 v6, v23
	;; [unrolled: 1-line block ×16, first 2 shown]
	s_branch .LBB242_43
.LBB242_42:                             ;   in Loop: Header=BB242_43 Depth=1
	s_or_b64 exec, exec, s[0:1]
	s_waitcnt lgkmcnt(0)
	v_mul_f32_e32 v67, v3, v95
	v_fmac_f32_e32 v67, v2, v94
	v_fmac_f32_e32 v67, v4, v92
	v_fmac_f32_e32 v67, v5, v93
	v_add_f32_e32 v6, v6, v67
	v_mul_f32_e32 v67, v3, v91
	v_fmac_f32_e32 v67, v2, v90
	v_fmac_f32_e32 v67, v4, v88
	v_fmac_f32_e32 v67, v5, v89
	v_add_f32_e32 v9, v9, v67
	v_mul_f32_e32 v67, v3, v87
	v_fmac_f32_e32 v67, v2, v86
	v_fmac_f32_e32 v67, v4, v84
	v_fmac_f32_e32 v67, v5, v85
	v_add_f32_e32 v8, v8, v67
	v_mul_f32_e32 v67, v3, v83
	v_fmac_f32_e32 v67, v2, v82
	v_fmac_f32_e32 v67, v4, v80
	v_fmac_f32_e32 v67, v5, v81
	v_add_f32_e32 v11, v11, v67
	v_mul_f32_e32 v67, v3, v79
	v_fmac_f32_e32 v67, v2, v78
	v_fmac_f32_e32 v67, v4, v76
	v_fmac_f32_e32 v67, v5, v77
	v_add_f32_e32 v10, v10, v67
	v_mul_f32_e32 v67, v3, v75
	v_fmac_f32_e32 v67, v2, v74
	v_fmac_f32_e32 v67, v4, v72
	v_fmac_f32_e32 v67, v5, v73
	v_add_f32_e32 v13, v13, v67
	v_mul_f32_e32 v67, v3, v71
	v_mul_f32_e32 v65, v3, v65
	;; [unrolled: 1-line block ×10, first 2 shown]
	v_fmac_f32_e32 v67, v2, v70
	v_fmac_f32_e32 v65, v2, v64
	;; [unrolled: 1-line block ×20, first 2 shown]
	v_add_u32_e32 v66, 2, v66
	v_fmac_f32_e32 v67, v5, v69
	v_fmac_f32_e32 v65, v5, v63
	;; [unrolled: 1-line block ×10, first 2 shown]
	v_cmp_le_i32_e32 vcc, s25, v66
	v_add_f32_e32 v12, v12, v67
	v_add_f32_e32 v15, v15, v65
	;; [unrolled: 1-line block ×10, first 2 shown]
	v_add_u32_e32 v100, 64, v100
	v_add_u32_e32 v101, 0x100, v101
	s_or_b64 s[12:13], vcc, s[12:13]
	v_lshl_add_u64 v[26:27], v[26:27], 0, 8
	s_andn2_b64 exec, exec, s[12:13]
	s_cbranch_execz .LBB242_75
.LBB242_43:                             ; =>This Inner Loop Header: Depth=1
	global_load_dword v2, v[26:27], off
	v_add_u32_e32 v67, -3, v100
	v_cmp_eq_u32_e32 vcc, s44, v66
	v_add_u32_e32 v102, -2, v100
	v_add_u32_e32 v103, -1, v100
	s_waitcnt vmcnt(0)
	v_mad_i64_i32 v[42:43], s[0:1], v2, s5, v[28:29]
	v_lshl_add_u64 v[48:49], v[42:43], 0, v[22:23]
	global_load_dword v30, v[48:49], off
	ds_read_b128 v[2:5], v101
	s_waitcnt vmcnt(0)
	v_and_b32_e32 v31, 0xffff, v30
	v_lshrrev_b32_e32 v32, 16, v30
	v_cvt_pk_f32_fp8_e32 v[30:31], v31
	v_cvt_pk_f32_fp8_e32 v[34:35], v32
	v_pk_mul_f32 v[32:33], s[6:7], v[30:31]
	v_pk_mul_f32 v[30:31], s[6:7], v[34:35]
	s_and_saveexec_b64 s[14:15], vcc
; %bb.44:                               ;   in Loop: Header=BB242_43 Depth=1
	v_cmp_gt_i32_e64 s[0:1], s29, v67
	s_nop 1
	v_cndmask_b32_e64 v32, 0, v32, s[0:1]
	v_cmp_gt_i32_e64 s[0:1], s29, v102
	s_nop 1
	v_cndmask_b32_e64 v33, 0, v33, s[0:1]
	v_cmp_gt_i32_e64 s[0:1], s29, v103
	s_nop 1
	v_cndmask_b32_e64 v30, 0, v30, s[0:1]
	v_cmp_gt_i32_e64 s[0:1], s29, v100
	s_nop 1
	v_cndmask_b32_e64 v31, 0, v31, s[0:1]
; %bb.45:                               ;   in Loop: Header=BB242_43 Depth=1
	s_or_b64 exec, exec, s[14:15]
	global_load_dword v34, v[48:49], off offset:256
	s_waitcnt vmcnt(0)
	v_and_b32_e32 v35, 0xffff, v34
	v_lshrrev_b32_e32 v36, 16, v34
	v_cvt_pk_f32_fp8_e32 v[34:35], v35
	v_cvt_pk_f32_fp8_e32 v[38:39], v36
	v_pk_mul_f32 v[36:37], s[6:7], v[34:35]
	v_pk_mul_f32 v[34:35], s[6:7], v[38:39]
	s_and_saveexec_b64 s[14:15], vcc
; %bb.46:                               ;   in Loop: Header=BB242_43 Depth=1
	v_cmp_gt_i32_e64 s[0:1], s29, v67
	s_nop 1
	v_cndmask_b32_e64 v36, 0, v36, s[0:1]
	v_cmp_gt_i32_e64 s[0:1], s29, v102
	s_nop 1
	v_cndmask_b32_e64 v37, 0, v37, s[0:1]
	v_cmp_gt_i32_e64 s[0:1], s29, v103
	s_nop 1
	v_cndmask_b32_e64 v34, 0, v34, s[0:1]
	v_cmp_gt_i32_e64 s[0:1], s29, v100
	s_nop 1
	v_cndmask_b32_e64 v35, 0, v35, s[0:1]
; %bb.47:                               ;   in Loop: Header=BB242_43 Depth=1
	s_or_b64 exec, exec, s[14:15]
	global_load_dword v38, v[48:49], off offset:512
	s_waitcnt vmcnt(0)
	v_and_b32_e32 v39, 0xffff, v38
	v_lshrrev_b32_e32 v40, 16, v38
	v_cvt_pk_f32_fp8_e32 v[38:39], v39
	v_cvt_pk_f32_fp8_e32 v[44:45], v40
	v_pk_mul_f32 v[40:41], s[6:7], v[38:39]
	v_pk_mul_f32 v[38:39], s[6:7], v[44:45]
	s_and_saveexec_b64 s[14:15], vcc
; %bb.48:                               ;   in Loop: Header=BB242_43 Depth=1
	v_cmp_gt_i32_e64 s[0:1], s29, v67
	s_nop 1
	v_cndmask_b32_e64 v40, 0, v40, s[0:1]
	v_cmp_gt_i32_e64 s[0:1], s29, v102
	s_nop 1
	v_cndmask_b32_e64 v41, 0, v41, s[0:1]
	v_cmp_gt_i32_e64 s[0:1], s29, v103
	s_nop 1
	v_cndmask_b32_e64 v38, 0, v38, s[0:1]
	v_cmp_gt_i32_e64 s[0:1], s29, v100
	s_nop 1
	v_cndmask_b32_e64 v39, 0, v39, s[0:1]
; %bb.49:                               ;   in Loop: Header=BB242_43 Depth=1
	s_or_b64 exec, exec, s[14:15]
	global_load_dword v44, v[48:49], off offset:768
	s_waitcnt vmcnt(0)
	v_and_b32_e32 v45, 0xffff, v44
	v_lshrrev_b32_e32 v46, 16, v44
	v_cvt_pk_f32_fp8_e32 v[44:45], v45
	v_cvt_pk_f32_fp8_e32 v[50:51], v46
	v_pk_mul_f32 v[46:47], s[6:7], v[44:45]
	v_pk_mul_f32 v[44:45], s[6:7], v[50:51]
	s_and_saveexec_b64 s[14:15], vcc
; %bb.50:                               ;   in Loop: Header=BB242_43 Depth=1
	v_cmp_gt_i32_e64 s[0:1], s29, v67
	s_nop 1
	v_cndmask_b32_e64 v46, 0, v46, s[0:1]
	v_cmp_gt_i32_e64 s[0:1], s29, v102
	s_nop 1
	v_cndmask_b32_e64 v47, 0, v47, s[0:1]
	v_cmp_gt_i32_e64 s[0:1], s29, v103
	s_nop 1
	v_cndmask_b32_e64 v44, 0, v44, s[0:1]
	v_cmp_gt_i32_e64 s[0:1], s29, v100
	s_nop 1
	v_cndmask_b32_e64 v45, 0, v45, s[0:1]
; %bb.51:                               ;   in Loop: Header=BB242_43 Depth=1
	s_or_b64 exec, exec, s[14:15]
	global_load_dword v50, v[48:49], off offset:1024
	s_waitcnt vmcnt(0)
	v_and_b32_e32 v51, 0xffff, v50
	v_lshrrev_b32_e32 v52, 16, v50
	v_cvt_pk_f32_fp8_e32 v[50:51], v51
	v_cvt_pk_f32_fp8_e32 v[54:55], v52
	v_pk_mul_f32 v[52:53], s[6:7], v[50:51]
	v_pk_mul_f32 v[50:51], s[6:7], v[54:55]
	s_and_saveexec_b64 s[14:15], vcc
; %bb.52:                               ;   in Loop: Header=BB242_43 Depth=1
	v_cmp_gt_i32_e64 s[0:1], s29, v67
	s_nop 1
	v_cndmask_b32_e64 v52, 0, v52, s[0:1]
	v_cmp_gt_i32_e64 s[0:1], s29, v102
	s_nop 1
	v_cndmask_b32_e64 v53, 0, v53, s[0:1]
	v_cmp_gt_i32_e64 s[0:1], s29, v103
	s_nop 1
	v_cndmask_b32_e64 v50, 0, v50, s[0:1]
	v_cmp_gt_i32_e64 s[0:1], s29, v100
	s_nop 1
	v_cndmask_b32_e64 v51, 0, v51, s[0:1]
; %bb.53:                               ;   in Loop: Header=BB242_43 Depth=1
	s_or_b64 exec, exec, s[14:15]
	global_load_dword v54, v[48:49], off offset:1280
	s_waitcnt vmcnt(0)
	v_and_b32_e32 v55, 0xffff, v54
	v_lshrrev_b32_e32 v56, 16, v54
	v_cvt_pk_f32_fp8_e32 v[54:55], v55
	v_cvt_pk_f32_fp8_e32 v[58:59], v56
	v_pk_mul_f32 v[56:57], s[6:7], v[54:55]
	v_pk_mul_f32 v[54:55], s[6:7], v[58:59]
	s_and_saveexec_b64 s[14:15], vcc
; %bb.54:                               ;   in Loop: Header=BB242_43 Depth=1
	v_cmp_gt_i32_e64 s[0:1], s29, v67
	s_nop 1
	v_cndmask_b32_e64 v56, 0, v56, s[0:1]
	v_cmp_gt_i32_e64 s[0:1], s29, v102
	s_nop 1
	v_cndmask_b32_e64 v57, 0, v57, s[0:1]
	v_cmp_gt_i32_e64 s[0:1], s29, v103
	s_nop 1
	v_cndmask_b32_e64 v54, 0, v54, s[0:1]
	v_cmp_gt_i32_e64 s[0:1], s29, v100
	s_nop 1
	v_cndmask_b32_e64 v55, 0, v55, s[0:1]
; %bb.55:                               ;   in Loop: Header=BB242_43 Depth=1
	s_or_b64 exec, exec, s[14:15]
	global_load_dword v58, v[48:49], off offset:1536
	s_waitcnt vmcnt(0)
	v_and_b32_e32 v59, 0xffff, v58
	v_lshrrev_b32_e32 v60, 16, v58
	v_cvt_pk_f32_fp8_e32 v[58:59], v59
	v_cvt_pk_f32_fp8_e32 v[62:63], v60
	v_pk_mul_f32 v[60:61], s[6:7], v[58:59]
	v_pk_mul_f32 v[58:59], s[6:7], v[62:63]
	s_and_saveexec_b64 s[14:15], vcc
; %bb.56:                               ;   in Loop: Header=BB242_43 Depth=1
	v_cmp_gt_i32_e64 s[0:1], s29, v67
	s_nop 1
	v_cndmask_b32_e64 v60, 0, v60, s[0:1]
	v_cmp_gt_i32_e64 s[0:1], s29, v102
	s_nop 1
	v_cndmask_b32_e64 v61, 0, v61, s[0:1]
	v_cmp_gt_i32_e64 s[0:1], s29, v103
	s_nop 1
	v_cndmask_b32_e64 v58, 0, v58, s[0:1]
	v_cmp_gt_i32_e64 s[0:1], s29, v100
	s_nop 1
	v_cndmask_b32_e64 v59, 0, v59, s[0:1]
; %bb.57:                               ;   in Loop: Header=BB242_43 Depth=1
	s_or_b64 exec, exec, s[14:15]
	global_load_dword v62, v[48:49], off offset:1792
	s_waitcnt vmcnt(0)
	v_and_b32_e32 v63, 0xffff, v62
	v_lshrrev_b32_e32 v64, 16, v62
	v_cvt_pk_f32_fp8_e32 v[62:63], v63
	v_cvt_pk_f32_fp8_e32 v[68:69], v64
	v_pk_mul_f32 v[64:65], s[6:7], v[62:63]
	v_pk_mul_f32 v[62:63], s[6:7], v[68:69]
	s_and_saveexec_b64 s[14:15], vcc
; %bb.58:                               ;   in Loop: Header=BB242_43 Depth=1
	v_cmp_gt_i32_e64 s[0:1], s29, v67
	s_nop 1
	v_cndmask_b32_e64 v64, 0, v64, s[0:1]
	v_cmp_gt_i32_e64 s[0:1], s29, v102
	s_nop 1
	v_cndmask_b32_e64 v65, 0, v65, s[0:1]
	v_cmp_gt_i32_e64 s[0:1], s29, v103
	s_nop 1
	v_cndmask_b32_e64 v62, 0, v62, s[0:1]
	v_cmp_gt_i32_e64 s[0:1], s29, v100
	s_nop 1
	v_cndmask_b32_e64 v63, 0, v63, s[0:1]
; %bb.59:                               ;   in Loop: Header=BB242_43 Depth=1
	s_or_b64 exec, exec, s[14:15]
	global_load_dword v68, v[48:49], off offset:2048
	s_waitcnt vmcnt(0)
	v_and_b32_e32 v69, 0xffff, v68
	v_lshrrev_b32_e32 v70, 16, v68
	v_cvt_pk_f32_fp8_e32 v[68:69], v69
	v_cvt_pk_f32_fp8_e32 v[72:73], v70
	v_pk_mul_f32 v[70:71], s[6:7], v[68:69]
	v_pk_mul_f32 v[68:69], s[6:7], v[72:73]
	s_and_saveexec_b64 s[14:15], vcc
; %bb.60:                               ;   in Loop: Header=BB242_43 Depth=1
	v_cmp_gt_i32_e64 s[0:1], s29, v67
	s_nop 1
	v_cndmask_b32_e64 v70, 0, v70, s[0:1]
	v_cmp_gt_i32_e64 s[0:1], s29, v102
	s_nop 1
	v_cndmask_b32_e64 v71, 0, v71, s[0:1]
	v_cmp_gt_i32_e64 s[0:1], s29, v103
	s_nop 1
	v_cndmask_b32_e64 v68, 0, v68, s[0:1]
	v_cmp_gt_i32_e64 s[0:1], s29, v100
	s_nop 1
	v_cndmask_b32_e64 v69, 0, v69, s[0:1]
; %bb.61:                               ;   in Loop: Header=BB242_43 Depth=1
	s_or_b64 exec, exec, s[14:15]
	global_load_dword v72, v[48:49], off offset:2304
	s_waitcnt vmcnt(0)
	v_and_b32_e32 v73, 0xffff, v72
	v_lshrrev_b32_e32 v74, 16, v72
	v_cvt_pk_f32_fp8_e32 v[72:73], v73
	v_cvt_pk_f32_fp8_e32 v[76:77], v74
	v_pk_mul_f32 v[74:75], s[6:7], v[72:73]
	v_pk_mul_f32 v[72:73], s[6:7], v[76:77]
	s_and_saveexec_b64 s[14:15], vcc
; %bb.62:                               ;   in Loop: Header=BB242_43 Depth=1
	v_cmp_gt_i32_e64 s[0:1], s29, v67
	s_nop 1
	v_cndmask_b32_e64 v74, 0, v74, s[0:1]
	v_cmp_gt_i32_e64 s[0:1], s29, v102
	s_nop 1
	v_cndmask_b32_e64 v75, 0, v75, s[0:1]
	v_cmp_gt_i32_e64 s[0:1], s29, v103
	s_nop 1
	v_cndmask_b32_e64 v72, 0, v72, s[0:1]
	v_cmp_gt_i32_e64 s[0:1], s29, v100
	s_nop 1
	v_cndmask_b32_e64 v73, 0, v73, s[0:1]
; %bb.63:                               ;   in Loop: Header=BB242_43 Depth=1
	s_or_b64 exec, exec, s[14:15]
	global_load_dword v76, v[48:49], off offset:2560
	s_waitcnt vmcnt(0)
	v_and_b32_e32 v77, 0xffff, v76
	v_lshrrev_b32_e32 v78, 16, v76
	v_cvt_pk_f32_fp8_e32 v[76:77], v77
	v_cvt_pk_f32_fp8_e32 v[80:81], v78
	v_pk_mul_f32 v[78:79], s[6:7], v[76:77]
	v_pk_mul_f32 v[76:77], s[6:7], v[80:81]
	s_and_saveexec_b64 s[14:15], vcc
; %bb.64:                               ;   in Loop: Header=BB242_43 Depth=1
	v_cmp_gt_i32_e64 s[0:1], s29, v67
	s_nop 1
	v_cndmask_b32_e64 v78, 0, v78, s[0:1]
	v_cmp_gt_i32_e64 s[0:1], s29, v102
	s_nop 1
	v_cndmask_b32_e64 v79, 0, v79, s[0:1]
	v_cmp_gt_i32_e64 s[0:1], s29, v103
	s_nop 1
	v_cndmask_b32_e64 v76, 0, v76, s[0:1]
	v_cmp_gt_i32_e64 s[0:1], s29, v100
	s_nop 1
	v_cndmask_b32_e64 v77, 0, v77, s[0:1]
; %bb.65:                               ;   in Loop: Header=BB242_43 Depth=1
	s_or_b64 exec, exec, s[14:15]
	global_load_dword v80, v[48:49], off offset:2816
	s_waitcnt vmcnt(0)
	v_and_b32_e32 v81, 0xffff, v80
	v_lshrrev_b32_e32 v82, 16, v80
	v_cvt_pk_f32_fp8_e32 v[80:81], v81
	v_cvt_pk_f32_fp8_e32 v[84:85], v82
	v_pk_mul_f32 v[82:83], s[6:7], v[80:81]
	v_pk_mul_f32 v[80:81], s[6:7], v[84:85]
	s_and_saveexec_b64 s[14:15], vcc
; %bb.66:                               ;   in Loop: Header=BB242_43 Depth=1
	v_cmp_gt_i32_e64 s[0:1], s29, v67
	s_nop 1
	v_cndmask_b32_e64 v82, 0, v82, s[0:1]
	v_cmp_gt_i32_e64 s[0:1], s29, v102
	s_nop 1
	v_cndmask_b32_e64 v83, 0, v83, s[0:1]
	v_cmp_gt_i32_e64 s[0:1], s29, v103
	s_nop 1
	v_cndmask_b32_e64 v80, 0, v80, s[0:1]
	v_cmp_gt_i32_e64 s[0:1], s29, v100
	s_nop 1
	v_cndmask_b32_e64 v81, 0, v81, s[0:1]
; %bb.67:                               ;   in Loop: Header=BB242_43 Depth=1
	s_or_b64 exec, exec, s[14:15]
	global_load_dword v84, v[48:49], off offset:3072
	s_waitcnt vmcnt(0)
	v_and_b32_e32 v85, 0xffff, v84
	v_lshrrev_b32_e32 v86, 16, v84
	v_cvt_pk_f32_fp8_e32 v[84:85], v85
	v_cvt_pk_f32_fp8_e32 v[88:89], v86
	v_pk_mul_f32 v[86:87], s[6:7], v[84:85]
	v_pk_mul_f32 v[84:85], s[6:7], v[88:89]
	s_and_saveexec_b64 s[14:15], vcc
; %bb.68:                               ;   in Loop: Header=BB242_43 Depth=1
	v_cmp_gt_i32_e64 s[0:1], s29, v67
	s_nop 1
	v_cndmask_b32_e64 v86, 0, v86, s[0:1]
	v_cmp_gt_i32_e64 s[0:1], s29, v102
	s_nop 1
	v_cndmask_b32_e64 v87, 0, v87, s[0:1]
	v_cmp_gt_i32_e64 s[0:1], s29, v103
	s_nop 1
	v_cndmask_b32_e64 v84, 0, v84, s[0:1]
	v_cmp_gt_i32_e64 s[0:1], s29, v100
	s_nop 1
	v_cndmask_b32_e64 v85, 0, v85, s[0:1]
; %bb.69:                               ;   in Loop: Header=BB242_43 Depth=1
	s_or_b64 exec, exec, s[14:15]
	global_load_dword v88, v[48:49], off offset:3328
	s_waitcnt vmcnt(0)
	v_and_b32_e32 v89, 0xffff, v88
	v_lshrrev_b32_e32 v90, 16, v88
	v_cvt_pk_f32_fp8_e32 v[88:89], v89
	v_cvt_pk_f32_fp8_e32 v[92:93], v90
	v_pk_mul_f32 v[90:91], s[6:7], v[88:89]
	v_pk_mul_f32 v[88:89], s[6:7], v[92:93]
	s_and_saveexec_b64 s[14:15], vcc
; %bb.70:                               ;   in Loop: Header=BB242_43 Depth=1
	v_cmp_gt_i32_e64 s[0:1], s29, v67
	s_nop 1
	v_cndmask_b32_e64 v90, 0, v90, s[0:1]
	v_cmp_gt_i32_e64 s[0:1], s29, v102
	s_nop 1
	v_cndmask_b32_e64 v91, 0, v91, s[0:1]
	v_cmp_gt_i32_e64 s[0:1], s29, v103
	s_nop 1
	v_cndmask_b32_e64 v88, 0, v88, s[0:1]
	v_cmp_gt_i32_e64 s[0:1], s29, v100
	s_nop 1
	v_cndmask_b32_e64 v89, 0, v89, s[0:1]
; %bb.71:                               ;   in Loop: Header=BB242_43 Depth=1
	s_or_b64 exec, exec, s[14:15]
	global_load_dword v48, v[48:49], off offset:3584
	s_waitcnt vmcnt(0)
	v_and_b32_e32 v49, 0xffff, v48
	v_lshrrev_b32_e32 v92, 16, v48
	v_cvt_pk_f32_fp8_e32 v[48:49], v49
	v_cvt_pk_f32_fp8_e32 v[92:93], v92
	v_pk_mul_f32 v[94:95], s[6:7], v[48:49]
	v_pk_mul_f32 v[92:93], s[6:7], v[92:93]
	s_and_saveexec_b64 s[14:15], vcc
; %bb.72:                               ;   in Loop: Header=BB242_43 Depth=1
	v_cmp_gt_i32_e64 s[0:1], s29, v67
	s_nop 1
	v_cndmask_b32_e64 v94, 0, v94, s[0:1]
	v_cmp_gt_i32_e64 s[0:1], s29, v102
	s_nop 1
	v_cndmask_b32_e64 v95, 0, v95, s[0:1]
	;; [unrolled: 3-line block ×4, first 2 shown]
; %bb.73:                               ;   in Loop: Header=BB242_43 Depth=1
	s_or_b64 exec, exec, s[14:15]
	v_lshl_add_u64 v[42:43], v[42:43], 0, v[24:25]
	global_load_dword v42, v[42:43], off
	s_waitcnt vmcnt(0)
	v_and_b32_e32 v43, 0xffff, v42
	v_lshrrev_b32_e32 v48, 16, v42
	v_cvt_pk_f32_fp8_e32 v[42:43], v43
	v_cvt_pk_f32_fp8_e32 v[104:105], v48
	v_pk_mul_f32 v[48:49], s[6:7], v[42:43]
	v_pk_mul_f32 v[42:43], s[6:7], v[104:105]
	s_and_saveexec_b64 s[0:1], vcc
	s_cbranch_execz .LBB242_42
; %bb.74:                               ;   in Loop: Header=BB242_43 Depth=1
	v_cmp_gt_i32_e32 vcc, s29, v67
	s_nop 1
	v_cndmask_b32_e32 v48, 0, v48, vcc
	v_cmp_gt_i32_e32 vcc, s29, v102
	s_nop 1
	v_cndmask_b32_e32 v49, 0, v49, vcc
	;; [unrolled: 3-line block ×4, first 2 shown]
	s_branch .LBB242_42
.LBB242_75:
	s_or_b64 exec, exec, s[12:13]
.LBB242_76:
	s_or_b64 exec, exec, s[2:3]
	ds_bpermute_b32 v4, v97, v18
	ds_bpermute_b32 v5, v97, v19
	;; [unrolled: 1-line block ×6, first 2 shown]
	s_waitcnt lgkmcnt(4)
	v_pk_add_f32 v[4:5], v[18:19], v[4:5]
	ds_bpermute_b32 v18, v96, v4
	ds_bpermute_b32 v19, v96, v5
	s_waitcnt lgkmcnt(4)
	v_pk_add_f32 v[2:3], v[20:21], v[2:3]
	s_waitcnt lgkmcnt(2)
	v_pk_add_f32 v[16:17], v[16:17], v[22:23]
	ds_bpermute_b32 v20, v96, v2
	ds_bpermute_b32 v21, v96, v3
	s_waitcnt lgkmcnt(2)
	v_pk_add_f32 v[4:5], v[4:5], v[18:19]
	ds_bpermute_b32 v18, v96, v16
	ds_bpermute_b32 v19, v96, v17
	;; [unrolled: 1-line block ×3, first 2 shown]
	s_waitcnt lgkmcnt(3)
	v_pk_add_f32 v[2:3], v[2:3], v[20:21]
	ds_bpermute_b32 v20, v98, v2
	ds_bpermute_b32 v21, v98, v3
	s_waitcnt lgkmcnt(3)
	v_pk_add_f32 v[16:17], v[16:17], v[18:19]
	ds_bpermute_b32 v25, v97, v15
	ds_bpermute_b32 v18, v98, v16
	;; [unrolled: 1-line block ×5, first 2 shown]
	s_waitcnt lgkmcnt(4)
	v_pk_add_f32 v[24:25], v[14:15], v[24:25]
	v_pk_add_f32 v[14:15], v[2:3], v[20:21]
	s_waitcnt lgkmcnt(2)
	v_pk_add_f32 v[2:3], v[16:17], v[18:19]
	ds_bpermute_b32 v18, v97, v12
	ds_bpermute_b32 v19, v97, v13
	;; [unrolled: 1-line block ×4, first 2 shown]
	s_waitcnt lgkmcnt(4)
	v_pk_add_f32 v[4:5], v[4:5], v[22:23]
	ds_bpermute_b32 v22, v97, v10
	ds_bpermute_b32 v23, v97, v11
	s_waitcnt lgkmcnt(4)
	v_pk_add_f32 v[12:13], v[12:13], v[18:19]
	ds_bpermute_b32 v18, v96, v12
	ds_bpermute_b32 v19, v96, v13
	s_waitcnt lgkmcnt(4)
	v_pk_add_f32 v[16:17], v[24:25], v[26:27]
	s_waitcnt lgkmcnt(2)
	v_pk_add_f32 v[10:11], v[10:11], v[22:23]
	ds_bpermute_b32 v24, v97, v8
	ds_bpermute_b32 v25, v97, v9
	;; [unrolled: 1-line block ×4, first 2 shown]
	s_waitcnt lgkmcnt(4)
	v_pk_add_f32 v[18:19], v[12:13], v[18:19]
	ds_bpermute_b32 v12, v97, v6
	ds_bpermute_b32 v13, v97, v7
	s_waitcnt lgkmcnt(4)
	v_pk_add_f32 v[8:9], v[8:9], v[24:25]
	s_waitcnt lgkmcnt(2)
	v_pk_add_f32 v[22:23], v[10:11], v[22:23]
	ds_bpermute_b32 v10, v96, v8
	ds_bpermute_b32 v11, v96, v9
	s_waitcnt lgkmcnt(2)
	v_pk_add_f32 v[32:33], v[6:7], v[12:13]
	ds_bpermute_b32 v20, v98, v16
	ds_bpermute_b32 v21, v98, v17
	;; [unrolled: 1-line block ×6, first 2 shown]
	s_waitcnt lgkmcnt(6)
	v_pk_add_f32 v[28:29], v[8:9], v[10:11]
	ds_bpermute_b32 v24, v98, v22
	ds_bpermute_b32 v25, v98, v23
	;; [unrolled: 1-line block ×4, first 2 shown]
	s_waitcnt lgkmcnt(8)
	v_pk_add_f32 v[12:13], v[16:17], v[20:21]
	s_waitcnt lgkmcnt(6)
	v_pk_add_f32 v[16:17], v[32:33], v[34:35]
	;; [unrolled: 2-line block ×3, first 2 shown]
	ds_bpermute_b32 v18, v98, v16
	ds_bpermute_b32 v19, v98, v17
	v_and_b32_e32 v20, 0x3c7, v0
	s_waitcnt lgkmcnt(4)
	v_pk_add_f32 v[8:9], v[22:23], v[24:25]
	s_waitcnt lgkmcnt(2)
	v_pk_add_f32 v[6:7], v[28:29], v[30:31]
	v_cmp_ne_u32_e32 vcc, 64, v20
	s_waitcnt lgkmcnt(0)
	s_barrier
	s_and_saveexec_b64 s[0:1], vcc
	s_xor_b64 s[0:1], exec, s[0:1]
; %bb.77:
                                        ; implicit-def: $vgpr1
; %bb.78:
	s_or_saveexec_b64 s[0:1], s[0:1]
	v_pk_add_f32 v[16:17], v[16:17], v[18:19]
	s_xor_b64 exec, exec, s[0:1]
	s_cbranch_execz .LBB242_80
; %bb.79:
	v_lshrrev_b32_e32 v1, 1, v1
	v_add_u32_e32 v1, 0x210, v1
	ds_write2_b32 v1, v14, v15 offset1:8
	ds_write2_b32 v1, v4, v5 offset0:16 offset1:24
	ds_write2_b32 v1, v2, v3 offset0:32 offset1:40
	;; [unrolled: 1-line block ×7, first 2 shown]
.LBB242_80:
	s_or_b64 exec, exec, s[0:1]
	s_waitcnt lgkmcnt(0)
	s_barrier
	s_and_saveexec_b64 s[0:1], s[10:11]
	s_cbranch_execz .LBB242_99
; %bb.81:
	v_cmp_eq_u32_e32 vcc, 0, v99
	v_lshrrev_b32_e32 v1, 3, v0
	s_and_saveexec_b64 s[2:3], vcc
	s_cbranch_execnz .LBB242_102
; %bb.82:
	s_or_b64 exec, exec, s[2:3]
	s_and_saveexec_b64 s[2:3], vcc
	s_cbranch_execnz .LBB242_103
.LBB242_83:
	s_or_b64 exec, exec, s[2:3]
	s_and_saveexec_b64 s[2:3], vcc
	s_cbranch_execnz .LBB242_104
.LBB242_84:
	s_or_b64 exec, exec, s[2:3]
	s_and_saveexec_b64 s[2:3], vcc
	s_cbranch_execnz .LBB242_105
.LBB242_85:
	s_or_b64 exec, exec, s[2:3]
	s_and_saveexec_b64 s[2:3], vcc
	s_cbranch_execnz .LBB242_106
.LBB242_86:
	s_or_b64 exec, exec, s[2:3]
	s_and_saveexec_b64 s[2:3], vcc
	s_cbranch_execnz .LBB242_107
.LBB242_87:
	s_or_b64 exec, exec, s[2:3]
	s_and_saveexec_b64 s[2:3], vcc
	s_cbranch_execnz .LBB242_108
.LBB242_88:
	s_or_b64 exec, exec, s[2:3]
	s_and_saveexec_b64 s[2:3], vcc
	s_cbranch_execnz .LBB242_109
.LBB242_89:
	s_or_b64 exec, exec, s[2:3]
	s_and_saveexec_b64 s[2:3], vcc
	s_cbranch_execnz .LBB242_110
.LBB242_90:
	s_or_b64 exec, exec, s[2:3]
	s_and_saveexec_b64 s[2:3], vcc
	s_cbranch_execnz .LBB242_111
.LBB242_91:
	s_or_b64 exec, exec, s[2:3]
	s_and_saveexec_b64 s[2:3], vcc
	s_cbranch_execnz .LBB242_112
.LBB242_92:
	s_or_b64 exec, exec, s[2:3]
	s_and_saveexec_b64 s[2:3], vcc
	s_cbranch_execnz .LBB242_113
.LBB242_93:
	s_or_b64 exec, exec, s[2:3]
	s_and_saveexec_b64 s[2:3], vcc
	s_cbranch_execnz .LBB242_114
.LBB242_94:
	s_or_b64 exec, exec, s[2:3]
	s_and_saveexec_b64 s[2:3], vcc
	s_cbranch_execnz .LBB242_115
.LBB242_95:
	s_or_b64 exec, exec, s[2:3]
	s_and_saveexec_b64 s[2:3], vcc
	s_cbranch_execnz .LBB242_116
.LBB242_96:
	s_or_b64 exec, exec, s[2:3]
	s_and_saveexec_b64 s[2:3], vcc
	s_cbranch_execz .LBB242_98
.LBB242_97:
	v_mov_b32_e32 v18, 0x210
	v_lshl_add_u32 v1, v1, 2, v18
	ds_read_b32 v1, v1 offset:480
	s_waitcnt lgkmcnt(0)
	v_add_f32_e32 v17, v17, v1
.LBB242_98:
	s_or_b64 exec, exec, s[2:3]
.LBB242_99:
	s_or_b64 exec, exec, s[0:1]
	v_cmp_eq_u32_e32 vcc, 0, v20
	s_barrier
	s_and_saveexec_b64 s[0:1], vcc
	s_cbranch_execz .LBB242_101
; %bb.100:
	s_lshl_b32 s0, s8, 7
	s_ashr_i32 s1, s0, 31
	s_lshl_b64 s[0:1], s[0:1], 2
	s_add_u32 s2, s26, s0
	s_mul_i32 s0, s16, s24
	s_addc_u32 s3, s27, s1
	s_ashr_i32 s1, s0, 31
	s_lshl_b64 s[0:1], s[0:1], 2
	s_add_u32 s2, s2, s0
	s_addc_u32 s3, s3, s1
	s_lshl_b32 s0, s4, 7
	s_ashr_i32 s1, s0, 31
	s_lshl_b64 s[0:1], s[0:1], 2
	s_add_u32 s0, s2, s0
	s_addc_u32 s1, s3, s1
	v_lshrrev_b32_e32 v0, 1, v0
	global_store_dword v0, v14, s[0:1]
	global_store_dword v0, v15, s[0:1] offset:32
	global_store_dword v0, v4, s[0:1] offset:64
	;; [unrolled: 1-line block ×15, first 2 shown]
.LBB242_101:
	s_endpgm
.LBB242_102:
	v_mov_b32_e32 v18, 0x210
	v_lshl_add_u32 v18, v1, 2, v18
	ds_read_b32 v18, v18
	s_waitcnt lgkmcnt(0)
	v_add_f32_e32 v14, v14, v18
	s_or_b64 exec, exec, s[2:3]
	s_and_saveexec_b64 s[2:3], vcc
	s_cbranch_execz .LBB242_83
.LBB242_103:
	v_mov_b32_e32 v18, 0x210
	v_lshl_add_u32 v18, v1, 2, v18
	ds_read_b32 v18, v18 offset:32
	s_waitcnt lgkmcnt(0)
	v_add_f32_e32 v15, v15, v18
	s_or_b64 exec, exec, s[2:3]
	s_and_saveexec_b64 s[2:3], vcc
	s_cbranch_execz .LBB242_84
.LBB242_104:
	v_mov_b32_e32 v18, 0x210
	v_lshl_add_u32 v18, v1, 2, v18
	ds_read_b32 v18, v18 offset:64
	s_waitcnt lgkmcnt(0)
	v_add_f32_e32 v4, v4, v18
	s_or_b64 exec, exec, s[2:3]
	s_and_saveexec_b64 s[2:3], vcc
	s_cbranch_execz .LBB242_85
.LBB242_105:
	v_mov_b32_e32 v18, 0x210
	v_lshl_add_u32 v18, v1, 2, v18
	ds_read_b32 v18, v18 offset:96
	s_waitcnt lgkmcnt(0)
	v_add_f32_e32 v5, v5, v18
	s_or_b64 exec, exec, s[2:3]
	s_and_saveexec_b64 s[2:3], vcc
	s_cbranch_execz .LBB242_86
.LBB242_106:
	v_mov_b32_e32 v18, 0x210
	v_lshl_add_u32 v18, v1, 2, v18
	ds_read_b32 v18, v18 offset:128
	s_waitcnt lgkmcnt(0)
	v_add_f32_e32 v2, v2, v18
	s_or_b64 exec, exec, s[2:3]
	s_and_saveexec_b64 s[2:3], vcc
	s_cbranch_execz .LBB242_87
.LBB242_107:
	v_mov_b32_e32 v18, 0x210
	v_lshl_add_u32 v18, v1, 2, v18
	ds_read_b32 v18, v18 offset:160
	s_waitcnt lgkmcnt(0)
	v_add_f32_e32 v3, v3, v18
	s_or_b64 exec, exec, s[2:3]
	s_and_saveexec_b64 s[2:3], vcc
	s_cbranch_execz .LBB242_88
.LBB242_108:
	v_mov_b32_e32 v18, 0x210
	v_lshl_add_u32 v18, v1, 2, v18
	ds_read_b32 v18, v18 offset:192
	s_waitcnt lgkmcnt(0)
	v_add_f32_e32 v12, v12, v18
	s_or_b64 exec, exec, s[2:3]
	s_and_saveexec_b64 s[2:3], vcc
	s_cbranch_execz .LBB242_89
.LBB242_109:
	v_mov_b32_e32 v18, 0x210
	v_lshl_add_u32 v18, v1, 2, v18
	ds_read_b32 v18, v18 offset:224
	s_waitcnt lgkmcnt(0)
	v_add_f32_e32 v13, v13, v18
	s_or_b64 exec, exec, s[2:3]
	s_and_saveexec_b64 s[2:3], vcc
	s_cbranch_execz .LBB242_90
.LBB242_110:
	v_mov_b32_e32 v18, 0x210
	v_lshl_add_u32 v18, v1, 2, v18
	ds_read_b32 v18, v18 offset:256
	s_waitcnt lgkmcnt(0)
	v_add_f32_e32 v10, v10, v18
	s_or_b64 exec, exec, s[2:3]
	s_and_saveexec_b64 s[2:3], vcc
	s_cbranch_execz .LBB242_91
.LBB242_111:
	v_mov_b32_e32 v18, 0x210
	v_lshl_add_u32 v18, v1, 2, v18
	ds_read_b32 v18, v18 offset:288
	s_waitcnt lgkmcnt(0)
	v_add_f32_e32 v11, v11, v18
	s_or_b64 exec, exec, s[2:3]
	s_and_saveexec_b64 s[2:3], vcc
	s_cbranch_execz .LBB242_92
.LBB242_112:
	v_mov_b32_e32 v18, 0x210
	v_lshl_add_u32 v18, v1, 2, v18
	ds_read_b32 v18, v18 offset:320
	s_waitcnt lgkmcnt(0)
	v_add_f32_e32 v8, v8, v18
	s_or_b64 exec, exec, s[2:3]
	s_and_saveexec_b64 s[2:3], vcc
	s_cbranch_execz .LBB242_93
.LBB242_113:
	v_mov_b32_e32 v18, 0x210
	v_lshl_add_u32 v18, v1, 2, v18
	ds_read_b32 v18, v18 offset:352
	s_waitcnt lgkmcnt(0)
	v_add_f32_e32 v9, v9, v18
	s_or_b64 exec, exec, s[2:3]
	s_and_saveexec_b64 s[2:3], vcc
	s_cbranch_execz .LBB242_94
.LBB242_114:
	v_mov_b32_e32 v18, 0x210
	v_lshl_add_u32 v18, v1, 2, v18
	ds_read_b32 v18, v18 offset:384
	s_waitcnt lgkmcnt(0)
	v_add_f32_e32 v6, v6, v18
	s_or_b64 exec, exec, s[2:3]
	s_and_saveexec_b64 s[2:3], vcc
	s_cbranch_execz .LBB242_95
.LBB242_115:
	v_mov_b32_e32 v18, 0x210
	v_lshl_add_u32 v18, v1, 2, v18
	ds_read_b32 v18, v18 offset:416
	s_waitcnt lgkmcnt(0)
	v_add_f32_e32 v7, v7, v18
	s_or_b64 exec, exec, s[2:3]
	s_and_saveexec_b64 s[2:3], vcc
	s_cbranch_execz .LBB242_96
.LBB242_116:
	v_mov_b32_e32 v18, 0x210
	v_lshl_add_u32 v18, v1, 2, v18
	ds_read_b32 v18, v18 offset:448
	s_waitcnt lgkmcnt(0)
	v_add_f32_e32 v16, v16, v18
	s_or_b64 exec, exec, s[2:3]
	s_and_saveexec_b64 s[2:3], vcc
	s_cbranch_execnz .LBB242_97
	s_branch .LBB242_98
	.section	.rodata,"a",@progbits
	.p2align	6, 0x0
	.amdhsa_kernel _ZN4vllm25paged_attention_v2_kernelIfhLi128ELi32ELi128ELNS_18Fp8KVCacheDataTypeE1ELb0ELi512EEEvPfS2_PT_PKS3_PKT0_S9_ifPKiSB_iPKfiiiSD_SD_iiiii
		.amdhsa_group_segment_fixed_size 528
		.amdhsa_private_segment_fixed_size 0
		.amdhsa_kernarg_size 400
		.amdhsa_user_sgpr_count 2
		.amdhsa_user_sgpr_dispatch_ptr 0
		.amdhsa_user_sgpr_queue_ptr 0
		.amdhsa_user_sgpr_kernarg_segment_ptr 1
		.amdhsa_user_sgpr_dispatch_id 0
		.amdhsa_user_sgpr_kernarg_preload_length 0
		.amdhsa_user_sgpr_kernarg_preload_offset 0
		.amdhsa_user_sgpr_private_segment_size 0
		.amdhsa_uses_dynamic_stack 0
		.amdhsa_enable_private_segment 0
		.amdhsa_system_sgpr_workgroup_id_x 1
		.amdhsa_system_sgpr_workgroup_id_y 1
		.amdhsa_system_sgpr_workgroup_id_z 1
		.amdhsa_system_sgpr_workgroup_info 0
		.amdhsa_system_vgpr_workitem_id 0
		.amdhsa_next_free_vgpr 110
		.amdhsa_next_free_sgpr 48
		.amdhsa_accum_offset 112
		.amdhsa_reserve_vcc 1
		.amdhsa_float_round_mode_32 0
		.amdhsa_float_round_mode_16_64 0
		.amdhsa_float_denorm_mode_32 3
		.amdhsa_float_denorm_mode_16_64 3
		.amdhsa_dx10_clamp 1
		.amdhsa_ieee_mode 1
		.amdhsa_fp16_overflow 0
		.amdhsa_tg_split 0
		.amdhsa_exception_fp_ieee_invalid_op 0
		.amdhsa_exception_fp_denorm_src 0
		.amdhsa_exception_fp_ieee_div_zero 0
		.amdhsa_exception_fp_ieee_overflow 0
		.amdhsa_exception_fp_ieee_underflow 0
		.amdhsa_exception_fp_ieee_inexact 0
		.amdhsa_exception_int_div_zero 0
	.end_amdhsa_kernel
	.section	.text._ZN4vllm25paged_attention_v2_kernelIfhLi128ELi32ELi128ELNS_18Fp8KVCacheDataTypeE1ELb0ELi512EEEvPfS2_PT_PKS3_PKT0_S9_ifPKiSB_iPKfiiiSD_SD_iiiii,"axG",@progbits,_ZN4vllm25paged_attention_v2_kernelIfhLi128ELi32ELi128ELNS_18Fp8KVCacheDataTypeE1ELb0ELi512EEEvPfS2_PT_PKS3_PKT0_S9_ifPKiSB_iPKfiiiSD_SD_iiiii,comdat
.Lfunc_end242:
	.size	_ZN4vllm25paged_attention_v2_kernelIfhLi128ELi32ELi128ELNS_18Fp8KVCacheDataTypeE1ELb0ELi512EEEvPfS2_PT_PKS3_PKT0_S9_ifPKiSB_iPKfiiiSD_SD_iiiii, .Lfunc_end242-_ZN4vllm25paged_attention_v2_kernelIfhLi128ELi32ELi128ELNS_18Fp8KVCacheDataTypeE1ELb0ELi512EEEvPfS2_PT_PKS3_PKT0_S9_ifPKiSB_iPKfiiiSD_SD_iiiii
                                        ; -- End function
	.section	.AMDGPU.csdata,"",@progbits
; Kernel info:
; codeLenInByte = 8412
; NumSgprs: 54
; NumVgprs: 110
; NumAgprs: 0
; TotalNumVgprs: 110
; ScratchSize: 0
; MemoryBound: 0
; FloatMode: 240
; IeeeMode: 1
; LDSByteSize: 528 bytes/workgroup (compile time only)
; SGPRBlocks: 6
; VGPRBlocks: 13
; NumSGPRsForWavesPerEU: 54
; NumVGPRsForWavesPerEU: 110
; AccumOffset: 112
; Occupancy: 4
; WaveLimiterHint : 1
; COMPUTE_PGM_RSRC2:SCRATCH_EN: 0
; COMPUTE_PGM_RSRC2:USER_SGPR: 2
; COMPUTE_PGM_RSRC2:TRAP_HANDLER: 0
; COMPUTE_PGM_RSRC2:TGID_X_EN: 1
; COMPUTE_PGM_RSRC2:TGID_Y_EN: 1
; COMPUTE_PGM_RSRC2:TGID_Z_EN: 1
; COMPUTE_PGM_RSRC2:TIDIG_COMP_CNT: 0
; COMPUTE_PGM_RSRC3_GFX90A:ACCUM_OFFSET: 27
; COMPUTE_PGM_RSRC3_GFX90A:TG_SPLIT: 0
	.section	.text._ZN4vllm25paged_attention_v2_kernelIfhLi192ELi32ELi128ELNS_18Fp8KVCacheDataTypeE1ELb0ELi512EEEvPfS2_PT_PKS3_PKT0_S9_ifPKiSB_iPKfiiiSD_SD_iiiii,"axG",@progbits,_ZN4vllm25paged_attention_v2_kernelIfhLi192ELi32ELi128ELNS_18Fp8KVCacheDataTypeE1ELb0ELi512EEEvPfS2_PT_PKS3_PKT0_S9_ifPKiSB_iPKfiiiSD_SD_iiiii,comdat
	.protected	_ZN4vllm25paged_attention_v2_kernelIfhLi192ELi32ELi128ELNS_18Fp8KVCacheDataTypeE1ELb0ELi512EEEvPfS2_PT_PKS3_PKT0_S9_ifPKiSB_iPKfiiiSD_SD_iiiii ; -- Begin function _ZN4vllm25paged_attention_v2_kernelIfhLi192ELi32ELi128ELNS_18Fp8KVCacheDataTypeE1ELb0ELi512EEEvPfS2_PT_PKS3_PKT0_S9_ifPKiSB_iPKfiiiSD_SD_iiiii
	.globl	_ZN4vllm25paged_attention_v2_kernelIfhLi192ELi32ELi128ELNS_18Fp8KVCacheDataTypeE1ELb0ELi512EEEvPfS2_PT_PKS3_PKT0_S9_ifPKiSB_iPKfiiiSD_SD_iiiii
	.p2align	8
	.type	_ZN4vllm25paged_attention_v2_kernelIfhLi192ELi32ELi128ELNS_18Fp8KVCacheDataTypeE1ELb0ELi512EEEvPfS2_PT_PKS3_PKT0_S9_ifPKiSB_iPKfiiiSD_SD_iiiii,@function
_ZN4vllm25paged_attention_v2_kernelIfhLi192ELi32ELi128ELNS_18Fp8KVCacheDataTypeE1ELb0ELi512EEEvPfS2_PT_PKS3_PKT0_S9_ifPKiSB_iPKfiiiSD_SD_iiiii: ; @_ZN4vllm25paged_attention_v2_kernelIfhLi192ELi32ELi128ELNS_18Fp8KVCacheDataTypeE1ELb0ELi512EEEvPfS2_PT_PKS3_PKT0_S9_ifPKiSB_iPKfiiiSD_SD_iiiii
; %bb.0:
	s_load_dwordx2 s[6:7], s[0:1], 0x40
	s_mov_b32 s28, s3
	s_ashr_i32 s29, s3, 31
	s_lshl_b64 s[8:9], s[28:29], 2
	s_waitcnt lgkmcnt(0)
	s_add_u32 s6, s6, s8
	s_addc_u32 s7, s7, s9
	s_load_dword s29, s[6:7], 0x0
	s_lshl_b32 s50, s4, 9
	s_waitcnt lgkmcnt(0)
	s_cmp_ge_i32 s50, s29
	s_cbranch_scc1 .LBB243_125
; %bb.1:
	s_load_dword s5, s[0:1], 0x90
	s_load_dwordx2 s[10:11], s[0:1], 0x30
	v_mov_b32_e32 v42, v0
	s_waitcnt lgkmcnt(0)
	s_abs_i32 s7, s5
	s_abs_i32 s3, s10
	v_cvt_f32_u32_e32 v0, s3
	s_sub_i32 s8, 0, s3
	s_xor_b32 s6, s5, s10
	s_ashr_i32 s6, s6, 31
	v_rcp_iflag_f32_e32 v0, v0
	s_nop 0
	v_mul_f32_e32 v0, 0x4f7ffffe, v0
	v_cvt_u32_f32_e32 v0, v0
	s_nop 0
	v_readfirstlane_b32 s9, v0
	s_mul_i32 s8, s8, s9
	s_mul_hi_u32 s8, s9, s8
	s_add_i32 s9, s9, s8
	s_mul_hi_u32 s8, s7, s9
	s_mul_i32 s9, s8, s3
	s_sub_i32 s7, s7, s9
	s_add_i32 s10, s8, 1
	s_sub_i32 s9, s7, s3
	s_cmp_ge_u32 s7, s3
	s_cselect_b32 s8, s10, s8
	s_cselect_b32 s7, s9, s7
	s_add_i32 s9, s8, 1
	s_cmp_ge_u32 s7, s3
	s_cselect_b32 s3, s9, s8
	s_xor_b32 s3, s3, s6
	s_sub_i32 s12, s3, s6
	s_abs_i32 s8, s12
	v_cvt_f32_u32_e32 v0, s8
	s_load_dwordx2 s[6:7], s[0:1], 0x50
	s_sub_i32 s3, 0, s8
	s_abs_i32 s9, s2
	v_rcp_iflag_f32_e32 v0, v0
	s_mov_b32 s10, 0
	v_mul_f32_e32 v0, 0x4f7ffffe, v0
	v_cvt_u32_f32_e32 v0, v0
	s_nop 0
	v_readfirstlane_b32 s13, v0
	s_mul_i32 s3, s3, s13
	s_mul_hi_u32 s3, s13, s3
	s_add_i32 s13, s13, s3
	s_waitcnt lgkmcnt(0)
	s_cmp_eq_u64 s[6:7], 0
	s_mul_hi_u32 s16, s9, s13
	s_cbranch_scc1 .LBB243_3
; %bb.2:
	s_ashr_i32 s3, s2, 31
	s_lshl_b64 s[14:15], s[2:3], 2
	s_add_u32 s6, s6, s14
	s_addc_u32 s7, s7, s15
	s_load_dword s10, s[6:7], 0x0
.LBB243_3:
	s_ashr_i32 s18, s12, 31
	s_load_dwordx4 s[12:15], s[0:1], 0x58
	s_movk_i32 s3, 0x60
	s_ashr_i32 s17, s2, 31
	v_and_b32_e32 v0, 1, v42
	s_mul_i32 s24, s2, 0xc0
	v_cmp_gt_u32_e32 vcc, s3, v42
	v_lshlrev_b32_e32 v30, 2, v42
	s_and_saveexec_b64 s[6:7], vcc
	s_cbranch_execz .LBB243_5
; %bb.4:
	s_load_dwordx2 s[20:21], s[0:1], 0x18
	s_waitcnt lgkmcnt(0)
	s_mul_i32 s22, s28, s12
	s_ashr_i32 s23, s22, 31
	s_lshl_b64 s[22:23], s[22:23], 2
	v_lshlrev_b32_e32 v1, 3, v42
	s_add_u32 s3, s20, s22
	s_addc_u32 s12, s21, s23
	s_ashr_i32 s25, s24, 31
	s_lshl_b64 s[20:21], s[24:25], 2
	s_add_u32 s20, s3, s20
	s_addc_u32 s21, s12, s21
	global_load_dwordx2 v[2:3], v1, s[20:21]
	v_and_b32_e32 v1, 0xff8, v30
	s_movk_i32 s3, 0x180
	v_mad_u32_u24 v1, v0, s3, v1
	s_waitcnt vmcnt(0)
	ds_write_b64 v1, v[2:3]
.LBB243_5:
	s_or_b64 exec, exec, s[6:7]
	s_add_i32 s3, s29, 31
	s_ashr_i32 s6, s3, 31
	s_lshr_b32 s6, s6, 27
	s_add_i32 s3, s3, s6
	s_waitcnt lgkmcnt(0)
	s_ashr_i32 s12, s3, 5
	s_lshl_b32 s3, s4, 4
	s_mul_i32 s7, s16, s8
	s_add_i32 s6, s3, 16
	s_sub_i32 s7, s9, s7
	s_min_i32 s33, s6, s12
	s_xor_b32 s6, s17, s18
	s_add_i32 s9, s16, 1
	s_sub_i32 s15, s7, s8
	s_cmp_ge_u32 s7, s8
	s_cselect_b32 s9, s9, s16
	s_cselect_b32 s7, s15, s7
	s_add_i32 s15, s9, 1
	s_cmp_ge_u32 s7, s8
	s_load_dwordx2 s[30:31], s[0:1], 0x38
	s_load_dword s8, s[0:1], 0x48
	v_lshrrev_b32_e32 v109, 6, v42
	s_cselect_b32 s7, s15, s9
	s_xor_b32 s7, s7, s6
	v_or_b32_e32 v74, s3, v109
	s_waitcnt lgkmcnt(0)
	s_mul_i32 s34, s28, s8
	s_sub_i32 s51, s7, s6
	s_ashr_i32 s35, s34, 31
	v_cmp_gt_i32_e64 s[8:9], s33, v74
	v_cmp_le_i32_e32 vcc, s33, v74
	v_mbcnt_lo_u32_b32 v1, -1, 0
	s_barrier
	s_waitcnt lgkmcnt(0)
                                        ; implicit-def: $sgpr15
                                        ; implicit-def: $vgpr98
                                        ; implicit-def: $vgpr99
	s_and_saveexec_b64 s[6:7], vcc
	s_xor_b64 s[6:7], exec, s[6:7]
; %bb.6:
	v_mbcnt_hi_u32_b32 v98, -1, v1
	v_and_b32_e32 v0, 64, v98
	v_add_u32_e32 v99, 64, v0
	s_mov_b32 s15, 0xff7fffff
                                        ; implicit-def: $vgpr0
                                        ; implicit-def: $vgpr1
; %bb.7:
	s_or_saveexec_b64 s[38:39], s[6:7]
	s_load_dwordx4 s[20:23], s[0:1], 0x0
	s_load_dwordx2 s[26:27], s[0:1], 0x10
	s_load_dword s25, s[0:1], 0x98
	s_load_dwordx2 s[36:37], s[0:1], 0x28
	s_load_dwordx4 s[16:19], s[0:1], 0x68
	v_mov_b32_e32 v110, s15
	s_mul_i32 s51, s51, s14
	v_ashrrev_i32_e32 v75, 31, v74
	scratch_store_dword off, v42, off offset:112 ; 4-byte Folded Spill
	s_xor_b64 exec, exec, s[38:39]
	s_cbranch_execz .LBB243_13
; %bb.8:
	s_load_dwordx2 s[0:1], s[0:1], 0x20
	v_mbcnt_hi_u32_b32 v98, -1, v1
	s_ashr_i32 s6, s51, 31
	v_and_b32_e32 v43, 64, v98
	scratch_store_dword off, v30, off       ; 4-byte Folded Spill
	v_bfe_u32 v42, v42, 1, 5
	s_waitcnt lgkmcnt(0)
	s_add_u32 s0, s0, s51
	v_mul_u32_u24_e32 v94, 0x180, v0
	v_xor_b32_e32 v1, 1, v98
	v_add_u32_e32 v99, 64, v43
	v_lshlrev_b32_e32 v100, 4, v42
	s_addc_u32 s1, s1, s6
	v_mov_b32_e32 v101, 0
	ds_read_b128 v[2:5], v94
	ds_read_b128 v[6:9], v94 offset:16
	ds_read_b128 v[10:13], v94 offset:32
	;; [unrolled: 1-line block ×9, first 2 shown]
	v_cmp_lt_i32_e32 vcc, v1, v99
	v_lshl_add_u64 v[102:103], s[0:1], 0, v[100:101]
	v_lshlrev_b32_e32 v100, 1, v0
	v_cndmask_b32_e32 v1, v98, v1, vcc
	v_cmp_eq_u32_e32 vcc, 0, v0
	s_sub_i32 s53, 1, s29
	v_lshlrev_b32_e32 v0, 5, v109
	s_lshl_b64 s[0:1], s[34:35], 2
	s_load_dword s14, s[16:17], 0x0
	v_add3_u32 v112, s50, v0, v42
	v_lshlrev_b32_e32 v0, 2, v42
	s_add_u32 s0, s30, s0
	ds_read_b128 v[42:45], v94 offset:160
	ds_read_b128 v[46:49], v94 offset:176
	;; [unrolled: 1-line block ×8, first 2 shown]
	v_lshl_or_b32 v0, v109, 7, v0
	s_addc_u32 s1, s31, s1
	v_lshlrev_b32_e32 v111, 2, v1
	v_add_u32_e32 v113, 0x310, v0
	v_lshl_add_u64 v[104:105], v[74:75], 2, s[0:1]
	v_mov_b64_e32 v[0:1], v[74:75]
	ds_read_b128 v[74:77], v94 offset:288
	ds_read_b128 v[78:81], v94 offset:304
	;; [unrolled: 1-line block ×6, first 2 shown]
	s_mov_b32 s52, s13
	v_cmp_neq_f32_e64 s[6:7], s10, 0
	s_waitcnt lgkmcnt(0)
	s_mov_b32 s15, s14
	s_mov_b64 s[16:17], 0
	v_mov_b32_e32 v110, 0xff7fffff
	s_mov_b64 s[40:41], 0x1000
	s_movk_i32 s54, 0x1000
	s_mov_b64 s[42:43], 0x1200
	s_mov_b64 s[44:45], 0x1400
	;; [unrolled: 1-line block ×3, first 2 shown]
	v_mov_b32_e32 v114, v0
	scratch_store_dwordx2 off, v[0:1], off offset:16 ; 8-byte Folded Spill
	s_branch .LBB243_10
.LBB243_9:                              ;   in Loop: Header=BB243_10 Depth=1
	s_or_b64 exec, exec, s[48:49]
	v_add_u32_e32 v114, 2, v114
	v_cmp_le_i32_e64 s[0:1], s33, v114
	v_add_u32_e32 v112, 64, v112
	v_add_u32_e32 v113, 0x100, v113
	s_or_b64 s[16:17], s[0:1], s[16:17]
	v_lshl_add_u64 v[104:105], v[104:105], 0, 8
	s_andn2_b64 exec, exec, s[16:17]
	s_cbranch_execz .LBB243_12
.LBB243_10:                             ; =>This Inner Loop Header: Depth=1
	global_load_dword v0, v[104:105], off
	s_waitcnt vmcnt(0) lgkmcnt(0)
	v_mad_i64_i32 v[0:1], s[0:1], v0, s52, v[102:103]
	v_lshl_add_u64 v[106:107], v[0:1], 0, v[100:101]
	global_load_ushort v0, v[106:107], off offset:4
	global_load_ushort v117, v[106:107], off
	global_load_ushort v118, v[106:107], off offset:8
	global_load_ushort v119, v[106:107], off offset:12
	global_load_ushort v120, v[106:107], off offset:512
	global_load_ushort v121, v[106:107], off offset:516
	global_load_ushort v122, v[106:107], off offset:520
	global_load_ushort v123, v[106:107], off offset:524
	global_load_ushort v124, v[106:107], off offset:1024
	global_load_ushort v125, v[106:107], off offset:1028
	global_load_ushort v126, v[106:107], off offset:1036
	s_waitcnt vmcnt(10)
	v_cvt_pk_f32_fp8_e32 v[0:1], v0
	v_pk_mul_f32 v[0:1], s[14:15], v[0:1]
	s_nop 0
	v_mul_f32_e32 v115, v4, v0
	v_mul_f32_e32 v116, v5, v1
	s_waitcnt vmcnt(9)
	v_cvt_pk_f32_fp8_e32 v[0:1], v117
	global_load_ushort v117, v[106:107], off offset:1032
	v_pk_mul_f32 v[0:1], s[14:15], v[0:1]
	s_nop 0
	v_fmac_f32_e32 v115, v2, v0
	v_fmac_f32_e32 v116, v3, v1
	s_waitcnt vmcnt(9)
	v_cvt_pk_f32_fp8_e32 v[0:1], v118
	v_pk_mul_f32 v[0:1], s[14:15], v[0:1]
	s_nop 0
	v_fmac_f32_e32 v115, v6, v0
	v_fmac_f32_e32 v116, v7, v1
	s_waitcnt vmcnt(8)
	v_cvt_pk_f32_fp8_e32 v[0:1], v119
	s_waitcnt vmcnt(5)
	v_cvt_pk_f32_fp8_e32 v[118:119], v122
	v_pk_mul_f32 v[0:1], s[14:15], v[0:1]
	s_nop 0
	v_fmac_f32_e32 v115, v8, v0
	v_fmac_f32_e32 v116, v9, v1
	v_cvt_pk_f32_fp8_e32 v[0:1], v120
	global_load_ushort v120, v[106:107], off offset:1536
	v_pk_mul_f32 v[0:1], s[14:15], v[0:1]
	s_nop 0
	v_fmac_f32_e32 v115, v10, v0
	v_fmac_f32_e32 v116, v11, v1
	v_cvt_pk_f32_fp8_e32 v[0:1], v121
	global_load_ushort v121, v[106:107], off offset:1540
	global_load_ushort v122, v[106:107], off offset:1544
	;; [unrolled: 1-line block ×3, first 2 shown]
	v_pk_mul_f32 v[0:1], s[14:15], v[0:1]
	s_nop 0
	v_fmac_f32_e32 v115, v12, v0
	v_fmac_f32_e32 v116, v13, v1
	v_pk_mul_f32 v[0:1], s[14:15], v[118:119]
	s_waitcnt vmcnt(1)
	v_cvt_pk_f32_fp8_e32 v[118:119], v122
	v_fmac_f32_e32 v115, v14, v0
	v_fmac_f32_e32 v116, v15, v1
	v_cvt_pk_f32_fp8_e32 v[0:1], v123
	global_load_ushort v123, v[106:107], off offset:1548
	v_pk_mul_f32 v[118:119], s[14:15], v[118:119]
	v_pk_mul_f32 v[0:1], s[14:15], v[0:1]
	s_nop 0
	v_fmac_f32_e32 v115, v16, v0
	v_fmac_f32_e32 v116, v17, v1
	v_cvt_pk_f32_fp8_e32 v[0:1], v124
	global_load_ushort v124, v[106:107], off offset:2052
	v_pk_mul_f32 v[0:1], s[14:15], v[0:1]
	s_nop 0
	v_fmac_f32_e32 v115, v18, v0
	v_fmac_f32_e32 v116, v19, v1
	v_cvt_pk_f32_fp8_e32 v[0:1], v125
	global_load_ushort v125, v[106:107], off offset:2056
	;; [unrolled: 6-line block ×6, first 2 shown]
	v_pk_mul_f32 v[0:1], s[14:15], v[0:1]
	s_nop 0
	v_fmac_f32_e32 v115, v28, v0
	v_fmac_f32_e32 v116, v29, v1
	;; [unrolled: 1-line block ×4, first 2 shown]
	s_waitcnt vmcnt(7)
	v_cvt_pk_f32_fp8_e32 v[118:119], v127
	s_waitcnt vmcnt(6)
	v_cvt_pk_f32_fp8_e32 v[0:1], v123
	global_load_ushort v122, v[106:107], off offset:2572
	global_load_ushort v123, v[106:107], off offset:3072
	;; [unrolled: 1-line block ×3, first 2 shown]
	v_pk_mul_f32 v[0:1], s[14:15], v[0:1]
	s_nop 0
	v_fmac_f32_e32 v115, v32, v0
	v_fmac_f32_e32 v116, v33, v1
	v_pk_mul_f32 v[0:1], s[14:15], v[118:119]
	s_waitcnt vmcnt(2)
	v_cvt_pk_f32_fp8_e32 v[118:119], v122
	v_fmac_f32_e32 v115, v34, v0
	v_fmac_f32_e32 v116, v35, v1
	v_cvt_pk_f32_fp8_e32 v[0:1], v124
	global_load_ushort v124, v[106:107], off offset:3076
	v_pk_mul_f32 v[118:119], s[14:15], v[118:119]
	global_load_ushort v122, v[106:107], off offset:3592
	v_pk_mul_f32 v[0:1], s[14:15], v[0:1]
	s_nop 0
	v_fmac_f32_e32 v115, v36, v0
	v_fmac_f32_e32 v116, v37, v1
	v_cvt_pk_f32_fp8_e32 v[0:1], v125
	global_load_ushort v125, v[106:107], off offset:3080
	v_pk_mul_f32 v[0:1], s[14:15], v[0:1]
	s_nop 0
	v_fmac_f32_e32 v115, v38, v0
	v_fmac_f32_e32 v116, v39, v1
	v_cvt_pk_f32_fp8_e32 v[0:1], v117
	;; [unrolled: 6-line block ×4, first 2 shown]
	v_pk_mul_f32 v[0:1], s[14:15], v[0:1]
	s_nop 0
	v_fmac_f32_e32 v115, v44, v0
	v_fmac_f32_e32 v116, v45, v1
	v_cvt_pk_f32_fp8_e32 v[0:1], v121
	s_waitcnt vmcnt(5)
	v_cvt_pk_f32_fp8_e32 v[120:121], v127
	v_pk_mul_f32 v[0:1], s[14:15], v[0:1]
	s_nop 0
	v_fmac_f32_e32 v115, v46, v0
	v_fmac_f32_e32 v116, v47, v1
	v_cvt_pk_f32_fp8_e32 v[0:1], v123
	global_load_ushort v123, v[106:107], off offset:3596
	v_fmac_f32_e32 v115, v48, v118
	v_fmac_f32_e32 v116, v49, v119
	v_pk_mul_f32 v[0:1], s[14:15], v[0:1]
	v_pk_mul_f32 v[120:121], s[14:15], v[120:121]
	v_fmac_f32_e32 v115, v50, v0
	v_fmac_f32_e32 v116, v51, v1
	s_waitcnt vmcnt(5)
	v_cvt_pk_f32_fp8_e32 v[118:119], v124
	v_pk_mul_f32 v[118:119], s[14:15], v[118:119]
	s_nop 0
	v_fmac_f32_e32 v115, v52, v118
	v_fmac_f32_e32 v116, v53, v119
	v_lshl_add_u64 v[118:119], v[106:107], 0, s[40:41]
	s_waitcnt vmcnt(3)
	v_cvt_pk_f32_fp8_e32 v[0:1], v125
	v_pk_mul_f32 v[0:1], s[14:15], v[0:1]
	s_nop 0
	v_fmac_f32_e32 v115, v54, v0
	v_add_co_u32_e64 v0, s[0:1], s54, v106
	v_fmac_f32_e32 v116, v55, v1
	s_nop 0
	v_addc_co_u32_e64 v1, s[0:1], 0, v107, s[0:1]
	v_fmac_f32_e32 v115, v56, v120
	v_fmac_f32_e32 v116, v57, v121
	s_waitcnt vmcnt(2)
	v_cvt_pk_f32_fp8_e32 v[120:121], v117
	global_load_ushort v117, v[0:1], off
	global_load_ushort v124, v[118:119], off offset:4
	global_load_ushort v125, v[118:119], off offset:8
	global_load_ushort v127, v[118:119], off offset:12
	s_waitcnt vmcnt(5)
	v_cvt_pk_f32_fp8_e32 v[118:119], v126
	global_load_ushort v126, v[0:1], off offset:512
	v_pk_mul_f32 v[120:121], s[14:15], v[120:121]
	v_pk_mul_f32 v[118:119], s[14:15], v[118:119]
	v_fmac_f32_e32 v115, v58, v120
	v_fmac_f32_e32 v116, v59, v121
	;; [unrolled: 1-line block ×4, first 2 shown]
	v_cvt_pk_f32_fp8_e32 v[118:119], v122
	v_pk_mul_f32 v[118:119], s[14:15], v[118:119]
	s_nop 0
	v_fmac_f32_e32 v115, v62, v118
	v_fmac_f32_e32 v116, v63, v119
	s_waitcnt vmcnt(5)
	v_cvt_pk_f32_fp8_e32 v[118:119], v123
	v_pk_mul_f32 v[118:119], s[14:15], v[118:119]
	s_nop 0
	v_fmac_f32_e32 v115, v64, v118
	v_fmac_f32_e32 v116, v65, v119
	s_waitcnt vmcnt(3)
	v_cvt_pk_f32_fp8_e32 v[118:119], v124
	v_cvt_pk_f32_fp8_e32 v[120:121], v117
	v_pk_mul_f32 v[118:119], s[14:15], v[118:119]
	v_pk_mul_f32 v[120:121], s[14:15], v[120:121]
	s_nop 0
	v_fmac_f32_e32 v115, v66, v120
	v_fmac_f32_e32 v116, v67, v121
	v_lshl_add_u64 v[120:121], v[106:107], 0, s[42:43]
	global_load_ushort v117, v[120:121], off offset:4
	v_fmac_f32_e32 v115, v68, v118
	v_fmac_f32_e32 v116, v69, v119
	s_waitcnt vmcnt(3)
	v_cvt_pk_f32_fp8_e32 v[118:119], v125
	global_load_ushort v122, v[120:121], off offset:8
	global_load_ushort v123, v[120:121], off offset:12
	s_waitcnt vmcnt(4)
	v_cvt_pk_f32_fp8_e32 v[120:121], v127
	v_pk_mul_f32 v[118:119], s[14:15], v[118:119]
	s_nop 0
	v_fmac_f32_e32 v115, v70, v118
	v_fmac_f32_e32 v116, v71, v119
	v_lshl_add_u64 v[118:119], v[106:107], 0, s[44:45]
	v_pk_mul_f32 v[120:121], s[14:15], v[120:121]
	v_lshl_add_u64 v[106:107], v[106:107], 0, s[46:47]
	v_fmac_f32_e32 v115, v72, v120
	v_fmac_f32_e32 v116, v73, v121
	global_load_ushort v120, v[118:119], off offset:4
	global_load_ushort v121, v[118:119], off offset:8
	;; [unrolled: 1-line block ×3, first 2 shown]
	s_nop 0
	global_load_ushort v118, v[0:1], off offset:1024
	global_load_ushort v125, v[0:1], off offset:1536
	s_waitcnt vmcnt(8)
	v_cvt_pk_f32_fp8_e32 v[0:1], v126
	global_load_ushort v126, v[106:107], off offset:4
	global_load_ushort v127, v[106:107], off offset:8
	;; [unrolled: 1-line block ×3, first 2 shown]
	v_pk_mul_f32 v[0:1], s[14:15], v[0:1]
	s_nop 0
	v_fmac_f32_e32 v115, v74, v0
	v_fmac_f32_e32 v116, v75, v1
	s_waitcnt vmcnt(10)
	v_cvt_pk_f32_fp8_e32 v[0:1], v117
	v_pk_mul_f32 v[0:1], s[14:15], v[0:1]
	s_nop 0
	v_fmac_f32_e32 v115, v76, v0
	v_fmac_f32_e32 v116, v77, v1
	s_waitcnt vmcnt(9)
	v_cvt_pk_f32_fp8_e32 v[0:1], v122
	s_waitcnt vmcnt(8)
	v_cvt_pk_f32_fp8_e32 v[106:107], v123
	v_pk_mul_f32 v[0:1], s[14:15], v[0:1]
	s_nop 0
	v_fmac_f32_e32 v115, v78, v0
	v_fmac_f32_e32 v116, v79, v1
	s_waitcnt vmcnt(4)
	v_cvt_pk_f32_fp8_e32 v[0:1], v118
	v_pk_mul_f32 v[106:107], s[14:15], v[106:107]
	v_cvt_pk_f32_fp8_e32 v[118:119], v120
	v_fmac_f32_e32 v115, v80, v106
	v_fmac_f32_e32 v116, v81, v107
	v_cvt_pk_f32_fp8_e32 v[106:107], v121
	v_cvt_pk_f32_fp8_e32 v[120:121], v124
	v_pk_mul_f32 v[0:1], s[14:15], v[0:1]
	v_pk_mul_f32 v[118:119], s[14:15], v[118:119]
	v_fmac_f32_e32 v115, v82, v0
	v_fmac_f32_e32 v116, v83, v1
	s_waitcnt vmcnt(3)
	v_cvt_pk_f32_fp8_e32 v[0:1], v125
	s_waitcnt vmcnt(2)
	v_cvt_pk_f32_fp8_e32 v[122:123], v126
	v_pk_mul_f32 v[106:107], s[14:15], v[106:107]
	v_fmac_f32_e32 v115, v84, v118
	v_fmac_f32_e32 v116, v85, v119
	s_waitcnt vmcnt(1)
	v_cvt_pk_f32_fp8_e32 v[118:119], v127
	v_pk_mul_f32 v[120:121], s[14:15], v[120:121]
	s_waitcnt vmcnt(0)
	v_cvt_pk_f32_fp8_e32 v[124:125], v108
	v_fmac_f32_e32 v115, v86, v106
	v_fmac_f32_e32 v116, v87, v107
	v_pk_mul_f32 v[0:1], s[14:15], v[0:1]
	v_fmac_f32_e32 v115, v88, v120
	v_fmac_f32_e32 v116, v89, v121
	v_pk_mul_f32 v[122:123], s[14:15], v[122:123]
	;; [unrolled: 3-line block ×4, first 2 shown]
	v_fmac_f32_e32 v115, v94, v118
	v_fmac_f32_e32 v116, v95, v119
	;; [unrolled: 1-line block ×4, first 2 shown]
	v_add_f32_e32 v0, v115, v116
	ds_bpermute_b32 v1, v111, v0
	s_and_saveexec_b64 s[48:49], vcc
	s_cbranch_execz .LBB243_9
; %bb.11:                               ;   in Loop: Header=BB243_10 Depth=1
	v_add_u32_e32 v106, s53, v112
	v_cvt_f32_i32_e32 v106, v106
	s_waitcnt lgkmcnt(0)
	v_add_f32_e32 v0, v0, v1
	v_cmp_gt_i32_e64 s[0:1], s29, v112
	v_max_f32_e32 v1, v110, v110
	v_mul_f32_e32 v106, s10, v106
	v_cndmask_b32_e64 v106, 0, v106, s[6:7]
	v_fmac_f32_e32 v106, s11, v0
	v_cndmask_b32_e64 v0, 0, v106, s[0:1]
	ds_write_b32 v113, v0
	v_max_f32_e32 v0, v1, v106
	v_cndmask_b32_e64 v110, v110, v0, s[0:1]
	s_branch .LBB243_9
.LBB243_12:
	s_or_b64 exec, exec, s[16:17]
	scratch_load_dword v42, off, off offset:112 ; 4-byte Folded Reload
	scratch_load_dwordx2 v[74:75], off, off offset:16 ; 8-byte Folded Reload
	scratch_load_dword v30, off, off        ; 4-byte Folded Reload
.LBB243_13:
	s_or_b64 exec, exec, s[38:39]
	v_xor_b32_e32 v0, 32, v98
	v_cmp_lt_i32_e32 vcc, v0, v99
	v_xor_b32_e32 v3, 16, v98
	v_max_f32_e32 v2, v110, v110
	v_cndmask_b32_e32 v0, v98, v0, vcc
	v_lshlrev_b32_e32 v0, 2, v0
	s_waitcnt lgkmcnt(0)
	ds_bpermute_b32 v1, v0, v110
	v_cmp_lt_i32_e32 vcc, v3, v99
	v_xor_b32_e32 v4, 8, v98
	v_xor_b32_e32 v5, 4, v98
	s_waitcnt vmcnt(2)
	v_and_b32_e32 v43, 63, v42
	s_waitcnt lgkmcnt(0)
	v_max_f32_e32 v1, v1, v1
	v_max_f32_e32 v2, v2, v1
	v_cndmask_b32_e32 v1, v98, v3, vcc
	v_lshlrev_b32_e32 v1, 2, v1
	ds_bpermute_b32 v3, v1, v2
	v_cmp_lt_i32_e32 vcc, v4, v99
	s_waitcnt lgkmcnt(0)
	v_max_f32_e32 v3, v3, v3
	v_max_f32_e32 v2, v2, v3
	v_cndmask_b32_e32 v3, v98, v4, vcc
	v_lshlrev_b32_e32 v3, 2, v3
	ds_bpermute_b32 v4, v3, v2
	v_cmp_lt_i32_e32 vcc, v5, v99
	s_waitcnt lgkmcnt(0)
	v_max_f32_e32 v4, v4, v4
	v_max_f32_e32 v2, v2, v4
	v_cndmask_b32_e32 v4, v98, v5, vcc
	v_lshlrev_b32_e32 v45, 2, v4
	ds_bpermute_b32 v4, v45, v2
	v_xor_b32_e32 v5, 2, v98
	v_cmp_lt_i32_e32 vcc, v5, v99
	s_waitcnt lgkmcnt(0)
	v_max_f32_e32 v4, v4, v4
	v_max_f32_e32 v2, v2, v4
	v_cndmask_b32_e32 v4, v98, v5, vcc
	v_lshlrev_b32_e32 v44, 2, v4
	ds_bpermute_b32 v5, v44, v2
	v_cmp_eq_u32_e32 vcc, 0, v43
	v_lshlrev_b32_e32 v4, 2, v109
	s_and_saveexec_b64 s[0:1], vcc
	s_cbranch_execz .LBB243_15
; %bb.14:
	s_waitcnt lgkmcnt(0)
	v_max_f32_e32 v5, v5, v5
	v_max_f32_e32 v2, v2, v2
	;; [unrolled: 1-line block ×3, first 2 shown]
	ds_write_b32 v4, v2 offset:768
.LBB243_15:
	s_or_b64 exec, exec, s[0:1]
	v_cmp_gt_u32_e64 s[0:1], 2, v43
	v_mov_b32_e32 v2, 0xff7fffff
	s_waitcnt lgkmcnt(0)
	v_lshlrev_b32_e32 v5, 2, v43
	s_barrier
	s_and_saveexec_b64 s[6:7], s[0:1]
	s_cbranch_execz .LBB243_17
; %bb.16:
	ds_read_b32 v2, v5 offset:768
.LBB243_17:
	s_or_b64 exec, exec, s[6:7]
	v_xor_b32_e32 v6, 1, v98
	v_cmp_lt_i32_e64 s[6:7], v6, v99
	s_sub_i32 s3, s33, s3
	s_lshl_b32 s3, s3, 5
	v_cndmask_b32_e64 v6, v98, v6, s[6:7]
	v_lshlrev_b32_e32 v46, 2, v6
	s_waitcnt lgkmcnt(0)
	ds_bpermute_b32 v6, v46, v2
	v_max_f32_e32 v2, v2, v2
	s_add_i32 s3, s3, s50
	s_min_i32 s38, s3, s29
	s_sub_i32 s3, s38, s50
	s_waitcnt lgkmcnt(0)
	v_max_f32_e32 v6, v6, v6
	v_max_f32_e32 v2, v2, v6
	v_lshlrev_b32_e32 v6, 2, v98
	v_and_b32_e32 v6, 0xffffff00, v6
	ds_bpermute_b32 v2, v6, v2
	v_cmp_gt_i32_e64 s[6:7], s3, v42
	v_mov_b32_e32 v7, 0
	s_and_saveexec_b64 s[14:15], s[6:7]
	s_cbranch_execz .LBB243_21
; %bb.18:
	v_mov_b32_e32 v7, 0x310
	v_lshl_add_u32 v8, v42, 2, v7
	s_mov_b64 s[16:17], 0
	v_mov_b32_e32 v7, 0
	v_mov_b32_e32 v9, v42
.LBB243_19:                             ; =>This Inner Loop Header: Depth=1
	ds_read_b32 v10, v8
	v_add_u32_e32 v9, 0x80, v9
	v_cmp_le_i32_e64 s[10:11], s3, v9
	s_or_b64 s[16:17], s[10:11], s[16:17]
	s_waitcnt lgkmcnt(0)
	v_sub_f32_e32 v10, v10, v2
	v_mul_f32_e32 v10, 0x3fb8aa3b, v10
	v_exp_f32_e32 v10, v10
	ds_write_b32 v8, v10
	v_add_f32_e32 v7, v7, v10
	v_add_u32_e32 v8, 0x200, v8
	s_andn2_b64 exec, exec, s[16:17]
	s_cbranch_execnz .LBB243_19
; %bb.20:
	s_or_b64 exec, exec, s[16:17]
.LBB243_21:
	s_or_b64 exec, exec, s[14:15]
	ds_bpermute_b32 v0, v0, v7
	s_waitcnt lgkmcnt(0)
	v_add_f32_e32 v0, v7, v0
	ds_bpermute_b32 v1, v1, v0
	s_waitcnt lgkmcnt(0)
	v_add_f32_e32 v0, v0, v1
	;; [unrolled: 3-line block ×6, first 2 shown]
	s_and_saveexec_b64 s[10:11], vcc
	s_cbranch_execz .LBB243_23
; %bb.22:
	ds_write_b32 v4, v0 offset:776
.LBB243_23:
	s_or_b64 exec, exec, s[10:11]
	s_waitcnt lgkmcnt(0)
	s_barrier
	s_and_saveexec_b64 s[10:11], s[0:1]
	s_cbranch_execz .LBB243_25
; %bb.24:
	ds_read_b32 v0, v5 offset:776
.LBB243_25:
	s_or_b64 exec, exec, s[10:11]
	s_waitcnt lgkmcnt(0)
	ds_bpermute_b32 v1, v46, v0
	s_waitcnt lgkmcnt(0)
	v_add_f32_e32 v0, v0, v1
	ds_bpermute_b32 v3, v6, v0
	s_and_saveexec_b64 s[0:1], s[6:7]
	s_cbranch_execz .LBB243_38
; %bb.26:
	s_waitcnt lgkmcnt(0)
	v_add_f32_e32 v0, 0x358637bd, v3
	v_div_scale_f32 v1, s[6:7], v0, v0, 1.0
	v_rcp_f32_e32 v4, v1
	v_div_scale_f32 v5, vcc, 1.0, v0, 1.0
	s_movk_i32 s6, 0x7f
	v_fma_f32 v6, -v1, v4, 1.0
	v_fmac_f32_e32 v4, v6, v4
	v_mul_f32_e32 v6, v5, v4
	v_fma_f32 v7, -v1, v6, v5
	v_fmac_f32_e32 v6, v7, v4
	v_fma_f32 v1, -v1, v6, v5
	v_div_fmas_f32 v1, v1, v4, v6
	v_div_fixup_f32 v0, v1, v0, 1.0
	v_xad_u32 v1, v42, -1, s38
	v_subrev_u32_e32 v4, s50, v1
	v_cmp_lt_u32_e32 vcc, s6, v4
	s_mov_b64 s[10:11], -1
	v_mov_b32_e32 v1, v42
	s_and_saveexec_b64 s[6:7], vcc
	s_cbranch_execz .LBB243_35
; %bb.27:
	v_lshrrev_b32_e32 v4, 7, v4
	v_add_u32_e32 v6, -1, v4
	v_lshrrev_b32_e32 v5, 1, v6
	v_mov_b32_e32 v1, v0
	v_add_u32_e32 v5, 1, v5
	v_cmp_lt_u32_e32 vcc, 13, v6
	v_mov_b32_e32 v8, 0
	s_and_saveexec_b64 s[10:11], vcc
	s_cbranch_execz .LBB243_31
; %bb.28:
	v_mov_b32_e32 v7, 0x310
	v_and_b32_e32 v6, -8, v5
	v_lshl_add_u32 v7, v42, 2, v7
	s_mov_b32 s16, 0
	s_mov_b64 s[14:15], 0
.LBB243_29:                             ; =>This Inner Loop Header: Depth=1
	ds_read2st64_b32 v[8:9], v7 offset1:2
	ds_read2st64_b32 v[10:11], v7 offset0:4 offset1:6
	ds_read2st64_b32 v[12:13], v7 offset0:8 offset1:10
	;; [unrolled: 1-line block ×3, first 2 shown]
	v_add_u32_e32 v6, -8, v6
	s_waitcnt lgkmcnt(3)
	v_pk_mul_f32 v[8:9], v[0:1], v[8:9]
	s_waitcnt lgkmcnt(2)
	v_pk_mul_f32 v[10:11], v[0:1], v[10:11]
	ds_write2st64_b32 v7, v8, v9 offset1:2
	ds_write2st64_b32 v7, v10, v11 offset0:4 offset1:6
	ds_read2st64_b32 v[10:11], v7 offset0:16 offset1:18
	s_waitcnt lgkmcnt(4)
	v_pk_mul_f32 v[8:9], v[0:1], v[12:13]
	ds_write2st64_b32 v7, v8, v9 offset0:8 offset1:10
	s_waitcnt lgkmcnt(4)
	v_pk_mul_f32 v[8:9], v[0:1], v[14:15]
	ds_write2st64_b32 v7, v8, v9 offset0:12 offset1:14
	ds_read2st64_b32 v[8:9], v7 offset0:20 offset1:22
	s_waitcnt lgkmcnt(3)
	v_pk_mul_f32 v[10:11], v[0:1], v[10:11]
	ds_read2st64_b32 v[12:13], v7 offset0:24 offset1:26
	ds_write2st64_b32 v7, v10, v11 offset0:16 offset1:18
	ds_read2st64_b32 v[10:11], v7 offset0:28 offset1:30
	s_waitcnt lgkmcnt(3)
	v_pk_mul_f32 v[8:9], v[0:1], v[8:9]
	ds_write2st64_b32 v7, v8, v9 offset0:20 offset1:22
	s_waitcnt lgkmcnt(3)
	v_pk_mul_f32 v[8:9], v[0:1], v[12:13]
	ds_write2st64_b32 v7, v8, v9 offset0:24 offset1:26
	s_waitcnt lgkmcnt(2)
	v_pk_mul_f32 v[8:9], v[0:1], v[10:11]
	s_add_i32 s16, s16, 16
	v_cmp_eq_u32_e32 vcc, 0, v6
	ds_write2st64_b32 v7, v8, v9 offset0:28 offset1:30
	v_add_u32_e32 v7, 0x2000, v7
	s_or_b64 s[14:15], vcc, s[14:15]
	v_mov_b32_e32 v8, s16
	s_andn2_b64 exec, exec, s[14:15]
	s_cbranch_execnz .LBB243_29
; %bb.30:
	s_or_b64 exec, exec, s[14:15]
.LBB243_31:
	s_or_b64 exec, exec, s[10:11]
	v_and_b32_e32 v5, 7, v5
	v_cmp_ne_u32_e32 vcc, 0, v5
	s_and_saveexec_b64 s[10:11], vcc
	s_cbranch_execz .LBB243_34
; %bb.32:
	v_lshlrev_b32_e32 v6, 9, v8
	s_movk_i32 s14, 0x310
	s_waitcnt vmcnt(0)
	v_add3_u32 v6, v6, v30, s14
	s_mov_b64 s[14:15], 0
.LBB243_33:                             ; =>This Inner Loop Header: Depth=1
	ds_read2st64_b32 v[8:9], v6 offset1:2
	v_add_u32_e32 v5, -1, v5
	v_cmp_eq_u32_e32 vcc, 0, v5
	s_or_b64 s[14:15], vcc, s[14:15]
	s_waitcnt lgkmcnt(0)
	v_pk_mul_f32 v[8:9], v[0:1], v[8:9]
	ds_write2st64_b32 v6, v8, v9 offset1:2
	v_add_u32_e32 v6, 0x400, v6
	s_andn2_b64 exec, exec, s[14:15]
	s_cbranch_execnz .LBB243_33
.LBB243_34:
	s_or_b64 exec, exec, s[10:11]
	v_add_u32_e32 v4, 1, v4
	v_and_b32_e32 v5, 0x3fffffe, v4
	v_cmp_ne_u32_e32 vcc, v4, v5
	v_lshl_add_u32 v1, v5, 7, v42
	s_orn2_b64 s[10:11], vcc, exec
.LBB243_35:
	s_or_b64 exec, exec, s[6:7]
	s_and_b64 exec, exec, s[10:11]
	s_cbranch_execz .LBB243_38
; %bb.36:
	v_mov_b32_e32 v4, 0x310
	v_lshl_add_u32 v4, v1, 2, v4
	s_mov_b64 s[6:7], 0
.LBB243_37:                             ; =>This Inner Loop Header: Depth=1
	ds_read_b32 v5, v4
	v_add_u32_e32 v1, 0x80, v1
	v_cmp_le_i32_e32 vcc, s3, v1
	s_or_b64 s[6:7], vcc, s[6:7]
	s_waitcnt lgkmcnt(0)
	v_mul_f32_e32 v5, v0, v5
	ds_write_b32 v4, v5
	v_add_u32_e32 v4, 0x200, v4
	s_andn2_b64 exec, exec, s[6:7]
	s_cbranch_execnz .LBB243_37
.LBB243_38:
	s_or_b64 exec, exec, s[0:1]
	s_mul_i32 s0, s25, s28
	v_cmp_eq_u32_e32 vcc, 0, v42
	s_mul_i32 s6, s0, s5
	s_waitcnt lgkmcnt(0)
	s_barrier
	s_and_saveexec_b64 s[0:1], vcc
	s_cbranch_execz .LBB243_40
; %bb.39:
	s_ashr_i32 s7, s6, 31
	s_lshl_b64 s[10:11], s[6:7], 2
	s_add_u32 s5, s22, s10
	s_mul_i32 s2, s25, s2
	s_addc_u32 s7, s23, s11
	s_ashr_i32 s3, s2, 31
	s_lshl_b64 s[2:3], s[2:3], 2
	s_add_u32 s16, s5, s2
	s_addc_u32 s7, s7, s3
	s_ashr_i32 s5, s4, 31
	s_lshl_b64 s[14:15], s[4:5], 2
	s_add_u32 s16, s16, s14
	s_addc_u32 s17, s7, s15
	s_add_u32 s5, s20, s10
	s_addc_u32 s7, s21, s11
	;; [unrolled: 2-line block ×3, first 2 shown]
	s_add_u32 s2, s2, s14
	v_mov_b32_e32 v0, 0
	s_addc_u32 s3, s3, s15
	global_store_dword v0, v2, s[16:17]
	global_store_dword v0, v3, s[2:3]
.LBB243_40:
	s_or_b64 exec, exec, s[0:1]
	v_mov_b32_e32 v28, 0
	v_and_b32_e32 v47, 7, v42
	v_mov_b32_e32 v29, 0
	v_mov_b32_e32 v26, 0
	v_mov_b32_e32 v27, 0
	v_mov_b32_e32 v24, 0
	v_mov_b32_e32 v25, 0
	v_mov_b32_e32 v22, 0
	v_mov_b32_e32 v23, 0
	v_mov_b32_e32 v20, 0
	v_mov_b32_e32 v21, 0
	v_mov_b32_e32 v18, 0
	v_mov_b32_e32 v19, 0
	v_mov_b32_e32 v16, 0
	v_mov_b32_e32 v17, 0
	v_mov_b32_e32 v14, 0
	v_mov_b32_e32 v15, 0
	v_mov_b32_e32 v12, 0
	v_mov_b32_e32 v13, 0
	v_mov_b32_e32 v10, 0
	v_mov_b32_e32 v11, 0
	v_mov_b32_e32 v8, 0
	v_mov_b32_e32 v9, 0
	v_mov_b32_e32 v6, 0
	v_mov_b32_e32 v7, 0
	s_and_saveexec_b64 s[2:3], s[8:9]
	s_cbranch_execz .LBB243_92
; %bb.41:
	v_mov_b32_e32 v3, 0
	s_waitcnt vmcnt(0)
	v_and_b32_e32 v2, 0xfc, v30
	v_or_b32_e32 v4, 0xf00, v30
	v_mov_b32_e32 v5, v3
	scratch_store_dword off, v46, off offset:128 ; 4-byte Folded Spill
	scratch_store_dword off, v45, off offset:124 ; 4-byte Folded Spill
	;; [unrolled: 1-line block ×4, first 2 shown]
	scratch_store_dwordx2 off, v[4:5], off offset:32 ; 8-byte Folded Spill
	v_or_b32_e32 v4, 0x1000, v2
	scratch_store_dwordx2 off, v[4:5], off offset:40 ; 8-byte Folded Spill
	v_or_b32_e32 v4, 0x1100, v2
	s_load_dword s8, s[18:19], 0x0
	s_ashr_i32 s1, s51, 31
	scratch_store_dwordx2 off, v[4:5], off offset:48 ; 8-byte Folded Spill
	v_or_b32_e32 v4, 0x1200, v2
	s_add_u32 s0, s36, s51
	scratch_store_dwordx2 off, v[4:5], off offset:56 ; 8-byte Folded Spill
	v_or_b32_e32 v4, 0x1300, v2
	v_and_b32_e32 v0, 28, v30
	s_addc_u32 s1, s37, s1
	s_add_i32 s7, s12, -1
	scratch_store_dwordx2 off, v[4:5], off offset:64 ; 8-byte Folded Spill
	v_or_b32_e32 v4, 0x1400, v2
	v_lshl_add_u32 v1, v109, 5, s50
	s_lshl_b64 s[10:11], s[34:35], 2
	scratch_store_dwordx2 off, v[4:5], off offset:72 ; 8-byte Folded Spill
	v_or_b32_e32 v4, 0x1500, v2
	v_add3_u32 v98, v1, v0, 3
	v_lshlrev_b32_e32 v0, 4, v47
	s_add_u32 s10, s30, s10
	scratch_store_dwordx2 off, v[4:5], off offset:80 ; 8-byte Folded Spill
	v_or_b32_e32 v4, 0x1600, v2
	v_lshl_or_b32 v0, v109, 7, v0
	s_addc_u32 s11, s31, s11
	s_mov_b32 s5, s13
	s_waitcnt lgkmcnt(0)
	s_mov_b32 s9, s8
	scratch_store_dwordx2 off, v[4:5], off offset:88 ; 8-byte Folded Spill
	v_or_b32_e32 v4, 0x1700, v2
	v_add_u32_e32 v99, 0x310, v0
	v_lshl_add_u64 v[50:51], v[74:75], 2, s[10:11]
	s_mov_b64 s[10:11], 0
	v_mov_b64_e32 v[0:1], s[0:1]
	v_mov_b32_e32 v7, v3
	v_mov_b32_e32 v6, v3
	;; [unrolled: 1-line block ×24, first 2 shown]
	scratch_store_dwordx2 off, v[4:5], off offset:96 ; 8-byte Folded Spill
	scratch_store_dword off, v47, off offset:132 ; 4-byte Folded Spill
	scratch_store_dwordx2 off, v[0:1], off offset:104 ; 8-byte Folded Spill
	scratch_store_dwordx2 off, v[2:3], off offset:24 ; 8-byte Folded Spill
	s_branch .LBB243_43
.LBB243_42:                             ;   in Loop: Header=BB243_43 Depth=1
	s_or_b64 exec, exec, s[0:1]
	s_waitcnt lgkmcnt(0)
	v_mul_f32_e32 v31, v3, v31
	v_fmac_f32_e32 v31, v2, v30
	v_mul_f32_e32 v30, v3, v47
	v_fmac_f32_e32 v30, v2, v46
	v_fmac_f32_e32 v30, v4, v44
	v_fmac_f32_e32 v30, v5, v45
	v_add_f32_e32 v9, v9, v30
	v_mul_f32_e32 v30, v3, v43
	v_fmac_f32_e32 v30, v2, v42
	v_fmac_f32_e32 v30, v4, v40
	v_fmac_f32_e32 v30, v5, v41
	v_add_f32_e32 v8, v8, v30
	;; [unrolled: 5-line block ×3, first 2 shown]
	v_mul_f32_e32 v30, v3, v33
	v_fmac_f32_e32 v30, v2, v32
	v_fmac_f32_e32 v31, v4, v48
	;; [unrolled: 1-line block ×5, first 2 shown]
	v_add_f32_e32 v6, v6, v31
	v_add_f32_e32 v10, v10, v30
	scratch_load_dwordx2 v[30:31], off, off offset:8 ; 8-byte Folded Reload
	v_mul_f32_e32 v0, v3, v53
	v_fmac_f32_e32 v0, v2, v52
	v_fmac_f32_e32 v0, v4, v126
	v_fmac_f32_e32 v0, v5, v127
	v_add_f32_e32 v13, v13, v0
	v_mul_f32_e32 v0, v3, v125
	v_fmac_f32_e32 v0, v2, v124
	v_fmac_f32_e32 v0, v4, v122
	v_fmac_f32_e32 v0, v5, v123
	v_add_f32_e32 v12, v12, v0
	;; [unrolled: 5-line block ×17, first 2 shown]
	s_waitcnt vmcnt(0)
	v_mul_f32_e32 v0, v3, v31
	v_fmac_f32_e32 v0, v2, v30
	scratch_load_dwordx2 v[30:31], off, off ; 8-byte Folded Reload
	v_add_u32_e32 v98, 64, v98
	v_add_u32_e32 v99, 0x100, v99
	v_lshl_add_u64 v[50:51], v[50:51], 0, 8
	s_waitcnt vmcnt(0)
	v_fmac_f32_e32 v0, v4, v30
	v_fmac_f32_e32 v0, v5, v31
	v_add_f32_e32 v28, v28, v0
	v_mul_f32_e32 v0, v3, v39
	v_fmac_f32_e32 v0, v2, v38
	v_fmac_f32_e32 v0, v4, v74
	v_fmac_f32_e32 v0, v5, v75
	scratch_load_dwordx2 v[74:75], off, off offset:16 ; 8-byte Folded Reload
	v_add_f32_e32 v7, v7, v0
	s_waitcnt vmcnt(0)
	v_add_u32_e32 v74, 2, v74
	v_cmp_le_i32_e32 vcc, s33, v74
	s_or_b64 s[10:11], vcc, s[10:11]
	s_andn2_b64 exec, exec, s[10:11]
	s_cbranch_execz .LBB243_91
.LBB243_43:                             ; =>This Inner Loop Header: Depth=1
	global_load_dword v0, v[50:51], off
	scratch_load_dwordx2 v[2:3], off, off offset:104 ; 8-byte Folded Reload
	v_mov_b32_e32 v34, v74
	v_add_u32_e32 v54, -3, v98
	v_mov_b32_e32 v32, v34
	v_cmp_eq_u32_e32 vcc, s7, v34
	v_add_u32_e32 v55, -2, v98
	v_add_u32_e32 v56, -1, v98
	scratch_store_dwordx2 off, v[32:33], off offset:16 ; 8-byte Folded Spill
	s_waitcnt vmcnt(1)
	v_mad_i64_i32 v[74:75], s[0:1], v0, s5, v[2:3]
	scratch_load_dwordx2 v[0:1], off, off offset:24 ; 8-byte Folded Reload
	ds_read_b128 v[2:5], v99
	s_waitcnt vmcnt(0)
	v_lshl_add_u64 v[110:111], v[74:75], 0, v[0:1]
	global_load_dword v0, v[110:111], off
	s_waitcnt vmcnt(0)
	v_and_b32_e32 v1, 0xffff, v0
	v_lshrrev_b32_e32 v30, 16, v0
	v_cvt_pk_f32_fp8_e32 v[0:1], v1
	v_cvt_pk_f32_fp8_e32 v[30:31], v30
	v_pk_mul_f32 v[0:1], s[8:9], v[0:1]
	scratch_store_dwordx2 off, v[0:1], off offset:8 ; 8-byte Folded Spill
	v_pk_mul_f32 v[0:1], s[8:9], v[30:31]
	scratch_store_dwordx2 off, v[0:1], off  ; 8-byte Folded Spill
	s_and_saveexec_b64 s[12:13], vcc
	s_cbranch_execz .LBB243_45
; %bb.44:                               ;   in Loop: Header=BB243_43 Depth=1
	scratch_load_dwordx2 v[0:1], off, off offset:8 ; 8-byte Folded Reload
	v_cmp_gt_i32_e64 s[0:1], s29, v54
	s_waitcnt vmcnt(0)
	s_nop 0
	v_cndmask_b32_e64 v0, 0, v0, s[0:1]
	v_cmp_gt_i32_e64 s[0:1], s29, v55
	s_nop 1
	v_cndmask_b32_e64 v1, 0, v1, s[0:1]
	scratch_store_dwordx2 off, v[0:1], off offset:8 ; 8-byte Folded Spill
	scratch_load_dwordx2 v[0:1], off, off   ; 8-byte Folded Reload
	v_cmp_gt_i32_e64 s[0:1], s29, v56
	s_waitcnt vmcnt(0)
	s_nop 0
	v_cndmask_b32_e64 v0, 0, v0, s[0:1]
	v_cmp_gt_i32_e64 s[0:1], s29, v98
	s_nop 1
	v_cndmask_b32_e64 v1, 0, v1, s[0:1]
	scratch_store_dwordx2 off, v[0:1], off  ; 8-byte Folded Spill
.LBB243_45:                             ;   in Loop: Header=BB243_43 Depth=1
	s_or_b64 exec, exec, s[12:13]
	global_load_dword v0, v[110:111], off offset:256
	s_waitcnt vmcnt(0)
	v_and_b32_e32 v1, 0xffff, v0
	v_lshrrev_b32_e32 v30, 16, v0
	v_cvt_pk_f32_fp8_e32 v[0:1], v1
	v_cvt_pk_f32_fp8_e32 v[30:31], v30
	v_pk_mul_f32 v[60:61], s[8:9], v[0:1]
	v_pk_mul_f32 v[58:59], s[8:9], v[30:31]
	s_and_saveexec_b64 s[12:13], vcc
; %bb.46:                               ;   in Loop: Header=BB243_43 Depth=1
	v_cmp_gt_i32_e64 s[0:1], s29, v54
	s_nop 1
	v_cndmask_b32_e64 v60, 0, v60, s[0:1]
	v_cmp_gt_i32_e64 s[0:1], s29, v55
	s_nop 1
	v_cndmask_b32_e64 v61, 0, v61, s[0:1]
	v_cmp_gt_i32_e64 s[0:1], s29, v56
	s_nop 1
	v_cndmask_b32_e64 v58, 0, v58, s[0:1]
	v_cmp_gt_i32_e64 s[0:1], s29, v98
	s_nop 1
	v_cndmask_b32_e64 v59, 0, v59, s[0:1]
; %bb.47:                               ;   in Loop: Header=BB243_43 Depth=1
	s_or_b64 exec, exec, s[12:13]
	global_load_dword v0, v[110:111], off offset:512
	s_waitcnt vmcnt(0)
	v_and_b32_e32 v1, 0xffff, v0
	v_lshrrev_b32_e32 v30, 16, v0
	v_cvt_pk_f32_fp8_e32 v[0:1], v1
	v_cvt_pk_f32_fp8_e32 v[30:31], v30
	v_pk_mul_f32 v[64:65], s[8:9], v[0:1]
	v_pk_mul_f32 v[62:63], s[8:9], v[30:31]
	s_and_saveexec_b64 s[12:13], vcc
; %bb.48:                               ;   in Loop: Header=BB243_43 Depth=1
	v_cmp_gt_i32_e64 s[0:1], s29, v54
	s_nop 1
	v_cndmask_b32_e64 v64, 0, v64, s[0:1]
	v_cmp_gt_i32_e64 s[0:1], s29, v55
	s_nop 1
	v_cndmask_b32_e64 v65, 0, v65, s[0:1]
	v_cmp_gt_i32_e64 s[0:1], s29, v56
	s_nop 1
	v_cndmask_b32_e64 v62, 0, v62, s[0:1]
	v_cmp_gt_i32_e64 s[0:1], s29, v98
	s_nop 1
	v_cndmask_b32_e64 v63, 0, v63, s[0:1]
; %bb.49:                               ;   in Loop: Header=BB243_43 Depth=1
	s_or_b64 exec, exec, s[12:13]
	global_load_dword v0, v[110:111], off offset:768
	s_waitcnt vmcnt(0)
	v_and_b32_e32 v1, 0xffff, v0
	v_lshrrev_b32_e32 v30, 16, v0
	v_cvt_pk_f32_fp8_e32 v[0:1], v1
	v_cvt_pk_f32_fp8_e32 v[30:31], v30
	v_pk_mul_f32 v[68:69], s[8:9], v[0:1]
	v_pk_mul_f32 v[66:67], s[8:9], v[30:31]
	s_and_saveexec_b64 s[12:13], vcc
; %bb.50:                               ;   in Loop: Header=BB243_43 Depth=1
	v_cmp_gt_i32_e64 s[0:1], s29, v54
	s_nop 1
	v_cndmask_b32_e64 v68, 0, v68, s[0:1]
	v_cmp_gt_i32_e64 s[0:1], s29, v55
	s_nop 1
	v_cndmask_b32_e64 v69, 0, v69, s[0:1]
	v_cmp_gt_i32_e64 s[0:1], s29, v56
	s_nop 1
	v_cndmask_b32_e64 v66, 0, v66, s[0:1]
	v_cmp_gt_i32_e64 s[0:1], s29, v98
	s_nop 1
	v_cndmask_b32_e64 v67, 0, v67, s[0:1]
; %bb.51:                               ;   in Loop: Header=BB243_43 Depth=1
	s_or_b64 exec, exec, s[12:13]
	global_load_dword v0, v[110:111], off offset:1024
	s_waitcnt vmcnt(0)
	v_and_b32_e32 v1, 0xffff, v0
	v_lshrrev_b32_e32 v30, 16, v0
	v_cvt_pk_f32_fp8_e32 v[0:1], v1
	v_cvt_pk_f32_fp8_e32 v[30:31], v30
	v_pk_mul_f32 v[72:73], s[8:9], v[0:1]
	v_pk_mul_f32 v[70:71], s[8:9], v[30:31]
	s_and_saveexec_b64 s[12:13], vcc
; %bb.52:                               ;   in Loop: Header=BB243_43 Depth=1
	v_cmp_gt_i32_e64 s[0:1], s29, v54
	s_nop 1
	v_cndmask_b32_e64 v72, 0, v72, s[0:1]
	v_cmp_gt_i32_e64 s[0:1], s29, v55
	s_nop 1
	v_cndmask_b32_e64 v73, 0, v73, s[0:1]
	v_cmp_gt_i32_e64 s[0:1], s29, v56
	s_nop 1
	v_cndmask_b32_e64 v70, 0, v70, s[0:1]
	v_cmp_gt_i32_e64 s[0:1], s29, v98
	s_nop 1
	v_cndmask_b32_e64 v71, 0, v71, s[0:1]
; %bb.53:                               ;   in Loop: Header=BB243_43 Depth=1
	s_or_b64 exec, exec, s[12:13]
	global_load_dword v0, v[110:111], off offset:1280
	s_waitcnt vmcnt(0)
	v_and_b32_e32 v1, 0xffff, v0
	v_lshrrev_b32_e32 v30, 16, v0
	v_cvt_pk_f32_fp8_e32 v[0:1], v1
	v_cvt_pk_f32_fp8_e32 v[30:31], v30
	v_pk_mul_f32 v[78:79], s[8:9], v[0:1]
	v_pk_mul_f32 v[76:77], s[8:9], v[30:31]
	s_and_saveexec_b64 s[12:13], vcc
; %bb.54:                               ;   in Loop: Header=BB243_43 Depth=1
	v_cmp_gt_i32_e64 s[0:1], s29, v54
	s_nop 1
	v_cndmask_b32_e64 v78, 0, v78, s[0:1]
	v_cmp_gt_i32_e64 s[0:1], s29, v55
	s_nop 1
	v_cndmask_b32_e64 v79, 0, v79, s[0:1]
	v_cmp_gt_i32_e64 s[0:1], s29, v56
	s_nop 1
	v_cndmask_b32_e64 v76, 0, v76, s[0:1]
	v_cmp_gt_i32_e64 s[0:1], s29, v98
	s_nop 1
	v_cndmask_b32_e64 v77, 0, v77, s[0:1]
; %bb.55:                               ;   in Loop: Header=BB243_43 Depth=1
	s_or_b64 exec, exec, s[12:13]
	global_load_dword v0, v[110:111], off offset:1536
	s_waitcnt vmcnt(0)
	v_and_b32_e32 v1, 0xffff, v0
	v_lshrrev_b32_e32 v30, 16, v0
	v_cvt_pk_f32_fp8_e32 v[0:1], v1
	v_cvt_pk_f32_fp8_e32 v[30:31], v30
	v_pk_mul_f32 v[82:83], s[8:9], v[0:1]
	v_pk_mul_f32 v[80:81], s[8:9], v[30:31]
	s_and_saveexec_b64 s[12:13], vcc
; %bb.56:                               ;   in Loop: Header=BB243_43 Depth=1
	v_cmp_gt_i32_e64 s[0:1], s29, v54
	s_nop 1
	v_cndmask_b32_e64 v82, 0, v82, s[0:1]
	v_cmp_gt_i32_e64 s[0:1], s29, v55
	s_nop 1
	v_cndmask_b32_e64 v83, 0, v83, s[0:1]
	v_cmp_gt_i32_e64 s[0:1], s29, v56
	s_nop 1
	v_cndmask_b32_e64 v80, 0, v80, s[0:1]
	v_cmp_gt_i32_e64 s[0:1], s29, v98
	s_nop 1
	v_cndmask_b32_e64 v81, 0, v81, s[0:1]
; %bb.57:                               ;   in Loop: Header=BB243_43 Depth=1
	s_or_b64 exec, exec, s[12:13]
	global_load_dword v0, v[110:111], off offset:1792
	s_waitcnt vmcnt(0)
	v_and_b32_e32 v1, 0xffff, v0
	v_lshrrev_b32_e32 v30, 16, v0
	v_cvt_pk_f32_fp8_e32 v[0:1], v1
	v_cvt_pk_f32_fp8_e32 v[30:31], v30
	v_pk_mul_f32 v[86:87], s[8:9], v[0:1]
	v_pk_mul_f32 v[84:85], s[8:9], v[30:31]
	s_and_saveexec_b64 s[12:13], vcc
; %bb.58:                               ;   in Loop: Header=BB243_43 Depth=1
	v_cmp_gt_i32_e64 s[0:1], s29, v54
	s_nop 1
	v_cndmask_b32_e64 v86, 0, v86, s[0:1]
	v_cmp_gt_i32_e64 s[0:1], s29, v55
	s_nop 1
	v_cndmask_b32_e64 v87, 0, v87, s[0:1]
	v_cmp_gt_i32_e64 s[0:1], s29, v56
	s_nop 1
	v_cndmask_b32_e64 v84, 0, v84, s[0:1]
	v_cmp_gt_i32_e64 s[0:1], s29, v98
	s_nop 1
	v_cndmask_b32_e64 v85, 0, v85, s[0:1]
; %bb.59:                               ;   in Loop: Header=BB243_43 Depth=1
	s_or_b64 exec, exec, s[12:13]
	global_load_dword v0, v[110:111], off offset:2048
	s_waitcnt vmcnt(0)
	v_and_b32_e32 v1, 0xffff, v0
	v_lshrrev_b32_e32 v30, 16, v0
	v_cvt_pk_f32_fp8_e32 v[0:1], v1
	v_cvt_pk_f32_fp8_e32 v[30:31], v30
	v_pk_mul_f32 v[90:91], s[8:9], v[0:1]
	v_pk_mul_f32 v[88:89], s[8:9], v[30:31]
	s_and_saveexec_b64 s[12:13], vcc
; %bb.60:                               ;   in Loop: Header=BB243_43 Depth=1
	v_cmp_gt_i32_e64 s[0:1], s29, v54
	s_nop 1
	v_cndmask_b32_e64 v90, 0, v90, s[0:1]
	v_cmp_gt_i32_e64 s[0:1], s29, v55
	s_nop 1
	v_cndmask_b32_e64 v91, 0, v91, s[0:1]
	v_cmp_gt_i32_e64 s[0:1], s29, v56
	s_nop 1
	v_cndmask_b32_e64 v88, 0, v88, s[0:1]
	v_cmp_gt_i32_e64 s[0:1], s29, v98
	s_nop 1
	v_cndmask_b32_e64 v89, 0, v89, s[0:1]
; %bb.61:                               ;   in Loop: Header=BB243_43 Depth=1
	s_or_b64 exec, exec, s[12:13]
	global_load_dword v0, v[110:111], off offset:2304
	s_waitcnt vmcnt(0)
	v_and_b32_e32 v1, 0xffff, v0
	v_lshrrev_b32_e32 v30, 16, v0
	v_cvt_pk_f32_fp8_e32 v[0:1], v1
	v_cvt_pk_f32_fp8_e32 v[30:31], v30
	v_pk_mul_f32 v[94:95], s[8:9], v[0:1]
	v_pk_mul_f32 v[92:93], s[8:9], v[30:31]
	s_and_saveexec_b64 s[12:13], vcc
; %bb.62:                               ;   in Loop: Header=BB243_43 Depth=1
	v_cmp_gt_i32_e64 s[0:1], s29, v54
	s_nop 1
	v_cndmask_b32_e64 v94, 0, v94, s[0:1]
	v_cmp_gt_i32_e64 s[0:1], s29, v55
	s_nop 1
	v_cndmask_b32_e64 v95, 0, v95, s[0:1]
	v_cmp_gt_i32_e64 s[0:1], s29, v56
	s_nop 1
	v_cndmask_b32_e64 v92, 0, v92, s[0:1]
	v_cmp_gt_i32_e64 s[0:1], s29, v98
	s_nop 1
	v_cndmask_b32_e64 v93, 0, v93, s[0:1]
; %bb.63:                               ;   in Loop: Header=BB243_43 Depth=1
	s_or_b64 exec, exec, s[12:13]
	global_load_dword v0, v[110:111], off offset:2560
	s_waitcnt vmcnt(0)
	v_and_b32_e32 v1, 0xffff, v0
	v_lshrrev_b32_e32 v30, 16, v0
	v_cvt_pk_f32_fp8_e32 v[0:1], v1
	v_cvt_pk_f32_fp8_e32 v[30:31], v30
	v_pk_mul_f32 v[100:101], s[8:9], v[0:1]
	v_pk_mul_f32 v[96:97], s[8:9], v[30:31]
	s_and_saveexec_b64 s[12:13], vcc
; %bb.64:                               ;   in Loop: Header=BB243_43 Depth=1
	v_cmp_gt_i32_e64 s[0:1], s29, v54
	s_nop 1
	v_cndmask_b32_e64 v100, 0, v100, s[0:1]
	v_cmp_gt_i32_e64 s[0:1], s29, v55
	s_nop 1
	v_cndmask_b32_e64 v101, 0, v101, s[0:1]
	v_cmp_gt_i32_e64 s[0:1], s29, v56
	s_nop 1
	v_cndmask_b32_e64 v96, 0, v96, s[0:1]
	v_cmp_gt_i32_e64 s[0:1], s29, v98
	s_nop 1
	v_cndmask_b32_e64 v97, 0, v97, s[0:1]
; %bb.65:                               ;   in Loop: Header=BB243_43 Depth=1
	s_or_b64 exec, exec, s[12:13]
	global_load_dword v0, v[110:111], off offset:2816
	s_waitcnt vmcnt(0)
	v_and_b32_e32 v1, 0xffff, v0
	v_lshrrev_b32_e32 v30, 16, v0
	v_cvt_pk_f32_fp8_e32 v[0:1], v1
	v_cvt_pk_f32_fp8_e32 v[30:31], v30
	v_pk_mul_f32 v[104:105], s[8:9], v[0:1]
	v_pk_mul_f32 v[102:103], s[8:9], v[30:31]
	s_and_saveexec_b64 s[12:13], vcc
; %bb.66:                               ;   in Loop: Header=BB243_43 Depth=1
	v_cmp_gt_i32_e64 s[0:1], s29, v54
	s_nop 1
	v_cndmask_b32_e64 v104, 0, v104, s[0:1]
	v_cmp_gt_i32_e64 s[0:1], s29, v55
	s_nop 1
	v_cndmask_b32_e64 v105, 0, v105, s[0:1]
	v_cmp_gt_i32_e64 s[0:1], s29, v56
	s_nop 1
	v_cndmask_b32_e64 v102, 0, v102, s[0:1]
	v_cmp_gt_i32_e64 s[0:1], s29, v98
	s_nop 1
	v_cndmask_b32_e64 v103, 0, v103, s[0:1]
; %bb.67:                               ;   in Loop: Header=BB243_43 Depth=1
	s_or_b64 exec, exec, s[12:13]
	global_load_dword v0, v[110:111], off offset:3072
	s_waitcnt vmcnt(0)
	v_and_b32_e32 v1, 0xffff, v0
	v_lshrrev_b32_e32 v30, 16, v0
	v_cvt_pk_f32_fp8_e32 v[0:1], v1
	v_cvt_pk_f32_fp8_e32 v[30:31], v30
	v_pk_mul_f32 v[108:109], s[8:9], v[0:1]
	v_pk_mul_f32 v[106:107], s[8:9], v[30:31]
	s_and_saveexec_b64 s[12:13], vcc
; %bb.68:                               ;   in Loop: Header=BB243_43 Depth=1
	v_cmp_gt_i32_e64 s[0:1], s29, v54
	s_nop 1
	v_cndmask_b32_e64 v108, 0, v108, s[0:1]
	v_cmp_gt_i32_e64 s[0:1], s29, v55
	s_nop 1
	v_cndmask_b32_e64 v109, 0, v109, s[0:1]
	v_cmp_gt_i32_e64 s[0:1], s29, v56
	s_nop 1
	v_cndmask_b32_e64 v106, 0, v106, s[0:1]
	v_cmp_gt_i32_e64 s[0:1], s29, v98
	s_nop 1
	v_cndmask_b32_e64 v107, 0, v107, s[0:1]
; %bb.69:                               ;   in Loop: Header=BB243_43 Depth=1
	s_or_b64 exec, exec, s[12:13]
	global_load_dword v0, v[110:111], off offset:3328
	s_waitcnt vmcnt(0)
	v_and_b32_e32 v1, 0xffff, v0
	v_lshrrev_b32_e32 v30, 16, v0
	v_cvt_pk_f32_fp8_e32 v[0:1], v1
	v_cvt_pk_f32_fp8_e32 v[30:31], v30
	v_pk_mul_f32 v[114:115], s[8:9], v[0:1]
	v_pk_mul_f32 v[112:113], s[8:9], v[30:31]
	s_and_saveexec_b64 s[12:13], vcc
; %bb.70:                               ;   in Loop: Header=BB243_43 Depth=1
	v_cmp_gt_i32_e64 s[0:1], s29, v54
	s_nop 1
	v_cndmask_b32_e64 v114, 0, v114, s[0:1]
	v_cmp_gt_i32_e64 s[0:1], s29, v55
	s_nop 1
	v_cndmask_b32_e64 v115, 0, v115, s[0:1]
	v_cmp_gt_i32_e64 s[0:1], s29, v56
	s_nop 1
	v_cndmask_b32_e64 v112, 0, v112, s[0:1]
	v_cmp_gt_i32_e64 s[0:1], s29, v98
	s_nop 1
	v_cndmask_b32_e64 v113, 0, v113, s[0:1]
; %bb.71:                               ;   in Loop: Header=BB243_43 Depth=1
	s_or_b64 exec, exec, s[12:13]
	global_load_dword v0, v[110:111], off offset:3584
	s_waitcnt vmcnt(0)
	v_and_b32_e32 v1, 0xffff, v0
	v_lshrrev_b32_e32 v30, 16, v0
	v_cvt_pk_f32_fp8_e32 v[0:1], v1
	v_cvt_pk_f32_fp8_e32 v[30:31], v30
	v_pk_mul_f32 v[116:117], s[8:9], v[0:1]
	v_pk_mul_f32 v[110:111], s[8:9], v[30:31]
	s_and_saveexec_b64 s[12:13], vcc
; %bb.72:                               ;   in Loop: Header=BB243_43 Depth=1
	v_cmp_gt_i32_e64 s[0:1], s29, v54
	s_nop 1
	v_cndmask_b32_e64 v116, 0, v116, s[0:1]
	v_cmp_gt_i32_e64 s[0:1], s29, v55
	s_nop 1
	v_cndmask_b32_e64 v117, 0, v117, s[0:1]
	v_cmp_gt_i32_e64 s[0:1], s29, v56
	s_nop 1
	v_cndmask_b32_e64 v110, 0, v110, s[0:1]
	v_cmp_gt_i32_e64 s[0:1], s29, v98
	s_nop 1
	v_cndmask_b32_e64 v111, 0, v111, s[0:1]
; %bb.73:                               ;   in Loop: Header=BB243_43 Depth=1
	s_or_b64 exec, exec, s[12:13]
	scratch_load_dwordx2 v[0:1], off, off offset:32 ; 8-byte Folded Reload
	s_waitcnt vmcnt(0)
	v_lshl_add_u64 v[0:1], v[74:75], 0, v[0:1]
	global_load_dword v0, v[0:1], off
	s_waitcnt vmcnt(0)
	v_and_b32_e32 v1, 0xffff, v0
	v_lshrrev_b32_e32 v30, 16, v0
	v_cvt_pk_f32_fp8_e32 v[0:1], v1
	v_cvt_pk_f32_fp8_e32 v[30:31], v30
	v_pk_mul_f32 v[120:121], s[8:9], v[0:1]
	v_pk_mul_f32 v[118:119], s[8:9], v[30:31]
	s_and_saveexec_b64 s[12:13], vcc
; %bb.74:                               ;   in Loop: Header=BB243_43 Depth=1
	v_cmp_gt_i32_e64 s[0:1], s29, v54
	s_nop 1
	v_cndmask_b32_e64 v120, 0, v120, s[0:1]
	v_cmp_gt_i32_e64 s[0:1], s29, v55
	s_nop 1
	v_cndmask_b32_e64 v121, 0, v121, s[0:1]
	v_cmp_gt_i32_e64 s[0:1], s29, v56
	s_nop 1
	v_cndmask_b32_e64 v118, 0, v118, s[0:1]
	v_cmp_gt_i32_e64 s[0:1], s29, v98
	s_nop 1
	v_cndmask_b32_e64 v119, 0, v119, s[0:1]
; %bb.75:                               ;   in Loop: Header=BB243_43 Depth=1
	s_or_b64 exec, exec, s[12:13]
	scratch_load_dwordx2 v[0:1], off, off offset:40 ; 8-byte Folded Reload
	s_waitcnt vmcnt(0)
	v_lshl_add_u64 v[0:1], v[74:75], 0, v[0:1]
	global_load_dword v0, v[0:1], off
	s_waitcnt vmcnt(0)
	v_and_b32_e32 v1, 0xffff, v0
	v_lshrrev_b32_e32 v30, 16, v0
	v_cvt_pk_f32_fp8_e32 v[0:1], v1
	v_cvt_pk_f32_fp8_e32 v[30:31], v30
	v_pk_mul_f32 v[124:125], s[8:9], v[0:1]
	v_pk_mul_f32 v[122:123], s[8:9], v[30:31]
	s_and_saveexec_b64 s[12:13], vcc
; %bb.76:                               ;   in Loop: Header=BB243_43 Depth=1
	v_cmp_gt_i32_e64 s[0:1], s29, v54
	s_nop 1
	v_cndmask_b32_e64 v124, 0, v124, s[0:1]
	v_cmp_gt_i32_e64 s[0:1], s29, v55
	s_nop 1
	v_cndmask_b32_e64 v125, 0, v125, s[0:1]
	v_cmp_gt_i32_e64 s[0:1], s29, v56
	s_nop 1
	v_cndmask_b32_e64 v122, 0, v122, s[0:1]
	v_cmp_gt_i32_e64 s[0:1], s29, v98
	s_nop 1
	v_cndmask_b32_e64 v123, 0, v123, s[0:1]
; %bb.77:                               ;   in Loop: Header=BB243_43 Depth=1
	;; [unrolled: 27-line block ×8, first 2 shown]
	s_or_b64 exec, exec, s[12:13]
	scratch_load_dwordx2 v[38:39], off, off offset:96 ; 8-byte Folded Reload
	s_waitcnt vmcnt(0)
	v_lshl_add_u64 v[38:39], v[74:75], 0, v[38:39]
	global_load_dword v38, v[38:39], off
	s_waitcnt vmcnt(0)
	v_and_b32_e32 v39, 0xffff, v38
	v_lshrrev_b32_e32 v57, 16, v38
	v_cvt_pk_f32_fp8_e32 v[38:39], v39
	v_cvt_pk_f32_fp8_e32 v[74:75], v57
	v_pk_mul_f32 v[38:39], s[8:9], v[38:39]
	v_pk_mul_f32 v[74:75], s[8:9], v[74:75]
	s_and_saveexec_b64 s[0:1], vcc
	s_cbranch_execz .LBB243_42
; %bb.90:                               ;   in Loop: Header=BB243_43 Depth=1
	v_cmp_gt_i32_e32 vcc, s29, v54
	s_nop 1
	v_cndmask_b32_e32 v38, 0, v38, vcc
	v_cmp_gt_i32_e32 vcc, s29, v55
	s_nop 1
	v_cndmask_b32_e32 v39, 0, v39, vcc
	;; [unrolled: 3-line block ×4, first 2 shown]
	s_branch .LBB243_42
.LBB243_91:
	s_or_b64 exec, exec, s[10:11]
	scratch_load_dword v42, off, off offset:112 ; 4-byte Folded Reload
	scratch_load_dword v43, off, off offset:116 ; 4-byte Folded Reload
	;; [unrolled: 1-line block ×6, first 2 shown]
.LBB243_92:
	s_or_b64 exec, exec, s[2:3]
	s_waitcnt vmcnt(2)
	ds_bpermute_b32 v0, v45, v28
	ds_bpermute_b32 v1, v45, v29
	;; [unrolled: 1-line block ×4, first 2 shown]
	s_waitcnt vmcnt(0)
	ds_bpermute_b32 v30, v45, v22
	ds_bpermute_b32 v31, v45, v23
	s_waitcnt lgkmcnt(4)
	v_pk_add_f32 v[0:1], v[28:29], v[0:1]
	ds_bpermute_b32 v28, v45, v24
	s_waitcnt lgkmcnt(3)
	v_pk_add_f32 v[2:3], v[26:27], v[2:3]
	ds_bpermute_b32 v29, v45, v25
	ds_bpermute_b32 v26, v44, v2
	;; [unrolled: 1-line block ×5, first 2 shown]
	s_waitcnt lgkmcnt(4)
	v_pk_add_f32 v[24:25], v[24:25], v[28:29]
	v_pk_add_f32 v[30:31], v[22:23], v[30:31]
	s_waitcnt lgkmcnt(2)
	v_pk_add_f32 v[2:3], v[2:3], v[26:27]
	ds_bpermute_b32 v26, v44, v24
	ds_bpermute_b32 v27, v44, v25
	s_waitcnt lgkmcnt(2)
	v_pk_add_f32 v[0:1], v[0:1], v[4:5]
	ds_bpermute_b32 v4, v46, v0
	ds_bpermute_b32 v5, v46, v1
	ds_bpermute_b32 v28, v46, v2
	s_waitcnt lgkmcnt(3)
	v_pk_add_f32 v[24:25], v[24:25], v[26:27]
	ds_bpermute_b32 v29, v46, v3
	;; [unrolled: 5-line block ×3, first 2 shown]
	s_waitcnt lgkmcnt(3)
	v_pk_add_f32 v[4:5], v[2:3], v[28:29]
	ds_bpermute_b32 v33, v44, v31
	s_waitcnt lgkmcnt(2)
	v_pk_add_f32 v[2:3], v[24:25], v[26:27]
	ds_bpermute_b32 v24, v45, v20
	ds_bpermute_b32 v25, v45, v21
	;; [unrolled: 1-line block ×4, first 2 shown]
	s_waitcnt lgkmcnt(4)
	v_pk_add_f32 v[0:1], v[30:31], v[32:33]
	ds_bpermute_b32 v30, v45, v16
	s_waitcnt lgkmcnt(3)
	v_pk_add_f32 v[20:21], v[20:21], v[24:25]
	ds_bpermute_b32 v24, v44, v20
	ds_bpermute_b32 v25, v44, v21
	s_waitcnt lgkmcnt(3)
	v_pk_add_f32 v[18:19], v[18:19], v[28:29]
	ds_bpermute_b32 v31, v45, v17
	ds_bpermute_b32 v28, v44, v18
	;; [unrolled: 1-line block ×3, first 2 shown]
	s_waitcnt lgkmcnt(3)
	v_pk_add_f32 v[24:25], v[20:21], v[24:25]
	ds_bpermute_b32 v32, v46, v24
	s_waitcnt lgkmcnt(3)
	v_pk_add_f32 v[16:17], v[16:17], v[30:31]
	ds_bpermute_b32 v33, v46, v25
	;; [unrolled: 3-line block ×3, first 2 shown]
	ds_bpermute_b32 v19, v44, v17
	ds_bpermute_b32 v30, v46, v28
	;; [unrolled: 1-line block ×5, first 2 shown]
	s_waitcnt lgkmcnt(4)
	v_pk_add_f32 v[34:35], v[16:17], v[18:19]
	v_pk_add_f32 v[18:19], v[24:25], v[32:33]
	ds_bpermute_b32 v24, v45, v12
	ds_bpermute_b32 v25, v45, v13
	s_waitcnt lgkmcnt(4)
	v_pk_add_f32 v[16:17], v[28:29], v[30:31]
	ds_bpermute_b32 v28, v45, v10
	ds_bpermute_b32 v29, v45, v11
	s_waitcnt lgkmcnt(4)
	v_pk_add_f32 v[38:39], v[14:15], v[20:21]
	s_waitcnt lgkmcnt(2)
	v_pk_add_f32 v[12:13], v[12:13], v[24:25]
	ds_bpermute_b32 v24, v44, v12
	ds_bpermute_b32 v25, v44, v13
	s_waitcnt lgkmcnt(2)
	v_pk_add_f32 v[10:11], v[10:11], v[28:29]
	ds_bpermute_b32 v30, v45, v8
	ds_bpermute_b32 v31, v45, v9
	;; [unrolled: 1-line block ×8, first 2 shown]
	s_waitcnt lgkmcnt(8)
	v_pk_add_f32 v[24:25], v[12:13], v[24:25]
	ds_bpermute_b32 v12, v45, v6
	ds_bpermute_b32 v13, v45, v7
	s_waitcnt lgkmcnt(8)
	v_pk_add_f32 v[8:9], v[8:9], v[30:31]
	ds_bpermute_b32 v36, v46, v34
	ds_bpermute_b32 v37, v46, v35
	s_waitcnt lgkmcnt(8)
	v_pk_add_f32 v[20:21], v[0:1], v[26:27]
	s_waitcnt lgkmcnt(6)
	v_pk_add_f32 v[0:1], v[38:39], v[40:41]
	;; [unrolled: 2-line block ×3, first 2 shown]
	ds_bpermute_b32 v10, v44, v8
	ds_bpermute_b32 v11, v44, v9
	s_waitcnt lgkmcnt(4)
	v_pk_add_f32 v[38:39], v[6:7], v[12:13]
	ds_bpermute_b32 v26, v46, v0
	ds_bpermute_b32 v27, v46, v1
	ds_bpermute_b32 v40, v44, v38
	ds_bpermute_b32 v41, v44, v39
	ds_bpermute_b32 v32, v46, v24
	ds_bpermute_b32 v33, v46, v25
	s_waitcnt lgkmcnt(8)
	v_pk_add_f32 v[14:15], v[34:35], v[36:37]
	s_waitcnt lgkmcnt(6)
	v_pk_add_f32 v[34:35], v[8:9], v[10:11]
	ds_bpermute_b32 v30, v46, v28
	ds_bpermute_b32 v31, v46, v29
	;; [unrolled: 1-line block ×4, first 2 shown]
	s_waitcnt lgkmcnt(8)
	v_pk_add_f32 v[12:13], v[0:1], v[26:27]
	s_waitcnt lgkmcnt(6)
	v_pk_add_f32 v[0:1], v[38:39], v[40:41]
	;; [unrolled: 2-line block ×3, first 2 shown]
	ds_bpermute_b32 v24, v46, v0
	ds_bpermute_b32 v25, v46, v1
	v_and_b32_e32 v26, 0x3c7, v42
	s_waitcnt lgkmcnt(4)
	v_pk_add_f32 v[8:9], v[28:29], v[30:31]
	s_waitcnt lgkmcnt(2)
	v_pk_add_f32 v[6:7], v[34:35], v[36:37]
	v_cmp_ne_u32_e32 vcc, 64, v26
	s_waitcnt lgkmcnt(0)
	s_barrier
	s_and_saveexec_b64 s[0:1], vcc
	s_xor_b64 s[0:1], exec, s[0:1]
; %bb.93:
                                        ; implicit-def: $vgpr43
; %bb.94:
	s_or_saveexec_b64 s[0:1], s[0:1]
	v_pk_add_f32 v[24:25], v[0:1], v[24:25]
	s_xor_b64 exec, exec, s[0:1]
	s_cbranch_execz .LBB243_96
; %bb.95:
	v_lshrrev_b32_e32 v0, 1, v43
	v_add_u32_e32 v0, 0x310, v0
	ds_write2_b32 v0, v22, v23 offset1:8
	ds_write2_b32 v0, v4, v5 offset0:16 offset1:24
	ds_write2_b32 v0, v2, v3 offset0:32 offset1:40
	;; [unrolled: 1-line block ×11, first 2 shown]
.LBB243_96:
	s_or_b64 exec, exec, s[0:1]
	v_cmp_gt_u32_e32 vcc, 64, v42
	s_waitcnt lgkmcnt(0)
	s_barrier
	s_and_saveexec_b64 s[0:1], vcc
	s_cbranch_execz .LBB243_123
; %bb.97:
	v_cmp_eq_u32_e32 vcc, 0, v47
	v_lshrrev_b32_e32 v0, 3, v42
	s_and_saveexec_b64 s[2:3], vcc
	s_cbranch_execnz .LBB243_126
; %bb.98:
	s_or_b64 exec, exec, s[2:3]
	s_and_saveexec_b64 s[2:3], vcc
	s_cbranch_execnz .LBB243_127
.LBB243_99:
	s_or_b64 exec, exec, s[2:3]
	s_and_saveexec_b64 s[2:3], vcc
	s_cbranch_execnz .LBB243_128
.LBB243_100:
	s_or_b64 exec, exec, s[2:3]
	s_and_saveexec_b64 s[2:3], vcc
	s_cbranch_execnz .LBB243_129
.LBB243_101:
	s_or_b64 exec, exec, s[2:3]
	s_and_saveexec_b64 s[2:3], vcc
	s_cbranch_execnz .LBB243_130
.LBB243_102:
	s_or_b64 exec, exec, s[2:3]
	s_and_saveexec_b64 s[2:3], vcc
	s_cbranch_execnz .LBB243_131
.LBB243_103:
	s_or_b64 exec, exec, s[2:3]
	s_and_saveexec_b64 s[2:3], vcc
	s_cbranch_execnz .LBB243_132
.LBB243_104:
	s_or_b64 exec, exec, s[2:3]
	s_and_saveexec_b64 s[2:3], vcc
	s_cbranch_execnz .LBB243_133
.LBB243_105:
	s_or_b64 exec, exec, s[2:3]
	s_and_saveexec_b64 s[2:3], vcc
	s_cbranch_execnz .LBB243_134
.LBB243_106:
	s_or_b64 exec, exec, s[2:3]
	s_and_saveexec_b64 s[2:3], vcc
	s_cbranch_execnz .LBB243_135
.LBB243_107:
	s_or_b64 exec, exec, s[2:3]
	s_and_saveexec_b64 s[2:3], vcc
	s_cbranch_execnz .LBB243_136
.LBB243_108:
	s_or_b64 exec, exec, s[2:3]
	s_and_saveexec_b64 s[2:3], vcc
	s_cbranch_execnz .LBB243_137
.LBB243_109:
	s_or_b64 exec, exec, s[2:3]
	s_and_saveexec_b64 s[2:3], vcc
	s_cbranch_execnz .LBB243_138
.LBB243_110:
	s_or_b64 exec, exec, s[2:3]
	s_and_saveexec_b64 s[2:3], vcc
	s_cbranch_execnz .LBB243_139
.LBB243_111:
	s_or_b64 exec, exec, s[2:3]
	s_and_saveexec_b64 s[2:3], vcc
	s_cbranch_execnz .LBB243_140
.LBB243_112:
	s_or_b64 exec, exec, s[2:3]
	s_and_saveexec_b64 s[2:3], vcc
	s_cbranch_execnz .LBB243_141
.LBB243_113:
	s_or_b64 exec, exec, s[2:3]
	s_and_saveexec_b64 s[2:3], vcc
	s_cbranch_execnz .LBB243_142
.LBB243_114:
	s_or_b64 exec, exec, s[2:3]
	s_and_saveexec_b64 s[2:3], vcc
	s_cbranch_execnz .LBB243_143
.LBB243_115:
	s_or_b64 exec, exec, s[2:3]
	s_and_saveexec_b64 s[2:3], vcc
	s_cbranch_execnz .LBB243_144
.LBB243_116:
	s_or_b64 exec, exec, s[2:3]
	s_and_saveexec_b64 s[2:3], vcc
	s_cbranch_execnz .LBB243_145
.LBB243_117:
	s_or_b64 exec, exec, s[2:3]
	s_and_saveexec_b64 s[2:3], vcc
	s_cbranch_execnz .LBB243_146
.LBB243_118:
	s_or_b64 exec, exec, s[2:3]
	s_and_saveexec_b64 s[2:3], vcc
	s_cbranch_execnz .LBB243_147
.LBB243_119:
	s_or_b64 exec, exec, s[2:3]
	s_and_saveexec_b64 s[2:3], vcc
	s_cbranch_execnz .LBB243_148
.LBB243_120:
	s_or_b64 exec, exec, s[2:3]
	s_and_saveexec_b64 s[2:3], vcc
	s_cbranch_execz .LBB243_122
.LBB243_121:
	v_mov_b32_e32 v1, 0x310
	v_lshl_add_u32 v0, v0, 2, v1
	ds_read_b32 v0, v0 offset:736
	s_waitcnt lgkmcnt(0)
	v_add_f32_e32 v25, v25, v0
.LBB243_122:
	s_or_b64 exec, exec, s[2:3]
.LBB243_123:
	s_or_b64 exec, exec, s[0:1]
	v_cmp_eq_u32_e32 vcc, 0, v26
	s_barrier
	s_and_saveexec_b64 s[0:1], vcc
	s_cbranch_execz .LBB243_125
; %bb.124:
	s_mul_i32 s0, s6, 0xc0
	s_ashr_i32 s1, s0, 31
	s_lshl_b64 s[0:1], s[0:1], 2
	s_add_u32 s2, s26, s0
	s_mul_i32 s0, s25, s24
	s_addc_u32 s3, s27, s1
	s_ashr_i32 s1, s0, 31
	s_lshl_b64 s[0:1], s[0:1], 2
	s_add_u32 s2, s2, s0
	s_mul_i32 s0, s4, 0xc0
	s_addc_u32 s3, s3, s1
	s_ashr_i32 s1, s0, 31
	s_lshl_b64 s[0:1], s[0:1], 2
	s_add_u32 s0, s2, s0
	s_addc_u32 s1, s3, s1
	v_lshrrev_b32_e32 v0, 1, v42
	global_store_dword v0, v22, s[0:1]
	global_store_dword v0, v23, s[0:1] offset:32
	global_store_dword v0, v4, s[0:1] offset:64
	;; [unrolled: 1-line block ×23, first 2 shown]
.LBB243_125:
	s_endpgm
.LBB243_126:
	v_mov_b32_e32 v1, 0x310
	v_lshl_add_u32 v1, v0, 2, v1
	ds_read_b32 v1, v1
	s_waitcnt lgkmcnt(0)
	v_add_f32_e32 v22, v22, v1
	s_or_b64 exec, exec, s[2:3]
	s_and_saveexec_b64 s[2:3], vcc
	s_cbranch_execz .LBB243_99
.LBB243_127:
	v_mov_b32_e32 v1, 0x310
	v_lshl_add_u32 v1, v0, 2, v1
	ds_read_b32 v1, v1 offset:32
	s_waitcnt lgkmcnt(0)
	v_add_f32_e32 v23, v23, v1
	s_or_b64 exec, exec, s[2:3]
	s_and_saveexec_b64 s[2:3], vcc
	s_cbranch_execz .LBB243_100
.LBB243_128:
	v_mov_b32_e32 v1, 0x310
	v_lshl_add_u32 v1, v0, 2, v1
	ds_read_b32 v1, v1 offset:64
	s_waitcnt lgkmcnt(0)
	v_add_f32_e32 v4, v4, v1
	s_or_b64 exec, exec, s[2:3]
	s_and_saveexec_b64 s[2:3], vcc
	s_cbranch_execz .LBB243_101
.LBB243_129:
	v_mov_b32_e32 v1, 0x310
	v_lshl_add_u32 v1, v0, 2, v1
	ds_read_b32 v1, v1 offset:96
	s_waitcnt lgkmcnt(0)
	v_add_f32_e32 v5, v5, v1
	s_or_b64 exec, exec, s[2:3]
	s_and_saveexec_b64 s[2:3], vcc
	s_cbranch_execz .LBB243_102
.LBB243_130:
	v_mov_b32_e32 v1, 0x310
	v_lshl_add_u32 v1, v0, 2, v1
	ds_read_b32 v1, v1 offset:128
	s_waitcnt lgkmcnt(0)
	v_add_f32_e32 v2, v2, v1
	s_or_b64 exec, exec, s[2:3]
	s_and_saveexec_b64 s[2:3], vcc
	s_cbranch_execz .LBB243_103
.LBB243_131:
	v_mov_b32_e32 v1, 0x310
	v_lshl_add_u32 v1, v0, 2, v1
	ds_read_b32 v1, v1 offset:160
	s_waitcnt lgkmcnt(0)
	v_add_f32_e32 v3, v3, v1
	s_or_b64 exec, exec, s[2:3]
	s_and_saveexec_b64 s[2:3], vcc
	s_cbranch_execz .LBB243_104
.LBB243_132:
	v_mov_b32_e32 v1, 0x310
	v_lshl_add_u32 v1, v0, 2, v1
	ds_read_b32 v1, v1 offset:192
	s_waitcnt lgkmcnt(0)
	v_add_f32_e32 v20, v20, v1
	s_or_b64 exec, exec, s[2:3]
	s_and_saveexec_b64 s[2:3], vcc
	s_cbranch_execz .LBB243_105
.LBB243_133:
	v_mov_b32_e32 v1, 0x310
	v_lshl_add_u32 v1, v0, 2, v1
	ds_read_b32 v1, v1 offset:224
	s_waitcnt lgkmcnt(0)
	v_add_f32_e32 v21, v21, v1
	s_or_b64 exec, exec, s[2:3]
	s_and_saveexec_b64 s[2:3], vcc
	s_cbranch_execz .LBB243_106
.LBB243_134:
	v_mov_b32_e32 v1, 0x310
	v_lshl_add_u32 v1, v0, 2, v1
	ds_read_b32 v1, v1 offset:256
	s_waitcnt lgkmcnt(0)
	v_add_f32_e32 v18, v18, v1
	s_or_b64 exec, exec, s[2:3]
	s_and_saveexec_b64 s[2:3], vcc
	s_cbranch_execz .LBB243_107
.LBB243_135:
	v_mov_b32_e32 v1, 0x310
	v_lshl_add_u32 v1, v0, 2, v1
	ds_read_b32 v1, v1 offset:288
	s_waitcnt lgkmcnt(0)
	v_add_f32_e32 v19, v19, v1
	s_or_b64 exec, exec, s[2:3]
	s_and_saveexec_b64 s[2:3], vcc
	s_cbranch_execz .LBB243_108
.LBB243_136:
	v_mov_b32_e32 v1, 0x310
	v_lshl_add_u32 v1, v0, 2, v1
	ds_read_b32 v1, v1 offset:320
	s_waitcnt lgkmcnt(0)
	v_add_f32_e32 v16, v16, v1
	s_or_b64 exec, exec, s[2:3]
	s_and_saveexec_b64 s[2:3], vcc
	s_cbranch_execz .LBB243_109
.LBB243_137:
	v_mov_b32_e32 v1, 0x310
	v_lshl_add_u32 v1, v0, 2, v1
	ds_read_b32 v1, v1 offset:352
	s_waitcnt lgkmcnt(0)
	v_add_f32_e32 v17, v17, v1
	s_or_b64 exec, exec, s[2:3]
	s_and_saveexec_b64 s[2:3], vcc
	s_cbranch_execz .LBB243_110
.LBB243_138:
	v_mov_b32_e32 v1, 0x310
	v_lshl_add_u32 v1, v0, 2, v1
	ds_read_b32 v1, v1 offset:384
	s_waitcnt lgkmcnt(0)
	v_add_f32_e32 v14, v14, v1
	s_or_b64 exec, exec, s[2:3]
	s_and_saveexec_b64 s[2:3], vcc
	s_cbranch_execz .LBB243_111
.LBB243_139:
	v_mov_b32_e32 v1, 0x310
	v_lshl_add_u32 v1, v0, 2, v1
	ds_read_b32 v1, v1 offset:416
	s_waitcnt lgkmcnt(0)
	v_add_f32_e32 v15, v15, v1
	s_or_b64 exec, exec, s[2:3]
	s_and_saveexec_b64 s[2:3], vcc
	s_cbranch_execz .LBB243_112
.LBB243_140:
	v_mov_b32_e32 v1, 0x310
	v_lshl_add_u32 v1, v0, 2, v1
	ds_read_b32 v1, v1 offset:448
	s_waitcnt lgkmcnt(0)
	v_add_f32_e32 v12, v12, v1
	s_or_b64 exec, exec, s[2:3]
	s_and_saveexec_b64 s[2:3], vcc
	s_cbranch_execz .LBB243_113
.LBB243_141:
	v_mov_b32_e32 v1, 0x310
	v_lshl_add_u32 v1, v0, 2, v1
	ds_read_b32 v1, v1 offset:480
	s_waitcnt lgkmcnt(0)
	v_add_f32_e32 v13, v13, v1
	s_or_b64 exec, exec, s[2:3]
	s_and_saveexec_b64 s[2:3], vcc
	s_cbranch_execz .LBB243_114
.LBB243_142:
	v_mov_b32_e32 v1, 0x310
	v_lshl_add_u32 v1, v0, 2, v1
	ds_read_b32 v1, v1 offset:512
	s_waitcnt lgkmcnt(0)
	v_add_f32_e32 v10, v10, v1
	s_or_b64 exec, exec, s[2:3]
	s_and_saveexec_b64 s[2:3], vcc
	s_cbranch_execz .LBB243_115
.LBB243_143:
	v_mov_b32_e32 v1, 0x310
	v_lshl_add_u32 v1, v0, 2, v1
	ds_read_b32 v1, v1 offset:544
	s_waitcnt lgkmcnt(0)
	v_add_f32_e32 v11, v11, v1
	s_or_b64 exec, exec, s[2:3]
	s_and_saveexec_b64 s[2:3], vcc
	s_cbranch_execz .LBB243_116
.LBB243_144:
	v_mov_b32_e32 v1, 0x310
	v_lshl_add_u32 v1, v0, 2, v1
	ds_read_b32 v1, v1 offset:576
	s_waitcnt lgkmcnt(0)
	v_add_f32_e32 v8, v8, v1
	s_or_b64 exec, exec, s[2:3]
	s_and_saveexec_b64 s[2:3], vcc
	s_cbranch_execz .LBB243_117
.LBB243_145:
	v_mov_b32_e32 v1, 0x310
	v_lshl_add_u32 v1, v0, 2, v1
	ds_read_b32 v1, v1 offset:608
	s_waitcnt lgkmcnt(0)
	v_add_f32_e32 v9, v9, v1
	s_or_b64 exec, exec, s[2:3]
	s_and_saveexec_b64 s[2:3], vcc
	s_cbranch_execz .LBB243_118
.LBB243_146:
	v_mov_b32_e32 v1, 0x310
	v_lshl_add_u32 v1, v0, 2, v1
	ds_read_b32 v1, v1 offset:640
	s_waitcnt lgkmcnt(0)
	v_add_f32_e32 v6, v6, v1
	s_or_b64 exec, exec, s[2:3]
	s_and_saveexec_b64 s[2:3], vcc
	s_cbranch_execz .LBB243_119
.LBB243_147:
	v_mov_b32_e32 v1, 0x310
	v_lshl_add_u32 v1, v0, 2, v1
	ds_read_b32 v1, v1 offset:672
	s_waitcnt lgkmcnt(0)
	v_add_f32_e32 v7, v7, v1
	s_or_b64 exec, exec, s[2:3]
	s_and_saveexec_b64 s[2:3], vcc
	s_cbranch_execz .LBB243_120
.LBB243_148:
	v_mov_b32_e32 v1, 0x310
	v_lshl_add_u32 v1, v0, 2, v1
	ds_read_b32 v1, v1 offset:704
	s_waitcnt lgkmcnt(0)
	v_add_f32_e32 v24, v24, v1
	s_or_b64 exec, exec, s[2:3]
	s_and_saveexec_b64 s[2:3], vcc
	s_cbranch_execnz .LBB243_121
	s_branch .LBB243_122
	.section	.rodata,"a",@progbits
	.p2align	6, 0x0
	.amdhsa_kernel _ZN4vllm25paged_attention_v2_kernelIfhLi192ELi32ELi128ELNS_18Fp8KVCacheDataTypeE1ELb0ELi512EEEvPfS2_PT_PKS3_PKT0_S9_ifPKiSB_iPKfiiiSD_SD_iiiii
		.amdhsa_group_segment_fixed_size 784
		.amdhsa_private_segment_fixed_size 140
		.amdhsa_kernarg_size 400
		.amdhsa_user_sgpr_count 2
		.amdhsa_user_sgpr_dispatch_ptr 0
		.amdhsa_user_sgpr_queue_ptr 0
		.amdhsa_user_sgpr_kernarg_segment_ptr 1
		.amdhsa_user_sgpr_dispatch_id 0
		.amdhsa_user_sgpr_kernarg_preload_length 0
		.amdhsa_user_sgpr_kernarg_preload_offset 0
		.amdhsa_user_sgpr_private_segment_size 0
		.amdhsa_uses_dynamic_stack 0
		.amdhsa_enable_private_segment 1
		.amdhsa_system_sgpr_workgroup_id_x 1
		.amdhsa_system_sgpr_workgroup_id_y 1
		.amdhsa_system_sgpr_workgroup_id_z 1
		.amdhsa_system_sgpr_workgroup_info 0
		.amdhsa_system_vgpr_workitem_id 0
		.amdhsa_next_free_vgpr 128
		.amdhsa_next_free_sgpr 55
		.amdhsa_accum_offset 128
		.amdhsa_reserve_vcc 1
		.amdhsa_float_round_mode_32 0
		.amdhsa_float_round_mode_16_64 0
		.amdhsa_float_denorm_mode_32 3
		.amdhsa_float_denorm_mode_16_64 3
		.amdhsa_dx10_clamp 1
		.amdhsa_ieee_mode 1
		.amdhsa_fp16_overflow 0
		.amdhsa_tg_split 0
		.amdhsa_exception_fp_ieee_invalid_op 0
		.amdhsa_exception_fp_denorm_src 0
		.amdhsa_exception_fp_ieee_div_zero 0
		.amdhsa_exception_fp_ieee_overflow 0
		.amdhsa_exception_fp_ieee_underflow 0
		.amdhsa_exception_fp_ieee_inexact 0
		.amdhsa_exception_int_div_zero 0
	.end_amdhsa_kernel
	.section	.text._ZN4vllm25paged_attention_v2_kernelIfhLi192ELi32ELi128ELNS_18Fp8KVCacheDataTypeE1ELb0ELi512EEEvPfS2_PT_PKS3_PKT0_S9_ifPKiSB_iPKfiiiSD_SD_iiiii,"axG",@progbits,_ZN4vllm25paged_attention_v2_kernelIfhLi192ELi32ELi128ELNS_18Fp8KVCacheDataTypeE1ELb0ELi512EEEvPfS2_PT_PKS3_PKT0_S9_ifPKiSB_iPKfiiiSD_SD_iiiii,comdat
.Lfunc_end243:
	.size	_ZN4vllm25paged_attention_v2_kernelIfhLi192ELi32ELi128ELNS_18Fp8KVCacheDataTypeE1ELb0ELi512EEEvPfS2_PT_PKS3_PKT0_S9_ifPKiSB_iPKfiiiSD_SD_iiiii, .Lfunc_end243-_ZN4vllm25paged_attention_v2_kernelIfhLi192ELi32ELi128ELNS_18Fp8KVCacheDataTypeE1ELb0ELi512EEEvPfS2_PT_PKS3_PKT0_S9_ifPKiSB_iPKfiiiSD_SD_iiiii
                                        ; -- End function
	.section	.AMDGPU.csdata,"",@progbits
; Kernel info:
; codeLenInByte = 11980
; NumSgprs: 61
; NumVgprs: 128
; NumAgprs: 0
; TotalNumVgprs: 128
; ScratchSize: 140
; MemoryBound: 0
; FloatMode: 240
; IeeeMode: 1
; LDSByteSize: 784 bytes/workgroup (compile time only)
; SGPRBlocks: 7
; VGPRBlocks: 15
; NumSGPRsForWavesPerEU: 61
; NumVGPRsForWavesPerEU: 128
; AccumOffset: 128
; Occupancy: 4
; WaveLimiterHint : 1
; COMPUTE_PGM_RSRC2:SCRATCH_EN: 1
; COMPUTE_PGM_RSRC2:USER_SGPR: 2
; COMPUTE_PGM_RSRC2:TRAP_HANDLER: 0
; COMPUTE_PGM_RSRC2:TGID_X_EN: 1
; COMPUTE_PGM_RSRC2:TGID_Y_EN: 1
; COMPUTE_PGM_RSRC2:TGID_Z_EN: 1
; COMPUTE_PGM_RSRC2:TIDIG_COMP_CNT: 0
; COMPUTE_PGM_RSRC3_GFX90A:ACCUM_OFFSET: 31
; COMPUTE_PGM_RSRC3_GFX90A:TG_SPLIT: 0
	.section	.text._ZN4vllm25paged_attention_v2_kernelIfhLi256ELi32ELi128ELNS_18Fp8KVCacheDataTypeE1ELb0ELi512EEEvPfS2_PT_PKS3_PKT0_S9_ifPKiSB_iPKfiiiSD_SD_iiiii,"axG",@progbits,_ZN4vllm25paged_attention_v2_kernelIfhLi256ELi32ELi128ELNS_18Fp8KVCacheDataTypeE1ELb0ELi512EEEvPfS2_PT_PKS3_PKT0_S9_ifPKiSB_iPKfiiiSD_SD_iiiii,comdat
	.protected	_ZN4vllm25paged_attention_v2_kernelIfhLi256ELi32ELi128ELNS_18Fp8KVCacheDataTypeE1ELb0ELi512EEEvPfS2_PT_PKS3_PKT0_S9_ifPKiSB_iPKfiiiSD_SD_iiiii ; -- Begin function _ZN4vllm25paged_attention_v2_kernelIfhLi256ELi32ELi128ELNS_18Fp8KVCacheDataTypeE1ELb0ELi512EEEvPfS2_PT_PKS3_PKT0_S9_ifPKiSB_iPKfiiiSD_SD_iiiii
	.globl	_ZN4vllm25paged_attention_v2_kernelIfhLi256ELi32ELi128ELNS_18Fp8KVCacheDataTypeE1ELb0ELi512EEEvPfS2_PT_PKS3_PKT0_S9_ifPKiSB_iPKfiiiSD_SD_iiiii
	.p2align	8
	.type	_ZN4vllm25paged_attention_v2_kernelIfhLi256ELi32ELi128ELNS_18Fp8KVCacheDataTypeE1ELb0ELi512EEEvPfS2_PT_PKS3_PKT0_S9_ifPKiSB_iPKfiiiSD_SD_iiiii,@function
_ZN4vllm25paged_attention_v2_kernelIfhLi256ELi32ELi128ELNS_18Fp8KVCacheDataTypeE1ELb0ELi512EEEvPfS2_PT_PKS3_PKT0_S9_ifPKiSB_iPKfiiiSD_SD_iiiii: ; @_ZN4vllm25paged_attention_v2_kernelIfhLi256ELi32ELi128ELNS_18Fp8KVCacheDataTypeE1ELb0ELi512EEEvPfS2_PT_PKS3_PKT0_S9_ifPKiSB_iPKfiiiSD_SD_iiiii
; %bb.0:
	s_load_dwordx2 s[6:7], s[0:1], 0x40
	s_mov_b32 s34, s3
	s_ashr_i32 s35, s3, 31
	s_lshl_b64 s[8:9], s[34:35], 2
	s_waitcnt lgkmcnt(0)
	s_add_u32 s6, s6, s8
	s_addc_u32 s7, s7, s9
	s_load_dword s33, s[6:7], 0x0
	s_lshl_b32 s58, s4, 9
	s_waitcnt lgkmcnt(0)
	s_cmp_ge_i32 s58, s33
	s_cbranch_scc1 .LBB244_149
; %bb.1:
	s_load_dword s5, s[0:1], 0x90
	s_load_dwordx2 s[10:11], s[0:1], 0x30
	v_mov_b32_e32 v50, v0
	s_waitcnt lgkmcnt(0)
	s_abs_i32 s7, s5
	s_abs_i32 s3, s10
	v_cvt_f32_u32_e32 v0, s3
	s_sub_i32 s8, 0, s3
	s_xor_b32 s6, s5, s10
	s_ashr_i32 s6, s6, 31
	v_rcp_iflag_f32_e32 v0, v0
	s_nop 0
	v_mul_f32_e32 v0, 0x4f7ffffe, v0
	v_cvt_u32_f32_e32 v0, v0
	s_nop 0
	v_readfirstlane_b32 s9, v0
	s_mul_i32 s8, s8, s9
	s_mul_hi_u32 s8, s9, s8
	s_add_i32 s9, s9, s8
	s_mul_hi_u32 s8, s7, s9
	s_mul_i32 s9, s8, s3
	s_sub_i32 s7, s7, s9
	s_add_i32 s10, s8, 1
	s_sub_i32 s9, s7, s3
	s_cmp_ge_u32 s7, s3
	s_cselect_b32 s8, s10, s8
	s_cselect_b32 s7, s9, s7
	s_add_i32 s9, s8, 1
	s_cmp_ge_u32 s7, s3
	s_cselect_b32 s3, s9, s8
	s_xor_b32 s3, s3, s6
	s_sub_i32 s12, s3, s6
	s_abs_i32 s8, s12
	v_cvt_f32_u32_e32 v0, s8
	s_load_dwordx2 s[6:7], s[0:1], 0x50
	s_sub_i32 s3, 0, s8
	s_abs_i32 s9, s2
	v_rcp_iflag_f32_e32 v0, v0
	s_mov_b32 s10, 0
	v_mul_f32_e32 v0, 0x4f7ffffe, v0
	v_cvt_u32_f32_e32 v0, v0
	s_nop 0
	v_readfirstlane_b32 s13, v0
	s_mul_i32 s3, s3, s13
	s_mul_hi_u32 s3, s13, s3
	s_add_i32 s13, s13, s3
	s_waitcnt lgkmcnt(0)
	s_cmp_eq_u64 s[6:7], 0
	s_mul_hi_u32 s16, s9, s13
	s_cbranch_scc1 .LBB244_3
; %bb.2:
	s_ashr_i32 s3, s2, 31
	s_lshl_b64 s[14:15], s[2:3], 2
	s_add_u32 s6, s6, s14
	s_addc_u32 s7, s7, s15
	s_load_dword s10, s[6:7], 0x0
.LBB244_3:
	s_ashr_i32 s18, s12, 31
	s_load_dwordx4 s[12:15], s[0:1], 0x58
	s_movk_i32 s3, 0x80
	s_ashr_i32 s17, s2, 31
	v_and_b32_e32 v0, 1, v50
	s_lshl_b32 s24, s2, 8
	v_cmp_gt_u32_e32 vcc, s3, v50
	v_lshlrev_b32_e32 v40, 2, v50
	s_and_saveexec_b64 s[6:7], vcc
	s_cbranch_execz .LBB244_5
; %bb.4:
	s_load_dwordx2 s[20:21], s[0:1], 0x18
	s_waitcnt lgkmcnt(0)
	s_mul_i32 s22, s34, s12
	s_ashr_i32 s23, s22, 31
	s_lshl_b64 s[22:23], s[22:23], 2
	v_lshlrev_b32_e32 v1, 3, v50
	s_add_u32 s3, s20, s22
	s_addc_u32 s12, s21, s23
	s_ashr_i32 s25, s24, 31
	s_lshl_b64 s[20:21], s[24:25], 2
	s_add_u32 s20, s3, s20
	s_addc_u32 s21, s12, s21
	global_load_dwordx2 v[2:3], v1, s[20:21]
	v_and_b32_e32 v1, 0xff8, v40
	v_lshl_add_u32 v1, v0, 9, v1
	s_waitcnt vmcnt(0)
	ds_write_b64 v1, v[2:3]
.LBB244_5:
	s_or_b64 exec, exec, s[6:7]
	s_add_i32 s3, s33, 31
	s_ashr_i32 s6, s3, 31
	s_lshr_b32 s6, s6, 27
	s_add_i32 s3, s3, s6
	s_waitcnt lgkmcnt(0)
	s_ashr_i32 s12, s3, 5
	s_lshl_b32 s3, s4, 4
	s_mul_i32 s7, s16, s8
	s_add_i32 s6, s3, 16
	s_sub_i32 s7, s9, s7
	s_min_i32 s35, s6, s12
	s_xor_b32 s6, s17, s18
	s_add_i32 s9, s16, 1
	s_sub_i32 s15, s7, s8
	s_cmp_ge_u32 s7, s8
	s_cselect_b32 s9, s9, s16
	s_cselect_b32 s7, s15, s7
	s_add_i32 s15, s9, 1
	s_cmp_ge_u32 s7, s8
	s_load_dwordx2 s[28:29], s[0:1], 0x38
	s_load_dword s8, s[0:1], 0x48
	v_lshrrev_b32_e32 v126, 6, v50
	s_cselect_b32 s7, s15, s9
	s_xor_b32 s7, s7, s6
	v_or_b32_e32 v38, s3, v126
	s_waitcnt lgkmcnt(0)
	s_mul_i32 s30, s34, s8
	s_sub_i32 s59, s7, s6
	s_ashr_i32 s31, s30, 31
	v_cmp_gt_i32_e64 s[8:9], s35, v38
	v_cmp_le_i32_e32 vcc, s35, v38
	v_mbcnt_lo_u32_b32 v1, -1, 0
	s_barrier
	s_waitcnt lgkmcnt(0)
                                        ; implicit-def: $sgpr15
                                        ; implicit-def: $vgpr7
                                        ; implicit-def: $vgpr8
	s_and_saveexec_b64 s[6:7], vcc
	s_xor_b64 s[6:7], exec, s[6:7]
; %bb.6:
	v_mbcnt_hi_u32_b32 v7, -1, v1
	v_and_b32_e32 v0, 64, v7
	v_add_u32_e32 v8, 64, v0
	s_mov_b32 s15, 0xff7fffff
                                        ; implicit-def: $vgpr0
                                        ; implicit-def: $vgpr1
; %bb.7:
	s_or_saveexec_b64 s[38:39], s[6:7]
	s_load_dwordx4 s[20:23], s[0:1], 0x0
	s_load_dwordx2 s[26:27], s[0:1], 0x10
	s_load_dword s25, s[0:1], 0x98
	s_load_dwordx2 s[36:37], s[0:1], 0x28
	s_load_dwordx4 s[16:19], s[0:1], 0x68
	v_mov_b32_e32 v2, s15
	s_mul_i32 s59, s59, s14
	v_ashrrev_i32_e32 v39, 31, v38
	scratch_store_dword off, v50, off offset:364 ; 4-byte Folded Spill
	s_xor_b64 exec, exec, s[38:39]
	s_cbranch_execz .LBB244_13
; %bb.8:
	s_load_dwordx2 s[0:1], s[0:1], 0x20
	s_ashr_i32 s6, s59, 31
	v_bfe_u32 v6, v50, 1, 5
	v_lshlrev_b32_e32 v2, 4, v6
	v_mov_b32_e32 v3, 0
	s_waitcnt lgkmcnt(0)
	s_add_u32 s0, s0, s59
	s_addc_u32 s1, s1, s6
	v_lshl_add_u64 v[4:5], s[0:1], 0, v[2:3]
	v_lshlrev_b32_e32 v2, 1, v0
	scratch_store_dwordx2 off, v[2:3], off offset:8 ; 8-byte Folded Spill
	v_lshlrev_b32_e32 v2, 9, v0
	ds_read_b128 v[8:11], v2
	scratch_store_dwordx2 off, v[4:5], off offset:16 ; 8-byte Folded Spill
	v_mbcnt_hi_u32_b32 v4, -1, v1
	v_and_b32_e32 v3, 64, v4
	v_xor_b32_e32 v1, 1, v4
	s_waitcnt lgkmcnt(0)
	scratch_store_dwordx4 off, v[8:11], off offset:24 ; 16-byte Folded Spill
	ds_read_b128 v[8:11], v2 offset:16
	v_add_u32_e32 v3, 64, v3
	v_cmp_lt_i32_e32 vcc, v1, v3
	scratch_store_dword off, v40, off offset:96 ; 4-byte Folded Spill
	s_sub_i32 s61, 1, s33
	s_waitcnt lgkmcnt(0)
	scratch_store_dwordx4 off, v[8:11], off offset:40 ; 16-byte Folded Spill
	ds_read_b128 v[8:11], v2 offset:32
	v_cndmask_b32_e32 v1, v4, v1, vcc
	v_lshlrev_b32_e32 v1, 2, v1
	v_cmp_eq_u32_e32 vcc, 0, v0
	v_lshlrev_b32_e32 v0, 5, v126
	s_waitcnt lgkmcnt(0)
	scratch_store_dwordx4 off, v[8:11], off offset:56 ; 16-byte Folded Spill
	ds_read_b128 v[8:11], v2 offset:48
	s_lshl_b64 s[0:1], s[30:31], 2
	s_add_u32 s0, s28, s0
	s_addc_u32 s1, s29, s1
	s_mov_b32 s60, s13
	s_waitcnt lgkmcnt(0)
	scratch_store_dwordx4 off, v[8:11], off offset:72 ; 16-byte Folded Spill
	ds_read_b128 v[18:21], v2 offset:64
	ds_read_b128 v[22:25], v2 offset:80
	ds_read_b128 v[26:29], v2 offset:96
	ds_read_b128 v[30:33], v2 offset:112
	ds_read_b128 v[34:37], v2 offset:128
	v_mov_b64_e32 v[10:11], v[38:39]
	ds_read_b128 v[38:41], v2 offset:144
	ds_read_b128 v[42:45], v2 offset:160
	;; [unrolled: 1-line block ×4, first 2 shown]
	scratch_store_dword off, v3, off offset:120 ; 4-byte Folded Spill
	scratch_store_dword off, v4, off offset:112 ; 4-byte Folded Spill
	scratch_store_dword off, v1, off offset:88 ; 4-byte Folded Spill
	ds_read_b128 v[54:57], v2 offset:208
	ds_read_b128 v[58:61], v2 offset:224
	;; [unrolled: 1-line block ×19, first 2 shown]
	s_load_dword s14, s[16:17], 0x0
	v_add3_u32 v8, s58, v0, v6
	v_lshlrev_b32_e32 v0, 2, v6
	v_lshl_or_b32 v0, v126, 7, v0
	v_cmp_neq_f32_e64 s[6:7], s10, 0
	s_waitcnt lgkmcnt(0)
	s_mov_b32 s15, s14
	v_add_u32_e32 v9, 0x410, v0
	v_lshl_add_u64 v[0:1], v[10:11], 2, s[0:1]
	s_mov_b64 s[16:17], 0
	v_mov_b32_e32 v6, 0xff7fffff
	s_mov_b64 s[40:41], 0x1000
	s_movk_i32 s62, 0x1000
	s_mov_b64 s[42:43], 0x1200
	s_mov_b64 s[44:45], 0x1400
	;; [unrolled: 1-line block ×7, first 2 shown]
	scratch_store_dword off, v126, off offset:104 ; 4-byte Folded Spill
	scratch_store_dword off, v6, off        ; 4-byte Folded Spill
	scratch_store_dwordx2 off, v[10:11], off offset:192 ; 8-byte Folded Spill
	s_branch .LBB244_10
.LBB244_9:                              ;   in Loop: Header=BB244_10 Depth=1
	s_or_b64 exec, exec, s[56:57]
	v_add_u32_e32 v10, 2, v10
	v_cmp_le_i32_e64 s[0:1], s35, v10
	v_add_u32_e32 v8, 64, v8
	v_add_u32_e32 v9, 0x100, v9
	s_or_b64 s[16:17], s[0:1], s[16:17]
	v_lshl_add_u64 v[0:1], v[0:1], 0, 8
	s_andn2_b64 exec, exec, s[16:17]
	s_cbranch_execz .LBB244_12
.LBB244_10:                             ; =>This Inner Loop Header: Depth=1
	global_load_dword v6, v[0:1], off
	scratch_load_dwordx2 v[12:13], off, off offset:16 ; 8-byte Folded Reload
	scratch_load_dwordx4 v[14:17], off, off offset:24 ; 16-byte Folded Reload
	s_waitcnt vmcnt(1) lgkmcnt(0)
	v_mad_i64_i32 v[6:7], s[0:1], v6, s60, v[12:13]
	scratch_load_dwordx2 v[12:13], off, off offset:8 ; 8-byte Folded Reload
	s_waitcnt vmcnt(0)
	v_lshl_add_u64 v[126:127], v[6:7], 0, v[12:13]
	global_load_ushort v6, v[126:127], off offset:4
	s_waitcnt vmcnt(0)
	v_cvt_pk_f32_fp8_e32 v[6:7], v6
	v_pk_mul_f32 v[6:7], s[14:15], v[6:7]
	s_nop 0
	v_mul_f32_e32 v11, v16, v6
	global_load_ushort v6, v[126:127], off
	v_mul_f32_e32 v12, v17, v7
	s_waitcnt vmcnt(0)
	v_cvt_pk_f32_fp8_e32 v[6:7], v6
	v_pk_mul_f32 v[6:7], s[14:15], v[6:7]
	s_nop 0
	v_fmac_f32_e32 v11, v14, v6
	global_load_ushort v6, v[126:127], off offset:8
	v_fmac_f32_e32 v12, v15, v7
	scratch_load_dwordx4 v[14:17], off, off offset:40 ; 16-byte Folded Reload
	s_waitcnt vmcnt(1)
	v_cvt_pk_f32_fp8_e32 v[6:7], v6
	v_pk_mul_f32 v[6:7], s[14:15], v[6:7]
	s_waitcnt vmcnt(0)
	v_fmac_f32_e32 v11, v14, v6
	global_load_ushort v6, v[126:127], off offset:12
	v_fmac_f32_e32 v12, v15, v7
	s_waitcnt vmcnt(0)
	v_cvt_pk_f32_fp8_e32 v[6:7], v6
	v_pk_mul_f32 v[6:7], s[14:15], v[6:7]
	s_nop 0
	v_fmac_f32_e32 v11, v16, v6
	global_load_ushort v6, v[126:127], off offset:512
	v_fmac_f32_e32 v12, v17, v7
	scratch_load_dwordx4 v[14:17], off, off offset:56 ; 16-byte Folded Reload
	s_waitcnt vmcnt(1)
	v_cvt_pk_f32_fp8_e32 v[6:7], v6
	v_pk_mul_f32 v[6:7], s[14:15], v[6:7]
	s_waitcnt vmcnt(0)
	v_fmac_f32_e32 v11, v14, v6
	global_load_ushort v6, v[126:127], off offset:516
	v_fmac_f32_e32 v12, v15, v7
	s_waitcnt vmcnt(0)
	v_cvt_pk_f32_fp8_e32 v[6:7], v6
	v_pk_mul_f32 v[6:7], s[14:15], v[6:7]
	s_nop 0
	v_fmac_f32_e32 v11, v16, v6
	global_load_ushort v6, v[126:127], off offset:520
	v_fmac_f32_e32 v12, v17, v7
	scratch_load_dwordx4 v[14:17], off, off offset:72 ; 16-byte Folded Reload
	s_waitcnt vmcnt(1)
	v_cvt_pk_f32_fp8_e32 v[6:7], v6
	v_pk_mul_f32 v[6:7], s[14:15], v[6:7]
	s_waitcnt vmcnt(0)
	v_fmac_f32_e32 v11, v14, v6
	global_load_ushort v6, v[126:127], off offset:524
	v_fmac_f32_e32 v12, v15, v7
	s_waitcnt vmcnt(0)
	v_cvt_pk_f32_fp8_e32 v[6:7], v6
	v_pk_mul_f32 v[6:7], s[14:15], v[6:7]
	s_nop 0
	v_fmac_f32_e32 v11, v16, v6
	global_load_ushort v6, v[126:127], off offset:1024
	v_fmac_f32_e32 v12, v17, v7
	s_waitcnt vmcnt(0)
	v_cvt_pk_f32_fp8_e32 v[6:7], v6
	v_pk_mul_f32 v[6:7], s[14:15], v[6:7]
	s_nop 0
	v_fmac_f32_e32 v11, v18, v6
	global_load_ushort v6, v[126:127], off offset:1028
	v_fmac_f32_e32 v12, v19, v7
	;; [unrolled: 7-line block ×24, first 2 shown]
	s_waitcnt vmcnt(0)
	v_cvt_pk_f32_fp8_e32 v[6:7], v6
	v_pk_mul_f32 v[6:7], s[14:15], v[6:7]
	s_nop 0
	v_fmac_f32_e32 v11, v64, v6
	v_add_co_u32_e64 v6, s[0:1], s62, v126
	v_fmac_f32_e32 v12, v65, v7
	s_nop 0
	v_addc_co_u32_e64 v7, s[0:1], 0, v127, s[0:1]
	global_load_ushort v13, v[6:7], off
	s_waitcnt vmcnt(0)
	v_cvt_pk_f32_fp8_e32 v[14:15], v13
	v_pk_mul_f32 v[14:15], s[14:15], v[14:15]
	s_nop 0
	v_fmac_f32_e32 v11, v66, v14
	v_fmac_f32_e32 v12, v67, v15
	v_lshl_add_u64 v[14:15], v[126:127], 0, s[40:41]
	global_load_ushort v13, v[14:15], off offset:4
	s_waitcnt vmcnt(0)
	v_cvt_pk_f32_fp8_e32 v[16:17], v13
	global_load_ushort v13, v[14:15], off offset:8
	v_pk_mul_f32 v[16:17], s[14:15], v[16:17]
	s_nop 0
	v_fmac_f32_e32 v11, v68, v16
	v_fmac_f32_e32 v12, v69, v17
	s_waitcnt vmcnt(0)
	v_cvt_pk_f32_fp8_e32 v[16:17], v13
	global_load_ushort v13, v[14:15], off offset:12
	v_pk_mul_f32 v[16:17], s[14:15], v[16:17]
	s_nop 0
	v_fmac_f32_e32 v11, v70, v16
	v_fmac_f32_e32 v12, v71, v17
	s_waitcnt vmcnt(0)
	v_cvt_pk_f32_fp8_e32 v[14:15], v13
	global_load_ushort v13, v[6:7], off offset:512
	v_pk_mul_f32 v[14:15], s[14:15], v[14:15]
	s_nop 0
	v_fmac_f32_e32 v11, v72, v14
	v_fmac_f32_e32 v12, v73, v15
	s_waitcnt vmcnt(0)
	v_cvt_pk_f32_fp8_e32 v[14:15], v13
	v_pk_mul_f32 v[14:15], s[14:15], v[14:15]
	s_nop 0
	v_fmac_f32_e32 v11, v74, v14
	v_fmac_f32_e32 v12, v75, v15
	v_lshl_add_u64 v[14:15], v[126:127], 0, s[42:43]
	global_load_ushort v13, v[14:15], off offset:4
	s_waitcnt vmcnt(0)
	v_cvt_pk_f32_fp8_e32 v[16:17], v13
	global_load_ushort v13, v[14:15], off offset:8
	v_pk_mul_f32 v[16:17], s[14:15], v[16:17]
	s_nop 0
	v_fmac_f32_e32 v11, v76, v16
	v_fmac_f32_e32 v12, v77, v17
	s_waitcnt vmcnt(0)
	v_cvt_pk_f32_fp8_e32 v[16:17], v13
	global_load_ushort v13, v[14:15], off offset:12
	v_pk_mul_f32 v[16:17], s[14:15], v[16:17]
	s_nop 0
	v_fmac_f32_e32 v11, v78, v16
	v_fmac_f32_e32 v12, v79, v17
	s_waitcnt vmcnt(0)
	v_cvt_pk_f32_fp8_e32 v[14:15], v13
	global_load_ushort v13, v[6:7], off offset:1024
	v_pk_mul_f32 v[14:15], s[14:15], v[14:15]
	s_nop 0
	v_fmac_f32_e32 v11, v80, v14
	v_fmac_f32_e32 v12, v81, v15
	;; [unrolled: 29-line block ×6, first 2 shown]
	global_load_ushort v6, v[6:7], off offset:3584
	s_waitcnt vmcnt(1)
	v_cvt_pk_f32_fp8_e32 v[14:15], v13
	v_pk_mul_f32 v[14:15], s[14:15], v[14:15]
	s_nop 0
	v_fmac_f32_e32 v11, v114, v14
	v_fmac_f32_e32 v12, v115, v15
	v_lshl_add_u64 v[14:15], v[126:127], 0, s[52:53]
	global_load_ushort v13, v[14:15], off offset:4
	s_waitcnt vmcnt(1)
	v_cvt_pk_f32_fp8_e32 v[6:7], v6
	v_pk_mul_f32 v[6:7], s[14:15], v[6:7]
	s_waitcnt vmcnt(0)
	v_cvt_pk_f32_fp8_e32 v[16:17], v13
	global_load_ushort v13, v[14:15], off offset:8
	v_pk_mul_f32 v[16:17], s[14:15], v[16:17]
	s_nop 0
	v_fmac_f32_e32 v11, v116, v16
	v_fmac_f32_e32 v12, v117, v17
	s_waitcnt vmcnt(0)
	v_cvt_pk_f32_fp8_e32 v[16:17], v13
	global_load_ushort v13, v[14:15], off offset:12
	v_pk_mul_f32 v[16:17], s[14:15], v[16:17]
	s_nop 0
	v_fmac_f32_e32 v11, v118, v16
	v_fmac_f32_e32 v12, v119, v17
	s_waitcnt vmcnt(0)
	v_cvt_pk_f32_fp8_e32 v[14:15], v13
	v_pk_mul_f32 v[14:15], s[14:15], v[14:15]
	s_nop 0
	v_fmac_f32_e32 v11, v120, v14
	v_fmac_f32_e32 v12, v121, v15
	v_fmac_f32_e32 v11, v122, v6
	v_fmac_f32_e32 v12, v123, v7
	v_lshl_add_u64 v[6:7], v[126:127], 0, s[54:55]
	global_load_ushort v13, v[6:7], off offset:4
	s_waitcnt vmcnt(0)
	v_cvt_pk_f32_fp8_e32 v[14:15], v13
	global_load_ushort v13, v[6:7], off offset:8
	v_pk_mul_f32 v[14:15], s[14:15], v[14:15]
	global_load_ushort v6, v[6:7], off offset:12
	v_fmac_f32_e32 v11, v124, v14
	v_fmac_f32_e32 v12, v125, v15
	s_waitcnt vmcnt(1)
	v_cvt_pk_f32_fp8_e32 v[14:15], v13
	s_waitcnt vmcnt(0)
	v_cvt_pk_f32_fp8_e32 v[6:7], v6
	v_pk_mul_f32 v[14:15], s[14:15], v[14:15]
	v_pk_mul_f32 v[6:7], s[14:15], v[6:7]
	v_fmac_f32_e32 v12, v3, v15
	v_fmac_f32_e32 v12, v5, v7
	scratch_load_dword v7, off, off offset:88 ; 4-byte Folded Reload
	v_fmac_f32_e32 v11, v2, v14
	v_fmac_f32_e32 v11, v4, v6
	v_add_f32_e32 v6, v11, v12
	s_waitcnt vmcnt(0)
	ds_bpermute_b32 v7, v7, v6
	s_and_saveexec_b64 s[56:57], vcc
	s_cbranch_execz .LBB244_9
; %bb.11:                               ;   in Loop: Header=BB244_10 Depth=1
	scratch_load_dword v12, off, off        ; 4-byte Folded Reload
	v_add_u32_e32 v11, s61, v8
	v_cvt_f32_i32_e32 v11, v11
	s_waitcnt lgkmcnt(0)
	v_add_f32_e32 v6, v6, v7
	v_cmp_gt_i32_e64 s[0:1], s33, v8
	v_mul_f32_e32 v11, s10, v11
	v_cndmask_b32_e64 v11, 0, v11, s[6:7]
	v_fmac_f32_e32 v11, s11, v6
	v_cndmask_b32_e64 v6, 0, v11, s[0:1]
	ds_write_b32 v9, v6
	s_waitcnt vmcnt(0)
	v_max_f32_e32 v7, v12, v12
	v_max_f32_e32 v6, v7, v11
	v_cndmask_b32_e64 v12, v12, v6, s[0:1]
	scratch_store_dword off, v12, off       ; 4-byte Folded Spill
	s_branch .LBB244_9
.LBB244_12:
	s_or_b64 exec, exec, s[16:17]
	scratch_load_dword v50, off, off offset:364 ; 4-byte Folded Reload
	scratch_load_dwordx2 v[38:39], off, off offset:192 ; 8-byte Folded Reload
	scratch_load_dword v40, off, off offset:96 ; 4-byte Folded Reload
	scratch_load_dword v126, off, off offset:104 ; 4-byte Folded Reload
	s_waitcnt lgkmcnt(0)
	scratch_load_dword v7, off, off offset:112 ; 4-byte Folded Reload
	scratch_load_dword v8, off, off offset:120 ; 4-byte Folded Reload
	scratch_load_dword v2, off, off         ; 4-byte Folded Reload
.LBB244_13:
	s_or_b64 exec, exec, s[38:39]
	s_waitcnt vmcnt(2)
	v_xor_b32_e32 v0, 32, v7
	s_waitcnt vmcnt(1)
	v_cmp_lt_i32_e32 vcc, v0, v8
	v_xor_b32_e32 v3, 16, v7
	v_xor_b32_e32 v4, 8, v7
	v_cndmask_b32_e32 v0, v7, v0, vcc
	v_lshlrev_b32_e32 v0, 2, v0
	s_waitcnt vmcnt(0)
	ds_bpermute_b32 v1, v0, v2
	v_max_f32_e32 v2, v2, v2
	v_cmp_lt_i32_e32 vcc, v3, v8
	v_xor_b32_e32 v5, 4, v7
	v_and_b32_e32 v51, 63, v50
	s_waitcnt lgkmcnt(0)
	v_max_f32_e32 v1, v1, v1
	v_max_f32_e32 v2, v2, v1
	v_cndmask_b32_e32 v1, v7, v3, vcc
	v_lshlrev_b32_e32 v1, 2, v1
	ds_bpermute_b32 v3, v1, v2
	v_cmp_lt_i32_e32 vcc, v4, v8
	s_waitcnt lgkmcnt(0)
	v_max_f32_e32 v3, v3, v3
	v_max_f32_e32 v2, v2, v3
	v_cndmask_b32_e32 v3, v7, v4, vcc
	v_lshlrev_b32_e32 v3, 2, v3
	ds_bpermute_b32 v4, v3, v2
	v_cmp_lt_i32_e32 vcc, v5, v8
	s_waitcnt lgkmcnt(0)
	v_max_f32_e32 v4, v4, v4
	v_max_f32_e32 v2, v2, v4
	v_cndmask_b32_e32 v4, v7, v5, vcc
	v_lshlrev_b32_e32 v53, 2, v4
	ds_bpermute_b32 v4, v53, v2
	v_xor_b32_e32 v5, 2, v7
	v_cmp_lt_i32_e32 vcc, v5, v8
	s_waitcnt lgkmcnt(0)
	v_max_f32_e32 v4, v4, v4
	v_max_f32_e32 v2, v2, v4
	v_cndmask_b32_e32 v4, v7, v5, vcc
	v_lshlrev_b32_e32 v52, 2, v4
	ds_bpermute_b32 v5, v52, v2
	v_cmp_eq_u32_e32 vcc, 0, v51
	v_lshlrev_b32_e32 v4, 2, v126
	s_and_saveexec_b64 s[0:1], vcc
	s_cbranch_execz .LBB244_15
; %bb.14:
	s_waitcnt lgkmcnt(0)
	v_max_f32_e32 v5, v5, v5
	v_max_f32_e32 v2, v2, v2
	;; [unrolled: 1-line block ×3, first 2 shown]
	ds_write_b32 v4, v2 offset:1024
.LBB244_15:
	s_or_b64 exec, exec, s[0:1]
	v_cmp_gt_u32_e64 s[0:1], 2, v51
	v_mov_b32_e32 v2, 0xff7fffff
	s_waitcnt lgkmcnt(0)
	v_lshlrev_b32_e32 v5, 2, v51
	s_barrier
	s_and_saveexec_b64 s[6:7], s[0:1]
	s_cbranch_execz .LBB244_17
; %bb.16:
	ds_read_b32 v2, v5 offset:1024
.LBB244_17:
	s_or_b64 exec, exec, s[6:7]
	v_xor_b32_e32 v6, 1, v7
	v_cmp_lt_i32_e64 s[6:7], v6, v8
	s_sub_i32 s3, s35, s3
	s_lshl_b32 s3, s3, 5
	v_cndmask_b32_e64 v6, v7, v6, s[6:7]
	v_lshlrev_b32_e32 v54, 2, v6
	s_waitcnt lgkmcnt(0)
	ds_bpermute_b32 v6, v54, v2
	v_max_f32_e32 v2, v2, v2
	s_add_i32 s3, s3, s58
	s_min_i32 s38, s3, s33
	s_sub_i32 s3, s38, s58
	s_waitcnt lgkmcnt(0)
	v_max_f32_e32 v6, v6, v6
	v_max_f32_e32 v2, v2, v6
	v_lshlrev_b32_e32 v6, 2, v7
	v_and_b32_e32 v6, 0xffffff00, v6
	ds_bpermute_b32 v2, v6, v2
	v_cmp_gt_i32_e64 s[6:7], s3, v50
	v_mov_b32_e32 v7, 0
	s_and_saveexec_b64 s[14:15], s[6:7]
	s_cbranch_execz .LBB244_21
; %bb.18:
	v_mov_b32_e32 v7, 0x410
	v_lshl_add_u32 v8, v50, 2, v7
	s_mov_b64 s[16:17], 0
	v_mov_b32_e32 v7, 0
	v_mov_b32_e32 v9, v50
.LBB244_19:                             ; =>This Inner Loop Header: Depth=1
	ds_read_b32 v10, v8
	v_add_u32_e32 v9, 0x80, v9
	v_cmp_le_i32_e64 s[10:11], s3, v9
	s_or_b64 s[16:17], s[10:11], s[16:17]
	s_waitcnt lgkmcnt(0)
	v_sub_f32_e32 v10, v10, v2
	v_mul_f32_e32 v10, 0x3fb8aa3b, v10
	v_exp_f32_e32 v10, v10
	ds_write_b32 v8, v10
	v_add_f32_e32 v7, v7, v10
	v_add_u32_e32 v8, 0x200, v8
	s_andn2_b64 exec, exec, s[16:17]
	s_cbranch_execnz .LBB244_19
; %bb.20:
	s_or_b64 exec, exec, s[16:17]
.LBB244_21:
	s_or_b64 exec, exec, s[14:15]
	ds_bpermute_b32 v0, v0, v7
	s_waitcnt lgkmcnt(0)
	v_add_f32_e32 v0, v7, v0
	ds_bpermute_b32 v1, v1, v0
	s_waitcnt lgkmcnt(0)
	v_add_f32_e32 v0, v0, v1
	;; [unrolled: 3-line block ×6, first 2 shown]
	s_and_saveexec_b64 s[10:11], vcc
	s_cbranch_execz .LBB244_23
; %bb.22:
	ds_write_b32 v4, v0 offset:1032
.LBB244_23:
	s_or_b64 exec, exec, s[10:11]
	s_waitcnt lgkmcnt(0)
	s_barrier
	s_and_saveexec_b64 s[10:11], s[0:1]
	s_cbranch_execz .LBB244_25
; %bb.24:
	ds_read_b32 v0, v5 offset:1032
.LBB244_25:
	s_or_b64 exec, exec, s[10:11]
	s_waitcnt lgkmcnt(0)
	ds_bpermute_b32 v1, v54, v0
	s_waitcnt lgkmcnt(0)
	v_add_f32_e32 v0, v0, v1
	ds_bpermute_b32 v3, v6, v0
	s_and_saveexec_b64 s[0:1], s[6:7]
	s_cbranch_execz .LBB244_38
; %bb.26:
	s_waitcnt lgkmcnt(0)
	v_add_f32_e32 v0, 0x358637bd, v3
	v_div_scale_f32 v1, s[6:7], v0, v0, 1.0
	v_rcp_f32_e32 v4, v1
	v_div_scale_f32 v5, vcc, 1.0, v0, 1.0
	s_movk_i32 s6, 0x7f
	v_fma_f32 v6, -v1, v4, 1.0
	v_fmac_f32_e32 v4, v6, v4
	v_mul_f32_e32 v6, v5, v4
	v_fma_f32 v7, -v1, v6, v5
	v_fmac_f32_e32 v6, v7, v4
	v_fma_f32 v1, -v1, v6, v5
	v_div_fmas_f32 v1, v1, v4, v6
	v_div_fixup_f32 v0, v1, v0, 1.0
	v_xad_u32 v1, v50, -1, s38
	v_subrev_u32_e32 v4, s58, v1
	v_cmp_lt_u32_e32 vcc, s6, v4
	s_mov_b64 s[10:11], -1
	v_mov_b32_e32 v1, v50
	s_and_saveexec_b64 s[6:7], vcc
	s_cbranch_execz .LBB244_35
; %bb.27:
	v_lshrrev_b32_e32 v4, 7, v4
	v_add_u32_e32 v6, -1, v4
	v_lshrrev_b32_e32 v5, 1, v6
	v_mov_b32_e32 v1, v0
	v_add_u32_e32 v5, 1, v5
	v_cmp_lt_u32_e32 vcc, 13, v6
	v_mov_b32_e32 v8, 0
	s_and_saveexec_b64 s[10:11], vcc
	s_cbranch_execz .LBB244_31
; %bb.28:
	v_mov_b32_e32 v7, 0x410
	v_and_b32_e32 v6, -8, v5
	v_lshl_add_u32 v7, v50, 2, v7
	s_mov_b32 s16, 0
	s_mov_b64 s[14:15], 0
.LBB244_29:                             ; =>This Inner Loop Header: Depth=1
	ds_read2st64_b32 v[8:9], v7 offset1:2
	ds_read2st64_b32 v[10:11], v7 offset0:4 offset1:6
	ds_read2st64_b32 v[12:13], v7 offset0:8 offset1:10
	;; [unrolled: 1-line block ×3, first 2 shown]
	v_add_u32_e32 v6, -8, v6
	s_waitcnt lgkmcnt(3)
	v_pk_mul_f32 v[8:9], v[0:1], v[8:9]
	s_waitcnt lgkmcnt(2)
	v_pk_mul_f32 v[10:11], v[0:1], v[10:11]
	ds_write2st64_b32 v7, v8, v9 offset1:2
	ds_write2st64_b32 v7, v10, v11 offset0:4 offset1:6
	ds_read2st64_b32 v[10:11], v7 offset0:16 offset1:18
	s_waitcnt lgkmcnt(4)
	v_pk_mul_f32 v[8:9], v[0:1], v[12:13]
	ds_write2st64_b32 v7, v8, v9 offset0:8 offset1:10
	s_waitcnt lgkmcnt(4)
	v_pk_mul_f32 v[8:9], v[0:1], v[14:15]
	ds_write2st64_b32 v7, v8, v9 offset0:12 offset1:14
	ds_read2st64_b32 v[8:9], v7 offset0:20 offset1:22
	s_waitcnt lgkmcnt(3)
	v_pk_mul_f32 v[10:11], v[0:1], v[10:11]
	ds_read2st64_b32 v[12:13], v7 offset0:24 offset1:26
	ds_write2st64_b32 v7, v10, v11 offset0:16 offset1:18
	ds_read2st64_b32 v[10:11], v7 offset0:28 offset1:30
	s_waitcnt lgkmcnt(3)
	v_pk_mul_f32 v[8:9], v[0:1], v[8:9]
	ds_write2st64_b32 v7, v8, v9 offset0:20 offset1:22
	s_waitcnt lgkmcnt(3)
	v_pk_mul_f32 v[8:9], v[0:1], v[12:13]
	ds_write2st64_b32 v7, v8, v9 offset0:24 offset1:26
	s_waitcnt lgkmcnt(2)
	v_pk_mul_f32 v[8:9], v[0:1], v[10:11]
	s_add_i32 s16, s16, 16
	v_cmp_eq_u32_e32 vcc, 0, v6
	ds_write2st64_b32 v7, v8, v9 offset0:28 offset1:30
	v_add_u32_e32 v7, 0x2000, v7
	s_or_b64 s[14:15], vcc, s[14:15]
	v_mov_b32_e32 v8, s16
	s_andn2_b64 exec, exec, s[14:15]
	s_cbranch_execnz .LBB244_29
; %bb.30:
	s_or_b64 exec, exec, s[14:15]
.LBB244_31:
	s_or_b64 exec, exec, s[10:11]
	v_and_b32_e32 v5, 7, v5
	v_cmp_ne_u32_e32 vcc, 0, v5
	s_and_saveexec_b64 s[10:11], vcc
	s_cbranch_execz .LBB244_34
; %bb.32:
	v_lshlrev_b32_e32 v6, 9, v8
	s_movk_i32 s14, 0x410
	v_add3_u32 v6, v6, v40, s14
	s_mov_b64 s[14:15], 0
.LBB244_33:                             ; =>This Inner Loop Header: Depth=1
	ds_read2st64_b32 v[8:9], v6 offset1:2
	v_add_u32_e32 v5, -1, v5
	v_cmp_eq_u32_e32 vcc, 0, v5
	s_or_b64 s[14:15], vcc, s[14:15]
	s_waitcnt lgkmcnt(0)
	v_pk_mul_f32 v[8:9], v[0:1], v[8:9]
	ds_write2st64_b32 v6, v8, v9 offset1:2
	v_add_u32_e32 v6, 0x400, v6
	s_andn2_b64 exec, exec, s[14:15]
	s_cbranch_execnz .LBB244_33
.LBB244_34:
	s_or_b64 exec, exec, s[10:11]
	v_add_u32_e32 v4, 1, v4
	v_and_b32_e32 v5, 0x3fffffe, v4
	v_cmp_ne_u32_e32 vcc, v4, v5
	v_lshl_add_u32 v1, v5, 7, v50
	s_orn2_b64 s[10:11], vcc, exec
.LBB244_35:
	s_or_b64 exec, exec, s[6:7]
	s_and_b64 exec, exec, s[10:11]
	s_cbranch_execz .LBB244_38
; %bb.36:
	v_mov_b32_e32 v4, 0x410
	v_lshl_add_u32 v4, v1, 2, v4
	s_mov_b64 s[6:7], 0
.LBB244_37:                             ; =>This Inner Loop Header: Depth=1
	ds_read_b32 v5, v4
	v_add_u32_e32 v1, 0x80, v1
	v_cmp_le_i32_e32 vcc, s3, v1
	s_or_b64 s[6:7], vcc, s[6:7]
	s_waitcnt lgkmcnt(0)
	v_mul_f32_e32 v5, v0, v5
	ds_write_b32 v4, v5
	v_add_u32_e32 v4, 0x200, v4
	s_andn2_b64 exec, exec, s[6:7]
	s_cbranch_execnz .LBB244_37
.LBB244_38:
	s_or_b64 exec, exec, s[0:1]
	s_mul_i32 s0, s25, s34
	v_cmp_eq_u32_e32 vcc, 0, v50
	s_mul_i32 s6, s0, s5
	s_waitcnt lgkmcnt(0)
	s_barrier
	s_and_saveexec_b64 s[0:1], vcc
	s_cbranch_execz .LBB244_40
; %bb.39:
	s_ashr_i32 s7, s6, 31
	s_lshl_b64 s[10:11], s[6:7], 2
	s_add_u32 s5, s22, s10
	s_mul_i32 s2, s25, s2
	s_addc_u32 s7, s23, s11
	s_ashr_i32 s3, s2, 31
	s_lshl_b64 s[2:3], s[2:3], 2
	s_add_u32 s16, s5, s2
	s_addc_u32 s7, s7, s3
	s_ashr_i32 s5, s4, 31
	s_lshl_b64 s[14:15], s[4:5], 2
	s_add_u32 s16, s16, s14
	s_addc_u32 s17, s7, s15
	s_add_u32 s5, s20, s10
	s_addc_u32 s7, s21, s11
	;; [unrolled: 2-line block ×3, first 2 shown]
	s_add_u32 s2, s2, s14
	v_mov_b32_e32 v0, 0
	s_addc_u32 s3, s3, s15
	global_store_dword v0, v2, s[16:17]
	global_store_dword v0, v3, s[2:3]
.LBB244_40:
	s_or_b64 exec, exec, s[0:1]
	v_mov_b32_e32 v36, 0
	v_and_b32_e32 v0, 7, v50
	v_mov_b32_e32 v37, 0
	v_mov_b32_e32 v34, 0
	;; [unrolled: 1-line block ×31, first 2 shown]
	scratch_store_dword off, v0, off offset:368 ; 4-byte Folded Spill
	s_and_saveexec_b64 s[2:3], s[8:9]
	s_cbranch_execz .LBB244_108
; %bb.41:
	scratch_store_dword off, v54, off offset:384 ; 4-byte Folded Spill
	scratch_store_dword off, v53, off offset:380 ; 4-byte Folded Spill
	;; [unrolled: 1-line block ×4, first 2 shown]
	v_and_b32_e32 v0, 28, v40
	v_lshl_add_u32 v1, v126, 5, s58
	v_add3_u32 v114, v1, v0, 3
	scratch_load_dword v0, off, off offset:368 ; 4-byte Folded Reload
	v_mov_b32_e32 v3, 0
	v_and_b32_e32 v2, 0xfc, v40
	v_or_b32_e32 v4, 0xf00, v40
	v_mov_b32_e32 v5, v3
	scratch_store_dwordx2 off, v[4:5], off offset:220 ; 8-byte Folded Spill
	v_or_b32_e32 v4, 0x1000, v2
	scratch_store_dwordx2 off, v[4:5], off offset:228 ; 8-byte Folded Spill
	v_or_b32_e32 v4, 0x1100, v2
	;; [unrolled: 2-line block ×11, first 2 shown]
	s_load_dword s8, s[18:19], 0x0
	s_ashr_i32 s1, s59, 31
	scratch_store_dwordx2 off, v[4:5], off offset:308 ; 8-byte Folded Spill
	v_or_b32_e32 v4, 0x1b00, v2
	s_add_u32 s0, s36, s59
	scratch_store_dwordx2 off, v[4:5], off offset:316 ; 8-byte Folded Spill
	v_or_b32_e32 v4, 0x1c00, v2
	s_addc_u32 s1, s37, s1
	s_add_i32 s7, s12, -1
	scratch_store_dwordx2 off, v[4:5], off offset:324 ; 8-byte Folded Spill
	v_or_b32_e32 v4, 0x1d00, v2
	s_lshl_b64 s[10:11], s[30:31], 2
	scratch_store_dwordx2 off, v[4:5], off offset:332 ; 8-byte Folded Spill
	v_or_b32_e32 v4, 0x1e00, v2
	s_add_u32 s10, s28, s10
	scratch_store_dwordx2 off, v[4:5], off offset:340 ; 8-byte Folded Spill
	v_or_b32_e32 v4, 0x1f00, v40
	s_addc_u32 s11, s29, s11
	v_mov_b64_e32 v[6:7], s[0:1]
	s_mov_b32 s5, s13
	s_waitcnt lgkmcnt(0)
	s_mov_b32 s9, s8
	scratch_store_dwordx2 off, v[4:5], off offset:348 ; 8-byte Folded Spill
	scratch_store_dwordx2 off, v[6:7], off offset:356 ; 8-byte Folded Spill
	v_mov_b32_e32 v7, v3
	v_mov_b32_e32 v6, v3
	;; [unrolled: 1-line block ×30, first 2 shown]
	s_waitcnt vmcnt(18)
	v_lshlrev_b32_e32 v0, 4, v0
	v_lshl_or_b32 v0, v126, 7, v0
	v_add_u32_e32 v4, 0x410, v0
	v_lshl_add_u64 v[0:1], v[38:39], 2, s[10:11]
	s_mov_b64 s[10:11], 0
	v_mov_b32_e32 v37, v3
	v_mov_b32_e32 v36, v3
	scratch_store_dwordx2 off, v[2:3], off offset:212 ; 8-byte Folded Spill
	s_branch .LBB244_43
.LBB244_42:                             ;   in Loop: Header=BB244_43 Depth=1
	s_or_b64 exec, exec, s[0:1]
	s_waitcnt lgkmcnt(0)
	v_mul_f32_e32 v39, v3, v39
	v_fmac_f32_e32 v39, v2, v38
	v_mul_f32_e32 v38, v3, v71
	v_fmac_f32_e32 v38, v2, v70
	v_fmac_f32_e32 v39, v4, v72
	;; [unrolled: 1-line block ×5, first 2 shown]
	v_add_f32_e32 v17, v17, v39
	v_add_f32_e32 v16, v16, v38
	scratch_load_dwordx2 v[38:39], off, off offset:184 ; 8-byte Folded Reload
	v_mul_f32_e32 v91, v3, v91
	v_fmac_f32_e32 v91, v2, v90
	v_fmac_f32_e32 v91, v4, v0
	v_mul_f32_e32 v0, v3, v89
	v_fmac_f32_e32 v0, v2, v88
	v_fmac_f32_e32 v0, v4, v86
	v_fmac_f32_e32 v0, v5, v87
	v_add_f32_e32 v12, v12, v0
	v_mul_f32_e32 v0, v3, v63
	v_fmac_f32_e32 v0, v2, v62
	v_fmac_f32_e32 v0, v4, v60
	v_fmac_f32_e32 v0, v5, v61
	v_add_f32_e32 v18, v18, v0
	;; [unrolled: 5-line block ×10, first 2 shown]
	v_fmac_f32_e32 v91, v5, v1
	v_mul_f32_e32 v1, v3, v85
	v_mul_f32_e32 v75, v3, v75
	v_fmac_f32_e32 v1, v2, v84
	v_mul_f32_e32 v113, v3, v113
	v_fmac_f32_e32 v75, v2, v74
	v_mul_f32_e32 v74, v3, v107
	v_mul_f32_e32 v101, v3, v101
	;; [unrolled: 1-line block ×3, first 2 shown]
	v_fmac_f32_e32 v1, v4, v82
	v_mul_f32_e32 v81, v3, v81
	v_mul_f32_e32 v67, v3, v67
	v_fmac_f32_e32 v113, v2, v112
	v_fmac_f32_e32 v74, v2, v106
	;; [unrolled: 1-line block ×14, first 2 shown]
	s_waitcnt vmcnt(0)
	v_mul_f32_e32 v0, v3, v39
	v_fmac_f32_e32 v0, v2, v38
	scratch_load_dwordx2 v[38:39], off, off offset:176 ; 8-byte Folded Reload
	v_add_f32_e32 v15, v15, v1
	v_fmac_f32_e32 v113, v5, v111
	v_fmac_f32_e32 v75, v5, v109
	;; [unrolled: 1-line block ×7, first 2 shown]
	v_add_f32_e32 v6, v6, v113
	v_add_f32_e32 v9, v9, v75
	;; [unrolled: 1-line block ×8, first 2 shown]
	v_add_u32_e32 v114, 64, v114
	s_waitcnt vmcnt(0)
	v_fmac_f32_e32 v0, v4, v38
	v_fmac_f32_e32 v0, v5, v39
	scratch_load_dwordx2 v[38:39], off, off offset:168 ; 8-byte Folded Reload
	v_add_f32_e32 v29, v29, v0
	s_waitcnt vmcnt(0)
	v_mul_f32_e32 v0, v3, v39
	v_fmac_f32_e32 v0, v2, v38
	scratch_load_dwordx2 v[38:39], off, off offset:160 ; 8-byte Folded Reload
	s_waitcnt vmcnt(0)
	v_fmac_f32_e32 v0, v4, v38
	v_fmac_f32_e32 v0, v5, v39
	scratch_load_dwordx2 v[38:39], off, off offset:152 ; 8-byte Folded Reload
	v_add_f32_e32 v28, v28, v0
	s_waitcnt vmcnt(0)
	v_mul_f32_e32 v0, v3, v39
	v_fmac_f32_e32 v0, v2, v38
	scratch_load_dwordx2 v[38:39], off, off offset:144 ; 8-byte Folded Reload
	;; [unrolled: 9-line block ×8, first 2 shown]
	s_waitcnt vmcnt(0)
	v_fmac_f32_e32 v0, v4, v38
	v_fmac_f32_e32 v0, v5, v39
	scratch_load_dwordx2 v[38:39], off, off offset:8 ; 8-byte Folded Reload
	v_add_f32_e32 v37, v37, v0
	s_waitcnt vmcnt(0)
	v_mul_f32_e32 v0, v3, v39
	v_fmac_f32_e32 v0, v2, v38
	scratch_load_dwordx2 v[38:39], off, off ; 8-byte Folded Reload
	s_waitcnt vmcnt(0)
	v_fmac_f32_e32 v0, v4, v38
	v_fmac_f32_e32 v0, v5, v39
	v_add_f32_e32 v36, v36, v0
	v_mul_f32_e32 v0, v3, v93
	v_fmac_f32_e32 v0, v2, v92
	v_fmac_f32_e32 v0, v4, v104
	scratch_load_dwordx2 v[38:39], off, off offset:192 ; 8-byte Folded Reload
	scratch_load_dword v4, off, off offset:200 ; 4-byte Folded Reload
	v_fmac_f32_e32 v0, v5, v105
	v_add_f32_e32 v7, v7, v0
	scratch_load_dwordx2 v[0:1], off, off offset:204 ; 8-byte Folded Reload
	s_waitcnt vmcnt(2)
	v_add_u32_e32 v38, 2, v38
	v_cmp_le_i32_e32 vcc, s35, v38
	s_waitcnt vmcnt(1)
	v_add_u32_e32 v4, 0x100, v4
	s_or_b64 s[10:11], vcc, s[10:11]
	s_waitcnt vmcnt(0)
	v_lshl_add_u64 v[0:1], v[0:1], 0, 8
	s_andn2_b64 exec, exec, s[10:11]
	s_cbranch_execz .LBB244_107
.LBB244_43:                             ; =>This Inner Loop Header: Depth=1
	scratch_store_dwordx2 off, v[0:1], off offset:204 ; 8-byte Folded Spill
	global_load_dword v0, v[0:1], off
	s_nop 0
	scratch_load_dwordx2 v[2:3], off, off offset:356 ; 8-byte Folded Reload
	v_mov_b32_e32 v42, v38
	scratch_store_dword off, v4, off offset:200 ; 4-byte Folded Spill
	v_add_u32_e32 v115, -3, v114
	v_mov_b32_e32 v40, v42
	v_cmp_eq_u32_e32 vcc, s7, v42
	v_add_u32_e32 v116, -2, v114
	v_add_u32_e32 v117, -1, v114
	scratch_store_dwordx2 off, v[40:41], off offset:192 ; 8-byte Folded Spill
	s_waitcnt vmcnt(2)
	v_mad_i64_i32 v[104:105], s[0:1], v0, s5, v[2:3]
	scratch_load_dwordx2 v[0:1], off, off offset:212 ; 8-byte Folded Reload
	ds_read_b128 v[2:5], v4
	s_waitcnt vmcnt(0)
	v_lshl_add_u64 v[44:45], v[104:105], 0, v[0:1]
	global_load_dword v0, v[44:45], off
	s_waitcnt vmcnt(0)
	v_and_b32_e32 v1, 0xffff, v0
	v_lshrrev_b32_e32 v38, 16, v0
	v_cvt_pk_f32_fp8_e32 v[0:1], v1
	v_cvt_pk_f32_fp8_e32 v[38:39], v38
	v_pk_mul_f32 v[0:1], s[8:9], v[0:1]
	scratch_store_dwordx2 off, v[0:1], off offset:8 ; 8-byte Folded Spill
	v_pk_mul_f32 v[0:1], s[8:9], v[38:39]
	scratch_store_dwordx2 off, v[0:1], off  ; 8-byte Folded Spill
	s_and_saveexec_b64 s[12:13], vcc
	s_cbranch_execz .LBB244_45
; %bb.44:                               ;   in Loop: Header=BB244_43 Depth=1
	scratch_load_dwordx2 v[0:1], off, off offset:8 ; 8-byte Folded Reload
	v_cmp_gt_i32_e64 s[0:1], s33, v115
	s_waitcnt vmcnt(0)
	s_nop 0
	v_cndmask_b32_e64 v0, 0, v0, s[0:1]
	v_cmp_gt_i32_e64 s[0:1], s33, v116
	s_nop 1
	v_cndmask_b32_e64 v1, 0, v1, s[0:1]
	scratch_store_dwordx2 off, v[0:1], off offset:8 ; 8-byte Folded Spill
	scratch_load_dwordx2 v[0:1], off, off   ; 8-byte Folded Reload
	v_cmp_gt_i32_e64 s[0:1], s33, v117
	s_waitcnt vmcnt(0)
	s_nop 0
	v_cndmask_b32_e64 v0, 0, v0, s[0:1]
	v_cmp_gt_i32_e64 s[0:1], s33, v114
	s_nop 1
	v_cndmask_b32_e64 v1, 0, v1, s[0:1]
	scratch_store_dwordx2 off, v[0:1], off  ; 8-byte Folded Spill
.LBB244_45:                             ;   in Loop: Header=BB244_43 Depth=1
	s_or_b64 exec, exec, s[12:13]
	global_load_dword v0, v[44:45], off offset:256
	s_waitcnt vmcnt(0)
	v_and_b32_e32 v1, 0xffff, v0
	v_lshrrev_b32_e32 v38, 16, v0
	v_cvt_pk_f32_fp8_e32 v[0:1], v1
	v_cvt_pk_f32_fp8_e32 v[38:39], v38
	v_pk_mul_f32 v[0:1], s[8:9], v[0:1]
	scratch_store_dwordx2 off, v[0:1], off offset:24 ; 8-byte Folded Spill
	v_pk_mul_f32 v[0:1], s[8:9], v[38:39]
	scratch_store_dwordx2 off, v[0:1], off offset:16 ; 8-byte Folded Spill
	s_and_saveexec_b64 s[12:13], vcc
	s_cbranch_execz .LBB244_47
; %bb.46:                               ;   in Loop: Header=BB244_43 Depth=1
	scratch_load_dwordx2 v[0:1], off, off offset:24 ; 8-byte Folded Reload
	v_cmp_gt_i32_e64 s[0:1], s33, v115
	s_waitcnt vmcnt(0)
	s_nop 0
	v_cndmask_b32_e64 v0, 0, v0, s[0:1]
	v_cmp_gt_i32_e64 s[0:1], s33, v116
	s_nop 1
	v_cndmask_b32_e64 v1, 0, v1, s[0:1]
	scratch_store_dwordx2 off, v[0:1], off offset:24 ; 8-byte Folded Spill
	scratch_load_dwordx2 v[0:1], off, off offset:16 ; 8-byte Folded Reload
	v_cmp_gt_i32_e64 s[0:1], s33, v117
	s_waitcnt vmcnt(0)
	s_nop 0
	v_cndmask_b32_e64 v0, 0, v0, s[0:1]
	v_cmp_gt_i32_e64 s[0:1], s33, v114
	s_nop 1
	v_cndmask_b32_e64 v1, 0, v1, s[0:1]
	scratch_store_dwordx2 off, v[0:1], off offset:16 ; 8-byte Folded Spill
.LBB244_47:                             ;   in Loop: Header=BB244_43 Depth=1
	s_or_b64 exec, exec, s[12:13]
	global_load_dword v0, v[44:45], off offset:512
	s_waitcnt vmcnt(0)
	v_and_b32_e32 v1, 0xffff, v0
	v_lshrrev_b32_e32 v38, 16, v0
	v_cvt_pk_f32_fp8_e32 v[0:1], v1
	v_cvt_pk_f32_fp8_e32 v[38:39], v38
	v_pk_mul_f32 v[0:1], s[8:9], v[0:1]
	scratch_store_dwordx2 off, v[0:1], off offset:56 ; 8-byte Folded Spill
	v_pk_mul_f32 v[0:1], s[8:9], v[38:39]
	scratch_store_dwordx2 off, v[0:1], off offset:40 ; 8-byte Folded Spill
	s_and_saveexec_b64 s[12:13], vcc
	s_cbranch_execz .LBB244_49
; %bb.48:                               ;   in Loop: Header=BB244_43 Depth=1
	scratch_load_dwordx2 v[0:1], off, off offset:56 ; 8-byte Folded Reload
	v_cmp_gt_i32_e64 s[0:1], s33, v115
	s_waitcnt vmcnt(0)
	s_nop 0
	v_cndmask_b32_e64 v0, 0, v0, s[0:1]
	v_cmp_gt_i32_e64 s[0:1], s33, v116
	s_nop 1
	v_cndmask_b32_e64 v1, 0, v1, s[0:1]
	scratch_store_dwordx2 off, v[0:1], off offset:56 ; 8-byte Folded Spill
	scratch_load_dwordx2 v[0:1], off, off offset:40 ; 8-byte Folded Reload
	v_cmp_gt_i32_e64 s[0:1], s33, v117
	s_waitcnt vmcnt(0)
	s_nop 0
	v_cndmask_b32_e64 v0, 0, v0, s[0:1]
	v_cmp_gt_i32_e64 s[0:1], s33, v114
	s_nop 1
	v_cndmask_b32_e64 v1, 0, v1, s[0:1]
	scratch_store_dwordx2 off, v[0:1], off offset:40 ; 8-byte Folded Spill
.LBB244_49:                             ;   in Loop: Header=BB244_43 Depth=1
	;; [unrolled: 33-line block ×9, first 2 shown]
	s_or_b64 exec, exec, s[12:13]
	global_load_dword v0, v[44:45], off offset:2560
	s_waitcnt vmcnt(0)
	v_and_b32_e32 v1, 0xffff, v0
	v_lshrrev_b32_e32 v38, 16, v0
	v_cvt_pk_f32_fp8_e32 v[0:1], v1
	v_cvt_pk_f32_fp8_e32 v[38:39], v38
	v_pk_mul_f32 v[120:121], s[8:9], v[0:1]
	v_pk_mul_f32 v[118:119], s[8:9], v[38:39]
	s_and_saveexec_b64 s[12:13], vcc
; %bb.64:                               ;   in Loop: Header=BB244_43 Depth=1
	v_cmp_gt_i32_e64 s[0:1], s33, v115
	s_nop 1
	v_cndmask_b32_e64 v120, 0, v120, s[0:1]
	v_cmp_gt_i32_e64 s[0:1], s33, v116
	s_nop 1
	v_cndmask_b32_e64 v121, 0, v121, s[0:1]
	v_cmp_gt_i32_e64 s[0:1], s33, v117
	s_nop 1
	v_cndmask_b32_e64 v118, 0, v118, s[0:1]
	v_cmp_gt_i32_e64 s[0:1], s33, v114
	s_nop 1
	v_cndmask_b32_e64 v119, 0, v119, s[0:1]
; %bb.65:                               ;   in Loop: Header=BB244_43 Depth=1
	s_or_b64 exec, exec, s[12:13]
	global_load_dword v0, v[44:45], off offset:2816
	s_waitcnt vmcnt(0)
	v_and_b32_e32 v1, 0xffff, v0
	v_lshrrev_b32_e32 v38, 16, v0
	v_cvt_pk_f32_fp8_e32 v[0:1], v1
	v_cvt_pk_f32_fp8_e32 v[38:39], v38
	v_pk_mul_f32 v[124:125], s[8:9], v[0:1]
	v_pk_mul_f32 v[122:123], s[8:9], v[38:39]
	s_and_saveexec_b64 s[12:13], vcc
; %bb.66:                               ;   in Loop: Header=BB244_43 Depth=1
	v_cmp_gt_i32_e64 s[0:1], s33, v115
	s_nop 1
	v_cndmask_b32_e64 v124, 0, v124, s[0:1]
	v_cmp_gt_i32_e64 s[0:1], s33, v116
	s_nop 1
	v_cndmask_b32_e64 v125, 0, v125, s[0:1]
	v_cmp_gt_i32_e64 s[0:1], s33, v117
	s_nop 1
	v_cndmask_b32_e64 v122, 0, v122, s[0:1]
	v_cmp_gt_i32_e64 s[0:1], s33, v114
	s_nop 1
	v_cndmask_b32_e64 v123, 0, v123, s[0:1]
; %bb.67:                               ;   in Loop: Header=BB244_43 Depth=1
	;; [unrolled: 24-line block ×5, first 2 shown]
	s_or_b64 exec, exec, s[12:13]
	scratch_load_dwordx2 v[0:1], off, off offset:220 ; 8-byte Folded Reload
	s_waitcnt vmcnt(0)
	v_lshl_add_u64 v[0:1], v[104:105], 0, v[0:1]
	global_load_dword v0, v[0:1], off
	s_waitcnt vmcnt(0)
	v_and_b32_e32 v1, 0xffff, v0
	v_lshrrev_b32_e32 v38, 16, v0
	v_cvt_pk_f32_fp8_e32 v[0:1], v1
	v_cvt_pk_f32_fp8_e32 v[38:39], v38
	v_pk_mul_f32 v[50:51], s[8:9], v[0:1]
	v_pk_mul_f32 v[48:49], s[8:9], v[38:39]
	s_and_saveexec_b64 s[12:13], vcc
; %bb.74:                               ;   in Loop: Header=BB244_43 Depth=1
	v_cmp_gt_i32_e64 s[0:1], s33, v115
	s_nop 1
	v_cndmask_b32_e64 v50, 0, v50, s[0:1]
	v_cmp_gt_i32_e64 s[0:1], s33, v116
	s_nop 1
	v_cndmask_b32_e64 v51, 0, v51, s[0:1]
	v_cmp_gt_i32_e64 s[0:1], s33, v117
	s_nop 1
	v_cndmask_b32_e64 v48, 0, v48, s[0:1]
	v_cmp_gt_i32_e64 s[0:1], s33, v114
	s_nop 1
	v_cndmask_b32_e64 v49, 0, v49, s[0:1]
; %bb.75:                               ;   in Loop: Header=BB244_43 Depth=1
	s_or_b64 exec, exec, s[12:13]
	scratch_load_dwordx2 v[0:1], off, off offset:228 ; 8-byte Folded Reload
	s_waitcnt vmcnt(0)
	v_lshl_add_u64 v[0:1], v[104:105], 0, v[0:1]
	global_load_dword v0, v[0:1], off
	s_waitcnt vmcnt(0)
	v_and_b32_e32 v1, 0xffff, v0
	v_lshrrev_b32_e32 v38, 16, v0
	v_cvt_pk_f32_fp8_e32 v[0:1], v1
	v_cvt_pk_f32_fp8_e32 v[38:39], v38
	v_pk_mul_f32 v[54:55], s[8:9], v[0:1]
	v_pk_mul_f32 v[52:53], s[8:9], v[38:39]
	s_and_saveexec_b64 s[12:13], vcc
; %bb.76:                               ;   in Loop: Header=BB244_43 Depth=1
	v_cmp_gt_i32_e64 s[0:1], s33, v115
	s_nop 1
	v_cndmask_b32_e64 v54, 0, v54, s[0:1]
	v_cmp_gt_i32_e64 s[0:1], s33, v116
	s_nop 1
	v_cndmask_b32_e64 v55, 0, v55, s[0:1]
	v_cmp_gt_i32_e64 s[0:1], s33, v117
	s_nop 1
	v_cndmask_b32_e64 v52, 0, v52, s[0:1]
	v_cmp_gt_i32_e64 s[0:1], s33, v114
	s_nop 1
	v_cndmask_b32_e64 v53, 0, v53, s[0:1]
; %bb.77:                               ;   in Loop: Header=BB244_43 Depth=1
	;; [unrolled: 27-line block ×13, first 2 shown]
	s_or_b64 exec, exec, s[12:13]
	scratch_load_dwordx2 v[74:75], off, off offset:324 ; 8-byte Folded Reload
	s_waitcnt vmcnt(0)
	v_lshl_add_u64 v[74:75], v[104:105], 0, v[74:75]
	global_load_dword v74, v[74:75], off
	s_waitcnt vmcnt(0)
	v_and_b32_e32 v75, 0xffff, v74
	v_lshrrev_b32_e32 v92, 16, v74
	v_cvt_pk_f32_fp8_e32 v[74:75], v75
	v_cvt_pk_f32_fp8_e32 v[92:93], v92
	v_pk_mul_f32 v[106:107], s[8:9], v[74:75]
	v_pk_mul_f32 v[102:103], s[8:9], v[92:93]
	s_and_saveexec_b64 s[12:13], vcc
; %bb.100:                              ;   in Loop: Header=BB244_43 Depth=1
	v_cmp_gt_i32_e64 s[0:1], s33, v115
	s_nop 1
	v_cndmask_b32_e64 v106, 0, v106, s[0:1]
	v_cmp_gt_i32_e64 s[0:1], s33, v116
	s_nop 1
	v_cndmask_b32_e64 v107, 0, v107, s[0:1]
	v_cmp_gt_i32_e64 s[0:1], s33, v117
	s_nop 1
	v_cndmask_b32_e64 v102, 0, v102, s[0:1]
	v_cmp_gt_i32_e64 s[0:1], s33, v114
	s_nop 1
	v_cndmask_b32_e64 v103, 0, v103, s[0:1]
; %bb.101:                              ;   in Loop: Header=BB244_43 Depth=1
	s_or_b64 exec, exec, s[12:13]
	scratch_load_dwordx2 v[74:75], off, off offset:332 ; 8-byte Folded Reload
	s_waitcnt vmcnt(0)
	v_lshl_add_u64 v[74:75], v[104:105], 0, v[74:75]
	global_load_dword v74, v[74:75], off
	s_waitcnt vmcnt(0)
	v_and_b32_e32 v75, 0xffff, v74
	v_lshrrev_b32_e32 v92, 16, v74
	v_cvt_pk_f32_fp8_e32 v[74:75], v75
	v_cvt_pk_f32_fp8_e32 v[92:93], v92
	v_pk_mul_f32 v[74:75], s[8:9], v[74:75]
	v_pk_mul_f32 v[108:109], s[8:9], v[92:93]
	s_and_saveexec_b64 s[12:13], vcc
; %bb.102:                              ;   in Loop: Header=BB244_43 Depth=1
	v_cmp_gt_i32_e64 s[0:1], s33, v115
	s_nop 1
	v_cndmask_b32_e64 v74, 0, v74, s[0:1]
	v_cmp_gt_i32_e64 s[0:1], s33, v116
	s_nop 1
	v_cndmask_b32_e64 v75, 0, v75, s[0:1]
	v_cmp_gt_i32_e64 s[0:1], s33, v117
	s_nop 1
	v_cndmask_b32_e64 v108, 0, v108, s[0:1]
	v_cmp_gt_i32_e64 s[0:1], s33, v114
	s_nop 1
	v_cndmask_b32_e64 v109, 0, v109, s[0:1]
; %bb.103:                              ;   in Loop: Header=BB244_43 Depth=1
	;; [unrolled: 27-line block ×3, first 2 shown]
	s_or_b64 exec, exec, s[12:13]
	scratch_load_dwordx2 v[92:93], off, off offset:348 ; 8-byte Folded Reload
	s_waitcnt vmcnt(0)
	v_lshl_add_u64 v[92:93], v[104:105], 0, v[92:93]
	global_load_dword v92, v[92:93], off
	s_waitcnt vmcnt(0)
	v_and_b32_e32 v93, 0xffff, v92
	v_lshrrev_b32_e32 v104, 16, v92
	v_cvt_pk_f32_fp8_e32 v[92:93], v93
	v_cvt_pk_f32_fp8_e32 v[104:105], v104
	v_pk_mul_f32 v[92:93], s[8:9], v[92:93]
	v_pk_mul_f32 v[104:105], s[8:9], v[104:105]
	s_and_saveexec_b64 s[0:1], vcc
	s_cbranch_execz .LBB244_42
; %bb.106:                              ;   in Loop: Header=BB244_43 Depth=1
	v_cmp_gt_i32_e32 vcc, s33, v115
	s_nop 1
	v_cndmask_b32_e32 v92, 0, v92, vcc
	v_cmp_gt_i32_e32 vcc, s33, v116
	s_nop 1
	v_cndmask_b32_e32 v93, 0, v93, vcc
	;; [unrolled: 3-line block ×4, first 2 shown]
	s_branch .LBB244_42
.LBB244_107:
	s_or_b64 exec, exec, s[10:11]
	scratch_load_dword v50, off, off offset:364 ; 4-byte Folded Reload
	scratch_load_dword v51, off, off offset:372 ; 4-byte Folded Reload
	;; [unrolled: 1-line block ×5, first 2 shown]
.LBB244_108:
	s_or_b64 exec, exec, s[2:3]
	s_waitcnt vmcnt(1)
	ds_bpermute_b32 v0, v53, v36
	ds_bpermute_b32 v1, v53, v37
	;; [unrolled: 1-line block ×6, first 2 shown]
	s_waitcnt lgkmcnt(4)
	v_pk_add_f32 v[0:1], v[36:37], v[0:1]
	ds_bpermute_b32 v36, v53, v32
	s_waitcnt lgkmcnt(3)
	v_pk_add_f32 v[2:3], v[34:35], v[2:3]
	ds_bpermute_b32 v37, v53, v33
	ds_bpermute_b32 v34, v52, v2
	;; [unrolled: 1-line block ×5, first 2 shown]
	s_waitcnt lgkmcnt(4)
	v_pk_add_f32 v[32:33], v[32:33], v[36:37]
	v_pk_add_f32 v[30:31], v[30:31], v[38:39]
	s_waitcnt lgkmcnt(2)
	v_pk_add_f32 v[2:3], v[2:3], v[34:35]
	ds_bpermute_b32 v34, v52, v32
	ds_bpermute_b32 v35, v52, v33
	s_waitcnt lgkmcnt(2)
	v_pk_add_f32 v[0:1], v[0:1], v[4:5]
	s_waitcnt vmcnt(0)
	ds_bpermute_b32 v4, v54, v0
	ds_bpermute_b32 v5, v54, v1
	;; [unrolled: 1-line block ×3, first 2 shown]
	s_waitcnt lgkmcnt(3)
	v_pk_add_f32 v[32:33], v[32:33], v[34:35]
	ds_bpermute_b32 v34, v54, v32
	ds_bpermute_b32 v35, v54, v33
	;; [unrolled: 1-line block ×3, first 2 shown]
	s_waitcnt lgkmcnt(4)
	v_pk_add_f32 v[4:5], v[0:1], v[4:5]
	ds_bpermute_b32 v38, v52, v30
	ds_bpermute_b32 v39, v52, v31
	s_waitcnt lgkmcnt(3)
	v_pk_add_f32 v[0:1], v[32:33], v[34:35]
	ds_bpermute_b32 v32, v53, v28
	ds_bpermute_b32 v33, v53, v29
	;; [unrolled: 4-line block ×3, first 2 shown]
	s_waitcnt lgkmcnt(4)
	v_pk_add_f32 v[30:31], v[30:31], v[38:39]
	s_waitcnt lgkmcnt(2)
	v_pk_add_f32 v[28:29], v[28:29], v[32:33]
	ds_bpermute_b32 v32, v52, v28
	ds_bpermute_b32 v33, v52, v29
	s_waitcnt lgkmcnt(2)
	v_pk_add_f32 v[26:27], v[26:27], v[36:37]
	ds_bpermute_b32 v38, v53, v24
	ds_bpermute_b32 v39, v53, v25
	;; [unrolled: 1-line block ×4, first 2 shown]
	s_waitcnt lgkmcnt(4)
	v_pk_add_f32 v[32:33], v[28:29], v[32:33]
	ds_bpermute_b32 v40, v54, v32
	s_waitcnt lgkmcnt(3)
	v_pk_add_f32 v[24:25], v[24:25], v[38:39]
	ds_bpermute_b32 v41, v54, v33
	;; [unrolled: 3-line block ×3, first 2 shown]
	ds_bpermute_b32 v27, v52, v25
	ds_bpermute_b32 v38, v54, v36
	ds_bpermute_b32 v39, v54, v37
	ds_bpermute_b32 v28, v53, v22
	ds_bpermute_b32 v29, v53, v23
	s_waitcnt lgkmcnt(4)
	v_pk_add_f32 v[42:43], v[24:25], v[26:27]
	v_pk_add_f32 v[26:27], v[32:33], v[40:41]
	ds_bpermute_b32 v32, v53, v20
	ds_bpermute_b32 v33, v53, v21
	s_waitcnt lgkmcnt(4)
	v_pk_add_f32 v[24:25], v[36:37], v[38:39]
	ds_bpermute_b32 v36, v53, v18
	ds_bpermute_b32 v37, v53, v19
	;; [unrolled: 1-line block ×3, first 2 shown]
	s_waitcnt lgkmcnt(3)
	v_pk_add_f32 v[20:21], v[20:21], v[32:33]
	ds_bpermute_b32 v32, v52, v20
	ds_bpermute_b32 v33, v52, v21
	s_waitcnt lgkmcnt(3)
	v_pk_add_f32 v[18:19], v[18:19], v[36:37]
	ds_bpermute_b32 v39, v53, v17
	ds_bpermute_b32 v36, v52, v18
	;; [unrolled: 1-line block ×3, first 2 shown]
	s_waitcnt lgkmcnt(3)
	v_pk_add_f32 v[32:33], v[20:21], v[32:33]
	ds_bpermute_b32 v44, v54, v42
	s_waitcnt lgkmcnt(3)
	v_pk_add_f32 v[16:17], v[16:17], v[38:39]
	ds_bpermute_b32 v45, v54, v43
	ds_bpermute_b32 v40, v54, v32
	;; [unrolled: 1-line block ×3, first 2 shown]
	s_waitcnt lgkmcnt(4)
	v_pk_add_f32 v[36:37], v[18:19], v[36:37]
	ds_bpermute_b32 v18, v52, v16
	ds_bpermute_b32 v19, v52, v17
	v_pk_add_f32 v[46:47], v[22:23], v[28:29]
	s_waitcnt lgkmcnt(4)
	v_pk_add_f32 v[22:23], v[42:43], v[44:45]
	ds_bpermute_b32 v38, v54, v36
	ds_bpermute_b32 v39, v54, v37
	s_waitcnt lgkmcnt(2)
	v_pk_add_f32 v[42:43], v[16:17], v[18:19]
	v_pk_add_f32 v[18:19], v[32:33], v[40:41]
	ds_bpermute_b32 v32, v53, v12
	ds_bpermute_b32 v33, v53, v13
	;; [unrolled: 1-line block ×8, first 2 shown]
	s_waitcnt lgkmcnt(8)
	v_pk_add_f32 v[16:17], v[36:37], v[38:39]
	ds_bpermute_b32 v36, v53, v10
	ds_bpermute_b32 v37, v53, v11
	s_waitcnt lgkmcnt(8)
	v_pk_add_f32 v[12:13], v[12:13], v[32:33]
	ds_bpermute_b32 v32, v52, v12
	ds_bpermute_b32 v33, v52, v13
	s_waitcnt lgkmcnt(8)
	v_pk_add_f32 v[28:29], v[30:31], v[34:35]
	s_waitcnt lgkmcnt(6)
	v_pk_add_f32 v[30:31], v[46:47], v[48:49]
	;; [unrolled: 2-line block ×4, first 2 shown]
	ds_bpermute_b32 v38, v53, v8
	ds_bpermute_b32 v39, v53, v9
	;; [unrolled: 1-line block ×8, first 2 shown]
	s_waitcnt lgkmcnt(8)
	v_pk_add_f32 v[32:33], v[12:13], v[32:33]
	ds_bpermute_b32 v12, v53, v6
	ds_bpermute_b32 v13, v53, v7
	s_waitcnt lgkmcnt(8)
	v_pk_add_f32 v[8:9], v[8:9], v[38:39]
	ds_bpermute_b32 v44, v54, v42
	ds_bpermute_b32 v45, v54, v43
	s_waitcnt lgkmcnt(8)
	v_pk_add_f32 v[20:21], v[30:31], v[34:35]
	s_waitcnt lgkmcnt(6)
	v_pk_add_f32 v[30:31], v[46:47], v[48:49]
	;; [unrolled: 2-line block ×3, first 2 shown]
	ds_bpermute_b32 v10, v52, v8
	ds_bpermute_b32 v11, v52, v9
	s_waitcnt lgkmcnt(4)
	v_pk_add_f32 v[46:47], v[6:7], v[12:13]
	ds_bpermute_b32 v34, v54, v30
	ds_bpermute_b32 v35, v54, v31
	;; [unrolled: 1-line block ×6, first 2 shown]
	s_waitcnt lgkmcnt(8)
	v_pk_add_f32 v[14:15], v[42:43], v[44:45]
	s_waitcnt lgkmcnt(6)
	v_pk_add_f32 v[42:43], v[8:9], v[10:11]
	ds_bpermute_b32 v38, v54, v36
	ds_bpermute_b32 v39, v54, v37
	;; [unrolled: 1-line block ×4, first 2 shown]
	s_waitcnt lgkmcnt(8)
	v_pk_add_f32 v[12:13], v[30:31], v[34:35]
	s_waitcnt lgkmcnt(6)
	v_pk_add_f32 v[30:31], v[46:47], v[48:49]
	;; [unrolled: 2-line block ×3, first 2 shown]
	ds_bpermute_b32 v32, v54, v30
	ds_bpermute_b32 v33, v54, v31
	v_and_b32_e32 v34, 0x3c7, v50
	s_waitcnt lgkmcnt(4)
	v_pk_add_f32 v[8:9], v[36:37], v[38:39]
	s_waitcnt lgkmcnt(2)
	v_pk_add_f32 v[6:7], v[42:43], v[44:45]
	v_cmp_ne_u32_e32 vcc, 64, v34
	s_waitcnt lgkmcnt(0)
	s_barrier
	s_and_saveexec_b64 s[0:1], vcc
	s_xor_b64 s[0:1], exec, s[0:1]
; %bb.109:
                                        ; implicit-def: $vgpr51
; %bb.110:
	s_or_saveexec_b64 s[0:1], s[0:1]
	v_pk_add_f32 v[30:31], v[30:31], v[32:33]
	s_xor_b64 exec, exec, s[0:1]
	s_cbranch_execz .LBB244_112
; %bb.111:
	v_lshrrev_b32_e32 v32, 1, v51
	v_add_u32_e32 v32, 0x410, v32
	ds_write2_b32 v32, v4, v5 offset1:8
	ds_write2_b32 v32, v2, v3 offset0:16 offset1:24
	ds_write2_b32 v32, v0, v1 offset0:32 offset1:40
	;; [unrolled: 1-line block ×15, first 2 shown]
.LBB244_112:
	s_or_b64 exec, exec, s[0:1]
	v_cmp_gt_u32_e32 vcc, 64, v50
	s_waitcnt lgkmcnt(0)
	s_barrier
	s_and_saveexec_b64 s[0:1], vcc
	s_cbranch_execz .LBB244_147
; %bb.113:
	scratch_load_dword v32, off, off offset:368 ; 4-byte Folded Reload
	s_waitcnt vmcnt(0)
	v_cmp_eq_u32_e32 vcc, 0, v32
	v_lshrrev_b32_e32 v32, 3, v50
	s_and_saveexec_b64 s[2:3], vcc
	s_cbranch_execnz .LBB244_150
; %bb.114:
	s_or_b64 exec, exec, s[2:3]
	s_and_saveexec_b64 s[2:3], vcc
	s_cbranch_execnz .LBB244_151
.LBB244_115:
	s_or_b64 exec, exec, s[2:3]
	s_and_saveexec_b64 s[2:3], vcc
	s_cbranch_execnz .LBB244_152
.LBB244_116:
	s_or_b64 exec, exec, s[2:3]
	s_and_saveexec_b64 s[2:3], vcc
	s_cbranch_execnz .LBB244_153
.LBB244_117:
	s_or_b64 exec, exec, s[2:3]
	s_and_saveexec_b64 s[2:3], vcc
	s_cbranch_execnz .LBB244_154
.LBB244_118:
	s_or_b64 exec, exec, s[2:3]
	s_and_saveexec_b64 s[2:3], vcc
	s_cbranch_execnz .LBB244_155
.LBB244_119:
	s_or_b64 exec, exec, s[2:3]
	s_and_saveexec_b64 s[2:3], vcc
	s_cbranch_execnz .LBB244_156
.LBB244_120:
	s_or_b64 exec, exec, s[2:3]
	s_and_saveexec_b64 s[2:3], vcc
	s_cbranch_execnz .LBB244_157
.LBB244_121:
	s_or_b64 exec, exec, s[2:3]
	s_and_saveexec_b64 s[2:3], vcc
	s_cbranch_execnz .LBB244_158
.LBB244_122:
	s_or_b64 exec, exec, s[2:3]
	s_and_saveexec_b64 s[2:3], vcc
	s_cbranch_execnz .LBB244_159
.LBB244_123:
	s_or_b64 exec, exec, s[2:3]
	s_and_saveexec_b64 s[2:3], vcc
	s_cbranch_execnz .LBB244_160
.LBB244_124:
	s_or_b64 exec, exec, s[2:3]
	s_and_saveexec_b64 s[2:3], vcc
	s_cbranch_execnz .LBB244_161
.LBB244_125:
	s_or_b64 exec, exec, s[2:3]
	s_and_saveexec_b64 s[2:3], vcc
	s_cbranch_execnz .LBB244_162
.LBB244_126:
	s_or_b64 exec, exec, s[2:3]
	s_and_saveexec_b64 s[2:3], vcc
	s_cbranch_execnz .LBB244_163
.LBB244_127:
	s_or_b64 exec, exec, s[2:3]
	s_and_saveexec_b64 s[2:3], vcc
	s_cbranch_execnz .LBB244_164
.LBB244_128:
	s_or_b64 exec, exec, s[2:3]
	s_and_saveexec_b64 s[2:3], vcc
	s_cbranch_execnz .LBB244_165
.LBB244_129:
	s_or_b64 exec, exec, s[2:3]
	s_and_saveexec_b64 s[2:3], vcc
	s_cbranch_execnz .LBB244_166
.LBB244_130:
	s_or_b64 exec, exec, s[2:3]
	s_and_saveexec_b64 s[2:3], vcc
	s_cbranch_execnz .LBB244_167
.LBB244_131:
	s_or_b64 exec, exec, s[2:3]
	s_and_saveexec_b64 s[2:3], vcc
	s_cbranch_execnz .LBB244_168
.LBB244_132:
	s_or_b64 exec, exec, s[2:3]
	s_and_saveexec_b64 s[2:3], vcc
	s_cbranch_execnz .LBB244_169
.LBB244_133:
	s_or_b64 exec, exec, s[2:3]
	s_and_saveexec_b64 s[2:3], vcc
	s_cbranch_execnz .LBB244_170
.LBB244_134:
	s_or_b64 exec, exec, s[2:3]
	s_and_saveexec_b64 s[2:3], vcc
	s_cbranch_execnz .LBB244_171
.LBB244_135:
	s_or_b64 exec, exec, s[2:3]
	s_and_saveexec_b64 s[2:3], vcc
	s_cbranch_execnz .LBB244_172
.LBB244_136:
	s_or_b64 exec, exec, s[2:3]
	s_and_saveexec_b64 s[2:3], vcc
	s_cbranch_execnz .LBB244_173
.LBB244_137:
	s_or_b64 exec, exec, s[2:3]
	s_and_saveexec_b64 s[2:3], vcc
	s_cbranch_execnz .LBB244_174
.LBB244_138:
	s_or_b64 exec, exec, s[2:3]
	s_and_saveexec_b64 s[2:3], vcc
	s_cbranch_execnz .LBB244_175
.LBB244_139:
	s_or_b64 exec, exec, s[2:3]
	s_and_saveexec_b64 s[2:3], vcc
	s_cbranch_execnz .LBB244_176
.LBB244_140:
	s_or_b64 exec, exec, s[2:3]
	s_and_saveexec_b64 s[2:3], vcc
	s_cbranch_execnz .LBB244_177
.LBB244_141:
	s_or_b64 exec, exec, s[2:3]
	s_and_saveexec_b64 s[2:3], vcc
	s_cbranch_execnz .LBB244_178
.LBB244_142:
	s_or_b64 exec, exec, s[2:3]
	s_and_saveexec_b64 s[2:3], vcc
	s_cbranch_execnz .LBB244_179
.LBB244_143:
	s_or_b64 exec, exec, s[2:3]
	s_and_saveexec_b64 s[2:3], vcc
	s_cbranch_execnz .LBB244_180
.LBB244_144:
	s_or_b64 exec, exec, s[2:3]
	s_and_saveexec_b64 s[2:3], vcc
	s_cbranch_execz .LBB244_146
.LBB244_145:
	v_mov_b32_e32 v33, 0x410
	v_lshl_add_u32 v32, v32, 2, v33
	ds_read_b32 v32, v32 offset:992
	s_waitcnt lgkmcnt(0)
	v_add_f32_e32 v31, v31, v32
.LBB244_146:
	s_or_b64 exec, exec, s[2:3]
.LBB244_147:
	s_or_b64 exec, exec, s[0:1]
	v_cmp_eq_u32_e32 vcc, 0, v34
	s_barrier
	s_and_saveexec_b64 s[0:1], vcc
	s_cbranch_execz .LBB244_149
; %bb.148:
	s_lshl_b32 s0, s6, 8
	s_ashr_i32 s1, s0, 31
	s_lshl_b64 s[0:1], s[0:1], 2
	s_add_u32 s2, s26, s0
	s_mul_i32 s0, s25, s24
	s_addc_u32 s3, s27, s1
	s_ashr_i32 s1, s0, 31
	s_lshl_b64 s[0:1], s[0:1], 2
	s_add_u32 s2, s2, s0
	s_addc_u32 s3, s3, s1
	s_lshl_b32 s0, s4, 8
	s_ashr_i32 s1, s0, 31
	s_lshl_b64 s[0:1], s[0:1], 2
	s_add_u32 s0, s2, s0
	s_addc_u32 s1, s3, s1
	v_lshrrev_b32_e32 v32, 1, v50
	global_store_dword v32, v4, s[0:1]
	global_store_dword v32, v5, s[0:1] offset:32
	global_store_dword v32, v2, s[0:1] offset:64
	;; [unrolled: 1-line block ×31, first 2 shown]
.LBB244_149:
	s_endpgm
.LBB244_150:
	v_mov_b32_e32 v33, 0x410
	v_lshl_add_u32 v33, v32, 2, v33
	ds_read_b32 v33, v33
	s_waitcnt lgkmcnt(0)
	v_add_f32_e32 v4, v4, v33
	s_or_b64 exec, exec, s[2:3]
	s_and_saveexec_b64 s[2:3], vcc
	s_cbranch_execz .LBB244_115
.LBB244_151:
	v_mov_b32_e32 v33, 0x410
	v_lshl_add_u32 v33, v32, 2, v33
	ds_read_b32 v33, v33 offset:32
	s_waitcnt lgkmcnt(0)
	v_add_f32_e32 v5, v5, v33
	s_or_b64 exec, exec, s[2:3]
	s_and_saveexec_b64 s[2:3], vcc
	s_cbranch_execz .LBB244_116
.LBB244_152:
	v_mov_b32_e32 v33, 0x410
	v_lshl_add_u32 v33, v32, 2, v33
	ds_read_b32 v33, v33 offset:64
	s_waitcnt lgkmcnt(0)
	v_add_f32_e32 v2, v2, v33
	s_or_b64 exec, exec, s[2:3]
	s_and_saveexec_b64 s[2:3], vcc
	s_cbranch_execz .LBB244_117
.LBB244_153:
	v_mov_b32_e32 v33, 0x410
	v_lshl_add_u32 v33, v32, 2, v33
	ds_read_b32 v33, v33 offset:96
	s_waitcnt lgkmcnt(0)
	v_add_f32_e32 v3, v3, v33
	s_or_b64 exec, exec, s[2:3]
	s_and_saveexec_b64 s[2:3], vcc
	s_cbranch_execz .LBB244_118
.LBB244_154:
	v_mov_b32_e32 v33, 0x410
	v_lshl_add_u32 v33, v32, 2, v33
	ds_read_b32 v33, v33 offset:128
	s_waitcnt lgkmcnt(0)
	v_add_f32_e32 v0, v0, v33
	s_or_b64 exec, exec, s[2:3]
	s_and_saveexec_b64 s[2:3], vcc
	s_cbranch_execz .LBB244_119
.LBB244_155:
	v_mov_b32_e32 v33, 0x410
	v_lshl_add_u32 v33, v32, 2, v33
	ds_read_b32 v33, v33 offset:160
	s_waitcnt lgkmcnt(0)
	v_add_f32_e32 v1, v1, v33
	s_or_b64 exec, exec, s[2:3]
	s_and_saveexec_b64 s[2:3], vcc
	s_cbranch_execz .LBB244_120
.LBB244_156:
	v_mov_b32_e32 v33, 0x410
	v_lshl_add_u32 v33, v32, 2, v33
	ds_read_b32 v33, v33 offset:192
	s_waitcnt lgkmcnt(0)
	v_add_f32_e32 v28, v28, v33
	s_or_b64 exec, exec, s[2:3]
	s_and_saveexec_b64 s[2:3], vcc
	s_cbranch_execz .LBB244_121
.LBB244_157:
	v_mov_b32_e32 v33, 0x410
	v_lshl_add_u32 v33, v32, 2, v33
	ds_read_b32 v33, v33 offset:224
	s_waitcnt lgkmcnt(0)
	v_add_f32_e32 v29, v29, v33
	s_or_b64 exec, exec, s[2:3]
	s_and_saveexec_b64 s[2:3], vcc
	s_cbranch_execz .LBB244_122
.LBB244_158:
	v_mov_b32_e32 v33, 0x410
	v_lshl_add_u32 v33, v32, 2, v33
	ds_read_b32 v33, v33 offset:256
	s_waitcnt lgkmcnt(0)
	v_add_f32_e32 v26, v26, v33
	s_or_b64 exec, exec, s[2:3]
	s_and_saveexec_b64 s[2:3], vcc
	s_cbranch_execz .LBB244_123
.LBB244_159:
	v_mov_b32_e32 v33, 0x410
	v_lshl_add_u32 v33, v32, 2, v33
	ds_read_b32 v33, v33 offset:288
	s_waitcnt lgkmcnt(0)
	v_add_f32_e32 v27, v27, v33
	s_or_b64 exec, exec, s[2:3]
	s_and_saveexec_b64 s[2:3], vcc
	s_cbranch_execz .LBB244_124
.LBB244_160:
	v_mov_b32_e32 v33, 0x410
	v_lshl_add_u32 v33, v32, 2, v33
	ds_read_b32 v33, v33 offset:320
	s_waitcnt lgkmcnt(0)
	v_add_f32_e32 v24, v24, v33
	s_or_b64 exec, exec, s[2:3]
	s_and_saveexec_b64 s[2:3], vcc
	s_cbranch_execz .LBB244_125
.LBB244_161:
	v_mov_b32_e32 v33, 0x410
	v_lshl_add_u32 v33, v32, 2, v33
	ds_read_b32 v33, v33 offset:352
	s_waitcnt lgkmcnt(0)
	v_add_f32_e32 v25, v25, v33
	s_or_b64 exec, exec, s[2:3]
	s_and_saveexec_b64 s[2:3], vcc
	s_cbranch_execz .LBB244_126
.LBB244_162:
	v_mov_b32_e32 v33, 0x410
	v_lshl_add_u32 v33, v32, 2, v33
	ds_read_b32 v33, v33 offset:384
	s_waitcnt lgkmcnt(0)
	v_add_f32_e32 v22, v22, v33
	s_or_b64 exec, exec, s[2:3]
	s_and_saveexec_b64 s[2:3], vcc
	s_cbranch_execz .LBB244_127
.LBB244_163:
	v_mov_b32_e32 v33, 0x410
	v_lshl_add_u32 v33, v32, 2, v33
	ds_read_b32 v33, v33 offset:416
	s_waitcnt lgkmcnt(0)
	v_add_f32_e32 v23, v23, v33
	s_or_b64 exec, exec, s[2:3]
	s_and_saveexec_b64 s[2:3], vcc
	s_cbranch_execz .LBB244_128
.LBB244_164:
	v_mov_b32_e32 v33, 0x410
	v_lshl_add_u32 v33, v32, 2, v33
	ds_read_b32 v33, v33 offset:448
	s_waitcnt lgkmcnt(0)
	v_add_f32_e32 v20, v20, v33
	s_or_b64 exec, exec, s[2:3]
	s_and_saveexec_b64 s[2:3], vcc
	s_cbranch_execz .LBB244_129
.LBB244_165:
	v_mov_b32_e32 v33, 0x410
	v_lshl_add_u32 v33, v32, 2, v33
	ds_read_b32 v33, v33 offset:480
	s_waitcnt lgkmcnt(0)
	v_add_f32_e32 v21, v21, v33
	s_or_b64 exec, exec, s[2:3]
	s_and_saveexec_b64 s[2:3], vcc
	s_cbranch_execz .LBB244_130
.LBB244_166:
	v_mov_b32_e32 v33, 0x410
	v_lshl_add_u32 v33, v32, 2, v33
	ds_read_b32 v33, v33 offset:512
	s_waitcnt lgkmcnt(0)
	v_add_f32_e32 v18, v18, v33
	s_or_b64 exec, exec, s[2:3]
	s_and_saveexec_b64 s[2:3], vcc
	s_cbranch_execz .LBB244_131
.LBB244_167:
	v_mov_b32_e32 v33, 0x410
	v_lshl_add_u32 v33, v32, 2, v33
	ds_read_b32 v33, v33 offset:544
	s_waitcnt lgkmcnt(0)
	v_add_f32_e32 v19, v19, v33
	s_or_b64 exec, exec, s[2:3]
	s_and_saveexec_b64 s[2:3], vcc
	s_cbranch_execz .LBB244_132
.LBB244_168:
	v_mov_b32_e32 v33, 0x410
	v_lshl_add_u32 v33, v32, 2, v33
	ds_read_b32 v33, v33 offset:576
	s_waitcnt lgkmcnt(0)
	v_add_f32_e32 v16, v16, v33
	s_or_b64 exec, exec, s[2:3]
	s_and_saveexec_b64 s[2:3], vcc
	s_cbranch_execz .LBB244_133
.LBB244_169:
	v_mov_b32_e32 v33, 0x410
	v_lshl_add_u32 v33, v32, 2, v33
	ds_read_b32 v33, v33 offset:608
	s_waitcnt lgkmcnt(0)
	v_add_f32_e32 v17, v17, v33
	s_or_b64 exec, exec, s[2:3]
	s_and_saveexec_b64 s[2:3], vcc
	s_cbranch_execz .LBB244_134
.LBB244_170:
	v_mov_b32_e32 v33, 0x410
	v_lshl_add_u32 v33, v32, 2, v33
	ds_read_b32 v33, v33 offset:640
	s_waitcnt lgkmcnt(0)
	v_add_f32_e32 v14, v14, v33
	s_or_b64 exec, exec, s[2:3]
	s_and_saveexec_b64 s[2:3], vcc
	s_cbranch_execz .LBB244_135
.LBB244_171:
	v_mov_b32_e32 v33, 0x410
	v_lshl_add_u32 v33, v32, 2, v33
	ds_read_b32 v33, v33 offset:672
	s_waitcnt lgkmcnt(0)
	v_add_f32_e32 v15, v15, v33
	s_or_b64 exec, exec, s[2:3]
	s_and_saveexec_b64 s[2:3], vcc
	s_cbranch_execz .LBB244_136
.LBB244_172:
	v_mov_b32_e32 v33, 0x410
	v_lshl_add_u32 v33, v32, 2, v33
	ds_read_b32 v33, v33 offset:704
	s_waitcnt lgkmcnt(0)
	v_add_f32_e32 v12, v12, v33
	s_or_b64 exec, exec, s[2:3]
	s_and_saveexec_b64 s[2:3], vcc
	s_cbranch_execz .LBB244_137
.LBB244_173:
	v_mov_b32_e32 v33, 0x410
	v_lshl_add_u32 v33, v32, 2, v33
	ds_read_b32 v33, v33 offset:736
	s_waitcnt lgkmcnt(0)
	v_add_f32_e32 v13, v13, v33
	s_or_b64 exec, exec, s[2:3]
	s_and_saveexec_b64 s[2:3], vcc
	s_cbranch_execz .LBB244_138
.LBB244_174:
	v_mov_b32_e32 v33, 0x410
	v_lshl_add_u32 v33, v32, 2, v33
	ds_read_b32 v33, v33 offset:768
	s_waitcnt lgkmcnt(0)
	v_add_f32_e32 v10, v10, v33
	s_or_b64 exec, exec, s[2:3]
	s_and_saveexec_b64 s[2:3], vcc
	s_cbranch_execz .LBB244_139
.LBB244_175:
	v_mov_b32_e32 v33, 0x410
	v_lshl_add_u32 v33, v32, 2, v33
	ds_read_b32 v33, v33 offset:800
	s_waitcnt lgkmcnt(0)
	v_add_f32_e32 v11, v11, v33
	s_or_b64 exec, exec, s[2:3]
	s_and_saveexec_b64 s[2:3], vcc
	s_cbranch_execz .LBB244_140
.LBB244_176:
	v_mov_b32_e32 v33, 0x410
	v_lshl_add_u32 v33, v32, 2, v33
	ds_read_b32 v33, v33 offset:832
	s_waitcnt lgkmcnt(0)
	v_add_f32_e32 v8, v8, v33
	s_or_b64 exec, exec, s[2:3]
	s_and_saveexec_b64 s[2:3], vcc
	s_cbranch_execz .LBB244_141
.LBB244_177:
	v_mov_b32_e32 v33, 0x410
	v_lshl_add_u32 v33, v32, 2, v33
	ds_read_b32 v33, v33 offset:864
	s_waitcnt lgkmcnt(0)
	v_add_f32_e32 v9, v9, v33
	s_or_b64 exec, exec, s[2:3]
	s_and_saveexec_b64 s[2:3], vcc
	s_cbranch_execz .LBB244_142
.LBB244_178:
	v_mov_b32_e32 v33, 0x410
	v_lshl_add_u32 v33, v32, 2, v33
	ds_read_b32 v33, v33 offset:896
	s_waitcnt lgkmcnt(0)
	v_add_f32_e32 v6, v6, v33
	s_or_b64 exec, exec, s[2:3]
	s_and_saveexec_b64 s[2:3], vcc
	s_cbranch_execz .LBB244_143
.LBB244_179:
	v_mov_b32_e32 v33, 0x410
	v_lshl_add_u32 v33, v32, 2, v33
	ds_read_b32 v33, v33 offset:928
	s_waitcnt lgkmcnt(0)
	v_add_f32_e32 v7, v7, v33
	s_or_b64 exec, exec, s[2:3]
	s_and_saveexec_b64 s[2:3], vcc
	s_cbranch_execz .LBB244_144
.LBB244_180:
	v_mov_b32_e32 v33, 0x410
	v_lshl_add_u32 v33, v32, 2, v33
	ds_read_b32 v33, v33 offset:960
	s_waitcnt lgkmcnt(0)
	v_add_f32_e32 v30, v30, v33
	s_or_b64 exec, exec, s[2:3]
	s_and_saveexec_b64 s[2:3], vcc
	s_cbranch_execnz .LBB244_145
	s_branch .LBB244_146
	.section	.rodata,"a",@progbits
	.p2align	6, 0x0
	.amdhsa_kernel _ZN4vllm25paged_attention_v2_kernelIfhLi256ELi32ELi128ELNS_18Fp8KVCacheDataTypeE1ELb0ELi512EEEvPfS2_PT_PKS3_PKT0_S9_ifPKiSB_iPKfiiiSD_SD_iiiii
		.amdhsa_group_segment_fixed_size 1040
		.amdhsa_private_segment_fixed_size 392
		.amdhsa_kernarg_size 400
		.amdhsa_user_sgpr_count 2
		.amdhsa_user_sgpr_dispatch_ptr 0
		.amdhsa_user_sgpr_queue_ptr 0
		.amdhsa_user_sgpr_kernarg_segment_ptr 1
		.amdhsa_user_sgpr_dispatch_id 0
		.amdhsa_user_sgpr_kernarg_preload_length 0
		.amdhsa_user_sgpr_kernarg_preload_offset 0
		.amdhsa_user_sgpr_private_segment_size 0
		.amdhsa_uses_dynamic_stack 0
		.amdhsa_enable_private_segment 1
		.amdhsa_system_sgpr_workgroup_id_x 1
		.amdhsa_system_sgpr_workgroup_id_y 1
		.amdhsa_system_sgpr_workgroup_id_z 1
		.amdhsa_system_sgpr_workgroup_info 0
		.amdhsa_system_vgpr_workitem_id 0
		.amdhsa_next_free_vgpr 128
		.amdhsa_next_free_sgpr 63
		.amdhsa_accum_offset 128
		.amdhsa_reserve_vcc 1
		.amdhsa_float_round_mode_32 0
		.amdhsa_float_round_mode_16_64 0
		.amdhsa_float_denorm_mode_32 3
		.amdhsa_float_denorm_mode_16_64 3
		.amdhsa_dx10_clamp 1
		.amdhsa_ieee_mode 1
		.amdhsa_fp16_overflow 0
		.amdhsa_tg_split 0
		.amdhsa_exception_fp_ieee_invalid_op 0
		.amdhsa_exception_fp_denorm_src 0
		.amdhsa_exception_fp_ieee_div_zero 0
		.amdhsa_exception_fp_ieee_overflow 0
		.amdhsa_exception_fp_ieee_underflow 0
		.amdhsa_exception_fp_ieee_inexact 0
		.amdhsa_exception_int_div_zero 0
	.end_amdhsa_kernel
	.section	.text._ZN4vllm25paged_attention_v2_kernelIfhLi256ELi32ELi128ELNS_18Fp8KVCacheDataTypeE1ELb0ELi512EEEvPfS2_PT_PKS3_PKT0_S9_ifPKiSB_iPKfiiiSD_SD_iiiii,"axG",@progbits,_ZN4vllm25paged_attention_v2_kernelIfhLi256ELi32ELi128ELNS_18Fp8KVCacheDataTypeE1ELb0ELi512EEEvPfS2_PT_PKS3_PKT0_S9_ifPKiSB_iPKfiiiSD_SD_iiiii,comdat
.Lfunc_end244:
	.size	_ZN4vllm25paged_attention_v2_kernelIfhLi256ELi32ELi128ELNS_18Fp8KVCacheDataTypeE1ELb0ELi512EEEvPfS2_PT_PKS3_PKT0_S9_ifPKiSB_iPKfiiiSD_SD_iiiii, .Lfunc_end244-_ZN4vllm25paged_attention_v2_kernelIfhLi256ELi32ELi128ELNS_18Fp8KVCacheDataTypeE1ELb0ELi512EEEvPfS2_PT_PKS3_PKT0_S9_ifPKiSB_iPKfiiiSD_SD_iiiii
                                        ; -- End function
	.section	.AMDGPU.csdata,"",@progbits
; Kernel info:
; codeLenInByte = 16308
; NumSgprs: 69
; NumVgprs: 128
; NumAgprs: 0
; TotalNumVgprs: 128
; ScratchSize: 392
; MemoryBound: 0
; FloatMode: 240
; IeeeMode: 1
; LDSByteSize: 1040 bytes/workgroup (compile time only)
; SGPRBlocks: 8
; VGPRBlocks: 15
; NumSGPRsForWavesPerEU: 69
; NumVGPRsForWavesPerEU: 128
; AccumOffset: 128
; Occupancy: 4
; WaveLimiterHint : 1
; COMPUTE_PGM_RSRC2:SCRATCH_EN: 1
; COMPUTE_PGM_RSRC2:USER_SGPR: 2
; COMPUTE_PGM_RSRC2:TRAP_HANDLER: 0
; COMPUTE_PGM_RSRC2:TGID_X_EN: 1
; COMPUTE_PGM_RSRC2:TGID_Y_EN: 1
; COMPUTE_PGM_RSRC2:TGID_Z_EN: 1
; COMPUTE_PGM_RSRC2:TIDIG_COMP_CNT: 0
; COMPUTE_PGM_RSRC3_GFX90A:ACCUM_OFFSET: 31
; COMPUTE_PGM_RSRC3_GFX90A:TG_SPLIT: 0
	.section	.text._ZN4vllm25paged_attention_v2_kernelIthLi32ELi8ELi128ELNS_18Fp8KVCacheDataTypeE1ELb1ELi512EEEvPfS2_PT_PKS3_PKT0_S9_ifPKiSB_iPKfiiiSD_SD_iiiii,"axG",@progbits,_ZN4vllm25paged_attention_v2_kernelIthLi32ELi8ELi128ELNS_18Fp8KVCacheDataTypeE1ELb1ELi512EEEvPfS2_PT_PKS3_PKT0_S9_ifPKiSB_iPKfiiiSD_SD_iiiii,comdat
	.protected	_ZN4vllm25paged_attention_v2_kernelIthLi32ELi8ELi128ELNS_18Fp8KVCacheDataTypeE1ELb1ELi512EEEvPfS2_PT_PKS3_PKT0_S9_ifPKiSB_iPKfiiiSD_SD_iiiii ; -- Begin function _ZN4vllm25paged_attention_v2_kernelIthLi32ELi8ELi128ELNS_18Fp8KVCacheDataTypeE1ELb1ELi512EEEvPfS2_PT_PKS3_PKT0_S9_ifPKiSB_iPKfiiiSD_SD_iiiii
	.globl	_ZN4vllm25paged_attention_v2_kernelIthLi32ELi8ELi128ELNS_18Fp8KVCacheDataTypeE1ELb1ELi512EEEvPfS2_PT_PKS3_PKT0_S9_ifPKiSB_iPKfiiiSD_SD_iiiii
	.p2align	8
	.type	_ZN4vllm25paged_attention_v2_kernelIthLi32ELi8ELi128ELNS_18Fp8KVCacheDataTypeE1ELb1ELi512EEEvPfS2_PT_PKS3_PKT0_S9_ifPKiSB_iPKfiiiSD_SD_iiiii,@function
_ZN4vllm25paged_attention_v2_kernelIthLi32ELi8ELi128ELNS_18Fp8KVCacheDataTypeE1ELb1ELi512EEEvPfS2_PT_PKS3_PKT0_S9_ifPKiSB_iPKfiiiSD_SD_iiiii: ; @_ZN4vllm25paged_attention_v2_kernelIthLi32ELi8ELi128ELNS_18Fp8KVCacheDataTypeE1ELb1ELi512EEEvPfS2_PT_PKS3_PKT0_S9_ifPKiSB_iPKfiiiSD_SD_iiiii
; %bb.0:
	s_load_dwordx2 s[6:7], s[0:1], 0x40
	s_mov_b32 s34, s3
	s_ashr_i32 s35, s3, 31
	s_lshl_b64 s[8:9], s[34:35], 2
	s_waitcnt lgkmcnt(0)
	s_add_u32 s6, s6, s8
	s_addc_u32 s7, s7, s9
	s_load_dword s33, s[6:7], 0x0
	s_lshl_b32 s50, s4, 9
	s_waitcnt lgkmcnt(0)
	s_cmp_ge_i32 s50, s33
	s_cbranch_scc1 .LBB245_127
; %bb.1:
	s_load_dword s5, s[0:1], 0x90
	s_load_dwordx2 s[42:43], s[0:1], 0x30
	s_mov_b32 s51, 0
	s_waitcnt lgkmcnt(0)
	s_abs_i32 s7, s5
	s_abs_i32 s3, s42
	v_cvt_f32_u32_e32 v1, s3
	s_sub_i32 s8, 0, s3
	s_xor_b32 s6, s5, s42
	s_ashr_i32 s6, s6, 31
	v_rcp_iflag_f32_e32 v1, v1
	s_nop 0
	v_mul_f32_e32 v1, 0x4f7ffffe, v1
	v_cvt_u32_f32_e32 v1, v1
	s_nop 0
	v_readfirstlane_b32 s9, v1
	s_mul_i32 s8, s8, s9
	s_mul_hi_u32 s8, s9, s8
	s_add_i32 s9, s9, s8
	s_mul_hi_u32 s8, s7, s9
	s_mul_i32 s9, s8, s3
	s_sub_i32 s7, s7, s9
	s_add_i32 s10, s8, 1
	s_sub_i32 s9, s7, s3
	s_cmp_ge_u32 s7, s3
	s_cselect_b32 s8, s10, s8
	s_cselect_b32 s7, s9, s7
	s_add_i32 s9, s8, 1
	s_cmp_ge_u32 s7, s3
	s_cselect_b32 s3, s9, s8
	s_xor_b32 s3, s3, s6
	s_sub_i32 s11, s3, s6
	s_abs_i32 s8, s11
	v_cvt_f32_u32_e32 v1, s8
	s_load_dwordx2 s[6:7], s[0:1], 0x50
	s_sub_i32 s3, 0, s8
	s_abs_i32 s9, s2
	v_rcp_iflag_f32_e32 v1, v1
	s_nop 0
	v_mul_f32_e32 v1, 0x4f7ffffe, v1
	v_cvt_u32_f32_e32 v1, v1
	s_nop 0
	v_readfirstlane_b32 s10, v1
	s_mul_i32 s3, s3, s10
	s_mul_hi_u32 s3, s10, s3
	s_add_i32 s10, s10, s3
	s_waitcnt lgkmcnt(0)
	s_cmp_eq_u64 s[6:7], 0
	s_mul_hi_u32 s10, s9, s10
	s_cbranch_scc1 .LBB245_3
; %bb.2:
	s_ashr_i32 s3, s2, 31
	s_lshl_b64 s[12:13], s[2:3], 2
	s_add_u32 s6, s6, s12
	s_addc_u32 s7, s7, s13
	s_load_dword s51, s[6:7], 0x0
.LBB245_3:
	s_load_dwordx4 s[16:19], s[0:1], 0x58
	s_ashr_i32 s3, s2, 31
	s_ashr_i32 s11, s11, 31
	v_and_b32_e32 v4, 7, v0
	s_lshl_b32 s28, s2, 5
	v_cmp_gt_u32_e32 vcc, 32, v0
	s_and_saveexec_b64 s[6:7], vcc
	s_cbranch_execz .LBB245_5
; %bb.4:
	s_load_dwordx2 s[12:13], s[0:1], 0x18
	s_waitcnt lgkmcnt(0)
	s_mul_i32 s14, s34, s16
	s_ashr_i32 s15, s14, 31
	s_lshl_b64 s[14:15], s[14:15], 1
	v_lshlrev_b32_e32 v1, 1, v0
	s_add_u32 s14, s12, s14
	s_addc_u32 s15, s13, s15
	s_ashr_i32 s29, s28, 31
	s_lshl_b64 s[12:13], s[28:29], 1
	s_add_u32 s12, s14, s12
	s_addc_u32 s13, s15, s13
	global_load_ushort v1, v1, s[12:13]
	v_lshrrev_b32_e32 v2, 2, v0
	v_and_b32_e32 v2, 0xfe, v2
	v_lshl_add_u32 v2, v4, 3, v2
	s_waitcnt vmcnt(0)
	ds_write_b16 v2, v1
.LBB245_5:
	s_or_b64 exec, exec, s[6:7]
	s_mul_i32 s6, s10, s8
	s_sub_i32 s6, s9, s6
	s_xor_b32 s3, s3, s11
	s_add_i32 s7, s10, 1
	s_sub_i32 s9, s6, s8
	s_load_dwordx4 s[20:23], s[0:1], 0x78
	s_cmp_ge_u32 s6, s8
	s_cselect_b32 s7, s7, s10
	s_load_dword s10, s[0:1], 0x88
	s_cselect_b32 s6, s9, s6
	s_add_i32 s9, s7, 1
	s_cmp_ge_u32 s6, s8
	s_cselect_b32 s6, s9, s7
	s_waitcnt lgkmcnt(0)
	s_abs_i32 s29, s23
	v_cvt_f32_u32_e32 v1, s29
	s_xor_b32 s6, s6, s3
	s_sub_i32 s8, s6, s3
	s_sub_i32 s6, 0, s29
	v_rcp_iflag_f32_e32 v1, v1
	s_add_i32 s11, s33, -1
	s_abs_i32 s3, s11
	v_mul_f32_e32 v1, 0x4f7ffffe, v1
	v_cvt_u32_f32_e32 v1, v1
	s_barrier
	v_readfirstlane_b32 s35, v1
	s_mul_i32 s6, s6, s35
	s_mul_hi_u32 s6, s35, s6
	s_add_i32 s35, s35, s6
	s_cmp_lt_i32 s10, 0
	s_mul_hi_u32 s9, s3, s35
	s_cbranch_scc0 .LBB245_7
; %bb.6:
	s_mul_i32 s6, s20, s42
	s_add_i32 s6, s8, s6
	s_mul_i32 s6, s6, s10
	s_sub_i32 s42, 1, s6
	s_mov_b64 s[6:7], 0
	s_branch .LBB245_8
.LBB245_7:
	s_mov_b64 s[6:7], -1
                                        ; implicit-def: $sgpr42
.LBB245_8:
	s_load_dwordx2 s[36:37], s[0:1], 0x38
	s_ashr_i32 s11, s11, 31
	s_andn2_b64 vcc, exec, s[6:7]
	s_ashr_i32 s48, s23, 31
	s_cbranch_vccnz .LBB245_10
; %bb.9:
	s_mul_i32 s6, s5, s20
	s_add_i32 s6, s6, s2
	s_mul_i32 s6, s6, s10
	s_add_i32 s42, s6, 1
.LBB245_10:
	s_load_dwordx2 s[40:41], s[0:1], 0x28
	s_load_dword s6, s[0:1], 0x48
	s_load_dwordx4 s[24:27], s[0:1], 0x0
	s_load_dwordx2 s[30:31], s[0:1], 0x10
	s_load_dword s23, s[0:1], 0x98
	s_load_dwordx4 s[12:15], s[0:1], 0x68
	s_mul_i32 s7, s9, s29
	s_waitcnt lgkmcnt(0)
	s_mul_i32 s38, s34, s6
	s_sub_i32 s3, s3, s7
	s_ashr_i32 s39, s38, 31
	s_xor_b32 s6, s11, s48
	s_add_i32 s7, s9, 1
	s_sub_i32 s10, s3, s29
	s_cmp_ge_u32 s3, s29
	s_cselect_b32 s7, s7, s9
	s_cselect_b32 s3, s10, s3
	s_add_i32 s9, s7, 1
	s_cmp_ge_u32 s3, s29
	s_cselect_b32 s3, s9, s7
	s_xor_b32 s3, s3, s6
	s_sub_i32 s16, s3, s6
	s_add_i32 s3, s33, 7
	s_ashr_i32 s6, s3, 31
	s_lshr_b32 s6, s6, 29
	s_add_i32 s3, s3, s6
	s_lshl_b32 s52, s4, 6
	s_ashr_i32 s3, s3, 3
	s_add_i32 s6, s52, 64
	v_lshrrev_b32_e32 v10, 6, v0
	s_min_i32 s49, s6, s3
	v_or_b32_e32 v2, s52, v10
	v_cmp_gt_i32_e64 s[6:7], s49, v2
	v_mov_b32_e32 v14, 0xff7fffff
	s_mul_i32 s20, s8, s18
	v_ashrrev_i32_e32 v3, 31, v2
	v_lshl_add_u32 v1, v10, 3, s50
	v_mbcnt_lo_u32_b32 v11, -1, 0
	s_and_saveexec_b64 s[18:19], s[6:7]
	s_cbranch_execz .LBB245_20
; %bb.11:
	s_load_dwordx2 s[0:1], s[0:1], 0x20
	s_sub_i32 s53, s16, s21
	s_ashr_i32 s9, s20, 31
	v_bfe_u32 v12, v0, 3, 3
	v_mov_b32_e32 v5, 0
	s_waitcnt lgkmcnt(0)
	s_add_u32 s8, s0, s20
	s_addc_u32 s9, s1, s9
	s_abs_i32 s54, s22
	v_cvt_f32_u32_e32 v6, s54
	v_lshlrev_b32_e32 v14, 2, v12
	v_lshl_or_b32 v14, v10, 5, v14
	v_add_u32_e32 v17, 0x50, v14
	v_rcp_iflag_f32_e32 v7, v6
	v_lshlrev_b32_e32 v6, 4, v12
	v_subrev_u32_e32 v14, s33, v12
	v_mbcnt_hi_u32_b32 v20, -1, v11
	v_mul_f32_e32 v7, 0x4f7ffffe, v7
	v_cvt_u32_f32_e32 v8, v7
	v_mov_b32_e32 v7, v5
	v_lshl_add_u64 v[6:7], s[8:9], 0, v[6:7]
	s_sub_i32 s8, 0, s54
	v_mul_lo_u32 v9, s8, v8
	s_lshl_b64 s[8:9], s[38:39], 2
	s_add_u32 s8, s36, s8
	v_mul_hi_u32 v9, v8, v9
	s_addc_u32 s9, s37, s9
	v_add_u32_e32 v18, 1, v14
	v_and_b32_e32 v14, 64, v20
	v_cmp_eq_u32_e32 vcc, 0, v4
	s_mov_b32 s55, s17
	v_lshlrev_b32_e32 v13, 3, v4
	v_cmp_neq_f32_e64 s[0:1], s51, 0
	v_add_u32_e32 v15, v8, v9
	v_lshl_add_u64 v[8:9], v[2:3], 2, s[8:9]
	v_lshl_add_u32 v16, v10, 3, s50
	s_mov_b64 s[44:45], 0
	v_mov_b32_e32 v19, 0xff7fffff
	v_add_u32_e32 v21, 64, v14
	v_xor_b32_e32 v22, 4, v20
	v_xor_b32_e32 v23, 2, v20
	;; [unrolled: 1-line block ×3, first 2 shown]
	v_mov_b32_e32 v14, 0xff7fffff
	v_mov_b32_e32 v25, v2
	s_branch .LBB245_14
.LBB245_12:                             ;   in Loop: Header=BB245_14 Depth=1
	s_or_b64 exec, exec, s[46:47]
.LBB245_13:                             ;   in Loop: Header=BB245_14 Depth=1
	s_or_b64 exec, exec, s[10:11]
	v_add_u32_e32 v25, 2, v25
	v_cmp_le_i32_e64 s[8:9], s49, v25
	v_lshl_add_u64 v[8:9], v[8:9], 0, 8
	v_add_u32_e32 v16, 16, v16
	s_or_b64 s[44:45], s[8:9], s[44:45]
	v_add_u32_e32 v17, 64, v17
	s_andn2_b64 exec, exec, s[44:45]
	s_cbranch_execz .LBB245_19
.LBB245_14:                             ; =>This Inner Loop Header: Depth=1
	s_waitcnt lgkmcnt(0)
	v_sub_u32_e32 v27, 0, v16
	v_max_i32_e32 v27, v16, v27
	v_mul_hi_u32 v28, v27, s35
	v_mul_lo_u32 v29, v28, s29
	v_sub_u32_e32 v27, v27, v29
	v_add_u32_e32 v29, 1, v28
	v_cmp_le_u32_e64 s[8:9], s29, v27
	v_ashrrev_i32_e32 v26, 31, v16
	v_xor_b32_e32 v26, s48, v26
	v_cndmask_b32_e64 v28, v28, v29, s[8:9]
	v_subrev_u32_e32 v29, s29, v27
	v_cndmask_b32_e64 v27, v27, v29, s[8:9]
	v_add_u32_e32 v29, 1, v28
	v_cmp_le_u32_e64 s[8:9], s29, v27
	s_nop 1
	v_cndmask_b32_e64 v27, v28, v29, s[8:9]
	v_xor_b32_e32 v27, v27, v26
	v_sub_u32_e32 v26, v27, v26
	v_add_u32_e32 v27, s42, v26
	v_sub_u32_e32 v29, 0, v27
	v_ashrrev_i32_e32 v28, 31, v27
	v_max_i32_e32 v27, v27, v29
	v_mul_hi_u32 v29, v27, v15
	v_mul_lo_u32 v29, v29, s54
	v_sub_u32_e32 v27, v27, v29
	v_subrev_u32_e32 v29, s54, v27
	v_cmp_le_u32_e64 s[8:9], s54, v27
	v_cmp_ge_i32_e64 s[10:11], s53, v26
	s_nop 0
	v_cndmask_b32_e64 v27, v27, v29, s[8:9]
	v_subrev_u32_e32 v29, s54, v27
	v_cmp_le_u32_e64 s[8:9], s54, v27
	s_nop 1
	v_cndmask_b32_e64 v27, v27, v29, s[8:9]
	v_xor_b32_e32 v27, v27, v28
	v_sub_u32_e32 v27, v27, v28
	v_cmp_ne_u32_e64 s[8:9], 0, v27
	s_and_b64 s[8:9], s[8:9], s[10:11]
	s_and_b64 s[46:47], vcc, s[8:9]
	s_and_saveexec_b64 s[10:11], s[46:47]
	s_cbranch_execz .LBB245_16
; %bb.15:                               ;   in Loop: Header=BB245_14 Depth=1
	ds_write_b32 v17, v19
.LBB245_16:                             ;   in Loop: Header=BB245_14 Depth=1
	s_or_b64 exec, exec, s[10:11]
	s_xor_b64 s[8:9], s[8:9], -1
	s_and_saveexec_b64 s[10:11], s[8:9]
	s_cbranch_execz .LBB245_13
; %bb.17:                               ;   in Loop: Header=BB245_14 Depth=1
	global_load_dword v26, v[8:9], off
	s_waitcnt vmcnt(0)
	v_mad_i64_i32 v[26:27], s[8:9], v26, s55, v[6:7]
	v_lshl_add_u64 v[26:27], v[26:27], 0, v[4:5]
	global_load_ubyte v28, v[26:27], off
	global_load_ubyte v29, v[26:27], off offset:8
	global_load_dword v30, v5, s[12:13]
	global_load_ubyte v31, v[26:27], off offset:128
	s_nop 0
	global_load_ubyte v26, v[26:27], off offset:136
	ds_read_u16 v27, v13
	s_waitcnt lgkmcnt(0)
	;;#ASMSTART
	v_cvt_f32_f16 v27, v27;
	;;#ASMEND
	v_cmp_lt_i32_e64 s[8:9], v22, v21
	s_waitcnt vmcnt(4)
	v_cvt_f32_fp8_sdwa v28, v28 src0_sel:BYTE_0
	s_waitcnt vmcnt(3)
	v_cvt_f32_fp8_sdwa v29, v29 src0_sel:BYTE_0
	v_cndmask_b32_e64 v32, v20, v22, s[8:9]
	s_waitcnt vmcnt(1)
	v_cvt_f32_fp8_sdwa v31, v31 src0_sel:BYTE_0
	v_fma_mixlo_f16 v28, v30, v28, 0
	v_and_b32_e32 v28, 0xffff, v28
	s_waitcnt vmcnt(0)
	v_cvt_f32_fp8_sdwa v26, v26 src0_sel:BYTE_0
	v_fma_mixlo_f16 v29, v30, v29, 0
	;;#ASMSTART
	v_cvt_f32_f16 v28, v28;
	;;#ASMEND
	ds_read_u16 v33, v13 offset:2
	v_and_b32_e32 v29, 0xffff, v29
	s_waitcnt lgkmcnt(0)
	;;#ASMSTART
	v_cvt_f32_f16 v33, v33;
	;;#ASMEND
	;;#ASMSTART
	v_cvt_f32_f16 v29, v29;
	;;#ASMEND
	v_fma_mixlo_f16 v31, v30, v31, 0
	v_mul_f32_e32 v29, v33, v29
	v_fma_mixlo_f16 v26, v30, v26, 0
	v_and_b32_e32 v30, 0xffff, v31
	v_fmac_f32_e32 v29, v27, v28
	ds_read_u16 v34, v13 offset:4
	s_waitcnt lgkmcnt(0)
	;;#ASMSTART
	v_cvt_f32_f16 v31, v34;
	;;#ASMEND
	;;#ASMSTART
	v_cvt_f32_f16 v30, v30;
	;;#ASMEND
	v_and_b32_e32 v26, 0xffff, v26
	v_fmac_f32_e32 v29, v31, v30
	v_lshlrev_b32_e32 v32, 2, v32
	ds_read_u16 v34, v13 offset:6
	s_waitcnt lgkmcnt(0)
	;;#ASMSTART
	v_cvt_f32_f16 v27, v34;
	;;#ASMEND
	;;#ASMSTART
	v_cvt_f32_f16 v26, v26;
	;;#ASMEND
	v_cmp_lt_i32_e64 s[8:9], v23, v21
	v_fmac_f32_e32 v29, v27, v26
	ds_bpermute_b32 v26, v32, v29
	v_cndmask_b32_e64 v27, v20, v23, s[8:9]
	v_lshlrev_b32_e32 v27, 2, v27
	v_cmp_lt_i32_e64 s[8:9], v24, v21
	s_waitcnt lgkmcnt(0)
	v_add_f32_e32 v26, v29, v26
	ds_bpermute_b32 v27, v27, v26
	v_cndmask_b32_e64 v28, v20, v24, s[8:9]
	s_waitcnt lgkmcnt(0)
	v_add_f32_e32 v26, v26, v27
	v_lshlrev_b32_e32 v27, 2, v28
	ds_bpermute_b32 v27, v27, v26
	s_and_saveexec_b64 s[46:47], vcc
	s_cbranch_execz .LBB245_12
; %bb.18:                               ;   in Loop: Header=BB245_14 Depth=1
	v_add_u32_e32 v28, v18, v16
	v_cvt_f32_i32_e32 v28, v28
	s_waitcnt lgkmcnt(0)
	v_add_f32_e32 v26, v26, v27
	v_add_u32_e32 v29, v12, v16
	v_cmp_gt_i32_e64 s[8:9], s33, v29
	v_mul_f32_e32 v27, s51, v28
	v_cndmask_b32_e64 v27, 0, v27, s[0:1]
	v_fmac_f32_e32 v27, s43, v26
	v_cndmask_b32_e64 v26, 0, v27, s[8:9]
	ds_write_b32 v17, v26
	v_max_f32_e32 v26, v14, v14
	v_max_f32_e32 v26, v26, v27
	v_cndmask_b32_e64 v14, v14, v26, s[8:9]
	s_branch .LBB245_12
.LBB245_19:
	s_or_b64 exec, exec, s[44:45]
.LBB245_20:
	s_or_b64 exec, exec, s[18:19]
	v_mbcnt_hi_u32_b32 v4, -1, v11
	v_and_b32_e32 v5, 64, v4
	v_add_u32_e32 v5, 64, v5
	v_xor_b32_e32 v6, 32, v4
	v_cmp_lt_i32_e32 vcc, v6, v5
	v_xor_b32_e32 v9, 16, v4
	v_max_f32_e32 v7, v14, v14
	v_cndmask_b32_e32 v6, v4, v6, vcc
	v_lshlrev_b32_e32 v8, 2, v6
	ds_bpermute_b32 v6, v8, v14
	v_cmp_lt_i32_e32 vcc, v9, v5
	v_and_b32_e32 v11, 63, v0
	s_waitcnt lgkmcnt(0)
	v_max_f32_e32 v6, v6, v6
	v_max_f32_e32 v6, v7, v6
	v_cndmask_b32_e32 v7, v4, v9, vcc
	v_lshlrev_b32_e32 v12, 2, v7
	ds_bpermute_b32 v7, v12, v6
	v_xor_b32_e32 v9, 8, v4
	v_cmp_lt_i32_e32 vcc, v9, v5
	s_waitcnt lgkmcnt(0)
	v_max_f32_e32 v7, v7, v7
	v_max_f32_e32 v6, v6, v7
	v_cndmask_b32_e32 v7, v4, v9, vcc
	v_lshlrev_b32_e32 v13, 2, v7
	ds_bpermute_b32 v9, v13, v6
	v_cmp_eq_u32_e32 vcc, 0, v11
	v_lshlrev_b32_e32 v7, 2, v10
	s_and_saveexec_b64 s[0:1], vcc
	s_cbranch_execz .LBB245_22
; %bb.21:
	s_waitcnt lgkmcnt(0)
	v_max_f32_e32 v9, v9, v9
	v_max_f32_e32 v6, v6, v6
	;; [unrolled: 1-line block ×3, first 2 shown]
	ds_write_b32 v7, v6 offset:64
.LBB245_22:
	s_or_b64 exec, exec, s[0:1]
	v_cmp_gt_u32_e64 s[0:1], 2, v11
	v_mov_b32_e32 v6, 0xff7fffff
	s_waitcnt lgkmcnt(0)
	v_lshlrev_b32_e32 v9, 2, v11
	s_barrier
	s_and_saveexec_b64 s[8:9], s[0:1]
	s_cbranch_execz .LBB245_24
; %bb.23:
	ds_read_b32 v6, v9 offset:64
.LBB245_24:
	s_or_b64 exec, exec, s[8:9]
	v_xor_b32_e32 v14, 1, v4
	v_cmp_lt_i32_e64 s[8:9], v14, v5
	v_mov_b32_e32 v16, 0
	s_nop 0
	v_cndmask_b32_e64 v14, v4, v14, s[8:9]
	v_lshlrev_b32_e32 v14, 2, v14
	s_waitcnt lgkmcnt(0)
	ds_bpermute_b32 v15, v14, v6
	v_max_f32_e32 v6, v6, v6
	s_sub_i32 s8, s49, s52
	s_lshl_b32 s8, s8, 3
	s_add_i32 s8, s8, s50
	s_waitcnt lgkmcnt(0)
	v_max_f32_e32 v15, v15, v15
	v_max_f32_e32 v6, v6, v15
	v_lshlrev_b32_e32 v15, 2, v4
	v_and_b32_e32 v15, 0x100, v15
	ds_bpermute_b32 v6, v15, v6
	s_min_i32 s44, s8, s33
	s_sub_i32 s43, s44, s50
	v_cmp_gt_i32_e64 s[8:9], s43, v0
	s_and_saveexec_b64 s[12:13], s[8:9]
	s_cbranch_execz .LBB245_28
; %bb.25:
	v_mov_b32_e32 v16, 0x50
	v_lshl_add_u32 v17, v0, 2, v16
	s_mov_b64 s[18:19], 0
	v_mov_b32_e32 v16, 0
	v_mov_b32_e32 v18, v0
.LBB245_26:                             ; =>This Inner Loop Header: Depth=1
	ds_read_b32 v19, v17
	v_add_u32_e32 v18, 0x80, v18
	v_cmp_le_i32_e64 s[10:11], s43, v18
	s_or_b64 s[18:19], s[10:11], s[18:19]
	s_waitcnt lgkmcnt(0)
	v_sub_f32_e32 v19, v19, v6
	v_mul_f32_e32 v19, 0x3fb8aa3b, v19
	v_exp_f32_e32 v19, v19
	ds_write_b32 v17, v19
	v_add_f32_e32 v16, v16, v19
	v_add_u32_e32 v17, 0x200, v17
	s_andn2_b64 exec, exec, s[18:19]
	s_cbranch_execnz .LBB245_26
; %bb.27:
	s_or_b64 exec, exec, s[18:19]
.LBB245_28:
	s_or_b64 exec, exec, s[12:13]
	ds_bpermute_b32 v8, v8, v16
	s_waitcnt lgkmcnt(0)
	v_add_f32_e32 v8, v16, v8
	ds_bpermute_b32 v12, v12, v8
	s_waitcnt lgkmcnt(0)
	v_add_f32_e32 v8, v8, v12
	ds_bpermute_b32 v12, v13, v8
	v_xor_b32_e32 v13, 4, v4
	v_cmp_lt_i32_e64 s[10:11], v13, v5
	s_waitcnt lgkmcnt(0)
	v_add_f32_e32 v8, v8, v12
	v_cndmask_b32_e64 v13, v4, v13, s[10:11]
	v_lshlrev_b32_e32 v13, 2, v13
	ds_bpermute_b32 v12, v13, v8
	v_xor_b32_e32 v13, 2, v4
	v_cmp_lt_i32_e64 s[10:11], v13, v5
	s_waitcnt lgkmcnt(0)
	v_add_f32_e32 v5, v8, v12
	v_cndmask_b32_e64 v4, v4, v13, s[10:11]
	v_lshlrev_b32_e32 v4, 2, v4
	ds_bpermute_b32 v4, v4, v5
	s_waitcnt lgkmcnt(0)
	v_add_f32_e32 v4, v5, v4
	ds_bpermute_b32 v5, v14, v4
	s_waitcnt lgkmcnt(0)
	v_add_f32_e32 v4, v4, v5
	s_and_saveexec_b64 s[10:11], vcc
	s_cbranch_execz .LBB245_30
; %bb.29:
	ds_write_b32 v7, v4 offset:72
.LBB245_30:
	s_or_b64 exec, exec, s[10:11]
	s_waitcnt lgkmcnt(0)
	s_barrier
	s_and_saveexec_b64 s[10:11], s[0:1]
	s_cbranch_execz .LBB245_32
; %bb.31:
	ds_read_b32 v4, v9 offset:72
.LBB245_32:
	s_or_b64 exec, exec, s[10:11]
	s_waitcnt lgkmcnt(0)
	ds_bpermute_b32 v5, v14, v4
	s_waitcnt lgkmcnt(0)
	v_add_f32_e32 v4, v4, v5
	ds_bpermute_b32 v7, v15, v4
	s_and_saveexec_b64 s[0:1], s[8:9]
	s_cbranch_execz .LBB245_45
; %bb.33:
	s_waitcnt lgkmcnt(0)
	v_add_f32_e32 v4, 0x358637bd, v7
	v_div_scale_f32 v5, s[8:9], v4, v4, 1.0
	v_rcp_f32_e32 v8, v5
	v_div_scale_f32 v9, vcc, 1.0, v4, 1.0
	s_movk_i32 s8, 0x7f
	v_fma_f32 v12, -v5, v8, 1.0
	v_fmac_f32_e32 v8, v12, v8
	v_mul_f32_e32 v12, v9, v8
	v_fma_f32 v13, -v5, v12, v9
	v_fmac_f32_e32 v12, v13, v8
	v_fma_f32 v5, -v5, v12, v9
	v_div_fmas_f32 v5, v5, v8, v12
	v_div_fixup_f32 v4, v5, v4, 1.0
	v_xad_u32 v5, v0, -1, s44
	v_subrev_u32_e32 v8, s50, v5
	v_cmp_lt_u32_e32 vcc, s8, v8
	s_mov_b64 s[10:11], -1
	v_mov_b32_e32 v5, v0
	s_and_saveexec_b64 s[8:9], vcc
	s_cbranch_execz .LBB245_42
; %bb.34:
	v_lshrrev_b32_e32 v8, 7, v8
	v_add_u32_e32 v12, -1, v8
	v_lshrrev_b32_e32 v9, 1, v12
	v_mov_b32_e32 v5, v4
	v_add_u32_e32 v9, 1, v9
	v_cmp_lt_u32_e32 vcc, 13, v12
	v_mov_b32_e32 v14, 0
	s_and_saveexec_b64 s[10:11], vcc
	s_cbranch_execz .LBB245_38
; %bb.35:
	v_mov_b32_e32 v13, 0x50
	v_and_b32_e32 v12, -8, v9
	v_lshl_add_u32 v13, v0, 2, v13
	s_mov_b32 s18, 0
	s_mov_b64 s[12:13], 0
.LBB245_36:                             ; =>This Inner Loop Header: Depth=1
	ds_read2st64_b32 v[14:15], v13 offset1:2
	ds_read2st64_b32 v[16:17], v13 offset0:4 offset1:6
	ds_read2st64_b32 v[18:19], v13 offset0:8 offset1:10
	;; [unrolled: 1-line block ×3, first 2 shown]
	v_add_u32_e32 v12, -8, v12
	s_waitcnt lgkmcnt(3)
	v_pk_mul_f32 v[14:15], v[4:5], v[14:15]
	s_waitcnt lgkmcnt(2)
	v_pk_mul_f32 v[16:17], v[4:5], v[16:17]
	ds_write2st64_b32 v13, v14, v15 offset1:2
	ds_write2st64_b32 v13, v16, v17 offset0:4 offset1:6
	ds_read2st64_b32 v[16:17], v13 offset0:16 offset1:18
	s_waitcnt lgkmcnt(4)
	v_pk_mul_f32 v[14:15], v[4:5], v[18:19]
	ds_write2st64_b32 v13, v14, v15 offset0:8 offset1:10
	s_waitcnt lgkmcnt(4)
	v_pk_mul_f32 v[14:15], v[4:5], v[20:21]
	ds_write2st64_b32 v13, v14, v15 offset0:12 offset1:14
	ds_read2st64_b32 v[14:15], v13 offset0:20 offset1:22
	s_waitcnt lgkmcnt(3)
	v_pk_mul_f32 v[16:17], v[4:5], v[16:17]
	ds_read2st64_b32 v[18:19], v13 offset0:24 offset1:26
	ds_write2st64_b32 v13, v16, v17 offset0:16 offset1:18
	ds_read2st64_b32 v[16:17], v13 offset0:28 offset1:30
	s_waitcnt lgkmcnt(3)
	v_pk_mul_f32 v[14:15], v[4:5], v[14:15]
	ds_write2st64_b32 v13, v14, v15 offset0:20 offset1:22
	s_waitcnt lgkmcnt(3)
	v_pk_mul_f32 v[14:15], v[4:5], v[18:19]
	ds_write2st64_b32 v13, v14, v15 offset0:24 offset1:26
	s_waitcnt lgkmcnt(2)
	v_pk_mul_f32 v[14:15], v[4:5], v[16:17]
	s_add_i32 s18, s18, 16
	v_cmp_eq_u32_e32 vcc, 0, v12
	ds_write2st64_b32 v13, v14, v15 offset0:28 offset1:30
	v_add_u32_e32 v13, 0x2000, v13
	s_or_b64 s[12:13], vcc, s[12:13]
	v_mov_b32_e32 v14, s18
	s_andn2_b64 exec, exec, s[12:13]
	s_cbranch_execnz .LBB245_36
; %bb.37:
	s_or_b64 exec, exec, s[12:13]
.LBB245_38:
	s_or_b64 exec, exec, s[10:11]
	v_and_b32_e32 v9, 7, v9
	v_cmp_ne_u32_e32 vcc, 0, v9
	s_and_saveexec_b64 s[10:11], vcc
	s_cbranch_execz .LBB245_41
; %bb.39:
	v_lshlrev_b32_e32 v12, 9, v14
	v_lshlrev_b32_e32 v13, 2, v0
	s_movk_i32 s12, 0x50
	v_add3_u32 v12, v12, v13, s12
	s_mov_b64 s[12:13], 0
.LBB245_40:                             ; =>This Inner Loop Header: Depth=1
	ds_read2st64_b32 v[14:15], v12 offset1:2
	v_add_u32_e32 v9, -1, v9
	v_cmp_eq_u32_e32 vcc, 0, v9
	s_or_b64 s[12:13], vcc, s[12:13]
	s_waitcnt lgkmcnt(0)
	v_pk_mul_f32 v[14:15], v[4:5], v[14:15]
	ds_write2st64_b32 v12, v14, v15 offset1:2
	v_add_u32_e32 v12, 0x400, v12
	s_andn2_b64 exec, exec, s[12:13]
	s_cbranch_execnz .LBB245_40
.LBB245_41:
	s_or_b64 exec, exec, s[10:11]
	v_add_u32_e32 v8, 1, v8
	v_and_b32_e32 v9, 0x3fffffe, v8
	v_cmp_ne_u32_e32 vcc, v8, v9
	v_lshl_add_u32 v5, v9, 7, v0
	s_orn2_b64 s[10:11], vcc, exec
.LBB245_42:
	s_or_b64 exec, exec, s[8:9]
	s_and_b64 exec, exec, s[10:11]
	s_cbranch_execz .LBB245_45
; %bb.43:
	v_mov_b32_e32 v8, 0x50
	v_lshl_add_u32 v8, v5, 2, v8
	s_mov_b64 s[8:9], 0
.LBB245_44:                             ; =>This Inner Loop Header: Depth=1
	ds_read_b32 v9, v8
	v_add_u32_e32 v5, 0x80, v5
	v_cmp_le_i32_e32 vcc, s43, v5
	s_or_b64 s[8:9], vcc, s[8:9]
	s_waitcnt lgkmcnt(0)
	v_mul_f32_e32 v9, v4, v9
	ds_write_b32 v8, v9
	v_add_u32_e32 v8, 0x200, v8
	s_andn2_b64 exec, exec, s[8:9]
	s_cbranch_execnz .LBB245_44
.LBB245_45:
	s_or_b64 exec, exec, s[0:1]
	s_mul_i32 s0, s23, s34
	v_cmp_eq_u32_e32 vcc, 0, v0
	s_mul_i32 s8, s0, s5
	s_waitcnt lgkmcnt(0)
	s_barrier
	s_and_saveexec_b64 s[0:1], vcc
	s_cbranch_execz .LBB245_47
; %bb.46:
	s_ashr_i32 s9, s8, 31
	s_lshl_b64 s[10:11], s[8:9], 2
	s_add_u32 s5, s26, s10
	s_mul_i32 s12, s23, s2
	s_addc_u32 s9, s27, s11
	s_ashr_i32 s13, s12, 31
	s_lshl_b64 s[12:13], s[12:13], 2
	s_add_u32 s2, s5, s12
	s_addc_u32 s9, s9, s13
	s_ashr_i32 s5, s4, 31
	s_lshl_b64 s[18:19], s[4:5], 2
	s_add_u32 s26, s2, s18
	s_addc_u32 s27, s9, s19
	s_add_u32 s2, s24, s10
	s_addc_u32 s5, s25, s11
	;; [unrolled: 2-line block ×3, first 2 shown]
	s_add_u32 s10, s2, s18
	v_mov_b32_e32 v4, 0
	s_addc_u32 s11, s5, s19
	global_store_dword v4, v6, s[26:27]
	global_store_dword v4, v7, s[10:11]
.LBB245_47:
	s_or_b64 exec, exec, s[0:1]
	v_mov_b32_e32 v18, 0
	s_and_saveexec_b64 s[10:11], s[6:7]
	s_cbranch_execz .LBB245_121
; %bb.48:
	s_sub_i32 s5, s16, s21
	s_ashr_i32 s1, s20, 31
	s_add_u32 s0, s40, s20
	s_addc_u32 s1, s41, s1
	s_abs_i32 s9, s22
	v_cvt_f32_u32_e32 v4, s9
	v_mov_b32_e32 v5, 0
	s_add_i32 s24, s3, -1
	v_cmp_gt_u32_e32 vcc, 32, v11
	v_rcp_iflag_f32_e32 v8, v4
	v_lshlrev_b32_e32 v4, 3, v11
	v_lshl_add_u64 v[6:7], s[0:1], 0, v[4:5]
	s_sub_i32 s0, 0, s9
	v_mul_f32_e32 v4, 0x4f7ffffe, v8
	v_cvt_u32_f32_e32 v4, v4
	s_mov_b32 s22, s17
	s_mov_b32 s25, s33
	s_mov_b64 s[6:7], 0
	v_mul_lo_u32 v8, s0, v4
	s_lshl_b64 s[0:1], s[38:39], 2
	s_add_u32 s0, s36, s0
	v_mul_hi_u32 v8, v4, v8
	s_addc_u32 s1, s37, s1
	v_add_u32_e32 v19, v4, v8
	v_lshl_add_u64 v[8:9], v[2:3], 2, s[0:1]
	v_mov_b32_e32 v3, 0x50
	v_lshl_add_u32 v3, v10, 5, v3
	s_movk_i32 s26, 0x7f
	s_movk_i32 s27, 0x80
	s_mov_b32 s34, 0x8000
	s_movk_i32 s36, 0x380
	s_mov_b32 s37, 0x3020706
	s_mov_b32 s38, 0x1000504
	s_mov_b32 s39, 0x5040100
	v_mov_b32_e32 v20, 0x1c00
	v_mov_b32_e32 v18, 0
	s_branch .LBB245_52
.LBB245_49:                             ;   in Loop: Header=BB245_52 Depth=1
	s_or_b64 exec, exec, s[16:17]
	v_and_b32_e32 v14, 0xffff, v21
	v_and_b32_e32 v15, 0xffff, v23
	v_lshl_or_b32 v14, v22, 16, v14
	v_lshl_or_b32 v15, v24, 16, v15
	v_and_b32_e32 v16, 0xffff, v25
	v_and_b32_e32 v17, 0xffff, v27
	;;#ASMSTART
	v_pk_mul_f16 v13, v14, v13;

	;;#ASMEND
	;;#ASMSTART
	v_pk_mul_f16 v4, v15, v4;

	;;#ASMEND
	v_lshl_or_b32 v16, v26, 16, v16
	v_lshl_or_b32 v17, v28, 16, v17
	;;#ASMSTART
	v_pk_mul_f16 v12, v16, v12;

	;;#ASMEND
	;;#ASMSTART
	v_pk_mul_f16 v10, v17, v10;

	;;#ASMEND
	;;#ASMSTART
	v_pk_add_f16 v4, v13, v4;

	;;#ASMEND
	s_nop 0
	;;#ASMSTART
	v_pk_add_f16 v4, v4, v12;

	;;#ASMEND
	s_nop 0
	;; [unrolled: 5-line block ×3, first 2 shown]
	v_lshrrev_b32_e32 v10, 16, v4
	v_and_b32_e32 v4, 0xffff, v4
	;;#ASMSTART
	v_cvt_f32_f16 v4, v4;
	;;#ASMEND
	;;#ASMSTART
	v_cvt_f32_f16 v10, v10;
	;;#ASMEND
	s_nop 0
	v_add_f32_e32 v4, v4, v10
	v_add_f32_e32 v18, v18, v4
.LBB245_50:                             ;   in Loop: Header=BB245_52 Depth=1
	s_or_b64 exec, exec, s[12:13]
.LBB245_51:                             ;   in Loop: Header=BB245_52 Depth=1
	s_or_b64 exec, exec, s[2:3]
	v_add_u32_e32 v2, 2, v2
	v_cmp_le_i32_e64 s[0:1], s49, v2
	v_lshl_add_u64 v[8:9], v[8:9], 0, 8
	v_add_u32_e32 v1, 16, v1
	s_or_b64 s[6:7], s[0:1], s[6:7]
	v_add_u32_e32 v3, 64, v3
	s_andn2_b64 exec, exec, s[6:7]
	s_cbranch_execz .LBB245_120
.LBB245_52:                             ; =>This Inner Loop Header: Depth=1
	v_sub_u32_e32 v10, 0, v1
	v_max_i32_e32 v10, v1, v10
	v_mul_hi_u32 v12, v10, s35
	v_mul_lo_u32 v13, v12, s29
	v_sub_u32_e32 v10, v10, v13
	v_add_u32_e32 v13, 1, v12
	v_cmp_le_u32_e64 s[0:1], s29, v10
	v_ashrrev_i32_e32 v4, 31, v1
	v_xor_b32_e32 v4, s48, v4
	v_cndmask_b32_e64 v12, v12, v13, s[0:1]
	v_subrev_u32_e32 v13, s29, v10
	v_cndmask_b32_e64 v10, v10, v13, s[0:1]
	v_add_u32_e32 v13, 1, v12
	v_cmp_le_u32_e64 s[0:1], s29, v10
	s_nop 1
	v_cndmask_b32_e64 v10, v12, v13, s[0:1]
	v_xor_b32_e32 v10, v10, v4
	v_sub_u32_e32 v4, v10, v4
	v_add_u32_e32 v10, s42, v4
	v_sub_u32_e32 v13, 0, v10
	v_ashrrev_i32_e32 v12, 31, v10
	v_max_i32_e32 v10, v10, v13
	v_mul_hi_u32 v13, v10, v19
	v_mul_lo_u32 v13, v13, s9
	v_sub_u32_e32 v10, v10, v13
	v_subrev_u32_e32 v13, s9, v10
	v_cmp_le_u32_e64 s[0:1], s9, v10
	v_cmp_lt_i32_e64 s[2:3], s5, v4
	s_nop 0
	v_cndmask_b32_e64 v10, v10, v13, s[0:1]
	v_subrev_u32_e32 v13, s9, v10
	v_cmp_le_u32_e64 s[0:1], s9, v10
	s_nop 1
	v_cndmask_b32_e64 v10, v10, v13, s[0:1]
	v_xor_b32_e32 v10, v10, v12
	v_sub_u32_e32 v10, v10, v12
	v_cmp_eq_u32_e64 s[0:1], 0, v10
	s_or_b64 s[0:1], s[0:1], s[2:3]
	s_and_saveexec_b64 s[2:3], s[0:1]
	s_cbranch_execz .LBB245_51
; %bb.53:                               ;   in Loop: Header=BB245_52 Depth=1
	ds_read2_b64 v[12:15], v3 offset1:1
	ds_read2_b64 v[26:29], v3 offset0:2 offset1:3
	s_waitcnt lgkmcnt(1)
	;;#ASMSTART
	v_cvt_f16_f32 v21, v12;

	;;#ASMEND
	;;#ASMSTART
	v_cvt_f16_f32 v22, v13;

	;;#ASMEND
	;; [unrolled: 4-line block ×4, first 2 shown]
	s_waitcnt lgkmcnt(0)
	;;#ASMSTART
	v_cvt_f16_f32 v25, v26;

	;;#ASMEND
	;;#ASMSTART
	v_cvt_f16_f32 v26, v27;

	;;#ASMEND
	;; [unrolled: 4-line block ×4, first 2 shown]
	s_and_saveexec_b64 s[12:13], vcc
	s_cbranch_execz .LBB245_50
; %bb.54:                               ;   in Loop: Header=BB245_52 Depth=1
	global_load_dword v4, v[8:9], off
                                        ; implicit-def: $sgpr20
	s_waitcnt vmcnt(0)
	v_mad_i64_i32 v[14:15], s[0:1], v4, s22, v[6:7]
	global_load_dwordx2 v[12:13], v[14:15], off
	global_load_dword v10, v5, s[14:15]
	s_mov_b64 s[0:1], 0
	s_waitcnt vmcnt(1)
	v_cmp_gt_i16_sdwa s[16:17], v12, s26 src0_sel:BYTE_0 src1_sel:DWORD
	s_and_saveexec_b64 s[18:19], s[16:17]
	s_xor_b64 s[16:17], exec, s[18:19]
	s_cbranch_execnz .LBB245_88
; %bb.55:                               ;   in Loop: Header=BB245_52 Depth=1
	s_or_saveexec_b64 s[16:17], s[16:17]
	v_mov_b32_e32 v14, s20
	s_xor_b64 exec, exec, s[16:17]
	s_cbranch_execnz .LBB245_91
.LBB245_56:                             ;   in Loop: Header=BB245_52 Depth=1
	s_or_b64 exec, exec, s[16:17]
	s_and_saveexec_b64 s[16:17], s[0:1]
	s_cbranch_execz .LBB245_58
.LBB245_57:                             ;   in Loop: Header=BB245_52 Depth=1
	v_and_b32_e32 v4, 7, v12
	v_ffbh_u32_e32 v4, v4
	v_bfe_u32 v14, v12, 3, 4
	v_min_u32_e32 v4, 32, v4
	v_subrev_u32_e32 v15, 28, v4
	v_sub_u32_e32 v4, 29, v4
	v_cmp_eq_u32_e64 s[0:1], 0, v14
	s_nop 1
	v_cndmask_b32_e64 v4, v14, v4, s[0:1]
	v_cndmask_b32_e64 v14, 0, v15, s[0:1]
	v_lshlrev_b64 v[14:15], v14, v[12:13]
	v_lshlrev_b32_e32 v15, 8, v12
	v_lshl_add_u32 v4, v4, 10, v20
	v_lshlrev_b32_e32 v14, 7, v14
	v_and_or_b32 v4, v15, s34, v4
	v_and_or_b32 v4, v14, s36, v4
	v_cvt_f32_f16_e32 v14, v4
.LBB245_58:                             ;   in Loop: Header=BB245_52 Depth=1
	s_or_b64 exec, exec, s[16:17]
	v_lshrrev_b16_e32 v4, 8, v12
	v_cmp_lt_i16_e64 s[0:1], s26, v4
	s_mov_b64 s[16:17], 0
                                        ; implicit-def: $sgpr40
	s_and_saveexec_b64 s[18:19], s[0:1]
	s_xor_b64 s[18:19], exec, s[18:19]
	s_cbranch_execnz .LBB245_92
; %bb.59:                               ;   in Loop: Header=BB245_52 Depth=1
	s_or_saveexec_b64 s[18:19], s[18:19]
	v_mov_b32_e32 v16, s40
	s_xor_b64 exec, exec, s[18:19]
	s_cbranch_execnz .LBB245_95
.LBB245_60:                             ;   in Loop: Header=BB245_52 Depth=1
	s_or_b64 exec, exec, s[18:19]
	s_and_saveexec_b64 s[18:19], s[16:17]
	s_cbranch_execz .LBB245_62
.LBB245_61:                             ;   in Loop: Header=BB245_52 Depth=1
	v_and_b32_e32 v15, 7, v4
	v_ffbh_u32_e32 v16, v15
	v_min_u32_e32 v30, 32, v16
	v_subrev_u32_e32 v16, 28, v30
	v_bfe_u32 v29, v4, 3, 4
	v_lshlrev_b64 v[16:17], v16, v[4:5]
	v_sub_u32_e32 v17, 29, v30
	v_cmp_eq_u32_e64 s[0:1], 0, v29
	v_and_b32_e32 v16, 7, v16
	v_lshlrev_b32_e32 v4, 8, v4
	v_cndmask_b32_e64 v17, v29, v17, s[0:1]
	v_cndmask_b32_e64 v15, v15, v16, s[0:1]
	v_lshl_add_u32 v16, v17, 10, v20
	v_and_or_b32 v4, v4, s34, v16
	v_lshl_or_b32 v4, v15, 7, v4
	v_cvt_f32_f16_e32 v16, v4
.LBB245_62:                             ;   in Loop: Header=BB245_52 Depth=1
	s_or_b64 exec, exec, s[18:19]
	v_lshrrev_b32_e32 v4, 16, v12
	v_cmp_gt_i16_sdwa s[16:17], v4, s26 src0_sel:BYTE_0 src1_sel:DWORD
	s_mov_b64 s[0:1], 0
                                        ; implicit-def: $sgpr20
	s_and_saveexec_b64 s[18:19], s[16:17]
	s_xor_b64 s[16:17], exec, s[18:19]
	s_cbranch_execnz .LBB245_96
; %bb.63:                               ;   in Loop: Header=BB245_52 Depth=1
	s_or_saveexec_b64 s[16:17], s[16:17]
	v_mov_b32_e32 v15, s20
	s_xor_b64 exec, exec, s[16:17]
	s_cbranch_execnz .LBB245_99
.LBB245_64:                             ;   in Loop: Header=BB245_52 Depth=1
	s_or_b64 exec, exec, s[16:17]
	s_and_saveexec_b64 s[16:17], s[0:1]
	s_cbranch_execz .LBB245_66
.LBB245_65:                             ;   in Loop: Header=BB245_52 Depth=1
	v_bfe_u32 v15, v12, 16, 3
	v_ffbh_u32_e32 v29, v15
	v_bfe_u32 v17, v12, 19, 4
	v_min_u32_e32 v29, 32, v29
	v_subrev_u32_e32 v30, 28, v29
	v_sub_u32_e32 v29, 29, v29
	v_cmp_eq_u32_e64 s[0:1], 0, v17
	v_lshlrev_b64 v[30:31], v30, v[4:5]
	v_and_b32_e32 v30, 7, v30
	v_cndmask_b32_e64 v17, v17, v29, s[0:1]
	v_lshlrev_b32_e32 v4, 8, v4
	v_lshl_add_u32 v17, v17, 10, v20
	v_cndmask_b32_e64 v15, v15, v30, s[0:1]
	v_and_or_b32 v4, v4, s34, v17
	v_lshl_or_b32 v4, v15, 7, v4
	v_cvt_f32_f16_e32 v15, v4
.LBB245_66:                             ;   in Loop: Header=BB245_52 Depth=1
	s_or_b64 exec, exec, s[16:17]
	v_lshrrev_b32_e32 v4, 24, v12
	v_cmp_lt_i16_e64 s[0:1], s26, v4
	s_mov_b64 s[16:17], 0
                                        ; implicit-def: $sgpr40
	s_and_saveexec_b64 s[18:19], s[0:1]
	s_xor_b64 s[18:19], exec, s[18:19]
	s_cbranch_execnz .LBB245_100
; %bb.67:                               ;   in Loop: Header=BB245_52 Depth=1
	s_or_saveexec_b64 s[18:19], s[18:19]
	v_mov_b32_e32 v17, s40
	s_xor_b64 exec, exec, s[18:19]
	s_cbranch_execnz .LBB245_103
.LBB245_68:                             ;   in Loop: Header=BB245_52 Depth=1
	s_or_b64 exec, exec, s[18:19]
	s_and_saveexec_b64 s[18:19], s[16:17]
	s_cbranch_execz .LBB245_70
.LBB245_69:                             ;   in Loop: Header=BB245_52 Depth=1
	v_bfe_u32 v17, v12, 24, 3
	v_ffbh_u32_e32 v29, v17
	v_bfe_u32 v12, v12, 27, 4
	v_min_u32_e32 v29, 32, v29
	v_subrev_u32_e32 v30, 28, v29
	v_sub_u32_e32 v29, 29, v29
	v_cmp_eq_u32_e64 s[0:1], 0, v12
	v_lshlrev_b64 v[30:31], v30, v[4:5]
	v_and_b32_e32 v30, 7, v30
	v_cndmask_b32_e64 v12, v12, v29, s[0:1]
	v_lshlrev_b32_e32 v4, 8, v4
	v_lshl_add_u32 v12, v12, 10, v20
	v_cndmask_b32_e64 v17, v17, v30, s[0:1]
	v_and_or_b32 v4, v4, s34, v12
	v_lshl_or_b32 v4, v17, 7, v4
	v_cvt_f32_f16_e32 v17, v4
.LBB245_70:                             ;   in Loop: Header=BB245_52 Depth=1
	s_or_b64 exec, exec, s[18:19]
	v_cmp_gt_i16_sdwa s[16:17], v13, s26 src0_sel:BYTE_0 src1_sel:DWORD
	s_mov_b64 s[0:1], 0
                                        ; implicit-def: $sgpr20
	s_and_saveexec_b64 s[18:19], s[16:17]
	s_xor_b64 s[16:17], exec, s[18:19]
	s_cbranch_execnz .LBB245_104
; %bb.71:                               ;   in Loop: Header=BB245_52 Depth=1
	s_or_saveexec_b64 s[16:17], s[16:17]
	v_mov_b32_e32 v12, s20
	s_xor_b64 exec, exec, s[16:17]
	s_cbranch_execnz .LBB245_107
.LBB245_72:                             ;   in Loop: Header=BB245_52 Depth=1
	s_or_b64 exec, exec, s[16:17]
	v_mov_b32_e32 v4, v13
	s_and_saveexec_b64 s[16:17], s[0:1]
	s_cbranch_execz .LBB245_74
.LBB245_73:                             ;   in Loop: Header=BB245_52 Depth=1
	v_and_b32_e32 v12, 7, v13
	v_ffbh_u32_e32 v12, v12
	v_bfe_u32 v29, v13, 3, 4
	v_min_u32_e32 v12, 32, v12
	v_subrev_u32_e32 v30, 28, v12
	v_sub_u32_e32 v12, 29, v12
	v_cmp_eq_u32_e64 s[0:1], 0, v29
	s_nop 1
	v_cndmask_b32_e64 v12, v29, v12, s[0:1]
	v_cndmask_b32_e64 v29, 0, v30, s[0:1]
	v_lshlrev_b64 v[30:31], v29, v[4:5]
	v_lshlrev_b32_e32 v29, 7, v30
	v_lshlrev_b32_e32 v30, 8, v13
	v_lshl_add_u32 v12, v12, 10, v20
	v_and_or_b32 v12, v30, s34, v12
	v_and_or_b32 v12, v29, s36, v12
	v_cvt_f32_f16_e32 v12, v12
.LBB245_74:                             ;   in Loop: Header=BB245_52 Depth=1
	s_or_b64 exec, exec, s[16:17]
	v_lshrrev_b16_e32 v4, 8, v4
	v_cmp_lt_i16_e64 s[0:1], s26, v4
	s_mov_b64 s[16:17], 0
                                        ; implicit-def: $sgpr40
	s_and_saveexec_b64 s[18:19], s[0:1]
	s_xor_b64 s[18:19], exec, s[18:19]
	s_cbranch_execnz .LBB245_108
; %bb.75:                               ;   in Loop: Header=BB245_52 Depth=1
	s_or_saveexec_b64 s[18:19], s[18:19]
	v_mov_b32_e32 v29, s40
	s_xor_b64 exec, exec, s[18:19]
	s_cbranch_execnz .LBB245_111
.LBB245_76:                             ;   in Loop: Header=BB245_52 Depth=1
	s_or_b64 exec, exec, s[18:19]
	s_and_saveexec_b64 s[18:19], s[16:17]
	s_cbranch_execz .LBB245_78
.LBB245_77:                             ;   in Loop: Header=BB245_52 Depth=1
	v_and_b32_e32 v29, 7, v4
	v_ffbh_u32_e32 v30, v29
	v_min_u32_e32 v33, 32, v30
	v_subrev_u32_e32 v30, 28, v33
	v_bfe_u32 v32, v4, 3, 4
	v_lshlrev_b64 v[30:31], v30, v[4:5]
	v_sub_u32_e32 v31, 29, v33
	v_cmp_eq_u32_e64 s[0:1], 0, v32
	v_and_b32_e32 v30, 7, v30
	v_lshlrev_b32_e32 v4, 8, v4
	v_cndmask_b32_e64 v31, v32, v31, s[0:1]
	v_cndmask_b32_e64 v29, v29, v30, s[0:1]
	v_lshl_add_u32 v30, v31, 10, v20
	v_and_or_b32 v4, v4, s34, v30
	v_lshl_or_b32 v4, v29, 7, v4
	v_cvt_f32_f16_e32 v29, v4
.LBB245_78:                             ;   in Loop: Header=BB245_52 Depth=1
	s_or_b64 exec, exec, s[18:19]
	v_lshrrev_b32_e32 v4, 16, v13
	v_cmp_gt_i16_sdwa s[16:17], v4, s26 src0_sel:BYTE_0 src1_sel:DWORD
	s_mov_b64 s[0:1], 0
                                        ; implicit-def: $sgpr20
	s_and_saveexec_b64 s[18:19], s[16:17]
	s_xor_b64 s[16:17], exec, s[18:19]
	s_cbranch_execnz .LBB245_112
; %bb.79:                               ;   in Loop: Header=BB245_52 Depth=1
	s_or_saveexec_b64 s[16:17], s[16:17]
	v_mov_b32_e32 v30, s20
	s_xor_b64 exec, exec, s[16:17]
	s_cbranch_execnz .LBB245_115
.LBB245_80:                             ;   in Loop: Header=BB245_52 Depth=1
	s_or_b64 exec, exec, s[16:17]
	s_and_saveexec_b64 s[16:17], s[0:1]
	s_cbranch_execz .LBB245_82
.LBB245_81:                             ;   in Loop: Header=BB245_52 Depth=1
	v_bfe_u32 v32, v13, 16, 3
	v_ffbh_u32_e32 v30, v32
	v_min_u32_e32 v34, 32, v30
	v_subrev_u32_e32 v30, 28, v34
	v_bfe_u32 v33, v13, 19, 4
	v_lshlrev_b64 v[30:31], v30, v[4:5]
	v_sub_u32_e32 v31, 29, v34
	v_cmp_eq_u32_e64 s[0:1], 0, v33
	v_and_b32_e32 v30, 7, v30
	v_lshlrev_b32_e32 v4, 8, v4
	v_cndmask_b32_e64 v31, v33, v31, s[0:1]
	v_lshl_add_u32 v31, v31, 10, v20
	v_cndmask_b32_e64 v30, v32, v30, s[0:1]
	v_and_or_b32 v4, v4, s34, v31
	v_lshl_or_b32 v4, v30, 7, v4
	v_cvt_f32_f16_e32 v30, v4
.LBB245_82:                             ;   in Loop: Header=BB245_52 Depth=1
	s_or_b64 exec, exec, s[16:17]
	v_lshrrev_b32_e32 v4, 24, v13
	v_cmp_lt_i16_e64 s[0:1], s26, v4
	s_mov_b64 s[16:17], 0
                                        ; implicit-def: $sgpr40
	s_and_saveexec_b64 s[18:19], s[0:1]
	s_xor_b64 s[18:19], exec, s[18:19]
	s_cbranch_execnz .LBB245_116
; %bb.83:                               ;   in Loop: Header=BB245_52 Depth=1
	s_or_saveexec_b64 s[18:19], s[18:19]
	v_mov_b32_e32 v31, s40
	s_xor_b64 exec, exec, s[18:19]
	s_cbranch_execnz .LBB245_119
.LBB245_84:                             ;   in Loop: Header=BB245_52 Depth=1
	s_or_b64 exec, exec, s[18:19]
	s_and_saveexec_b64 s[18:19], s[16:17]
	s_cbranch_execz .LBB245_86
.LBB245_85:                             ;   in Loop: Header=BB245_52 Depth=1
	v_bfe_u32 v31, v13, 24, 3
	v_ffbh_u32_e32 v32, v31
	v_min_u32_e32 v34, 32, v32
	v_subrev_u32_e32 v32, 28, v34
	v_bfe_u32 v13, v13, 27, 4
	v_lshlrev_b64 v[32:33], v32, v[4:5]
	v_sub_u32_e32 v33, 29, v34
	v_cmp_eq_u32_e64 s[0:1], 0, v13
	v_and_b32_e32 v32, 7, v32
	v_lshlrev_b32_e32 v4, 8, v4
	v_cndmask_b32_e64 v13, v13, v33, s[0:1]
	v_lshl_add_u32 v13, v13, 10, v20
	v_cndmask_b32_e64 v31, v31, v32, s[0:1]
	v_and_or_b32 v4, v4, s34, v13
	v_lshl_or_b32 v4, v31, 7, v4
	v_cvt_f32_f16_e32 v31, v4
.LBB245_86:                             ;   in Loop: Header=BB245_52 Depth=1
	s_or_b64 exec, exec, s[18:19]
	s_waitcnt vmcnt(0)
	v_pk_mul_f32 v[16:17], v[10:11], v[16:17] op_sel_hi:[0,1]
	v_pk_mul_f32 v[14:15], v[10:11], v[14:15] op_sel_hi:[0,1]
	v_cvt_f16_f32_e32 v4, v17
	v_cvt_f16_f32_e32 v13, v16
	;; [unrolled: 1-line block ×4, first 2 shown]
	v_fma_mixlo_f16 v12, v10, v12, 0
	v_pack_b32_f16 v13, v13, v4
	v_cmp_eq_u32_e64 s[0:1], s24, v2
	v_pack_b32_f16 v14, v14, v15
	v_perm_b32 v4, v14, v13, s37
	v_perm_b32 v13, v14, v13, s38
	v_fma_mixlo_f16 v14, v10, v29, 0
	v_lshlrev_b32_e32 v14, 16, v14
	v_or_b32_sdwa v12, v14, v12 dst_sel:DWORD dst_unused:UNUSED_PAD src0_sel:DWORD src1_sel:WORD_0
	v_fma_mixlo_f16 v14, v10, v30, 0
	v_fma_mixlo_f16 v10, v10, v31, 0
	v_lshlrev_b32_e32 v10, 16, v10
	v_or_b32_sdwa v10, v10, v14 dst_sel:DWORD dst_unused:UNUSED_PAD src0_sel:DWORD src1_sel:WORD_0
	s_and_saveexec_b64 s[16:17], s[0:1]
	s_cbranch_execz .LBB245_49
; %bb.87:                               ;   in Loop: Header=BB245_52 Depth=1
	v_add_u32_e32 v15, 1, v1
	v_lshrrev_b32_e32 v16, 16, v13
	v_cmp_gt_i32_e64 s[0:1], s25, v15
	v_lshrrev_b32_e32 v17, 16, v4
	v_lshrrev_b32_e32 v10, 16, v10
	v_cndmask_b32_e64 v15, 0, v16, s[0:1]
	v_cmp_gt_i32_e64 s[0:1], s33, v1
	v_or_b32_e32 v16, 2, v1
	s_nop 0
	v_cndmask_b32_e64 v13, 0, v13, s[0:1]
	v_perm_b32 v13, v15, v13, s39
	v_or_b32_e32 v15, 3, v1
	v_cmp_gt_i32_e64 s[0:1], s25, v15
	s_nop 1
	v_cndmask_b32_e64 v15, 0, v17, s[0:1]
	v_cmp_gt_i32_e64 s[0:1], s33, v16
	v_or_b32_e32 v16, 4, v1
	v_lshrrev_b32_e32 v17, 16, v12
	v_cndmask_b32_e64 v4, 0, v4, s[0:1]
	v_perm_b32 v4, v15, v4, s39
	v_or_b32_e32 v15, 5, v1
	v_cmp_gt_i32_e64 s[0:1], s25, v15
	s_nop 1
	v_cndmask_b32_e64 v15, 0, v17, s[0:1]
	v_cmp_gt_i32_e64 s[0:1], s33, v16
	v_or_b32_e32 v16, 6, v1
	s_nop 0
	v_cndmask_b32_e64 v12, 0, v12, s[0:1]
	v_perm_b32 v12, v15, v12, s39
	v_or_b32_e32 v15, 7, v1
	v_cmp_gt_i32_e64 s[0:1], s25, v15
	s_nop 1
	v_cndmask_b32_e64 v10, 0, v10, s[0:1]
	v_cmp_gt_i32_e64 s[0:1], s33, v16
	s_nop 1
	v_cndmask_b32_e64 v14, 0, v14, s[0:1]
	v_perm_b32 v10, v10, v14, s39
	s_branch .LBB245_49
.LBB245_88:                             ;   in Loop: Header=BB245_52 Depth=1
	v_cmp_eq_u16_sdwa s[40:41], v12, s27 src0_sel:BYTE_0 src1_sel:DWORD
	s_mov_b64 s[0:1], -1
                                        ; implicit-def: $sgpr20
	s_and_saveexec_b64 s[18:19], s[40:41]
; %bb.89:                               ;   in Loop: Header=BB245_52 Depth=1
	s_mov_b32 s20, 0x7fc02000
	s_xor_b64 s[0:1], exec, -1
; %bb.90:                               ;   in Loop: Header=BB245_52 Depth=1
	s_or_b64 exec, exec, s[18:19]
	s_and_b64 s[0:1], s[0:1], exec
	s_or_saveexec_b64 s[16:17], s[16:17]
	v_mov_b32_e32 v14, s20
	s_xor_b64 exec, exec, s[16:17]
	s_cbranch_execz .LBB245_56
.LBB245_91:                             ;   in Loop: Header=BB245_52 Depth=1
	v_cmp_ne_u16_sdwa s[18:19], v12, v5 src0_sel:BYTE_0 src1_sel:DWORD
	s_andn2_b64 s[0:1], s[0:1], exec
	s_and_b64 s[18:19], s[18:19], exec
	v_mov_b32_e32 v14, 0
	s_or_b64 s[0:1], s[0:1], s[18:19]
	s_or_b64 exec, exec, s[16:17]
	s_and_saveexec_b64 s[16:17], s[0:1]
	s_cbranch_execnz .LBB245_57
	s_branch .LBB245_58
.LBB245_92:                             ;   in Loop: Header=BB245_52 Depth=1
	v_cmp_eq_u16_e64 s[0:1], s27, v4
	s_mov_b64 s[16:17], -1
                                        ; implicit-def: $sgpr40
	s_and_saveexec_b64 s[20:21], s[0:1]
; %bb.93:                               ;   in Loop: Header=BB245_52 Depth=1
	s_mov_b32 s40, 0x7fc02000
	s_xor_b64 s[16:17], exec, -1
; %bb.94:                               ;   in Loop: Header=BB245_52 Depth=1
	s_or_b64 exec, exec, s[20:21]
	s_and_b64 s[16:17], s[16:17], exec
	s_or_saveexec_b64 s[18:19], s[18:19]
	v_mov_b32_e32 v16, s40
	s_xor_b64 exec, exec, s[18:19]
	s_cbranch_execz .LBB245_60
.LBB245_95:                             ;   in Loop: Header=BB245_52 Depth=1
	v_cmp_ne_u16_e64 s[0:1], 0, v4
	s_andn2_b64 s[16:17], s[16:17], exec
	s_and_b64 s[0:1], s[0:1], exec
	v_mov_b32_e32 v16, 0
	s_or_b64 s[16:17], s[16:17], s[0:1]
	s_or_b64 exec, exec, s[18:19]
	s_and_saveexec_b64 s[18:19], s[16:17]
	s_cbranch_execnz .LBB245_61
	s_branch .LBB245_62
.LBB245_96:                             ;   in Loop: Header=BB245_52 Depth=1
	v_cmp_eq_u16_sdwa s[40:41], v4, s27 src0_sel:BYTE_0 src1_sel:DWORD
	s_mov_b64 s[0:1], -1
                                        ; implicit-def: $sgpr20
	s_and_saveexec_b64 s[18:19], s[40:41]
; %bb.97:                               ;   in Loop: Header=BB245_52 Depth=1
	s_mov_b32 s20, 0x7fc02000
	s_xor_b64 s[0:1], exec, -1
; %bb.98:                               ;   in Loop: Header=BB245_52 Depth=1
	s_or_b64 exec, exec, s[18:19]
	s_and_b64 s[0:1], s[0:1], exec
	s_or_saveexec_b64 s[16:17], s[16:17]
	v_mov_b32_e32 v15, s20
	s_xor_b64 exec, exec, s[16:17]
	s_cbranch_execz .LBB245_64
.LBB245_99:                             ;   in Loop: Header=BB245_52 Depth=1
	v_cmp_ne_u16_sdwa s[18:19], v4, v5 src0_sel:BYTE_0 src1_sel:DWORD
	s_andn2_b64 s[0:1], s[0:1], exec
	s_and_b64 s[18:19], s[18:19], exec
	v_mov_b32_e32 v15, 0
	s_or_b64 s[0:1], s[0:1], s[18:19]
	s_or_b64 exec, exec, s[16:17]
	s_and_saveexec_b64 s[16:17], s[0:1]
	s_cbranch_execnz .LBB245_65
	s_branch .LBB245_66
.LBB245_100:                            ;   in Loop: Header=BB245_52 Depth=1
	v_cmp_eq_u16_e64 s[0:1], s27, v4
	s_mov_b64 s[16:17], -1
                                        ; implicit-def: $sgpr40
	s_and_saveexec_b64 s[20:21], s[0:1]
; %bb.101:                              ;   in Loop: Header=BB245_52 Depth=1
	s_mov_b32 s40, 0x7fc02000
	s_xor_b64 s[16:17], exec, -1
; %bb.102:                              ;   in Loop: Header=BB245_52 Depth=1
	s_or_b64 exec, exec, s[20:21]
	s_and_b64 s[16:17], s[16:17], exec
	s_or_saveexec_b64 s[18:19], s[18:19]
	v_mov_b32_e32 v17, s40
	s_xor_b64 exec, exec, s[18:19]
	s_cbranch_execz .LBB245_68
.LBB245_103:                            ;   in Loop: Header=BB245_52 Depth=1
	v_cmp_ne_u16_e64 s[0:1], 0, v4
	s_andn2_b64 s[16:17], s[16:17], exec
	s_and_b64 s[0:1], s[0:1], exec
	v_mov_b32_e32 v17, 0
	s_or_b64 s[16:17], s[16:17], s[0:1]
	s_or_b64 exec, exec, s[18:19]
	s_and_saveexec_b64 s[18:19], s[16:17]
	s_cbranch_execnz .LBB245_69
	s_branch .LBB245_70
.LBB245_104:                            ;   in Loop: Header=BB245_52 Depth=1
	v_cmp_eq_u16_sdwa s[40:41], v13, s27 src0_sel:BYTE_0 src1_sel:DWORD
	s_mov_b64 s[0:1], -1
                                        ; implicit-def: $sgpr20
	s_and_saveexec_b64 s[18:19], s[40:41]
; %bb.105:                              ;   in Loop: Header=BB245_52 Depth=1
	s_mov_b32 s20, 0x7fc02000
	s_xor_b64 s[0:1], exec, -1
; %bb.106:                              ;   in Loop: Header=BB245_52 Depth=1
	s_or_b64 exec, exec, s[18:19]
	s_and_b64 s[0:1], s[0:1], exec
	s_or_saveexec_b64 s[16:17], s[16:17]
	v_mov_b32_e32 v12, s20
	s_xor_b64 exec, exec, s[16:17]
	s_cbranch_execz .LBB245_72
.LBB245_107:                            ;   in Loop: Header=BB245_52 Depth=1
	v_cmp_ne_u16_sdwa s[18:19], v13, v5 src0_sel:BYTE_0 src1_sel:DWORD
	s_andn2_b64 s[0:1], s[0:1], exec
	s_and_b64 s[18:19], s[18:19], exec
	v_mov_b32_e32 v12, 0
	s_or_b64 s[0:1], s[0:1], s[18:19]
	s_or_b64 exec, exec, s[16:17]
	v_mov_b32_e32 v4, v13
	s_and_saveexec_b64 s[16:17], s[0:1]
	s_cbranch_execnz .LBB245_73
	s_branch .LBB245_74
.LBB245_108:                            ;   in Loop: Header=BB245_52 Depth=1
	v_cmp_eq_u16_e64 s[0:1], s27, v4
	s_mov_b64 s[16:17], -1
                                        ; implicit-def: $sgpr40
	s_and_saveexec_b64 s[20:21], s[0:1]
; %bb.109:                              ;   in Loop: Header=BB245_52 Depth=1
	s_mov_b32 s40, 0x7fc02000
	s_xor_b64 s[16:17], exec, -1
; %bb.110:                              ;   in Loop: Header=BB245_52 Depth=1
	s_or_b64 exec, exec, s[20:21]
	s_and_b64 s[16:17], s[16:17], exec
	s_or_saveexec_b64 s[18:19], s[18:19]
	v_mov_b32_e32 v29, s40
	s_xor_b64 exec, exec, s[18:19]
	s_cbranch_execz .LBB245_76
.LBB245_111:                            ;   in Loop: Header=BB245_52 Depth=1
	v_cmp_ne_u16_e64 s[0:1], 0, v4
	s_andn2_b64 s[16:17], s[16:17], exec
	s_and_b64 s[0:1], s[0:1], exec
	v_mov_b32_e32 v29, 0
	s_or_b64 s[16:17], s[16:17], s[0:1]
	s_or_b64 exec, exec, s[18:19]
	s_and_saveexec_b64 s[18:19], s[16:17]
	s_cbranch_execnz .LBB245_77
	s_branch .LBB245_78
.LBB245_112:                            ;   in Loop: Header=BB245_52 Depth=1
	v_cmp_eq_u16_sdwa s[40:41], v4, s27 src0_sel:BYTE_0 src1_sel:DWORD
	s_mov_b64 s[0:1], -1
                                        ; implicit-def: $sgpr20
	s_and_saveexec_b64 s[18:19], s[40:41]
; %bb.113:                              ;   in Loop: Header=BB245_52 Depth=1
	s_mov_b32 s20, 0x7fc02000
	s_xor_b64 s[0:1], exec, -1
; %bb.114:                              ;   in Loop: Header=BB245_52 Depth=1
	s_or_b64 exec, exec, s[18:19]
	s_and_b64 s[0:1], s[0:1], exec
	s_or_saveexec_b64 s[16:17], s[16:17]
	v_mov_b32_e32 v30, s20
	s_xor_b64 exec, exec, s[16:17]
	s_cbranch_execz .LBB245_80
.LBB245_115:                            ;   in Loop: Header=BB245_52 Depth=1
	v_cmp_ne_u16_sdwa s[18:19], v4, v5 src0_sel:BYTE_0 src1_sel:DWORD
	s_andn2_b64 s[0:1], s[0:1], exec
	s_and_b64 s[18:19], s[18:19], exec
	v_mov_b32_e32 v30, 0
	s_or_b64 s[0:1], s[0:1], s[18:19]
	s_or_b64 exec, exec, s[16:17]
	s_and_saveexec_b64 s[16:17], s[0:1]
	s_cbranch_execnz .LBB245_81
	s_branch .LBB245_82
.LBB245_116:                            ;   in Loop: Header=BB245_52 Depth=1
	v_cmp_eq_u16_e64 s[0:1], s27, v4
	s_mov_b64 s[16:17], -1
                                        ; implicit-def: $sgpr40
	s_and_saveexec_b64 s[20:21], s[0:1]
; %bb.117:                              ;   in Loop: Header=BB245_52 Depth=1
	s_mov_b32 s40, 0x7fc02000
	s_xor_b64 s[16:17], exec, -1
; %bb.118:                              ;   in Loop: Header=BB245_52 Depth=1
	s_or_b64 exec, exec, s[20:21]
	s_and_b64 s[16:17], s[16:17], exec
	s_or_saveexec_b64 s[18:19], s[18:19]
	v_mov_b32_e32 v31, s40
	s_xor_b64 exec, exec, s[18:19]
	s_cbranch_execz .LBB245_84
.LBB245_119:                            ;   in Loop: Header=BB245_52 Depth=1
	v_cmp_ne_u16_e64 s[0:1], 0, v4
	s_andn2_b64 s[16:17], s[16:17], exec
	s_and_b64 s[0:1], s[0:1], exec
	v_mov_b32_e32 v31, 0
	s_or_b64 s[16:17], s[16:17], s[0:1]
	s_or_b64 exec, exec, s[18:19]
	s_and_saveexec_b64 s[18:19], s[16:17]
	s_cbranch_execnz .LBB245_85
	s_branch .LBB245_86
.LBB245_120:
	s_or_b64 exec, exec, s[6:7]
.LBB245_121:
	s_or_b64 exec, exec, s[10:11]
	v_and_b32_e32 v1, 0x3c0, v0
	v_cmp_eq_u32_e64 s[0:1], 64, v1
	v_cmp_gt_u32_e32 vcc, 32, v11
	s_and_b64 s[2:3], s[0:1], vcc
	s_barrier
	s_and_saveexec_b64 s[0:1], s[2:3]
	s_cbranch_execz .LBB245_123
; %bb.122:
	v_mov_b32_e32 v1, 0x50
	v_lshl_add_u32 v1, v11, 2, v1
	ds_write_b32 v1, v18
.LBB245_123:
	s_or_b64 exec, exec, s[0:1]
	v_cmp_gt_u32_e64 s[0:1], 64, v0
	s_and_b64 s[0:1], s[0:1], vcc
	s_waitcnt lgkmcnt(0)
	s_barrier
	s_and_saveexec_b64 s[2:3], s[0:1]
	s_cbranch_execz .LBB245_125
; %bb.124:
	v_mov_b32_e32 v0, 0x50
	v_lshl_add_u32 v0, v11, 2, v0
	ds_read_b32 v0, v0
	s_waitcnt lgkmcnt(0)
	v_add_f32_e32 v18, v18, v0
.LBB245_125:
	s_or_b64 exec, exec, s[2:3]
	s_barrier
	s_and_saveexec_b64 s[2:3], s[0:1]
	s_cbranch_execz .LBB245_127
; %bb.126:
	s_lshl_b32 s0, s8, 5
	s_ashr_i32 s1, s0, 31
	s_lshl_b64 s[0:1], s[0:1], 1
	s_add_u32 s2, s30, s0
	s_mul_i32 s0, s23, s28
	s_addc_u32 s3, s31, s1
	s_ashr_i32 s1, s0, 31
	s_lshl_b64 s[0:1], s[0:1], 1
	s_add_u32 s2, s2, s0
	s_addc_u32 s3, s3, s1
	s_lshl_b32 s0, s4, 5
	s_ashr_i32 s1, s0, 31
	s_lshl_b64 s[0:1], s[0:1], 1
	s_add_u32 s0, s2, s0
	s_addc_u32 s1, s3, s1
	v_lshlrev_b32_e32 v0, 1, v11
	;;#ASMSTART
	v_cvt_f16_f32 v1, v18;

	;;#ASMEND
	global_store_short v0, v1, s[0:1]
.LBB245_127:
	s_endpgm
	.section	.rodata,"a",@progbits
	.p2align	6, 0x0
	.amdhsa_kernel _ZN4vllm25paged_attention_v2_kernelIthLi32ELi8ELi128ELNS_18Fp8KVCacheDataTypeE1ELb1ELi512EEEvPfS2_PT_PKS3_PKT0_S9_ifPKiSB_iPKfiiiSD_SD_iiiii
		.amdhsa_group_segment_fixed_size 80
		.amdhsa_private_segment_fixed_size 0
		.amdhsa_kernarg_size 400
		.amdhsa_user_sgpr_count 2
		.amdhsa_user_sgpr_dispatch_ptr 0
		.amdhsa_user_sgpr_queue_ptr 0
		.amdhsa_user_sgpr_kernarg_segment_ptr 1
		.amdhsa_user_sgpr_dispatch_id 0
		.amdhsa_user_sgpr_kernarg_preload_length 0
		.amdhsa_user_sgpr_kernarg_preload_offset 0
		.amdhsa_user_sgpr_private_segment_size 0
		.amdhsa_uses_dynamic_stack 0
		.amdhsa_enable_private_segment 0
		.amdhsa_system_sgpr_workgroup_id_x 1
		.amdhsa_system_sgpr_workgroup_id_y 1
		.amdhsa_system_sgpr_workgroup_id_z 1
		.amdhsa_system_sgpr_workgroup_info 0
		.amdhsa_system_vgpr_workitem_id 0
		.amdhsa_next_free_vgpr 35
		.amdhsa_next_free_sgpr 56
		.amdhsa_accum_offset 36
		.amdhsa_reserve_vcc 1
		.amdhsa_float_round_mode_32 0
		.amdhsa_float_round_mode_16_64 0
		.amdhsa_float_denorm_mode_32 3
		.amdhsa_float_denorm_mode_16_64 3
		.amdhsa_dx10_clamp 1
		.amdhsa_ieee_mode 1
		.amdhsa_fp16_overflow 0
		.amdhsa_tg_split 0
		.amdhsa_exception_fp_ieee_invalid_op 0
		.amdhsa_exception_fp_denorm_src 0
		.amdhsa_exception_fp_ieee_div_zero 0
		.amdhsa_exception_fp_ieee_overflow 0
		.amdhsa_exception_fp_ieee_underflow 0
		.amdhsa_exception_fp_ieee_inexact 0
		.amdhsa_exception_int_div_zero 0
	.end_amdhsa_kernel
	.section	.text._ZN4vllm25paged_attention_v2_kernelIthLi32ELi8ELi128ELNS_18Fp8KVCacheDataTypeE1ELb1ELi512EEEvPfS2_PT_PKS3_PKT0_S9_ifPKiSB_iPKfiiiSD_SD_iiiii,"axG",@progbits,_ZN4vllm25paged_attention_v2_kernelIthLi32ELi8ELi128ELNS_18Fp8KVCacheDataTypeE1ELb1ELi512EEEvPfS2_PT_PKS3_PKT0_S9_ifPKiSB_iPKfiiiSD_SD_iiiii,comdat
.Lfunc_end245:
	.size	_ZN4vllm25paged_attention_v2_kernelIthLi32ELi8ELi128ELNS_18Fp8KVCacheDataTypeE1ELb1ELi512EEEvPfS2_PT_PKS3_PKT0_S9_ifPKiSB_iPKfiiiSD_SD_iiiii, .Lfunc_end245-_ZN4vllm25paged_attention_v2_kernelIthLi32ELi8ELi128ELNS_18Fp8KVCacheDataTypeE1ELb1ELi512EEEvPfS2_PT_PKS3_PKT0_S9_ifPKiSB_iPKfiiiSD_SD_iiiii
                                        ; -- End function
	.section	.AMDGPU.csdata,"",@progbits
; Kernel info:
; codeLenInByte = 6752
; NumSgprs: 62
; NumVgprs: 35
; NumAgprs: 0
; TotalNumVgprs: 35
; ScratchSize: 0
; MemoryBound: 0
; FloatMode: 240
; IeeeMode: 1
; LDSByteSize: 80 bytes/workgroup (compile time only)
; SGPRBlocks: 7
; VGPRBlocks: 4
; NumSGPRsForWavesPerEU: 62
; NumVGPRsForWavesPerEU: 35
; AccumOffset: 36
; Occupancy: 8
; WaveLimiterHint : 1
; COMPUTE_PGM_RSRC2:SCRATCH_EN: 0
; COMPUTE_PGM_RSRC2:USER_SGPR: 2
; COMPUTE_PGM_RSRC2:TRAP_HANDLER: 0
; COMPUTE_PGM_RSRC2:TGID_X_EN: 1
; COMPUTE_PGM_RSRC2:TGID_Y_EN: 1
; COMPUTE_PGM_RSRC2:TGID_Z_EN: 1
; COMPUTE_PGM_RSRC2:TIDIG_COMP_CNT: 0
; COMPUTE_PGM_RSRC3_GFX90A:ACCUM_OFFSET: 8
; COMPUTE_PGM_RSRC3_GFX90A:TG_SPLIT: 0
	.section	.text._ZN4vllm25paged_attention_v2_kernelIthLi64ELi8ELi128ELNS_18Fp8KVCacheDataTypeE1ELb1ELi512EEEvPfS2_PT_PKS3_PKT0_S9_ifPKiSB_iPKfiiiSD_SD_iiiii,"axG",@progbits,_ZN4vllm25paged_attention_v2_kernelIthLi64ELi8ELi128ELNS_18Fp8KVCacheDataTypeE1ELb1ELi512EEEvPfS2_PT_PKS3_PKT0_S9_ifPKiSB_iPKfiiiSD_SD_iiiii,comdat
	.protected	_ZN4vllm25paged_attention_v2_kernelIthLi64ELi8ELi128ELNS_18Fp8KVCacheDataTypeE1ELb1ELi512EEEvPfS2_PT_PKS3_PKT0_S9_ifPKiSB_iPKfiiiSD_SD_iiiii ; -- Begin function _ZN4vllm25paged_attention_v2_kernelIthLi64ELi8ELi128ELNS_18Fp8KVCacheDataTypeE1ELb1ELi512EEEvPfS2_PT_PKS3_PKT0_S9_ifPKiSB_iPKfiiiSD_SD_iiiii
	.globl	_ZN4vllm25paged_attention_v2_kernelIthLi64ELi8ELi128ELNS_18Fp8KVCacheDataTypeE1ELb1ELi512EEEvPfS2_PT_PKS3_PKT0_S9_ifPKiSB_iPKfiiiSD_SD_iiiii
	.p2align	8
	.type	_ZN4vllm25paged_attention_v2_kernelIthLi64ELi8ELi128ELNS_18Fp8KVCacheDataTypeE1ELb1ELi512EEEvPfS2_PT_PKS3_PKT0_S9_ifPKiSB_iPKfiiiSD_SD_iiiii,@function
_ZN4vllm25paged_attention_v2_kernelIthLi64ELi8ELi128ELNS_18Fp8KVCacheDataTypeE1ELb1ELi512EEEvPfS2_PT_PKS3_PKT0_S9_ifPKiSB_iPKfiiiSD_SD_iiiii: ; @_ZN4vllm25paged_attention_v2_kernelIthLi64ELi8ELi128ELNS_18Fp8KVCacheDataTypeE1ELb1ELi512EEEvPfS2_PT_PKS3_PKT0_S9_ifPKiSB_iPKfiiiSD_SD_iiiii
; %bb.0:
	s_load_dwordx2 s[6:7], s[0:1], 0x40
	s_mov_b32 s36, s3
	s_ashr_i32 s37, s3, 31
	s_lshl_b64 s[8:9], s[36:37], 2
	s_waitcnt lgkmcnt(0)
	s_add_u32 s6, s6, s8
	s_addc_u32 s7, s7, s9
	s_load_dword s33, s[6:7], 0x0
	s_lshl_b32 s54, s4, 9
	s_waitcnt lgkmcnt(0)
	s_cmp_ge_i32 s54, s33
	s_cbranch_scc1 .LBB246_125
; %bb.1:
	s_load_dword s5, s[0:1], 0x90
	s_load_dwordx2 s[44:45], s[0:1], 0x30
	s_waitcnt lgkmcnt(0)
	s_abs_i32 s7, s5
	s_abs_i32 s3, s44
	v_cvt_f32_u32_e32 v1, s3
	s_sub_i32 s8, 0, s3
	s_xor_b32 s6, s5, s44
	s_ashr_i32 s6, s6, 31
	v_rcp_iflag_f32_e32 v1, v1
	s_nop 0
	v_mul_f32_e32 v1, 0x4f7ffffe, v1
	v_cvt_u32_f32_e32 v1, v1
	s_nop 0
	v_readfirstlane_b32 s9, v1
	s_mul_i32 s8, s8, s9
	s_mul_hi_u32 s8, s9, s8
	s_add_i32 s9, s9, s8
	s_mul_hi_u32 s8, s7, s9
	s_mul_i32 s9, s8, s3
	s_sub_i32 s7, s7, s9
	s_add_i32 s10, s8, 1
	s_sub_i32 s9, s7, s3
	s_cmp_ge_u32 s7, s3
	s_cselect_b32 s8, s10, s8
	s_cselect_b32 s7, s9, s7
	s_add_i32 s9, s8, 1
	s_cmp_ge_u32 s7, s3
	s_cselect_b32 s3, s9, s8
	s_xor_b32 s3, s3, s6
	s_sub_i32 s10, s3, s6
	s_abs_i32 s8, s10
	v_cvt_f32_u32_e32 v1, s8
	s_load_dwordx2 s[6:7], s[0:1], 0x50
	s_sub_i32 s11, 0, s8
	s_abs_i32 s9, s2
	v_rcp_iflag_f32_e32 v1, v1
	s_mov_b32 s3, 0
	v_mul_f32_e32 v1, 0x4f7ffffe, v1
	v_cvt_u32_f32_e32 v1, v1
	s_nop 0
	v_readfirstlane_b32 s12, v1
	s_mul_i32 s11, s11, s12
	s_mul_hi_u32 s11, s12, s11
	s_add_i32 s12, s12, s11
	s_waitcnt lgkmcnt(0)
	s_cmp_eq_u64 s[6:7], 0
	s_mul_hi_u32 s12, s9, s12
	s_cbranch_scc1 .LBB246_3
; %bb.2:
	s_ashr_i32 s3, s2, 31
	s_lshl_b64 s[14:15], s[2:3], 2
	s_add_u32 s6, s6, s14
	s_addc_u32 s7, s7, s15
	s_load_dword s3, s[6:7], 0x0
.LBB246_3:
	s_load_dwordx4 s[20:23], s[0:1], 0x58
	s_ashr_i32 s13, s2, 31
	s_ashr_i32 s16, s10, 31
	v_and_b32_e32 v4, 7, v0
	s_lshl_b32 s14, s2, 6
	v_cmp_gt_u32_e64 s[10:11], 64, v0
	s_and_saveexec_b64 s[6:7], s[10:11]
	s_cbranch_execz .LBB246_5
; %bb.4:
	s_load_dwordx2 s[18:19], s[0:1], 0x18
	s_waitcnt lgkmcnt(0)
	s_mul_i32 s24, s36, s20
	s_ashr_i32 s25, s24, 31
	s_lshl_b64 s[24:25], s[24:25], 1
	v_lshlrev_b32_e32 v1, 1, v0
	s_add_u32 s17, s18, s24
	s_addc_u32 s20, s19, s25
	s_ashr_i32 s15, s14, 31
	s_lshl_b64 s[18:19], s[14:15], 1
	s_add_u32 s18, s17, s18
	s_addc_u32 s19, s20, s19
	global_load_ushort v1, v1, s[18:19]
	v_lshrrev_b32_e32 v2, 2, v0
	v_and_b32_e32 v2, 0xfe, v2
	v_lshl_add_u32 v2, v4, 4, v2
	s_waitcnt vmcnt(0)
	ds_write_b16 v2, v1
.LBB246_5:
	s_or_b64 exec, exec, s[6:7]
	s_mul_i32 s7, s12, s8
	s_sub_i32 s7, s9, s7
	s_xor_b32 s6, s13, s16
	s_add_i32 s9, s12, 1
	s_sub_i32 s13, s7, s8
	s_load_dwordx4 s[24:27], s[0:1], 0x78
	s_cmp_ge_u32 s7, s8
	s_cselect_b32 s9, s9, s12
	s_cselect_b32 s7, s13, s7
	s_add_i32 s12, s9, 1
	s_cmp_ge_u32 s7, s8
	s_cselect_b32 s7, s12, s9
	s_load_dword s12, s[0:1], 0x88
	s_waitcnt lgkmcnt(0)
	s_abs_i32 s15, s27
	v_cvt_f32_u32_e32 v1, s15
	s_xor_b32 s7, s7, s6
	s_sub_i32 s53, s7, s6
	s_sub_i32 s6, 0, s15
	v_rcp_iflag_f32_e32 v1, v1
	s_add_i32 s13, s33, -1
	s_abs_i32 s8, s13
	v_mul_f32_e32 v1, 0x4f7ffffe, v1
	v_cvt_u32_f32_e32 v1, v1
	s_barrier
	v_readfirstlane_b32 s37, v1
	s_mul_i32 s6, s6, s37
	s_mul_hi_u32 s6, s37, s6
	s_add_i32 s37, s37, s6
	s_cmp_lt_i32 s12, 0
	s_mul_hi_u32 s9, s8, s37
	s_cbranch_scc0 .LBB246_7
; %bb.6:
	s_mul_i32 s6, s24, s44
	s_add_i32 s6, s53, s6
	s_mul_i32 s6, s6, s12
	s_sub_i32 s44, 1, s6
	s_mov_b64 s[6:7], 0
	s_branch .LBB246_8
.LBB246_7:
	s_mov_b64 s[6:7], -1
                                        ; implicit-def: $sgpr44
.LBB246_8:
	s_load_dwordx2 s[38:39], s[0:1], 0x38
	s_ashr_i32 s13, s13, 31
	s_andn2_b64 vcc, exec, s[6:7]
	s_ashr_i32 s27, s27, 31
	s_cbranch_vccnz .LBB246_10
; %bb.9:
	s_mul_i32 s6, s5, s24
	s_add_i32 s6, s6, s2
	s_mul_i32 s6, s6, s12
	s_add_i32 s44, s6, 1
.LBB246_10:
	s_load_dwordx2 s[42:43], s[0:1], 0x28
	s_load_dword s6, s[0:1], 0x48
	s_load_dwordx4 s[28:31], s[0:1], 0x0
	s_load_dwordx2 s[34:35], s[0:1], 0x10
	s_load_dword s24, s[0:1], 0x98
	s_load_dwordx4 s[16:19], s[0:1], 0x68
	s_mul_i32 s7, s9, s15
	s_waitcnt lgkmcnt(0)
	s_mul_i32 s40, s36, s6
	s_sub_i32 s7, s8, s7
	s_ashr_i32 s41, s40, 31
	s_xor_b32 s6, s13, s27
	s_add_i32 s8, s9, 1
	s_sub_i32 s12, s7, s15
	s_cmp_ge_u32 s7, s15
	s_cselect_b32 s8, s8, s9
	s_cselect_b32 s7, s12, s7
	s_add_i32 s9, s8, 1
	s_cmp_ge_u32 s7, s15
	s_cselect_b32 s7, s9, s8
	s_xor_b32 s7, s7, s6
	s_sub_i32 s52, s7, s6
	s_add_i32 s6, s33, 7
	s_ashr_i32 s7, s6, 31
	s_lshr_b32 s7, s7, 29
	s_add_i32 s6, s6, s7
	s_lshl_b32 s20, s4, 6
	s_ashr_i32 s51, s6, 3
	s_add_i32 s6, s20, 64
	v_lshrrev_b32_e32 v10, 6, v0
	s_min_i32 s50, s6, s51
	v_or_b32_e32 v2, s20, v10
	v_cmp_gt_i32_e64 s[6:7], s50, v2
	v_mov_b32_e32 v14, 0xff7fffff
	s_mul_i32 s53, s53, s22
	v_ashrrev_i32_e32 v3, 31, v2
	v_lshl_add_u32 v1, v10, 3, s54
	v_mbcnt_lo_u32_b32 v11, -1, 0
	s_and_saveexec_b64 s[22:23], s[6:7]
	s_cbranch_execz .LBB246_20
; %bb.11:
	s_load_dwordx2 s[0:1], s[0:1], 0x20
	s_sub_i32 s55, s52, s25
	s_ashr_i32 s8, s53, 31
	v_bfe_u32 v12, v0, 3, 3
	v_mov_b32_e32 v5, 0
	s_waitcnt lgkmcnt(0)
	s_add_u32 s0, s0, s53
	s_addc_u32 s1, s1, s8
	s_abs_i32 s56, s26
	v_cvt_f32_u32_e32 v6, s56
	v_lshlrev_b32_e32 v14, 2, v12
	v_lshl_or_b32 v14, v10, 5, v14
	v_add_u32_e32 v17, 0x90, v14
	v_rcp_iflag_f32_e32 v7, v6
	v_lshlrev_b32_e32 v6, 4, v12
	v_subrev_u32_e32 v14, s33, v12
	v_mbcnt_hi_u32_b32 v20, -1, v11
	v_mul_f32_e32 v7, 0x4f7ffffe, v7
	v_cvt_u32_f32_e32 v8, v7
	v_mov_b32_e32 v7, v5
	v_lshl_add_u64 v[6:7], s[0:1], 0, v[6:7]
	s_sub_i32 s0, 0, s56
	v_mul_lo_u32 v9, s0, v8
	s_lshl_b64 s[0:1], s[40:41], 2
	s_add_u32 s0, s38, s0
	v_mul_hi_u32 v9, v8, v9
	s_addc_u32 s1, s39, s1
	v_add_u32_e32 v18, 1, v14
	v_and_b32_e32 v14, 64, v20
	v_cmp_eq_u32_e32 vcc, 0, v4
	s_mov_b32 s57, s21
	v_lshlrev_b32_e32 v13, 4, v4
	v_cmp_neq_f32_e64 s[8:9], s3, 0
	v_add_u32_e32 v15, v8, v9
	v_lshl_add_u64 v[8:9], v[2:3], 2, s[0:1]
	v_lshl_add_u32 v16, v10, 3, s54
	s_mov_b64 s[46:47], 0
	v_mov_b32_e32 v19, 0xff7fffff
	v_add_u32_e32 v21, 64, v14
	v_xor_b32_e32 v22, 4, v20
	v_xor_b32_e32 v23, 2, v20
	;; [unrolled: 1-line block ×3, first 2 shown]
	v_mov_b32_e32 v14, 0xff7fffff
	v_mov_b32_e32 v25, v2
	s_branch .LBB246_14
.LBB246_12:                             ;   in Loop: Header=BB246_14 Depth=1
	s_or_b64 exec, exec, s[48:49]
.LBB246_13:                             ;   in Loop: Header=BB246_14 Depth=1
	s_or_b64 exec, exec, s[12:13]
	v_add_u32_e32 v25, 2, v25
	v_cmp_le_i32_e64 s[0:1], s50, v25
	v_lshl_add_u64 v[8:9], v[8:9], 0, 8
	v_add_u32_e32 v16, 16, v16
	s_or_b64 s[46:47], s[0:1], s[46:47]
	v_add_u32_e32 v17, 64, v17
	s_andn2_b64 exec, exec, s[46:47]
	s_cbranch_execz .LBB246_19
.LBB246_14:                             ; =>This Inner Loop Header: Depth=1
	s_waitcnt lgkmcnt(0)
	v_sub_u32_e32 v27, 0, v16
	v_max_i32_e32 v27, v16, v27
	v_mul_hi_u32 v28, v27, s37
	v_mul_lo_u32 v29, v28, s15
	v_sub_u32_e32 v27, v27, v29
	v_add_u32_e32 v29, 1, v28
	v_cmp_le_u32_e64 s[0:1], s15, v27
	v_ashrrev_i32_e32 v26, 31, v16
	v_xor_b32_e32 v26, s27, v26
	v_cndmask_b32_e64 v28, v28, v29, s[0:1]
	v_subrev_u32_e32 v29, s15, v27
	v_cndmask_b32_e64 v27, v27, v29, s[0:1]
	v_add_u32_e32 v29, 1, v28
	v_cmp_le_u32_e64 s[0:1], s15, v27
	s_nop 1
	v_cndmask_b32_e64 v27, v28, v29, s[0:1]
	v_xor_b32_e32 v27, v27, v26
	v_sub_u32_e32 v26, v27, v26
	v_add_u32_e32 v27, s44, v26
	v_sub_u32_e32 v29, 0, v27
	v_ashrrev_i32_e32 v28, 31, v27
	v_max_i32_e32 v27, v27, v29
	v_mul_hi_u32 v29, v27, v15
	v_mul_lo_u32 v29, v29, s56
	v_sub_u32_e32 v27, v27, v29
	v_subrev_u32_e32 v29, s56, v27
	v_cmp_le_u32_e64 s[0:1], s56, v27
	v_cmp_ge_i32_e64 s[12:13], s55, v26
	s_nop 0
	v_cndmask_b32_e64 v27, v27, v29, s[0:1]
	v_subrev_u32_e32 v29, s56, v27
	v_cmp_le_u32_e64 s[0:1], s56, v27
	s_nop 1
	v_cndmask_b32_e64 v27, v27, v29, s[0:1]
	v_xor_b32_e32 v27, v27, v28
	v_sub_u32_e32 v27, v27, v28
	v_cmp_ne_u32_e64 s[0:1], 0, v27
	s_and_b64 s[0:1], s[0:1], s[12:13]
	s_and_b64 s[48:49], vcc, s[0:1]
	s_and_saveexec_b64 s[12:13], s[48:49]
	s_cbranch_execz .LBB246_16
; %bb.15:                               ;   in Loop: Header=BB246_14 Depth=1
	ds_write_b32 v17, v19
.LBB246_16:                             ;   in Loop: Header=BB246_14 Depth=1
	s_or_b64 exec, exec, s[12:13]
	s_xor_b64 s[0:1], s[0:1], -1
	s_and_saveexec_b64 s[12:13], s[0:1]
	s_cbranch_execz .LBB246_13
; %bb.17:                               ;   in Loop: Header=BB246_14 Depth=1
	global_load_dword v26, v[8:9], off
	s_waitcnt vmcnt(0)
	v_mad_i64_i32 v[26:27], s[0:1], v26, s57, v[6:7]
	v_lshl_add_u64 v[26:27], v[26:27], 0, v[4:5]
	global_load_ubyte v28, v[26:27], off
	global_load_ubyte v29, v[26:27], off offset:8
	global_load_dword v30, v5, s[16:17]
	global_load_ubyte v31, v[26:27], off offset:128
	global_load_ubyte v32, v[26:27], off offset:136
	;; [unrolled: 1-line block ×5, first 2 shown]
	s_nop 0
	global_load_ubyte v26, v[26:27], off offset:392
	ds_read_u16 v27, v13
	s_waitcnt lgkmcnt(0)
	;;#ASMSTART
	v_cvt_f32_f16 v27, v27;
	;;#ASMEND
	v_cmp_lt_i32_e64 s[0:1], v22, v21
	s_waitcnt vmcnt(8)
	v_cvt_f32_fp8_sdwa v28, v28 src0_sel:BYTE_0
	s_waitcnt vmcnt(7)
	v_cvt_f32_fp8_sdwa v29, v29 src0_sel:BYTE_0
	v_cndmask_b32_e64 v36, v20, v22, s[0:1]
	s_waitcnt vmcnt(5)
	v_cvt_f32_fp8_sdwa v31, v31 src0_sel:BYTE_0
	v_fma_mixlo_f16 v28, v30, v28, 0
	v_and_b32_e32 v28, 0xffff, v28
	v_fma_mixlo_f16 v29, v30, v29, 0
	s_waitcnt vmcnt(4)
	v_cvt_f32_fp8_sdwa v32, v32 src0_sel:BYTE_0
	;;#ASMSTART
	v_cvt_f32_f16 v28, v28;
	;;#ASMEND
	ds_read_u16 v37, v13 offset:2
	v_and_b32_e32 v29, 0xffff, v29
	s_waitcnt vmcnt(3)
	v_cvt_f32_fp8_sdwa v33, v33 src0_sel:BYTE_0
	s_waitcnt lgkmcnt(0)
	;;#ASMSTART
	v_cvt_f32_f16 v37, v37;
	;;#ASMEND
	;;#ASMSTART
	v_cvt_f32_f16 v29, v29;
	;;#ASMEND
	s_waitcnt vmcnt(2)
	v_cvt_f32_fp8_sdwa v34, v34 src0_sel:BYTE_0
	v_fma_mixlo_f16 v31, v30, v31, 0
	s_waitcnt vmcnt(1)
	v_cvt_f32_fp8_sdwa v35, v35 src0_sel:BYTE_0
	s_waitcnt vmcnt(0)
	v_cvt_f32_fp8_sdwa v26, v26 src0_sel:BYTE_0
	v_mul_f32_e32 v29, v37, v29
	ds_read_u16 v38, v13 offset:4
	v_and_b32_e32 v31, 0xffff, v31
	v_fma_mixlo_f16 v32, v30, v32, 0
	v_fmac_f32_e32 v29, v27, v28
	s_waitcnt lgkmcnt(0)
	;;#ASMSTART
	v_cvt_f32_f16 v38, v38;
	;;#ASMEND
	;;#ASMSTART
	v_cvt_f32_f16 v31, v31;
	;;#ASMEND
	ds_read_u16 v39, v13 offset:6
	v_and_b32_e32 v32, 0xffff, v32
	v_fma_mixlo_f16 v33, v30, v33, 0
	v_fmac_f32_e32 v29, v38, v31
	s_waitcnt lgkmcnt(0)
	;;#ASMSTART
	v_cvt_f32_f16 v39, v39;
	;;#ASMEND
	;;#ASMSTART
	v_cvt_f32_f16 v32, v32;
	;;#ASMEND
	ds_read_u16 v40, v13 offset:8
	v_fma_mixlo_f16 v34, v30, v34, 0
	v_and_b32_e32 v33, 0xffff, v33
	v_fmac_f32_e32 v29, v39, v32
	s_waitcnt lgkmcnt(0)
	;;#ASMSTART
	v_cvt_f32_f16 v40, v40;
	;;#ASMEND
	;;#ASMSTART
	v_cvt_f32_f16 v33, v33;
	;;#ASMEND
	v_fma_mixlo_f16 v35, v30, v35, 0
	v_fma_mixlo_f16 v26, v30, v26, 0
	v_and_b32_e32 v30, 0xffff, v34
	v_fmac_f32_e32 v29, v40, v33
	ds_read_u16 v41, v13 offset:10
	v_and_b32_e32 v34, 0xffff, v35
	s_waitcnt lgkmcnt(0)
	;;#ASMSTART
	v_cvt_f32_f16 v35, v41;
	;;#ASMEND
	;;#ASMSTART
	v_cvt_f32_f16 v30, v30;
	;;#ASMEND
	ds_read_u16 v41, v13 offset:12
	v_fmac_f32_e32 v29, v35, v30
	v_and_b32_e32 v26, 0xffff, v26
	s_waitcnt lgkmcnt(0)
	;;#ASMSTART
	v_cvt_f32_f16 v27, v41;
	;;#ASMEND
	;;#ASMSTART
	v_cvt_f32_f16 v28, v34;
	;;#ASMEND
	v_lshlrev_b32_e32 v36, 2, v36
	v_fmac_f32_e32 v29, v27, v28
	ds_read_u16 v31, v13 offset:14
	s_waitcnt lgkmcnt(0)
	;;#ASMSTART
	v_cvt_f32_f16 v27, v31;
	;;#ASMEND
	;;#ASMSTART
	v_cvt_f32_f16 v26, v26;
	;;#ASMEND
	v_cmp_lt_i32_e64 s[0:1], v23, v21
	v_fmac_f32_e32 v29, v27, v26
	ds_bpermute_b32 v26, v36, v29
	v_cndmask_b32_e64 v27, v20, v23, s[0:1]
	v_lshlrev_b32_e32 v27, 2, v27
	v_cmp_lt_i32_e64 s[0:1], v24, v21
	s_waitcnt lgkmcnt(0)
	v_add_f32_e32 v26, v29, v26
	ds_bpermute_b32 v27, v27, v26
	v_cndmask_b32_e64 v28, v20, v24, s[0:1]
	s_waitcnt lgkmcnt(0)
	v_add_f32_e32 v26, v26, v27
	v_lshlrev_b32_e32 v27, 2, v28
	ds_bpermute_b32 v27, v27, v26
	s_and_saveexec_b64 s[48:49], vcc
	s_cbranch_execz .LBB246_12
; %bb.18:                               ;   in Loop: Header=BB246_14 Depth=1
	v_add_u32_e32 v28, v18, v16
	v_cvt_f32_i32_e32 v28, v28
	s_waitcnt lgkmcnt(0)
	v_add_f32_e32 v26, v26, v27
	v_add_u32_e32 v29, v12, v16
	v_cmp_gt_i32_e64 s[0:1], s33, v29
	v_mul_f32_e32 v27, s3, v28
	v_cndmask_b32_e64 v27, 0, v27, s[8:9]
	v_fmac_f32_e32 v27, s45, v26
	v_cndmask_b32_e64 v26, 0, v27, s[0:1]
	ds_write_b32 v17, v26
	v_max_f32_e32 v26, v14, v14
	v_max_f32_e32 v26, v26, v27
	v_cndmask_b32_e64 v14, v14, v26, s[0:1]
	s_branch .LBB246_12
.LBB246_19:
	s_or_b64 exec, exec, s[46:47]
.LBB246_20:
	s_or_b64 exec, exec, s[22:23]
	v_mbcnt_hi_u32_b32 v4, -1, v11
	v_and_b32_e32 v5, 64, v4
	v_add_u32_e32 v5, 64, v5
	v_xor_b32_e32 v6, 32, v4
	v_cmp_lt_i32_e32 vcc, v6, v5
	v_xor_b32_e32 v9, 16, v4
	v_max_f32_e32 v7, v14, v14
	v_cndmask_b32_e32 v6, v4, v6, vcc
	v_lshlrev_b32_e32 v8, 2, v6
	ds_bpermute_b32 v6, v8, v14
	v_cmp_lt_i32_e32 vcc, v9, v5
	v_and_b32_e32 v11, 63, v0
	s_waitcnt lgkmcnt(0)
	v_max_f32_e32 v6, v6, v6
	v_max_f32_e32 v6, v7, v6
	v_cndmask_b32_e32 v7, v4, v9, vcc
	v_lshlrev_b32_e32 v12, 2, v7
	ds_bpermute_b32 v7, v12, v6
	v_xor_b32_e32 v9, 8, v4
	v_cmp_lt_i32_e32 vcc, v9, v5
	s_waitcnt lgkmcnt(0)
	v_max_f32_e32 v7, v7, v7
	v_max_f32_e32 v6, v6, v7
	v_cndmask_b32_e32 v7, v4, v9, vcc
	v_lshlrev_b32_e32 v13, 2, v7
	ds_bpermute_b32 v9, v13, v6
	v_cmp_eq_u32_e32 vcc, 0, v11
	v_lshlrev_b32_e32 v7, 2, v10
	s_and_saveexec_b64 s[0:1], vcc
	s_cbranch_execz .LBB246_22
; %bb.21:
	s_waitcnt lgkmcnt(0)
	v_max_f32_e32 v9, v9, v9
	v_max_f32_e32 v6, v6, v6
	;; [unrolled: 1-line block ×3, first 2 shown]
	ds_write_b32 v7, v6 offset:128
.LBB246_22:
	s_or_b64 exec, exec, s[0:1]
	v_cmp_gt_u32_e64 s[0:1], 2, v11
	v_mov_b32_e32 v6, 0xff7fffff
	s_waitcnt lgkmcnt(0)
	v_lshlrev_b32_e32 v9, 2, v11
	s_barrier
	s_and_saveexec_b64 s[8:9], s[0:1]
	s_cbranch_execz .LBB246_24
; %bb.23:
	ds_read_b32 v6, v9 offset:128
.LBB246_24:
	s_or_b64 exec, exec, s[8:9]
	v_xor_b32_e32 v14, 1, v4
	v_cmp_lt_i32_e64 s[8:9], v14, v5
	s_sub_i32 s3, s50, s20
	s_lshl_b32 s3, s3, 3
	v_cndmask_b32_e64 v14, v4, v14, s[8:9]
	v_lshlrev_b32_e32 v14, 2, v14
	s_waitcnt lgkmcnt(0)
	ds_bpermute_b32 v15, v14, v6
	v_max_f32_e32 v6, v6, v6
	s_add_i32 s3, s3, s54
	s_min_i32 s45, s3, s33
	s_sub_i32 s3, s45, s54
	s_waitcnt lgkmcnt(0)
	v_max_f32_e32 v15, v15, v15
	v_max_f32_e32 v6, v6, v15
	v_lshlrev_b32_e32 v15, 2, v4
	v_and_b32_e32 v15, 0x100, v15
	ds_bpermute_b32 v6, v15, v6
	v_cmp_gt_i32_e64 s[8:9], s3, v0
	v_mov_b32_e32 v16, 0
	s_and_saveexec_b64 s[16:17], s[8:9]
	s_cbranch_execz .LBB246_28
; %bb.25:
	v_mov_b32_e32 v16, 0x90
	v_lshl_add_u32 v17, v0, 2, v16
	s_mov_b64 s[22:23], 0
	v_mov_b32_e32 v16, 0
	v_mov_b32_e32 v18, v0
.LBB246_26:                             ; =>This Inner Loop Header: Depth=1
	ds_read_b32 v19, v17
	v_add_u32_e32 v18, 0x80, v18
	v_cmp_le_i32_e64 s[12:13], s3, v18
	s_or_b64 s[22:23], s[12:13], s[22:23]
	s_waitcnt lgkmcnt(0)
	v_sub_f32_e32 v19, v19, v6
	v_mul_f32_e32 v19, 0x3fb8aa3b, v19
	v_exp_f32_e32 v19, v19
	ds_write_b32 v17, v19
	v_add_f32_e32 v16, v16, v19
	v_add_u32_e32 v17, 0x200, v17
	s_andn2_b64 exec, exec, s[22:23]
	s_cbranch_execnz .LBB246_26
; %bb.27:
	s_or_b64 exec, exec, s[22:23]
.LBB246_28:
	s_or_b64 exec, exec, s[16:17]
	ds_bpermute_b32 v8, v8, v16
	s_waitcnt lgkmcnt(0)
	v_add_f32_e32 v8, v16, v8
	ds_bpermute_b32 v12, v12, v8
	s_waitcnt lgkmcnt(0)
	v_add_f32_e32 v8, v8, v12
	ds_bpermute_b32 v12, v13, v8
	v_xor_b32_e32 v13, 4, v4
	v_cmp_lt_i32_e64 s[12:13], v13, v5
	s_waitcnt lgkmcnt(0)
	v_add_f32_e32 v8, v8, v12
	v_cndmask_b32_e64 v13, v4, v13, s[12:13]
	v_lshlrev_b32_e32 v13, 2, v13
	ds_bpermute_b32 v12, v13, v8
	v_xor_b32_e32 v13, 2, v4
	v_cmp_lt_i32_e64 s[12:13], v13, v5
	s_waitcnt lgkmcnt(0)
	v_add_f32_e32 v5, v8, v12
	v_cndmask_b32_e64 v4, v4, v13, s[12:13]
	v_lshlrev_b32_e32 v4, 2, v4
	ds_bpermute_b32 v4, v4, v5
	s_waitcnt lgkmcnt(0)
	v_add_f32_e32 v4, v5, v4
	ds_bpermute_b32 v5, v14, v4
	s_waitcnt lgkmcnt(0)
	v_add_f32_e32 v4, v4, v5
	s_and_saveexec_b64 s[12:13], vcc
	s_cbranch_execz .LBB246_30
; %bb.29:
	ds_write_b32 v7, v4 offset:136
.LBB246_30:
	s_or_b64 exec, exec, s[12:13]
	s_waitcnt lgkmcnt(0)
	s_barrier
	s_and_saveexec_b64 s[12:13], s[0:1]
	s_cbranch_execz .LBB246_32
; %bb.31:
	ds_read_b32 v4, v9 offset:136
.LBB246_32:
	s_or_b64 exec, exec, s[12:13]
	s_waitcnt lgkmcnt(0)
	ds_bpermute_b32 v5, v14, v4
	s_waitcnt lgkmcnt(0)
	v_add_f32_e32 v4, v4, v5
	ds_bpermute_b32 v7, v15, v4
	s_and_saveexec_b64 s[0:1], s[8:9]
	s_cbranch_execz .LBB246_45
; %bb.33:
	s_waitcnt lgkmcnt(0)
	v_add_f32_e32 v4, 0x358637bd, v7
	v_div_scale_f32 v5, s[8:9], v4, v4, 1.0
	v_rcp_f32_e32 v8, v5
	v_div_scale_f32 v9, vcc, 1.0, v4, 1.0
	s_movk_i32 s8, 0x7f
	v_fma_f32 v12, -v5, v8, 1.0
	v_fmac_f32_e32 v8, v12, v8
	v_mul_f32_e32 v12, v9, v8
	v_fma_f32 v13, -v5, v12, v9
	v_fmac_f32_e32 v12, v13, v8
	v_fma_f32 v5, -v5, v12, v9
	v_div_fmas_f32 v5, v5, v8, v12
	v_div_fixup_f32 v4, v5, v4, 1.0
	v_xad_u32 v5, v0, -1, s45
	v_subrev_u32_e32 v8, s54, v5
	v_cmp_lt_u32_e32 vcc, s8, v8
	s_mov_b64 s[12:13], -1
	v_mov_b32_e32 v5, v0
	s_and_saveexec_b64 s[8:9], vcc
	s_cbranch_execz .LBB246_42
; %bb.34:
	v_lshrrev_b32_e32 v8, 7, v8
	v_add_u32_e32 v12, -1, v8
	v_lshrrev_b32_e32 v9, 1, v12
	v_mov_b32_e32 v5, v4
	v_add_u32_e32 v9, 1, v9
	v_cmp_lt_u32_e32 vcc, 13, v12
	v_mov_b32_e32 v14, 0
	s_and_saveexec_b64 s[12:13], vcc
	s_cbranch_execz .LBB246_38
; %bb.35:
	v_mov_b32_e32 v13, 0x90
	v_and_b32_e32 v12, -8, v9
	v_lshl_add_u32 v13, v0, 2, v13
	s_mov_b32 s22, 0
	s_mov_b64 s[16:17], 0
.LBB246_36:                             ; =>This Inner Loop Header: Depth=1
	ds_read2st64_b32 v[14:15], v13 offset1:2
	ds_read2st64_b32 v[16:17], v13 offset0:4 offset1:6
	ds_read2st64_b32 v[18:19], v13 offset0:8 offset1:10
	;; [unrolled: 1-line block ×3, first 2 shown]
	v_add_u32_e32 v12, -8, v12
	s_waitcnt lgkmcnt(3)
	v_pk_mul_f32 v[14:15], v[4:5], v[14:15]
	s_waitcnt lgkmcnt(2)
	v_pk_mul_f32 v[16:17], v[4:5], v[16:17]
	ds_write2st64_b32 v13, v14, v15 offset1:2
	ds_write2st64_b32 v13, v16, v17 offset0:4 offset1:6
	ds_read2st64_b32 v[16:17], v13 offset0:16 offset1:18
	s_waitcnt lgkmcnt(4)
	v_pk_mul_f32 v[14:15], v[4:5], v[18:19]
	ds_write2st64_b32 v13, v14, v15 offset0:8 offset1:10
	s_waitcnt lgkmcnt(4)
	v_pk_mul_f32 v[14:15], v[4:5], v[20:21]
	ds_write2st64_b32 v13, v14, v15 offset0:12 offset1:14
	ds_read2st64_b32 v[14:15], v13 offset0:20 offset1:22
	s_waitcnt lgkmcnt(3)
	v_pk_mul_f32 v[16:17], v[4:5], v[16:17]
	ds_read2st64_b32 v[18:19], v13 offset0:24 offset1:26
	ds_write2st64_b32 v13, v16, v17 offset0:16 offset1:18
	ds_read2st64_b32 v[16:17], v13 offset0:28 offset1:30
	s_waitcnt lgkmcnt(3)
	v_pk_mul_f32 v[14:15], v[4:5], v[14:15]
	ds_write2st64_b32 v13, v14, v15 offset0:20 offset1:22
	s_waitcnt lgkmcnt(3)
	v_pk_mul_f32 v[14:15], v[4:5], v[18:19]
	ds_write2st64_b32 v13, v14, v15 offset0:24 offset1:26
	s_waitcnt lgkmcnt(2)
	v_pk_mul_f32 v[14:15], v[4:5], v[16:17]
	s_add_i32 s22, s22, 16
	v_cmp_eq_u32_e32 vcc, 0, v12
	ds_write2st64_b32 v13, v14, v15 offset0:28 offset1:30
	v_add_u32_e32 v13, 0x2000, v13
	s_or_b64 s[16:17], vcc, s[16:17]
	v_mov_b32_e32 v14, s22
	s_andn2_b64 exec, exec, s[16:17]
	s_cbranch_execnz .LBB246_36
; %bb.37:
	s_or_b64 exec, exec, s[16:17]
.LBB246_38:
	s_or_b64 exec, exec, s[12:13]
	v_and_b32_e32 v9, 7, v9
	v_cmp_ne_u32_e32 vcc, 0, v9
	s_and_saveexec_b64 s[12:13], vcc
	s_cbranch_execz .LBB246_41
; %bb.39:
	v_lshlrev_b32_e32 v12, 9, v14
	v_lshlrev_b32_e32 v13, 2, v0
	s_movk_i32 s16, 0x90
	v_add3_u32 v12, v12, v13, s16
	s_mov_b64 s[16:17], 0
.LBB246_40:                             ; =>This Inner Loop Header: Depth=1
	ds_read2st64_b32 v[14:15], v12 offset1:2
	v_add_u32_e32 v9, -1, v9
	v_cmp_eq_u32_e32 vcc, 0, v9
	s_or_b64 s[16:17], vcc, s[16:17]
	s_waitcnt lgkmcnt(0)
	v_pk_mul_f32 v[14:15], v[4:5], v[14:15]
	ds_write2st64_b32 v12, v14, v15 offset1:2
	v_add_u32_e32 v12, 0x400, v12
	s_andn2_b64 exec, exec, s[16:17]
	s_cbranch_execnz .LBB246_40
.LBB246_41:
	s_or_b64 exec, exec, s[12:13]
	v_add_u32_e32 v8, 1, v8
	v_and_b32_e32 v9, 0x3fffffe, v8
	v_cmp_ne_u32_e32 vcc, v8, v9
	v_lshl_add_u32 v5, v9, 7, v0
	s_orn2_b64 s[12:13], vcc, exec
.LBB246_42:
	s_or_b64 exec, exec, s[8:9]
	s_and_b64 exec, exec, s[12:13]
	s_cbranch_execz .LBB246_45
; %bb.43:
	v_mov_b32_e32 v8, 0x90
	v_lshl_add_u32 v8, v5, 2, v8
	s_mov_b64 s[8:9], 0
.LBB246_44:                             ; =>This Inner Loop Header: Depth=1
	ds_read_b32 v9, v8
	v_add_u32_e32 v5, 0x80, v5
	v_cmp_le_i32_e32 vcc, s3, v5
	s_or_b64 s[8:9], vcc, s[8:9]
	s_waitcnt lgkmcnt(0)
	v_mul_f32_e32 v9, v4, v9
	ds_write_b32 v8, v9
	v_add_u32_e32 v8, 0x200, v8
	s_andn2_b64 exec, exec, s[8:9]
	s_cbranch_execnz .LBB246_44
.LBB246_45:
	s_or_b64 exec, exec, s[0:1]
	s_mul_i32 s0, s24, s36
	v_cmp_eq_u32_e32 vcc, 0, v0
	s_mul_i32 s8, s0, s5
	s_waitcnt lgkmcnt(0)
	s_barrier
	s_and_saveexec_b64 s[0:1], vcc
	s_cbranch_execz .LBB246_47
; %bb.46:
	s_ashr_i32 s9, s8, 31
	s_lshl_b64 s[12:13], s[8:9], 2
	s_add_u32 s5, s30, s12
	s_mul_i32 s2, s24, s2
	s_addc_u32 s9, s31, s13
	s_ashr_i32 s3, s2, 31
	s_lshl_b64 s[2:3], s[2:3], 2
	s_add_u32 s16, s5, s2
	s_addc_u32 s9, s9, s3
	s_ashr_i32 s5, s4, 31
	s_lshl_b64 s[4:5], s[4:5], 2
	s_add_u32 s16, s16, s4
	s_addc_u32 s17, s9, s5
	s_add_u32 s9, s28, s12
	s_addc_u32 s12, s29, s13
	;; [unrolled: 2-line block ×3, first 2 shown]
	s_add_u32 s2, s2, s4
	v_mov_b32_e32 v4, 0
	s_addc_u32 s3, s3, s5
	global_store_dword v4, v6, s[16:17]
	global_store_dword v4, v7, s[2:3]
.LBB246_47:
	s_or_b64 exec, exec, s[0:1]
	v_mov_b32_e32 v18, 0
	s_and_saveexec_b64 s[2:3], s[6:7]
	s_cbranch_execz .LBB246_119
; %bb.48:
	s_sub_i32 s9, s52, s25
	s_ashr_i32 s1, s53, 31
	s_add_u32 s0, s42, s53
	s_addc_u32 s1, s43, s1
	s_abs_i32 s22, s26
	v_cvt_f32_u32_e32 v4, s22
	v_mov_b32_e32 v5, 0
	s_add_i32 s25, s51, -1
	s_mov_b32 s23, s33
	v_rcp_iflag_f32_e32 v6, v4
	v_lshlrev_b32_e32 v4, 3, v11
	s_mov_b64 s[4:5], 0
	s_movk_i32 s26, 0x7f
	v_mul_f32_e32 v6, 0x4f7ffffe, v6
	v_cvt_u32_f32_e32 v8, v6
	v_lshl_add_u64 v[6:7], s[0:1], 0, v[4:5]
	s_sub_i32 s0, 0, s22
	s_movk_i32 s28, 0x80
	v_mul_lo_u32 v4, s0, v8
	s_lshl_b64 s[0:1], s[40:41], 2
	s_add_u32 s0, s38, s0
	v_mul_hi_u32 v4, v8, v4
	s_addc_u32 s1, s39, s1
	v_add_u32_e32 v19, v8, v4
	v_lshl_add_u64 v[8:9], v[2:3], 2, s[0:1]
	v_mov_b32_e32 v3, 0x90
	v_lshl_add_u32 v3, v10, 5, v3
	s_mov_b32 s29, 0x8000
	s_movk_i32 s30, 0x380
	s_mov_b32 s31, 0x3020706
	s_mov_b32 s36, 0x1000504
	;; [unrolled: 1-line block ×3, first 2 shown]
	v_mov_b32_e32 v20, 0x1c00
	v_mov_b32_e32 v18, 0
	s_branch .LBB246_51
.LBB246_49:                             ;   in Loop: Header=BB246_51 Depth=1
	s_or_b64 exec, exec, s[6:7]
	v_and_b32_e32 v14, 0xffff, v21
	v_and_b32_e32 v15, 0xffff, v23
	v_lshl_or_b32 v14, v22, 16, v14
	v_lshl_or_b32 v15, v24, 16, v15
	v_and_b32_e32 v16, 0xffff, v25
	v_and_b32_e32 v17, 0xffff, v27
	;;#ASMSTART
	v_pk_mul_f16 v13, v14, v13;

	;;#ASMEND
	;;#ASMSTART
	v_pk_mul_f16 v4, v15, v4;

	;;#ASMEND
	v_lshl_or_b32 v16, v26, 16, v16
	v_lshl_or_b32 v17, v28, 16, v17
	;;#ASMSTART
	v_pk_mul_f16 v12, v16, v12;

	;;#ASMEND
	;;#ASMSTART
	v_pk_mul_f16 v10, v17, v10;

	;;#ASMEND
	;;#ASMSTART
	v_pk_add_f16 v4, v13, v4;

	;;#ASMEND
	s_nop 0
	;;#ASMSTART
	v_pk_add_f16 v4, v4, v12;

	;;#ASMEND
	s_nop 0
	;; [unrolled: 5-line block ×3, first 2 shown]
	v_lshrrev_b32_e32 v10, 16, v4
	v_and_b32_e32 v4, 0xffff, v4
	;;#ASMSTART
	v_cvt_f32_f16 v4, v4;
	;;#ASMEND
	;;#ASMSTART
	v_cvt_f32_f16 v10, v10;
	;;#ASMEND
	s_nop 0
	v_add_f32_e32 v4, v4, v10
	v_add_f32_e32 v18, v18, v4
.LBB246_50:                             ;   in Loop: Header=BB246_51 Depth=1
	s_or_b64 exec, exec, s[0:1]
	v_add_u32_e32 v2, 2, v2
	v_cmp_le_i32_e32 vcc, s50, v2
	v_lshl_add_u64 v[8:9], v[8:9], 0, 8
	v_add_u32_e32 v1, 16, v1
	s_or_b64 s[4:5], vcc, s[4:5]
	v_add_u32_e32 v3, 64, v3
	s_andn2_b64 exec, exec, s[4:5]
	s_cbranch_execz .LBB246_118
.LBB246_51:                             ; =>This Inner Loop Header: Depth=1
	v_sub_u32_e32 v10, 0, v1
	v_max_i32_e32 v10, v1, v10
	v_mul_hi_u32 v12, v10, s37
	v_mul_lo_u32 v13, v12, s15
	v_sub_u32_e32 v10, v10, v13
	v_add_u32_e32 v13, 1, v12
	v_cmp_le_u32_e32 vcc, s15, v10
	v_ashrrev_i32_e32 v4, 31, v1
	v_xor_b32_e32 v4, s27, v4
	v_cndmask_b32_e32 v12, v12, v13, vcc
	v_subrev_u32_e32 v13, s15, v10
	v_cndmask_b32_e32 v10, v10, v13, vcc
	v_add_u32_e32 v13, 1, v12
	v_cmp_le_u32_e32 vcc, s15, v10
	s_nop 1
	v_cndmask_b32_e32 v10, v12, v13, vcc
	v_xor_b32_e32 v10, v10, v4
	v_sub_u32_e32 v4, v10, v4
	v_add_u32_e32 v10, s44, v4
	v_sub_u32_e32 v13, 0, v10
	v_ashrrev_i32_e32 v12, 31, v10
	v_max_i32_e32 v10, v10, v13
	v_mul_hi_u32 v13, v10, v19
	v_mul_lo_u32 v13, v13, s22
	v_sub_u32_e32 v10, v10, v13
	v_subrev_u32_e32 v13, s22, v10
	v_cmp_le_u32_e32 vcc, s22, v10
	v_cmp_lt_i32_e64 s[0:1], s9, v4
	s_nop 0
	v_cndmask_b32_e32 v10, v10, v13, vcc
	v_subrev_u32_e32 v13, s22, v10
	v_cmp_le_u32_e32 vcc, s22, v10
	s_nop 1
	v_cndmask_b32_e32 v10, v10, v13, vcc
	v_xor_b32_e32 v10, v10, v12
	v_sub_u32_e32 v10, v10, v12
	v_cmp_eq_u32_e32 vcc, 0, v10
	s_or_b64 s[6:7], vcc, s[0:1]
	s_and_saveexec_b64 s[0:1], s[6:7]
	s_cbranch_execz .LBB246_50
; %bb.52:                               ;   in Loop: Header=BB246_51 Depth=1
	ds_read2_b64 v[12:15], v3 offset1:1
	ds_read2_b64 v[26:29], v3 offset0:2 offset1:3
                                        ; implicit-def: $sgpr39
	s_waitcnt lgkmcnt(1)
	;;#ASMSTART
	v_cvt_f16_f32 v21, v12;

	;;#ASMEND
	;;#ASMSTART
	v_cvt_f16_f32 v22, v13;

	;;#ASMEND
	;; [unrolled: 4-line block ×4, first 2 shown]
	s_waitcnt lgkmcnt(0)
	;;#ASMSTART
	v_cvt_f16_f32 v25, v26;

	;;#ASMEND
	;;#ASMSTART
	v_cvt_f16_f32 v26, v27;

	;;#ASMEND
	;;#ASMSTART
	v_cvt_f16_f32 v27, v28;

	;;#ASMEND
	;;#ASMSTART
	v_cvt_f16_f32 v28, v29;

	;;#ASMEND
	global_load_dword v4, v[8:9], off
	s_waitcnt vmcnt(0)
	v_mad_i64_i32 v[14:15], s[6:7], v4, s21, v[6:7]
	global_load_dwordx2 v[12:13], v[14:15], off
	global_load_dword v10, v5, s[18:19]
	s_mov_b64 s[6:7], 0
	s_waitcnt vmcnt(1)
	v_cmp_gt_i16_sdwa s[12:13], v12, s26 src0_sel:BYTE_0 src1_sel:DWORD
	s_and_saveexec_b64 s[16:17], s[12:13]
	s_xor_b64 s[12:13], exec, s[16:17]
	s_cbranch_execnz .LBB246_86
; %bb.53:                               ;   in Loop: Header=BB246_51 Depth=1
	s_or_saveexec_b64 s[12:13], s[12:13]
	v_mov_b32_e32 v14, s39
	s_xor_b64 exec, exec, s[12:13]
	s_cbranch_execnz .LBB246_89
.LBB246_54:                             ;   in Loop: Header=BB246_51 Depth=1
	s_or_b64 exec, exec, s[12:13]
	s_and_saveexec_b64 s[12:13], s[6:7]
	s_cbranch_execz .LBB246_56
.LBB246_55:                             ;   in Loop: Header=BB246_51 Depth=1
	v_and_b32_e32 v4, 7, v12
	v_ffbh_u32_e32 v4, v4
	v_bfe_u32 v14, v12, 3, 4
	v_min_u32_e32 v4, 32, v4
	v_subrev_u32_e32 v15, 28, v4
	v_sub_u32_e32 v4, 29, v4
	v_cmp_eq_u32_e32 vcc, 0, v14
	s_nop 1
	v_cndmask_b32_e32 v4, v14, v4, vcc
	v_cndmask_b32_e32 v14, 0, v15, vcc
	v_lshlrev_b64 v[14:15], v14, v[12:13]
	v_lshlrev_b32_e32 v15, 8, v12
	v_lshl_add_u32 v4, v4, 10, v20
	v_lshlrev_b32_e32 v14, 7, v14
	v_and_or_b32 v4, v15, s29, v4
	v_and_or_b32 v4, v14, s30, v4
	v_cvt_f32_f16_e32 v14, v4
.LBB246_56:                             ;   in Loop: Header=BB246_51 Depth=1
	s_or_b64 exec, exec, s[12:13]
	v_lshrrev_b16_e32 v4, 8, v12
	v_cmp_lt_i16_e32 vcc, s26, v4
	s_mov_b64 s[6:7], 0
                                        ; implicit-def: $sgpr39
	s_and_saveexec_b64 s[12:13], vcc
	s_xor_b64 s[12:13], exec, s[12:13]
	s_cbranch_execnz .LBB246_90
; %bb.57:                               ;   in Loop: Header=BB246_51 Depth=1
	s_or_saveexec_b64 s[12:13], s[12:13]
	v_mov_b32_e32 v16, s39
	s_xor_b64 exec, exec, s[12:13]
	s_cbranch_execnz .LBB246_93
.LBB246_58:                             ;   in Loop: Header=BB246_51 Depth=1
	s_or_b64 exec, exec, s[12:13]
	s_and_saveexec_b64 s[12:13], s[6:7]
	s_cbranch_execz .LBB246_60
.LBB246_59:                             ;   in Loop: Header=BB246_51 Depth=1
	v_and_b32_e32 v15, 7, v4
	v_ffbh_u32_e32 v16, v15
	v_min_u32_e32 v30, 32, v16
	v_subrev_u32_e32 v16, 28, v30
	v_bfe_u32 v29, v4, 3, 4
	v_lshlrev_b64 v[16:17], v16, v[4:5]
	v_sub_u32_e32 v17, 29, v30
	v_cmp_eq_u32_e32 vcc, 0, v29
	v_and_b32_e32 v16, 7, v16
	v_lshlrev_b32_e32 v4, 8, v4
	v_cndmask_b32_e32 v17, v29, v17, vcc
	v_cndmask_b32_e32 v15, v15, v16, vcc
	v_lshl_add_u32 v16, v17, 10, v20
	v_and_or_b32 v4, v4, s29, v16
	v_lshl_or_b32 v4, v15, 7, v4
	v_cvt_f32_f16_e32 v16, v4
.LBB246_60:                             ;   in Loop: Header=BB246_51 Depth=1
	s_or_b64 exec, exec, s[12:13]
	v_lshrrev_b32_e32 v4, 16, v12
	v_cmp_gt_i16_sdwa s[12:13], v4, s26 src0_sel:BYTE_0 src1_sel:DWORD
	s_mov_b64 s[6:7], 0
                                        ; implicit-def: $sgpr39
	s_and_saveexec_b64 s[16:17], s[12:13]
	s_xor_b64 s[12:13], exec, s[16:17]
	s_cbranch_execnz .LBB246_94
; %bb.61:                               ;   in Loop: Header=BB246_51 Depth=1
	s_or_saveexec_b64 s[12:13], s[12:13]
	v_mov_b32_e32 v15, s39
	s_xor_b64 exec, exec, s[12:13]
	s_cbranch_execnz .LBB246_97
.LBB246_62:                             ;   in Loop: Header=BB246_51 Depth=1
	s_or_b64 exec, exec, s[12:13]
	s_and_saveexec_b64 s[12:13], s[6:7]
	s_cbranch_execz .LBB246_64
.LBB246_63:                             ;   in Loop: Header=BB246_51 Depth=1
	v_bfe_u32 v15, v12, 16, 3
	v_ffbh_u32_e32 v29, v15
	v_bfe_u32 v17, v12, 19, 4
	v_min_u32_e32 v29, 32, v29
	v_subrev_u32_e32 v30, 28, v29
	v_sub_u32_e32 v29, 29, v29
	v_cmp_eq_u32_e32 vcc, 0, v17
	v_lshlrev_b64 v[30:31], v30, v[4:5]
	v_and_b32_e32 v30, 7, v30
	v_cndmask_b32_e32 v17, v17, v29, vcc
	v_lshlrev_b32_e32 v4, 8, v4
	v_lshl_add_u32 v17, v17, 10, v20
	v_cndmask_b32_e32 v15, v15, v30, vcc
	v_and_or_b32 v4, v4, s29, v17
	v_lshl_or_b32 v4, v15, 7, v4
	v_cvt_f32_f16_e32 v15, v4
.LBB246_64:                             ;   in Loop: Header=BB246_51 Depth=1
	s_or_b64 exec, exec, s[12:13]
	v_lshrrev_b32_e32 v4, 24, v12
	v_cmp_lt_i16_e32 vcc, s26, v4
	s_mov_b64 s[6:7], 0
                                        ; implicit-def: $sgpr39
	s_and_saveexec_b64 s[12:13], vcc
	s_xor_b64 s[12:13], exec, s[12:13]
	s_cbranch_execnz .LBB246_98
; %bb.65:                               ;   in Loop: Header=BB246_51 Depth=1
	s_or_saveexec_b64 s[12:13], s[12:13]
	v_mov_b32_e32 v17, s39
	s_xor_b64 exec, exec, s[12:13]
	s_cbranch_execnz .LBB246_101
.LBB246_66:                             ;   in Loop: Header=BB246_51 Depth=1
	s_or_b64 exec, exec, s[12:13]
	s_and_saveexec_b64 s[12:13], s[6:7]
	s_cbranch_execz .LBB246_68
.LBB246_67:                             ;   in Loop: Header=BB246_51 Depth=1
	v_bfe_u32 v17, v12, 24, 3
	v_ffbh_u32_e32 v29, v17
	v_bfe_u32 v12, v12, 27, 4
	v_min_u32_e32 v29, 32, v29
	v_subrev_u32_e32 v30, 28, v29
	v_sub_u32_e32 v29, 29, v29
	v_cmp_eq_u32_e32 vcc, 0, v12
	v_lshlrev_b64 v[30:31], v30, v[4:5]
	v_and_b32_e32 v30, 7, v30
	v_cndmask_b32_e32 v12, v12, v29, vcc
	v_lshlrev_b32_e32 v4, 8, v4
	v_lshl_add_u32 v12, v12, 10, v20
	v_cndmask_b32_e32 v17, v17, v30, vcc
	v_and_or_b32 v4, v4, s29, v12
	v_lshl_or_b32 v4, v17, 7, v4
	v_cvt_f32_f16_e32 v17, v4
.LBB246_68:                             ;   in Loop: Header=BB246_51 Depth=1
	s_or_b64 exec, exec, s[12:13]
	v_cmp_gt_i16_sdwa s[12:13], v13, s26 src0_sel:BYTE_0 src1_sel:DWORD
	s_mov_b64 s[6:7], 0
                                        ; implicit-def: $sgpr39
	s_and_saveexec_b64 s[16:17], s[12:13]
	s_xor_b64 s[12:13], exec, s[16:17]
	s_cbranch_execnz .LBB246_102
; %bb.69:                               ;   in Loop: Header=BB246_51 Depth=1
	s_or_saveexec_b64 s[12:13], s[12:13]
	v_mov_b32_e32 v12, s39
	s_xor_b64 exec, exec, s[12:13]
	s_cbranch_execnz .LBB246_105
.LBB246_70:                             ;   in Loop: Header=BB246_51 Depth=1
	s_or_b64 exec, exec, s[12:13]
	v_mov_b32_e32 v4, v13
	s_and_saveexec_b64 s[12:13], s[6:7]
	s_cbranch_execz .LBB246_72
.LBB246_71:                             ;   in Loop: Header=BB246_51 Depth=1
	v_and_b32_e32 v12, 7, v13
	v_ffbh_u32_e32 v12, v12
	v_bfe_u32 v29, v13, 3, 4
	v_min_u32_e32 v12, 32, v12
	v_subrev_u32_e32 v30, 28, v12
	v_sub_u32_e32 v12, 29, v12
	v_cmp_eq_u32_e32 vcc, 0, v29
	s_nop 1
	v_cndmask_b32_e32 v12, v29, v12, vcc
	v_cndmask_b32_e32 v29, 0, v30, vcc
	v_lshlrev_b64 v[30:31], v29, v[4:5]
	v_lshlrev_b32_e32 v29, 7, v30
	v_lshlrev_b32_e32 v30, 8, v13
	v_lshl_add_u32 v12, v12, 10, v20
	v_and_or_b32 v12, v30, s29, v12
	v_and_or_b32 v12, v29, s30, v12
	v_cvt_f32_f16_e32 v12, v12
.LBB246_72:                             ;   in Loop: Header=BB246_51 Depth=1
	s_or_b64 exec, exec, s[12:13]
	v_lshrrev_b16_e32 v4, 8, v4
	v_cmp_lt_i16_e32 vcc, s26, v4
	s_mov_b64 s[6:7], 0
                                        ; implicit-def: $sgpr39
	s_and_saveexec_b64 s[12:13], vcc
	s_xor_b64 s[12:13], exec, s[12:13]
	s_cbranch_execnz .LBB246_106
; %bb.73:                               ;   in Loop: Header=BB246_51 Depth=1
	s_or_saveexec_b64 s[12:13], s[12:13]
	v_mov_b32_e32 v29, s39
	s_xor_b64 exec, exec, s[12:13]
	s_cbranch_execnz .LBB246_109
.LBB246_74:                             ;   in Loop: Header=BB246_51 Depth=1
	s_or_b64 exec, exec, s[12:13]
	s_and_saveexec_b64 s[12:13], s[6:7]
	s_cbranch_execz .LBB246_76
.LBB246_75:                             ;   in Loop: Header=BB246_51 Depth=1
	v_and_b32_e32 v29, 7, v4
	v_ffbh_u32_e32 v30, v29
	v_min_u32_e32 v33, 32, v30
	v_subrev_u32_e32 v30, 28, v33
	v_bfe_u32 v32, v4, 3, 4
	v_lshlrev_b64 v[30:31], v30, v[4:5]
	v_sub_u32_e32 v31, 29, v33
	v_cmp_eq_u32_e32 vcc, 0, v32
	v_and_b32_e32 v30, 7, v30
	v_lshlrev_b32_e32 v4, 8, v4
	v_cndmask_b32_e32 v31, v32, v31, vcc
	v_cndmask_b32_e32 v29, v29, v30, vcc
	v_lshl_add_u32 v30, v31, 10, v20
	v_and_or_b32 v4, v4, s29, v30
	v_lshl_or_b32 v4, v29, 7, v4
	v_cvt_f32_f16_e32 v29, v4
.LBB246_76:                             ;   in Loop: Header=BB246_51 Depth=1
	s_or_b64 exec, exec, s[12:13]
	v_lshrrev_b32_e32 v4, 16, v13
	v_cmp_gt_i16_sdwa s[12:13], v4, s26 src0_sel:BYTE_0 src1_sel:DWORD
	s_mov_b64 s[6:7], 0
                                        ; implicit-def: $sgpr39
	s_and_saveexec_b64 s[16:17], s[12:13]
	s_xor_b64 s[12:13], exec, s[16:17]
	s_cbranch_execnz .LBB246_110
; %bb.77:                               ;   in Loop: Header=BB246_51 Depth=1
	s_or_saveexec_b64 s[12:13], s[12:13]
	v_mov_b32_e32 v30, s39
	s_xor_b64 exec, exec, s[12:13]
	s_cbranch_execnz .LBB246_113
.LBB246_78:                             ;   in Loop: Header=BB246_51 Depth=1
	s_or_b64 exec, exec, s[12:13]
	s_and_saveexec_b64 s[12:13], s[6:7]
	s_cbranch_execz .LBB246_80
.LBB246_79:                             ;   in Loop: Header=BB246_51 Depth=1
	v_bfe_u32 v32, v13, 16, 3
	v_ffbh_u32_e32 v30, v32
	v_min_u32_e32 v34, 32, v30
	v_subrev_u32_e32 v30, 28, v34
	v_bfe_u32 v33, v13, 19, 4
	v_lshlrev_b64 v[30:31], v30, v[4:5]
	v_sub_u32_e32 v31, 29, v34
	v_cmp_eq_u32_e32 vcc, 0, v33
	v_and_b32_e32 v30, 7, v30
	v_lshlrev_b32_e32 v4, 8, v4
	v_cndmask_b32_e32 v31, v33, v31, vcc
	v_lshl_add_u32 v31, v31, 10, v20
	v_cndmask_b32_e32 v30, v32, v30, vcc
	v_and_or_b32 v4, v4, s29, v31
	v_lshl_or_b32 v4, v30, 7, v4
	v_cvt_f32_f16_e32 v30, v4
.LBB246_80:                             ;   in Loop: Header=BB246_51 Depth=1
	s_or_b64 exec, exec, s[12:13]
	v_lshrrev_b32_e32 v4, 24, v13
	v_cmp_lt_i16_e32 vcc, s26, v4
	s_mov_b64 s[6:7], 0
                                        ; implicit-def: $sgpr39
	s_and_saveexec_b64 s[12:13], vcc
	s_xor_b64 s[12:13], exec, s[12:13]
	s_cbranch_execnz .LBB246_114
; %bb.81:                               ;   in Loop: Header=BB246_51 Depth=1
	s_or_saveexec_b64 s[12:13], s[12:13]
	v_mov_b32_e32 v31, s39
	s_xor_b64 exec, exec, s[12:13]
	s_cbranch_execnz .LBB246_117
.LBB246_82:                             ;   in Loop: Header=BB246_51 Depth=1
	s_or_b64 exec, exec, s[12:13]
	s_and_saveexec_b64 s[12:13], s[6:7]
	s_cbranch_execz .LBB246_84
.LBB246_83:                             ;   in Loop: Header=BB246_51 Depth=1
	v_bfe_u32 v31, v13, 24, 3
	v_ffbh_u32_e32 v32, v31
	v_min_u32_e32 v34, 32, v32
	v_subrev_u32_e32 v32, 28, v34
	v_bfe_u32 v13, v13, 27, 4
	v_lshlrev_b64 v[32:33], v32, v[4:5]
	v_sub_u32_e32 v33, 29, v34
	v_cmp_eq_u32_e32 vcc, 0, v13
	v_and_b32_e32 v32, 7, v32
	v_lshlrev_b32_e32 v4, 8, v4
	v_cndmask_b32_e32 v13, v13, v33, vcc
	v_lshl_add_u32 v13, v13, 10, v20
	v_cndmask_b32_e32 v31, v31, v32, vcc
	v_and_or_b32 v4, v4, s29, v13
	v_lshl_or_b32 v4, v31, 7, v4
	v_cvt_f32_f16_e32 v31, v4
.LBB246_84:                             ;   in Loop: Header=BB246_51 Depth=1
	s_or_b64 exec, exec, s[12:13]
	s_waitcnt vmcnt(0)
	v_pk_mul_f32 v[16:17], v[10:11], v[16:17] op_sel_hi:[0,1]
	v_pk_mul_f32 v[14:15], v[10:11], v[14:15] op_sel_hi:[0,1]
	v_cvt_f16_f32_e32 v4, v17
	v_cvt_f16_f32_e32 v13, v16
	;; [unrolled: 1-line block ×4, first 2 shown]
	v_fma_mixlo_f16 v12, v10, v12, 0
	v_pack_b32_f16 v13, v13, v4
	v_cmp_eq_u32_e32 vcc, s25, v2
	v_pack_b32_f16 v14, v14, v15
	v_perm_b32 v4, v14, v13, s31
	v_perm_b32 v13, v14, v13, s36
	v_fma_mixlo_f16 v14, v10, v29, 0
	v_lshlrev_b32_e32 v14, 16, v14
	v_or_b32_sdwa v12, v14, v12 dst_sel:DWORD dst_unused:UNUSED_PAD src0_sel:DWORD src1_sel:WORD_0
	v_fma_mixlo_f16 v14, v10, v30, 0
	v_fma_mixlo_f16 v10, v10, v31, 0
	v_lshlrev_b32_e32 v10, 16, v10
	v_or_b32_sdwa v10, v10, v14 dst_sel:DWORD dst_unused:UNUSED_PAD src0_sel:DWORD src1_sel:WORD_0
	s_and_saveexec_b64 s[6:7], vcc
	s_cbranch_execz .LBB246_49
; %bb.85:                               ;   in Loop: Header=BB246_51 Depth=1
	v_add_u32_e32 v15, 1, v1
	v_lshrrev_b32_e32 v16, 16, v13
	v_cmp_gt_i32_e32 vcc, s23, v15
	v_lshrrev_b32_e32 v17, 16, v4
	v_lshrrev_b32_e32 v10, 16, v10
	v_cndmask_b32_e32 v15, 0, v16, vcc
	v_cmp_gt_i32_e32 vcc, s33, v1
	v_or_b32_e32 v16, 2, v1
	s_nop 0
	v_cndmask_b32_e32 v13, 0, v13, vcc
	v_perm_b32 v13, v15, v13, s38
	v_or_b32_e32 v15, 3, v1
	v_cmp_gt_i32_e32 vcc, s23, v15
	s_nop 1
	v_cndmask_b32_e32 v15, 0, v17, vcc
	v_cmp_gt_i32_e32 vcc, s33, v16
	v_or_b32_e32 v16, 4, v1
	v_lshrrev_b32_e32 v17, 16, v12
	v_cndmask_b32_e32 v4, 0, v4, vcc
	v_perm_b32 v4, v15, v4, s38
	v_or_b32_e32 v15, 5, v1
	v_cmp_gt_i32_e32 vcc, s23, v15
	s_nop 1
	v_cndmask_b32_e32 v15, 0, v17, vcc
	v_cmp_gt_i32_e32 vcc, s33, v16
	v_or_b32_e32 v16, 6, v1
	s_nop 0
	v_cndmask_b32_e32 v12, 0, v12, vcc
	v_perm_b32 v12, v15, v12, s38
	v_or_b32_e32 v15, 7, v1
	v_cmp_gt_i32_e32 vcc, s23, v15
	s_nop 1
	v_cndmask_b32_e32 v10, 0, v10, vcc
	v_cmp_gt_i32_e32 vcc, s33, v16
	s_nop 1
	v_cndmask_b32_e32 v14, 0, v14, vcc
	v_perm_b32 v10, v10, v14, s38
	s_branch .LBB246_49
.LBB246_86:                             ;   in Loop: Header=BB246_51 Depth=1
	v_cmp_eq_u16_sdwa s[40:41], v12, s28 src0_sel:BYTE_0 src1_sel:DWORD
	s_mov_b64 s[6:7], -1
                                        ; implicit-def: $sgpr39
	s_and_saveexec_b64 s[16:17], s[40:41]
; %bb.87:                               ;   in Loop: Header=BB246_51 Depth=1
	s_mov_b32 s39, 0x7fc02000
	s_xor_b64 s[6:7], exec, -1
; %bb.88:                               ;   in Loop: Header=BB246_51 Depth=1
	s_or_b64 exec, exec, s[16:17]
	s_and_b64 s[6:7], s[6:7], exec
	s_or_saveexec_b64 s[12:13], s[12:13]
	v_mov_b32_e32 v14, s39
	s_xor_b64 exec, exec, s[12:13]
	s_cbranch_execz .LBB246_54
.LBB246_89:                             ;   in Loop: Header=BB246_51 Depth=1
	v_cmp_ne_u16_sdwa s[16:17], v12, v5 src0_sel:BYTE_0 src1_sel:DWORD
	s_andn2_b64 s[6:7], s[6:7], exec
	s_and_b64 s[16:17], s[16:17], exec
	v_mov_b32_e32 v14, 0
	s_or_b64 s[6:7], s[6:7], s[16:17]
	s_or_b64 exec, exec, s[12:13]
	s_and_saveexec_b64 s[12:13], s[6:7]
	s_cbranch_execnz .LBB246_55
	s_branch .LBB246_56
.LBB246_90:                             ;   in Loop: Header=BB246_51 Depth=1
	v_cmp_eq_u16_e32 vcc, s28, v4
	s_mov_b64 s[6:7], -1
                                        ; implicit-def: $sgpr39
	s_and_saveexec_b64 s[16:17], vcc
; %bb.91:                               ;   in Loop: Header=BB246_51 Depth=1
	s_mov_b32 s39, 0x7fc02000
	s_xor_b64 s[6:7], exec, -1
; %bb.92:                               ;   in Loop: Header=BB246_51 Depth=1
	s_or_b64 exec, exec, s[16:17]
	s_and_b64 s[6:7], s[6:7], exec
	s_or_saveexec_b64 s[12:13], s[12:13]
	v_mov_b32_e32 v16, s39
	s_xor_b64 exec, exec, s[12:13]
	s_cbranch_execz .LBB246_58
.LBB246_93:                             ;   in Loop: Header=BB246_51 Depth=1
	v_cmp_ne_u16_e32 vcc, 0, v4
	s_andn2_b64 s[6:7], s[6:7], exec
	s_and_b64 s[16:17], vcc, exec
	v_mov_b32_e32 v16, 0
	s_or_b64 s[6:7], s[6:7], s[16:17]
	s_or_b64 exec, exec, s[12:13]
	s_and_saveexec_b64 s[12:13], s[6:7]
	s_cbranch_execnz .LBB246_59
	s_branch .LBB246_60
.LBB246_94:                             ;   in Loop: Header=BB246_51 Depth=1
	v_cmp_eq_u16_sdwa s[40:41], v4, s28 src0_sel:BYTE_0 src1_sel:DWORD
	s_mov_b64 s[6:7], -1
                                        ; implicit-def: $sgpr39
	s_and_saveexec_b64 s[16:17], s[40:41]
; %bb.95:                               ;   in Loop: Header=BB246_51 Depth=1
	s_mov_b32 s39, 0x7fc02000
	s_xor_b64 s[6:7], exec, -1
; %bb.96:                               ;   in Loop: Header=BB246_51 Depth=1
	s_or_b64 exec, exec, s[16:17]
	s_and_b64 s[6:7], s[6:7], exec
	s_or_saveexec_b64 s[12:13], s[12:13]
	v_mov_b32_e32 v15, s39
	s_xor_b64 exec, exec, s[12:13]
	s_cbranch_execz .LBB246_62
.LBB246_97:                             ;   in Loop: Header=BB246_51 Depth=1
	v_cmp_ne_u16_sdwa s[16:17], v4, v5 src0_sel:BYTE_0 src1_sel:DWORD
	s_andn2_b64 s[6:7], s[6:7], exec
	s_and_b64 s[16:17], s[16:17], exec
	v_mov_b32_e32 v15, 0
	s_or_b64 s[6:7], s[6:7], s[16:17]
	s_or_b64 exec, exec, s[12:13]
	s_and_saveexec_b64 s[12:13], s[6:7]
	s_cbranch_execnz .LBB246_63
	s_branch .LBB246_64
.LBB246_98:                             ;   in Loop: Header=BB246_51 Depth=1
	v_cmp_eq_u16_e32 vcc, s28, v4
	s_mov_b64 s[6:7], -1
                                        ; implicit-def: $sgpr39
	s_and_saveexec_b64 s[16:17], vcc
; %bb.99:                               ;   in Loop: Header=BB246_51 Depth=1
	s_mov_b32 s39, 0x7fc02000
	s_xor_b64 s[6:7], exec, -1
; %bb.100:                              ;   in Loop: Header=BB246_51 Depth=1
	s_or_b64 exec, exec, s[16:17]
	s_and_b64 s[6:7], s[6:7], exec
	s_or_saveexec_b64 s[12:13], s[12:13]
	v_mov_b32_e32 v17, s39
	s_xor_b64 exec, exec, s[12:13]
	s_cbranch_execz .LBB246_66
.LBB246_101:                            ;   in Loop: Header=BB246_51 Depth=1
	v_cmp_ne_u16_e32 vcc, 0, v4
	s_andn2_b64 s[6:7], s[6:7], exec
	s_and_b64 s[16:17], vcc, exec
	v_mov_b32_e32 v17, 0
	s_or_b64 s[6:7], s[6:7], s[16:17]
	s_or_b64 exec, exec, s[12:13]
	s_and_saveexec_b64 s[12:13], s[6:7]
	s_cbranch_execnz .LBB246_67
	s_branch .LBB246_68
.LBB246_102:                            ;   in Loop: Header=BB246_51 Depth=1
	v_cmp_eq_u16_sdwa s[40:41], v13, s28 src0_sel:BYTE_0 src1_sel:DWORD
	s_mov_b64 s[6:7], -1
                                        ; implicit-def: $sgpr39
	s_and_saveexec_b64 s[16:17], s[40:41]
; %bb.103:                              ;   in Loop: Header=BB246_51 Depth=1
	s_mov_b32 s39, 0x7fc02000
	s_xor_b64 s[6:7], exec, -1
; %bb.104:                              ;   in Loop: Header=BB246_51 Depth=1
	s_or_b64 exec, exec, s[16:17]
	s_and_b64 s[6:7], s[6:7], exec
	s_or_saveexec_b64 s[12:13], s[12:13]
	v_mov_b32_e32 v12, s39
	s_xor_b64 exec, exec, s[12:13]
	s_cbranch_execz .LBB246_70
.LBB246_105:                            ;   in Loop: Header=BB246_51 Depth=1
	v_cmp_ne_u16_sdwa s[16:17], v13, v5 src0_sel:BYTE_0 src1_sel:DWORD
	s_andn2_b64 s[6:7], s[6:7], exec
	s_and_b64 s[16:17], s[16:17], exec
	v_mov_b32_e32 v12, 0
	s_or_b64 s[6:7], s[6:7], s[16:17]
	s_or_b64 exec, exec, s[12:13]
	v_mov_b32_e32 v4, v13
	s_and_saveexec_b64 s[12:13], s[6:7]
	s_cbranch_execnz .LBB246_71
	s_branch .LBB246_72
.LBB246_106:                            ;   in Loop: Header=BB246_51 Depth=1
	v_cmp_eq_u16_e32 vcc, s28, v4
	s_mov_b64 s[6:7], -1
                                        ; implicit-def: $sgpr39
	s_and_saveexec_b64 s[16:17], vcc
; %bb.107:                              ;   in Loop: Header=BB246_51 Depth=1
	s_mov_b32 s39, 0x7fc02000
	s_xor_b64 s[6:7], exec, -1
; %bb.108:                              ;   in Loop: Header=BB246_51 Depth=1
	s_or_b64 exec, exec, s[16:17]
	s_and_b64 s[6:7], s[6:7], exec
	s_or_saveexec_b64 s[12:13], s[12:13]
	v_mov_b32_e32 v29, s39
	s_xor_b64 exec, exec, s[12:13]
	s_cbranch_execz .LBB246_74
.LBB246_109:                            ;   in Loop: Header=BB246_51 Depth=1
	v_cmp_ne_u16_e32 vcc, 0, v4
	s_andn2_b64 s[6:7], s[6:7], exec
	s_and_b64 s[16:17], vcc, exec
	v_mov_b32_e32 v29, 0
	s_or_b64 s[6:7], s[6:7], s[16:17]
	s_or_b64 exec, exec, s[12:13]
	s_and_saveexec_b64 s[12:13], s[6:7]
	s_cbranch_execnz .LBB246_75
	s_branch .LBB246_76
.LBB246_110:                            ;   in Loop: Header=BB246_51 Depth=1
	v_cmp_eq_u16_sdwa s[40:41], v4, s28 src0_sel:BYTE_0 src1_sel:DWORD
	s_mov_b64 s[6:7], -1
                                        ; implicit-def: $sgpr39
	s_and_saveexec_b64 s[16:17], s[40:41]
; %bb.111:                              ;   in Loop: Header=BB246_51 Depth=1
	s_mov_b32 s39, 0x7fc02000
	s_xor_b64 s[6:7], exec, -1
; %bb.112:                              ;   in Loop: Header=BB246_51 Depth=1
	s_or_b64 exec, exec, s[16:17]
	s_and_b64 s[6:7], s[6:7], exec
	s_or_saveexec_b64 s[12:13], s[12:13]
	v_mov_b32_e32 v30, s39
	s_xor_b64 exec, exec, s[12:13]
	s_cbranch_execz .LBB246_78
.LBB246_113:                            ;   in Loop: Header=BB246_51 Depth=1
	v_cmp_ne_u16_sdwa s[16:17], v4, v5 src0_sel:BYTE_0 src1_sel:DWORD
	s_andn2_b64 s[6:7], s[6:7], exec
	s_and_b64 s[16:17], s[16:17], exec
	v_mov_b32_e32 v30, 0
	s_or_b64 s[6:7], s[6:7], s[16:17]
	s_or_b64 exec, exec, s[12:13]
	s_and_saveexec_b64 s[12:13], s[6:7]
	s_cbranch_execnz .LBB246_79
	s_branch .LBB246_80
.LBB246_114:                            ;   in Loop: Header=BB246_51 Depth=1
	v_cmp_eq_u16_e32 vcc, s28, v4
	s_mov_b64 s[6:7], -1
                                        ; implicit-def: $sgpr39
	s_and_saveexec_b64 s[16:17], vcc
; %bb.115:                              ;   in Loop: Header=BB246_51 Depth=1
	s_mov_b32 s39, 0x7fc02000
	s_xor_b64 s[6:7], exec, -1
; %bb.116:                              ;   in Loop: Header=BB246_51 Depth=1
	s_or_b64 exec, exec, s[16:17]
	s_and_b64 s[6:7], s[6:7], exec
	s_or_saveexec_b64 s[12:13], s[12:13]
	v_mov_b32_e32 v31, s39
	s_xor_b64 exec, exec, s[12:13]
	s_cbranch_execz .LBB246_82
.LBB246_117:                            ;   in Loop: Header=BB246_51 Depth=1
	v_cmp_ne_u16_e32 vcc, 0, v4
	s_andn2_b64 s[6:7], s[6:7], exec
	s_and_b64 s[16:17], vcc, exec
	v_mov_b32_e32 v31, 0
	s_or_b64 s[6:7], s[6:7], s[16:17]
	s_or_b64 exec, exec, s[12:13]
	s_and_saveexec_b64 s[12:13], s[6:7]
	s_cbranch_execnz .LBB246_83
	s_branch .LBB246_84
.LBB246_118:
	s_or_b64 exec, exec, s[4:5]
.LBB246_119:
	s_or_b64 exec, exec, s[2:3]
	v_and_b32_e32 v0, 0x3c0, v0
	v_cmp_eq_u32_e32 vcc, 64, v0
	s_barrier
	s_and_saveexec_b64 s[0:1], vcc
	s_cbranch_execz .LBB246_121
; %bb.120:
	v_mov_b32_e32 v0, 0x90
	v_lshl_add_u32 v0, v11, 2, v0
	ds_write_b32 v0, v18
.LBB246_121:
	s_or_b64 exec, exec, s[0:1]
	s_waitcnt lgkmcnt(0)
	s_barrier
	s_and_saveexec_b64 s[0:1], s[10:11]
	s_cbranch_execz .LBB246_123
; %bb.122:
	v_mov_b32_e32 v0, 0x90
	v_lshl_add_u32 v0, v11, 2, v0
	ds_read_b32 v0, v0
	s_waitcnt lgkmcnt(0)
	v_add_f32_e32 v18, v18, v0
.LBB246_123:
	s_or_b64 exec, exec, s[0:1]
	s_barrier
	s_and_saveexec_b64 s[0:1], s[10:11]
	s_cbranch_execz .LBB246_125
; %bb.124:
	s_lshl_b32 s0, s8, 6
	s_ashr_i32 s1, s0, 31
	s_lshl_b64 s[0:1], s[0:1], 1
	s_add_u32 s2, s34, s0
	s_mul_i32 s0, s24, s14
	s_addc_u32 s3, s35, s1
	s_ashr_i32 s1, s0, 31
	s_lshl_b64 s[0:1], s[0:1], 1
	s_add_u32 s2, s2, s0
	s_addc_u32 s3, s3, s1
	s_ashr_i32 s21, s20, 31
	s_lshl_b64 s[0:1], s[20:21], 1
	s_add_u32 s0, s2, s0
	s_addc_u32 s1, s3, s1
	v_lshlrev_b32_e32 v0, 1, v11
	;;#ASMSTART
	v_cvt_f16_f32 v1, v18;

	;;#ASMEND
	global_store_short v0, v1, s[0:1]
.LBB246_125:
	s_endpgm
	.section	.rodata,"a",@progbits
	.p2align	6, 0x0
	.amdhsa_kernel _ZN4vllm25paged_attention_v2_kernelIthLi64ELi8ELi128ELNS_18Fp8KVCacheDataTypeE1ELb1ELi512EEEvPfS2_PT_PKS3_PKT0_S9_ifPKiSB_iPKfiiiSD_SD_iiiii
		.amdhsa_group_segment_fixed_size 144
		.amdhsa_private_segment_fixed_size 0
		.amdhsa_kernarg_size 400
		.amdhsa_user_sgpr_count 2
		.amdhsa_user_sgpr_dispatch_ptr 0
		.amdhsa_user_sgpr_queue_ptr 0
		.amdhsa_user_sgpr_kernarg_segment_ptr 1
		.amdhsa_user_sgpr_dispatch_id 0
		.amdhsa_user_sgpr_kernarg_preload_length 0
		.amdhsa_user_sgpr_kernarg_preload_offset 0
		.amdhsa_user_sgpr_private_segment_size 0
		.amdhsa_uses_dynamic_stack 0
		.amdhsa_enable_private_segment 0
		.amdhsa_system_sgpr_workgroup_id_x 1
		.amdhsa_system_sgpr_workgroup_id_y 1
		.amdhsa_system_sgpr_workgroup_id_z 1
		.amdhsa_system_sgpr_workgroup_info 0
		.amdhsa_system_vgpr_workitem_id 0
		.amdhsa_next_free_vgpr 42
		.amdhsa_next_free_sgpr 58
		.amdhsa_accum_offset 44
		.amdhsa_reserve_vcc 1
		.amdhsa_float_round_mode_32 0
		.amdhsa_float_round_mode_16_64 0
		.amdhsa_float_denorm_mode_32 3
		.amdhsa_float_denorm_mode_16_64 3
		.amdhsa_dx10_clamp 1
		.amdhsa_ieee_mode 1
		.amdhsa_fp16_overflow 0
		.amdhsa_tg_split 0
		.amdhsa_exception_fp_ieee_invalid_op 0
		.amdhsa_exception_fp_denorm_src 0
		.amdhsa_exception_fp_ieee_div_zero 0
		.amdhsa_exception_fp_ieee_overflow 0
		.amdhsa_exception_fp_ieee_underflow 0
		.amdhsa_exception_fp_ieee_inexact 0
		.amdhsa_exception_int_div_zero 0
	.end_amdhsa_kernel
	.section	.text._ZN4vllm25paged_attention_v2_kernelIthLi64ELi8ELi128ELNS_18Fp8KVCacheDataTypeE1ELb1ELi512EEEvPfS2_PT_PKS3_PKT0_S9_ifPKiSB_iPKfiiiSD_SD_iiiii,"axG",@progbits,_ZN4vllm25paged_attention_v2_kernelIthLi64ELi8ELi128ELNS_18Fp8KVCacheDataTypeE1ELb1ELi512EEEvPfS2_PT_PKS3_PKT0_S9_ifPKiSB_iPKfiiiSD_SD_iiiii,comdat
.Lfunc_end246:
	.size	_ZN4vllm25paged_attention_v2_kernelIthLi64ELi8ELi128ELNS_18Fp8KVCacheDataTypeE1ELb1ELi512EEEvPfS2_PT_PKS3_PKT0_S9_ifPKiSB_iPKfiiiSD_SD_iiiii, .Lfunc_end246-_ZN4vllm25paged_attention_v2_kernelIthLi64ELi8ELi128ELNS_18Fp8KVCacheDataTypeE1ELb1ELi512EEEvPfS2_PT_PKS3_PKT0_S9_ifPKiSB_iPKfiiiSD_SD_iiiii
                                        ; -- End function
	.section	.AMDGPU.csdata,"",@progbits
; Kernel info:
; codeLenInByte = 6716
; NumSgprs: 64
; NumVgprs: 42
; NumAgprs: 0
; TotalNumVgprs: 42
; ScratchSize: 0
; MemoryBound: 0
; FloatMode: 240
; IeeeMode: 1
; LDSByteSize: 144 bytes/workgroup (compile time only)
; SGPRBlocks: 7
; VGPRBlocks: 5
; NumSGPRsForWavesPerEU: 64
; NumVGPRsForWavesPerEU: 42
; AccumOffset: 44
; Occupancy: 8
; WaveLimiterHint : 1
; COMPUTE_PGM_RSRC2:SCRATCH_EN: 0
; COMPUTE_PGM_RSRC2:USER_SGPR: 2
; COMPUTE_PGM_RSRC2:TRAP_HANDLER: 0
; COMPUTE_PGM_RSRC2:TGID_X_EN: 1
; COMPUTE_PGM_RSRC2:TGID_Y_EN: 1
; COMPUTE_PGM_RSRC2:TGID_Z_EN: 1
; COMPUTE_PGM_RSRC2:TIDIG_COMP_CNT: 0
; COMPUTE_PGM_RSRC3_GFX90A:ACCUM_OFFSET: 10
; COMPUTE_PGM_RSRC3_GFX90A:TG_SPLIT: 0
	.section	.text._ZN4vllm25paged_attention_v2_kernelIthLi80ELi8ELi128ELNS_18Fp8KVCacheDataTypeE1ELb1ELi512EEEvPfS2_PT_PKS3_PKT0_S9_ifPKiSB_iPKfiiiSD_SD_iiiii,"axG",@progbits,_ZN4vllm25paged_attention_v2_kernelIthLi80ELi8ELi128ELNS_18Fp8KVCacheDataTypeE1ELb1ELi512EEEvPfS2_PT_PKS3_PKT0_S9_ifPKiSB_iPKfiiiSD_SD_iiiii,comdat
	.protected	_ZN4vllm25paged_attention_v2_kernelIthLi80ELi8ELi128ELNS_18Fp8KVCacheDataTypeE1ELb1ELi512EEEvPfS2_PT_PKS3_PKT0_S9_ifPKiSB_iPKfiiiSD_SD_iiiii ; -- Begin function _ZN4vllm25paged_attention_v2_kernelIthLi80ELi8ELi128ELNS_18Fp8KVCacheDataTypeE1ELb1ELi512EEEvPfS2_PT_PKS3_PKT0_S9_ifPKiSB_iPKfiiiSD_SD_iiiii
	.globl	_ZN4vllm25paged_attention_v2_kernelIthLi80ELi8ELi128ELNS_18Fp8KVCacheDataTypeE1ELb1ELi512EEEvPfS2_PT_PKS3_PKT0_S9_ifPKiSB_iPKfiiiSD_SD_iiiii
	.p2align	8
	.type	_ZN4vllm25paged_attention_v2_kernelIthLi80ELi8ELi128ELNS_18Fp8KVCacheDataTypeE1ELb1ELi512EEEvPfS2_PT_PKS3_PKT0_S9_ifPKiSB_iPKfiiiSD_SD_iiiii,@function
_ZN4vllm25paged_attention_v2_kernelIthLi80ELi8ELi128ELNS_18Fp8KVCacheDataTypeE1ELb1ELi512EEEvPfS2_PT_PKS3_PKT0_S9_ifPKiSB_iPKfiiiSD_SD_iiiii: ; @_ZN4vllm25paged_attention_v2_kernelIthLi80ELi8ELi128ELNS_18Fp8KVCacheDataTypeE1ELb1ELi512EEEvPfS2_PT_PKS3_PKT0_S9_ifPKiSB_iPKfiiiSD_SD_iiiii
; %bb.0:
	s_load_dwordx2 s[6:7], s[0:1], 0x40
	s_mov_b32 s36, s3
	s_ashr_i32 s37, s3, 31
	s_lshl_b64 s[8:9], s[36:37], 2
	s_waitcnt lgkmcnt(0)
	s_add_u32 s6, s6, s8
	s_addc_u32 s7, s7, s9
	s_load_dword s33, s[6:7], 0x0
	s_lshl_b32 s53, s4, 9
	s_waitcnt lgkmcnt(0)
	s_cmp_ge_i32 s53, s33
	s_cbranch_scc1 .LBB247_197
; %bb.1:
	s_load_dword s5, s[0:1], 0x90
	s_load_dwordx2 s[44:45], s[0:1], 0x30
	s_mov_b32 s54, 0
	s_waitcnt lgkmcnt(0)
	s_abs_i32 s7, s5
	s_abs_i32 s3, s44
	v_cvt_f32_u32_e32 v1, s3
	s_sub_i32 s8, 0, s3
	s_xor_b32 s6, s5, s44
	s_ashr_i32 s6, s6, 31
	v_rcp_iflag_f32_e32 v1, v1
	s_nop 0
	v_mul_f32_e32 v1, 0x4f7ffffe, v1
	v_cvt_u32_f32_e32 v1, v1
	s_nop 0
	v_readfirstlane_b32 s9, v1
	s_mul_i32 s8, s8, s9
	s_mul_hi_u32 s8, s9, s8
	s_add_i32 s9, s9, s8
	s_mul_hi_u32 s8, s7, s9
	s_mul_i32 s9, s8, s3
	s_sub_i32 s7, s7, s9
	s_add_i32 s10, s8, 1
	s_sub_i32 s9, s7, s3
	s_cmp_ge_u32 s7, s3
	s_cselect_b32 s8, s10, s8
	s_cselect_b32 s7, s9, s7
	s_add_i32 s9, s8, 1
	s_cmp_ge_u32 s7, s3
	s_cselect_b32 s3, s9, s8
	s_xor_b32 s3, s3, s6
	s_sub_i32 s10, s3, s6
	s_abs_i32 s8, s10
	v_cvt_f32_u32_e32 v1, s8
	s_load_dwordx2 s[6:7], s[0:1], 0x50
	s_sub_i32 s3, 0, s8
	s_abs_i32 s9, s2
	v_rcp_iflag_f32_e32 v1, v1
	s_nop 0
	v_mul_f32_e32 v1, 0x4f7ffffe, v1
	v_cvt_u32_f32_e32 v1, v1
	s_nop 0
	v_readfirstlane_b32 s11, v1
	s_mul_i32 s3, s3, s11
	s_mul_hi_u32 s3, s11, s3
	s_add_i32 s11, s11, s3
	s_waitcnt lgkmcnt(0)
	s_cmp_eq_u64 s[6:7], 0
	s_mul_hi_u32 s12, s9, s11
	s_cbranch_scc1 .LBB247_3
; %bb.2:
	s_ashr_i32 s3, s2, 31
	s_lshl_b64 s[14:15], s[2:3], 2
	s_add_u32 s6, s6, s14
	s_addc_u32 s7, s7, s15
	s_load_dword s54, s[6:7], 0x0
.LBB247_3:
	s_load_dwordx4 s[20:23], s[0:1], 0x58
	s_movk_i32 s6, 0x50
	s_ashr_i32 s3, s2, 31
	s_ashr_i32 s13, s10, 31
	v_and_b32_e32 v6, 7, v0
	s_mul_i32 s14, s2, 0x50
	v_cmp_gt_u32_e64 s[10:11], s6, v0
	v_lshlrev_b32_e32 v2, 1, v0
	s_and_saveexec_b64 s[6:7], s[10:11]
	s_cbranch_execz .LBB247_5
; %bb.4:
	s_load_dwordx2 s[16:17], s[0:1], 0x18
	s_waitcnt lgkmcnt(0)
	s_mul_i32 s18, s36, s20
	s_ashr_i32 s19, s18, 31
	s_lshl_b64 s[18:19], s[18:19], 1
	v_lshrrev_b32_e32 v3, 2, v0
	s_add_u32 s18, s16, s18
	s_addc_u32 s19, s17, s19
	s_ashr_i32 s15, s14, 31
	s_lshl_b64 s[16:17], s[14:15], 1
	s_add_u32 s16, s18, s16
	s_addc_u32 s17, s19, s17
	global_load_ushort v1, v2, s[16:17]
	v_and_b32_e32 v3, 0xfe, v3
	v_mad_u32_u24 v3, v6, 20, v3
	s_waitcnt vmcnt(0)
	ds_write_b16 v3, v1
.LBB247_5:
	s_or_b64 exec, exec, s[6:7]
	s_mul_i32 s6, s12, s8
	s_sub_i32 s6, s9, s6
	s_xor_b32 s3, s3, s13
	s_add_i32 s7, s12, 1
	s_sub_i32 s9, s6, s8
	s_load_dwordx4 s[24:27], s[0:1], 0x78
	s_cmp_ge_u32 s6, s8
	s_cselect_b32 s7, s7, s12
	s_load_dword s12, s[0:1], 0x88
	s_cselect_b32 s6, s9, s6
	s_add_i32 s9, s7, 1
	s_cmp_ge_u32 s6, s8
	s_cselect_b32 s6, s9, s7
	s_waitcnt lgkmcnt(0)
	s_abs_i32 s37, s27
	v_cvt_f32_u32_e32 v1, s37
	s_xor_b32 s6, s6, s3
	s_sub_i32 s8, s6, s3
	s_sub_i32 s6, 0, s37
	v_rcp_iflag_f32_e32 v1, v1
	s_add_i32 s13, s33, -1
	s_abs_i32 s3, s13
	v_mul_f32_e32 v1, 0x4f7ffffe, v1
	v_cvt_u32_f32_e32 v1, v1
	s_barrier
	v_readfirstlane_b32 s50, v1
	s_mul_i32 s6, s6, s50
	s_mul_hi_u32 s6, s50, s6
	s_add_i32 s50, s50, s6
	s_cmp_lt_i32 s12, 0
	s_mul_hi_u32 s9, s3, s50
	s_cbranch_scc0 .LBB247_7
; %bb.6:
	s_mul_i32 s6, s24, s44
	s_add_i32 s6, s8, s6
	s_mul_i32 s6, s6, s12
	s_sub_i32 s44, 1, s6
	s_mov_b64 s[6:7], 0
	s_branch .LBB247_8
.LBB247_7:
	s_mov_b64 s[6:7], -1
                                        ; implicit-def: $sgpr44
.LBB247_8:
	s_load_dwordx2 s[38:39], s[0:1], 0x38
	s_ashr_i32 s13, s13, 31
	s_andn2_b64 vcc, exec, s[6:7]
	s_ashr_i32 s51, s27, 31
	s_cbranch_vccnz .LBB247_10
; %bb.9:
	s_mul_i32 s6, s5, s24
	s_add_i32 s6, s6, s2
	s_mul_i32 s6, s6, s12
	s_add_i32 s44, s6, 1
.LBB247_10:
	s_load_dwordx2 s[42:43], s[0:1], 0x28
	s_load_dword s6, s[0:1], 0x48
	s_load_dwordx4 s[28:31], s[0:1], 0x0
	s_load_dwordx2 s[34:35], s[0:1], 0x10
	s_load_dword s15, s[0:1], 0x98
	s_load_dwordx4 s[16:19], s[0:1], 0x68
	s_mul_i32 s7, s9, s37
	s_waitcnt lgkmcnt(0)
	s_mul_i32 s40, s36, s6
	s_sub_i32 s3, s3, s7
	s_ashr_i32 s41, s40, 31
	s_xor_b32 s6, s13, s51
	s_add_i32 s7, s9, 1
	s_sub_i32 s12, s3, s37
	s_cmp_ge_u32 s3, s37
	s_cselect_b32 s7, s7, s9
	s_cselect_b32 s3, s12, s3
	s_add_i32 s9, s7, 1
	s_cmp_ge_u32 s3, s37
	s_cselect_b32 s3, s9, s7
	s_xor_b32 s3, s3, s6
	s_sub_i32 s20, s3, s6
	s_add_i32 s3, s33, 7
	s_ashr_i32 s6, s3, 31
	s_lshr_b32 s6, s6, 29
	s_add_i32 s3, s3, s6
	s_lshl_b32 s27, s4, 6
	s_ashr_i32 s3, s3, 3
	s_add_i32 s6, s27, 64
	v_lshrrev_b32_e32 v16, 6, v0
	s_min_i32 s52, s6, s3
	v_or_b32_e32 v4, s27, v16
	v_cmp_gt_i32_e64 s[6:7], s52, v4
	v_mov_b32_e32 v14, 0xff7fffff
	s_mul_i32 s24, s8, s22
	v_ashrrev_i32_e32 v5, 31, v4
	v_lshl_add_u32 v1, v16, 3, s53
	v_mbcnt_lo_u32_b32 v3, -1, 0
	s_and_saveexec_b64 s[22:23], s[6:7]
	s_cbranch_execz .LBB247_20
; %bb.11:
	s_load_dwordx2 s[0:1], s[0:1], 0x20
	s_sub_i32 s55, s20, s25
	s_ashr_i32 s8, s24, 31
	v_bfe_u32 v12, v0, 3, 3
	v_mov_b32_e32 v7, 0
	s_waitcnt lgkmcnt(0)
	s_add_u32 s0, s0, s24
	s_addc_u32 s1, s1, s8
	s_abs_i32 s56, s26
	v_cvt_f32_u32_e32 v8, s56
	v_lshlrev_b32_e32 v14, 2, v12
	v_lshl_or_b32 v14, v16, 5, v14
	v_add_u32_e32 v18, 0xb0, v14
	v_rcp_iflag_f32_e32 v9, v8
	v_lshlrev_b32_e32 v8, 4, v12
	v_subrev_u32_e32 v14, s33, v12
	v_mbcnt_hi_u32_b32 v21, -1, v3
	v_mul_f32_e32 v9, 0x4f7ffffe, v9
	v_cvt_u32_f32_e32 v10, v9
	v_mov_b32_e32 v9, v7
	v_lshl_add_u64 v[8:9], s[0:1], 0, v[8:9]
	s_sub_i32 s0, 0, s56
	v_mul_lo_u32 v11, s0, v10
	s_lshl_b64 s[0:1], s[40:41], 2
	s_add_u32 s0, s38, s0
	v_mul_hi_u32 v11, v10, v11
	s_addc_u32 s1, s39, s1
	v_add_u32_e32 v19, 1, v14
	v_and_b32_e32 v14, 64, v21
	v_cmp_eq_u32_e32 vcc, 0, v6
	s_mov_b32 s57, s21
	v_mul_u32_u24_e32 v13, 20, v6
	v_cmp_neq_f32_e64 s[8:9], s54, 0
	v_add_u32_e32 v15, v10, v11
	v_lshl_add_u64 v[10:11], v[4:5], 2, s[0:1]
	v_lshl_add_u32 v17, v16, 3, s53
	s_mov_b64 s[46:47], 0
	v_mov_b32_e32 v20, 0xff7fffff
	v_add_u32_e32 v22, 64, v14
	v_xor_b32_e32 v23, 4, v21
	v_xor_b32_e32 v24, 2, v21
	;; [unrolled: 1-line block ×3, first 2 shown]
	v_mov_b32_e32 v14, 0xff7fffff
	v_mov_b32_e32 v26, v4
	s_branch .LBB247_14
.LBB247_12:                             ;   in Loop: Header=BB247_14 Depth=1
	s_or_b64 exec, exec, s[48:49]
.LBB247_13:                             ;   in Loop: Header=BB247_14 Depth=1
	s_or_b64 exec, exec, s[12:13]
	v_add_u32_e32 v26, 2, v26
	v_cmp_le_i32_e64 s[0:1], s52, v26
	v_lshl_add_u64 v[10:11], v[10:11], 0, 8
	v_add_u32_e32 v17, 16, v17
	s_or_b64 s[46:47], s[0:1], s[46:47]
	v_add_u32_e32 v18, 64, v18
	s_andn2_b64 exec, exec, s[46:47]
	s_cbranch_execz .LBB247_19
.LBB247_14:                             ; =>This Inner Loop Header: Depth=1
	s_waitcnt lgkmcnt(0)
	v_sub_u32_e32 v28, 0, v17
	v_max_i32_e32 v28, v17, v28
	v_mul_hi_u32 v29, v28, s50
	v_mul_lo_u32 v30, v29, s37
	v_sub_u32_e32 v28, v28, v30
	v_add_u32_e32 v30, 1, v29
	v_cmp_le_u32_e64 s[0:1], s37, v28
	v_ashrrev_i32_e32 v27, 31, v17
	v_xor_b32_e32 v27, s51, v27
	v_cndmask_b32_e64 v29, v29, v30, s[0:1]
	v_subrev_u32_e32 v30, s37, v28
	v_cndmask_b32_e64 v28, v28, v30, s[0:1]
	v_add_u32_e32 v30, 1, v29
	v_cmp_le_u32_e64 s[0:1], s37, v28
	s_nop 1
	v_cndmask_b32_e64 v28, v29, v30, s[0:1]
	v_xor_b32_e32 v28, v28, v27
	v_sub_u32_e32 v27, v28, v27
	v_add_u32_e32 v28, s44, v27
	v_sub_u32_e32 v30, 0, v28
	v_ashrrev_i32_e32 v29, 31, v28
	v_max_i32_e32 v28, v28, v30
	v_mul_hi_u32 v30, v28, v15
	v_mul_lo_u32 v30, v30, s56
	v_sub_u32_e32 v28, v28, v30
	v_subrev_u32_e32 v30, s56, v28
	v_cmp_le_u32_e64 s[0:1], s56, v28
	v_cmp_ge_i32_e64 s[12:13], s55, v27
	s_nop 0
	v_cndmask_b32_e64 v28, v28, v30, s[0:1]
	v_subrev_u32_e32 v30, s56, v28
	v_cmp_le_u32_e64 s[0:1], s56, v28
	s_nop 1
	v_cndmask_b32_e64 v28, v28, v30, s[0:1]
	v_xor_b32_e32 v28, v28, v29
	v_sub_u32_e32 v28, v28, v29
	v_cmp_ne_u32_e64 s[0:1], 0, v28
	s_and_b64 s[0:1], s[0:1], s[12:13]
	s_and_b64 s[48:49], vcc, s[0:1]
	s_and_saveexec_b64 s[12:13], s[48:49]
	s_cbranch_execz .LBB247_16
; %bb.15:                               ;   in Loop: Header=BB247_14 Depth=1
	ds_write_b32 v18, v20
.LBB247_16:                             ;   in Loop: Header=BB247_14 Depth=1
	s_or_b64 exec, exec, s[12:13]
	s_xor_b64 s[0:1], s[0:1], -1
	s_and_saveexec_b64 s[12:13], s[0:1]
	s_cbranch_execz .LBB247_13
; %bb.17:                               ;   in Loop: Header=BB247_14 Depth=1
	global_load_dword v27, v[10:11], off
	s_waitcnt vmcnt(0)
	v_mad_i64_i32 v[28:29], s[0:1], v27, s57, v[8:9]
	v_lshl_add_u64 v[28:29], v[28:29], 0, v[6:7]
	global_load_ubyte v27, v[28:29], off
	global_load_ubyte v30, v[28:29], off offset:8
	global_load_dword v31, v7, s[16:17]
	global_load_ubyte v32, v[28:29], off offset:128
	global_load_ubyte v33, v[28:29], off offset:136
	;; [unrolled: 1-line block ×7, first 2 shown]
	s_nop 0
	global_load_ubyte v28, v[28:29], off offset:520
	ds_read_u16 v29, v13
	s_waitcnt lgkmcnt(0)
	;;#ASMSTART
	v_cvt_f32_f16 v29, v29;
	;;#ASMEND
	v_cmp_lt_i32_e64 s[0:1], v23, v22
	s_waitcnt vmcnt(10)
	v_cvt_f32_fp8_sdwa v27, v27 src0_sel:BYTE_0
	s_waitcnt vmcnt(9)
	v_cvt_f32_fp8_sdwa v30, v30 src0_sel:BYTE_0
	v_cndmask_b32_e64 v39, v21, v23, s[0:1]
	s_waitcnt vmcnt(7)
	v_cvt_f32_fp8_sdwa v32, v32 src0_sel:BYTE_0
	v_fma_mixlo_f16 v27, v31, v27, 0
	v_and_b32_e32 v27, 0xffff, v27
	v_fma_mixlo_f16 v30, v31, v30, 0
	s_waitcnt vmcnt(6)
	v_cvt_f32_fp8_sdwa v33, v33 src0_sel:BYTE_0
	;;#ASMSTART
	v_cvt_f32_f16 v27, v27;
	;;#ASMEND
	ds_read_u16 v40, v13 offset:2
	v_and_b32_e32 v30, 0xffff, v30
	s_waitcnt vmcnt(5)
	v_cvt_f32_fp8_sdwa v34, v34 src0_sel:BYTE_0
	s_waitcnt lgkmcnt(0)
	;;#ASMSTART
	v_cvt_f32_f16 v40, v40;
	;;#ASMEND
	;;#ASMSTART
	v_cvt_f32_f16 v30, v30;
	;;#ASMEND
	s_waitcnt vmcnt(4)
	v_cvt_f32_fp8_sdwa v35, v35 src0_sel:BYTE_0
	v_fma_mixlo_f16 v32, v31, v32, 0
	s_waitcnt vmcnt(3)
	v_cvt_f32_fp8_sdwa v36, v36 src0_sel:BYTE_0
	v_mul_f32_e32 v30, v40, v30
	ds_read_u16 v41, v13 offset:4
	v_and_b32_e32 v32, 0xffff, v32
	v_fma_mixlo_f16 v33, v31, v33, 0
	s_waitcnt vmcnt(2)
	v_cvt_f32_fp8_sdwa v37, v37 src0_sel:BYTE_0
	s_waitcnt vmcnt(1)
	v_cvt_f32_fp8_sdwa v38, v38 src0_sel:BYTE_0
	;; [unrolled: 2-line block ×3, first 2 shown]
	v_fmac_f32_e32 v30, v29, v27
	s_waitcnt lgkmcnt(0)
	;;#ASMSTART
	v_cvt_f32_f16 v41, v41;
	;;#ASMEND
	;;#ASMSTART
	v_cvt_f32_f16 v32, v32;
	;;#ASMEND
	ds_read_u16 v42, v13 offset:6
	v_and_b32_e32 v33, 0xffff, v33
	v_fma_mixlo_f16 v34, v31, v34, 0
	v_fmac_f32_e32 v30, v41, v32
	s_waitcnt lgkmcnt(0)
	;;#ASMSTART
	v_cvt_f32_f16 v42, v42;
	;;#ASMEND
	;;#ASMSTART
	v_cvt_f32_f16 v33, v33;
	;;#ASMEND
	ds_read_u16 v43, v13 offset:8
	v_and_b32_e32 v34, 0xffff, v34
	v_fma_mixlo_f16 v35, v31, v35, 0
	v_fmac_f32_e32 v30, v42, v33
	s_waitcnt lgkmcnt(0)
	;;#ASMSTART
	v_cvt_f32_f16 v43, v43;
	;;#ASMEND
	;;#ASMSTART
	v_cvt_f32_f16 v34, v34;
	;;#ASMEND
	ds_read_u16 v44, v13 offset:10
	v_fma_mixlo_f16 v36, v31, v36, 0
	v_and_b32_e32 v35, 0xffff, v35
	v_fmac_f32_e32 v30, v43, v34
	s_waitcnt lgkmcnt(0)
	;;#ASMSTART
	v_cvt_f32_f16 v44, v44;
	;;#ASMEND
	;;#ASMSTART
	v_cvt_f32_f16 v35, v35;
	;;#ASMEND
	v_fma_mixlo_f16 v37, v31, v37, 0
	v_fma_mixlo_f16 v38, v31, v38, 0
	;; [unrolled: 1-line block ×3, first 2 shown]
	v_and_b32_e32 v31, 0xffff, v36
	v_fmac_f32_e32 v30, v44, v35
	ds_read_u16 v45, v13 offset:12
	s_waitcnt lgkmcnt(0)
	;;#ASMSTART
	v_cvt_f32_f16 v36, v45;
	;;#ASMEND
	;;#ASMSTART
	v_cvt_f32_f16 v31, v31;
	;;#ASMEND
	v_and_b32_e32 v37, 0xffff, v37
	v_fmac_f32_e32 v30, v36, v31
	ds_read_u16 v45, v13 offset:14
	s_waitcnt lgkmcnt(0)
	;;#ASMSTART
	v_cvt_f32_f16 v40, v45;
	;;#ASMEND
	;;#ASMSTART
	v_cvt_f32_f16 v37, v37;
	;;#ASMEND
	v_and_b32_e32 v38, 0xffff, v38
	v_fmac_f32_e32 v30, v40, v37
	v_and_b32_e32 v28, 0xffff, v28
	ds_read_u16 v45, v13 offset:16
	s_waitcnt lgkmcnt(0)
	;;#ASMSTART
	v_cvt_f32_f16 v27, v45;
	;;#ASMEND
	;;#ASMSTART
	v_cvt_f32_f16 v29, v38;
	;;#ASMEND
	v_lshlrev_b32_e32 v39, 2, v39
	v_fmac_f32_e32 v30, v27, v29
	ds_read_u16 v32, v13 offset:18
	s_waitcnt lgkmcnt(0)
	;;#ASMSTART
	v_cvt_f32_f16 v27, v32;
	;;#ASMEND
	;;#ASMSTART
	v_cvt_f32_f16 v28, v28;
	;;#ASMEND
	v_cmp_lt_i32_e64 s[0:1], v24, v22
	v_fmac_f32_e32 v30, v27, v28
	ds_bpermute_b32 v27, v39, v30
	v_cndmask_b32_e64 v28, v21, v24, s[0:1]
	v_lshlrev_b32_e32 v28, 2, v28
	v_cmp_lt_i32_e64 s[0:1], v25, v22
	s_waitcnt lgkmcnt(0)
	v_add_f32_e32 v27, v30, v27
	ds_bpermute_b32 v28, v28, v27
	v_cndmask_b32_e64 v29, v21, v25, s[0:1]
	s_waitcnt lgkmcnt(0)
	v_add_f32_e32 v27, v27, v28
	v_lshlrev_b32_e32 v28, 2, v29
	ds_bpermute_b32 v28, v28, v27
	s_and_saveexec_b64 s[48:49], vcc
	s_cbranch_execz .LBB247_12
; %bb.18:                               ;   in Loop: Header=BB247_14 Depth=1
	v_add_u32_e32 v29, v19, v17
	v_cvt_f32_i32_e32 v29, v29
	s_waitcnt lgkmcnt(0)
	v_add_f32_e32 v27, v27, v28
	v_add_u32_e32 v30, v12, v17
	v_cmp_gt_i32_e64 s[0:1], s33, v30
	v_mul_f32_e32 v28, s54, v29
	v_cndmask_b32_e64 v28, 0, v28, s[8:9]
	v_fmac_f32_e32 v28, s45, v27
	v_cndmask_b32_e64 v27, 0, v28, s[0:1]
	ds_write_b32 v18, v27
	v_max_f32_e32 v27, v14, v14
	v_max_f32_e32 v27, v27, v28
	v_cndmask_b32_e64 v14, v14, v27, s[0:1]
	s_branch .LBB247_12
.LBB247_19:
	s_or_b64 exec, exec, s[46:47]
.LBB247_20:
	s_or_b64 exec, exec, s[22:23]
	v_mbcnt_hi_u32_b32 v6, -1, v3
	v_and_b32_e32 v3, 64, v6
	v_add_u32_e32 v7, 64, v3
	v_xor_b32_e32 v3, 32, v6
	v_cmp_lt_i32_e32 vcc, v3, v7
	v_xor_b32_e32 v9, 16, v6
	v_max_f32_e32 v8, v14, v14
	v_cndmask_b32_e32 v3, v6, v3, vcc
	v_lshlrev_b32_e32 v10, 2, v3
	ds_bpermute_b32 v3, v10, v14
	v_cmp_lt_i32_e32 vcc, v9, v7
	s_waitcnt lgkmcnt(0)
	v_max_f32_e32 v3, v3, v3
	v_max_f32_e32 v3, v8, v3
	v_cndmask_b32_e32 v8, v6, v9, vcc
	v_lshlrev_b32_e32 v12, 2, v8
	ds_bpermute_b32 v8, v12, v3
	v_xor_b32_e32 v9, 8, v6
	v_cmp_lt_i32_e32 vcc, v9, v7
	s_waitcnt lgkmcnt(0)
	v_max_f32_e32 v8, v8, v8
	v_max_f32_e32 v8, v3, v8
	v_cndmask_b32_e32 v3, v6, v9, vcc
	v_lshlrev_b32_e32 v13, 2, v3
	ds_bpermute_b32 v11, v13, v8
	v_and_b32_e32 v3, 63, v0
	v_cmp_eq_u32_e32 vcc, 0, v3
	v_lshlrev_b32_e32 v9, 2, v16
	s_and_saveexec_b64 s[0:1], vcc
	s_cbranch_execz .LBB247_22
; %bb.21:
	s_waitcnt lgkmcnt(0)
	v_max_f32_e32 v11, v11, v11
	v_max_f32_e32 v8, v8, v8
	;; [unrolled: 1-line block ×3, first 2 shown]
	ds_write_b32 v9, v8 offset:160
.LBB247_22:
	s_or_b64 exec, exec, s[0:1]
	v_cmp_gt_u32_e64 s[0:1], 2, v3
	v_mov_b32_e32 v8, 0xff7fffff
	s_waitcnt lgkmcnt(0)
	v_lshlrev_b32_e32 v11, 2, v3
	s_barrier
	s_and_saveexec_b64 s[8:9], s[0:1]
	s_cbranch_execz .LBB247_24
; %bb.23:
	ds_read_b32 v8, v11 offset:160
.LBB247_24:
	s_or_b64 exec, exec, s[8:9]
	v_xor_b32_e32 v14, 1, v6
	v_cmp_lt_i32_e64 s[8:9], v14, v7
	v_mov_b32_e32 v17, 0
	s_nop 0
	v_cndmask_b32_e64 v14, v6, v14, s[8:9]
	v_lshlrev_b32_e32 v14, 2, v14
	s_waitcnt lgkmcnt(0)
	ds_bpermute_b32 v15, v14, v8
	v_max_f32_e32 v8, v8, v8
	s_sub_i32 s8, s52, s27
	s_lshl_b32 s8, s8, 3
	s_add_i32 s8, s8, s53
	s_waitcnt lgkmcnt(0)
	v_max_f32_e32 v15, v15, v15
	v_max_f32_e32 v8, v8, v15
	v_lshlrev_b32_e32 v15, 2, v6
	v_and_b32_e32 v15, 0x100, v15
	ds_bpermute_b32 v8, v15, v8
	s_min_i32 s45, s8, s33
	s_sub_i32 s27, s45, s53
	v_cmp_gt_i32_e64 s[8:9], s27, v0
	s_and_saveexec_b64 s[16:17], s[8:9]
	s_cbranch_execz .LBB247_28
; %bb.25:
	v_mov_b32_e32 v17, 0xb0
	v_lshl_add_u32 v18, v0, 2, v17
	s_mov_b64 s[22:23], 0
	v_mov_b32_e32 v17, 0
	v_mov_b32_e32 v19, v0
.LBB247_26:                             ; =>This Inner Loop Header: Depth=1
	ds_read_b32 v20, v18
	v_add_u32_e32 v19, 0x80, v19
	v_cmp_le_i32_e64 s[12:13], s27, v19
	s_or_b64 s[22:23], s[12:13], s[22:23]
	s_waitcnt lgkmcnt(0)
	v_sub_f32_e32 v20, v20, v8
	v_mul_f32_e32 v20, 0x3fb8aa3b, v20
	v_exp_f32_e32 v20, v20
	ds_write_b32 v18, v20
	v_add_f32_e32 v17, v17, v20
	v_add_u32_e32 v18, 0x200, v18
	s_andn2_b64 exec, exec, s[22:23]
	s_cbranch_execnz .LBB247_26
; %bb.27:
	s_or_b64 exec, exec, s[22:23]
.LBB247_28:
	s_or_b64 exec, exec, s[16:17]
	ds_bpermute_b32 v10, v10, v17
	s_waitcnt lgkmcnt(0)
	v_add_f32_e32 v10, v17, v10
	ds_bpermute_b32 v12, v12, v10
	s_waitcnt lgkmcnt(0)
	v_add_f32_e32 v10, v10, v12
	ds_bpermute_b32 v12, v13, v10
	v_xor_b32_e32 v13, 4, v6
	v_cmp_lt_i32_e64 s[12:13], v13, v7
	s_waitcnt lgkmcnt(0)
	v_add_f32_e32 v10, v10, v12
	v_cndmask_b32_e64 v13, v6, v13, s[12:13]
	v_lshlrev_b32_e32 v13, 2, v13
	ds_bpermute_b32 v12, v13, v10
	v_xor_b32_e32 v13, 2, v6
	v_cmp_lt_i32_e64 s[12:13], v13, v7
	s_waitcnt lgkmcnt(0)
	v_add_f32_e32 v7, v10, v12
	v_cndmask_b32_e64 v6, v6, v13, s[12:13]
	v_lshlrev_b32_e32 v6, 2, v6
	ds_bpermute_b32 v6, v6, v7
	s_waitcnt lgkmcnt(0)
	v_add_f32_e32 v6, v7, v6
	ds_bpermute_b32 v7, v14, v6
	s_waitcnt lgkmcnt(0)
	v_add_f32_e32 v6, v6, v7
	s_and_saveexec_b64 s[12:13], vcc
	s_cbranch_execz .LBB247_30
; %bb.29:
	ds_write_b32 v9, v6 offset:168
.LBB247_30:
	s_or_b64 exec, exec, s[12:13]
	s_waitcnt lgkmcnt(0)
	s_barrier
	s_and_saveexec_b64 s[12:13], s[0:1]
	s_cbranch_execz .LBB247_32
; %bb.31:
	ds_read_b32 v6, v11 offset:168
.LBB247_32:
	s_or_b64 exec, exec, s[12:13]
	s_waitcnt lgkmcnt(0)
	ds_bpermute_b32 v7, v14, v6
	s_waitcnt lgkmcnt(0)
	v_add_f32_e32 v6, v6, v7
	ds_bpermute_b32 v9, v15, v6
	s_and_saveexec_b64 s[0:1], s[8:9]
	s_cbranch_execz .LBB247_45
; %bb.33:
	s_waitcnt lgkmcnt(0)
	v_add_f32_e32 v6, 0x358637bd, v9
	v_div_scale_f32 v7, s[8:9], v6, v6, 1.0
	v_rcp_f32_e32 v10, v7
	v_div_scale_f32 v11, vcc, 1.0, v6, 1.0
	s_movk_i32 s8, 0x7f
	v_fma_f32 v12, -v7, v10, 1.0
	v_fmac_f32_e32 v10, v12, v10
	v_mul_f32_e32 v12, v11, v10
	v_fma_f32 v13, -v7, v12, v11
	v_fmac_f32_e32 v12, v13, v10
	v_fma_f32 v7, -v7, v12, v11
	v_div_fmas_f32 v7, v7, v10, v12
	v_div_fixup_f32 v6, v7, v6, 1.0
	v_xad_u32 v7, v0, -1, s45
	v_subrev_u32_e32 v10, s53, v7
	v_cmp_lt_u32_e32 vcc, s8, v10
	s_mov_b64 s[12:13], -1
	v_mov_b32_e32 v7, v0
	s_and_saveexec_b64 s[8:9], vcc
	s_cbranch_execz .LBB247_42
; %bb.34:
	v_lshrrev_b32_e32 v10, 7, v10
	v_add_u32_e32 v12, -1, v10
	v_lshrrev_b32_e32 v11, 1, v12
	v_mov_b32_e32 v7, v6
	v_add_u32_e32 v11, 1, v11
	v_cmp_lt_u32_e32 vcc, 13, v12
	v_mov_b32_e32 v14, 0
	s_and_saveexec_b64 s[12:13], vcc
	s_cbranch_execz .LBB247_38
; %bb.35:
	v_mov_b32_e32 v13, 0xb0
	v_and_b32_e32 v12, -8, v11
	v_lshl_add_u32 v13, v0, 2, v13
	s_mov_b32 s22, 0
	s_mov_b64 s[16:17], 0
.LBB247_36:                             ; =>This Inner Loop Header: Depth=1
	ds_read2st64_b32 v[14:15], v13 offset1:2
	ds_read2st64_b32 v[18:19], v13 offset0:4 offset1:6
	ds_read2st64_b32 v[20:21], v13 offset0:8 offset1:10
	;; [unrolled: 1-line block ×3, first 2 shown]
	v_add_u32_e32 v12, -8, v12
	s_waitcnt lgkmcnt(3)
	v_pk_mul_f32 v[14:15], v[6:7], v[14:15]
	s_waitcnt lgkmcnt(2)
	v_pk_mul_f32 v[18:19], v[6:7], v[18:19]
	ds_write2st64_b32 v13, v14, v15 offset1:2
	ds_write2st64_b32 v13, v18, v19 offset0:4 offset1:6
	ds_read2st64_b32 v[18:19], v13 offset0:16 offset1:18
	s_waitcnt lgkmcnt(4)
	v_pk_mul_f32 v[14:15], v[6:7], v[20:21]
	ds_write2st64_b32 v13, v14, v15 offset0:8 offset1:10
	s_waitcnt lgkmcnt(4)
	v_pk_mul_f32 v[14:15], v[6:7], v[22:23]
	ds_write2st64_b32 v13, v14, v15 offset0:12 offset1:14
	ds_read2st64_b32 v[14:15], v13 offset0:20 offset1:22
	s_waitcnt lgkmcnt(3)
	v_pk_mul_f32 v[18:19], v[6:7], v[18:19]
	ds_read2st64_b32 v[20:21], v13 offset0:24 offset1:26
	ds_write2st64_b32 v13, v18, v19 offset0:16 offset1:18
	ds_read2st64_b32 v[18:19], v13 offset0:28 offset1:30
	s_waitcnt lgkmcnt(3)
	v_pk_mul_f32 v[14:15], v[6:7], v[14:15]
	ds_write2st64_b32 v13, v14, v15 offset0:20 offset1:22
	s_waitcnt lgkmcnt(3)
	v_pk_mul_f32 v[14:15], v[6:7], v[20:21]
	ds_write2st64_b32 v13, v14, v15 offset0:24 offset1:26
	s_waitcnt lgkmcnt(2)
	v_pk_mul_f32 v[14:15], v[6:7], v[18:19]
	s_add_i32 s22, s22, 16
	v_cmp_eq_u32_e32 vcc, 0, v12
	ds_write2st64_b32 v13, v14, v15 offset0:28 offset1:30
	v_add_u32_e32 v13, 0x2000, v13
	s_or_b64 s[16:17], vcc, s[16:17]
	v_mov_b32_e32 v14, s22
	s_andn2_b64 exec, exec, s[16:17]
	s_cbranch_execnz .LBB247_36
; %bb.37:
	s_or_b64 exec, exec, s[16:17]
.LBB247_38:
	s_or_b64 exec, exec, s[12:13]
	v_and_b32_e32 v11, 7, v11
	v_cmp_ne_u32_e32 vcc, 0, v11
	s_and_saveexec_b64 s[12:13], vcc
	s_cbranch_execz .LBB247_41
; %bb.39:
	v_lshlrev_b32_e32 v12, 9, v14
	v_lshlrev_b32_e32 v13, 2, v0
	s_movk_i32 s16, 0xb0
	v_add3_u32 v12, v12, v13, s16
	s_mov_b64 s[16:17], 0
.LBB247_40:                             ; =>This Inner Loop Header: Depth=1
	ds_read2st64_b32 v[14:15], v12 offset1:2
	v_add_u32_e32 v11, -1, v11
	v_cmp_eq_u32_e32 vcc, 0, v11
	s_or_b64 s[16:17], vcc, s[16:17]
	s_waitcnt lgkmcnt(0)
	v_pk_mul_f32 v[14:15], v[6:7], v[14:15]
	ds_write2st64_b32 v12, v14, v15 offset1:2
	v_add_u32_e32 v12, 0x400, v12
	s_andn2_b64 exec, exec, s[16:17]
	s_cbranch_execnz .LBB247_40
.LBB247_41:
	s_or_b64 exec, exec, s[12:13]
	v_add_u32_e32 v10, 1, v10
	v_and_b32_e32 v11, 0x3fffffe, v10
	v_cmp_ne_u32_e32 vcc, v10, v11
	v_lshl_add_u32 v7, v11, 7, v0
	s_orn2_b64 s[12:13], vcc, exec
.LBB247_42:
	s_or_b64 exec, exec, s[8:9]
	s_and_b64 exec, exec, s[12:13]
	s_cbranch_execz .LBB247_45
; %bb.43:
	v_mov_b32_e32 v10, 0xb0
	v_lshl_add_u32 v10, v7, 2, v10
	s_mov_b64 s[8:9], 0
.LBB247_44:                             ; =>This Inner Loop Header: Depth=1
	ds_read_b32 v11, v10
	v_add_u32_e32 v7, 0x80, v7
	v_cmp_le_i32_e32 vcc, s27, v7
	s_or_b64 s[8:9], vcc, s[8:9]
	s_waitcnt lgkmcnt(0)
	v_mul_f32_e32 v11, v6, v11
	ds_write_b32 v10, v11
	v_add_u32_e32 v10, 0x200, v10
	s_andn2_b64 exec, exec, s[8:9]
	s_cbranch_execnz .LBB247_44
.LBB247_45:
	s_or_b64 exec, exec, s[0:1]
	s_mul_i32 s1, s15, s36
	s_mov_b32 s0, 0
	v_cmp_eq_u32_e32 vcc, 0, v0
	s_mul_i32 s8, s1, s5
	s_waitcnt lgkmcnt(0)
	s_barrier
	s_and_saveexec_b64 s[12:13], vcc
	s_cbranch_execz .LBB247_47
; %bb.46:
	s_ashr_i32 s9, s8, 31
	s_lshl_b64 s[16:17], s[8:9], 2
	s_add_u32 s1, s30, s16
	s_mul_i32 s22, s15, s2
	s_addc_u32 s5, s31, s17
	s_ashr_i32 s23, s22, 31
	s_lshl_b64 s[22:23], s[22:23], 2
	s_add_u32 s1, s1, s22
	s_addc_u32 s2, s5, s23
	s_ashr_i32 s5, s4, 31
	s_lshl_b64 s[30:31], s[4:5], 2
	s_add_u32 s46, s1, s30
	s_addc_u32 s47, s2, s31
	s_add_u32 s1, s28, s16
	s_addc_u32 s2, s29, s17
	;; [unrolled: 2-line block ×3, first 2 shown]
	s_add_u32 s16, s1, s30
	v_mov_b32_e32 v6, 0
	s_addc_u32 s17, s2, s31
	global_store_dword v6, v8, s[46:47]
	global_store_dword v6, v9, s[16:17]
.LBB247_47:
	s_or_b64 exec, exec, s[12:13]
	s_mov_b32 s1, s0
	v_mov_b64_e32 v[6:7], s[0:1]
	s_and_saveexec_b64 s[12:13], s[6:7]
	s_cbranch_execz .LBB247_187
; %bb.48:
	s_sub_i32 s5, s20, s25
	s_ashr_i32 s0, s24, 31
	s_add_u32 s6, s42, s24
	s_addc_u32 s7, s43, s0
	s_abs_i32 s31, s26
	v_cvt_f32_u32_e32 v6, s31
	v_or_b32_e32 v7, 64, v3
	s_movk_i32 s1, 0x50
	s_add_i32 s30, s3, -1
	v_rcp_iflag_f32_e32 v6, v6
	v_cmp_gt_u32_e32 vcc, s1, v7
	s_sub_i32 s1, 0, s31
	s_lshl_b64 s[2:3], s[40:41], 2
	v_mul_f32_e32 v6, 0x4f7ffffe, v6
	v_cvt_u32_f32_e32 v6, v6
	s_add_u32 s2, s38, s2
	s_mov_b32 s0, 0
	v_lshlrev_b32_e32 v12, 3, v7
	v_mul_lo_u32 v7, s1, v6
	s_addc_u32 s3, s39, s3
	v_mov_b32_e32 v11, 0
	v_mul_hi_u32 v7, v6, v7
	v_lshl_add_u64 v[14:15], v[4:5], 2, s[2:3]
	v_mov_b32_e32 v5, 0xb0
	s_mov_b32 s1, s0
	s_mov_b32 s9, s21
	v_lshlrev_b32_e32 v8, 3, v3
	v_mov_b32_e32 v9, v11
	v_mov_b32_e32 v13, v11
	s_mov_b32 s36, s33
	v_add_u32_e32 v26, v6, v7
	v_lshl_add_u32 v5, v16, 5, v5
	s_mov_b64 s[16:17], 0
	v_mov_b64_e32 v[6:7], s[0:1]
	s_movk_i32 s38, 0x7f
	s_movk_i32 s39, 0x80
	s_mov_b32 s40, 0x8000
	s_movk_i32 s41, 0x380
	s_mov_b32 s42, 0x3020706
	s_mov_b32 s43, 0x1000504
	;; [unrolled: 1-line block ×3, first 2 shown]
	v_mov_b32_e32 v27, 0x1c00
	s_branch .LBB247_52
.LBB247_49:                             ;   in Loop: Header=BB247_52 Depth=1
	s_or_b64 exec, exec, s[24:25]
	;;#ASMSTART
	v_pk_mul_f16 v18, v29, v19;

	;;#ASMEND
	;;#ASMSTART
	v_pk_mul_f16 v10, v28, v10;

	;;#ASMEND
	;; [unrolled: 4-line block ×4, first 2 shown]
	s_nop 0
	;;#ASMSTART
	v_pk_add_f16 v10, v18, v10;

	;;#ASMEND
	s_nop 0
	;;#ASMSTART
	v_pk_add_f16 v10, v10, v17;

	;;#ASMEND
	;; [unrolled: 5-line block ×3, first 2 shown]
	s_nop 0
	v_lshrrev_b32_e32 v16, 16, v10
	v_and_b32_e32 v10, 0xffff, v10
	;;#ASMSTART
	v_cvt_f32_f16 v10, v10;
	;;#ASMEND
	;;#ASMSTART
	v_cvt_f32_f16 v16, v16;
	;;#ASMEND
	s_nop 0
	v_add_f32_e32 v10, v10, v16
	v_add_f32_e32 v7, v7, v10
.LBB247_50:                             ;   in Loop: Header=BB247_52 Depth=1
	s_or_b64 exec, exec, s[22:23]
.LBB247_51:                             ;   in Loop: Header=BB247_52 Depth=1
	s_or_b64 exec, exec, s[20:21]
	v_add_u32_e32 v4, 2, v4
	v_cmp_le_i32_e64 s[0:1], s52, v4
	v_lshl_add_u64 v[14:15], v[14:15], 0, 8
	v_add_u32_e32 v1, 16, v1
	s_or_b64 s[16:17], s[0:1], s[16:17]
	v_add_u32_e32 v5, 64, v5
	s_andn2_b64 exec, exec, s[16:17]
	s_cbranch_execz .LBB247_186
.LBB247_52:                             ; =>This Inner Loop Header: Depth=1
	v_sub_u32_e32 v16, 0, v1
	v_max_i32_e32 v16, v1, v16
	v_mul_hi_u32 v17, v16, s50
	v_mul_lo_u32 v18, v17, s37
	v_sub_u32_e32 v16, v16, v18
	v_add_u32_e32 v18, 1, v17
	v_cmp_le_u32_e64 s[0:1], s37, v16
	v_ashrrev_i32_e32 v10, 31, v1
	v_xor_b32_e32 v10, s51, v10
	v_cndmask_b32_e64 v17, v17, v18, s[0:1]
	v_subrev_u32_e32 v18, s37, v16
	v_cndmask_b32_e64 v16, v16, v18, s[0:1]
	v_add_u32_e32 v18, 1, v17
	v_cmp_le_u32_e64 s[0:1], s37, v16
	s_nop 1
	v_cndmask_b32_e64 v16, v17, v18, s[0:1]
	v_xor_b32_e32 v16, v16, v10
	v_sub_u32_e32 v10, v16, v10
	v_add_u32_e32 v16, s44, v10
	v_sub_u32_e32 v18, 0, v16
	v_ashrrev_i32_e32 v17, 31, v16
	v_max_i32_e32 v16, v16, v18
	v_mul_hi_u32 v18, v16, v26
	v_mul_lo_u32 v18, v18, s31
	v_sub_u32_e32 v16, v16, v18
	v_subrev_u32_e32 v18, s31, v16
	v_cmp_le_u32_e64 s[0:1], s31, v16
	v_cmp_lt_i32_e64 s[2:3], s5, v10
	s_nop 0
	v_cndmask_b32_e64 v16, v16, v18, s[0:1]
	v_subrev_u32_e32 v18, s31, v16
	v_cmp_le_u32_e64 s[0:1], s31, v16
	s_nop 1
	v_cndmask_b32_e64 v16, v16, v18, s[0:1]
	v_xor_b32_e32 v16, v16, v17
	v_sub_u32_e32 v16, v16, v17
	v_cmp_eq_u32_e64 s[0:1], 0, v16
	s_or_b64 s[0:1], s[0:1], s[2:3]
	s_and_saveexec_b64 s[20:21], s[0:1]
	s_cbranch_execz .LBB247_51
; %bb.53:                               ;   in Loop: Header=BB247_52 Depth=1
	ds_read2_b64 v[20:23], v5 offset1:1
	ds_read2_b64 v[32:35], v5 offset0:2 offset1:3
	v_mov_b64_e32 v[16:17], s[6:7]
                                        ; implicit-def: $sgpr24
	s_waitcnt lgkmcnt(1)
	;;#ASMSTART
	v_cvt_f16_f32 v19, v20;

	;;#ASMEND
	;;#ASMSTART
	v_cvt_f16_f32 v28, v21;

	;;#ASMEND
	;; [unrolled: 4-line block ×4, first 2 shown]
	s_waitcnt lgkmcnt(0)
	;;#ASMSTART
	v_cvt_f16_f32 v32, v32;

	;;#ASMEND
	;;#ASMSTART
	v_cvt_f16_f32 v33, v33;

	;;#ASMEND
	;; [unrolled: 4-line block ×4, first 2 shown]
	global_load_dword v10, v[14:15], off
	s_waitcnt vmcnt(0)
	v_mad_i64_i32 v[16:17], s[0:1], v10, s9, v[16:17]
	v_lshl_add_u64 v[22:23], v[16:17], 0, v[8:9]
	global_load_dwordx2 v[20:21], v[22:23], off
	global_load_dword v18, v11, s[18:19]
	s_mov_b64 s[0:1], 0
	s_waitcnt vmcnt(1)
	v_cmp_gt_i16_sdwa s[2:3], v20, s38 src0_sel:BYTE_0 src1_sel:DWORD
	s_and_saveexec_b64 s[22:23], s[2:3]
	s_xor_b64 s[2:3], exec, s[22:23]
	s_cbranch_execnz .LBB247_122
; %bb.54:                               ;   in Loop: Header=BB247_52 Depth=1
	s_or_saveexec_b64 s[2:3], s[2:3]
	v_mov_b32_e32 v22, s24
	s_xor_b64 exec, exec, s[2:3]
	s_cbranch_execnz .LBB247_125
.LBB247_55:                             ;   in Loop: Header=BB247_52 Depth=1
	s_or_b64 exec, exec, s[2:3]
	s_and_saveexec_b64 s[2:3], s[0:1]
	s_cbranch_execz .LBB247_57
.LBB247_56:                             ;   in Loop: Header=BB247_52 Depth=1
	v_and_b32_e32 v10, 7, v20
	v_ffbh_u32_e32 v10, v10
	v_bfe_u32 v22, v20, 3, 4
	v_min_u32_e32 v10, 32, v10
	v_subrev_u32_e32 v23, 28, v10
	v_sub_u32_e32 v10, 29, v10
	v_cmp_eq_u32_e64 s[0:1], 0, v22
	s_nop 1
	v_cndmask_b32_e64 v10, v22, v10, s[0:1]
	v_cndmask_b32_e64 v22, 0, v23, s[0:1]
	v_lshlrev_b64 v[22:23], v22, v[20:21]
	v_lshlrev_b32_e32 v23, 8, v20
	v_lshl_add_u32 v10, v10, 10, v27
	v_lshlrev_b32_e32 v22, 7, v22
	v_and_or_b32 v10, v23, s40, v10
	v_and_or_b32 v10, v22, s41, v10
	v_cvt_f32_f16_e32 v22, v10
.LBB247_57:                             ;   in Loop: Header=BB247_52 Depth=1
	s_or_b64 exec, exec, s[2:3]
	v_lshrrev_b16_e32 v10, 8, v20
	v_cmp_lt_i16_e64 s[0:1], s38, v10
	s_mov_b64 s[2:3], 0
                                        ; implicit-def: $sgpr26
	s_and_saveexec_b64 s[22:23], s[0:1]
	s_xor_b64 s[22:23], exec, s[22:23]
	s_cbranch_execnz .LBB247_126
; %bb.58:                               ;   in Loop: Header=BB247_52 Depth=1
	s_or_saveexec_b64 s[22:23], s[22:23]
	v_mov_b32_e32 v24, s26
	s_xor_b64 exec, exec, s[22:23]
	s_cbranch_execnz .LBB247_129
.LBB247_59:                             ;   in Loop: Header=BB247_52 Depth=1
	s_or_b64 exec, exec, s[22:23]
	s_and_saveexec_b64 s[22:23], s[2:3]
	s_cbranch_execz .LBB247_61
.LBB247_60:                             ;   in Loop: Header=BB247_52 Depth=1
	v_and_b32_e32 v23, 7, v10
	v_ffbh_u32_e32 v24, v23
	v_min_u32_e32 v36, 32, v24
	v_subrev_u32_e32 v24, 28, v36
	v_bfe_u32 v29, v10, 3, 4
	v_lshlrev_b64 v[24:25], v24, v[10:11]
	v_sub_u32_e32 v25, 29, v36
	v_cmp_eq_u32_e64 s[0:1], 0, v29
	v_and_b32_e32 v24, 7, v24
	v_lshlrev_b32_e32 v10, 8, v10
	v_cndmask_b32_e64 v25, v29, v25, s[0:1]
	v_cndmask_b32_e64 v23, v23, v24, s[0:1]
	v_lshl_add_u32 v24, v25, 10, v27
	v_and_or_b32 v10, v10, s40, v24
	v_lshl_or_b32 v10, v23, 7, v10
	v_cvt_f32_f16_e32 v24, v10
.LBB247_61:                             ;   in Loop: Header=BB247_52 Depth=1
	s_or_b64 exec, exec, s[22:23]
	v_lshrrev_b32_e32 v10, 16, v20
	v_cmp_gt_i16_sdwa s[2:3], v10, s38 src0_sel:BYTE_0 src1_sel:DWORD
	s_mov_b64 s[0:1], 0
                                        ; implicit-def: $sgpr24
	s_and_saveexec_b64 s[22:23], s[2:3]
	s_xor_b64 s[2:3], exec, s[22:23]
	s_cbranch_execnz .LBB247_130
; %bb.62:                               ;   in Loop: Header=BB247_52 Depth=1
	s_or_saveexec_b64 s[2:3], s[2:3]
	v_mov_b32_e32 v23, s24
	s_xor_b64 exec, exec, s[2:3]
	s_cbranch_execnz .LBB247_133
.LBB247_63:                             ;   in Loop: Header=BB247_52 Depth=1
	s_or_b64 exec, exec, s[2:3]
	s_and_saveexec_b64 s[2:3], s[0:1]
	s_cbranch_execz .LBB247_65
.LBB247_64:                             ;   in Loop: Header=BB247_52 Depth=1
	v_bfe_u32 v23, v20, 16, 3
	v_ffbh_u32_e32 v29, v23
	v_bfe_u32 v25, v20, 19, 4
	v_min_u32_e32 v29, 32, v29
	v_subrev_u32_e32 v36, 28, v29
	v_sub_u32_e32 v29, 29, v29
	v_cmp_eq_u32_e64 s[0:1], 0, v25
	v_lshlrev_b64 v[36:37], v36, v[10:11]
	v_and_b32_e32 v36, 7, v36
	v_cndmask_b32_e64 v25, v25, v29, s[0:1]
	v_lshlrev_b32_e32 v10, 8, v10
	v_lshl_add_u32 v25, v25, 10, v27
	v_cndmask_b32_e64 v23, v23, v36, s[0:1]
	v_and_or_b32 v10, v10, s40, v25
	v_lshl_or_b32 v10, v23, 7, v10
	v_cvt_f32_f16_e32 v23, v10
.LBB247_65:                             ;   in Loop: Header=BB247_52 Depth=1
	s_or_b64 exec, exec, s[2:3]
	v_lshrrev_b32_e32 v10, 24, v20
	v_cmp_lt_i16_e64 s[0:1], s38, v10
	s_mov_b64 s[2:3], 0
                                        ; implicit-def: $sgpr26
	s_and_saveexec_b64 s[22:23], s[0:1]
	s_xor_b64 s[22:23], exec, s[22:23]
	s_cbranch_execnz .LBB247_134
; %bb.66:                               ;   in Loop: Header=BB247_52 Depth=1
	s_or_saveexec_b64 s[22:23], s[22:23]
	v_mov_b32_e32 v25, s26
	s_xor_b64 exec, exec, s[22:23]
	s_cbranch_execnz .LBB247_137
.LBB247_67:                             ;   in Loop: Header=BB247_52 Depth=1
	s_or_b64 exec, exec, s[22:23]
	s_and_saveexec_b64 s[22:23], s[2:3]
	s_cbranch_execz .LBB247_69
.LBB247_68:                             ;   in Loop: Header=BB247_52 Depth=1
	v_bfe_u32 v25, v20, 24, 3
	v_ffbh_u32_e32 v29, v25
	v_bfe_u32 v20, v20, 27, 4
	v_min_u32_e32 v29, 32, v29
	v_subrev_u32_e32 v36, 28, v29
	v_sub_u32_e32 v29, 29, v29
	v_cmp_eq_u32_e64 s[0:1], 0, v20
	v_lshlrev_b64 v[36:37], v36, v[10:11]
	v_and_b32_e32 v36, 7, v36
	v_cndmask_b32_e64 v20, v20, v29, s[0:1]
	v_lshlrev_b32_e32 v10, 8, v10
	v_lshl_add_u32 v20, v20, 10, v27
	v_cndmask_b32_e64 v25, v25, v36, s[0:1]
	v_and_or_b32 v10, v10, s40, v20
	v_lshl_or_b32 v10, v25, 7, v10
	v_cvt_f32_f16_e32 v25, v10
.LBB247_69:                             ;   in Loop: Header=BB247_52 Depth=1
	s_or_b64 exec, exec, s[22:23]
	v_cmp_gt_i16_sdwa s[2:3], v21, s38 src0_sel:BYTE_0 src1_sel:DWORD
	s_mov_b64 s[0:1], 0
                                        ; implicit-def: $sgpr24
	s_and_saveexec_b64 s[22:23], s[2:3]
	s_xor_b64 s[2:3], exec, s[22:23]
	s_cbranch_execnz .LBB247_138
; %bb.70:                               ;   in Loop: Header=BB247_52 Depth=1
	s_or_saveexec_b64 s[2:3], s[2:3]
	v_mov_b32_e32 v20, s24
	s_xor_b64 exec, exec, s[2:3]
	s_cbranch_execnz .LBB247_141
.LBB247_71:                             ;   in Loop: Header=BB247_52 Depth=1
	s_or_b64 exec, exec, s[2:3]
	v_mov_b32_e32 v10, v21
	s_and_saveexec_b64 s[2:3], s[0:1]
	s_cbranch_execz .LBB247_73
.LBB247_72:                             ;   in Loop: Header=BB247_52 Depth=1
	v_and_b32_e32 v20, 7, v21
	v_ffbh_u32_e32 v20, v20
	v_bfe_u32 v29, v21, 3, 4
	v_min_u32_e32 v20, 32, v20
	v_subrev_u32_e32 v36, 28, v20
	v_sub_u32_e32 v20, 29, v20
	v_cmp_eq_u32_e64 s[0:1], 0, v29
	s_nop 1
	v_cndmask_b32_e64 v20, v29, v20, s[0:1]
	v_cndmask_b32_e64 v29, 0, v36, s[0:1]
	v_lshlrev_b64 v[36:37], v29, v[10:11]
	v_lshlrev_b32_e32 v29, 7, v36
	v_lshlrev_b32_e32 v36, 8, v21
	v_lshl_add_u32 v20, v20, 10, v27
	v_and_or_b32 v20, v36, s40, v20
	v_and_or_b32 v20, v29, s41, v20
	v_cvt_f32_f16_e32 v20, v20
.LBB247_73:                             ;   in Loop: Header=BB247_52 Depth=1
	s_or_b64 exec, exec, s[2:3]
	v_lshrrev_b16_e32 v10, 8, v10
	v_cmp_lt_i16_e64 s[0:1], s38, v10
	s_mov_b64 s[2:3], 0
                                        ; implicit-def: $sgpr26
	s_and_saveexec_b64 s[22:23], s[0:1]
	s_xor_b64 s[22:23], exec, s[22:23]
	s_cbranch_execnz .LBB247_142
; %bb.74:                               ;   in Loop: Header=BB247_52 Depth=1
	s_or_saveexec_b64 s[22:23], s[22:23]
	v_mov_b32_e32 v29, s26
	s_xor_b64 exec, exec, s[22:23]
	s_cbranch_execnz .LBB247_145
.LBB247_75:                             ;   in Loop: Header=BB247_52 Depth=1
	s_or_b64 exec, exec, s[22:23]
	s_and_saveexec_b64 s[22:23], s[2:3]
	s_cbranch_execz .LBB247_77
.LBB247_76:                             ;   in Loop: Header=BB247_52 Depth=1
	v_and_b32_e32 v29, 7, v10
	v_ffbh_u32_e32 v36, v29
	v_min_u32_e32 v39, 32, v36
	v_subrev_u32_e32 v36, 28, v39
	v_bfe_u32 v38, v10, 3, 4
	v_lshlrev_b64 v[36:37], v36, v[10:11]
	v_sub_u32_e32 v37, 29, v39
	v_cmp_eq_u32_e64 s[0:1], 0, v38
	v_and_b32_e32 v36, 7, v36
	v_lshlrev_b32_e32 v10, 8, v10
	v_cndmask_b32_e64 v37, v38, v37, s[0:1]
	v_cndmask_b32_e64 v29, v29, v36, s[0:1]
	v_lshl_add_u32 v36, v37, 10, v27
	v_and_or_b32 v10, v10, s40, v36
	v_lshl_or_b32 v10, v29, 7, v10
	v_cvt_f32_f16_e32 v29, v10
.LBB247_77:                             ;   in Loop: Header=BB247_52 Depth=1
	s_or_b64 exec, exec, s[22:23]
	v_lshrrev_b32_e32 v10, 16, v21
	v_cmp_gt_i16_sdwa s[2:3], v10, s38 src0_sel:BYTE_0 src1_sel:DWORD
	s_mov_b64 s[0:1], 0
                                        ; implicit-def: $sgpr24
	s_and_saveexec_b64 s[22:23], s[2:3]
	s_xor_b64 s[2:3], exec, s[22:23]
	s_cbranch_execnz .LBB247_146
; %bb.78:                               ;   in Loop: Header=BB247_52 Depth=1
	s_or_saveexec_b64 s[2:3], s[2:3]
	v_mov_b32_e32 v36, s24
	s_xor_b64 exec, exec, s[2:3]
	s_cbranch_execnz .LBB247_149
.LBB247_79:                             ;   in Loop: Header=BB247_52 Depth=1
	s_or_b64 exec, exec, s[2:3]
	s_and_saveexec_b64 s[2:3], s[0:1]
	s_cbranch_execz .LBB247_81
.LBB247_80:                             ;   in Loop: Header=BB247_52 Depth=1
	v_bfe_u32 v38, v21, 16, 3
	v_ffbh_u32_e32 v36, v38
	v_min_u32_e32 v40, 32, v36
	v_subrev_u32_e32 v36, 28, v40
	v_bfe_u32 v39, v21, 19, 4
	v_lshlrev_b64 v[36:37], v36, v[10:11]
	v_sub_u32_e32 v37, 29, v40
	v_cmp_eq_u32_e64 s[0:1], 0, v39
	v_and_b32_e32 v36, 7, v36
	v_lshlrev_b32_e32 v10, 8, v10
	v_cndmask_b32_e64 v37, v39, v37, s[0:1]
	v_lshl_add_u32 v37, v37, 10, v27
	v_cndmask_b32_e64 v36, v38, v36, s[0:1]
	v_and_or_b32 v10, v10, s40, v37
	v_lshl_or_b32 v10, v36, 7, v10
	v_cvt_f32_f16_e32 v36, v10
.LBB247_81:                             ;   in Loop: Header=BB247_52 Depth=1
	s_or_b64 exec, exec, s[2:3]
	v_lshrrev_b32_e32 v10, 24, v21
	v_cmp_lt_i16_e64 s[0:1], s38, v10
	s_mov_b64 s[2:3], 0
                                        ; implicit-def: $sgpr26
	s_and_saveexec_b64 s[22:23], s[0:1]
	s_xor_b64 s[22:23], exec, s[22:23]
	s_cbranch_execnz .LBB247_150
; %bb.82:                               ;   in Loop: Header=BB247_52 Depth=1
	s_or_saveexec_b64 s[22:23], s[22:23]
	v_mov_b32_e32 v37, s26
	s_xor_b64 exec, exec, s[22:23]
	s_cbranch_execnz .LBB247_153
.LBB247_83:                             ;   in Loop: Header=BB247_52 Depth=1
	s_or_b64 exec, exec, s[22:23]
	s_and_saveexec_b64 s[22:23], s[2:3]
	s_cbranch_execz .LBB247_85
.LBB247_84:                             ;   in Loop: Header=BB247_52 Depth=1
	v_bfe_u32 v37, v21, 24, 3
	v_ffbh_u32_e32 v38, v37
	v_min_u32_e32 v40, 32, v38
	v_subrev_u32_e32 v38, 28, v40
	v_bfe_u32 v21, v21, 27, 4
	v_lshlrev_b64 v[38:39], v38, v[10:11]
	v_sub_u32_e32 v39, 29, v40
	v_cmp_eq_u32_e64 s[0:1], 0, v21
	v_and_b32_e32 v38, 7, v38
	v_lshlrev_b32_e32 v10, 8, v10
	v_cndmask_b32_e64 v21, v21, v39, s[0:1]
	v_lshl_add_u32 v21, v21, 10, v27
	v_cndmask_b32_e64 v37, v37, v38, s[0:1]
	v_and_or_b32 v10, v10, s40, v21
	v_lshl_or_b32 v10, v37, 7, v10
	v_cvt_f32_f16_e32 v37, v10
.LBB247_85:                             ;   in Loop: Header=BB247_52 Depth=1
	s_or_b64 exec, exec, s[22:23]
	s_waitcnt vmcnt(0)
	v_pk_mul_f32 v[24:25], v[18:19], v[24:25] op_sel_hi:[0,1]
	v_pk_mul_f32 v[22:23], v[18:19], v[22:23] op_sel_hi:[0,1]
	v_cvt_f16_f32_e32 v10, v25
	v_cvt_f16_f32_e32 v21, v24
	;; [unrolled: 1-line block ×4, first 2 shown]
	v_fma_mixlo_f16 v20, v18, v20, 0
	v_pack_b32_f16 v21, v21, v10
	v_cmp_eq_u32_e64 s[2:3], s30, v4
	v_pack_b32_f16 v22, v22, v23
	v_perm_b32 v10, v22, v21, s42
	v_perm_b32 v21, v22, v21, s43
	v_fma_mixlo_f16 v22, v18, v29, 0
	v_lshlrev_b32_e32 v22, 16, v22
	v_or_b32_sdwa v20, v22, v20 dst_sel:DWORD dst_unused:UNUSED_PAD src0_sel:DWORD src1_sel:WORD_0
	v_fma_mixlo_f16 v22, v18, v36, 0
	v_fma_mixlo_f16 v18, v18, v37, 0
	v_lshlrev_b32_e32 v18, 16, v18
	v_or_b32_sdwa v18, v18, v22 dst_sel:DWORD dst_unused:UNUSED_PAD src0_sel:DWORD src1_sel:WORD_0
	s_and_saveexec_b64 s[22:23], s[2:3]
	s_cbranch_execz .LBB247_87
; %bb.86:                               ;   in Loop: Header=BB247_52 Depth=1
	v_add_u32_e32 v23, 1, v1
	v_lshrrev_b32_e32 v24, 16, v21
	v_cmp_gt_i32_e64 s[0:1], s36, v23
	v_lshrrev_b32_e32 v25, 16, v10
	v_lshrrev_b32_e32 v18, 16, v18
	v_cndmask_b32_e64 v23, 0, v24, s[0:1]
	v_cmp_gt_i32_e64 s[0:1], s33, v1
	v_or_b32_e32 v24, 2, v1
	s_nop 0
	v_cndmask_b32_e64 v21, 0, v21, s[0:1]
	v_perm_b32 v21, v23, v21, s45
	v_or_b32_e32 v23, 3, v1
	v_cmp_gt_i32_e64 s[0:1], s36, v23
	s_nop 1
	v_cndmask_b32_e64 v23, 0, v25, s[0:1]
	v_cmp_gt_i32_e64 s[0:1], s33, v24
	v_or_b32_e32 v24, 4, v1
	v_lshrrev_b32_e32 v25, 16, v20
	v_cndmask_b32_e64 v10, 0, v10, s[0:1]
	v_perm_b32 v10, v23, v10, s45
	v_or_b32_e32 v23, 5, v1
	v_cmp_gt_i32_e64 s[0:1], s36, v23
	s_nop 1
	v_cndmask_b32_e64 v23, 0, v25, s[0:1]
	v_cmp_gt_i32_e64 s[0:1], s33, v24
	v_or_b32_e32 v24, 6, v1
	s_nop 0
	v_cndmask_b32_e64 v20, 0, v20, s[0:1]
	v_perm_b32 v20, v23, v20, s45
	v_or_b32_e32 v23, 7, v1
	v_cmp_gt_i32_e64 s[0:1], s36, v23
	s_nop 1
	v_cndmask_b32_e64 v18, 0, v18, s[0:1]
	v_cmp_gt_i32_e64 s[0:1], s33, v24
	s_nop 1
	v_cndmask_b32_e64 v22, 0, v22, s[0:1]
	v_perm_b32 v18, v18, v22, s45
.LBB247_87:                             ;   in Loop: Header=BB247_52 Depth=1
	s_or_b64 exec, exec, s[22:23]
	v_and_b32_e32 v19, 0xffff, v19
	v_lshl_or_b32 v29, v28, 16, v19
	v_and_b32_e32 v19, 0xffff, v30
	v_lshl_or_b32 v28, v31, 16, v19
	;; [unrolled: 2-line block ×4, first 2 shown]
	;;#ASMSTART
	v_pk_mul_f16 v19, v29, v21;

	;;#ASMEND
	;;#ASMSTART
	v_pk_mul_f16 v10, v28, v10;

	;;#ASMEND
	;; [unrolled: 4-line block ×4, first 2 shown]
	s_nop 0
	;;#ASMSTART
	v_pk_add_f16 v10, v19, v10;

	;;#ASMEND
	s_nop 0
	;;#ASMSTART
	v_pk_add_f16 v10, v10, v20;

	;;#ASMEND
	;; [unrolled: 5-line block ×3, first 2 shown]
	s_nop 0
	v_lshrrev_b32_e32 v18, 16, v10
	v_and_b32_e32 v10, 0xffff, v10
	;;#ASMSTART
	v_cvt_f32_f16 v10, v10;
	;;#ASMEND
	;;#ASMSTART
	v_cvt_f32_f16 v18, v18;
	;;#ASMEND
	s_nop 0
	v_add_f32_e32 v10, v10, v18
	v_add_f32_e32 v6, v6, v10
	s_and_saveexec_b64 s[22:23], vcc
	s_cbranch_execz .LBB247_50
; %bb.88:                               ;   in Loop: Header=BB247_52 Depth=1
	v_lshl_add_u64 v[20:21], v[16:17], 0, v[12:13]
	global_load_dwordx2 v[18:19], v[20:21], off
	global_load_dword v16, v11, s[18:19]
	s_mov_b64 s[0:1], 0
                                        ; implicit-def: $sgpr28
	s_waitcnt vmcnt(1)
	v_cmp_gt_i16_sdwa s[24:25], v18, s38 src0_sel:BYTE_0 src1_sel:DWORD
	s_and_saveexec_b64 s[26:27], s[24:25]
	s_xor_b64 s[24:25], exec, s[26:27]
	s_cbranch_execnz .LBB247_154
; %bb.89:                               ;   in Loop: Header=BB247_52 Depth=1
	s_or_saveexec_b64 s[24:25], s[24:25]
	v_mov_b32_e32 v20, s28
	s_xor_b64 exec, exec, s[24:25]
	s_cbranch_execnz .LBB247_157
.LBB247_90:                             ;   in Loop: Header=BB247_52 Depth=1
	s_or_b64 exec, exec, s[24:25]
	s_and_saveexec_b64 s[24:25], s[0:1]
	s_cbranch_execz .LBB247_92
.LBB247_91:                             ;   in Loop: Header=BB247_52 Depth=1
	v_and_b32_e32 v10, 7, v18
	v_ffbh_u32_e32 v10, v10
	v_bfe_u32 v17, v18, 3, 4
	v_min_u32_e32 v10, 32, v10
	v_subrev_u32_e32 v20, 28, v10
	v_sub_u32_e32 v10, 29, v10
	v_cmp_eq_u32_e64 s[0:1], 0, v17
	s_nop 1
	v_cndmask_b32_e64 v10, v17, v10, s[0:1]
	v_cndmask_b32_e64 v17, 0, v20, s[0:1]
	v_lshlrev_b64 v[20:21], v17, v[18:19]
	v_lshlrev_b32_e32 v17, 7, v20
	v_lshlrev_b32_e32 v20, 8, v18
	v_lshl_add_u32 v10, v10, 10, v27
	v_and_or_b32 v10, v20, s40, v10
	v_and_or_b32 v10, v17, s41, v10
	v_cvt_f32_f16_e32 v20, v10
.LBB247_92:                             ;   in Loop: Header=BB247_52 Depth=1
	s_or_b64 exec, exec, s[24:25]
	v_lshrrev_b16_e32 v10, 8, v18
	v_cmp_lt_i16_e64 s[0:1], s38, v10
	s_mov_b64 s[24:25], 0
                                        ; implicit-def: $sgpr46
	s_and_saveexec_b64 s[26:27], s[0:1]
	s_xor_b64 s[26:27], exec, s[26:27]
	s_cbranch_execnz .LBB247_158
; %bb.93:                               ;   in Loop: Header=BB247_52 Depth=1
	s_or_saveexec_b64 s[26:27], s[26:27]
	v_mov_b32_e32 v22, s46
	s_xor_b64 exec, exec, s[26:27]
	s_cbranch_execnz .LBB247_161
.LBB247_94:                             ;   in Loop: Header=BB247_52 Depth=1
	s_or_b64 exec, exec, s[26:27]
	s_and_saveexec_b64 s[26:27], s[24:25]
	s_cbranch_execz .LBB247_96
.LBB247_95:                             ;   in Loop: Header=BB247_52 Depth=1
	v_and_b32_e32 v17, 7, v10
	v_ffbh_u32_e32 v22, v17
	v_min_u32_e32 v30, 32, v22
	v_subrev_u32_e32 v22, 28, v30
	v_bfe_u32 v21, v10, 3, 4
	v_lshlrev_b64 v[22:23], v22, v[10:11]
	v_sub_u32_e32 v23, 29, v30
	v_cmp_eq_u32_e64 s[0:1], 0, v21
	v_and_b32_e32 v22, 7, v22
	v_lshlrev_b32_e32 v10, 8, v10
	v_cndmask_b32_e64 v21, v21, v23, s[0:1]
	v_lshl_add_u32 v21, v21, 10, v27
	v_cndmask_b32_e64 v17, v17, v22, s[0:1]
	v_and_or_b32 v10, v10, s40, v21
	v_lshl_or_b32 v10, v17, 7, v10
	v_cvt_f32_f16_e32 v22, v10
.LBB247_96:                             ;   in Loop: Header=BB247_52 Depth=1
	s_or_b64 exec, exec, s[26:27]
	v_lshrrev_b32_e32 v10, 16, v18
	v_cmp_gt_i16_sdwa s[24:25], v10, s38 src0_sel:BYTE_0 src1_sel:DWORD
	s_mov_b64 s[0:1], 0
                                        ; implicit-def: $sgpr28
	s_and_saveexec_b64 s[26:27], s[24:25]
	s_xor_b64 s[24:25], exec, s[26:27]
	s_cbranch_execnz .LBB247_162
; %bb.97:                               ;   in Loop: Header=BB247_52 Depth=1
	s_or_saveexec_b64 s[24:25], s[24:25]
	v_mov_b32_e32 v21, s28
	s_xor_b64 exec, exec, s[24:25]
	s_cbranch_execnz .LBB247_165
.LBB247_98:                             ;   in Loop: Header=BB247_52 Depth=1
	s_or_b64 exec, exec, s[24:25]
	s_and_saveexec_b64 s[24:25], s[0:1]
	s_cbranch_execz .LBB247_100
.LBB247_99:                             ;   in Loop: Header=BB247_52 Depth=1
	v_bfe_u32 v17, v18, 16, 3
	v_ffbh_u32_e32 v23, v17
	v_bfe_u32 v21, v18, 19, 4
	v_min_u32_e32 v23, 32, v23
	v_subrev_u32_e32 v30, 28, v23
	v_sub_u32_e32 v23, 29, v23
	v_cmp_eq_u32_e64 s[0:1], 0, v21
	v_lshlrev_b64 v[30:31], v30, v[10:11]
	v_and_b32_e32 v30, 7, v30
	v_cndmask_b32_e64 v21, v21, v23, s[0:1]
	v_lshlrev_b32_e32 v10, 8, v10
	v_lshl_add_u32 v21, v21, 10, v27
	v_cndmask_b32_e64 v17, v17, v30, s[0:1]
	v_and_or_b32 v10, v10, s40, v21
	v_lshl_or_b32 v10, v17, 7, v10
	v_cvt_f32_f16_e32 v21, v10
.LBB247_100:                            ;   in Loop: Header=BB247_52 Depth=1
	s_or_b64 exec, exec, s[24:25]
	v_lshrrev_b32_e32 v10, 24, v18
	v_cmp_lt_i16_e64 s[0:1], s38, v10
	s_mov_b64 s[24:25], 0
                                        ; implicit-def: $sgpr46
	s_and_saveexec_b64 s[26:27], s[0:1]
	s_xor_b64 s[26:27], exec, s[26:27]
	s_cbranch_execnz .LBB247_166
; %bb.101:                              ;   in Loop: Header=BB247_52 Depth=1
	s_or_saveexec_b64 s[26:27], s[26:27]
	v_mov_b32_e32 v23, s46
	s_xor_b64 exec, exec, s[26:27]
	s_cbranch_execnz .LBB247_169
.LBB247_102:                            ;   in Loop: Header=BB247_52 Depth=1
	s_or_b64 exec, exec, s[26:27]
	s_and_saveexec_b64 s[26:27], s[24:25]
	s_cbranch_execz .LBB247_104
.LBB247_103:                            ;   in Loop: Header=BB247_52 Depth=1
	v_bfe_u32 v17, v18, 24, 3
	v_ffbh_u32_e32 v23, v17
	v_bfe_u32 v18, v18, 27, 4
	v_min_u32_e32 v23, 32, v23
	v_subrev_u32_e32 v30, 28, v23
	v_sub_u32_e32 v23, 29, v23
	v_cmp_eq_u32_e64 s[0:1], 0, v18
	v_lshlrev_b64 v[30:31], v30, v[10:11]
	v_and_b32_e32 v30, 7, v30
	v_cndmask_b32_e64 v18, v18, v23, s[0:1]
	v_lshlrev_b32_e32 v10, 8, v10
	v_lshl_add_u32 v18, v18, 10, v27
	v_cndmask_b32_e64 v17, v17, v30, s[0:1]
	v_and_or_b32 v10, v10, s40, v18
	v_lshl_or_b32 v10, v17, 7, v10
	v_cvt_f32_f16_e32 v23, v10
.LBB247_104:                            ;   in Loop: Header=BB247_52 Depth=1
	s_or_b64 exec, exec, s[26:27]
	v_cmp_gt_i16_sdwa s[24:25], v19, s38 src0_sel:BYTE_0 src1_sel:DWORD
	s_mov_b64 s[0:1], 0
                                        ; implicit-def: $sgpr28
	s_and_saveexec_b64 s[26:27], s[24:25]
	s_xor_b64 s[24:25], exec, s[26:27]
	s_cbranch_execnz .LBB247_170
; %bb.105:                              ;   in Loop: Header=BB247_52 Depth=1
	s_or_saveexec_b64 s[24:25], s[24:25]
	v_mov_b32_e32 v17, s28
	s_xor_b64 exec, exec, s[24:25]
	s_cbranch_execnz .LBB247_173
.LBB247_106:                            ;   in Loop: Header=BB247_52 Depth=1
	s_or_b64 exec, exec, s[24:25]
	v_mov_b32_e32 v10, v19
	s_and_saveexec_b64 s[24:25], s[0:1]
	s_cbranch_execz .LBB247_108
.LBB247_107:                            ;   in Loop: Header=BB247_52 Depth=1
	v_and_b32_e32 v17, 7, v19
	v_ffbh_u32_e32 v17, v17
	v_bfe_u32 v18, v19, 3, 4
	v_min_u32_e32 v17, 32, v17
	v_subrev_u32_e32 v30, 28, v17
	v_sub_u32_e32 v17, 29, v17
	v_cmp_eq_u32_e64 s[0:1], 0, v18
	s_nop 1
	v_cndmask_b32_e64 v17, v18, v17, s[0:1]
	v_cndmask_b32_e64 v18, 0, v30, s[0:1]
	v_lshlrev_b64 v[30:31], v18, v[10:11]
	v_lshlrev_b32_e32 v18, 7, v30
	v_lshlrev_b32_e32 v30, 8, v19
	v_lshl_add_u32 v17, v17, 10, v27
	v_and_or_b32 v17, v30, s40, v17
	v_and_or_b32 v17, v18, s41, v17
	v_cvt_f32_f16_e32 v17, v17
.LBB247_108:                            ;   in Loop: Header=BB247_52 Depth=1
	s_or_b64 exec, exec, s[24:25]
	v_lshrrev_b16_e32 v10, 8, v10
	v_cmp_lt_i16_e64 s[0:1], s38, v10
	s_mov_b64 s[24:25], 0
                                        ; implicit-def: $sgpr46
	s_and_saveexec_b64 s[26:27], s[0:1]
	s_xor_b64 s[26:27], exec, s[26:27]
	s_cbranch_execnz .LBB247_174
; %bb.109:                              ;   in Loop: Header=BB247_52 Depth=1
	s_or_saveexec_b64 s[26:27], s[26:27]
	v_mov_b32_e32 v18, s46
	s_xor_b64 exec, exec, s[26:27]
	s_cbranch_execnz .LBB247_177
.LBB247_110:                            ;   in Loop: Header=BB247_52 Depth=1
	s_or_b64 exec, exec, s[26:27]
	s_and_saveexec_b64 s[26:27], s[24:25]
	s_cbranch_execz .LBB247_112
.LBB247_111:                            ;   in Loop: Header=BB247_52 Depth=1
	v_and_b32_e32 v18, 7, v10
	v_ffbh_u32_e32 v30, v18
	v_min_u32_e32 v33, 32, v30
	v_subrev_u32_e32 v30, 28, v33
	v_bfe_u32 v32, v10, 3, 4
	v_lshlrev_b64 v[30:31], v30, v[10:11]
	v_sub_u32_e32 v31, 29, v33
	v_cmp_eq_u32_e64 s[0:1], 0, v32
	v_and_b32_e32 v30, 7, v30
	v_lshlrev_b32_e32 v10, 8, v10
	v_cndmask_b32_e64 v31, v32, v31, s[0:1]
	v_cndmask_b32_e64 v18, v18, v30, s[0:1]
	v_lshl_add_u32 v30, v31, 10, v27
	v_and_or_b32 v10, v10, s40, v30
	v_lshl_or_b32 v10, v18, 7, v10
	v_cvt_f32_f16_e32 v18, v10
.LBB247_112:                            ;   in Loop: Header=BB247_52 Depth=1
	s_or_b64 exec, exec, s[26:27]
	v_lshrrev_b32_e32 v10, 16, v19
	v_cmp_gt_i16_sdwa s[24:25], v10, s38 src0_sel:BYTE_0 src1_sel:DWORD
	s_mov_b64 s[0:1], 0
                                        ; implicit-def: $sgpr28
	s_and_saveexec_b64 s[26:27], s[24:25]
	s_xor_b64 s[24:25], exec, s[26:27]
	s_cbranch_execnz .LBB247_178
; %bb.113:                              ;   in Loop: Header=BB247_52 Depth=1
	s_or_saveexec_b64 s[24:25], s[24:25]
	v_mov_b32_e32 v30, s28
	s_xor_b64 exec, exec, s[24:25]
	s_cbranch_execnz .LBB247_181
.LBB247_114:                            ;   in Loop: Header=BB247_52 Depth=1
	s_or_b64 exec, exec, s[24:25]
	s_and_saveexec_b64 s[24:25], s[0:1]
	s_cbranch_execz .LBB247_116
.LBB247_115:                            ;   in Loop: Header=BB247_52 Depth=1
	v_bfe_u32 v32, v19, 16, 3
	v_ffbh_u32_e32 v30, v32
	v_min_u32_e32 v34, 32, v30
	v_subrev_u32_e32 v30, 28, v34
	v_bfe_u32 v33, v19, 19, 4
	v_lshlrev_b64 v[30:31], v30, v[10:11]
	v_sub_u32_e32 v31, 29, v34
	v_cmp_eq_u32_e64 s[0:1], 0, v33
	v_and_b32_e32 v30, 7, v30
	v_lshlrev_b32_e32 v10, 8, v10
	v_cndmask_b32_e64 v31, v33, v31, s[0:1]
	v_lshl_add_u32 v31, v31, 10, v27
	v_cndmask_b32_e64 v30, v32, v30, s[0:1]
	v_and_or_b32 v10, v10, s40, v31
	v_lshl_or_b32 v10, v30, 7, v10
	v_cvt_f32_f16_e32 v30, v10
.LBB247_116:                            ;   in Loop: Header=BB247_52 Depth=1
	s_or_b64 exec, exec, s[24:25]
	v_lshrrev_b32_e32 v10, 24, v19
	v_cmp_lt_i16_e64 s[0:1], s38, v10
	s_mov_b64 s[24:25], 0
                                        ; implicit-def: $sgpr46
	s_and_saveexec_b64 s[26:27], s[0:1]
	s_xor_b64 s[26:27], exec, s[26:27]
	s_cbranch_execnz .LBB247_182
; %bb.117:                              ;   in Loop: Header=BB247_52 Depth=1
	s_or_saveexec_b64 s[26:27], s[26:27]
	v_mov_b32_e32 v31, s46
	s_xor_b64 exec, exec, s[26:27]
	s_cbranch_execnz .LBB247_185
.LBB247_118:                            ;   in Loop: Header=BB247_52 Depth=1
	s_or_b64 exec, exec, s[26:27]
	s_and_saveexec_b64 s[26:27], s[24:25]
	s_cbranch_execz .LBB247_120
.LBB247_119:                            ;   in Loop: Header=BB247_52 Depth=1
	v_bfe_u32 v31, v19, 24, 3
	v_ffbh_u32_e32 v32, v31
	v_min_u32_e32 v34, 32, v32
	v_subrev_u32_e32 v32, 28, v34
	v_bfe_u32 v19, v19, 27, 4
	v_lshlrev_b64 v[32:33], v32, v[10:11]
	v_sub_u32_e32 v33, 29, v34
	v_cmp_eq_u32_e64 s[0:1], 0, v19
	v_and_b32_e32 v32, 7, v32
	v_lshlrev_b32_e32 v10, 8, v10
	v_cndmask_b32_e64 v19, v19, v33, s[0:1]
	v_lshl_add_u32 v19, v19, 10, v27
	v_cndmask_b32_e64 v31, v31, v32, s[0:1]
	v_and_or_b32 v10, v10, s40, v19
	v_lshl_or_b32 v10, v31, 7, v10
	v_cvt_f32_f16_e32 v31, v10
.LBB247_120:                            ;   in Loop: Header=BB247_52 Depth=1
	s_or_b64 exec, exec, s[26:27]
	s_waitcnt vmcnt(0)
	v_pk_mul_f32 v[22:23], v[16:17], v[22:23] op_sel_hi:[0,1]
	v_pk_mul_f32 v[20:21], v[16:17], v[20:21] op_sel_hi:[0,1]
	v_cvt_f16_f32_e32 v10, v23
	v_cvt_f16_f32_e32 v19, v22
	;; [unrolled: 1-line block ×4, first 2 shown]
	v_fma_mixlo_f16 v18, v16, v18, 0
	v_lshlrev_b32_e32 v18, 16, v18
	v_fma_mixlo_f16 v17, v16, v17, 0
	v_or_b32_sdwa v17, v18, v17 dst_sel:DWORD dst_unused:UNUSED_PAD src0_sel:DWORD src1_sel:WORD_0
	v_fma_mixlo_f16 v18, v16, v30, 0
	v_fma_mixlo_f16 v16, v16, v31, 0
	v_pack_b32_f16 v19, v19, v10
	v_pack_b32_f16 v20, v20, v21
	v_lshlrev_b32_e32 v16, 16, v16
	v_perm_b32 v10, v20, v19, s42
	v_perm_b32 v19, v20, v19, s43
	v_or_b32_sdwa v16, v16, v18 dst_sel:DWORD dst_unused:UNUSED_PAD src0_sel:DWORD src1_sel:WORD_0
	s_and_saveexec_b64 s[24:25], s[2:3]
	s_cbranch_execz .LBB247_49
; %bb.121:                              ;   in Loop: Header=BB247_52 Depth=1
	v_add_u32_e32 v20, 1, v1
	v_lshrrev_b32_e32 v21, 16, v19
	v_cmp_gt_i32_e64 s[0:1], s36, v20
	v_lshrrev_b32_e32 v22, 16, v10
	v_lshrrev_b32_e32 v16, 16, v16
	v_cndmask_b32_e64 v20, 0, v21, s[0:1]
	v_cmp_gt_i32_e64 s[0:1], s33, v1
	v_or_b32_e32 v21, 2, v1
	s_nop 0
	v_cndmask_b32_e64 v19, 0, v19, s[0:1]
	v_perm_b32 v19, v20, v19, s45
	v_or_b32_e32 v20, 3, v1
	v_cmp_gt_i32_e64 s[0:1], s36, v20
	s_nop 1
	v_cndmask_b32_e64 v20, 0, v22, s[0:1]
	v_cmp_gt_i32_e64 s[0:1], s33, v21
	v_or_b32_e32 v21, 4, v1
	v_lshrrev_b32_e32 v22, 16, v17
	v_cndmask_b32_e64 v10, 0, v10, s[0:1]
	v_perm_b32 v10, v20, v10, s45
	v_or_b32_e32 v20, 5, v1
	v_cmp_gt_i32_e64 s[0:1], s36, v20
	s_nop 1
	v_cndmask_b32_e64 v20, 0, v22, s[0:1]
	v_cmp_gt_i32_e64 s[0:1], s33, v21
	v_or_b32_e32 v21, 6, v1
	s_nop 0
	v_cndmask_b32_e64 v17, 0, v17, s[0:1]
	v_perm_b32 v17, v20, v17, s45
	v_or_b32_e32 v20, 7, v1
	v_cmp_gt_i32_e64 s[0:1], s36, v20
	s_nop 1
	v_cndmask_b32_e64 v16, 0, v16, s[0:1]
	v_cmp_gt_i32_e64 s[0:1], s33, v21
	s_nop 1
	v_cndmask_b32_e64 v18, 0, v18, s[0:1]
	v_perm_b32 v16, v16, v18, s45
	s_branch .LBB247_49
.LBB247_122:                            ;   in Loop: Header=BB247_52 Depth=1
	v_cmp_eq_u16_sdwa s[26:27], v20, s39 src0_sel:BYTE_0 src1_sel:DWORD
	s_mov_b64 s[0:1], -1
                                        ; implicit-def: $sgpr24
	s_and_saveexec_b64 s[22:23], s[26:27]
; %bb.123:                              ;   in Loop: Header=BB247_52 Depth=1
	s_mov_b32 s24, 0x7fc02000
	s_xor_b64 s[0:1], exec, -1
; %bb.124:                              ;   in Loop: Header=BB247_52 Depth=1
	s_or_b64 exec, exec, s[22:23]
	s_and_b64 s[0:1], s[0:1], exec
	s_or_saveexec_b64 s[2:3], s[2:3]
	v_mov_b32_e32 v22, s24
	s_xor_b64 exec, exec, s[2:3]
	s_cbranch_execz .LBB247_55
.LBB247_125:                            ;   in Loop: Header=BB247_52 Depth=1
	v_cmp_ne_u16_sdwa s[22:23], v20, v11 src0_sel:BYTE_0 src1_sel:DWORD
	s_andn2_b64 s[0:1], s[0:1], exec
	s_and_b64 s[22:23], s[22:23], exec
	v_mov_b32_e32 v22, 0
	s_or_b64 s[0:1], s[0:1], s[22:23]
	s_or_b64 exec, exec, s[2:3]
	s_and_saveexec_b64 s[2:3], s[0:1]
	s_cbranch_execnz .LBB247_56
	s_branch .LBB247_57
.LBB247_126:                            ;   in Loop: Header=BB247_52 Depth=1
	v_cmp_eq_u16_e64 s[0:1], s39, v10
	s_mov_b64 s[2:3], -1
                                        ; implicit-def: $sgpr26
	s_and_saveexec_b64 s[24:25], s[0:1]
; %bb.127:                              ;   in Loop: Header=BB247_52 Depth=1
	s_mov_b32 s26, 0x7fc02000
	s_xor_b64 s[2:3], exec, -1
; %bb.128:                              ;   in Loop: Header=BB247_52 Depth=1
	s_or_b64 exec, exec, s[24:25]
	s_and_b64 s[2:3], s[2:3], exec
	s_or_saveexec_b64 s[22:23], s[22:23]
	v_mov_b32_e32 v24, s26
	s_xor_b64 exec, exec, s[22:23]
	s_cbranch_execz .LBB247_59
.LBB247_129:                            ;   in Loop: Header=BB247_52 Depth=1
	v_cmp_ne_u16_e64 s[0:1], 0, v10
	s_andn2_b64 s[2:3], s[2:3], exec
	s_and_b64 s[0:1], s[0:1], exec
	v_mov_b32_e32 v24, 0
	s_or_b64 s[2:3], s[2:3], s[0:1]
	s_or_b64 exec, exec, s[22:23]
	s_and_saveexec_b64 s[22:23], s[2:3]
	s_cbranch_execnz .LBB247_60
	s_branch .LBB247_61
.LBB247_130:                            ;   in Loop: Header=BB247_52 Depth=1
	v_cmp_eq_u16_sdwa s[26:27], v10, s39 src0_sel:BYTE_0 src1_sel:DWORD
	s_mov_b64 s[0:1], -1
                                        ; implicit-def: $sgpr24
	s_and_saveexec_b64 s[22:23], s[26:27]
; %bb.131:                              ;   in Loop: Header=BB247_52 Depth=1
	s_mov_b32 s24, 0x7fc02000
	s_xor_b64 s[0:1], exec, -1
; %bb.132:                              ;   in Loop: Header=BB247_52 Depth=1
	s_or_b64 exec, exec, s[22:23]
	s_and_b64 s[0:1], s[0:1], exec
	s_or_saveexec_b64 s[2:3], s[2:3]
	v_mov_b32_e32 v23, s24
	s_xor_b64 exec, exec, s[2:3]
	s_cbranch_execz .LBB247_63
.LBB247_133:                            ;   in Loop: Header=BB247_52 Depth=1
	v_cmp_ne_u16_sdwa s[22:23], v10, v11 src0_sel:BYTE_0 src1_sel:DWORD
	s_andn2_b64 s[0:1], s[0:1], exec
	s_and_b64 s[22:23], s[22:23], exec
	v_mov_b32_e32 v23, 0
	s_or_b64 s[0:1], s[0:1], s[22:23]
	s_or_b64 exec, exec, s[2:3]
	s_and_saveexec_b64 s[2:3], s[0:1]
	s_cbranch_execnz .LBB247_64
	s_branch .LBB247_65
.LBB247_134:                            ;   in Loop: Header=BB247_52 Depth=1
	v_cmp_eq_u16_e64 s[0:1], s39, v10
	s_mov_b64 s[2:3], -1
                                        ; implicit-def: $sgpr26
	s_and_saveexec_b64 s[24:25], s[0:1]
; %bb.135:                              ;   in Loop: Header=BB247_52 Depth=1
	s_mov_b32 s26, 0x7fc02000
	s_xor_b64 s[2:3], exec, -1
; %bb.136:                              ;   in Loop: Header=BB247_52 Depth=1
	s_or_b64 exec, exec, s[24:25]
	s_and_b64 s[2:3], s[2:3], exec
	s_or_saveexec_b64 s[22:23], s[22:23]
	v_mov_b32_e32 v25, s26
	s_xor_b64 exec, exec, s[22:23]
	s_cbranch_execz .LBB247_67
.LBB247_137:                            ;   in Loop: Header=BB247_52 Depth=1
	v_cmp_ne_u16_e64 s[0:1], 0, v10
	s_andn2_b64 s[2:3], s[2:3], exec
	s_and_b64 s[0:1], s[0:1], exec
	v_mov_b32_e32 v25, 0
	s_or_b64 s[2:3], s[2:3], s[0:1]
	s_or_b64 exec, exec, s[22:23]
	s_and_saveexec_b64 s[22:23], s[2:3]
	s_cbranch_execnz .LBB247_68
	s_branch .LBB247_69
.LBB247_138:                            ;   in Loop: Header=BB247_52 Depth=1
	v_cmp_eq_u16_sdwa s[26:27], v21, s39 src0_sel:BYTE_0 src1_sel:DWORD
	s_mov_b64 s[0:1], -1
                                        ; implicit-def: $sgpr24
	s_and_saveexec_b64 s[22:23], s[26:27]
; %bb.139:                              ;   in Loop: Header=BB247_52 Depth=1
	s_mov_b32 s24, 0x7fc02000
	s_xor_b64 s[0:1], exec, -1
; %bb.140:                              ;   in Loop: Header=BB247_52 Depth=1
	s_or_b64 exec, exec, s[22:23]
	s_and_b64 s[0:1], s[0:1], exec
	s_or_saveexec_b64 s[2:3], s[2:3]
	v_mov_b32_e32 v20, s24
	s_xor_b64 exec, exec, s[2:3]
	s_cbranch_execz .LBB247_71
.LBB247_141:                            ;   in Loop: Header=BB247_52 Depth=1
	v_cmp_ne_u16_sdwa s[22:23], v21, v11 src0_sel:BYTE_0 src1_sel:DWORD
	s_andn2_b64 s[0:1], s[0:1], exec
	s_and_b64 s[22:23], s[22:23], exec
	v_mov_b32_e32 v20, 0
	s_or_b64 s[0:1], s[0:1], s[22:23]
	s_or_b64 exec, exec, s[2:3]
	v_mov_b32_e32 v10, v21
	s_and_saveexec_b64 s[2:3], s[0:1]
	s_cbranch_execnz .LBB247_72
	s_branch .LBB247_73
.LBB247_142:                            ;   in Loop: Header=BB247_52 Depth=1
	v_cmp_eq_u16_e64 s[0:1], s39, v10
	s_mov_b64 s[2:3], -1
                                        ; implicit-def: $sgpr26
	s_and_saveexec_b64 s[24:25], s[0:1]
; %bb.143:                              ;   in Loop: Header=BB247_52 Depth=1
	s_mov_b32 s26, 0x7fc02000
	s_xor_b64 s[2:3], exec, -1
; %bb.144:                              ;   in Loop: Header=BB247_52 Depth=1
	s_or_b64 exec, exec, s[24:25]
	s_and_b64 s[2:3], s[2:3], exec
	s_or_saveexec_b64 s[22:23], s[22:23]
	v_mov_b32_e32 v29, s26
	s_xor_b64 exec, exec, s[22:23]
	s_cbranch_execz .LBB247_75
.LBB247_145:                            ;   in Loop: Header=BB247_52 Depth=1
	v_cmp_ne_u16_e64 s[0:1], 0, v10
	s_andn2_b64 s[2:3], s[2:3], exec
	s_and_b64 s[0:1], s[0:1], exec
	v_mov_b32_e32 v29, 0
	s_or_b64 s[2:3], s[2:3], s[0:1]
	s_or_b64 exec, exec, s[22:23]
	s_and_saveexec_b64 s[22:23], s[2:3]
	s_cbranch_execnz .LBB247_76
	s_branch .LBB247_77
.LBB247_146:                            ;   in Loop: Header=BB247_52 Depth=1
	v_cmp_eq_u16_sdwa s[26:27], v10, s39 src0_sel:BYTE_0 src1_sel:DWORD
	s_mov_b64 s[0:1], -1
                                        ; implicit-def: $sgpr24
	s_and_saveexec_b64 s[22:23], s[26:27]
; %bb.147:                              ;   in Loop: Header=BB247_52 Depth=1
	s_mov_b32 s24, 0x7fc02000
	s_xor_b64 s[0:1], exec, -1
; %bb.148:                              ;   in Loop: Header=BB247_52 Depth=1
	s_or_b64 exec, exec, s[22:23]
	s_and_b64 s[0:1], s[0:1], exec
	s_or_saveexec_b64 s[2:3], s[2:3]
	v_mov_b32_e32 v36, s24
	s_xor_b64 exec, exec, s[2:3]
	s_cbranch_execz .LBB247_79
.LBB247_149:                            ;   in Loop: Header=BB247_52 Depth=1
	v_cmp_ne_u16_sdwa s[22:23], v10, v11 src0_sel:BYTE_0 src1_sel:DWORD
	s_andn2_b64 s[0:1], s[0:1], exec
	s_and_b64 s[22:23], s[22:23], exec
	v_mov_b32_e32 v36, 0
	s_or_b64 s[0:1], s[0:1], s[22:23]
	s_or_b64 exec, exec, s[2:3]
	s_and_saveexec_b64 s[2:3], s[0:1]
	s_cbranch_execnz .LBB247_80
	s_branch .LBB247_81
.LBB247_150:                            ;   in Loop: Header=BB247_52 Depth=1
	v_cmp_eq_u16_e64 s[0:1], s39, v10
	s_mov_b64 s[2:3], -1
                                        ; implicit-def: $sgpr26
	s_and_saveexec_b64 s[24:25], s[0:1]
; %bb.151:                              ;   in Loop: Header=BB247_52 Depth=1
	s_mov_b32 s26, 0x7fc02000
	s_xor_b64 s[2:3], exec, -1
; %bb.152:                              ;   in Loop: Header=BB247_52 Depth=1
	s_or_b64 exec, exec, s[24:25]
	s_and_b64 s[2:3], s[2:3], exec
	s_or_saveexec_b64 s[22:23], s[22:23]
	v_mov_b32_e32 v37, s26
	s_xor_b64 exec, exec, s[22:23]
	s_cbranch_execz .LBB247_83
.LBB247_153:                            ;   in Loop: Header=BB247_52 Depth=1
	v_cmp_ne_u16_e64 s[0:1], 0, v10
	s_andn2_b64 s[2:3], s[2:3], exec
	s_and_b64 s[0:1], s[0:1], exec
	v_mov_b32_e32 v37, 0
	s_or_b64 s[2:3], s[2:3], s[0:1]
	s_or_b64 exec, exec, s[22:23]
	s_and_saveexec_b64 s[22:23], s[2:3]
	s_cbranch_execnz .LBB247_84
	s_branch .LBB247_85
.LBB247_154:                            ;   in Loop: Header=BB247_52 Depth=1
	v_cmp_eq_u16_sdwa s[46:47], v18, s39 src0_sel:BYTE_0 src1_sel:DWORD
	s_mov_b64 s[0:1], -1
                                        ; implicit-def: $sgpr28
	s_and_saveexec_b64 s[26:27], s[46:47]
; %bb.155:                              ;   in Loop: Header=BB247_52 Depth=1
	s_mov_b32 s28, 0x7fc02000
	s_xor_b64 s[0:1], exec, -1
; %bb.156:                              ;   in Loop: Header=BB247_52 Depth=1
	s_or_b64 exec, exec, s[26:27]
	s_and_b64 s[0:1], s[0:1], exec
	s_or_saveexec_b64 s[24:25], s[24:25]
	v_mov_b32_e32 v20, s28
	s_xor_b64 exec, exec, s[24:25]
	s_cbranch_execz .LBB247_90
.LBB247_157:                            ;   in Loop: Header=BB247_52 Depth=1
	v_cmp_ne_u16_sdwa s[26:27], v18, v11 src0_sel:BYTE_0 src1_sel:DWORD
	s_andn2_b64 s[0:1], s[0:1], exec
	s_and_b64 s[26:27], s[26:27], exec
	v_mov_b32_e32 v20, 0
	s_or_b64 s[0:1], s[0:1], s[26:27]
	s_or_b64 exec, exec, s[24:25]
	s_and_saveexec_b64 s[24:25], s[0:1]
	s_cbranch_execnz .LBB247_91
	s_branch .LBB247_92
.LBB247_158:                            ;   in Loop: Header=BB247_52 Depth=1
	v_cmp_eq_u16_e64 s[0:1], s39, v10
	s_mov_b64 s[24:25], -1
                                        ; implicit-def: $sgpr46
	s_and_saveexec_b64 s[28:29], s[0:1]
; %bb.159:                              ;   in Loop: Header=BB247_52 Depth=1
	s_mov_b32 s46, 0x7fc02000
	s_xor_b64 s[24:25], exec, -1
; %bb.160:                              ;   in Loop: Header=BB247_52 Depth=1
	s_or_b64 exec, exec, s[28:29]
	s_and_b64 s[24:25], s[24:25], exec
	s_or_saveexec_b64 s[26:27], s[26:27]
	v_mov_b32_e32 v22, s46
	s_xor_b64 exec, exec, s[26:27]
	s_cbranch_execz .LBB247_94
.LBB247_161:                            ;   in Loop: Header=BB247_52 Depth=1
	v_cmp_ne_u16_e64 s[0:1], 0, v10
	s_andn2_b64 s[24:25], s[24:25], exec
	s_and_b64 s[0:1], s[0:1], exec
	v_mov_b32_e32 v22, 0
	s_or_b64 s[24:25], s[24:25], s[0:1]
	s_or_b64 exec, exec, s[26:27]
	s_and_saveexec_b64 s[26:27], s[24:25]
	s_cbranch_execnz .LBB247_95
	s_branch .LBB247_96
.LBB247_162:                            ;   in Loop: Header=BB247_52 Depth=1
	v_cmp_eq_u16_sdwa s[46:47], v10, s39 src0_sel:BYTE_0 src1_sel:DWORD
	s_mov_b64 s[0:1], -1
                                        ; implicit-def: $sgpr28
	s_and_saveexec_b64 s[26:27], s[46:47]
; %bb.163:                              ;   in Loop: Header=BB247_52 Depth=1
	s_mov_b32 s28, 0x7fc02000
	s_xor_b64 s[0:1], exec, -1
; %bb.164:                              ;   in Loop: Header=BB247_52 Depth=1
	s_or_b64 exec, exec, s[26:27]
	s_and_b64 s[0:1], s[0:1], exec
	s_or_saveexec_b64 s[24:25], s[24:25]
	v_mov_b32_e32 v21, s28
	s_xor_b64 exec, exec, s[24:25]
	s_cbranch_execz .LBB247_98
.LBB247_165:                            ;   in Loop: Header=BB247_52 Depth=1
	v_cmp_ne_u16_sdwa s[26:27], v10, v11 src0_sel:BYTE_0 src1_sel:DWORD
	s_andn2_b64 s[0:1], s[0:1], exec
	s_and_b64 s[26:27], s[26:27], exec
	v_mov_b32_e32 v21, 0
	s_or_b64 s[0:1], s[0:1], s[26:27]
	s_or_b64 exec, exec, s[24:25]
	s_and_saveexec_b64 s[24:25], s[0:1]
	s_cbranch_execnz .LBB247_99
	s_branch .LBB247_100
.LBB247_166:                            ;   in Loop: Header=BB247_52 Depth=1
	v_cmp_eq_u16_e64 s[0:1], s39, v10
	s_mov_b64 s[24:25], -1
                                        ; implicit-def: $sgpr46
	s_and_saveexec_b64 s[28:29], s[0:1]
; %bb.167:                              ;   in Loop: Header=BB247_52 Depth=1
	s_mov_b32 s46, 0x7fc02000
	s_xor_b64 s[24:25], exec, -1
; %bb.168:                              ;   in Loop: Header=BB247_52 Depth=1
	s_or_b64 exec, exec, s[28:29]
	s_and_b64 s[24:25], s[24:25], exec
	s_or_saveexec_b64 s[26:27], s[26:27]
	v_mov_b32_e32 v23, s46
	s_xor_b64 exec, exec, s[26:27]
	s_cbranch_execz .LBB247_102
.LBB247_169:                            ;   in Loop: Header=BB247_52 Depth=1
	v_cmp_ne_u16_e64 s[0:1], 0, v10
	s_andn2_b64 s[24:25], s[24:25], exec
	s_and_b64 s[0:1], s[0:1], exec
	v_mov_b32_e32 v23, 0
	s_or_b64 s[24:25], s[24:25], s[0:1]
	s_or_b64 exec, exec, s[26:27]
	s_and_saveexec_b64 s[26:27], s[24:25]
	s_cbranch_execnz .LBB247_103
	s_branch .LBB247_104
.LBB247_170:                            ;   in Loop: Header=BB247_52 Depth=1
	v_cmp_eq_u16_sdwa s[46:47], v19, s39 src0_sel:BYTE_0 src1_sel:DWORD
	s_mov_b64 s[0:1], -1
                                        ; implicit-def: $sgpr28
	s_and_saveexec_b64 s[26:27], s[46:47]
; %bb.171:                              ;   in Loop: Header=BB247_52 Depth=1
	s_mov_b32 s28, 0x7fc02000
	s_xor_b64 s[0:1], exec, -1
; %bb.172:                              ;   in Loop: Header=BB247_52 Depth=1
	s_or_b64 exec, exec, s[26:27]
	s_and_b64 s[0:1], s[0:1], exec
	s_or_saveexec_b64 s[24:25], s[24:25]
	v_mov_b32_e32 v17, s28
	s_xor_b64 exec, exec, s[24:25]
	s_cbranch_execz .LBB247_106
.LBB247_173:                            ;   in Loop: Header=BB247_52 Depth=1
	v_cmp_ne_u16_sdwa s[26:27], v19, v11 src0_sel:BYTE_0 src1_sel:DWORD
	s_andn2_b64 s[0:1], s[0:1], exec
	s_and_b64 s[26:27], s[26:27], exec
	v_mov_b32_e32 v17, 0
	s_or_b64 s[0:1], s[0:1], s[26:27]
	s_or_b64 exec, exec, s[24:25]
	v_mov_b32_e32 v10, v19
	s_and_saveexec_b64 s[24:25], s[0:1]
	s_cbranch_execnz .LBB247_107
	s_branch .LBB247_108
.LBB247_174:                            ;   in Loop: Header=BB247_52 Depth=1
	v_cmp_eq_u16_e64 s[0:1], s39, v10
	s_mov_b64 s[24:25], -1
                                        ; implicit-def: $sgpr46
	s_and_saveexec_b64 s[28:29], s[0:1]
; %bb.175:                              ;   in Loop: Header=BB247_52 Depth=1
	s_mov_b32 s46, 0x7fc02000
	s_xor_b64 s[24:25], exec, -1
; %bb.176:                              ;   in Loop: Header=BB247_52 Depth=1
	s_or_b64 exec, exec, s[28:29]
	s_and_b64 s[24:25], s[24:25], exec
	s_or_saveexec_b64 s[26:27], s[26:27]
	v_mov_b32_e32 v18, s46
	s_xor_b64 exec, exec, s[26:27]
	s_cbranch_execz .LBB247_110
.LBB247_177:                            ;   in Loop: Header=BB247_52 Depth=1
	v_cmp_ne_u16_e64 s[0:1], 0, v10
	s_andn2_b64 s[24:25], s[24:25], exec
	s_and_b64 s[0:1], s[0:1], exec
	v_mov_b32_e32 v18, 0
	s_or_b64 s[24:25], s[24:25], s[0:1]
	s_or_b64 exec, exec, s[26:27]
	s_and_saveexec_b64 s[26:27], s[24:25]
	s_cbranch_execnz .LBB247_111
	s_branch .LBB247_112
.LBB247_178:                            ;   in Loop: Header=BB247_52 Depth=1
	v_cmp_eq_u16_sdwa s[46:47], v10, s39 src0_sel:BYTE_0 src1_sel:DWORD
	s_mov_b64 s[0:1], -1
                                        ; implicit-def: $sgpr28
	s_and_saveexec_b64 s[26:27], s[46:47]
; %bb.179:                              ;   in Loop: Header=BB247_52 Depth=1
	s_mov_b32 s28, 0x7fc02000
	s_xor_b64 s[0:1], exec, -1
; %bb.180:                              ;   in Loop: Header=BB247_52 Depth=1
	s_or_b64 exec, exec, s[26:27]
	s_and_b64 s[0:1], s[0:1], exec
	s_or_saveexec_b64 s[24:25], s[24:25]
	v_mov_b32_e32 v30, s28
	s_xor_b64 exec, exec, s[24:25]
	s_cbranch_execz .LBB247_114
.LBB247_181:                            ;   in Loop: Header=BB247_52 Depth=1
	v_cmp_ne_u16_sdwa s[26:27], v10, v11 src0_sel:BYTE_0 src1_sel:DWORD
	s_andn2_b64 s[0:1], s[0:1], exec
	s_and_b64 s[26:27], s[26:27], exec
	v_mov_b32_e32 v30, 0
	s_or_b64 s[0:1], s[0:1], s[26:27]
	s_or_b64 exec, exec, s[24:25]
	s_and_saveexec_b64 s[24:25], s[0:1]
	s_cbranch_execnz .LBB247_115
	s_branch .LBB247_116
.LBB247_182:                            ;   in Loop: Header=BB247_52 Depth=1
	v_cmp_eq_u16_e64 s[0:1], s39, v10
	s_mov_b64 s[24:25], -1
                                        ; implicit-def: $sgpr46
	s_and_saveexec_b64 s[28:29], s[0:1]
; %bb.183:                              ;   in Loop: Header=BB247_52 Depth=1
	s_mov_b32 s46, 0x7fc02000
	s_xor_b64 s[24:25], exec, -1
; %bb.184:                              ;   in Loop: Header=BB247_52 Depth=1
	s_or_b64 exec, exec, s[28:29]
	s_and_b64 s[24:25], s[24:25], exec
	s_or_saveexec_b64 s[26:27], s[26:27]
	v_mov_b32_e32 v31, s46
	s_xor_b64 exec, exec, s[26:27]
	s_cbranch_execz .LBB247_118
.LBB247_185:                            ;   in Loop: Header=BB247_52 Depth=1
	v_cmp_ne_u16_e64 s[0:1], 0, v10
	s_andn2_b64 s[24:25], s[24:25], exec
	s_and_b64 s[0:1], s[0:1], exec
	v_mov_b32_e32 v31, 0
	s_or_b64 s[24:25], s[24:25], s[0:1]
	s_or_b64 exec, exec, s[26:27]
	s_and_saveexec_b64 s[26:27], s[24:25]
	s_cbranch_execnz .LBB247_119
	s_branch .LBB247_120
.LBB247_186:
	s_or_b64 exec, exec, s[16:17]
.LBB247_187:
	s_or_b64 exec, exec, s[12:13]
	v_and_b32_e32 v1, 0x3c0, v0
	v_cmp_eq_u32_e32 vcc, 64, v1
	s_barrier
	s_and_saveexec_b64 s[0:1], vcc
	s_cbranch_execz .LBB247_190
; %bb.188:
	v_mov_b32_e32 v1, 0xb0
	v_lshl_add_u32 v3, v3, 2, v1
	ds_write_b32 v3, v6
	s_and_b64 exec, exec, s[10:11]
	s_cbranch_execz .LBB247_190
; %bb.189:
	v_lshl_add_u32 v1, v0, 2, v1
	ds_write_b32 v1, v7
.LBB247_190:
	s_or_b64 exec, exec, s[0:1]
	v_cmp_gt_u32_e32 vcc, 64, v0
	v_or_b32_e32 v1, 64, v0
	s_waitcnt lgkmcnt(0)
	s_barrier
	s_and_saveexec_b64 s[2:3], vcc
	s_cbranch_execz .LBB247_194
; %bb.191:
	v_mov_b32_e32 v3, 0xb0
	v_lshl_add_u32 v0, v0, 2, v3
	ds_read_b32 v3, v0
	s_movk_i32 s0, 0x50
	v_cmp_gt_u32_e64 s[0:1], s0, v1
	s_waitcnt lgkmcnt(0)
	v_add_f32_e32 v6, v6, v3
	s_and_saveexec_b64 s[6:7], s[0:1]
	s_cbranch_execz .LBB247_193
; %bb.192:
	ds_read_b32 v0, v0 offset:256
	s_waitcnt lgkmcnt(0)
	v_add_f32_e32 v7, v7, v0
.LBB247_193:
	s_or_b64 exec, exec, s[6:7]
.LBB247_194:
	s_or_b64 exec, exec, s[2:3]
	s_barrier
	s_and_saveexec_b64 s[0:1], vcc
	s_cbranch_execz .LBB247_197
; %bb.195:
	s_mul_i32 s0, s8, 0x50
	s_ashr_i32 s1, s0, 31
	s_lshl_b64 s[0:1], s[0:1], 1
	s_add_u32 s3, s34, s0
	s_mul_i32 s0, s15, s14
	s_addc_u32 s5, s35, s1
	s_ashr_i32 s1, s0, 31
	s_lshl_b64 s[0:1], s[0:1], 1
	s_add_u32 s3, s3, s0
	s_mul_i32 s0, s4, 0x50
	s_addc_u32 s5, s5, s1
	s_ashr_i32 s1, s0, 31
	s_lshl_b64 s[0:1], s[0:1], 1
	s_movk_i32 s2, 0x50
	s_add_u32 s0, s3, s0
	s_addc_u32 s1, s5, s1
	v_cmp_gt_u32_e32 vcc, s2, v1
	;;#ASMSTART
	v_cvt_f16_f32 v0, v6;

	;;#ASMEND
	global_store_short v2, v0, s[0:1]
	s_and_b64 exec, exec, vcc
	s_cbranch_execz .LBB247_197
; %bb.196:
	v_mov_b32_e32 v3, 0
	v_lshl_add_u64 v[0:1], s[0:1], 0, v[2:3]
	;;#ASMSTART
	v_cvt_f16_f32 v2, v7;

	;;#ASMEND
	global_store_short v[0:1], v2, off offset:128
.LBB247_197:
	s_endpgm
	.section	.rodata,"a",@progbits
	.p2align	6, 0x0
	.amdhsa_kernel _ZN4vllm25paged_attention_v2_kernelIthLi80ELi8ELi128ELNS_18Fp8KVCacheDataTypeE1ELb1ELi512EEEvPfS2_PT_PKS3_PKT0_S9_ifPKiSB_iPKfiiiSD_SD_iiiii
		.amdhsa_group_segment_fixed_size 176
		.amdhsa_private_segment_fixed_size 0
		.amdhsa_kernarg_size 400
		.amdhsa_user_sgpr_count 2
		.amdhsa_user_sgpr_dispatch_ptr 0
		.amdhsa_user_sgpr_queue_ptr 0
		.amdhsa_user_sgpr_kernarg_segment_ptr 1
		.amdhsa_user_sgpr_dispatch_id 0
		.amdhsa_user_sgpr_kernarg_preload_length 0
		.amdhsa_user_sgpr_kernarg_preload_offset 0
		.amdhsa_user_sgpr_private_segment_size 0
		.amdhsa_uses_dynamic_stack 0
		.amdhsa_enable_private_segment 0
		.amdhsa_system_sgpr_workgroup_id_x 1
		.amdhsa_system_sgpr_workgroup_id_y 1
		.amdhsa_system_sgpr_workgroup_id_z 1
		.amdhsa_system_sgpr_workgroup_info 0
		.amdhsa_system_vgpr_workitem_id 0
		.amdhsa_next_free_vgpr 46
		.amdhsa_next_free_sgpr 58
		.amdhsa_accum_offset 48
		.amdhsa_reserve_vcc 1
		.amdhsa_float_round_mode_32 0
		.amdhsa_float_round_mode_16_64 0
		.amdhsa_float_denorm_mode_32 3
		.amdhsa_float_denorm_mode_16_64 3
		.amdhsa_dx10_clamp 1
		.amdhsa_ieee_mode 1
		.amdhsa_fp16_overflow 0
		.amdhsa_tg_split 0
		.amdhsa_exception_fp_ieee_invalid_op 0
		.amdhsa_exception_fp_denorm_src 0
		.amdhsa_exception_fp_ieee_div_zero 0
		.amdhsa_exception_fp_ieee_overflow 0
		.amdhsa_exception_fp_ieee_underflow 0
		.amdhsa_exception_fp_ieee_inexact 0
		.amdhsa_exception_int_div_zero 0
	.end_amdhsa_kernel
	.section	.text._ZN4vllm25paged_attention_v2_kernelIthLi80ELi8ELi128ELNS_18Fp8KVCacheDataTypeE1ELb1ELi512EEEvPfS2_PT_PKS3_PKT0_S9_ifPKiSB_iPKfiiiSD_SD_iiiii,"axG",@progbits,_ZN4vllm25paged_attention_v2_kernelIthLi80ELi8ELi128ELNS_18Fp8KVCacheDataTypeE1ELb1ELi512EEEvPfS2_PT_PKS3_PKT0_S9_ifPKiSB_iPKfiiiSD_SD_iiiii,comdat
.Lfunc_end247:
	.size	_ZN4vllm25paged_attention_v2_kernelIthLi80ELi8ELi128ELNS_18Fp8KVCacheDataTypeE1ELb1ELi512EEEvPfS2_PT_PKS3_PKT0_S9_ifPKiSB_iPKfiiiSD_SD_iiiii, .Lfunc_end247-_ZN4vllm25paged_attention_v2_kernelIthLi80ELi8ELi128ELNS_18Fp8KVCacheDataTypeE1ELb1ELi512EEEvPfS2_PT_PKS3_PKT0_S9_ifPKiSB_iPKfiiiSD_SD_iiiii
                                        ; -- End function
	.section	.AMDGPU.csdata,"",@progbits
; Kernel info:
; codeLenInByte = 9824
; NumSgprs: 64
; NumVgprs: 46
; NumAgprs: 0
; TotalNumVgprs: 46
; ScratchSize: 0
; MemoryBound: 0
; FloatMode: 240
; IeeeMode: 1
; LDSByteSize: 176 bytes/workgroup (compile time only)
; SGPRBlocks: 7
; VGPRBlocks: 5
; NumSGPRsForWavesPerEU: 64
; NumVGPRsForWavesPerEU: 46
; AccumOffset: 48
; Occupancy: 8
; WaveLimiterHint : 1
; COMPUTE_PGM_RSRC2:SCRATCH_EN: 0
; COMPUTE_PGM_RSRC2:USER_SGPR: 2
; COMPUTE_PGM_RSRC2:TRAP_HANDLER: 0
; COMPUTE_PGM_RSRC2:TGID_X_EN: 1
; COMPUTE_PGM_RSRC2:TGID_Y_EN: 1
; COMPUTE_PGM_RSRC2:TGID_Z_EN: 1
; COMPUTE_PGM_RSRC2:TIDIG_COMP_CNT: 0
; COMPUTE_PGM_RSRC3_GFX90A:ACCUM_OFFSET: 11
; COMPUTE_PGM_RSRC3_GFX90A:TG_SPLIT: 0
	.section	.text._ZN4vllm25paged_attention_v2_kernelIthLi96ELi8ELi128ELNS_18Fp8KVCacheDataTypeE1ELb1ELi512EEEvPfS2_PT_PKS3_PKT0_S9_ifPKiSB_iPKfiiiSD_SD_iiiii,"axG",@progbits,_ZN4vllm25paged_attention_v2_kernelIthLi96ELi8ELi128ELNS_18Fp8KVCacheDataTypeE1ELb1ELi512EEEvPfS2_PT_PKS3_PKT0_S9_ifPKiSB_iPKfiiiSD_SD_iiiii,comdat
	.protected	_ZN4vllm25paged_attention_v2_kernelIthLi96ELi8ELi128ELNS_18Fp8KVCacheDataTypeE1ELb1ELi512EEEvPfS2_PT_PKS3_PKT0_S9_ifPKiSB_iPKfiiiSD_SD_iiiii ; -- Begin function _ZN4vllm25paged_attention_v2_kernelIthLi96ELi8ELi128ELNS_18Fp8KVCacheDataTypeE1ELb1ELi512EEEvPfS2_PT_PKS3_PKT0_S9_ifPKiSB_iPKfiiiSD_SD_iiiii
	.globl	_ZN4vllm25paged_attention_v2_kernelIthLi96ELi8ELi128ELNS_18Fp8KVCacheDataTypeE1ELb1ELi512EEEvPfS2_PT_PKS3_PKT0_S9_ifPKiSB_iPKfiiiSD_SD_iiiii
	.p2align	8
	.type	_ZN4vllm25paged_attention_v2_kernelIthLi96ELi8ELi128ELNS_18Fp8KVCacheDataTypeE1ELb1ELi512EEEvPfS2_PT_PKS3_PKT0_S9_ifPKiSB_iPKfiiiSD_SD_iiiii,@function
_ZN4vllm25paged_attention_v2_kernelIthLi96ELi8ELi128ELNS_18Fp8KVCacheDataTypeE1ELb1ELi512EEEvPfS2_PT_PKS3_PKT0_S9_ifPKiSB_iPKfiiiSD_SD_iiiii: ; @_ZN4vllm25paged_attention_v2_kernelIthLi96ELi8ELi128ELNS_18Fp8KVCacheDataTypeE1ELb1ELi512EEEvPfS2_PT_PKS3_PKT0_S9_ifPKiSB_iPKfiiiSD_SD_iiiii
; %bb.0:
	s_load_dwordx2 s[6:7], s[0:1], 0x40
	s_mov_b32 s36, s3
	s_ashr_i32 s37, s3, 31
	s_lshl_b64 s[8:9], s[36:37], 2
	s_waitcnt lgkmcnt(0)
	s_add_u32 s6, s6, s8
	s_addc_u32 s7, s7, s9
	s_load_dword s33, s[6:7], 0x0
	s_lshl_b32 s53, s4, 9
	s_waitcnt lgkmcnt(0)
	s_cmp_ge_i32 s53, s33
	s_cbranch_scc1 .LBB248_197
; %bb.1:
	s_load_dword s5, s[0:1], 0x90
	s_load_dwordx2 s[44:45], s[0:1], 0x30
	s_mov_b32 s54, 0
	s_waitcnt lgkmcnt(0)
	s_abs_i32 s7, s5
	s_abs_i32 s3, s44
	v_cvt_f32_u32_e32 v1, s3
	s_sub_i32 s8, 0, s3
	s_xor_b32 s6, s5, s44
	s_ashr_i32 s6, s6, 31
	v_rcp_iflag_f32_e32 v1, v1
	s_nop 0
	v_mul_f32_e32 v1, 0x4f7ffffe, v1
	v_cvt_u32_f32_e32 v1, v1
	s_nop 0
	v_readfirstlane_b32 s9, v1
	s_mul_i32 s8, s8, s9
	s_mul_hi_u32 s8, s9, s8
	s_add_i32 s9, s9, s8
	s_mul_hi_u32 s8, s7, s9
	s_mul_i32 s9, s8, s3
	s_sub_i32 s7, s7, s9
	s_add_i32 s10, s8, 1
	s_sub_i32 s9, s7, s3
	s_cmp_ge_u32 s7, s3
	s_cselect_b32 s8, s10, s8
	s_cselect_b32 s7, s9, s7
	s_add_i32 s9, s8, 1
	s_cmp_ge_u32 s7, s3
	s_cselect_b32 s3, s9, s8
	s_xor_b32 s3, s3, s6
	s_sub_i32 s10, s3, s6
	s_abs_i32 s8, s10
	v_cvt_f32_u32_e32 v1, s8
	s_load_dwordx2 s[6:7], s[0:1], 0x50
	s_sub_i32 s3, 0, s8
	s_abs_i32 s9, s2
	v_rcp_iflag_f32_e32 v1, v1
	s_nop 0
	v_mul_f32_e32 v1, 0x4f7ffffe, v1
	v_cvt_u32_f32_e32 v1, v1
	s_nop 0
	v_readfirstlane_b32 s11, v1
	s_mul_i32 s3, s3, s11
	s_mul_hi_u32 s3, s11, s3
	s_add_i32 s11, s11, s3
	s_waitcnt lgkmcnt(0)
	s_cmp_eq_u64 s[6:7], 0
	s_mul_hi_u32 s12, s9, s11
	s_cbranch_scc1 .LBB248_3
; %bb.2:
	s_ashr_i32 s3, s2, 31
	s_lshl_b64 s[14:15], s[2:3], 2
	s_add_u32 s6, s6, s14
	s_addc_u32 s7, s7, s15
	s_load_dword s54, s[6:7], 0x0
.LBB248_3:
	s_load_dwordx4 s[20:23], s[0:1], 0x58
	s_movk_i32 s6, 0x60
	s_ashr_i32 s3, s2, 31
	s_ashr_i32 s13, s10, 31
	v_and_b32_e32 v6, 7, v0
	s_mul_i32 s14, s2, 0x60
	v_cmp_gt_u32_e64 s[10:11], s6, v0
	v_lshlrev_b32_e32 v2, 1, v0
	s_and_saveexec_b64 s[6:7], s[10:11]
	s_cbranch_execz .LBB248_5
; %bb.4:
	s_load_dwordx2 s[16:17], s[0:1], 0x18
	s_waitcnt lgkmcnt(0)
	s_mul_i32 s18, s36, s20
	s_ashr_i32 s19, s18, 31
	s_lshl_b64 s[18:19], s[18:19], 1
	v_lshrrev_b32_e32 v3, 2, v0
	s_add_u32 s18, s16, s18
	s_addc_u32 s19, s17, s19
	s_ashr_i32 s15, s14, 31
	s_lshl_b64 s[16:17], s[14:15], 1
	s_add_u32 s16, s18, s16
	s_addc_u32 s17, s19, s17
	global_load_ushort v1, v2, s[16:17]
	v_and_b32_e32 v3, 0xfe, v3
	v_mad_u32_u24 v3, v6, 24, v3
	s_waitcnt vmcnt(0)
	ds_write_b16 v3, v1
.LBB248_5:
	s_or_b64 exec, exec, s[6:7]
	s_mul_i32 s6, s12, s8
	s_sub_i32 s6, s9, s6
	s_xor_b32 s3, s3, s13
	s_add_i32 s7, s12, 1
	s_sub_i32 s9, s6, s8
	s_load_dwordx4 s[24:27], s[0:1], 0x78
	s_cmp_ge_u32 s6, s8
	s_cselect_b32 s7, s7, s12
	s_load_dword s12, s[0:1], 0x88
	s_cselect_b32 s6, s9, s6
	s_add_i32 s9, s7, 1
	s_cmp_ge_u32 s6, s8
	s_cselect_b32 s6, s9, s7
	s_waitcnt lgkmcnt(0)
	s_abs_i32 s37, s27
	v_cvt_f32_u32_e32 v1, s37
	s_xor_b32 s6, s6, s3
	s_sub_i32 s8, s6, s3
	s_sub_i32 s6, 0, s37
	v_rcp_iflag_f32_e32 v1, v1
	s_add_i32 s13, s33, -1
	s_abs_i32 s3, s13
	v_mul_f32_e32 v1, 0x4f7ffffe, v1
	v_cvt_u32_f32_e32 v1, v1
	s_barrier
	v_readfirstlane_b32 s50, v1
	s_mul_i32 s6, s6, s50
	s_mul_hi_u32 s6, s50, s6
	s_add_i32 s50, s50, s6
	s_cmp_lt_i32 s12, 0
	s_mul_hi_u32 s9, s3, s50
	s_cbranch_scc0 .LBB248_7
; %bb.6:
	s_mul_i32 s6, s24, s44
	s_add_i32 s6, s8, s6
	s_mul_i32 s6, s6, s12
	s_sub_i32 s44, 1, s6
	s_mov_b64 s[6:7], 0
	s_branch .LBB248_8
.LBB248_7:
	s_mov_b64 s[6:7], -1
                                        ; implicit-def: $sgpr44
.LBB248_8:
	s_load_dwordx2 s[38:39], s[0:1], 0x38
	s_ashr_i32 s13, s13, 31
	s_andn2_b64 vcc, exec, s[6:7]
	s_ashr_i32 s51, s27, 31
	s_cbranch_vccnz .LBB248_10
; %bb.9:
	s_mul_i32 s6, s5, s24
	s_add_i32 s6, s6, s2
	s_mul_i32 s6, s6, s12
	s_add_i32 s44, s6, 1
.LBB248_10:
	s_load_dwordx2 s[42:43], s[0:1], 0x28
	s_load_dword s6, s[0:1], 0x48
	s_load_dwordx4 s[28:31], s[0:1], 0x0
	s_load_dwordx2 s[34:35], s[0:1], 0x10
	s_load_dword s15, s[0:1], 0x98
	s_load_dwordx4 s[16:19], s[0:1], 0x68
	s_mul_i32 s7, s9, s37
	s_waitcnt lgkmcnt(0)
	s_mul_i32 s40, s36, s6
	s_sub_i32 s3, s3, s7
	s_ashr_i32 s41, s40, 31
	s_xor_b32 s6, s13, s51
	s_add_i32 s7, s9, 1
	s_sub_i32 s12, s3, s37
	s_cmp_ge_u32 s3, s37
	s_cselect_b32 s7, s7, s9
	s_cselect_b32 s3, s12, s3
	s_add_i32 s9, s7, 1
	s_cmp_ge_u32 s3, s37
	s_cselect_b32 s3, s9, s7
	s_xor_b32 s3, s3, s6
	s_sub_i32 s20, s3, s6
	s_add_i32 s3, s33, 7
	s_ashr_i32 s6, s3, 31
	s_lshr_b32 s6, s6, 29
	s_add_i32 s3, s3, s6
	s_lshl_b32 s27, s4, 6
	s_ashr_i32 s3, s3, 3
	s_add_i32 s6, s27, 64
	v_lshrrev_b32_e32 v16, 6, v0
	s_min_i32 s52, s6, s3
	v_or_b32_e32 v4, s27, v16
	v_cmp_gt_i32_e64 s[6:7], s52, v4
	v_mov_b32_e32 v14, 0xff7fffff
	s_mul_i32 s24, s8, s22
	v_ashrrev_i32_e32 v5, 31, v4
	v_lshl_add_u32 v1, v16, 3, s53
	v_mbcnt_lo_u32_b32 v3, -1, 0
	s_and_saveexec_b64 s[22:23], s[6:7]
	s_cbranch_execz .LBB248_20
; %bb.11:
	s_load_dwordx2 s[0:1], s[0:1], 0x20
	s_sub_i32 s55, s20, s25
	s_ashr_i32 s8, s24, 31
	v_bfe_u32 v12, v0, 3, 3
	v_mov_b32_e32 v7, 0
	s_waitcnt lgkmcnt(0)
	s_add_u32 s0, s0, s24
	s_addc_u32 s1, s1, s8
	s_abs_i32 s56, s26
	v_cvt_f32_u32_e32 v8, s56
	v_lshlrev_b32_e32 v14, 2, v12
	v_lshl_or_b32 v14, v16, 5, v14
	v_add_u32_e32 v18, 0xd0, v14
	v_rcp_iflag_f32_e32 v9, v8
	v_lshlrev_b32_e32 v8, 4, v12
	v_subrev_u32_e32 v14, s33, v12
	v_mbcnt_hi_u32_b32 v21, -1, v3
	v_mul_f32_e32 v9, 0x4f7ffffe, v9
	v_cvt_u32_f32_e32 v10, v9
	v_mov_b32_e32 v9, v7
	v_lshl_add_u64 v[8:9], s[0:1], 0, v[8:9]
	s_sub_i32 s0, 0, s56
	v_mul_lo_u32 v11, s0, v10
	s_lshl_b64 s[0:1], s[40:41], 2
	s_add_u32 s0, s38, s0
	v_mul_hi_u32 v11, v10, v11
	s_addc_u32 s1, s39, s1
	v_add_u32_e32 v19, 1, v14
	v_and_b32_e32 v14, 64, v21
	v_cmp_eq_u32_e32 vcc, 0, v6
	s_mov_b32 s57, s21
	v_mul_u32_u24_e32 v13, 24, v6
	v_cmp_neq_f32_e64 s[8:9], s54, 0
	v_add_u32_e32 v15, v10, v11
	v_lshl_add_u64 v[10:11], v[4:5], 2, s[0:1]
	v_lshl_add_u32 v17, v16, 3, s53
	s_mov_b64 s[46:47], 0
	v_mov_b32_e32 v20, 0xff7fffff
	v_add_u32_e32 v22, 64, v14
	v_xor_b32_e32 v23, 4, v21
	v_xor_b32_e32 v24, 2, v21
	;; [unrolled: 1-line block ×3, first 2 shown]
	v_mov_b32_e32 v14, 0xff7fffff
	v_mov_b32_e32 v26, v4
	s_branch .LBB248_14
.LBB248_12:                             ;   in Loop: Header=BB248_14 Depth=1
	s_or_b64 exec, exec, s[48:49]
.LBB248_13:                             ;   in Loop: Header=BB248_14 Depth=1
	s_or_b64 exec, exec, s[12:13]
	v_add_u32_e32 v26, 2, v26
	v_cmp_le_i32_e64 s[0:1], s52, v26
	v_lshl_add_u64 v[10:11], v[10:11], 0, 8
	v_add_u32_e32 v17, 16, v17
	s_or_b64 s[46:47], s[0:1], s[46:47]
	v_add_u32_e32 v18, 64, v18
	s_andn2_b64 exec, exec, s[46:47]
	s_cbranch_execz .LBB248_19
.LBB248_14:                             ; =>This Inner Loop Header: Depth=1
	s_waitcnt lgkmcnt(0)
	v_sub_u32_e32 v28, 0, v17
	v_max_i32_e32 v28, v17, v28
	v_mul_hi_u32 v29, v28, s50
	v_mul_lo_u32 v30, v29, s37
	v_sub_u32_e32 v28, v28, v30
	v_add_u32_e32 v30, 1, v29
	v_cmp_le_u32_e64 s[0:1], s37, v28
	v_ashrrev_i32_e32 v27, 31, v17
	v_xor_b32_e32 v27, s51, v27
	v_cndmask_b32_e64 v29, v29, v30, s[0:1]
	v_subrev_u32_e32 v30, s37, v28
	v_cndmask_b32_e64 v28, v28, v30, s[0:1]
	v_add_u32_e32 v30, 1, v29
	v_cmp_le_u32_e64 s[0:1], s37, v28
	s_nop 1
	v_cndmask_b32_e64 v28, v29, v30, s[0:1]
	v_xor_b32_e32 v28, v28, v27
	v_sub_u32_e32 v27, v28, v27
	v_add_u32_e32 v28, s44, v27
	v_sub_u32_e32 v30, 0, v28
	v_ashrrev_i32_e32 v29, 31, v28
	v_max_i32_e32 v28, v28, v30
	v_mul_hi_u32 v30, v28, v15
	v_mul_lo_u32 v30, v30, s56
	v_sub_u32_e32 v28, v28, v30
	v_subrev_u32_e32 v30, s56, v28
	v_cmp_le_u32_e64 s[0:1], s56, v28
	v_cmp_ge_i32_e64 s[12:13], s55, v27
	s_nop 0
	v_cndmask_b32_e64 v28, v28, v30, s[0:1]
	v_subrev_u32_e32 v30, s56, v28
	v_cmp_le_u32_e64 s[0:1], s56, v28
	s_nop 1
	v_cndmask_b32_e64 v28, v28, v30, s[0:1]
	v_xor_b32_e32 v28, v28, v29
	v_sub_u32_e32 v28, v28, v29
	v_cmp_ne_u32_e64 s[0:1], 0, v28
	s_and_b64 s[0:1], s[0:1], s[12:13]
	s_and_b64 s[48:49], vcc, s[0:1]
	s_and_saveexec_b64 s[12:13], s[48:49]
	s_cbranch_execz .LBB248_16
; %bb.15:                               ;   in Loop: Header=BB248_14 Depth=1
	ds_write_b32 v18, v20
.LBB248_16:                             ;   in Loop: Header=BB248_14 Depth=1
	s_or_b64 exec, exec, s[12:13]
	s_xor_b64 s[0:1], s[0:1], -1
	s_and_saveexec_b64 s[12:13], s[0:1]
	s_cbranch_execz .LBB248_13
; %bb.17:                               ;   in Loop: Header=BB248_14 Depth=1
	global_load_dword v27, v[10:11], off
	s_waitcnt vmcnt(0)
	v_mad_i64_i32 v[28:29], s[0:1], v27, s57, v[8:9]
	v_lshl_add_u64 v[28:29], v[28:29], 0, v[6:7]
	global_load_ubyte v27, v[28:29], off
	global_load_ubyte v30, v[28:29], off offset:8
	global_load_dword v31, v7, s[16:17]
	global_load_ubyte v32, v[28:29], off offset:128
	global_load_ubyte v33, v[28:29], off offset:136
	;; [unrolled: 1-line block ×9, first 2 shown]
	s_nop 0
	global_load_ubyte v28, v[28:29], off offset:648
	ds_read_u16 v29, v13
	s_waitcnt lgkmcnt(0)
	;;#ASMSTART
	v_cvt_f32_f16 v29, v29;
	;;#ASMEND
	v_cmp_lt_i32_e64 s[0:1], v23, v22
	s_waitcnt vmcnt(12)
	v_cvt_f32_fp8_sdwa v27, v27 src0_sel:BYTE_0
	s_waitcnt vmcnt(11)
	v_cvt_f32_fp8_sdwa v30, v30 src0_sel:BYTE_0
	v_cndmask_b32_e64 v41, v21, v23, s[0:1]
	s_waitcnt vmcnt(9)
	v_cvt_f32_fp8_sdwa v32, v32 src0_sel:BYTE_0
	v_fma_mixlo_f16 v27, v31, v27, 0
	v_and_b32_e32 v27, 0xffff, v27
	v_fma_mixlo_f16 v30, v31, v30, 0
	s_waitcnt vmcnt(8)
	v_cvt_f32_fp8_sdwa v33, v33 src0_sel:BYTE_0
	;;#ASMSTART
	v_cvt_f32_f16 v27, v27;
	;;#ASMEND
	ds_read_u16 v42, v13 offset:2
	v_and_b32_e32 v30, 0xffff, v30
	s_waitcnt vmcnt(7)
	v_cvt_f32_fp8_sdwa v34, v34 src0_sel:BYTE_0
	s_waitcnt lgkmcnt(0)
	;;#ASMSTART
	v_cvt_f32_f16 v42, v42;
	;;#ASMEND
	;;#ASMSTART
	v_cvt_f32_f16 v30, v30;
	;;#ASMEND
	s_waitcnt vmcnt(6)
	v_cvt_f32_fp8_sdwa v35, v35 src0_sel:BYTE_0
	v_fma_mixlo_f16 v32, v31, v32, 0
	s_waitcnt vmcnt(5)
	v_cvt_f32_fp8_sdwa v36, v36 src0_sel:BYTE_0
	v_mul_f32_e32 v30, v42, v30
	ds_read_u16 v43, v13 offset:4
	v_and_b32_e32 v32, 0xffff, v32
	v_fma_mixlo_f16 v33, v31, v33, 0
	s_waitcnt vmcnt(4)
	v_cvt_f32_fp8_sdwa v37, v37 src0_sel:BYTE_0
	v_fmac_f32_e32 v30, v29, v27
	s_waitcnt lgkmcnt(0)
	;;#ASMSTART
	v_cvt_f32_f16 v43, v43;
	;;#ASMEND
	;;#ASMSTART
	v_cvt_f32_f16 v32, v32;
	;;#ASMEND
	ds_read_u16 v44, v13 offset:6
	v_and_b32_e32 v33, 0xffff, v33
	s_waitcnt vmcnt(3)
	v_cvt_f32_fp8_sdwa v38, v38 src0_sel:BYTE_0
	v_fma_mixlo_f16 v34, v31, v34, 0
	v_fmac_f32_e32 v30, v43, v32
	s_waitcnt lgkmcnt(0)
	;;#ASMSTART
	v_cvt_f32_f16 v44, v44;
	;;#ASMEND
	;;#ASMSTART
	v_cvt_f32_f16 v33, v33;
	;;#ASMEND
	ds_read_u16 v45, v13 offset:8
	v_and_b32_e32 v34, 0xffff, v34
	s_waitcnt vmcnt(2)
	v_cvt_f32_fp8_sdwa v39, v39 src0_sel:BYTE_0
	s_waitcnt vmcnt(1)
	v_cvt_f32_fp8_sdwa v40, v40 src0_sel:BYTE_0
	v_fma_mixlo_f16 v35, v31, v35, 0
	s_waitcnt vmcnt(0)
	v_cvt_f32_fp8_sdwa v28, v28 src0_sel:BYTE_0
	v_fmac_f32_e32 v30, v44, v33
	s_waitcnt lgkmcnt(0)
	;;#ASMSTART
	v_cvt_f32_f16 v45, v45;
	;;#ASMEND
	;;#ASMSTART
	v_cvt_f32_f16 v34, v34;
	;;#ASMEND
	ds_read_u16 v46, v13 offset:10
	v_and_b32_e32 v35, 0xffff, v35
	v_fma_mixlo_f16 v36, v31, v36, 0
	v_fmac_f32_e32 v30, v45, v34
	s_waitcnt lgkmcnt(0)
	;;#ASMSTART
	v_cvt_f32_f16 v46, v46;
	;;#ASMEND
	;;#ASMSTART
	v_cvt_f32_f16 v35, v35;
	;;#ASMEND
	ds_read_u16 v47, v13 offset:12
	v_fma_mixlo_f16 v37, v31, v37, 0
	v_and_b32_e32 v36, 0xffff, v36
	v_fmac_f32_e32 v30, v46, v35
	s_waitcnt lgkmcnt(0)
	;;#ASMSTART
	v_cvt_f32_f16 v47, v47;
	;;#ASMEND
	;;#ASMSTART
	v_cvt_f32_f16 v36, v36;
	;;#ASMEND
	ds_read_u16 v48, v13 offset:14
	v_fma_mixlo_f16 v38, v31, v38, 0
	v_and_b32_e32 v37, 0xffff, v37
	v_fmac_f32_e32 v30, v47, v36
	v_fma_mixlo_f16 v39, v31, v39, 0
	v_fma_mixlo_f16 v40, v31, v40, 0
	s_waitcnt lgkmcnt(0)
	;;#ASMSTART
	v_cvt_f32_f16 v48, v48;
	;;#ASMEND
	;;#ASMSTART
	v_cvt_f32_f16 v37, v37;
	;;#ASMEND
	v_fma_mixlo_f16 v28, v31, v28, 0
	v_and_b32_e32 v31, 0xffff, v38
	v_fmac_f32_e32 v30, v48, v37
	ds_read_u16 v49, v13 offset:16
	v_and_b32_e32 v38, 0xffff, v39
	v_and_b32_e32 v39, 0xffff, v40
	s_waitcnt lgkmcnt(0)
	;;#ASMSTART
	v_cvt_f32_f16 v40, v49;
	;;#ASMEND
	;;#ASMSTART
	v_cvt_f32_f16 v31, v31;
	;;#ASMEND
	ds_read_u16 v49, v13 offset:18
	v_fmac_f32_e32 v30, v40, v31
	s_waitcnt lgkmcnt(0)
	;;#ASMSTART
	v_cvt_f32_f16 v27, v49;
	;;#ASMEND
	;;#ASMSTART
	v_cvt_f32_f16 v29, v38;
	;;#ASMEND
	ds_read_u16 v32, v13 offset:20
	v_fmac_f32_e32 v30, v27, v29
	v_and_b32_e32 v28, 0xffff, v28
	s_waitcnt lgkmcnt(0)
	;;#ASMSTART
	v_cvt_f32_f16 v32, v32;
	;;#ASMEND
	;;#ASMSTART
	v_cvt_f32_f16 v33, v39;
	;;#ASMEND
	v_lshlrev_b32_e32 v41, 2, v41
	v_fmac_f32_e32 v30, v32, v33
	ds_read_u16 v34, v13 offset:22
	s_waitcnt lgkmcnt(0)
	;;#ASMSTART
	v_cvt_f32_f16 v27, v34;
	;;#ASMEND
	;;#ASMSTART
	v_cvt_f32_f16 v28, v28;
	;;#ASMEND
	v_cmp_lt_i32_e64 s[0:1], v24, v22
	v_fmac_f32_e32 v30, v27, v28
	ds_bpermute_b32 v27, v41, v30
	v_cndmask_b32_e64 v28, v21, v24, s[0:1]
	v_lshlrev_b32_e32 v28, 2, v28
	v_cmp_lt_i32_e64 s[0:1], v25, v22
	s_waitcnt lgkmcnt(0)
	v_add_f32_e32 v27, v30, v27
	ds_bpermute_b32 v28, v28, v27
	v_cndmask_b32_e64 v29, v21, v25, s[0:1]
	s_waitcnt lgkmcnt(0)
	v_add_f32_e32 v27, v27, v28
	v_lshlrev_b32_e32 v28, 2, v29
	ds_bpermute_b32 v28, v28, v27
	s_and_saveexec_b64 s[48:49], vcc
	s_cbranch_execz .LBB248_12
; %bb.18:                               ;   in Loop: Header=BB248_14 Depth=1
	v_add_u32_e32 v29, v19, v17
	v_cvt_f32_i32_e32 v29, v29
	s_waitcnt lgkmcnt(0)
	v_add_f32_e32 v27, v27, v28
	v_add_u32_e32 v30, v12, v17
	v_cmp_gt_i32_e64 s[0:1], s33, v30
	v_mul_f32_e32 v28, s54, v29
	v_cndmask_b32_e64 v28, 0, v28, s[8:9]
	v_fmac_f32_e32 v28, s45, v27
	v_cndmask_b32_e64 v27, 0, v28, s[0:1]
	ds_write_b32 v18, v27
	v_max_f32_e32 v27, v14, v14
	v_max_f32_e32 v27, v27, v28
	v_cndmask_b32_e64 v14, v14, v27, s[0:1]
	s_branch .LBB248_12
.LBB248_19:
	s_or_b64 exec, exec, s[46:47]
.LBB248_20:
	s_or_b64 exec, exec, s[22:23]
	v_mbcnt_hi_u32_b32 v6, -1, v3
	v_and_b32_e32 v3, 64, v6
	v_add_u32_e32 v7, 64, v3
	v_xor_b32_e32 v3, 32, v6
	v_cmp_lt_i32_e32 vcc, v3, v7
	v_xor_b32_e32 v9, 16, v6
	v_max_f32_e32 v8, v14, v14
	v_cndmask_b32_e32 v3, v6, v3, vcc
	v_lshlrev_b32_e32 v10, 2, v3
	ds_bpermute_b32 v3, v10, v14
	v_cmp_lt_i32_e32 vcc, v9, v7
	s_waitcnt lgkmcnt(0)
	v_max_f32_e32 v3, v3, v3
	v_max_f32_e32 v3, v8, v3
	v_cndmask_b32_e32 v8, v6, v9, vcc
	v_lshlrev_b32_e32 v12, 2, v8
	ds_bpermute_b32 v8, v12, v3
	v_xor_b32_e32 v9, 8, v6
	v_cmp_lt_i32_e32 vcc, v9, v7
	s_waitcnt lgkmcnt(0)
	v_max_f32_e32 v8, v8, v8
	v_max_f32_e32 v8, v3, v8
	v_cndmask_b32_e32 v3, v6, v9, vcc
	v_lshlrev_b32_e32 v13, 2, v3
	ds_bpermute_b32 v11, v13, v8
	v_and_b32_e32 v3, 63, v0
	v_cmp_eq_u32_e32 vcc, 0, v3
	v_lshlrev_b32_e32 v9, 2, v16
	s_and_saveexec_b64 s[0:1], vcc
	s_cbranch_execz .LBB248_22
; %bb.21:
	s_waitcnt lgkmcnt(0)
	v_max_f32_e32 v11, v11, v11
	v_max_f32_e32 v8, v8, v8
	;; [unrolled: 1-line block ×3, first 2 shown]
	ds_write_b32 v9, v8 offset:192
.LBB248_22:
	s_or_b64 exec, exec, s[0:1]
	v_cmp_gt_u32_e64 s[0:1], 2, v3
	v_mov_b32_e32 v8, 0xff7fffff
	s_waitcnt lgkmcnt(0)
	v_lshlrev_b32_e32 v11, 2, v3
	s_barrier
	s_and_saveexec_b64 s[8:9], s[0:1]
	s_cbranch_execz .LBB248_24
; %bb.23:
	ds_read_b32 v8, v11 offset:192
.LBB248_24:
	s_or_b64 exec, exec, s[8:9]
	v_xor_b32_e32 v14, 1, v6
	v_cmp_lt_i32_e64 s[8:9], v14, v7
	v_mov_b32_e32 v17, 0
	s_nop 0
	v_cndmask_b32_e64 v14, v6, v14, s[8:9]
	v_lshlrev_b32_e32 v14, 2, v14
	s_waitcnt lgkmcnt(0)
	ds_bpermute_b32 v15, v14, v8
	v_max_f32_e32 v8, v8, v8
	s_sub_i32 s8, s52, s27
	s_lshl_b32 s8, s8, 3
	s_add_i32 s8, s8, s53
	s_waitcnt lgkmcnt(0)
	v_max_f32_e32 v15, v15, v15
	v_max_f32_e32 v8, v8, v15
	v_lshlrev_b32_e32 v15, 2, v6
	v_and_b32_e32 v15, 0x100, v15
	ds_bpermute_b32 v8, v15, v8
	s_min_i32 s45, s8, s33
	s_sub_i32 s27, s45, s53
	v_cmp_gt_i32_e64 s[8:9], s27, v0
	s_and_saveexec_b64 s[16:17], s[8:9]
	s_cbranch_execz .LBB248_28
; %bb.25:
	v_mov_b32_e32 v17, 0xd0
	v_lshl_add_u32 v18, v0, 2, v17
	s_mov_b64 s[22:23], 0
	v_mov_b32_e32 v17, 0
	v_mov_b32_e32 v19, v0
.LBB248_26:                             ; =>This Inner Loop Header: Depth=1
	ds_read_b32 v20, v18
	v_add_u32_e32 v19, 0x80, v19
	v_cmp_le_i32_e64 s[12:13], s27, v19
	s_or_b64 s[22:23], s[12:13], s[22:23]
	s_waitcnt lgkmcnt(0)
	v_sub_f32_e32 v20, v20, v8
	v_mul_f32_e32 v20, 0x3fb8aa3b, v20
	v_exp_f32_e32 v20, v20
	ds_write_b32 v18, v20
	v_add_f32_e32 v17, v17, v20
	v_add_u32_e32 v18, 0x200, v18
	s_andn2_b64 exec, exec, s[22:23]
	s_cbranch_execnz .LBB248_26
; %bb.27:
	s_or_b64 exec, exec, s[22:23]
.LBB248_28:
	s_or_b64 exec, exec, s[16:17]
	ds_bpermute_b32 v10, v10, v17
	s_waitcnt lgkmcnt(0)
	v_add_f32_e32 v10, v17, v10
	ds_bpermute_b32 v12, v12, v10
	s_waitcnt lgkmcnt(0)
	v_add_f32_e32 v10, v10, v12
	ds_bpermute_b32 v12, v13, v10
	v_xor_b32_e32 v13, 4, v6
	v_cmp_lt_i32_e64 s[12:13], v13, v7
	s_waitcnt lgkmcnt(0)
	v_add_f32_e32 v10, v10, v12
	v_cndmask_b32_e64 v13, v6, v13, s[12:13]
	v_lshlrev_b32_e32 v13, 2, v13
	ds_bpermute_b32 v12, v13, v10
	v_xor_b32_e32 v13, 2, v6
	v_cmp_lt_i32_e64 s[12:13], v13, v7
	s_waitcnt lgkmcnt(0)
	v_add_f32_e32 v7, v10, v12
	v_cndmask_b32_e64 v6, v6, v13, s[12:13]
	v_lshlrev_b32_e32 v6, 2, v6
	ds_bpermute_b32 v6, v6, v7
	s_waitcnt lgkmcnt(0)
	v_add_f32_e32 v6, v7, v6
	ds_bpermute_b32 v7, v14, v6
	s_waitcnt lgkmcnt(0)
	v_add_f32_e32 v6, v6, v7
	s_and_saveexec_b64 s[12:13], vcc
	s_cbranch_execz .LBB248_30
; %bb.29:
	ds_write_b32 v9, v6 offset:200
.LBB248_30:
	s_or_b64 exec, exec, s[12:13]
	s_waitcnt lgkmcnt(0)
	s_barrier
	s_and_saveexec_b64 s[12:13], s[0:1]
	s_cbranch_execz .LBB248_32
; %bb.31:
	ds_read_b32 v6, v11 offset:200
.LBB248_32:
	s_or_b64 exec, exec, s[12:13]
	s_waitcnt lgkmcnt(0)
	ds_bpermute_b32 v7, v14, v6
	s_waitcnt lgkmcnt(0)
	v_add_f32_e32 v6, v6, v7
	ds_bpermute_b32 v9, v15, v6
	s_and_saveexec_b64 s[0:1], s[8:9]
	s_cbranch_execz .LBB248_45
; %bb.33:
	s_waitcnt lgkmcnt(0)
	v_add_f32_e32 v6, 0x358637bd, v9
	v_div_scale_f32 v7, s[8:9], v6, v6, 1.0
	v_rcp_f32_e32 v10, v7
	v_div_scale_f32 v11, vcc, 1.0, v6, 1.0
	s_movk_i32 s8, 0x7f
	v_fma_f32 v12, -v7, v10, 1.0
	v_fmac_f32_e32 v10, v12, v10
	v_mul_f32_e32 v12, v11, v10
	v_fma_f32 v13, -v7, v12, v11
	v_fmac_f32_e32 v12, v13, v10
	v_fma_f32 v7, -v7, v12, v11
	v_div_fmas_f32 v7, v7, v10, v12
	v_div_fixup_f32 v6, v7, v6, 1.0
	v_xad_u32 v7, v0, -1, s45
	v_subrev_u32_e32 v10, s53, v7
	v_cmp_lt_u32_e32 vcc, s8, v10
	s_mov_b64 s[12:13], -1
	v_mov_b32_e32 v7, v0
	s_and_saveexec_b64 s[8:9], vcc
	s_cbranch_execz .LBB248_42
; %bb.34:
	v_lshrrev_b32_e32 v10, 7, v10
	v_add_u32_e32 v12, -1, v10
	v_lshrrev_b32_e32 v11, 1, v12
	v_mov_b32_e32 v7, v6
	v_add_u32_e32 v11, 1, v11
	v_cmp_lt_u32_e32 vcc, 13, v12
	v_mov_b32_e32 v14, 0
	s_and_saveexec_b64 s[12:13], vcc
	s_cbranch_execz .LBB248_38
; %bb.35:
	v_mov_b32_e32 v13, 0xd0
	v_and_b32_e32 v12, -8, v11
	v_lshl_add_u32 v13, v0, 2, v13
	s_mov_b32 s22, 0
	s_mov_b64 s[16:17], 0
.LBB248_36:                             ; =>This Inner Loop Header: Depth=1
	ds_read2st64_b32 v[14:15], v13 offset1:2
	ds_read2st64_b32 v[18:19], v13 offset0:4 offset1:6
	ds_read2st64_b32 v[20:21], v13 offset0:8 offset1:10
	;; [unrolled: 1-line block ×3, first 2 shown]
	v_add_u32_e32 v12, -8, v12
	s_waitcnt lgkmcnt(3)
	v_pk_mul_f32 v[14:15], v[6:7], v[14:15]
	s_waitcnt lgkmcnt(2)
	v_pk_mul_f32 v[18:19], v[6:7], v[18:19]
	ds_write2st64_b32 v13, v14, v15 offset1:2
	ds_write2st64_b32 v13, v18, v19 offset0:4 offset1:6
	ds_read2st64_b32 v[18:19], v13 offset0:16 offset1:18
	s_waitcnt lgkmcnt(4)
	v_pk_mul_f32 v[14:15], v[6:7], v[20:21]
	ds_write2st64_b32 v13, v14, v15 offset0:8 offset1:10
	s_waitcnt lgkmcnt(4)
	v_pk_mul_f32 v[14:15], v[6:7], v[22:23]
	ds_write2st64_b32 v13, v14, v15 offset0:12 offset1:14
	ds_read2st64_b32 v[14:15], v13 offset0:20 offset1:22
	s_waitcnt lgkmcnt(3)
	v_pk_mul_f32 v[18:19], v[6:7], v[18:19]
	ds_read2st64_b32 v[20:21], v13 offset0:24 offset1:26
	ds_write2st64_b32 v13, v18, v19 offset0:16 offset1:18
	ds_read2st64_b32 v[18:19], v13 offset0:28 offset1:30
	s_waitcnt lgkmcnt(3)
	v_pk_mul_f32 v[14:15], v[6:7], v[14:15]
	ds_write2st64_b32 v13, v14, v15 offset0:20 offset1:22
	s_waitcnt lgkmcnt(3)
	v_pk_mul_f32 v[14:15], v[6:7], v[20:21]
	ds_write2st64_b32 v13, v14, v15 offset0:24 offset1:26
	s_waitcnt lgkmcnt(2)
	v_pk_mul_f32 v[14:15], v[6:7], v[18:19]
	s_add_i32 s22, s22, 16
	v_cmp_eq_u32_e32 vcc, 0, v12
	ds_write2st64_b32 v13, v14, v15 offset0:28 offset1:30
	v_add_u32_e32 v13, 0x2000, v13
	s_or_b64 s[16:17], vcc, s[16:17]
	v_mov_b32_e32 v14, s22
	s_andn2_b64 exec, exec, s[16:17]
	s_cbranch_execnz .LBB248_36
; %bb.37:
	s_or_b64 exec, exec, s[16:17]
.LBB248_38:
	s_or_b64 exec, exec, s[12:13]
	v_and_b32_e32 v11, 7, v11
	v_cmp_ne_u32_e32 vcc, 0, v11
	s_and_saveexec_b64 s[12:13], vcc
	s_cbranch_execz .LBB248_41
; %bb.39:
	v_lshlrev_b32_e32 v12, 9, v14
	v_lshlrev_b32_e32 v13, 2, v0
	s_movk_i32 s16, 0xd0
	v_add3_u32 v12, v12, v13, s16
	s_mov_b64 s[16:17], 0
.LBB248_40:                             ; =>This Inner Loop Header: Depth=1
	ds_read2st64_b32 v[14:15], v12 offset1:2
	v_add_u32_e32 v11, -1, v11
	v_cmp_eq_u32_e32 vcc, 0, v11
	s_or_b64 s[16:17], vcc, s[16:17]
	s_waitcnt lgkmcnt(0)
	v_pk_mul_f32 v[14:15], v[6:7], v[14:15]
	ds_write2st64_b32 v12, v14, v15 offset1:2
	v_add_u32_e32 v12, 0x400, v12
	s_andn2_b64 exec, exec, s[16:17]
	s_cbranch_execnz .LBB248_40
.LBB248_41:
	s_or_b64 exec, exec, s[12:13]
	v_add_u32_e32 v10, 1, v10
	v_and_b32_e32 v11, 0x3fffffe, v10
	v_cmp_ne_u32_e32 vcc, v10, v11
	v_lshl_add_u32 v7, v11, 7, v0
	s_orn2_b64 s[12:13], vcc, exec
.LBB248_42:
	s_or_b64 exec, exec, s[8:9]
	s_and_b64 exec, exec, s[12:13]
	s_cbranch_execz .LBB248_45
; %bb.43:
	v_mov_b32_e32 v10, 0xd0
	v_lshl_add_u32 v10, v7, 2, v10
	s_mov_b64 s[8:9], 0
.LBB248_44:                             ; =>This Inner Loop Header: Depth=1
	ds_read_b32 v11, v10
	v_add_u32_e32 v7, 0x80, v7
	v_cmp_le_i32_e32 vcc, s27, v7
	s_or_b64 s[8:9], vcc, s[8:9]
	s_waitcnt lgkmcnt(0)
	v_mul_f32_e32 v11, v6, v11
	ds_write_b32 v10, v11
	v_add_u32_e32 v10, 0x200, v10
	s_andn2_b64 exec, exec, s[8:9]
	s_cbranch_execnz .LBB248_44
.LBB248_45:
	s_or_b64 exec, exec, s[0:1]
	s_mul_i32 s1, s15, s36
	s_mov_b32 s0, 0
	v_cmp_eq_u32_e32 vcc, 0, v0
	s_mul_i32 s8, s1, s5
	s_waitcnt lgkmcnt(0)
	s_barrier
	s_and_saveexec_b64 s[12:13], vcc
	s_cbranch_execz .LBB248_47
; %bb.46:
	s_ashr_i32 s9, s8, 31
	s_lshl_b64 s[16:17], s[8:9], 2
	s_add_u32 s1, s30, s16
	s_mul_i32 s22, s15, s2
	s_addc_u32 s5, s31, s17
	s_ashr_i32 s23, s22, 31
	s_lshl_b64 s[22:23], s[22:23], 2
	s_add_u32 s1, s1, s22
	s_addc_u32 s2, s5, s23
	s_ashr_i32 s5, s4, 31
	s_lshl_b64 s[30:31], s[4:5], 2
	s_add_u32 s46, s1, s30
	s_addc_u32 s47, s2, s31
	s_add_u32 s1, s28, s16
	s_addc_u32 s2, s29, s17
	;; [unrolled: 2-line block ×3, first 2 shown]
	s_add_u32 s16, s1, s30
	v_mov_b32_e32 v6, 0
	s_addc_u32 s17, s2, s31
	global_store_dword v6, v8, s[46:47]
	global_store_dword v6, v9, s[16:17]
.LBB248_47:
	s_or_b64 exec, exec, s[12:13]
	s_mov_b32 s1, s0
	v_mov_b64_e32 v[6:7], s[0:1]
	s_and_saveexec_b64 s[12:13], s[6:7]
	s_cbranch_execz .LBB248_187
; %bb.48:
	s_sub_i32 s5, s20, s25
	s_ashr_i32 s0, s24, 31
	s_add_u32 s6, s42, s24
	s_addc_u32 s7, s43, s0
	s_abs_i32 s31, s26
	v_cvt_f32_u32_e32 v6, s31
	v_or_b32_e32 v7, 64, v3
	s_movk_i32 s1, 0x60
	s_add_i32 s30, s3, -1
	v_rcp_iflag_f32_e32 v6, v6
	v_cmp_gt_u32_e32 vcc, s1, v7
	s_sub_i32 s1, 0, s31
	s_lshl_b64 s[2:3], s[40:41], 2
	v_mul_f32_e32 v6, 0x4f7ffffe, v6
	v_cvt_u32_f32_e32 v6, v6
	s_add_u32 s2, s38, s2
	s_mov_b32 s0, 0
	v_lshlrev_b32_e32 v12, 3, v7
	v_mul_lo_u32 v7, s1, v6
	s_addc_u32 s3, s39, s3
	v_mov_b32_e32 v11, 0
	v_mul_hi_u32 v7, v6, v7
	v_lshl_add_u64 v[14:15], v[4:5], 2, s[2:3]
	v_mov_b32_e32 v5, 0xd0
	s_mov_b32 s1, s0
	s_mov_b32 s9, s21
	v_lshlrev_b32_e32 v8, 3, v3
	v_mov_b32_e32 v9, v11
	v_mov_b32_e32 v13, v11
	s_mov_b32 s36, s33
	v_add_u32_e32 v26, v6, v7
	v_lshl_add_u32 v5, v16, 5, v5
	s_mov_b64 s[16:17], 0
	v_mov_b64_e32 v[6:7], s[0:1]
	s_movk_i32 s38, 0x7f
	s_movk_i32 s39, 0x80
	s_mov_b32 s40, 0x8000
	s_movk_i32 s41, 0x380
	s_mov_b32 s42, 0x3020706
	s_mov_b32 s43, 0x1000504
	;; [unrolled: 1-line block ×3, first 2 shown]
	v_mov_b32_e32 v27, 0x1c00
	s_branch .LBB248_52
.LBB248_49:                             ;   in Loop: Header=BB248_52 Depth=1
	s_or_b64 exec, exec, s[24:25]
	;;#ASMSTART
	v_pk_mul_f16 v18, v29, v19;

	;;#ASMEND
	;;#ASMSTART
	v_pk_mul_f16 v10, v28, v10;

	;;#ASMEND
	;; [unrolled: 4-line block ×4, first 2 shown]
	s_nop 0
	;;#ASMSTART
	v_pk_add_f16 v10, v18, v10;

	;;#ASMEND
	s_nop 0
	;;#ASMSTART
	v_pk_add_f16 v10, v10, v17;

	;;#ASMEND
	s_nop 0
	;;#ASMSTART
	v_pk_add_f16 v10, v10, v16;

	;;#ASMEND
	s_nop 0
	v_lshrrev_b32_e32 v16, 16, v10
	v_and_b32_e32 v10, 0xffff, v10
	;;#ASMSTART
	v_cvt_f32_f16 v10, v10;
	;;#ASMEND
	;;#ASMSTART
	v_cvt_f32_f16 v16, v16;
	;;#ASMEND
	s_nop 0
	v_add_f32_e32 v10, v10, v16
	v_add_f32_e32 v7, v7, v10
.LBB248_50:                             ;   in Loop: Header=BB248_52 Depth=1
	s_or_b64 exec, exec, s[22:23]
.LBB248_51:                             ;   in Loop: Header=BB248_52 Depth=1
	s_or_b64 exec, exec, s[20:21]
	v_add_u32_e32 v4, 2, v4
	v_cmp_le_i32_e64 s[0:1], s52, v4
	v_lshl_add_u64 v[14:15], v[14:15], 0, 8
	v_add_u32_e32 v1, 16, v1
	s_or_b64 s[16:17], s[0:1], s[16:17]
	v_add_u32_e32 v5, 64, v5
	s_andn2_b64 exec, exec, s[16:17]
	s_cbranch_execz .LBB248_186
.LBB248_52:                             ; =>This Inner Loop Header: Depth=1
	v_sub_u32_e32 v16, 0, v1
	v_max_i32_e32 v16, v1, v16
	v_mul_hi_u32 v17, v16, s50
	v_mul_lo_u32 v18, v17, s37
	v_sub_u32_e32 v16, v16, v18
	v_add_u32_e32 v18, 1, v17
	v_cmp_le_u32_e64 s[0:1], s37, v16
	v_ashrrev_i32_e32 v10, 31, v1
	v_xor_b32_e32 v10, s51, v10
	v_cndmask_b32_e64 v17, v17, v18, s[0:1]
	v_subrev_u32_e32 v18, s37, v16
	v_cndmask_b32_e64 v16, v16, v18, s[0:1]
	v_add_u32_e32 v18, 1, v17
	v_cmp_le_u32_e64 s[0:1], s37, v16
	s_nop 1
	v_cndmask_b32_e64 v16, v17, v18, s[0:1]
	v_xor_b32_e32 v16, v16, v10
	v_sub_u32_e32 v10, v16, v10
	v_add_u32_e32 v16, s44, v10
	v_sub_u32_e32 v18, 0, v16
	v_ashrrev_i32_e32 v17, 31, v16
	v_max_i32_e32 v16, v16, v18
	v_mul_hi_u32 v18, v16, v26
	v_mul_lo_u32 v18, v18, s31
	v_sub_u32_e32 v16, v16, v18
	v_subrev_u32_e32 v18, s31, v16
	v_cmp_le_u32_e64 s[0:1], s31, v16
	v_cmp_lt_i32_e64 s[2:3], s5, v10
	s_nop 0
	v_cndmask_b32_e64 v16, v16, v18, s[0:1]
	v_subrev_u32_e32 v18, s31, v16
	v_cmp_le_u32_e64 s[0:1], s31, v16
	s_nop 1
	v_cndmask_b32_e64 v16, v16, v18, s[0:1]
	v_xor_b32_e32 v16, v16, v17
	v_sub_u32_e32 v16, v16, v17
	v_cmp_eq_u32_e64 s[0:1], 0, v16
	s_or_b64 s[0:1], s[0:1], s[2:3]
	s_and_saveexec_b64 s[20:21], s[0:1]
	s_cbranch_execz .LBB248_51
; %bb.53:                               ;   in Loop: Header=BB248_52 Depth=1
	ds_read2_b64 v[20:23], v5 offset1:1
	ds_read2_b64 v[32:35], v5 offset0:2 offset1:3
	v_mov_b64_e32 v[16:17], s[6:7]
                                        ; implicit-def: $sgpr24
	s_waitcnt lgkmcnt(1)
	;;#ASMSTART
	v_cvt_f16_f32 v19, v20;

	;;#ASMEND
	;;#ASMSTART
	v_cvt_f16_f32 v28, v21;

	;;#ASMEND
	;; [unrolled: 4-line block ×4, first 2 shown]
	s_waitcnt lgkmcnt(0)
	;;#ASMSTART
	v_cvt_f16_f32 v32, v32;

	;;#ASMEND
	;;#ASMSTART
	v_cvt_f16_f32 v33, v33;

	;;#ASMEND
	;; [unrolled: 4-line block ×4, first 2 shown]
	global_load_dword v10, v[14:15], off
	s_waitcnt vmcnt(0)
	v_mad_i64_i32 v[16:17], s[0:1], v10, s9, v[16:17]
	v_lshl_add_u64 v[22:23], v[16:17], 0, v[8:9]
	global_load_dwordx2 v[20:21], v[22:23], off
	global_load_dword v18, v11, s[18:19]
	s_mov_b64 s[0:1], 0
	s_waitcnt vmcnt(1)
	v_cmp_gt_i16_sdwa s[2:3], v20, s38 src0_sel:BYTE_0 src1_sel:DWORD
	s_and_saveexec_b64 s[22:23], s[2:3]
	s_xor_b64 s[2:3], exec, s[22:23]
	s_cbranch_execnz .LBB248_122
; %bb.54:                               ;   in Loop: Header=BB248_52 Depth=1
	s_or_saveexec_b64 s[2:3], s[2:3]
	v_mov_b32_e32 v22, s24
	s_xor_b64 exec, exec, s[2:3]
	s_cbranch_execnz .LBB248_125
.LBB248_55:                             ;   in Loop: Header=BB248_52 Depth=1
	s_or_b64 exec, exec, s[2:3]
	s_and_saveexec_b64 s[2:3], s[0:1]
	s_cbranch_execz .LBB248_57
.LBB248_56:                             ;   in Loop: Header=BB248_52 Depth=1
	v_and_b32_e32 v10, 7, v20
	v_ffbh_u32_e32 v10, v10
	v_bfe_u32 v22, v20, 3, 4
	v_min_u32_e32 v10, 32, v10
	v_subrev_u32_e32 v23, 28, v10
	v_sub_u32_e32 v10, 29, v10
	v_cmp_eq_u32_e64 s[0:1], 0, v22
	s_nop 1
	v_cndmask_b32_e64 v10, v22, v10, s[0:1]
	v_cndmask_b32_e64 v22, 0, v23, s[0:1]
	v_lshlrev_b64 v[22:23], v22, v[20:21]
	v_lshlrev_b32_e32 v23, 8, v20
	v_lshl_add_u32 v10, v10, 10, v27
	v_lshlrev_b32_e32 v22, 7, v22
	v_and_or_b32 v10, v23, s40, v10
	v_and_or_b32 v10, v22, s41, v10
	v_cvt_f32_f16_e32 v22, v10
.LBB248_57:                             ;   in Loop: Header=BB248_52 Depth=1
	s_or_b64 exec, exec, s[2:3]
	v_lshrrev_b16_e32 v10, 8, v20
	v_cmp_lt_i16_e64 s[0:1], s38, v10
	s_mov_b64 s[2:3], 0
                                        ; implicit-def: $sgpr26
	s_and_saveexec_b64 s[22:23], s[0:1]
	s_xor_b64 s[22:23], exec, s[22:23]
	s_cbranch_execnz .LBB248_126
; %bb.58:                               ;   in Loop: Header=BB248_52 Depth=1
	s_or_saveexec_b64 s[22:23], s[22:23]
	v_mov_b32_e32 v24, s26
	s_xor_b64 exec, exec, s[22:23]
	s_cbranch_execnz .LBB248_129
.LBB248_59:                             ;   in Loop: Header=BB248_52 Depth=1
	s_or_b64 exec, exec, s[22:23]
	s_and_saveexec_b64 s[22:23], s[2:3]
	s_cbranch_execz .LBB248_61
.LBB248_60:                             ;   in Loop: Header=BB248_52 Depth=1
	v_and_b32_e32 v23, 7, v10
	v_ffbh_u32_e32 v24, v23
	v_min_u32_e32 v36, 32, v24
	v_subrev_u32_e32 v24, 28, v36
	v_bfe_u32 v29, v10, 3, 4
	v_lshlrev_b64 v[24:25], v24, v[10:11]
	v_sub_u32_e32 v25, 29, v36
	v_cmp_eq_u32_e64 s[0:1], 0, v29
	v_and_b32_e32 v24, 7, v24
	v_lshlrev_b32_e32 v10, 8, v10
	v_cndmask_b32_e64 v25, v29, v25, s[0:1]
	v_cndmask_b32_e64 v23, v23, v24, s[0:1]
	v_lshl_add_u32 v24, v25, 10, v27
	v_and_or_b32 v10, v10, s40, v24
	v_lshl_or_b32 v10, v23, 7, v10
	v_cvt_f32_f16_e32 v24, v10
.LBB248_61:                             ;   in Loop: Header=BB248_52 Depth=1
	s_or_b64 exec, exec, s[22:23]
	v_lshrrev_b32_e32 v10, 16, v20
	v_cmp_gt_i16_sdwa s[2:3], v10, s38 src0_sel:BYTE_0 src1_sel:DWORD
	s_mov_b64 s[0:1], 0
                                        ; implicit-def: $sgpr24
	s_and_saveexec_b64 s[22:23], s[2:3]
	s_xor_b64 s[2:3], exec, s[22:23]
	s_cbranch_execnz .LBB248_130
; %bb.62:                               ;   in Loop: Header=BB248_52 Depth=1
	s_or_saveexec_b64 s[2:3], s[2:3]
	v_mov_b32_e32 v23, s24
	s_xor_b64 exec, exec, s[2:3]
	s_cbranch_execnz .LBB248_133
.LBB248_63:                             ;   in Loop: Header=BB248_52 Depth=1
	s_or_b64 exec, exec, s[2:3]
	s_and_saveexec_b64 s[2:3], s[0:1]
	s_cbranch_execz .LBB248_65
.LBB248_64:                             ;   in Loop: Header=BB248_52 Depth=1
	v_bfe_u32 v23, v20, 16, 3
	v_ffbh_u32_e32 v29, v23
	v_bfe_u32 v25, v20, 19, 4
	v_min_u32_e32 v29, 32, v29
	v_subrev_u32_e32 v36, 28, v29
	v_sub_u32_e32 v29, 29, v29
	v_cmp_eq_u32_e64 s[0:1], 0, v25
	v_lshlrev_b64 v[36:37], v36, v[10:11]
	v_and_b32_e32 v36, 7, v36
	v_cndmask_b32_e64 v25, v25, v29, s[0:1]
	v_lshlrev_b32_e32 v10, 8, v10
	v_lshl_add_u32 v25, v25, 10, v27
	v_cndmask_b32_e64 v23, v23, v36, s[0:1]
	v_and_or_b32 v10, v10, s40, v25
	v_lshl_or_b32 v10, v23, 7, v10
	v_cvt_f32_f16_e32 v23, v10
.LBB248_65:                             ;   in Loop: Header=BB248_52 Depth=1
	s_or_b64 exec, exec, s[2:3]
	v_lshrrev_b32_e32 v10, 24, v20
	v_cmp_lt_i16_e64 s[0:1], s38, v10
	s_mov_b64 s[2:3], 0
                                        ; implicit-def: $sgpr26
	s_and_saveexec_b64 s[22:23], s[0:1]
	s_xor_b64 s[22:23], exec, s[22:23]
	s_cbranch_execnz .LBB248_134
; %bb.66:                               ;   in Loop: Header=BB248_52 Depth=1
	s_or_saveexec_b64 s[22:23], s[22:23]
	v_mov_b32_e32 v25, s26
	s_xor_b64 exec, exec, s[22:23]
	s_cbranch_execnz .LBB248_137
.LBB248_67:                             ;   in Loop: Header=BB248_52 Depth=1
	s_or_b64 exec, exec, s[22:23]
	s_and_saveexec_b64 s[22:23], s[2:3]
	s_cbranch_execz .LBB248_69
.LBB248_68:                             ;   in Loop: Header=BB248_52 Depth=1
	v_bfe_u32 v25, v20, 24, 3
	v_ffbh_u32_e32 v29, v25
	v_bfe_u32 v20, v20, 27, 4
	v_min_u32_e32 v29, 32, v29
	v_subrev_u32_e32 v36, 28, v29
	v_sub_u32_e32 v29, 29, v29
	v_cmp_eq_u32_e64 s[0:1], 0, v20
	v_lshlrev_b64 v[36:37], v36, v[10:11]
	v_and_b32_e32 v36, 7, v36
	v_cndmask_b32_e64 v20, v20, v29, s[0:1]
	v_lshlrev_b32_e32 v10, 8, v10
	v_lshl_add_u32 v20, v20, 10, v27
	v_cndmask_b32_e64 v25, v25, v36, s[0:1]
	v_and_or_b32 v10, v10, s40, v20
	v_lshl_or_b32 v10, v25, 7, v10
	v_cvt_f32_f16_e32 v25, v10
.LBB248_69:                             ;   in Loop: Header=BB248_52 Depth=1
	s_or_b64 exec, exec, s[22:23]
	v_cmp_gt_i16_sdwa s[2:3], v21, s38 src0_sel:BYTE_0 src1_sel:DWORD
	s_mov_b64 s[0:1], 0
                                        ; implicit-def: $sgpr24
	s_and_saveexec_b64 s[22:23], s[2:3]
	s_xor_b64 s[2:3], exec, s[22:23]
	s_cbranch_execnz .LBB248_138
; %bb.70:                               ;   in Loop: Header=BB248_52 Depth=1
	s_or_saveexec_b64 s[2:3], s[2:3]
	v_mov_b32_e32 v20, s24
	s_xor_b64 exec, exec, s[2:3]
	s_cbranch_execnz .LBB248_141
.LBB248_71:                             ;   in Loop: Header=BB248_52 Depth=1
	s_or_b64 exec, exec, s[2:3]
	v_mov_b32_e32 v10, v21
	s_and_saveexec_b64 s[2:3], s[0:1]
	s_cbranch_execz .LBB248_73
.LBB248_72:                             ;   in Loop: Header=BB248_52 Depth=1
	v_and_b32_e32 v20, 7, v21
	v_ffbh_u32_e32 v20, v20
	v_bfe_u32 v29, v21, 3, 4
	v_min_u32_e32 v20, 32, v20
	v_subrev_u32_e32 v36, 28, v20
	v_sub_u32_e32 v20, 29, v20
	v_cmp_eq_u32_e64 s[0:1], 0, v29
	s_nop 1
	v_cndmask_b32_e64 v20, v29, v20, s[0:1]
	v_cndmask_b32_e64 v29, 0, v36, s[0:1]
	v_lshlrev_b64 v[36:37], v29, v[10:11]
	v_lshlrev_b32_e32 v29, 7, v36
	v_lshlrev_b32_e32 v36, 8, v21
	v_lshl_add_u32 v20, v20, 10, v27
	v_and_or_b32 v20, v36, s40, v20
	v_and_or_b32 v20, v29, s41, v20
	v_cvt_f32_f16_e32 v20, v20
.LBB248_73:                             ;   in Loop: Header=BB248_52 Depth=1
	s_or_b64 exec, exec, s[2:3]
	v_lshrrev_b16_e32 v10, 8, v10
	v_cmp_lt_i16_e64 s[0:1], s38, v10
	s_mov_b64 s[2:3], 0
                                        ; implicit-def: $sgpr26
	s_and_saveexec_b64 s[22:23], s[0:1]
	s_xor_b64 s[22:23], exec, s[22:23]
	s_cbranch_execnz .LBB248_142
; %bb.74:                               ;   in Loop: Header=BB248_52 Depth=1
	s_or_saveexec_b64 s[22:23], s[22:23]
	v_mov_b32_e32 v29, s26
	s_xor_b64 exec, exec, s[22:23]
	s_cbranch_execnz .LBB248_145
.LBB248_75:                             ;   in Loop: Header=BB248_52 Depth=1
	s_or_b64 exec, exec, s[22:23]
	s_and_saveexec_b64 s[22:23], s[2:3]
	s_cbranch_execz .LBB248_77
.LBB248_76:                             ;   in Loop: Header=BB248_52 Depth=1
	v_and_b32_e32 v29, 7, v10
	v_ffbh_u32_e32 v36, v29
	v_min_u32_e32 v39, 32, v36
	v_subrev_u32_e32 v36, 28, v39
	v_bfe_u32 v38, v10, 3, 4
	v_lshlrev_b64 v[36:37], v36, v[10:11]
	v_sub_u32_e32 v37, 29, v39
	v_cmp_eq_u32_e64 s[0:1], 0, v38
	v_and_b32_e32 v36, 7, v36
	v_lshlrev_b32_e32 v10, 8, v10
	v_cndmask_b32_e64 v37, v38, v37, s[0:1]
	v_cndmask_b32_e64 v29, v29, v36, s[0:1]
	v_lshl_add_u32 v36, v37, 10, v27
	v_and_or_b32 v10, v10, s40, v36
	v_lshl_or_b32 v10, v29, 7, v10
	v_cvt_f32_f16_e32 v29, v10
.LBB248_77:                             ;   in Loop: Header=BB248_52 Depth=1
	s_or_b64 exec, exec, s[22:23]
	v_lshrrev_b32_e32 v10, 16, v21
	v_cmp_gt_i16_sdwa s[2:3], v10, s38 src0_sel:BYTE_0 src1_sel:DWORD
	s_mov_b64 s[0:1], 0
                                        ; implicit-def: $sgpr24
	s_and_saveexec_b64 s[22:23], s[2:3]
	s_xor_b64 s[2:3], exec, s[22:23]
	s_cbranch_execnz .LBB248_146
; %bb.78:                               ;   in Loop: Header=BB248_52 Depth=1
	s_or_saveexec_b64 s[2:3], s[2:3]
	v_mov_b32_e32 v36, s24
	s_xor_b64 exec, exec, s[2:3]
	s_cbranch_execnz .LBB248_149
.LBB248_79:                             ;   in Loop: Header=BB248_52 Depth=1
	s_or_b64 exec, exec, s[2:3]
	s_and_saveexec_b64 s[2:3], s[0:1]
	s_cbranch_execz .LBB248_81
.LBB248_80:                             ;   in Loop: Header=BB248_52 Depth=1
	v_bfe_u32 v38, v21, 16, 3
	v_ffbh_u32_e32 v36, v38
	v_min_u32_e32 v40, 32, v36
	v_subrev_u32_e32 v36, 28, v40
	v_bfe_u32 v39, v21, 19, 4
	v_lshlrev_b64 v[36:37], v36, v[10:11]
	v_sub_u32_e32 v37, 29, v40
	v_cmp_eq_u32_e64 s[0:1], 0, v39
	v_and_b32_e32 v36, 7, v36
	v_lshlrev_b32_e32 v10, 8, v10
	v_cndmask_b32_e64 v37, v39, v37, s[0:1]
	v_lshl_add_u32 v37, v37, 10, v27
	v_cndmask_b32_e64 v36, v38, v36, s[0:1]
	v_and_or_b32 v10, v10, s40, v37
	v_lshl_or_b32 v10, v36, 7, v10
	v_cvt_f32_f16_e32 v36, v10
.LBB248_81:                             ;   in Loop: Header=BB248_52 Depth=1
	s_or_b64 exec, exec, s[2:3]
	v_lshrrev_b32_e32 v10, 24, v21
	v_cmp_lt_i16_e64 s[0:1], s38, v10
	s_mov_b64 s[2:3], 0
                                        ; implicit-def: $sgpr26
	s_and_saveexec_b64 s[22:23], s[0:1]
	s_xor_b64 s[22:23], exec, s[22:23]
	s_cbranch_execnz .LBB248_150
; %bb.82:                               ;   in Loop: Header=BB248_52 Depth=1
	s_or_saveexec_b64 s[22:23], s[22:23]
	v_mov_b32_e32 v37, s26
	s_xor_b64 exec, exec, s[22:23]
	s_cbranch_execnz .LBB248_153
.LBB248_83:                             ;   in Loop: Header=BB248_52 Depth=1
	s_or_b64 exec, exec, s[22:23]
	s_and_saveexec_b64 s[22:23], s[2:3]
	s_cbranch_execz .LBB248_85
.LBB248_84:                             ;   in Loop: Header=BB248_52 Depth=1
	v_bfe_u32 v37, v21, 24, 3
	v_ffbh_u32_e32 v38, v37
	v_min_u32_e32 v40, 32, v38
	v_subrev_u32_e32 v38, 28, v40
	v_bfe_u32 v21, v21, 27, 4
	v_lshlrev_b64 v[38:39], v38, v[10:11]
	v_sub_u32_e32 v39, 29, v40
	v_cmp_eq_u32_e64 s[0:1], 0, v21
	v_and_b32_e32 v38, 7, v38
	v_lshlrev_b32_e32 v10, 8, v10
	v_cndmask_b32_e64 v21, v21, v39, s[0:1]
	v_lshl_add_u32 v21, v21, 10, v27
	v_cndmask_b32_e64 v37, v37, v38, s[0:1]
	v_and_or_b32 v10, v10, s40, v21
	v_lshl_or_b32 v10, v37, 7, v10
	v_cvt_f32_f16_e32 v37, v10
.LBB248_85:                             ;   in Loop: Header=BB248_52 Depth=1
	s_or_b64 exec, exec, s[22:23]
	s_waitcnt vmcnt(0)
	v_pk_mul_f32 v[24:25], v[18:19], v[24:25] op_sel_hi:[0,1]
	v_pk_mul_f32 v[22:23], v[18:19], v[22:23] op_sel_hi:[0,1]
	v_cvt_f16_f32_e32 v10, v25
	v_cvt_f16_f32_e32 v21, v24
	v_cvt_f16_f32_e32 v23, v23
	v_cvt_f16_f32_e32 v22, v22
	v_fma_mixlo_f16 v20, v18, v20, 0
	v_pack_b32_f16 v21, v21, v10
	v_cmp_eq_u32_e64 s[2:3], s30, v4
	v_pack_b32_f16 v22, v22, v23
	v_perm_b32 v10, v22, v21, s42
	v_perm_b32 v21, v22, v21, s43
	v_fma_mixlo_f16 v22, v18, v29, 0
	v_lshlrev_b32_e32 v22, 16, v22
	v_or_b32_sdwa v20, v22, v20 dst_sel:DWORD dst_unused:UNUSED_PAD src0_sel:DWORD src1_sel:WORD_0
	v_fma_mixlo_f16 v22, v18, v36, 0
	v_fma_mixlo_f16 v18, v18, v37, 0
	v_lshlrev_b32_e32 v18, 16, v18
	v_or_b32_sdwa v18, v18, v22 dst_sel:DWORD dst_unused:UNUSED_PAD src0_sel:DWORD src1_sel:WORD_0
	s_and_saveexec_b64 s[22:23], s[2:3]
	s_cbranch_execz .LBB248_87
; %bb.86:                               ;   in Loop: Header=BB248_52 Depth=1
	v_add_u32_e32 v23, 1, v1
	v_lshrrev_b32_e32 v24, 16, v21
	v_cmp_gt_i32_e64 s[0:1], s36, v23
	v_lshrrev_b32_e32 v25, 16, v10
	v_lshrrev_b32_e32 v18, 16, v18
	v_cndmask_b32_e64 v23, 0, v24, s[0:1]
	v_cmp_gt_i32_e64 s[0:1], s33, v1
	v_or_b32_e32 v24, 2, v1
	s_nop 0
	v_cndmask_b32_e64 v21, 0, v21, s[0:1]
	v_perm_b32 v21, v23, v21, s45
	v_or_b32_e32 v23, 3, v1
	v_cmp_gt_i32_e64 s[0:1], s36, v23
	s_nop 1
	v_cndmask_b32_e64 v23, 0, v25, s[0:1]
	v_cmp_gt_i32_e64 s[0:1], s33, v24
	v_or_b32_e32 v24, 4, v1
	v_lshrrev_b32_e32 v25, 16, v20
	v_cndmask_b32_e64 v10, 0, v10, s[0:1]
	v_perm_b32 v10, v23, v10, s45
	v_or_b32_e32 v23, 5, v1
	v_cmp_gt_i32_e64 s[0:1], s36, v23
	s_nop 1
	v_cndmask_b32_e64 v23, 0, v25, s[0:1]
	v_cmp_gt_i32_e64 s[0:1], s33, v24
	v_or_b32_e32 v24, 6, v1
	s_nop 0
	v_cndmask_b32_e64 v20, 0, v20, s[0:1]
	v_perm_b32 v20, v23, v20, s45
	v_or_b32_e32 v23, 7, v1
	v_cmp_gt_i32_e64 s[0:1], s36, v23
	s_nop 1
	v_cndmask_b32_e64 v18, 0, v18, s[0:1]
	v_cmp_gt_i32_e64 s[0:1], s33, v24
	s_nop 1
	v_cndmask_b32_e64 v22, 0, v22, s[0:1]
	v_perm_b32 v18, v18, v22, s45
.LBB248_87:                             ;   in Loop: Header=BB248_52 Depth=1
	s_or_b64 exec, exec, s[22:23]
	v_and_b32_e32 v19, 0xffff, v19
	v_lshl_or_b32 v29, v28, 16, v19
	v_and_b32_e32 v19, 0xffff, v30
	v_lshl_or_b32 v28, v31, 16, v19
	;; [unrolled: 2-line block ×4, first 2 shown]
	;;#ASMSTART
	v_pk_mul_f16 v19, v29, v21;

	;;#ASMEND
	;;#ASMSTART
	v_pk_mul_f16 v10, v28, v10;

	;;#ASMEND
	;;#ASMSTART
	v_pk_mul_f16 v20, v25, v20;

	;;#ASMEND
	;;#ASMSTART
	v_pk_mul_f16 v18, v24, v18;

	;;#ASMEND
	s_nop 0
	;;#ASMSTART
	v_pk_add_f16 v10, v19, v10;

	;;#ASMEND
	s_nop 0
	;;#ASMSTART
	v_pk_add_f16 v10, v10, v20;

	;;#ASMEND
	;; [unrolled: 5-line block ×3, first 2 shown]
	s_nop 0
	v_lshrrev_b32_e32 v18, 16, v10
	v_and_b32_e32 v10, 0xffff, v10
	;;#ASMSTART
	v_cvt_f32_f16 v10, v10;
	;;#ASMEND
	;;#ASMSTART
	v_cvt_f32_f16 v18, v18;
	;;#ASMEND
	s_nop 0
	v_add_f32_e32 v10, v10, v18
	v_add_f32_e32 v6, v6, v10
	s_and_saveexec_b64 s[22:23], vcc
	s_cbranch_execz .LBB248_50
; %bb.88:                               ;   in Loop: Header=BB248_52 Depth=1
	v_lshl_add_u64 v[20:21], v[16:17], 0, v[12:13]
	global_load_dwordx2 v[18:19], v[20:21], off
	global_load_dword v16, v11, s[18:19]
	s_mov_b64 s[0:1], 0
                                        ; implicit-def: $sgpr28
	s_waitcnt vmcnt(1)
	v_cmp_gt_i16_sdwa s[24:25], v18, s38 src0_sel:BYTE_0 src1_sel:DWORD
	s_and_saveexec_b64 s[26:27], s[24:25]
	s_xor_b64 s[24:25], exec, s[26:27]
	s_cbranch_execnz .LBB248_154
; %bb.89:                               ;   in Loop: Header=BB248_52 Depth=1
	s_or_saveexec_b64 s[24:25], s[24:25]
	v_mov_b32_e32 v20, s28
	s_xor_b64 exec, exec, s[24:25]
	s_cbranch_execnz .LBB248_157
.LBB248_90:                             ;   in Loop: Header=BB248_52 Depth=1
	s_or_b64 exec, exec, s[24:25]
	s_and_saveexec_b64 s[24:25], s[0:1]
	s_cbranch_execz .LBB248_92
.LBB248_91:                             ;   in Loop: Header=BB248_52 Depth=1
	v_and_b32_e32 v10, 7, v18
	v_ffbh_u32_e32 v10, v10
	v_bfe_u32 v17, v18, 3, 4
	v_min_u32_e32 v10, 32, v10
	v_subrev_u32_e32 v20, 28, v10
	v_sub_u32_e32 v10, 29, v10
	v_cmp_eq_u32_e64 s[0:1], 0, v17
	s_nop 1
	v_cndmask_b32_e64 v10, v17, v10, s[0:1]
	v_cndmask_b32_e64 v17, 0, v20, s[0:1]
	v_lshlrev_b64 v[20:21], v17, v[18:19]
	v_lshlrev_b32_e32 v17, 7, v20
	v_lshlrev_b32_e32 v20, 8, v18
	v_lshl_add_u32 v10, v10, 10, v27
	v_and_or_b32 v10, v20, s40, v10
	v_and_or_b32 v10, v17, s41, v10
	v_cvt_f32_f16_e32 v20, v10
.LBB248_92:                             ;   in Loop: Header=BB248_52 Depth=1
	s_or_b64 exec, exec, s[24:25]
	v_lshrrev_b16_e32 v10, 8, v18
	v_cmp_lt_i16_e64 s[0:1], s38, v10
	s_mov_b64 s[24:25], 0
                                        ; implicit-def: $sgpr46
	s_and_saveexec_b64 s[26:27], s[0:1]
	s_xor_b64 s[26:27], exec, s[26:27]
	s_cbranch_execnz .LBB248_158
; %bb.93:                               ;   in Loop: Header=BB248_52 Depth=1
	s_or_saveexec_b64 s[26:27], s[26:27]
	v_mov_b32_e32 v22, s46
	s_xor_b64 exec, exec, s[26:27]
	s_cbranch_execnz .LBB248_161
.LBB248_94:                             ;   in Loop: Header=BB248_52 Depth=1
	s_or_b64 exec, exec, s[26:27]
	s_and_saveexec_b64 s[26:27], s[24:25]
	s_cbranch_execz .LBB248_96
.LBB248_95:                             ;   in Loop: Header=BB248_52 Depth=1
	v_and_b32_e32 v17, 7, v10
	v_ffbh_u32_e32 v22, v17
	v_min_u32_e32 v30, 32, v22
	v_subrev_u32_e32 v22, 28, v30
	v_bfe_u32 v21, v10, 3, 4
	v_lshlrev_b64 v[22:23], v22, v[10:11]
	v_sub_u32_e32 v23, 29, v30
	v_cmp_eq_u32_e64 s[0:1], 0, v21
	v_and_b32_e32 v22, 7, v22
	v_lshlrev_b32_e32 v10, 8, v10
	v_cndmask_b32_e64 v21, v21, v23, s[0:1]
	v_lshl_add_u32 v21, v21, 10, v27
	v_cndmask_b32_e64 v17, v17, v22, s[0:1]
	v_and_or_b32 v10, v10, s40, v21
	v_lshl_or_b32 v10, v17, 7, v10
	v_cvt_f32_f16_e32 v22, v10
.LBB248_96:                             ;   in Loop: Header=BB248_52 Depth=1
	s_or_b64 exec, exec, s[26:27]
	v_lshrrev_b32_e32 v10, 16, v18
	v_cmp_gt_i16_sdwa s[24:25], v10, s38 src0_sel:BYTE_0 src1_sel:DWORD
	s_mov_b64 s[0:1], 0
                                        ; implicit-def: $sgpr28
	s_and_saveexec_b64 s[26:27], s[24:25]
	s_xor_b64 s[24:25], exec, s[26:27]
	s_cbranch_execnz .LBB248_162
; %bb.97:                               ;   in Loop: Header=BB248_52 Depth=1
	s_or_saveexec_b64 s[24:25], s[24:25]
	v_mov_b32_e32 v21, s28
	s_xor_b64 exec, exec, s[24:25]
	s_cbranch_execnz .LBB248_165
.LBB248_98:                             ;   in Loop: Header=BB248_52 Depth=1
	s_or_b64 exec, exec, s[24:25]
	s_and_saveexec_b64 s[24:25], s[0:1]
	s_cbranch_execz .LBB248_100
.LBB248_99:                             ;   in Loop: Header=BB248_52 Depth=1
	v_bfe_u32 v17, v18, 16, 3
	v_ffbh_u32_e32 v23, v17
	v_bfe_u32 v21, v18, 19, 4
	v_min_u32_e32 v23, 32, v23
	v_subrev_u32_e32 v30, 28, v23
	v_sub_u32_e32 v23, 29, v23
	v_cmp_eq_u32_e64 s[0:1], 0, v21
	v_lshlrev_b64 v[30:31], v30, v[10:11]
	v_and_b32_e32 v30, 7, v30
	v_cndmask_b32_e64 v21, v21, v23, s[0:1]
	v_lshlrev_b32_e32 v10, 8, v10
	v_lshl_add_u32 v21, v21, 10, v27
	v_cndmask_b32_e64 v17, v17, v30, s[0:1]
	v_and_or_b32 v10, v10, s40, v21
	v_lshl_or_b32 v10, v17, 7, v10
	v_cvt_f32_f16_e32 v21, v10
.LBB248_100:                            ;   in Loop: Header=BB248_52 Depth=1
	s_or_b64 exec, exec, s[24:25]
	v_lshrrev_b32_e32 v10, 24, v18
	v_cmp_lt_i16_e64 s[0:1], s38, v10
	s_mov_b64 s[24:25], 0
                                        ; implicit-def: $sgpr46
	s_and_saveexec_b64 s[26:27], s[0:1]
	s_xor_b64 s[26:27], exec, s[26:27]
	s_cbranch_execnz .LBB248_166
; %bb.101:                              ;   in Loop: Header=BB248_52 Depth=1
	s_or_saveexec_b64 s[26:27], s[26:27]
	v_mov_b32_e32 v23, s46
	s_xor_b64 exec, exec, s[26:27]
	s_cbranch_execnz .LBB248_169
.LBB248_102:                            ;   in Loop: Header=BB248_52 Depth=1
	s_or_b64 exec, exec, s[26:27]
	s_and_saveexec_b64 s[26:27], s[24:25]
	s_cbranch_execz .LBB248_104
.LBB248_103:                            ;   in Loop: Header=BB248_52 Depth=1
	v_bfe_u32 v17, v18, 24, 3
	v_ffbh_u32_e32 v23, v17
	v_bfe_u32 v18, v18, 27, 4
	v_min_u32_e32 v23, 32, v23
	v_subrev_u32_e32 v30, 28, v23
	v_sub_u32_e32 v23, 29, v23
	v_cmp_eq_u32_e64 s[0:1], 0, v18
	v_lshlrev_b64 v[30:31], v30, v[10:11]
	v_and_b32_e32 v30, 7, v30
	v_cndmask_b32_e64 v18, v18, v23, s[0:1]
	v_lshlrev_b32_e32 v10, 8, v10
	v_lshl_add_u32 v18, v18, 10, v27
	v_cndmask_b32_e64 v17, v17, v30, s[0:1]
	v_and_or_b32 v10, v10, s40, v18
	v_lshl_or_b32 v10, v17, 7, v10
	v_cvt_f32_f16_e32 v23, v10
.LBB248_104:                            ;   in Loop: Header=BB248_52 Depth=1
	s_or_b64 exec, exec, s[26:27]
	v_cmp_gt_i16_sdwa s[24:25], v19, s38 src0_sel:BYTE_0 src1_sel:DWORD
	s_mov_b64 s[0:1], 0
                                        ; implicit-def: $sgpr28
	s_and_saveexec_b64 s[26:27], s[24:25]
	s_xor_b64 s[24:25], exec, s[26:27]
	s_cbranch_execnz .LBB248_170
; %bb.105:                              ;   in Loop: Header=BB248_52 Depth=1
	s_or_saveexec_b64 s[24:25], s[24:25]
	v_mov_b32_e32 v17, s28
	s_xor_b64 exec, exec, s[24:25]
	s_cbranch_execnz .LBB248_173
.LBB248_106:                            ;   in Loop: Header=BB248_52 Depth=1
	s_or_b64 exec, exec, s[24:25]
	v_mov_b32_e32 v10, v19
	s_and_saveexec_b64 s[24:25], s[0:1]
	s_cbranch_execz .LBB248_108
.LBB248_107:                            ;   in Loop: Header=BB248_52 Depth=1
	v_and_b32_e32 v17, 7, v19
	v_ffbh_u32_e32 v17, v17
	v_bfe_u32 v18, v19, 3, 4
	v_min_u32_e32 v17, 32, v17
	v_subrev_u32_e32 v30, 28, v17
	v_sub_u32_e32 v17, 29, v17
	v_cmp_eq_u32_e64 s[0:1], 0, v18
	s_nop 1
	v_cndmask_b32_e64 v17, v18, v17, s[0:1]
	v_cndmask_b32_e64 v18, 0, v30, s[0:1]
	v_lshlrev_b64 v[30:31], v18, v[10:11]
	v_lshlrev_b32_e32 v18, 7, v30
	v_lshlrev_b32_e32 v30, 8, v19
	v_lshl_add_u32 v17, v17, 10, v27
	v_and_or_b32 v17, v30, s40, v17
	v_and_or_b32 v17, v18, s41, v17
	v_cvt_f32_f16_e32 v17, v17
.LBB248_108:                            ;   in Loop: Header=BB248_52 Depth=1
	s_or_b64 exec, exec, s[24:25]
	v_lshrrev_b16_e32 v10, 8, v10
	v_cmp_lt_i16_e64 s[0:1], s38, v10
	s_mov_b64 s[24:25], 0
                                        ; implicit-def: $sgpr46
	s_and_saveexec_b64 s[26:27], s[0:1]
	s_xor_b64 s[26:27], exec, s[26:27]
	s_cbranch_execnz .LBB248_174
; %bb.109:                              ;   in Loop: Header=BB248_52 Depth=1
	s_or_saveexec_b64 s[26:27], s[26:27]
	v_mov_b32_e32 v18, s46
	s_xor_b64 exec, exec, s[26:27]
	s_cbranch_execnz .LBB248_177
.LBB248_110:                            ;   in Loop: Header=BB248_52 Depth=1
	s_or_b64 exec, exec, s[26:27]
	s_and_saveexec_b64 s[26:27], s[24:25]
	s_cbranch_execz .LBB248_112
.LBB248_111:                            ;   in Loop: Header=BB248_52 Depth=1
	v_and_b32_e32 v18, 7, v10
	v_ffbh_u32_e32 v30, v18
	v_min_u32_e32 v33, 32, v30
	v_subrev_u32_e32 v30, 28, v33
	v_bfe_u32 v32, v10, 3, 4
	v_lshlrev_b64 v[30:31], v30, v[10:11]
	v_sub_u32_e32 v31, 29, v33
	v_cmp_eq_u32_e64 s[0:1], 0, v32
	v_and_b32_e32 v30, 7, v30
	v_lshlrev_b32_e32 v10, 8, v10
	v_cndmask_b32_e64 v31, v32, v31, s[0:1]
	v_cndmask_b32_e64 v18, v18, v30, s[0:1]
	v_lshl_add_u32 v30, v31, 10, v27
	v_and_or_b32 v10, v10, s40, v30
	v_lshl_or_b32 v10, v18, 7, v10
	v_cvt_f32_f16_e32 v18, v10
.LBB248_112:                            ;   in Loop: Header=BB248_52 Depth=1
	s_or_b64 exec, exec, s[26:27]
	v_lshrrev_b32_e32 v10, 16, v19
	v_cmp_gt_i16_sdwa s[24:25], v10, s38 src0_sel:BYTE_0 src1_sel:DWORD
	s_mov_b64 s[0:1], 0
                                        ; implicit-def: $sgpr28
	s_and_saveexec_b64 s[26:27], s[24:25]
	s_xor_b64 s[24:25], exec, s[26:27]
	s_cbranch_execnz .LBB248_178
; %bb.113:                              ;   in Loop: Header=BB248_52 Depth=1
	s_or_saveexec_b64 s[24:25], s[24:25]
	v_mov_b32_e32 v30, s28
	s_xor_b64 exec, exec, s[24:25]
	s_cbranch_execnz .LBB248_181
.LBB248_114:                            ;   in Loop: Header=BB248_52 Depth=1
	s_or_b64 exec, exec, s[24:25]
	s_and_saveexec_b64 s[24:25], s[0:1]
	s_cbranch_execz .LBB248_116
.LBB248_115:                            ;   in Loop: Header=BB248_52 Depth=1
	v_bfe_u32 v32, v19, 16, 3
	v_ffbh_u32_e32 v30, v32
	v_min_u32_e32 v34, 32, v30
	v_subrev_u32_e32 v30, 28, v34
	v_bfe_u32 v33, v19, 19, 4
	v_lshlrev_b64 v[30:31], v30, v[10:11]
	v_sub_u32_e32 v31, 29, v34
	v_cmp_eq_u32_e64 s[0:1], 0, v33
	v_and_b32_e32 v30, 7, v30
	v_lshlrev_b32_e32 v10, 8, v10
	v_cndmask_b32_e64 v31, v33, v31, s[0:1]
	v_lshl_add_u32 v31, v31, 10, v27
	v_cndmask_b32_e64 v30, v32, v30, s[0:1]
	v_and_or_b32 v10, v10, s40, v31
	v_lshl_or_b32 v10, v30, 7, v10
	v_cvt_f32_f16_e32 v30, v10
.LBB248_116:                            ;   in Loop: Header=BB248_52 Depth=1
	s_or_b64 exec, exec, s[24:25]
	v_lshrrev_b32_e32 v10, 24, v19
	v_cmp_lt_i16_e64 s[0:1], s38, v10
	s_mov_b64 s[24:25], 0
                                        ; implicit-def: $sgpr46
	s_and_saveexec_b64 s[26:27], s[0:1]
	s_xor_b64 s[26:27], exec, s[26:27]
	s_cbranch_execnz .LBB248_182
; %bb.117:                              ;   in Loop: Header=BB248_52 Depth=1
	s_or_saveexec_b64 s[26:27], s[26:27]
	v_mov_b32_e32 v31, s46
	s_xor_b64 exec, exec, s[26:27]
	s_cbranch_execnz .LBB248_185
.LBB248_118:                            ;   in Loop: Header=BB248_52 Depth=1
	s_or_b64 exec, exec, s[26:27]
	s_and_saveexec_b64 s[26:27], s[24:25]
	s_cbranch_execz .LBB248_120
.LBB248_119:                            ;   in Loop: Header=BB248_52 Depth=1
	v_bfe_u32 v31, v19, 24, 3
	v_ffbh_u32_e32 v32, v31
	v_min_u32_e32 v34, 32, v32
	v_subrev_u32_e32 v32, 28, v34
	v_bfe_u32 v19, v19, 27, 4
	v_lshlrev_b64 v[32:33], v32, v[10:11]
	v_sub_u32_e32 v33, 29, v34
	v_cmp_eq_u32_e64 s[0:1], 0, v19
	v_and_b32_e32 v32, 7, v32
	v_lshlrev_b32_e32 v10, 8, v10
	v_cndmask_b32_e64 v19, v19, v33, s[0:1]
	v_lshl_add_u32 v19, v19, 10, v27
	v_cndmask_b32_e64 v31, v31, v32, s[0:1]
	v_and_or_b32 v10, v10, s40, v19
	v_lshl_or_b32 v10, v31, 7, v10
	v_cvt_f32_f16_e32 v31, v10
.LBB248_120:                            ;   in Loop: Header=BB248_52 Depth=1
	s_or_b64 exec, exec, s[26:27]
	s_waitcnt vmcnt(0)
	v_pk_mul_f32 v[22:23], v[16:17], v[22:23] op_sel_hi:[0,1]
	v_pk_mul_f32 v[20:21], v[16:17], v[20:21] op_sel_hi:[0,1]
	v_cvt_f16_f32_e32 v10, v23
	v_cvt_f16_f32_e32 v19, v22
	;; [unrolled: 1-line block ×4, first 2 shown]
	v_fma_mixlo_f16 v18, v16, v18, 0
	v_lshlrev_b32_e32 v18, 16, v18
	v_fma_mixlo_f16 v17, v16, v17, 0
	v_or_b32_sdwa v17, v18, v17 dst_sel:DWORD dst_unused:UNUSED_PAD src0_sel:DWORD src1_sel:WORD_0
	v_fma_mixlo_f16 v18, v16, v30, 0
	v_fma_mixlo_f16 v16, v16, v31, 0
	v_pack_b32_f16 v19, v19, v10
	v_pack_b32_f16 v20, v20, v21
	v_lshlrev_b32_e32 v16, 16, v16
	v_perm_b32 v10, v20, v19, s42
	v_perm_b32 v19, v20, v19, s43
	v_or_b32_sdwa v16, v16, v18 dst_sel:DWORD dst_unused:UNUSED_PAD src0_sel:DWORD src1_sel:WORD_0
	s_and_saveexec_b64 s[24:25], s[2:3]
	s_cbranch_execz .LBB248_49
; %bb.121:                              ;   in Loop: Header=BB248_52 Depth=1
	v_add_u32_e32 v20, 1, v1
	v_lshrrev_b32_e32 v21, 16, v19
	v_cmp_gt_i32_e64 s[0:1], s36, v20
	v_lshrrev_b32_e32 v22, 16, v10
	v_lshrrev_b32_e32 v16, 16, v16
	v_cndmask_b32_e64 v20, 0, v21, s[0:1]
	v_cmp_gt_i32_e64 s[0:1], s33, v1
	v_or_b32_e32 v21, 2, v1
	s_nop 0
	v_cndmask_b32_e64 v19, 0, v19, s[0:1]
	v_perm_b32 v19, v20, v19, s45
	v_or_b32_e32 v20, 3, v1
	v_cmp_gt_i32_e64 s[0:1], s36, v20
	s_nop 1
	v_cndmask_b32_e64 v20, 0, v22, s[0:1]
	v_cmp_gt_i32_e64 s[0:1], s33, v21
	v_or_b32_e32 v21, 4, v1
	v_lshrrev_b32_e32 v22, 16, v17
	v_cndmask_b32_e64 v10, 0, v10, s[0:1]
	v_perm_b32 v10, v20, v10, s45
	v_or_b32_e32 v20, 5, v1
	v_cmp_gt_i32_e64 s[0:1], s36, v20
	s_nop 1
	v_cndmask_b32_e64 v20, 0, v22, s[0:1]
	v_cmp_gt_i32_e64 s[0:1], s33, v21
	v_or_b32_e32 v21, 6, v1
	s_nop 0
	v_cndmask_b32_e64 v17, 0, v17, s[0:1]
	v_perm_b32 v17, v20, v17, s45
	v_or_b32_e32 v20, 7, v1
	v_cmp_gt_i32_e64 s[0:1], s36, v20
	s_nop 1
	v_cndmask_b32_e64 v16, 0, v16, s[0:1]
	v_cmp_gt_i32_e64 s[0:1], s33, v21
	s_nop 1
	v_cndmask_b32_e64 v18, 0, v18, s[0:1]
	v_perm_b32 v16, v16, v18, s45
	s_branch .LBB248_49
.LBB248_122:                            ;   in Loop: Header=BB248_52 Depth=1
	v_cmp_eq_u16_sdwa s[26:27], v20, s39 src0_sel:BYTE_0 src1_sel:DWORD
	s_mov_b64 s[0:1], -1
                                        ; implicit-def: $sgpr24
	s_and_saveexec_b64 s[22:23], s[26:27]
; %bb.123:                              ;   in Loop: Header=BB248_52 Depth=1
	s_mov_b32 s24, 0x7fc02000
	s_xor_b64 s[0:1], exec, -1
; %bb.124:                              ;   in Loop: Header=BB248_52 Depth=1
	s_or_b64 exec, exec, s[22:23]
	s_and_b64 s[0:1], s[0:1], exec
	s_or_saveexec_b64 s[2:3], s[2:3]
	v_mov_b32_e32 v22, s24
	s_xor_b64 exec, exec, s[2:3]
	s_cbranch_execz .LBB248_55
.LBB248_125:                            ;   in Loop: Header=BB248_52 Depth=1
	v_cmp_ne_u16_sdwa s[22:23], v20, v11 src0_sel:BYTE_0 src1_sel:DWORD
	s_andn2_b64 s[0:1], s[0:1], exec
	s_and_b64 s[22:23], s[22:23], exec
	v_mov_b32_e32 v22, 0
	s_or_b64 s[0:1], s[0:1], s[22:23]
	s_or_b64 exec, exec, s[2:3]
	s_and_saveexec_b64 s[2:3], s[0:1]
	s_cbranch_execnz .LBB248_56
	s_branch .LBB248_57
.LBB248_126:                            ;   in Loop: Header=BB248_52 Depth=1
	v_cmp_eq_u16_e64 s[0:1], s39, v10
	s_mov_b64 s[2:3], -1
                                        ; implicit-def: $sgpr26
	s_and_saveexec_b64 s[24:25], s[0:1]
; %bb.127:                              ;   in Loop: Header=BB248_52 Depth=1
	s_mov_b32 s26, 0x7fc02000
	s_xor_b64 s[2:3], exec, -1
; %bb.128:                              ;   in Loop: Header=BB248_52 Depth=1
	s_or_b64 exec, exec, s[24:25]
	s_and_b64 s[2:3], s[2:3], exec
	s_or_saveexec_b64 s[22:23], s[22:23]
	v_mov_b32_e32 v24, s26
	s_xor_b64 exec, exec, s[22:23]
	s_cbranch_execz .LBB248_59
.LBB248_129:                            ;   in Loop: Header=BB248_52 Depth=1
	v_cmp_ne_u16_e64 s[0:1], 0, v10
	s_andn2_b64 s[2:3], s[2:3], exec
	s_and_b64 s[0:1], s[0:1], exec
	v_mov_b32_e32 v24, 0
	s_or_b64 s[2:3], s[2:3], s[0:1]
	s_or_b64 exec, exec, s[22:23]
	s_and_saveexec_b64 s[22:23], s[2:3]
	s_cbranch_execnz .LBB248_60
	s_branch .LBB248_61
.LBB248_130:                            ;   in Loop: Header=BB248_52 Depth=1
	v_cmp_eq_u16_sdwa s[26:27], v10, s39 src0_sel:BYTE_0 src1_sel:DWORD
	s_mov_b64 s[0:1], -1
                                        ; implicit-def: $sgpr24
	s_and_saveexec_b64 s[22:23], s[26:27]
; %bb.131:                              ;   in Loop: Header=BB248_52 Depth=1
	s_mov_b32 s24, 0x7fc02000
	s_xor_b64 s[0:1], exec, -1
; %bb.132:                              ;   in Loop: Header=BB248_52 Depth=1
	s_or_b64 exec, exec, s[22:23]
	s_and_b64 s[0:1], s[0:1], exec
	s_or_saveexec_b64 s[2:3], s[2:3]
	v_mov_b32_e32 v23, s24
	s_xor_b64 exec, exec, s[2:3]
	s_cbranch_execz .LBB248_63
.LBB248_133:                            ;   in Loop: Header=BB248_52 Depth=1
	v_cmp_ne_u16_sdwa s[22:23], v10, v11 src0_sel:BYTE_0 src1_sel:DWORD
	s_andn2_b64 s[0:1], s[0:1], exec
	s_and_b64 s[22:23], s[22:23], exec
	v_mov_b32_e32 v23, 0
	s_or_b64 s[0:1], s[0:1], s[22:23]
	s_or_b64 exec, exec, s[2:3]
	s_and_saveexec_b64 s[2:3], s[0:1]
	s_cbranch_execnz .LBB248_64
	s_branch .LBB248_65
.LBB248_134:                            ;   in Loop: Header=BB248_52 Depth=1
	v_cmp_eq_u16_e64 s[0:1], s39, v10
	s_mov_b64 s[2:3], -1
                                        ; implicit-def: $sgpr26
	s_and_saveexec_b64 s[24:25], s[0:1]
; %bb.135:                              ;   in Loop: Header=BB248_52 Depth=1
	s_mov_b32 s26, 0x7fc02000
	s_xor_b64 s[2:3], exec, -1
; %bb.136:                              ;   in Loop: Header=BB248_52 Depth=1
	s_or_b64 exec, exec, s[24:25]
	s_and_b64 s[2:3], s[2:3], exec
	s_or_saveexec_b64 s[22:23], s[22:23]
	v_mov_b32_e32 v25, s26
	s_xor_b64 exec, exec, s[22:23]
	s_cbranch_execz .LBB248_67
.LBB248_137:                            ;   in Loop: Header=BB248_52 Depth=1
	v_cmp_ne_u16_e64 s[0:1], 0, v10
	s_andn2_b64 s[2:3], s[2:3], exec
	s_and_b64 s[0:1], s[0:1], exec
	v_mov_b32_e32 v25, 0
	s_or_b64 s[2:3], s[2:3], s[0:1]
	s_or_b64 exec, exec, s[22:23]
	s_and_saveexec_b64 s[22:23], s[2:3]
	s_cbranch_execnz .LBB248_68
	s_branch .LBB248_69
.LBB248_138:                            ;   in Loop: Header=BB248_52 Depth=1
	v_cmp_eq_u16_sdwa s[26:27], v21, s39 src0_sel:BYTE_0 src1_sel:DWORD
	s_mov_b64 s[0:1], -1
                                        ; implicit-def: $sgpr24
	s_and_saveexec_b64 s[22:23], s[26:27]
; %bb.139:                              ;   in Loop: Header=BB248_52 Depth=1
	s_mov_b32 s24, 0x7fc02000
	s_xor_b64 s[0:1], exec, -1
; %bb.140:                              ;   in Loop: Header=BB248_52 Depth=1
	s_or_b64 exec, exec, s[22:23]
	s_and_b64 s[0:1], s[0:1], exec
	s_or_saveexec_b64 s[2:3], s[2:3]
	v_mov_b32_e32 v20, s24
	s_xor_b64 exec, exec, s[2:3]
	s_cbranch_execz .LBB248_71
.LBB248_141:                            ;   in Loop: Header=BB248_52 Depth=1
	v_cmp_ne_u16_sdwa s[22:23], v21, v11 src0_sel:BYTE_0 src1_sel:DWORD
	s_andn2_b64 s[0:1], s[0:1], exec
	s_and_b64 s[22:23], s[22:23], exec
	v_mov_b32_e32 v20, 0
	s_or_b64 s[0:1], s[0:1], s[22:23]
	s_or_b64 exec, exec, s[2:3]
	v_mov_b32_e32 v10, v21
	s_and_saveexec_b64 s[2:3], s[0:1]
	s_cbranch_execnz .LBB248_72
	s_branch .LBB248_73
.LBB248_142:                            ;   in Loop: Header=BB248_52 Depth=1
	v_cmp_eq_u16_e64 s[0:1], s39, v10
	s_mov_b64 s[2:3], -1
                                        ; implicit-def: $sgpr26
	s_and_saveexec_b64 s[24:25], s[0:1]
; %bb.143:                              ;   in Loop: Header=BB248_52 Depth=1
	s_mov_b32 s26, 0x7fc02000
	s_xor_b64 s[2:3], exec, -1
; %bb.144:                              ;   in Loop: Header=BB248_52 Depth=1
	s_or_b64 exec, exec, s[24:25]
	s_and_b64 s[2:3], s[2:3], exec
	s_or_saveexec_b64 s[22:23], s[22:23]
	v_mov_b32_e32 v29, s26
	s_xor_b64 exec, exec, s[22:23]
	s_cbranch_execz .LBB248_75
.LBB248_145:                            ;   in Loop: Header=BB248_52 Depth=1
	v_cmp_ne_u16_e64 s[0:1], 0, v10
	s_andn2_b64 s[2:3], s[2:3], exec
	s_and_b64 s[0:1], s[0:1], exec
	v_mov_b32_e32 v29, 0
	s_or_b64 s[2:3], s[2:3], s[0:1]
	s_or_b64 exec, exec, s[22:23]
	s_and_saveexec_b64 s[22:23], s[2:3]
	s_cbranch_execnz .LBB248_76
	s_branch .LBB248_77
.LBB248_146:                            ;   in Loop: Header=BB248_52 Depth=1
	v_cmp_eq_u16_sdwa s[26:27], v10, s39 src0_sel:BYTE_0 src1_sel:DWORD
	s_mov_b64 s[0:1], -1
                                        ; implicit-def: $sgpr24
	s_and_saveexec_b64 s[22:23], s[26:27]
; %bb.147:                              ;   in Loop: Header=BB248_52 Depth=1
	s_mov_b32 s24, 0x7fc02000
	s_xor_b64 s[0:1], exec, -1
; %bb.148:                              ;   in Loop: Header=BB248_52 Depth=1
	s_or_b64 exec, exec, s[22:23]
	s_and_b64 s[0:1], s[0:1], exec
	s_or_saveexec_b64 s[2:3], s[2:3]
	v_mov_b32_e32 v36, s24
	s_xor_b64 exec, exec, s[2:3]
	s_cbranch_execz .LBB248_79
.LBB248_149:                            ;   in Loop: Header=BB248_52 Depth=1
	v_cmp_ne_u16_sdwa s[22:23], v10, v11 src0_sel:BYTE_0 src1_sel:DWORD
	s_andn2_b64 s[0:1], s[0:1], exec
	s_and_b64 s[22:23], s[22:23], exec
	v_mov_b32_e32 v36, 0
	s_or_b64 s[0:1], s[0:1], s[22:23]
	s_or_b64 exec, exec, s[2:3]
	s_and_saveexec_b64 s[2:3], s[0:1]
	s_cbranch_execnz .LBB248_80
	s_branch .LBB248_81
.LBB248_150:                            ;   in Loop: Header=BB248_52 Depth=1
	v_cmp_eq_u16_e64 s[0:1], s39, v10
	s_mov_b64 s[2:3], -1
                                        ; implicit-def: $sgpr26
	s_and_saveexec_b64 s[24:25], s[0:1]
; %bb.151:                              ;   in Loop: Header=BB248_52 Depth=1
	s_mov_b32 s26, 0x7fc02000
	s_xor_b64 s[2:3], exec, -1
; %bb.152:                              ;   in Loop: Header=BB248_52 Depth=1
	s_or_b64 exec, exec, s[24:25]
	s_and_b64 s[2:3], s[2:3], exec
	s_or_saveexec_b64 s[22:23], s[22:23]
	v_mov_b32_e32 v37, s26
	s_xor_b64 exec, exec, s[22:23]
	s_cbranch_execz .LBB248_83
.LBB248_153:                            ;   in Loop: Header=BB248_52 Depth=1
	v_cmp_ne_u16_e64 s[0:1], 0, v10
	s_andn2_b64 s[2:3], s[2:3], exec
	s_and_b64 s[0:1], s[0:1], exec
	v_mov_b32_e32 v37, 0
	s_or_b64 s[2:3], s[2:3], s[0:1]
	s_or_b64 exec, exec, s[22:23]
	s_and_saveexec_b64 s[22:23], s[2:3]
	s_cbranch_execnz .LBB248_84
	s_branch .LBB248_85
.LBB248_154:                            ;   in Loop: Header=BB248_52 Depth=1
	v_cmp_eq_u16_sdwa s[46:47], v18, s39 src0_sel:BYTE_0 src1_sel:DWORD
	s_mov_b64 s[0:1], -1
                                        ; implicit-def: $sgpr28
	s_and_saveexec_b64 s[26:27], s[46:47]
; %bb.155:                              ;   in Loop: Header=BB248_52 Depth=1
	s_mov_b32 s28, 0x7fc02000
	s_xor_b64 s[0:1], exec, -1
; %bb.156:                              ;   in Loop: Header=BB248_52 Depth=1
	s_or_b64 exec, exec, s[26:27]
	s_and_b64 s[0:1], s[0:1], exec
	s_or_saveexec_b64 s[24:25], s[24:25]
	v_mov_b32_e32 v20, s28
	s_xor_b64 exec, exec, s[24:25]
	s_cbranch_execz .LBB248_90
.LBB248_157:                            ;   in Loop: Header=BB248_52 Depth=1
	v_cmp_ne_u16_sdwa s[26:27], v18, v11 src0_sel:BYTE_0 src1_sel:DWORD
	s_andn2_b64 s[0:1], s[0:1], exec
	s_and_b64 s[26:27], s[26:27], exec
	v_mov_b32_e32 v20, 0
	s_or_b64 s[0:1], s[0:1], s[26:27]
	s_or_b64 exec, exec, s[24:25]
	s_and_saveexec_b64 s[24:25], s[0:1]
	s_cbranch_execnz .LBB248_91
	s_branch .LBB248_92
.LBB248_158:                            ;   in Loop: Header=BB248_52 Depth=1
	v_cmp_eq_u16_e64 s[0:1], s39, v10
	s_mov_b64 s[24:25], -1
                                        ; implicit-def: $sgpr46
	s_and_saveexec_b64 s[28:29], s[0:1]
; %bb.159:                              ;   in Loop: Header=BB248_52 Depth=1
	s_mov_b32 s46, 0x7fc02000
	s_xor_b64 s[24:25], exec, -1
; %bb.160:                              ;   in Loop: Header=BB248_52 Depth=1
	s_or_b64 exec, exec, s[28:29]
	s_and_b64 s[24:25], s[24:25], exec
	s_or_saveexec_b64 s[26:27], s[26:27]
	v_mov_b32_e32 v22, s46
	s_xor_b64 exec, exec, s[26:27]
	s_cbranch_execz .LBB248_94
.LBB248_161:                            ;   in Loop: Header=BB248_52 Depth=1
	v_cmp_ne_u16_e64 s[0:1], 0, v10
	s_andn2_b64 s[24:25], s[24:25], exec
	s_and_b64 s[0:1], s[0:1], exec
	v_mov_b32_e32 v22, 0
	s_or_b64 s[24:25], s[24:25], s[0:1]
	s_or_b64 exec, exec, s[26:27]
	s_and_saveexec_b64 s[26:27], s[24:25]
	s_cbranch_execnz .LBB248_95
	s_branch .LBB248_96
.LBB248_162:                            ;   in Loop: Header=BB248_52 Depth=1
	v_cmp_eq_u16_sdwa s[46:47], v10, s39 src0_sel:BYTE_0 src1_sel:DWORD
	s_mov_b64 s[0:1], -1
                                        ; implicit-def: $sgpr28
	s_and_saveexec_b64 s[26:27], s[46:47]
; %bb.163:                              ;   in Loop: Header=BB248_52 Depth=1
	s_mov_b32 s28, 0x7fc02000
	s_xor_b64 s[0:1], exec, -1
; %bb.164:                              ;   in Loop: Header=BB248_52 Depth=1
	s_or_b64 exec, exec, s[26:27]
	s_and_b64 s[0:1], s[0:1], exec
	s_or_saveexec_b64 s[24:25], s[24:25]
	v_mov_b32_e32 v21, s28
	s_xor_b64 exec, exec, s[24:25]
	s_cbranch_execz .LBB248_98
.LBB248_165:                            ;   in Loop: Header=BB248_52 Depth=1
	v_cmp_ne_u16_sdwa s[26:27], v10, v11 src0_sel:BYTE_0 src1_sel:DWORD
	s_andn2_b64 s[0:1], s[0:1], exec
	s_and_b64 s[26:27], s[26:27], exec
	v_mov_b32_e32 v21, 0
	s_or_b64 s[0:1], s[0:1], s[26:27]
	s_or_b64 exec, exec, s[24:25]
	s_and_saveexec_b64 s[24:25], s[0:1]
	s_cbranch_execnz .LBB248_99
	s_branch .LBB248_100
.LBB248_166:                            ;   in Loop: Header=BB248_52 Depth=1
	v_cmp_eq_u16_e64 s[0:1], s39, v10
	s_mov_b64 s[24:25], -1
                                        ; implicit-def: $sgpr46
	s_and_saveexec_b64 s[28:29], s[0:1]
; %bb.167:                              ;   in Loop: Header=BB248_52 Depth=1
	s_mov_b32 s46, 0x7fc02000
	s_xor_b64 s[24:25], exec, -1
; %bb.168:                              ;   in Loop: Header=BB248_52 Depth=1
	s_or_b64 exec, exec, s[28:29]
	s_and_b64 s[24:25], s[24:25], exec
	s_or_saveexec_b64 s[26:27], s[26:27]
	v_mov_b32_e32 v23, s46
	s_xor_b64 exec, exec, s[26:27]
	s_cbranch_execz .LBB248_102
.LBB248_169:                            ;   in Loop: Header=BB248_52 Depth=1
	v_cmp_ne_u16_e64 s[0:1], 0, v10
	s_andn2_b64 s[24:25], s[24:25], exec
	s_and_b64 s[0:1], s[0:1], exec
	v_mov_b32_e32 v23, 0
	s_or_b64 s[24:25], s[24:25], s[0:1]
	s_or_b64 exec, exec, s[26:27]
	s_and_saveexec_b64 s[26:27], s[24:25]
	s_cbranch_execnz .LBB248_103
	s_branch .LBB248_104
.LBB248_170:                            ;   in Loop: Header=BB248_52 Depth=1
	v_cmp_eq_u16_sdwa s[46:47], v19, s39 src0_sel:BYTE_0 src1_sel:DWORD
	s_mov_b64 s[0:1], -1
                                        ; implicit-def: $sgpr28
	s_and_saveexec_b64 s[26:27], s[46:47]
; %bb.171:                              ;   in Loop: Header=BB248_52 Depth=1
	s_mov_b32 s28, 0x7fc02000
	s_xor_b64 s[0:1], exec, -1
; %bb.172:                              ;   in Loop: Header=BB248_52 Depth=1
	s_or_b64 exec, exec, s[26:27]
	s_and_b64 s[0:1], s[0:1], exec
	s_or_saveexec_b64 s[24:25], s[24:25]
	v_mov_b32_e32 v17, s28
	s_xor_b64 exec, exec, s[24:25]
	s_cbranch_execz .LBB248_106
.LBB248_173:                            ;   in Loop: Header=BB248_52 Depth=1
	v_cmp_ne_u16_sdwa s[26:27], v19, v11 src0_sel:BYTE_0 src1_sel:DWORD
	s_andn2_b64 s[0:1], s[0:1], exec
	s_and_b64 s[26:27], s[26:27], exec
	v_mov_b32_e32 v17, 0
	s_or_b64 s[0:1], s[0:1], s[26:27]
	s_or_b64 exec, exec, s[24:25]
	v_mov_b32_e32 v10, v19
	s_and_saveexec_b64 s[24:25], s[0:1]
	s_cbranch_execnz .LBB248_107
	s_branch .LBB248_108
.LBB248_174:                            ;   in Loop: Header=BB248_52 Depth=1
	v_cmp_eq_u16_e64 s[0:1], s39, v10
	s_mov_b64 s[24:25], -1
                                        ; implicit-def: $sgpr46
	s_and_saveexec_b64 s[28:29], s[0:1]
; %bb.175:                              ;   in Loop: Header=BB248_52 Depth=1
	s_mov_b32 s46, 0x7fc02000
	s_xor_b64 s[24:25], exec, -1
; %bb.176:                              ;   in Loop: Header=BB248_52 Depth=1
	s_or_b64 exec, exec, s[28:29]
	s_and_b64 s[24:25], s[24:25], exec
	s_or_saveexec_b64 s[26:27], s[26:27]
	v_mov_b32_e32 v18, s46
	s_xor_b64 exec, exec, s[26:27]
	s_cbranch_execz .LBB248_110
.LBB248_177:                            ;   in Loop: Header=BB248_52 Depth=1
	v_cmp_ne_u16_e64 s[0:1], 0, v10
	s_andn2_b64 s[24:25], s[24:25], exec
	s_and_b64 s[0:1], s[0:1], exec
	v_mov_b32_e32 v18, 0
	s_or_b64 s[24:25], s[24:25], s[0:1]
	s_or_b64 exec, exec, s[26:27]
	s_and_saveexec_b64 s[26:27], s[24:25]
	s_cbranch_execnz .LBB248_111
	s_branch .LBB248_112
.LBB248_178:                            ;   in Loop: Header=BB248_52 Depth=1
	v_cmp_eq_u16_sdwa s[46:47], v10, s39 src0_sel:BYTE_0 src1_sel:DWORD
	s_mov_b64 s[0:1], -1
                                        ; implicit-def: $sgpr28
	s_and_saveexec_b64 s[26:27], s[46:47]
; %bb.179:                              ;   in Loop: Header=BB248_52 Depth=1
	s_mov_b32 s28, 0x7fc02000
	s_xor_b64 s[0:1], exec, -1
; %bb.180:                              ;   in Loop: Header=BB248_52 Depth=1
	s_or_b64 exec, exec, s[26:27]
	s_and_b64 s[0:1], s[0:1], exec
	s_or_saveexec_b64 s[24:25], s[24:25]
	v_mov_b32_e32 v30, s28
	s_xor_b64 exec, exec, s[24:25]
	s_cbranch_execz .LBB248_114
.LBB248_181:                            ;   in Loop: Header=BB248_52 Depth=1
	v_cmp_ne_u16_sdwa s[26:27], v10, v11 src0_sel:BYTE_0 src1_sel:DWORD
	s_andn2_b64 s[0:1], s[0:1], exec
	s_and_b64 s[26:27], s[26:27], exec
	v_mov_b32_e32 v30, 0
	s_or_b64 s[0:1], s[0:1], s[26:27]
	s_or_b64 exec, exec, s[24:25]
	s_and_saveexec_b64 s[24:25], s[0:1]
	s_cbranch_execnz .LBB248_115
	s_branch .LBB248_116
.LBB248_182:                            ;   in Loop: Header=BB248_52 Depth=1
	v_cmp_eq_u16_e64 s[0:1], s39, v10
	s_mov_b64 s[24:25], -1
                                        ; implicit-def: $sgpr46
	s_and_saveexec_b64 s[28:29], s[0:1]
; %bb.183:                              ;   in Loop: Header=BB248_52 Depth=1
	s_mov_b32 s46, 0x7fc02000
	s_xor_b64 s[24:25], exec, -1
; %bb.184:                              ;   in Loop: Header=BB248_52 Depth=1
	s_or_b64 exec, exec, s[28:29]
	s_and_b64 s[24:25], s[24:25], exec
	s_or_saveexec_b64 s[26:27], s[26:27]
	v_mov_b32_e32 v31, s46
	s_xor_b64 exec, exec, s[26:27]
	s_cbranch_execz .LBB248_118
.LBB248_185:                            ;   in Loop: Header=BB248_52 Depth=1
	v_cmp_ne_u16_e64 s[0:1], 0, v10
	s_andn2_b64 s[24:25], s[24:25], exec
	s_and_b64 s[0:1], s[0:1], exec
	v_mov_b32_e32 v31, 0
	s_or_b64 s[24:25], s[24:25], s[0:1]
	s_or_b64 exec, exec, s[26:27]
	s_and_saveexec_b64 s[26:27], s[24:25]
	s_cbranch_execnz .LBB248_119
	s_branch .LBB248_120
.LBB248_186:
	s_or_b64 exec, exec, s[16:17]
.LBB248_187:
	s_or_b64 exec, exec, s[12:13]
	v_and_b32_e32 v1, 0x3c0, v0
	v_cmp_eq_u32_e32 vcc, 64, v1
	s_barrier
	s_and_saveexec_b64 s[0:1], vcc
	s_cbranch_execz .LBB248_190
; %bb.188:
	v_mov_b32_e32 v1, 0xd0
	v_lshl_add_u32 v3, v3, 2, v1
	ds_write_b32 v3, v6
	s_and_b64 exec, exec, s[10:11]
	s_cbranch_execz .LBB248_190
; %bb.189:
	v_lshl_add_u32 v1, v0, 2, v1
	ds_write_b32 v1, v7
.LBB248_190:
	s_or_b64 exec, exec, s[0:1]
	v_cmp_gt_u32_e32 vcc, 64, v0
	v_or_b32_e32 v1, 64, v0
	s_waitcnt lgkmcnt(0)
	s_barrier
	s_and_saveexec_b64 s[2:3], vcc
	s_cbranch_execz .LBB248_194
; %bb.191:
	v_mov_b32_e32 v3, 0xd0
	v_lshl_add_u32 v0, v0, 2, v3
	ds_read_b32 v3, v0
	s_movk_i32 s0, 0x60
	v_cmp_gt_u32_e64 s[0:1], s0, v1
	s_waitcnt lgkmcnt(0)
	v_add_f32_e32 v6, v6, v3
	s_and_saveexec_b64 s[6:7], s[0:1]
	s_cbranch_execz .LBB248_193
; %bb.192:
	ds_read_b32 v0, v0 offset:256
	s_waitcnt lgkmcnt(0)
	v_add_f32_e32 v7, v7, v0
.LBB248_193:
	s_or_b64 exec, exec, s[6:7]
.LBB248_194:
	s_or_b64 exec, exec, s[2:3]
	s_barrier
	s_and_saveexec_b64 s[0:1], vcc
	s_cbranch_execz .LBB248_197
; %bb.195:
	s_mul_i32 s0, s8, 0x60
	s_ashr_i32 s1, s0, 31
	s_lshl_b64 s[0:1], s[0:1], 1
	s_add_u32 s3, s34, s0
	s_mul_i32 s0, s15, s14
	s_addc_u32 s5, s35, s1
	s_ashr_i32 s1, s0, 31
	s_lshl_b64 s[0:1], s[0:1], 1
	s_add_u32 s3, s3, s0
	s_mul_i32 s0, s4, 0x60
	s_addc_u32 s5, s5, s1
	s_ashr_i32 s1, s0, 31
	s_lshl_b64 s[0:1], s[0:1], 1
	s_movk_i32 s2, 0x60
	s_add_u32 s0, s3, s0
	s_addc_u32 s1, s5, s1
	v_cmp_gt_u32_e32 vcc, s2, v1
	;;#ASMSTART
	v_cvt_f16_f32 v0, v6;

	;;#ASMEND
	global_store_short v2, v0, s[0:1]
	s_and_b64 exec, exec, vcc
	s_cbranch_execz .LBB248_197
; %bb.196:
	v_mov_b32_e32 v3, 0
	v_lshl_add_u64 v[0:1], s[0:1], 0, v[2:3]
	;;#ASMSTART
	v_cvt_f16_f32 v2, v7;

	;;#ASMEND
	global_store_short v[0:1], v2, off offset:128
.LBB248_197:
	s_endpgm
	.section	.rodata,"a",@progbits
	.p2align	6, 0x0
	.amdhsa_kernel _ZN4vllm25paged_attention_v2_kernelIthLi96ELi8ELi128ELNS_18Fp8KVCacheDataTypeE1ELb1ELi512EEEvPfS2_PT_PKS3_PKT0_S9_ifPKiSB_iPKfiiiSD_SD_iiiii
		.amdhsa_group_segment_fixed_size 208
		.amdhsa_private_segment_fixed_size 0
		.amdhsa_kernarg_size 400
		.amdhsa_user_sgpr_count 2
		.amdhsa_user_sgpr_dispatch_ptr 0
		.amdhsa_user_sgpr_queue_ptr 0
		.amdhsa_user_sgpr_kernarg_segment_ptr 1
		.amdhsa_user_sgpr_dispatch_id 0
		.amdhsa_user_sgpr_kernarg_preload_length 0
		.amdhsa_user_sgpr_kernarg_preload_offset 0
		.amdhsa_user_sgpr_private_segment_size 0
		.amdhsa_uses_dynamic_stack 0
		.amdhsa_enable_private_segment 0
		.amdhsa_system_sgpr_workgroup_id_x 1
		.amdhsa_system_sgpr_workgroup_id_y 1
		.amdhsa_system_sgpr_workgroup_id_z 1
		.amdhsa_system_sgpr_workgroup_info 0
		.amdhsa_system_vgpr_workitem_id 0
		.amdhsa_next_free_vgpr 50
		.amdhsa_next_free_sgpr 58
		.amdhsa_accum_offset 52
		.amdhsa_reserve_vcc 1
		.amdhsa_float_round_mode_32 0
		.amdhsa_float_round_mode_16_64 0
		.amdhsa_float_denorm_mode_32 3
		.amdhsa_float_denorm_mode_16_64 3
		.amdhsa_dx10_clamp 1
		.amdhsa_ieee_mode 1
		.amdhsa_fp16_overflow 0
		.amdhsa_tg_split 0
		.amdhsa_exception_fp_ieee_invalid_op 0
		.amdhsa_exception_fp_denorm_src 0
		.amdhsa_exception_fp_ieee_div_zero 0
		.amdhsa_exception_fp_ieee_overflow 0
		.amdhsa_exception_fp_ieee_underflow 0
		.amdhsa_exception_fp_ieee_inexact 0
		.amdhsa_exception_int_div_zero 0
	.end_amdhsa_kernel
	.section	.text._ZN4vllm25paged_attention_v2_kernelIthLi96ELi8ELi128ELNS_18Fp8KVCacheDataTypeE1ELb1ELi512EEEvPfS2_PT_PKS3_PKT0_S9_ifPKiSB_iPKfiiiSD_SD_iiiii,"axG",@progbits,_ZN4vllm25paged_attention_v2_kernelIthLi96ELi8ELi128ELNS_18Fp8KVCacheDataTypeE1ELb1ELi512EEEvPfS2_PT_PKS3_PKT0_S9_ifPKiSB_iPKfiiiSD_SD_iiiii,comdat
.Lfunc_end248:
	.size	_ZN4vllm25paged_attention_v2_kernelIthLi96ELi8ELi128ELNS_18Fp8KVCacheDataTypeE1ELb1ELi512EEEvPfS2_PT_PKS3_PKT0_S9_ifPKiSB_iPKfiiiSD_SD_iiiii, .Lfunc_end248-_ZN4vllm25paged_attention_v2_kernelIthLi96ELi8ELi128ELNS_18Fp8KVCacheDataTypeE1ELb1ELi512EEEvPfS2_PT_PKS3_PKT0_S9_ifPKiSB_iPKfiiiSD_SD_iiiii
                                        ; -- End function
	.section	.AMDGPU.csdata,"",@progbits
; Kernel info:
; codeLenInByte = 9960
; NumSgprs: 64
; NumVgprs: 50
; NumAgprs: 0
; TotalNumVgprs: 50
; ScratchSize: 0
; MemoryBound: 0
; FloatMode: 240
; IeeeMode: 1
; LDSByteSize: 208 bytes/workgroup (compile time only)
; SGPRBlocks: 7
; VGPRBlocks: 6
; NumSGPRsForWavesPerEU: 64
; NumVGPRsForWavesPerEU: 50
; AccumOffset: 52
; Occupancy: 8
; WaveLimiterHint : 1
; COMPUTE_PGM_RSRC2:SCRATCH_EN: 0
; COMPUTE_PGM_RSRC2:USER_SGPR: 2
; COMPUTE_PGM_RSRC2:TRAP_HANDLER: 0
; COMPUTE_PGM_RSRC2:TGID_X_EN: 1
; COMPUTE_PGM_RSRC2:TGID_Y_EN: 1
; COMPUTE_PGM_RSRC2:TGID_Z_EN: 1
; COMPUTE_PGM_RSRC2:TIDIG_COMP_CNT: 0
; COMPUTE_PGM_RSRC3_GFX90A:ACCUM_OFFSET: 12
; COMPUTE_PGM_RSRC3_GFX90A:TG_SPLIT: 0
	.section	.text._ZN4vllm25paged_attention_v2_kernelIthLi112ELi8ELi128ELNS_18Fp8KVCacheDataTypeE1ELb1ELi512EEEvPfS2_PT_PKS3_PKT0_S9_ifPKiSB_iPKfiiiSD_SD_iiiii,"axG",@progbits,_ZN4vllm25paged_attention_v2_kernelIthLi112ELi8ELi128ELNS_18Fp8KVCacheDataTypeE1ELb1ELi512EEEvPfS2_PT_PKS3_PKT0_S9_ifPKiSB_iPKfiiiSD_SD_iiiii,comdat
	.protected	_ZN4vllm25paged_attention_v2_kernelIthLi112ELi8ELi128ELNS_18Fp8KVCacheDataTypeE1ELb1ELi512EEEvPfS2_PT_PKS3_PKT0_S9_ifPKiSB_iPKfiiiSD_SD_iiiii ; -- Begin function _ZN4vllm25paged_attention_v2_kernelIthLi112ELi8ELi128ELNS_18Fp8KVCacheDataTypeE1ELb1ELi512EEEvPfS2_PT_PKS3_PKT0_S9_ifPKiSB_iPKfiiiSD_SD_iiiii
	.globl	_ZN4vllm25paged_attention_v2_kernelIthLi112ELi8ELi128ELNS_18Fp8KVCacheDataTypeE1ELb1ELi512EEEvPfS2_PT_PKS3_PKT0_S9_ifPKiSB_iPKfiiiSD_SD_iiiii
	.p2align	8
	.type	_ZN4vllm25paged_attention_v2_kernelIthLi112ELi8ELi128ELNS_18Fp8KVCacheDataTypeE1ELb1ELi512EEEvPfS2_PT_PKS3_PKT0_S9_ifPKiSB_iPKfiiiSD_SD_iiiii,@function
_ZN4vllm25paged_attention_v2_kernelIthLi112ELi8ELi128ELNS_18Fp8KVCacheDataTypeE1ELb1ELi512EEEvPfS2_PT_PKS3_PKT0_S9_ifPKiSB_iPKfiiiSD_SD_iiiii: ; @_ZN4vllm25paged_attention_v2_kernelIthLi112ELi8ELi128ELNS_18Fp8KVCacheDataTypeE1ELb1ELi512EEEvPfS2_PT_PKS3_PKT0_S9_ifPKiSB_iPKfiiiSD_SD_iiiii
; %bb.0:
	s_load_dwordx2 s[6:7], s[0:1], 0x40
	s_mov_b32 s36, s3
	s_ashr_i32 s37, s3, 31
	s_lshl_b64 s[8:9], s[36:37], 2
	s_waitcnt lgkmcnt(0)
	s_add_u32 s6, s6, s8
	s_addc_u32 s7, s7, s9
	s_load_dword s33, s[6:7], 0x0
	s_lshl_b32 s53, s4, 9
	s_waitcnt lgkmcnt(0)
	s_cmp_ge_i32 s53, s33
	s_cbranch_scc1 .LBB249_197
; %bb.1:
	s_load_dword s5, s[0:1], 0x90
	s_load_dwordx2 s[44:45], s[0:1], 0x30
	s_mov_b32 s54, 0
	s_waitcnt lgkmcnt(0)
	s_abs_i32 s7, s5
	s_abs_i32 s3, s44
	v_cvt_f32_u32_e32 v1, s3
	s_sub_i32 s8, 0, s3
	s_xor_b32 s6, s5, s44
	s_ashr_i32 s6, s6, 31
	v_rcp_iflag_f32_e32 v1, v1
	s_nop 0
	v_mul_f32_e32 v1, 0x4f7ffffe, v1
	v_cvt_u32_f32_e32 v1, v1
	s_nop 0
	v_readfirstlane_b32 s9, v1
	s_mul_i32 s8, s8, s9
	s_mul_hi_u32 s8, s9, s8
	s_add_i32 s9, s9, s8
	s_mul_hi_u32 s8, s7, s9
	s_mul_i32 s9, s8, s3
	s_sub_i32 s7, s7, s9
	s_add_i32 s10, s8, 1
	s_sub_i32 s9, s7, s3
	s_cmp_ge_u32 s7, s3
	s_cselect_b32 s8, s10, s8
	s_cselect_b32 s7, s9, s7
	s_add_i32 s9, s8, 1
	s_cmp_ge_u32 s7, s3
	s_cselect_b32 s3, s9, s8
	s_xor_b32 s3, s3, s6
	s_sub_i32 s10, s3, s6
	s_abs_i32 s8, s10
	v_cvt_f32_u32_e32 v1, s8
	s_load_dwordx2 s[6:7], s[0:1], 0x50
	s_sub_i32 s3, 0, s8
	s_abs_i32 s9, s2
	v_rcp_iflag_f32_e32 v1, v1
	s_nop 0
	v_mul_f32_e32 v1, 0x4f7ffffe, v1
	v_cvt_u32_f32_e32 v1, v1
	s_nop 0
	v_readfirstlane_b32 s11, v1
	s_mul_i32 s3, s3, s11
	s_mul_hi_u32 s3, s11, s3
	s_add_i32 s11, s11, s3
	s_waitcnt lgkmcnt(0)
	s_cmp_eq_u64 s[6:7], 0
	s_mul_hi_u32 s12, s9, s11
	s_cbranch_scc1 .LBB249_3
; %bb.2:
	s_ashr_i32 s3, s2, 31
	s_lshl_b64 s[14:15], s[2:3], 2
	s_add_u32 s6, s6, s14
	s_addc_u32 s7, s7, s15
	s_load_dword s54, s[6:7], 0x0
.LBB249_3:
	s_load_dwordx4 s[20:23], s[0:1], 0x58
	s_movk_i32 s6, 0x70
	s_ashr_i32 s3, s2, 31
	s_ashr_i32 s13, s10, 31
	v_and_b32_e32 v6, 7, v0
	s_mul_i32 s14, s2, 0x70
	v_cmp_gt_u32_e64 s[10:11], s6, v0
	v_lshlrev_b32_e32 v2, 1, v0
	s_and_saveexec_b64 s[6:7], s[10:11]
	s_cbranch_execz .LBB249_5
; %bb.4:
	s_load_dwordx2 s[16:17], s[0:1], 0x18
	s_waitcnt lgkmcnt(0)
	s_mul_i32 s18, s36, s20
	s_ashr_i32 s19, s18, 31
	s_lshl_b64 s[18:19], s[18:19], 1
	v_lshrrev_b32_e32 v3, 2, v0
	s_add_u32 s18, s16, s18
	s_addc_u32 s19, s17, s19
	s_ashr_i32 s15, s14, 31
	s_lshl_b64 s[16:17], s[14:15], 1
	s_add_u32 s16, s18, s16
	s_addc_u32 s17, s19, s17
	global_load_ushort v1, v2, s[16:17]
	v_and_b32_e32 v3, 0xfe, v3
	v_mad_u32_u24 v3, v6, 28, v3
	s_waitcnt vmcnt(0)
	ds_write_b16 v3, v1
.LBB249_5:
	s_or_b64 exec, exec, s[6:7]
	s_mul_i32 s6, s12, s8
	s_sub_i32 s6, s9, s6
	s_xor_b32 s3, s3, s13
	s_add_i32 s7, s12, 1
	s_sub_i32 s9, s6, s8
	s_load_dwordx4 s[24:27], s[0:1], 0x78
	s_cmp_ge_u32 s6, s8
	s_cselect_b32 s7, s7, s12
	s_load_dword s12, s[0:1], 0x88
	s_cselect_b32 s6, s9, s6
	s_add_i32 s9, s7, 1
	s_cmp_ge_u32 s6, s8
	s_cselect_b32 s6, s9, s7
	s_waitcnt lgkmcnt(0)
	s_abs_i32 s37, s27
	v_cvt_f32_u32_e32 v1, s37
	s_xor_b32 s6, s6, s3
	s_sub_i32 s8, s6, s3
	s_sub_i32 s6, 0, s37
	v_rcp_iflag_f32_e32 v1, v1
	s_add_i32 s13, s33, -1
	s_abs_i32 s3, s13
	v_mul_f32_e32 v1, 0x4f7ffffe, v1
	v_cvt_u32_f32_e32 v1, v1
	s_barrier
	v_readfirstlane_b32 s50, v1
	s_mul_i32 s6, s6, s50
	s_mul_hi_u32 s6, s50, s6
	s_add_i32 s50, s50, s6
	s_cmp_lt_i32 s12, 0
	s_mul_hi_u32 s9, s3, s50
	s_cbranch_scc0 .LBB249_7
; %bb.6:
	s_mul_i32 s6, s24, s44
	s_add_i32 s6, s8, s6
	s_mul_i32 s6, s6, s12
	s_sub_i32 s44, 1, s6
	s_mov_b64 s[6:7], 0
	s_branch .LBB249_8
.LBB249_7:
	s_mov_b64 s[6:7], -1
                                        ; implicit-def: $sgpr44
.LBB249_8:
	s_load_dwordx2 s[38:39], s[0:1], 0x38
	s_ashr_i32 s13, s13, 31
	s_andn2_b64 vcc, exec, s[6:7]
	s_ashr_i32 s51, s27, 31
	s_cbranch_vccnz .LBB249_10
; %bb.9:
	s_mul_i32 s6, s5, s24
	s_add_i32 s6, s6, s2
	s_mul_i32 s6, s6, s12
	s_add_i32 s44, s6, 1
.LBB249_10:
	s_load_dwordx2 s[42:43], s[0:1], 0x28
	s_load_dword s6, s[0:1], 0x48
	s_load_dwordx4 s[28:31], s[0:1], 0x0
	s_load_dwordx2 s[34:35], s[0:1], 0x10
	s_load_dword s15, s[0:1], 0x98
	s_load_dwordx4 s[16:19], s[0:1], 0x68
	s_mul_i32 s7, s9, s37
	s_waitcnt lgkmcnt(0)
	s_mul_i32 s40, s36, s6
	s_sub_i32 s3, s3, s7
	s_ashr_i32 s41, s40, 31
	s_xor_b32 s6, s13, s51
	s_add_i32 s7, s9, 1
	s_sub_i32 s12, s3, s37
	s_cmp_ge_u32 s3, s37
	s_cselect_b32 s7, s7, s9
	s_cselect_b32 s3, s12, s3
	s_add_i32 s9, s7, 1
	s_cmp_ge_u32 s3, s37
	s_cselect_b32 s3, s9, s7
	s_xor_b32 s3, s3, s6
	s_sub_i32 s20, s3, s6
	s_add_i32 s3, s33, 7
	s_ashr_i32 s6, s3, 31
	s_lshr_b32 s6, s6, 29
	s_add_i32 s3, s3, s6
	s_lshl_b32 s27, s4, 6
	s_ashr_i32 s3, s3, 3
	s_add_i32 s6, s27, 64
	v_lshrrev_b32_e32 v14, 6, v0
	s_min_i32 s52, s6, s3
	v_or_b32_e32 v4, s27, v14
	v_cmp_gt_i32_e64 s[6:7], s52, v4
	v_mov_b32_e32 v15, 0xff7fffff
	s_mul_i32 s24, s8, s22
	v_ashrrev_i32_e32 v5, 31, v4
	v_lshl_add_u32 v1, v14, 3, s53
	v_mbcnt_lo_u32_b32 v3, -1, 0
	s_and_saveexec_b64 s[22:23], s[6:7]
	s_cbranch_execz .LBB249_20
; %bb.11:
	s_load_dwordx2 s[0:1], s[0:1], 0x20
	s_sub_i32 s55, s20, s25
	s_ashr_i32 s8, s24, 31
	v_bfe_u32 v12, v0, 3, 3
	v_mov_b32_e32 v7, 0
	s_waitcnt lgkmcnt(0)
	s_add_u32 s0, s0, s24
	s_addc_u32 s1, s1, s8
	s_abs_i32 s56, s26
	v_cvt_f32_u32_e32 v8, s56
	v_lshlrev_b32_e32 v15, 2, v12
	v_lshl_or_b32 v15, v14, 5, v15
	v_add_u32_e32 v18, 0xf0, v15
	v_rcp_iflag_f32_e32 v9, v8
	v_lshlrev_b32_e32 v8, 4, v12
	v_subrev_u32_e32 v15, s33, v12
	v_mbcnt_hi_u32_b32 v21, -1, v3
	v_mul_f32_e32 v9, 0x4f7ffffe, v9
	v_cvt_u32_f32_e32 v10, v9
	v_mov_b32_e32 v9, v7
	v_lshl_add_u64 v[8:9], s[0:1], 0, v[8:9]
	s_sub_i32 s0, 0, s56
	v_mul_lo_u32 v11, s0, v10
	s_lshl_b64 s[0:1], s[40:41], 2
	s_add_u32 s0, s38, s0
	v_mul_hi_u32 v11, v10, v11
	s_addc_u32 s1, s39, s1
	v_add_u32_e32 v19, 1, v15
	v_and_b32_e32 v15, 64, v21
	v_cmp_eq_u32_e32 vcc, 0, v6
	s_mov_b32 s57, s21
	v_mul_u32_u24_e32 v13, 28, v6
	v_cmp_neq_f32_e64 s[8:9], s54, 0
	v_add_u32_e32 v16, v10, v11
	v_lshl_add_u64 v[10:11], v[4:5], 2, s[0:1]
	v_lshl_add_u32 v17, v14, 3, s53
	s_mov_b64 s[46:47], 0
	v_mov_b32_e32 v20, 0xff7fffff
	v_add_u32_e32 v22, 64, v15
	v_xor_b32_e32 v23, 4, v21
	v_xor_b32_e32 v24, 2, v21
	;; [unrolled: 1-line block ×3, first 2 shown]
	v_mov_b32_e32 v15, 0xff7fffff
	v_mov_b32_e32 v26, v4
	s_branch .LBB249_14
.LBB249_12:                             ;   in Loop: Header=BB249_14 Depth=1
	s_or_b64 exec, exec, s[48:49]
.LBB249_13:                             ;   in Loop: Header=BB249_14 Depth=1
	s_or_b64 exec, exec, s[12:13]
	v_add_u32_e32 v26, 2, v26
	v_cmp_le_i32_e64 s[0:1], s52, v26
	v_lshl_add_u64 v[10:11], v[10:11], 0, 8
	v_add_u32_e32 v17, 16, v17
	s_or_b64 s[46:47], s[0:1], s[46:47]
	v_add_u32_e32 v18, 64, v18
	s_andn2_b64 exec, exec, s[46:47]
	s_cbranch_execz .LBB249_19
.LBB249_14:                             ; =>This Inner Loop Header: Depth=1
	s_waitcnt lgkmcnt(0)
	v_sub_u32_e32 v28, 0, v17
	v_max_i32_e32 v28, v17, v28
	v_mul_hi_u32 v29, v28, s50
	v_mul_lo_u32 v30, v29, s37
	v_sub_u32_e32 v28, v28, v30
	v_add_u32_e32 v30, 1, v29
	v_cmp_le_u32_e64 s[0:1], s37, v28
	v_ashrrev_i32_e32 v27, 31, v17
	v_xor_b32_e32 v27, s51, v27
	v_cndmask_b32_e64 v29, v29, v30, s[0:1]
	v_subrev_u32_e32 v30, s37, v28
	v_cndmask_b32_e64 v28, v28, v30, s[0:1]
	v_add_u32_e32 v30, 1, v29
	v_cmp_le_u32_e64 s[0:1], s37, v28
	s_nop 1
	v_cndmask_b32_e64 v28, v29, v30, s[0:1]
	v_xor_b32_e32 v28, v28, v27
	v_sub_u32_e32 v27, v28, v27
	v_add_u32_e32 v28, s44, v27
	v_sub_u32_e32 v30, 0, v28
	v_ashrrev_i32_e32 v29, 31, v28
	v_max_i32_e32 v28, v28, v30
	v_mul_hi_u32 v30, v28, v16
	v_mul_lo_u32 v30, v30, s56
	v_sub_u32_e32 v28, v28, v30
	v_subrev_u32_e32 v30, s56, v28
	v_cmp_le_u32_e64 s[0:1], s56, v28
	v_cmp_ge_i32_e64 s[12:13], s55, v27
	s_nop 0
	v_cndmask_b32_e64 v28, v28, v30, s[0:1]
	v_subrev_u32_e32 v30, s56, v28
	v_cmp_le_u32_e64 s[0:1], s56, v28
	s_nop 1
	v_cndmask_b32_e64 v28, v28, v30, s[0:1]
	v_xor_b32_e32 v28, v28, v29
	v_sub_u32_e32 v28, v28, v29
	v_cmp_ne_u32_e64 s[0:1], 0, v28
	s_and_b64 s[0:1], s[0:1], s[12:13]
	s_and_b64 s[48:49], vcc, s[0:1]
	s_and_saveexec_b64 s[12:13], s[48:49]
	s_cbranch_execz .LBB249_16
; %bb.15:                               ;   in Loop: Header=BB249_14 Depth=1
	ds_write_b32 v18, v20
.LBB249_16:                             ;   in Loop: Header=BB249_14 Depth=1
	s_or_b64 exec, exec, s[12:13]
	s_xor_b64 s[0:1], s[0:1], -1
	s_and_saveexec_b64 s[12:13], s[0:1]
	s_cbranch_execz .LBB249_13
; %bb.17:                               ;   in Loop: Header=BB249_14 Depth=1
	global_load_dword v27, v[10:11], off
	s_waitcnt vmcnt(0)
	v_mad_i64_i32 v[28:29], s[0:1], v27, s57, v[8:9]
	v_lshl_add_u64 v[28:29], v[28:29], 0, v[6:7]
	global_load_ubyte v27, v[28:29], off
	global_load_ubyte v30, v[28:29], off offset:8
	global_load_dword v31, v7, s[16:17]
	global_load_ubyte v32, v[28:29], off offset:128
	global_load_ubyte v33, v[28:29], off offset:136
	;; [unrolled: 1-line block ×11, first 2 shown]
	s_nop 0
	global_load_ubyte v28, v[28:29], off offset:776
	ds_read_u16 v29, v13
	s_waitcnt lgkmcnt(0)
	;;#ASMSTART
	v_cvt_f32_f16 v29, v29;
	;;#ASMEND
	v_cmp_lt_i32_e64 s[0:1], v23, v22
	s_waitcnt vmcnt(14)
	v_cvt_f32_fp8_sdwa v27, v27 src0_sel:BYTE_0
	s_waitcnt vmcnt(13)
	v_cvt_f32_fp8_sdwa v30, v30 src0_sel:BYTE_0
	v_cndmask_b32_e64 v43, v21, v23, s[0:1]
	s_waitcnt vmcnt(11)
	v_cvt_f32_fp8_sdwa v32, v32 src0_sel:BYTE_0
	v_fma_mixlo_f16 v27, v31, v27, 0
	v_and_b32_e32 v27, 0xffff, v27
	v_fma_mixlo_f16 v30, v31, v30, 0
	s_waitcnt vmcnt(10)
	v_cvt_f32_fp8_sdwa v33, v33 src0_sel:BYTE_0
	;;#ASMSTART
	v_cvt_f32_f16 v27, v27;
	;;#ASMEND
	ds_read_u16 v44, v13 offset:2
	v_and_b32_e32 v30, 0xffff, v30
	s_waitcnt vmcnt(9)
	v_cvt_f32_fp8_sdwa v34, v34 src0_sel:BYTE_0
	s_waitcnt lgkmcnt(0)
	;;#ASMSTART
	v_cvt_f32_f16 v44, v44;
	;;#ASMEND
	;;#ASMSTART
	v_cvt_f32_f16 v30, v30;
	;;#ASMEND
	s_waitcnt vmcnt(8)
	v_cvt_f32_fp8_sdwa v35, v35 src0_sel:BYTE_0
	v_fma_mixlo_f16 v32, v31, v32, 0
	s_waitcnt vmcnt(7)
	v_cvt_f32_fp8_sdwa v36, v36 src0_sel:BYTE_0
	v_mul_f32_e32 v30, v44, v30
	ds_read_u16 v45, v13 offset:4
	v_and_b32_e32 v32, 0xffff, v32
	v_fma_mixlo_f16 v33, v31, v33, 0
	s_waitcnt vmcnt(6)
	v_cvt_f32_fp8_sdwa v37, v37 src0_sel:BYTE_0
	v_fmac_f32_e32 v30, v29, v27
	s_waitcnt lgkmcnt(0)
	;;#ASMSTART
	v_cvt_f32_f16 v45, v45;
	;;#ASMEND
	;;#ASMSTART
	v_cvt_f32_f16 v32, v32;
	;;#ASMEND
	ds_read_u16 v46, v13 offset:6
	v_and_b32_e32 v33, 0xffff, v33
	s_waitcnt vmcnt(5)
	v_cvt_f32_fp8_sdwa v38, v38 src0_sel:BYTE_0
	v_fma_mixlo_f16 v34, v31, v34, 0
	v_fmac_f32_e32 v30, v45, v32
	s_waitcnt lgkmcnt(0)
	;;#ASMSTART
	v_cvt_f32_f16 v46, v46;
	;;#ASMEND
	;;#ASMSTART
	v_cvt_f32_f16 v33, v33;
	;;#ASMEND
	ds_read_u16 v47, v13 offset:8
	v_and_b32_e32 v34, 0xffff, v34
	s_waitcnt vmcnt(4)
	v_cvt_f32_fp8_sdwa v39, v39 src0_sel:BYTE_0
	v_fma_mixlo_f16 v35, v31, v35, 0
	v_fmac_f32_e32 v30, v46, v33
	s_waitcnt lgkmcnt(0)
	;;#ASMSTART
	v_cvt_f32_f16 v47, v47;
	;;#ASMEND
	;;#ASMSTART
	v_cvt_f32_f16 v34, v34;
	;;#ASMEND
	ds_read_u16 v48, v13 offset:10
	s_waitcnt vmcnt(3)
	v_cvt_f32_fp8_sdwa v40, v40 src0_sel:BYTE_0
	v_and_b32_e32 v35, 0xffff, v35
	s_waitcnt vmcnt(2)
	v_cvt_f32_fp8_sdwa v41, v41 src0_sel:BYTE_0
	s_waitcnt vmcnt(1)
	v_cvt_f32_fp8_sdwa v42, v42 src0_sel:BYTE_0
	v_fma_mixlo_f16 v36, v31, v36, 0
	s_waitcnt vmcnt(0)
	v_cvt_f32_fp8_sdwa v28, v28 src0_sel:BYTE_0
	v_fmac_f32_e32 v30, v47, v34
	s_waitcnt lgkmcnt(0)
	;;#ASMSTART
	v_cvt_f32_f16 v48, v48;
	;;#ASMEND
	;;#ASMSTART
	v_cvt_f32_f16 v35, v35;
	;;#ASMEND
	ds_read_u16 v49, v13 offset:12
	v_and_b32_e32 v36, 0xffff, v36
	v_fma_mixlo_f16 v37, v31, v37, 0
	v_fmac_f32_e32 v30, v48, v35
	s_waitcnt lgkmcnt(0)
	;;#ASMSTART
	v_cvt_f32_f16 v49, v49;
	;;#ASMEND
	;;#ASMSTART
	v_cvt_f32_f16 v36, v36;
	;;#ASMEND
	ds_read_u16 v50, v13 offset:14
	v_fma_mixlo_f16 v38, v31, v38, 0
	v_and_b32_e32 v37, 0xffff, v37
	v_fmac_f32_e32 v30, v49, v36
	s_waitcnt lgkmcnt(0)
	;;#ASMSTART
	v_cvt_f32_f16 v50, v50;
	;;#ASMEND
	;;#ASMSTART
	v_cvt_f32_f16 v37, v37;
	;;#ASMEND
	ds_read_u16 v51, v13 offset:16
	v_fma_mixlo_f16 v39, v31, v39, 0
	v_and_b32_e32 v38, 0xffff, v38
	v_fmac_f32_e32 v30, v50, v37
	v_fma_mixlo_f16 v40, v31, v40, 0
	v_fma_mixlo_f16 v41, v31, v41, 0
	s_waitcnt lgkmcnt(0)
	;;#ASMSTART
	v_cvt_f32_f16 v51, v51;
	;;#ASMEND
	;;#ASMSTART
	v_cvt_f32_f16 v38, v38;
	;;#ASMEND
	v_fma_mixlo_f16 v42, v31, v42, 0
	v_fma_mixlo_f16 v28, v31, v28, 0
	v_and_b32_e32 v31, 0xffff, v39
	v_fmac_f32_e32 v30, v51, v38
	ds_read_u16 v52, v13 offset:18
	v_and_b32_e32 v39, 0xffff, v40
	s_waitcnt lgkmcnt(0)
	;;#ASMSTART
	v_cvt_f32_f16 v40, v52;
	;;#ASMEND
	;;#ASMSTART
	v_cvt_f32_f16 v31, v31;
	;;#ASMEND
	ds_read_u16 v52, v13 offset:20
	v_fmac_f32_e32 v30, v40, v31
	s_waitcnt lgkmcnt(0)
	;;#ASMSTART
	v_cvt_f32_f16 v44, v52;
	;;#ASMEND
	;;#ASMSTART
	v_cvt_f32_f16 v39, v39;
	;;#ASMEND
	v_and_b32_e32 v41, 0xffff, v41
	v_fmac_f32_e32 v30, v44, v39
	ds_read_u16 v52, v13 offset:22
	s_waitcnt lgkmcnt(0)
	;;#ASMSTART
	v_cvt_f32_f16 v27, v52;
	;;#ASMEND
	;;#ASMSTART
	v_cvt_f32_f16 v29, v41;
	;;#ASMEND
	ds_read_u16 v32, v13 offset:24
	v_fmac_f32_e32 v30, v27, v29
	v_and_b32_e32 v42, 0xffff, v42
	v_and_b32_e32 v28, 0xffff, v28
	s_waitcnt lgkmcnt(0)
	;;#ASMSTART
	v_cvt_f32_f16 v32, v32;
	;;#ASMEND
	;;#ASMSTART
	v_cvt_f32_f16 v33, v42;
	;;#ASMEND
	v_lshlrev_b32_e32 v43, 2, v43
	v_fmac_f32_e32 v30, v32, v33
	ds_read_u16 v34, v13 offset:26
	s_waitcnt lgkmcnt(0)
	;;#ASMSTART
	v_cvt_f32_f16 v27, v34;
	;;#ASMEND
	;;#ASMSTART
	v_cvt_f32_f16 v28, v28;
	;;#ASMEND
	v_cmp_lt_i32_e64 s[0:1], v24, v22
	v_fmac_f32_e32 v30, v27, v28
	ds_bpermute_b32 v27, v43, v30
	v_cndmask_b32_e64 v28, v21, v24, s[0:1]
	v_lshlrev_b32_e32 v28, 2, v28
	v_cmp_lt_i32_e64 s[0:1], v25, v22
	s_waitcnt lgkmcnt(0)
	v_add_f32_e32 v27, v30, v27
	ds_bpermute_b32 v28, v28, v27
	v_cndmask_b32_e64 v29, v21, v25, s[0:1]
	s_waitcnt lgkmcnt(0)
	v_add_f32_e32 v27, v27, v28
	v_lshlrev_b32_e32 v28, 2, v29
	ds_bpermute_b32 v28, v28, v27
	s_and_saveexec_b64 s[48:49], vcc
	s_cbranch_execz .LBB249_12
; %bb.18:                               ;   in Loop: Header=BB249_14 Depth=1
	v_add_u32_e32 v29, v19, v17
	v_cvt_f32_i32_e32 v29, v29
	s_waitcnt lgkmcnt(0)
	v_add_f32_e32 v27, v27, v28
	v_add_u32_e32 v30, v12, v17
	v_cmp_gt_i32_e64 s[0:1], s33, v30
	v_mul_f32_e32 v28, s54, v29
	v_cndmask_b32_e64 v28, 0, v28, s[8:9]
	v_fmac_f32_e32 v28, s45, v27
	v_cndmask_b32_e64 v27, 0, v28, s[0:1]
	ds_write_b32 v18, v27
	v_max_f32_e32 v27, v15, v15
	v_max_f32_e32 v27, v27, v28
	v_cndmask_b32_e64 v15, v15, v27, s[0:1]
	s_branch .LBB249_12
.LBB249_19:
	s_or_b64 exec, exec, s[46:47]
.LBB249_20:
	s_or_b64 exec, exec, s[22:23]
	v_mbcnt_hi_u32_b32 v6, -1, v3
	v_and_b32_e32 v3, 64, v6
	v_add_u32_e32 v7, 64, v3
	v_xor_b32_e32 v3, 32, v6
	v_cmp_lt_i32_e32 vcc, v3, v7
	v_xor_b32_e32 v9, 16, v6
	v_max_f32_e32 v8, v15, v15
	v_cndmask_b32_e32 v3, v6, v3, vcc
	v_lshlrev_b32_e32 v10, 2, v3
	ds_bpermute_b32 v3, v10, v15
	v_cmp_lt_i32_e32 vcc, v9, v7
	s_waitcnt lgkmcnt(0)
	v_max_f32_e32 v3, v3, v3
	v_max_f32_e32 v3, v8, v3
	v_cndmask_b32_e32 v8, v6, v9, vcc
	v_lshlrev_b32_e32 v12, 2, v8
	ds_bpermute_b32 v8, v12, v3
	v_xor_b32_e32 v9, 8, v6
	v_cmp_lt_i32_e32 vcc, v9, v7
	s_waitcnt lgkmcnt(0)
	v_max_f32_e32 v8, v8, v8
	v_max_f32_e32 v8, v3, v8
	v_cndmask_b32_e32 v3, v6, v9, vcc
	v_lshlrev_b32_e32 v13, 2, v3
	ds_bpermute_b32 v11, v13, v8
	v_and_b32_e32 v3, 63, v0
	v_cmp_eq_u32_e32 vcc, 0, v3
	v_lshlrev_b32_e32 v9, 2, v14
	s_and_saveexec_b64 s[0:1], vcc
	s_cbranch_execz .LBB249_22
; %bb.21:
	s_waitcnt lgkmcnt(0)
	v_max_f32_e32 v11, v11, v11
	v_max_f32_e32 v8, v8, v8
	;; [unrolled: 1-line block ×3, first 2 shown]
	ds_write_b32 v9, v8 offset:224
.LBB249_22:
	s_or_b64 exec, exec, s[0:1]
	v_cmp_gt_u32_e64 s[0:1], 2, v3
	v_mov_b32_e32 v8, 0xff7fffff
	s_waitcnt lgkmcnt(0)
	v_lshlrev_b32_e32 v11, 2, v3
	s_barrier
	s_and_saveexec_b64 s[8:9], s[0:1]
	s_cbranch_execz .LBB249_24
; %bb.23:
	ds_read_b32 v8, v11 offset:224
.LBB249_24:
	s_or_b64 exec, exec, s[8:9]
	v_xor_b32_e32 v15, 1, v6
	v_cmp_lt_i32_e64 s[8:9], v15, v7
	v_mov_b32_e32 v17, 0
	s_nop 0
	v_cndmask_b32_e64 v15, v6, v15, s[8:9]
	v_lshlrev_b32_e32 v15, 2, v15
	s_waitcnt lgkmcnt(0)
	ds_bpermute_b32 v16, v15, v8
	v_max_f32_e32 v8, v8, v8
	s_sub_i32 s8, s52, s27
	s_lshl_b32 s8, s8, 3
	s_add_i32 s8, s8, s53
	s_waitcnt lgkmcnt(0)
	v_max_f32_e32 v16, v16, v16
	v_max_f32_e32 v8, v8, v16
	v_lshlrev_b32_e32 v16, 2, v6
	v_and_b32_e32 v16, 0x100, v16
	ds_bpermute_b32 v8, v16, v8
	s_min_i32 s45, s8, s33
	s_sub_i32 s27, s45, s53
	v_cmp_gt_i32_e64 s[8:9], s27, v0
	s_and_saveexec_b64 s[16:17], s[8:9]
	s_cbranch_execz .LBB249_28
; %bb.25:
	v_mov_b32_e32 v17, 0xf0
	v_lshl_add_u32 v18, v0, 2, v17
	s_mov_b64 s[22:23], 0
	v_mov_b32_e32 v17, 0
	v_mov_b32_e32 v19, v0
.LBB249_26:                             ; =>This Inner Loop Header: Depth=1
	ds_read_b32 v20, v18
	v_add_u32_e32 v19, 0x80, v19
	v_cmp_le_i32_e64 s[12:13], s27, v19
	s_or_b64 s[22:23], s[12:13], s[22:23]
	s_waitcnt lgkmcnt(0)
	v_sub_f32_e32 v20, v20, v8
	v_mul_f32_e32 v20, 0x3fb8aa3b, v20
	v_exp_f32_e32 v20, v20
	ds_write_b32 v18, v20
	v_add_f32_e32 v17, v17, v20
	v_add_u32_e32 v18, 0x200, v18
	s_andn2_b64 exec, exec, s[22:23]
	s_cbranch_execnz .LBB249_26
; %bb.27:
	s_or_b64 exec, exec, s[22:23]
.LBB249_28:
	s_or_b64 exec, exec, s[16:17]
	ds_bpermute_b32 v10, v10, v17
	s_waitcnt lgkmcnt(0)
	v_add_f32_e32 v10, v17, v10
	ds_bpermute_b32 v12, v12, v10
	s_waitcnt lgkmcnt(0)
	v_add_f32_e32 v10, v10, v12
	ds_bpermute_b32 v12, v13, v10
	v_xor_b32_e32 v13, 4, v6
	v_cmp_lt_i32_e64 s[12:13], v13, v7
	s_waitcnt lgkmcnt(0)
	v_add_f32_e32 v10, v10, v12
	v_cndmask_b32_e64 v13, v6, v13, s[12:13]
	v_lshlrev_b32_e32 v13, 2, v13
	ds_bpermute_b32 v12, v13, v10
	v_xor_b32_e32 v13, 2, v6
	v_cmp_lt_i32_e64 s[12:13], v13, v7
	s_waitcnt lgkmcnt(0)
	v_add_f32_e32 v7, v10, v12
	v_cndmask_b32_e64 v6, v6, v13, s[12:13]
	v_lshlrev_b32_e32 v6, 2, v6
	ds_bpermute_b32 v6, v6, v7
	s_waitcnt lgkmcnt(0)
	v_add_f32_e32 v6, v7, v6
	ds_bpermute_b32 v7, v15, v6
	s_waitcnt lgkmcnt(0)
	v_add_f32_e32 v6, v6, v7
	s_and_saveexec_b64 s[12:13], vcc
	s_cbranch_execz .LBB249_30
; %bb.29:
	ds_write_b32 v9, v6 offset:232
.LBB249_30:
	s_or_b64 exec, exec, s[12:13]
	s_waitcnt lgkmcnt(0)
	s_barrier
	s_and_saveexec_b64 s[12:13], s[0:1]
	s_cbranch_execz .LBB249_32
; %bb.31:
	ds_read_b32 v6, v11 offset:232
.LBB249_32:
	s_or_b64 exec, exec, s[12:13]
	s_waitcnt lgkmcnt(0)
	ds_bpermute_b32 v7, v15, v6
	s_waitcnt lgkmcnt(0)
	v_add_f32_e32 v6, v6, v7
	ds_bpermute_b32 v9, v16, v6
	s_and_saveexec_b64 s[0:1], s[8:9]
	s_cbranch_execz .LBB249_45
; %bb.33:
	s_waitcnt lgkmcnt(0)
	v_add_f32_e32 v6, 0x358637bd, v9
	v_div_scale_f32 v7, s[8:9], v6, v6, 1.0
	v_rcp_f32_e32 v10, v7
	v_div_scale_f32 v11, vcc, 1.0, v6, 1.0
	s_movk_i32 s8, 0x7f
	v_fma_f32 v12, -v7, v10, 1.0
	v_fmac_f32_e32 v10, v12, v10
	v_mul_f32_e32 v12, v11, v10
	v_fma_f32 v13, -v7, v12, v11
	v_fmac_f32_e32 v12, v13, v10
	v_fma_f32 v7, -v7, v12, v11
	v_div_fmas_f32 v7, v7, v10, v12
	v_div_fixup_f32 v6, v7, v6, 1.0
	v_xad_u32 v7, v0, -1, s45
	v_subrev_u32_e32 v10, s53, v7
	v_cmp_lt_u32_e32 vcc, s8, v10
	s_mov_b64 s[12:13], -1
	v_mov_b32_e32 v7, v0
	s_and_saveexec_b64 s[8:9], vcc
	s_cbranch_execz .LBB249_42
; %bb.34:
	v_lshrrev_b32_e32 v10, 7, v10
	v_add_u32_e32 v12, -1, v10
	v_lshrrev_b32_e32 v11, 1, v12
	v_mov_b32_e32 v7, v6
	v_add_u32_e32 v11, 1, v11
	v_cmp_lt_u32_e32 vcc, 13, v12
	v_mov_b32_e32 v15, 0
	s_and_saveexec_b64 s[12:13], vcc
	s_cbranch_execz .LBB249_38
; %bb.35:
	v_mov_b32_e32 v13, 0xf0
	v_and_b32_e32 v12, -8, v11
	v_lshl_add_u32 v13, v0, 2, v13
	s_mov_b32 s22, 0
	s_mov_b64 s[16:17], 0
.LBB249_36:                             ; =>This Inner Loop Header: Depth=1
	ds_read2st64_b32 v[16:17], v13 offset1:2
	ds_read2st64_b32 v[18:19], v13 offset0:4 offset1:6
	ds_read2st64_b32 v[20:21], v13 offset0:8 offset1:10
	;; [unrolled: 1-line block ×3, first 2 shown]
	v_add_u32_e32 v12, -8, v12
	s_waitcnt lgkmcnt(3)
	v_pk_mul_f32 v[16:17], v[6:7], v[16:17]
	s_waitcnt lgkmcnt(2)
	v_pk_mul_f32 v[18:19], v[6:7], v[18:19]
	ds_write2st64_b32 v13, v16, v17 offset1:2
	ds_write2st64_b32 v13, v18, v19 offset0:4 offset1:6
	ds_read2st64_b32 v[18:19], v13 offset0:16 offset1:18
	s_waitcnt lgkmcnt(4)
	v_pk_mul_f32 v[16:17], v[6:7], v[20:21]
	ds_write2st64_b32 v13, v16, v17 offset0:8 offset1:10
	s_waitcnt lgkmcnt(4)
	v_pk_mul_f32 v[16:17], v[6:7], v[22:23]
	ds_write2st64_b32 v13, v16, v17 offset0:12 offset1:14
	ds_read2st64_b32 v[16:17], v13 offset0:20 offset1:22
	s_waitcnt lgkmcnt(3)
	v_pk_mul_f32 v[18:19], v[6:7], v[18:19]
	ds_read2st64_b32 v[20:21], v13 offset0:24 offset1:26
	ds_write2st64_b32 v13, v18, v19 offset0:16 offset1:18
	ds_read2st64_b32 v[18:19], v13 offset0:28 offset1:30
	s_waitcnt lgkmcnt(3)
	v_pk_mul_f32 v[16:17], v[6:7], v[16:17]
	ds_write2st64_b32 v13, v16, v17 offset0:20 offset1:22
	s_waitcnt lgkmcnt(3)
	v_pk_mul_f32 v[16:17], v[6:7], v[20:21]
	ds_write2st64_b32 v13, v16, v17 offset0:24 offset1:26
	s_waitcnt lgkmcnt(2)
	v_pk_mul_f32 v[16:17], v[6:7], v[18:19]
	s_add_i32 s22, s22, 16
	v_cmp_eq_u32_e32 vcc, 0, v12
	ds_write2st64_b32 v13, v16, v17 offset0:28 offset1:30
	v_add_u32_e32 v13, 0x2000, v13
	s_or_b64 s[16:17], vcc, s[16:17]
	v_mov_b32_e32 v15, s22
	s_andn2_b64 exec, exec, s[16:17]
	s_cbranch_execnz .LBB249_36
; %bb.37:
	s_or_b64 exec, exec, s[16:17]
.LBB249_38:
	s_or_b64 exec, exec, s[12:13]
	v_and_b32_e32 v11, 7, v11
	v_cmp_ne_u32_e32 vcc, 0, v11
	s_and_saveexec_b64 s[12:13], vcc
	s_cbranch_execz .LBB249_41
; %bb.39:
	v_lshlrev_b32_e32 v12, 9, v15
	v_lshlrev_b32_e32 v13, 2, v0
	s_movk_i32 s16, 0xf0
	v_add3_u32 v12, v12, v13, s16
	s_mov_b64 s[16:17], 0
.LBB249_40:                             ; =>This Inner Loop Header: Depth=1
	ds_read2st64_b32 v[16:17], v12 offset1:2
	v_add_u32_e32 v11, -1, v11
	v_cmp_eq_u32_e32 vcc, 0, v11
	s_or_b64 s[16:17], vcc, s[16:17]
	s_waitcnt lgkmcnt(0)
	v_pk_mul_f32 v[16:17], v[6:7], v[16:17]
	ds_write2st64_b32 v12, v16, v17 offset1:2
	v_add_u32_e32 v12, 0x400, v12
	s_andn2_b64 exec, exec, s[16:17]
	s_cbranch_execnz .LBB249_40
.LBB249_41:
	s_or_b64 exec, exec, s[12:13]
	v_add_u32_e32 v10, 1, v10
	v_and_b32_e32 v11, 0x3fffffe, v10
	v_cmp_ne_u32_e32 vcc, v10, v11
	v_lshl_add_u32 v7, v11, 7, v0
	s_orn2_b64 s[12:13], vcc, exec
.LBB249_42:
	s_or_b64 exec, exec, s[8:9]
	s_and_b64 exec, exec, s[12:13]
	s_cbranch_execz .LBB249_45
; %bb.43:
	v_mov_b32_e32 v10, 0xf0
	v_lshl_add_u32 v10, v7, 2, v10
	s_mov_b64 s[8:9], 0
.LBB249_44:                             ; =>This Inner Loop Header: Depth=1
	ds_read_b32 v11, v10
	v_add_u32_e32 v7, 0x80, v7
	v_cmp_le_i32_e32 vcc, s27, v7
	s_or_b64 s[8:9], vcc, s[8:9]
	s_waitcnt lgkmcnt(0)
	v_mul_f32_e32 v11, v6, v11
	ds_write_b32 v10, v11
	v_add_u32_e32 v10, 0x200, v10
	s_andn2_b64 exec, exec, s[8:9]
	s_cbranch_execnz .LBB249_44
.LBB249_45:
	s_or_b64 exec, exec, s[0:1]
	s_mul_i32 s0, s15, s36
	v_cmp_eq_u32_e32 vcc, 0, v0
	s_mul_i32 s8, s0, s5
	s_waitcnt lgkmcnt(0)
	s_barrier
	s_and_saveexec_b64 s[0:1], vcc
	s_cbranch_execz .LBB249_47
; %bb.46:
	s_ashr_i32 s9, s8, 31
	s_lshl_b64 s[12:13], s[8:9], 2
	s_add_u32 s5, s30, s12
	s_mul_i32 s16, s15, s2
	s_addc_u32 s9, s31, s13
	s_ashr_i32 s17, s16, 31
	s_lshl_b64 s[16:17], s[16:17], 2
	s_add_u32 s2, s5, s16
	s_addc_u32 s9, s9, s17
	s_ashr_i32 s5, s4, 31
	s_lshl_b64 s[22:23], s[4:5], 2
	s_add_u32 s30, s2, s22
	s_addc_u32 s31, s9, s23
	s_add_u32 s2, s28, s12
	s_addc_u32 s5, s29, s13
	;; [unrolled: 2-line block ×3, first 2 shown]
	s_add_u32 s12, s2, s22
	v_mov_b32_e32 v6, 0
	s_addc_u32 s13, s5, s23
	global_store_dword v6, v8, s[30:31]
	global_store_dword v6, v9, s[12:13]
.LBB249_47:
	s_or_b64 exec, exec, s[0:1]
	v_mov_b32_e32 v25, 0
	v_mov_b32_e32 v24, 0
	s_and_saveexec_b64 s[12:13], s[6:7]
	s_cbranch_execz .LBB249_187
; %bb.48:
	s_sub_i32 s5, s20, s25
	s_ashr_i32 s0, s24, 31
	s_add_u32 s6, s42, s24
	s_addc_u32 s7, s43, s0
	s_abs_i32 s31, s26
	v_cvt_f32_u32_e32 v8, s31
	v_or_b32_e32 v10, 64, v3
	s_movk_i32 s0, 0x70
	v_cmp_gt_u32_e32 vcc, s0, v10
	v_rcp_iflag_f32_e32 v8, v8
	s_sub_i32 s0, 0, s31
	s_add_i32 s30, s3, -1
	v_mov_b32_e32 v9, 0
	v_mul_f32_e32 v8, 0x4f7ffffe, v8
	v_cvt_u32_f32_e32 v8, v8
	s_mov_b32 s9, s21
	v_lshlrev_b32_e32 v6, 3, v3
	v_mov_b32_e32 v7, v9
	v_mul_lo_u32 v12, s0, v8
	s_lshl_b64 s[0:1], s[40:41], 2
	s_add_u32 s0, s38, s0
	v_mul_hi_u32 v12, v8, v12
	s_addc_u32 s1, s39, s1
	v_add_u32_e32 v26, v8, v12
	v_lshl_add_u64 v[12:13], v[4:5], 2, s[0:1]
	v_mov_b32_e32 v5, 0xf0
	v_lshlrev_b32_e32 v10, 3, v10
	v_mov_b32_e32 v11, v9
	s_mov_b32 s36, s33
	v_lshl_add_u32 v5, v14, 5, v5
	s_mov_b64 s[16:17], 0
	s_movk_i32 s38, 0x7f
	s_movk_i32 s39, 0x80
	s_mov_b32 s40, 0x8000
	s_movk_i32 s41, 0x380
	s_mov_b32 s42, 0x3020706
	s_mov_b32 s43, 0x1000504
	;; [unrolled: 1-line block ×3, first 2 shown]
	v_mov_b32_e32 v27, 0x1c00
	v_mov_b32_e32 v24, 0
	;; [unrolled: 1-line block ×3, first 2 shown]
	s_branch .LBB249_52
.LBB249_49:                             ;   in Loop: Header=BB249_52 Depth=1
	s_or_b64 exec, exec, s[24:25]
	;;#ASMSTART
	v_pk_mul_f16 v16, v31, v17;

	;;#ASMEND
	;;#ASMSTART
	v_pk_mul_f16 v8, v30, v8;

	;;#ASMEND
	;; [unrolled: 4-line block ×4, first 2 shown]
	s_nop 0
	;;#ASMSTART
	v_pk_add_f16 v8, v16, v8;

	;;#ASMEND
	s_nop 0
	;;#ASMSTART
	v_pk_add_f16 v8, v8, v15;

	;;#ASMEND
	;; [unrolled: 5-line block ×3, first 2 shown]
	s_nop 0
	v_lshrrev_b32_e32 v14, 16, v8
	v_and_b32_e32 v8, 0xffff, v8
	;;#ASMSTART
	v_cvt_f32_f16 v8, v8;
	;;#ASMEND
	;;#ASMSTART
	v_cvt_f32_f16 v14, v14;
	;;#ASMEND
	s_nop 0
	v_add_f32_e32 v8, v8, v14
	v_add_f32_e32 v24, v24, v8
.LBB249_50:                             ;   in Loop: Header=BB249_52 Depth=1
	s_or_b64 exec, exec, s[22:23]
	v_add_f32_e32 v8, v22, v23
	v_add_f32_e32 v25, v25, v8
.LBB249_51:                             ;   in Loop: Header=BB249_52 Depth=1
	s_or_b64 exec, exec, s[20:21]
	v_add_u32_e32 v4, 2, v4
	v_cmp_le_i32_e64 s[0:1], s52, v4
	v_lshl_add_u64 v[12:13], v[12:13], 0, 8
	v_add_u32_e32 v1, 16, v1
	s_or_b64 s[16:17], s[0:1], s[16:17]
	v_add_u32_e32 v5, 64, v5
	s_andn2_b64 exec, exec, s[16:17]
	s_cbranch_execz .LBB249_186
.LBB249_52:                             ; =>This Inner Loop Header: Depth=1
	v_sub_u32_e32 v14, 0, v1
	v_max_i32_e32 v14, v1, v14
	v_mul_hi_u32 v15, v14, s50
	v_mul_lo_u32 v16, v15, s37
	v_sub_u32_e32 v14, v14, v16
	v_add_u32_e32 v16, 1, v15
	v_cmp_le_u32_e64 s[0:1], s37, v14
	v_ashrrev_i32_e32 v8, 31, v1
	v_xor_b32_e32 v8, s51, v8
	v_cndmask_b32_e64 v15, v15, v16, s[0:1]
	v_subrev_u32_e32 v16, s37, v14
	v_cndmask_b32_e64 v14, v14, v16, s[0:1]
	v_add_u32_e32 v16, 1, v15
	v_cmp_le_u32_e64 s[0:1], s37, v14
	s_nop 1
	v_cndmask_b32_e64 v14, v15, v16, s[0:1]
	v_xor_b32_e32 v14, v14, v8
	v_sub_u32_e32 v8, v14, v8
	v_add_u32_e32 v14, s44, v8
	v_sub_u32_e32 v16, 0, v14
	v_ashrrev_i32_e32 v15, 31, v14
	v_max_i32_e32 v14, v14, v16
	v_mul_hi_u32 v16, v14, v26
	v_mul_lo_u32 v16, v16, s31
	v_sub_u32_e32 v14, v14, v16
	v_subrev_u32_e32 v16, s31, v14
	v_cmp_le_u32_e64 s[0:1], s31, v14
	v_cmp_lt_i32_e64 s[2:3], s5, v8
	s_nop 0
	v_cndmask_b32_e64 v14, v14, v16, s[0:1]
	v_subrev_u32_e32 v16, s31, v14
	v_cmp_le_u32_e64 s[0:1], s31, v14
	s_nop 1
	v_cndmask_b32_e64 v14, v14, v16, s[0:1]
	v_xor_b32_e32 v14, v14, v15
	v_sub_u32_e32 v14, v14, v15
	v_cmp_eq_u32_e64 s[0:1], 0, v14
	s_or_b64 s[0:1], s[0:1], s[2:3]
	s_and_saveexec_b64 s[20:21], s[0:1]
	s_cbranch_execz .LBB249_51
; %bb.53:                               ;   in Loop: Header=BB249_52 Depth=1
	ds_read2_b64 v[18:21], v5 offset1:1
	ds_read2_b64 v[32:35], v5 offset0:2 offset1:3
	v_mov_b64_e32 v[14:15], s[6:7]
                                        ; implicit-def: $sgpr24
	s_waitcnt lgkmcnt(1)
	;;#ASMSTART
	v_cvt_f16_f32 v17, v18;

	;;#ASMEND
	;;#ASMSTART
	v_cvt_f16_f32 v28, v19;

	;;#ASMEND
	;; [unrolled: 4-line block ×4, first 2 shown]
	s_waitcnt lgkmcnt(0)
	;;#ASMSTART
	v_cvt_f16_f32 v32, v32;

	;;#ASMEND
	;;#ASMSTART
	v_cvt_f16_f32 v33, v33;

	;;#ASMEND
	;; [unrolled: 4-line block ×4, first 2 shown]
	global_load_dword v8, v[12:13], off
	s_waitcnt vmcnt(0)
	v_mad_i64_i32 v[14:15], s[0:1], v8, s9, v[14:15]
	v_lshl_add_u64 v[20:21], v[14:15], 0, v[6:7]
	global_load_dwordx2 v[18:19], v[20:21], off
	global_load_dword v16, v9, s[18:19]
	s_mov_b64 s[0:1], 0
	s_waitcnt vmcnt(1)
	v_cmp_gt_i16_sdwa s[2:3], v18, s38 src0_sel:BYTE_0 src1_sel:DWORD
	s_and_saveexec_b64 s[22:23], s[2:3]
	s_xor_b64 s[2:3], exec, s[22:23]
	s_cbranch_execnz .LBB249_122
; %bb.54:                               ;   in Loop: Header=BB249_52 Depth=1
	s_or_saveexec_b64 s[2:3], s[2:3]
	v_mov_b32_e32 v20, s24
	s_xor_b64 exec, exec, s[2:3]
	s_cbranch_execnz .LBB249_125
.LBB249_55:                             ;   in Loop: Header=BB249_52 Depth=1
	s_or_b64 exec, exec, s[2:3]
	s_and_saveexec_b64 s[2:3], s[0:1]
	s_cbranch_execz .LBB249_57
.LBB249_56:                             ;   in Loop: Header=BB249_52 Depth=1
	v_and_b32_e32 v8, 7, v18
	v_ffbh_u32_e32 v8, v8
	v_bfe_u32 v20, v18, 3, 4
	v_min_u32_e32 v8, 32, v8
	v_subrev_u32_e32 v21, 28, v8
	v_sub_u32_e32 v8, 29, v8
	v_cmp_eq_u32_e64 s[0:1], 0, v20
	s_nop 1
	v_cndmask_b32_e64 v8, v20, v8, s[0:1]
	v_cndmask_b32_e64 v20, 0, v21, s[0:1]
	v_lshlrev_b64 v[20:21], v20, v[18:19]
	v_lshlrev_b32_e32 v21, 8, v18
	v_lshl_add_u32 v8, v8, 10, v27
	v_lshlrev_b32_e32 v20, 7, v20
	v_and_or_b32 v8, v21, s40, v8
	v_and_or_b32 v8, v20, s41, v8
	v_cvt_f32_f16_e32 v20, v8
.LBB249_57:                             ;   in Loop: Header=BB249_52 Depth=1
	s_or_b64 exec, exec, s[2:3]
	v_lshrrev_b16_e32 v8, 8, v18
	v_cmp_lt_i16_e64 s[0:1], s38, v8
	s_mov_b64 s[2:3], 0
                                        ; implicit-def: $sgpr26
	s_and_saveexec_b64 s[22:23], s[0:1]
	s_xor_b64 s[22:23], exec, s[22:23]
	s_cbranch_execnz .LBB249_126
; %bb.58:                               ;   in Loop: Header=BB249_52 Depth=1
	s_or_saveexec_b64 s[22:23], s[22:23]
	v_mov_b32_e32 v22, s26
	s_xor_b64 exec, exec, s[22:23]
	s_cbranch_execnz .LBB249_129
.LBB249_59:                             ;   in Loop: Header=BB249_52 Depth=1
	s_or_b64 exec, exec, s[22:23]
	s_and_saveexec_b64 s[22:23], s[2:3]
	s_cbranch_execz .LBB249_61
.LBB249_60:                             ;   in Loop: Header=BB249_52 Depth=1
	v_and_b32_e32 v21, 7, v8
	v_ffbh_u32_e32 v22, v21
	v_min_u32_e32 v36, 32, v22
	v_subrev_u32_e32 v22, 28, v36
	v_bfe_u32 v31, v8, 3, 4
	v_lshlrev_b64 v[22:23], v22, v[8:9]
	v_sub_u32_e32 v23, 29, v36
	v_cmp_eq_u32_e64 s[0:1], 0, v31
	v_and_b32_e32 v22, 7, v22
	v_lshlrev_b32_e32 v8, 8, v8
	v_cndmask_b32_e64 v23, v31, v23, s[0:1]
	v_cndmask_b32_e64 v21, v21, v22, s[0:1]
	v_lshl_add_u32 v22, v23, 10, v27
	v_and_or_b32 v8, v8, s40, v22
	v_lshl_or_b32 v8, v21, 7, v8
	v_cvt_f32_f16_e32 v22, v8
.LBB249_61:                             ;   in Loop: Header=BB249_52 Depth=1
	s_or_b64 exec, exec, s[22:23]
	v_lshrrev_b32_e32 v8, 16, v18
	v_cmp_gt_i16_sdwa s[2:3], v8, s38 src0_sel:BYTE_0 src1_sel:DWORD
	s_mov_b64 s[0:1], 0
                                        ; implicit-def: $sgpr24
	s_and_saveexec_b64 s[22:23], s[2:3]
	s_xor_b64 s[2:3], exec, s[22:23]
	s_cbranch_execnz .LBB249_130
; %bb.62:                               ;   in Loop: Header=BB249_52 Depth=1
	s_or_saveexec_b64 s[2:3], s[2:3]
	v_mov_b32_e32 v21, s24
	s_xor_b64 exec, exec, s[2:3]
	s_cbranch_execnz .LBB249_133
.LBB249_63:                             ;   in Loop: Header=BB249_52 Depth=1
	s_or_b64 exec, exec, s[2:3]
	s_and_saveexec_b64 s[2:3], s[0:1]
	s_cbranch_execz .LBB249_65
.LBB249_64:                             ;   in Loop: Header=BB249_52 Depth=1
	v_bfe_u32 v21, v18, 16, 3
	v_ffbh_u32_e32 v31, v21
	v_bfe_u32 v23, v18, 19, 4
	v_min_u32_e32 v31, 32, v31
	v_subrev_u32_e32 v36, 28, v31
	v_sub_u32_e32 v31, 29, v31
	v_cmp_eq_u32_e64 s[0:1], 0, v23
	v_lshlrev_b64 v[36:37], v36, v[8:9]
	v_and_b32_e32 v36, 7, v36
	v_cndmask_b32_e64 v23, v23, v31, s[0:1]
	v_lshlrev_b32_e32 v8, 8, v8
	v_lshl_add_u32 v23, v23, 10, v27
	v_cndmask_b32_e64 v21, v21, v36, s[0:1]
	v_and_or_b32 v8, v8, s40, v23
	v_lshl_or_b32 v8, v21, 7, v8
	v_cvt_f32_f16_e32 v21, v8
.LBB249_65:                             ;   in Loop: Header=BB249_52 Depth=1
	s_or_b64 exec, exec, s[2:3]
	v_lshrrev_b32_e32 v8, 24, v18
	v_cmp_lt_i16_e64 s[0:1], s38, v8
	s_mov_b64 s[2:3], 0
                                        ; implicit-def: $sgpr26
	s_and_saveexec_b64 s[22:23], s[0:1]
	s_xor_b64 s[22:23], exec, s[22:23]
	s_cbranch_execnz .LBB249_134
; %bb.66:                               ;   in Loop: Header=BB249_52 Depth=1
	s_or_saveexec_b64 s[22:23], s[22:23]
	v_mov_b32_e32 v23, s26
	s_xor_b64 exec, exec, s[22:23]
	s_cbranch_execnz .LBB249_137
.LBB249_67:                             ;   in Loop: Header=BB249_52 Depth=1
	s_or_b64 exec, exec, s[22:23]
	s_and_saveexec_b64 s[22:23], s[2:3]
	s_cbranch_execz .LBB249_69
.LBB249_68:                             ;   in Loop: Header=BB249_52 Depth=1
	v_bfe_u32 v23, v18, 24, 3
	v_ffbh_u32_e32 v31, v23
	v_bfe_u32 v18, v18, 27, 4
	v_min_u32_e32 v31, 32, v31
	v_subrev_u32_e32 v36, 28, v31
	v_sub_u32_e32 v31, 29, v31
	v_cmp_eq_u32_e64 s[0:1], 0, v18
	v_lshlrev_b64 v[36:37], v36, v[8:9]
	v_and_b32_e32 v36, 7, v36
	v_cndmask_b32_e64 v18, v18, v31, s[0:1]
	v_lshlrev_b32_e32 v8, 8, v8
	v_lshl_add_u32 v18, v18, 10, v27
	v_cndmask_b32_e64 v23, v23, v36, s[0:1]
	v_and_or_b32 v8, v8, s40, v18
	v_lshl_or_b32 v8, v23, 7, v8
	v_cvt_f32_f16_e32 v23, v8
.LBB249_69:                             ;   in Loop: Header=BB249_52 Depth=1
	s_or_b64 exec, exec, s[22:23]
	v_cmp_gt_i16_sdwa s[2:3], v19, s38 src0_sel:BYTE_0 src1_sel:DWORD
	s_mov_b64 s[0:1], 0
                                        ; implicit-def: $sgpr24
	s_and_saveexec_b64 s[22:23], s[2:3]
	s_xor_b64 s[2:3], exec, s[22:23]
	s_cbranch_execnz .LBB249_138
; %bb.70:                               ;   in Loop: Header=BB249_52 Depth=1
	s_or_saveexec_b64 s[2:3], s[2:3]
	v_mov_b32_e32 v18, s24
	s_xor_b64 exec, exec, s[2:3]
	s_cbranch_execnz .LBB249_141
.LBB249_71:                             ;   in Loop: Header=BB249_52 Depth=1
	s_or_b64 exec, exec, s[2:3]
	v_mov_b32_e32 v8, v19
	s_and_saveexec_b64 s[2:3], s[0:1]
	s_cbranch_execz .LBB249_73
.LBB249_72:                             ;   in Loop: Header=BB249_52 Depth=1
	v_and_b32_e32 v18, 7, v19
	v_ffbh_u32_e32 v18, v18
	v_bfe_u32 v31, v19, 3, 4
	v_min_u32_e32 v18, 32, v18
	v_subrev_u32_e32 v36, 28, v18
	v_sub_u32_e32 v18, 29, v18
	v_cmp_eq_u32_e64 s[0:1], 0, v31
	s_nop 1
	v_cndmask_b32_e64 v18, v31, v18, s[0:1]
	v_cndmask_b32_e64 v31, 0, v36, s[0:1]
	v_lshlrev_b64 v[36:37], v31, v[8:9]
	v_lshlrev_b32_e32 v31, 7, v36
	v_lshlrev_b32_e32 v36, 8, v19
	v_lshl_add_u32 v18, v18, 10, v27
	v_and_or_b32 v18, v36, s40, v18
	v_and_or_b32 v18, v31, s41, v18
	v_cvt_f32_f16_e32 v18, v18
.LBB249_73:                             ;   in Loop: Header=BB249_52 Depth=1
	s_or_b64 exec, exec, s[2:3]
	v_lshrrev_b16_e32 v8, 8, v8
	v_cmp_lt_i16_e64 s[0:1], s38, v8
	s_mov_b64 s[2:3], 0
                                        ; implicit-def: $sgpr26
	s_and_saveexec_b64 s[22:23], s[0:1]
	s_xor_b64 s[22:23], exec, s[22:23]
	s_cbranch_execnz .LBB249_142
; %bb.74:                               ;   in Loop: Header=BB249_52 Depth=1
	s_or_saveexec_b64 s[22:23], s[22:23]
	v_mov_b32_e32 v31, s26
	s_xor_b64 exec, exec, s[22:23]
	s_cbranch_execnz .LBB249_145
.LBB249_75:                             ;   in Loop: Header=BB249_52 Depth=1
	s_or_b64 exec, exec, s[22:23]
	s_and_saveexec_b64 s[22:23], s[2:3]
	s_cbranch_execz .LBB249_77
.LBB249_76:                             ;   in Loop: Header=BB249_52 Depth=1
	v_and_b32_e32 v31, 7, v8
	v_ffbh_u32_e32 v36, v31
	v_min_u32_e32 v39, 32, v36
	v_subrev_u32_e32 v36, 28, v39
	v_bfe_u32 v38, v8, 3, 4
	v_lshlrev_b64 v[36:37], v36, v[8:9]
	v_sub_u32_e32 v37, 29, v39
	v_cmp_eq_u32_e64 s[0:1], 0, v38
	v_and_b32_e32 v36, 7, v36
	v_lshlrev_b32_e32 v8, 8, v8
	v_cndmask_b32_e64 v37, v38, v37, s[0:1]
	v_cndmask_b32_e64 v31, v31, v36, s[0:1]
	v_lshl_add_u32 v36, v37, 10, v27
	v_and_or_b32 v8, v8, s40, v36
	v_lshl_or_b32 v8, v31, 7, v8
	v_cvt_f32_f16_e32 v31, v8
.LBB249_77:                             ;   in Loop: Header=BB249_52 Depth=1
	s_or_b64 exec, exec, s[22:23]
	v_lshrrev_b32_e32 v8, 16, v19
	v_cmp_gt_i16_sdwa s[2:3], v8, s38 src0_sel:BYTE_0 src1_sel:DWORD
	s_mov_b64 s[0:1], 0
                                        ; implicit-def: $sgpr24
	s_and_saveexec_b64 s[22:23], s[2:3]
	s_xor_b64 s[2:3], exec, s[22:23]
	s_cbranch_execnz .LBB249_146
; %bb.78:                               ;   in Loop: Header=BB249_52 Depth=1
	s_or_saveexec_b64 s[2:3], s[2:3]
	v_mov_b32_e32 v36, s24
	s_xor_b64 exec, exec, s[2:3]
	s_cbranch_execnz .LBB249_149
.LBB249_79:                             ;   in Loop: Header=BB249_52 Depth=1
	s_or_b64 exec, exec, s[2:3]
	s_and_saveexec_b64 s[2:3], s[0:1]
	s_cbranch_execz .LBB249_81
.LBB249_80:                             ;   in Loop: Header=BB249_52 Depth=1
	v_bfe_u32 v38, v19, 16, 3
	v_ffbh_u32_e32 v36, v38
	v_min_u32_e32 v40, 32, v36
	v_subrev_u32_e32 v36, 28, v40
	v_bfe_u32 v39, v19, 19, 4
	v_lshlrev_b64 v[36:37], v36, v[8:9]
	v_sub_u32_e32 v37, 29, v40
	v_cmp_eq_u32_e64 s[0:1], 0, v39
	v_and_b32_e32 v36, 7, v36
	v_lshlrev_b32_e32 v8, 8, v8
	v_cndmask_b32_e64 v37, v39, v37, s[0:1]
	v_lshl_add_u32 v37, v37, 10, v27
	v_cndmask_b32_e64 v36, v38, v36, s[0:1]
	v_and_or_b32 v8, v8, s40, v37
	v_lshl_or_b32 v8, v36, 7, v8
	v_cvt_f32_f16_e32 v36, v8
.LBB249_81:                             ;   in Loop: Header=BB249_52 Depth=1
	s_or_b64 exec, exec, s[2:3]
	v_lshrrev_b32_e32 v8, 24, v19
	v_cmp_lt_i16_e64 s[0:1], s38, v8
	s_mov_b64 s[2:3], 0
                                        ; implicit-def: $sgpr26
	s_and_saveexec_b64 s[22:23], s[0:1]
	s_xor_b64 s[22:23], exec, s[22:23]
	s_cbranch_execnz .LBB249_150
; %bb.82:                               ;   in Loop: Header=BB249_52 Depth=1
	s_or_saveexec_b64 s[22:23], s[22:23]
	v_mov_b32_e32 v37, s26
	s_xor_b64 exec, exec, s[22:23]
	s_cbranch_execnz .LBB249_153
.LBB249_83:                             ;   in Loop: Header=BB249_52 Depth=1
	s_or_b64 exec, exec, s[22:23]
	s_and_saveexec_b64 s[22:23], s[2:3]
	s_cbranch_execz .LBB249_85
.LBB249_84:                             ;   in Loop: Header=BB249_52 Depth=1
	v_bfe_u32 v37, v19, 24, 3
	v_ffbh_u32_e32 v38, v37
	v_min_u32_e32 v40, 32, v38
	v_subrev_u32_e32 v38, 28, v40
	v_bfe_u32 v19, v19, 27, 4
	v_lshlrev_b64 v[38:39], v38, v[8:9]
	v_sub_u32_e32 v39, 29, v40
	v_cmp_eq_u32_e64 s[0:1], 0, v19
	v_and_b32_e32 v38, 7, v38
	v_lshlrev_b32_e32 v8, 8, v8
	v_cndmask_b32_e64 v19, v19, v39, s[0:1]
	v_lshl_add_u32 v19, v19, 10, v27
	v_cndmask_b32_e64 v37, v37, v38, s[0:1]
	v_and_or_b32 v8, v8, s40, v19
	v_lshl_or_b32 v8, v37, 7, v8
	v_cvt_f32_f16_e32 v37, v8
.LBB249_85:                             ;   in Loop: Header=BB249_52 Depth=1
	s_or_b64 exec, exec, s[22:23]
	s_waitcnt vmcnt(0)
	v_pk_mul_f32 v[22:23], v[16:17], v[22:23] op_sel_hi:[0,1]
	v_pk_mul_f32 v[20:21], v[16:17], v[20:21] op_sel_hi:[0,1]
	v_cvt_f16_f32_e32 v8, v23
	v_cvt_f16_f32_e32 v19, v22
	;; [unrolled: 1-line block ×4, first 2 shown]
	v_fma_mixlo_f16 v18, v16, v18, 0
	v_pack_b32_f16 v19, v19, v8
	v_cmp_eq_u32_e64 s[2:3], s30, v4
	v_pack_b32_f16 v20, v20, v21
	v_perm_b32 v8, v20, v19, s42
	v_perm_b32 v19, v20, v19, s43
	v_fma_mixlo_f16 v20, v16, v31, 0
	v_lshlrev_b32_e32 v20, 16, v20
	v_or_b32_sdwa v18, v20, v18 dst_sel:DWORD dst_unused:UNUSED_PAD src0_sel:DWORD src1_sel:WORD_0
	v_fma_mixlo_f16 v20, v16, v36, 0
	v_fma_mixlo_f16 v16, v16, v37, 0
	v_lshlrev_b32_e32 v16, 16, v16
	v_or_b32_sdwa v16, v16, v20 dst_sel:DWORD dst_unused:UNUSED_PAD src0_sel:DWORD src1_sel:WORD_0
	s_and_saveexec_b64 s[22:23], s[2:3]
	s_cbranch_execz .LBB249_87
; %bb.86:                               ;   in Loop: Header=BB249_52 Depth=1
	v_add_u32_e32 v21, 1, v1
	v_lshrrev_b32_e32 v22, 16, v19
	v_cmp_gt_i32_e64 s[0:1], s36, v21
	v_lshrrev_b32_e32 v23, 16, v8
	v_lshrrev_b32_e32 v16, 16, v16
	v_cndmask_b32_e64 v21, 0, v22, s[0:1]
	v_cmp_gt_i32_e64 s[0:1], s33, v1
	v_or_b32_e32 v22, 2, v1
	s_nop 0
	v_cndmask_b32_e64 v19, 0, v19, s[0:1]
	v_perm_b32 v19, v21, v19, s45
	v_or_b32_e32 v21, 3, v1
	v_cmp_gt_i32_e64 s[0:1], s36, v21
	s_nop 1
	v_cndmask_b32_e64 v21, 0, v23, s[0:1]
	v_cmp_gt_i32_e64 s[0:1], s33, v22
	v_or_b32_e32 v22, 4, v1
	v_lshrrev_b32_e32 v23, 16, v18
	v_cndmask_b32_e64 v8, 0, v8, s[0:1]
	v_perm_b32 v8, v21, v8, s45
	v_or_b32_e32 v21, 5, v1
	v_cmp_gt_i32_e64 s[0:1], s36, v21
	s_nop 1
	v_cndmask_b32_e64 v21, 0, v23, s[0:1]
	v_cmp_gt_i32_e64 s[0:1], s33, v22
	v_or_b32_e32 v22, 6, v1
	s_nop 0
	v_cndmask_b32_e64 v18, 0, v18, s[0:1]
	v_perm_b32 v18, v21, v18, s45
	v_or_b32_e32 v21, 7, v1
	v_cmp_gt_i32_e64 s[0:1], s36, v21
	s_nop 1
	v_cndmask_b32_e64 v16, 0, v16, s[0:1]
	v_cmp_gt_i32_e64 s[0:1], s33, v22
	s_nop 1
	v_cndmask_b32_e64 v20, 0, v20, s[0:1]
	v_perm_b32 v16, v16, v20, s45
.LBB249_87:                             ;   in Loop: Header=BB249_52 Depth=1
	s_or_b64 exec, exec, s[22:23]
	v_and_b32_e32 v17, 0xffff, v17
	v_lshl_or_b32 v31, v28, 16, v17
	v_and_b32_e32 v17, 0xffff, v29
	v_lshl_or_b32 v30, v30, 16, v17
	;; [unrolled: 2-line block ×4, first 2 shown]
	;;#ASMSTART
	v_pk_mul_f16 v17, v31, v19;

	;;#ASMEND
	;;#ASMSTART
	v_pk_mul_f16 v8, v30, v8;

	;;#ASMEND
	;; [unrolled: 4-line block ×4, first 2 shown]
	s_nop 0
	;;#ASMSTART
	v_pk_add_f16 v8, v17, v8;

	;;#ASMEND
	s_nop 0
	;;#ASMSTART
	v_pk_add_f16 v8, v8, v18;

	;;#ASMEND
	;; [unrolled: 5-line block ×3, first 2 shown]
	s_nop 0
	v_lshrrev_b32_e32 v16, 16, v8
	v_and_b32_e32 v8, 0xffff, v8
	;;#ASMSTART
	v_cvt_f32_f16 v22, v8;
	;;#ASMEND
	;;#ASMSTART
	v_cvt_f32_f16 v23, v16;
	;;#ASMEND
	s_and_saveexec_b64 s[22:23], vcc
	s_cbranch_execz .LBB249_50
; %bb.88:                               ;   in Loop: Header=BB249_52 Depth=1
	v_lshl_add_u64 v[18:19], v[14:15], 0, v[10:11]
	global_load_dwordx2 v[16:17], v[18:19], off
	global_load_dword v14, v9, s[18:19]
	s_mov_b64 s[0:1], 0
                                        ; implicit-def: $sgpr28
	s_waitcnt vmcnt(1)
	v_cmp_gt_i16_sdwa s[24:25], v16, s38 src0_sel:BYTE_0 src1_sel:DWORD
	s_and_saveexec_b64 s[26:27], s[24:25]
	s_xor_b64 s[24:25], exec, s[26:27]
	s_cbranch_execnz .LBB249_154
; %bb.89:                               ;   in Loop: Header=BB249_52 Depth=1
	s_or_saveexec_b64 s[24:25], s[24:25]
	v_mov_b32_e32 v18, s28
	s_xor_b64 exec, exec, s[24:25]
	s_cbranch_execnz .LBB249_157
.LBB249_90:                             ;   in Loop: Header=BB249_52 Depth=1
	s_or_b64 exec, exec, s[24:25]
	s_and_saveexec_b64 s[24:25], s[0:1]
	s_cbranch_execz .LBB249_92
.LBB249_91:                             ;   in Loop: Header=BB249_52 Depth=1
	v_and_b32_e32 v8, 7, v16
	v_ffbh_u32_e32 v8, v8
	v_bfe_u32 v15, v16, 3, 4
	v_min_u32_e32 v8, 32, v8
	v_subrev_u32_e32 v18, 28, v8
	v_sub_u32_e32 v8, 29, v8
	v_cmp_eq_u32_e64 s[0:1], 0, v15
	s_nop 1
	v_cndmask_b32_e64 v8, v15, v8, s[0:1]
	v_cndmask_b32_e64 v15, 0, v18, s[0:1]
	v_lshlrev_b64 v[18:19], v15, v[16:17]
	v_lshlrev_b32_e32 v15, 7, v18
	v_lshlrev_b32_e32 v18, 8, v16
	v_lshl_add_u32 v8, v8, 10, v27
	v_and_or_b32 v8, v18, s40, v8
	v_and_or_b32 v8, v15, s41, v8
	v_cvt_f32_f16_e32 v18, v8
.LBB249_92:                             ;   in Loop: Header=BB249_52 Depth=1
	s_or_b64 exec, exec, s[24:25]
	v_lshrrev_b16_e32 v8, 8, v16
	v_cmp_lt_i16_e64 s[0:1], s38, v8
	s_mov_b64 s[24:25], 0
                                        ; implicit-def: $sgpr46
	s_and_saveexec_b64 s[26:27], s[0:1]
	s_xor_b64 s[26:27], exec, s[26:27]
	s_cbranch_execnz .LBB249_158
; %bb.93:                               ;   in Loop: Header=BB249_52 Depth=1
	s_or_saveexec_b64 s[26:27], s[26:27]
	v_mov_b32_e32 v20, s46
	s_xor_b64 exec, exec, s[26:27]
	s_cbranch_execnz .LBB249_161
.LBB249_94:                             ;   in Loop: Header=BB249_52 Depth=1
	s_or_b64 exec, exec, s[26:27]
	s_and_saveexec_b64 s[26:27], s[24:25]
	s_cbranch_execz .LBB249_96
.LBB249_95:                             ;   in Loop: Header=BB249_52 Depth=1
	v_and_b32_e32 v15, 7, v8
	v_ffbh_u32_e32 v20, v15
	v_min_u32_e32 v32, 32, v20
	v_subrev_u32_e32 v20, 28, v32
	v_bfe_u32 v19, v8, 3, 4
	v_lshlrev_b64 v[20:21], v20, v[8:9]
	v_sub_u32_e32 v21, 29, v32
	v_cmp_eq_u32_e64 s[0:1], 0, v19
	v_and_b32_e32 v20, 7, v20
	v_lshlrev_b32_e32 v8, 8, v8
	v_cndmask_b32_e64 v19, v19, v21, s[0:1]
	v_lshl_add_u32 v19, v19, 10, v27
	v_cndmask_b32_e64 v15, v15, v20, s[0:1]
	v_and_or_b32 v8, v8, s40, v19
	v_lshl_or_b32 v8, v15, 7, v8
	v_cvt_f32_f16_e32 v20, v8
.LBB249_96:                             ;   in Loop: Header=BB249_52 Depth=1
	s_or_b64 exec, exec, s[26:27]
	v_lshrrev_b32_e32 v8, 16, v16
	v_cmp_gt_i16_sdwa s[24:25], v8, s38 src0_sel:BYTE_0 src1_sel:DWORD
	s_mov_b64 s[0:1], 0
                                        ; implicit-def: $sgpr28
	s_and_saveexec_b64 s[26:27], s[24:25]
	s_xor_b64 s[24:25], exec, s[26:27]
	s_cbranch_execnz .LBB249_162
; %bb.97:                               ;   in Loop: Header=BB249_52 Depth=1
	s_or_saveexec_b64 s[24:25], s[24:25]
	v_mov_b32_e32 v19, s28
	s_xor_b64 exec, exec, s[24:25]
	s_cbranch_execnz .LBB249_165
.LBB249_98:                             ;   in Loop: Header=BB249_52 Depth=1
	s_or_b64 exec, exec, s[24:25]
	s_and_saveexec_b64 s[24:25], s[0:1]
	s_cbranch_execz .LBB249_100
.LBB249_99:                             ;   in Loop: Header=BB249_52 Depth=1
	v_bfe_u32 v15, v16, 16, 3
	v_ffbh_u32_e32 v21, v15
	v_bfe_u32 v19, v16, 19, 4
	v_min_u32_e32 v21, 32, v21
	v_subrev_u32_e32 v32, 28, v21
	v_sub_u32_e32 v21, 29, v21
	v_cmp_eq_u32_e64 s[0:1], 0, v19
	v_lshlrev_b64 v[32:33], v32, v[8:9]
	v_and_b32_e32 v32, 7, v32
	v_cndmask_b32_e64 v19, v19, v21, s[0:1]
	v_lshlrev_b32_e32 v8, 8, v8
	v_lshl_add_u32 v19, v19, 10, v27
	v_cndmask_b32_e64 v15, v15, v32, s[0:1]
	v_and_or_b32 v8, v8, s40, v19
	v_lshl_or_b32 v8, v15, 7, v8
	v_cvt_f32_f16_e32 v19, v8
.LBB249_100:                            ;   in Loop: Header=BB249_52 Depth=1
	s_or_b64 exec, exec, s[24:25]
	v_lshrrev_b32_e32 v8, 24, v16
	v_cmp_lt_i16_e64 s[0:1], s38, v8
	s_mov_b64 s[24:25], 0
                                        ; implicit-def: $sgpr46
	s_and_saveexec_b64 s[26:27], s[0:1]
	s_xor_b64 s[26:27], exec, s[26:27]
	s_cbranch_execnz .LBB249_166
; %bb.101:                              ;   in Loop: Header=BB249_52 Depth=1
	s_or_saveexec_b64 s[26:27], s[26:27]
	v_mov_b32_e32 v21, s46
	s_xor_b64 exec, exec, s[26:27]
	s_cbranch_execnz .LBB249_169
.LBB249_102:                            ;   in Loop: Header=BB249_52 Depth=1
	s_or_b64 exec, exec, s[26:27]
	s_and_saveexec_b64 s[26:27], s[24:25]
	s_cbranch_execz .LBB249_104
.LBB249_103:                            ;   in Loop: Header=BB249_52 Depth=1
	v_bfe_u32 v15, v16, 24, 3
	v_ffbh_u32_e32 v21, v15
	v_bfe_u32 v16, v16, 27, 4
	v_min_u32_e32 v21, 32, v21
	v_subrev_u32_e32 v32, 28, v21
	v_sub_u32_e32 v21, 29, v21
	v_cmp_eq_u32_e64 s[0:1], 0, v16
	v_lshlrev_b64 v[32:33], v32, v[8:9]
	v_and_b32_e32 v32, 7, v32
	v_cndmask_b32_e64 v16, v16, v21, s[0:1]
	v_lshlrev_b32_e32 v8, 8, v8
	v_lshl_add_u32 v16, v16, 10, v27
	v_cndmask_b32_e64 v15, v15, v32, s[0:1]
	v_and_or_b32 v8, v8, s40, v16
	v_lshl_or_b32 v8, v15, 7, v8
	v_cvt_f32_f16_e32 v21, v8
.LBB249_104:                            ;   in Loop: Header=BB249_52 Depth=1
	s_or_b64 exec, exec, s[26:27]
	v_cmp_gt_i16_sdwa s[24:25], v17, s38 src0_sel:BYTE_0 src1_sel:DWORD
	s_mov_b64 s[0:1], 0
                                        ; implicit-def: $sgpr28
	s_and_saveexec_b64 s[26:27], s[24:25]
	s_xor_b64 s[24:25], exec, s[26:27]
	s_cbranch_execnz .LBB249_170
; %bb.105:                              ;   in Loop: Header=BB249_52 Depth=1
	s_or_saveexec_b64 s[24:25], s[24:25]
	v_mov_b32_e32 v15, s28
	s_xor_b64 exec, exec, s[24:25]
	s_cbranch_execnz .LBB249_173
.LBB249_106:                            ;   in Loop: Header=BB249_52 Depth=1
	s_or_b64 exec, exec, s[24:25]
	v_mov_b32_e32 v8, v17
	s_and_saveexec_b64 s[24:25], s[0:1]
	s_cbranch_execz .LBB249_108
.LBB249_107:                            ;   in Loop: Header=BB249_52 Depth=1
	v_and_b32_e32 v15, 7, v17
	v_ffbh_u32_e32 v15, v15
	v_bfe_u32 v16, v17, 3, 4
	v_min_u32_e32 v15, 32, v15
	v_subrev_u32_e32 v32, 28, v15
	v_sub_u32_e32 v15, 29, v15
	v_cmp_eq_u32_e64 s[0:1], 0, v16
	s_nop 1
	v_cndmask_b32_e64 v15, v16, v15, s[0:1]
	v_cndmask_b32_e64 v16, 0, v32, s[0:1]
	v_lshlrev_b64 v[32:33], v16, v[8:9]
	v_lshlrev_b32_e32 v16, 7, v32
	v_lshlrev_b32_e32 v32, 8, v17
	v_lshl_add_u32 v15, v15, 10, v27
	v_and_or_b32 v15, v32, s40, v15
	v_and_or_b32 v15, v16, s41, v15
	v_cvt_f32_f16_e32 v15, v15
.LBB249_108:                            ;   in Loop: Header=BB249_52 Depth=1
	s_or_b64 exec, exec, s[24:25]
	v_lshrrev_b16_e32 v8, 8, v8
	v_cmp_lt_i16_e64 s[0:1], s38, v8
	s_mov_b64 s[24:25], 0
                                        ; implicit-def: $sgpr46
	s_and_saveexec_b64 s[26:27], s[0:1]
	s_xor_b64 s[26:27], exec, s[26:27]
	s_cbranch_execnz .LBB249_174
; %bb.109:                              ;   in Loop: Header=BB249_52 Depth=1
	s_or_saveexec_b64 s[26:27], s[26:27]
	v_mov_b32_e32 v16, s46
	s_xor_b64 exec, exec, s[26:27]
	s_cbranch_execnz .LBB249_177
.LBB249_110:                            ;   in Loop: Header=BB249_52 Depth=1
	s_or_b64 exec, exec, s[26:27]
	s_and_saveexec_b64 s[26:27], s[24:25]
	s_cbranch_execz .LBB249_112
.LBB249_111:                            ;   in Loop: Header=BB249_52 Depth=1
	v_and_b32_e32 v16, 7, v8
	v_ffbh_u32_e32 v32, v16
	v_min_u32_e32 v35, 32, v32
	v_subrev_u32_e32 v32, 28, v35
	v_bfe_u32 v34, v8, 3, 4
	v_lshlrev_b64 v[32:33], v32, v[8:9]
	v_sub_u32_e32 v33, 29, v35
	v_cmp_eq_u32_e64 s[0:1], 0, v34
	v_and_b32_e32 v32, 7, v32
	v_lshlrev_b32_e32 v8, 8, v8
	v_cndmask_b32_e64 v33, v34, v33, s[0:1]
	v_cndmask_b32_e64 v16, v16, v32, s[0:1]
	v_lshl_add_u32 v32, v33, 10, v27
	v_and_or_b32 v8, v8, s40, v32
	v_lshl_or_b32 v8, v16, 7, v8
	v_cvt_f32_f16_e32 v16, v8
.LBB249_112:                            ;   in Loop: Header=BB249_52 Depth=1
	s_or_b64 exec, exec, s[26:27]
	v_lshrrev_b32_e32 v8, 16, v17
	v_cmp_gt_i16_sdwa s[24:25], v8, s38 src0_sel:BYTE_0 src1_sel:DWORD
	s_mov_b64 s[0:1], 0
                                        ; implicit-def: $sgpr28
	s_and_saveexec_b64 s[26:27], s[24:25]
	s_xor_b64 s[24:25], exec, s[26:27]
	s_cbranch_execnz .LBB249_178
; %bb.113:                              ;   in Loop: Header=BB249_52 Depth=1
	s_or_saveexec_b64 s[24:25], s[24:25]
	v_mov_b32_e32 v32, s28
	s_xor_b64 exec, exec, s[24:25]
	s_cbranch_execnz .LBB249_181
.LBB249_114:                            ;   in Loop: Header=BB249_52 Depth=1
	s_or_b64 exec, exec, s[24:25]
	s_and_saveexec_b64 s[24:25], s[0:1]
	s_cbranch_execz .LBB249_116
.LBB249_115:                            ;   in Loop: Header=BB249_52 Depth=1
	v_bfe_u32 v34, v17, 16, 3
	v_ffbh_u32_e32 v32, v34
	v_min_u32_e32 v36, 32, v32
	v_subrev_u32_e32 v32, 28, v36
	v_bfe_u32 v35, v17, 19, 4
	v_lshlrev_b64 v[32:33], v32, v[8:9]
	v_sub_u32_e32 v33, 29, v36
	v_cmp_eq_u32_e64 s[0:1], 0, v35
	v_and_b32_e32 v32, 7, v32
	v_lshlrev_b32_e32 v8, 8, v8
	v_cndmask_b32_e64 v33, v35, v33, s[0:1]
	v_lshl_add_u32 v33, v33, 10, v27
	v_cndmask_b32_e64 v32, v34, v32, s[0:1]
	v_and_or_b32 v8, v8, s40, v33
	v_lshl_or_b32 v8, v32, 7, v8
	v_cvt_f32_f16_e32 v32, v8
.LBB249_116:                            ;   in Loop: Header=BB249_52 Depth=1
	s_or_b64 exec, exec, s[24:25]
	v_lshrrev_b32_e32 v8, 24, v17
	v_cmp_lt_i16_e64 s[0:1], s38, v8
	s_mov_b64 s[24:25], 0
                                        ; implicit-def: $sgpr46
	s_and_saveexec_b64 s[26:27], s[0:1]
	s_xor_b64 s[26:27], exec, s[26:27]
	s_cbranch_execnz .LBB249_182
; %bb.117:                              ;   in Loop: Header=BB249_52 Depth=1
	s_or_saveexec_b64 s[26:27], s[26:27]
	v_mov_b32_e32 v33, s46
	s_xor_b64 exec, exec, s[26:27]
	s_cbranch_execnz .LBB249_185
.LBB249_118:                            ;   in Loop: Header=BB249_52 Depth=1
	s_or_b64 exec, exec, s[26:27]
	s_and_saveexec_b64 s[26:27], s[24:25]
	s_cbranch_execz .LBB249_120
.LBB249_119:                            ;   in Loop: Header=BB249_52 Depth=1
	v_bfe_u32 v33, v17, 24, 3
	v_ffbh_u32_e32 v34, v33
	v_min_u32_e32 v36, 32, v34
	v_subrev_u32_e32 v34, 28, v36
	v_bfe_u32 v17, v17, 27, 4
	v_lshlrev_b64 v[34:35], v34, v[8:9]
	v_sub_u32_e32 v35, 29, v36
	v_cmp_eq_u32_e64 s[0:1], 0, v17
	v_and_b32_e32 v34, 7, v34
	v_lshlrev_b32_e32 v8, 8, v8
	v_cndmask_b32_e64 v17, v17, v35, s[0:1]
	v_lshl_add_u32 v17, v17, 10, v27
	v_cndmask_b32_e64 v33, v33, v34, s[0:1]
	v_and_or_b32 v8, v8, s40, v17
	v_lshl_or_b32 v8, v33, 7, v8
	v_cvt_f32_f16_e32 v33, v8
.LBB249_120:                            ;   in Loop: Header=BB249_52 Depth=1
	s_or_b64 exec, exec, s[26:27]
	s_waitcnt vmcnt(0)
	v_pk_mul_f32 v[20:21], v[14:15], v[20:21] op_sel_hi:[0,1]
	v_pk_mul_f32 v[18:19], v[14:15], v[18:19] op_sel_hi:[0,1]
	v_cvt_f16_f32_e32 v8, v21
	v_cvt_f16_f32_e32 v17, v20
	;; [unrolled: 1-line block ×4, first 2 shown]
	v_fma_mixlo_f16 v16, v14, v16, 0
	v_lshlrev_b32_e32 v16, 16, v16
	v_fma_mixlo_f16 v15, v14, v15, 0
	v_or_b32_sdwa v15, v16, v15 dst_sel:DWORD dst_unused:UNUSED_PAD src0_sel:DWORD src1_sel:WORD_0
	v_fma_mixlo_f16 v16, v14, v32, 0
	v_fma_mixlo_f16 v14, v14, v33, 0
	v_pack_b32_f16 v17, v17, v8
	v_pack_b32_f16 v18, v18, v19
	v_lshlrev_b32_e32 v14, 16, v14
	v_perm_b32 v8, v18, v17, s42
	v_perm_b32 v17, v18, v17, s43
	v_or_b32_sdwa v14, v14, v16 dst_sel:DWORD dst_unused:UNUSED_PAD src0_sel:DWORD src1_sel:WORD_0
	s_and_saveexec_b64 s[24:25], s[2:3]
	s_cbranch_execz .LBB249_49
; %bb.121:                              ;   in Loop: Header=BB249_52 Depth=1
	v_add_u32_e32 v18, 1, v1
	v_lshrrev_b32_e32 v19, 16, v17
	v_cmp_gt_i32_e64 s[0:1], s36, v18
	v_lshrrev_b32_e32 v20, 16, v8
	v_lshrrev_b32_e32 v14, 16, v14
	v_cndmask_b32_e64 v18, 0, v19, s[0:1]
	v_cmp_gt_i32_e64 s[0:1], s33, v1
	v_or_b32_e32 v19, 2, v1
	s_nop 0
	v_cndmask_b32_e64 v17, 0, v17, s[0:1]
	v_perm_b32 v17, v18, v17, s45
	v_or_b32_e32 v18, 3, v1
	v_cmp_gt_i32_e64 s[0:1], s36, v18
	s_nop 1
	v_cndmask_b32_e64 v18, 0, v20, s[0:1]
	v_cmp_gt_i32_e64 s[0:1], s33, v19
	v_or_b32_e32 v19, 4, v1
	v_lshrrev_b32_e32 v20, 16, v15
	v_cndmask_b32_e64 v8, 0, v8, s[0:1]
	v_perm_b32 v8, v18, v8, s45
	v_or_b32_e32 v18, 5, v1
	v_cmp_gt_i32_e64 s[0:1], s36, v18
	s_nop 1
	v_cndmask_b32_e64 v18, 0, v20, s[0:1]
	v_cmp_gt_i32_e64 s[0:1], s33, v19
	v_or_b32_e32 v19, 6, v1
	s_nop 0
	v_cndmask_b32_e64 v15, 0, v15, s[0:1]
	v_perm_b32 v15, v18, v15, s45
	v_or_b32_e32 v18, 7, v1
	v_cmp_gt_i32_e64 s[0:1], s36, v18
	s_nop 1
	v_cndmask_b32_e64 v14, 0, v14, s[0:1]
	v_cmp_gt_i32_e64 s[0:1], s33, v19
	s_nop 1
	v_cndmask_b32_e64 v16, 0, v16, s[0:1]
	v_perm_b32 v14, v14, v16, s45
	s_branch .LBB249_49
.LBB249_122:                            ;   in Loop: Header=BB249_52 Depth=1
	v_cmp_eq_u16_sdwa s[26:27], v18, s39 src0_sel:BYTE_0 src1_sel:DWORD
	s_mov_b64 s[0:1], -1
                                        ; implicit-def: $sgpr24
	s_and_saveexec_b64 s[22:23], s[26:27]
; %bb.123:                              ;   in Loop: Header=BB249_52 Depth=1
	s_mov_b32 s24, 0x7fc02000
	s_xor_b64 s[0:1], exec, -1
; %bb.124:                              ;   in Loop: Header=BB249_52 Depth=1
	s_or_b64 exec, exec, s[22:23]
	s_and_b64 s[0:1], s[0:1], exec
	s_or_saveexec_b64 s[2:3], s[2:3]
	v_mov_b32_e32 v20, s24
	s_xor_b64 exec, exec, s[2:3]
	s_cbranch_execz .LBB249_55
.LBB249_125:                            ;   in Loop: Header=BB249_52 Depth=1
	v_cmp_ne_u16_sdwa s[22:23], v18, v9 src0_sel:BYTE_0 src1_sel:DWORD
	s_andn2_b64 s[0:1], s[0:1], exec
	s_and_b64 s[22:23], s[22:23], exec
	v_mov_b32_e32 v20, 0
	s_or_b64 s[0:1], s[0:1], s[22:23]
	s_or_b64 exec, exec, s[2:3]
	s_and_saveexec_b64 s[2:3], s[0:1]
	s_cbranch_execnz .LBB249_56
	s_branch .LBB249_57
.LBB249_126:                            ;   in Loop: Header=BB249_52 Depth=1
	v_cmp_eq_u16_e64 s[0:1], s39, v8
	s_mov_b64 s[2:3], -1
                                        ; implicit-def: $sgpr26
	s_and_saveexec_b64 s[24:25], s[0:1]
; %bb.127:                              ;   in Loop: Header=BB249_52 Depth=1
	s_mov_b32 s26, 0x7fc02000
	s_xor_b64 s[2:3], exec, -1
; %bb.128:                              ;   in Loop: Header=BB249_52 Depth=1
	s_or_b64 exec, exec, s[24:25]
	s_and_b64 s[2:3], s[2:3], exec
	s_or_saveexec_b64 s[22:23], s[22:23]
	v_mov_b32_e32 v22, s26
	s_xor_b64 exec, exec, s[22:23]
	s_cbranch_execz .LBB249_59
.LBB249_129:                            ;   in Loop: Header=BB249_52 Depth=1
	v_cmp_ne_u16_e64 s[0:1], 0, v8
	s_andn2_b64 s[2:3], s[2:3], exec
	s_and_b64 s[0:1], s[0:1], exec
	v_mov_b32_e32 v22, 0
	s_or_b64 s[2:3], s[2:3], s[0:1]
	s_or_b64 exec, exec, s[22:23]
	s_and_saveexec_b64 s[22:23], s[2:3]
	s_cbranch_execnz .LBB249_60
	s_branch .LBB249_61
.LBB249_130:                            ;   in Loop: Header=BB249_52 Depth=1
	v_cmp_eq_u16_sdwa s[26:27], v8, s39 src0_sel:BYTE_0 src1_sel:DWORD
	s_mov_b64 s[0:1], -1
                                        ; implicit-def: $sgpr24
	s_and_saveexec_b64 s[22:23], s[26:27]
; %bb.131:                              ;   in Loop: Header=BB249_52 Depth=1
	s_mov_b32 s24, 0x7fc02000
	s_xor_b64 s[0:1], exec, -1
; %bb.132:                              ;   in Loop: Header=BB249_52 Depth=1
	s_or_b64 exec, exec, s[22:23]
	s_and_b64 s[0:1], s[0:1], exec
	s_or_saveexec_b64 s[2:3], s[2:3]
	v_mov_b32_e32 v21, s24
	s_xor_b64 exec, exec, s[2:3]
	s_cbranch_execz .LBB249_63
.LBB249_133:                            ;   in Loop: Header=BB249_52 Depth=1
	v_cmp_ne_u16_sdwa s[22:23], v8, v9 src0_sel:BYTE_0 src1_sel:DWORD
	s_andn2_b64 s[0:1], s[0:1], exec
	s_and_b64 s[22:23], s[22:23], exec
	v_mov_b32_e32 v21, 0
	s_or_b64 s[0:1], s[0:1], s[22:23]
	s_or_b64 exec, exec, s[2:3]
	s_and_saveexec_b64 s[2:3], s[0:1]
	s_cbranch_execnz .LBB249_64
	s_branch .LBB249_65
.LBB249_134:                            ;   in Loop: Header=BB249_52 Depth=1
	v_cmp_eq_u16_e64 s[0:1], s39, v8
	s_mov_b64 s[2:3], -1
                                        ; implicit-def: $sgpr26
	s_and_saveexec_b64 s[24:25], s[0:1]
; %bb.135:                              ;   in Loop: Header=BB249_52 Depth=1
	s_mov_b32 s26, 0x7fc02000
	s_xor_b64 s[2:3], exec, -1
; %bb.136:                              ;   in Loop: Header=BB249_52 Depth=1
	s_or_b64 exec, exec, s[24:25]
	s_and_b64 s[2:3], s[2:3], exec
	s_or_saveexec_b64 s[22:23], s[22:23]
	v_mov_b32_e32 v23, s26
	s_xor_b64 exec, exec, s[22:23]
	s_cbranch_execz .LBB249_67
.LBB249_137:                            ;   in Loop: Header=BB249_52 Depth=1
	v_cmp_ne_u16_e64 s[0:1], 0, v8
	s_andn2_b64 s[2:3], s[2:3], exec
	s_and_b64 s[0:1], s[0:1], exec
	v_mov_b32_e32 v23, 0
	s_or_b64 s[2:3], s[2:3], s[0:1]
	s_or_b64 exec, exec, s[22:23]
	s_and_saveexec_b64 s[22:23], s[2:3]
	s_cbranch_execnz .LBB249_68
	s_branch .LBB249_69
.LBB249_138:                            ;   in Loop: Header=BB249_52 Depth=1
	v_cmp_eq_u16_sdwa s[26:27], v19, s39 src0_sel:BYTE_0 src1_sel:DWORD
	s_mov_b64 s[0:1], -1
                                        ; implicit-def: $sgpr24
	s_and_saveexec_b64 s[22:23], s[26:27]
; %bb.139:                              ;   in Loop: Header=BB249_52 Depth=1
	s_mov_b32 s24, 0x7fc02000
	s_xor_b64 s[0:1], exec, -1
; %bb.140:                              ;   in Loop: Header=BB249_52 Depth=1
	s_or_b64 exec, exec, s[22:23]
	s_and_b64 s[0:1], s[0:1], exec
	s_or_saveexec_b64 s[2:3], s[2:3]
	v_mov_b32_e32 v18, s24
	s_xor_b64 exec, exec, s[2:3]
	s_cbranch_execz .LBB249_71
.LBB249_141:                            ;   in Loop: Header=BB249_52 Depth=1
	v_cmp_ne_u16_sdwa s[22:23], v19, v9 src0_sel:BYTE_0 src1_sel:DWORD
	s_andn2_b64 s[0:1], s[0:1], exec
	s_and_b64 s[22:23], s[22:23], exec
	v_mov_b32_e32 v18, 0
	s_or_b64 s[0:1], s[0:1], s[22:23]
	s_or_b64 exec, exec, s[2:3]
	v_mov_b32_e32 v8, v19
	s_and_saveexec_b64 s[2:3], s[0:1]
	s_cbranch_execnz .LBB249_72
	s_branch .LBB249_73
.LBB249_142:                            ;   in Loop: Header=BB249_52 Depth=1
	v_cmp_eq_u16_e64 s[0:1], s39, v8
	s_mov_b64 s[2:3], -1
                                        ; implicit-def: $sgpr26
	s_and_saveexec_b64 s[24:25], s[0:1]
; %bb.143:                              ;   in Loop: Header=BB249_52 Depth=1
	s_mov_b32 s26, 0x7fc02000
	s_xor_b64 s[2:3], exec, -1
; %bb.144:                              ;   in Loop: Header=BB249_52 Depth=1
	s_or_b64 exec, exec, s[24:25]
	s_and_b64 s[2:3], s[2:3], exec
	s_or_saveexec_b64 s[22:23], s[22:23]
	v_mov_b32_e32 v31, s26
	s_xor_b64 exec, exec, s[22:23]
	s_cbranch_execz .LBB249_75
.LBB249_145:                            ;   in Loop: Header=BB249_52 Depth=1
	v_cmp_ne_u16_e64 s[0:1], 0, v8
	s_andn2_b64 s[2:3], s[2:3], exec
	s_and_b64 s[0:1], s[0:1], exec
	v_mov_b32_e32 v31, 0
	s_or_b64 s[2:3], s[2:3], s[0:1]
	s_or_b64 exec, exec, s[22:23]
	s_and_saveexec_b64 s[22:23], s[2:3]
	s_cbranch_execnz .LBB249_76
	s_branch .LBB249_77
.LBB249_146:                            ;   in Loop: Header=BB249_52 Depth=1
	v_cmp_eq_u16_sdwa s[26:27], v8, s39 src0_sel:BYTE_0 src1_sel:DWORD
	s_mov_b64 s[0:1], -1
                                        ; implicit-def: $sgpr24
	s_and_saveexec_b64 s[22:23], s[26:27]
; %bb.147:                              ;   in Loop: Header=BB249_52 Depth=1
	s_mov_b32 s24, 0x7fc02000
	s_xor_b64 s[0:1], exec, -1
; %bb.148:                              ;   in Loop: Header=BB249_52 Depth=1
	s_or_b64 exec, exec, s[22:23]
	s_and_b64 s[0:1], s[0:1], exec
	s_or_saveexec_b64 s[2:3], s[2:3]
	v_mov_b32_e32 v36, s24
	s_xor_b64 exec, exec, s[2:3]
	s_cbranch_execz .LBB249_79
.LBB249_149:                            ;   in Loop: Header=BB249_52 Depth=1
	v_cmp_ne_u16_sdwa s[22:23], v8, v9 src0_sel:BYTE_0 src1_sel:DWORD
	s_andn2_b64 s[0:1], s[0:1], exec
	s_and_b64 s[22:23], s[22:23], exec
	v_mov_b32_e32 v36, 0
	s_or_b64 s[0:1], s[0:1], s[22:23]
	s_or_b64 exec, exec, s[2:3]
	s_and_saveexec_b64 s[2:3], s[0:1]
	s_cbranch_execnz .LBB249_80
	s_branch .LBB249_81
.LBB249_150:                            ;   in Loop: Header=BB249_52 Depth=1
	v_cmp_eq_u16_e64 s[0:1], s39, v8
	s_mov_b64 s[2:3], -1
                                        ; implicit-def: $sgpr26
	s_and_saveexec_b64 s[24:25], s[0:1]
; %bb.151:                              ;   in Loop: Header=BB249_52 Depth=1
	s_mov_b32 s26, 0x7fc02000
	s_xor_b64 s[2:3], exec, -1
; %bb.152:                              ;   in Loop: Header=BB249_52 Depth=1
	s_or_b64 exec, exec, s[24:25]
	s_and_b64 s[2:3], s[2:3], exec
	s_or_saveexec_b64 s[22:23], s[22:23]
	v_mov_b32_e32 v37, s26
	s_xor_b64 exec, exec, s[22:23]
	s_cbranch_execz .LBB249_83
.LBB249_153:                            ;   in Loop: Header=BB249_52 Depth=1
	v_cmp_ne_u16_e64 s[0:1], 0, v8
	s_andn2_b64 s[2:3], s[2:3], exec
	s_and_b64 s[0:1], s[0:1], exec
	v_mov_b32_e32 v37, 0
	s_or_b64 s[2:3], s[2:3], s[0:1]
	s_or_b64 exec, exec, s[22:23]
	s_and_saveexec_b64 s[22:23], s[2:3]
	s_cbranch_execnz .LBB249_84
	s_branch .LBB249_85
.LBB249_154:                            ;   in Loop: Header=BB249_52 Depth=1
	v_cmp_eq_u16_sdwa s[46:47], v16, s39 src0_sel:BYTE_0 src1_sel:DWORD
	s_mov_b64 s[0:1], -1
                                        ; implicit-def: $sgpr28
	s_and_saveexec_b64 s[26:27], s[46:47]
; %bb.155:                              ;   in Loop: Header=BB249_52 Depth=1
	s_mov_b32 s28, 0x7fc02000
	s_xor_b64 s[0:1], exec, -1
; %bb.156:                              ;   in Loop: Header=BB249_52 Depth=1
	s_or_b64 exec, exec, s[26:27]
	s_and_b64 s[0:1], s[0:1], exec
	s_or_saveexec_b64 s[24:25], s[24:25]
	v_mov_b32_e32 v18, s28
	s_xor_b64 exec, exec, s[24:25]
	s_cbranch_execz .LBB249_90
.LBB249_157:                            ;   in Loop: Header=BB249_52 Depth=1
	v_cmp_ne_u16_sdwa s[26:27], v16, v9 src0_sel:BYTE_0 src1_sel:DWORD
	s_andn2_b64 s[0:1], s[0:1], exec
	s_and_b64 s[26:27], s[26:27], exec
	v_mov_b32_e32 v18, 0
	s_or_b64 s[0:1], s[0:1], s[26:27]
	s_or_b64 exec, exec, s[24:25]
	s_and_saveexec_b64 s[24:25], s[0:1]
	s_cbranch_execnz .LBB249_91
	s_branch .LBB249_92
.LBB249_158:                            ;   in Loop: Header=BB249_52 Depth=1
	v_cmp_eq_u16_e64 s[0:1], s39, v8
	s_mov_b64 s[24:25], -1
                                        ; implicit-def: $sgpr46
	s_and_saveexec_b64 s[28:29], s[0:1]
; %bb.159:                              ;   in Loop: Header=BB249_52 Depth=1
	s_mov_b32 s46, 0x7fc02000
	s_xor_b64 s[24:25], exec, -1
; %bb.160:                              ;   in Loop: Header=BB249_52 Depth=1
	s_or_b64 exec, exec, s[28:29]
	s_and_b64 s[24:25], s[24:25], exec
	s_or_saveexec_b64 s[26:27], s[26:27]
	v_mov_b32_e32 v20, s46
	s_xor_b64 exec, exec, s[26:27]
	s_cbranch_execz .LBB249_94
.LBB249_161:                            ;   in Loop: Header=BB249_52 Depth=1
	v_cmp_ne_u16_e64 s[0:1], 0, v8
	s_andn2_b64 s[24:25], s[24:25], exec
	s_and_b64 s[0:1], s[0:1], exec
	v_mov_b32_e32 v20, 0
	s_or_b64 s[24:25], s[24:25], s[0:1]
	s_or_b64 exec, exec, s[26:27]
	s_and_saveexec_b64 s[26:27], s[24:25]
	s_cbranch_execnz .LBB249_95
	s_branch .LBB249_96
.LBB249_162:                            ;   in Loop: Header=BB249_52 Depth=1
	v_cmp_eq_u16_sdwa s[46:47], v8, s39 src0_sel:BYTE_0 src1_sel:DWORD
	s_mov_b64 s[0:1], -1
                                        ; implicit-def: $sgpr28
	s_and_saveexec_b64 s[26:27], s[46:47]
; %bb.163:                              ;   in Loop: Header=BB249_52 Depth=1
	s_mov_b32 s28, 0x7fc02000
	s_xor_b64 s[0:1], exec, -1
; %bb.164:                              ;   in Loop: Header=BB249_52 Depth=1
	s_or_b64 exec, exec, s[26:27]
	s_and_b64 s[0:1], s[0:1], exec
	s_or_saveexec_b64 s[24:25], s[24:25]
	v_mov_b32_e32 v19, s28
	s_xor_b64 exec, exec, s[24:25]
	s_cbranch_execz .LBB249_98
.LBB249_165:                            ;   in Loop: Header=BB249_52 Depth=1
	v_cmp_ne_u16_sdwa s[26:27], v8, v9 src0_sel:BYTE_0 src1_sel:DWORD
	s_andn2_b64 s[0:1], s[0:1], exec
	s_and_b64 s[26:27], s[26:27], exec
	v_mov_b32_e32 v19, 0
	s_or_b64 s[0:1], s[0:1], s[26:27]
	s_or_b64 exec, exec, s[24:25]
	s_and_saveexec_b64 s[24:25], s[0:1]
	s_cbranch_execnz .LBB249_99
	s_branch .LBB249_100
.LBB249_166:                            ;   in Loop: Header=BB249_52 Depth=1
	v_cmp_eq_u16_e64 s[0:1], s39, v8
	s_mov_b64 s[24:25], -1
                                        ; implicit-def: $sgpr46
	s_and_saveexec_b64 s[28:29], s[0:1]
; %bb.167:                              ;   in Loop: Header=BB249_52 Depth=1
	s_mov_b32 s46, 0x7fc02000
	s_xor_b64 s[24:25], exec, -1
; %bb.168:                              ;   in Loop: Header=BB249_52 Depth=1
	s_or_b64 exec, exec, s[28:29]
	s_and_b64 s[24:25], s[24:25], exec
	s_or_saveexec_b64 s[26:27], s[26:27]
	v_mov_b32_e32 v21, s46
	s_xor_b64 exec, exec, s[26:27]
	s_cbranch_execz .LBB249_102
.LBB249_169:                            ;   in Loop: Header=BB249_52 Depth=1
	v_cmp_ne_u16_e64 s[0:1], 0, v8
	s_andn2_b64 s[24:25], s[24:25], exec
	s_and_b64 s[0:1], s[0:1], exec
	v_mov_b32_e32 v21, 0
	s_or_b64 s[24:25], s[24:25], s[0:1]
	s_or_b64 exec, exec, s[26:27]
	s_and_saveexec_b64 s[26:27], s[24:25]
	s_cbranch_execnz .LBB249_103
	s_branch .LBB249_104
.LBB249_170:                            ;   in Loop: Header=BB249_52 Depth=1
	v_cmp_eq_u16_sdwa s[46:47], v17, s39 src0_sel:BYTE_0 src1_sel:DWORD
	s_mov_b64 s[0:1], -1
                                        ; implicit-def: $sgpr28
	s_and_saveexec_b64 s[26:27], s[46:47]
; %bb.171:                              ;   in Loop: Header=BB249_52 Depth=1
	s_mov_b32 s28, 0x7fc02000
	s_xor_b64 s[0:1], exec, -1
; %bb.172:                              ;   in Loop: Header=BB249_52 Depth=1
	s_or_b64 exec, exec, s[26:27]
	s_and_b64 s[0:1], s[0:1], exec
	s_or_saveexec_b64 s[24:25], s[24:25]
	v_mov_b32_e32 v15, s28
	s_xor_b64 exec, exec, s[24:25]
	s_cbranch_execz .LBB249_106
.LBB249_173:                            ;   in Loop: Header=BB249_52 Depth=1
	v_cmp_ne_u16_sdwa s[26:27], v17, v9 src0_sel:BYTE_0 src1_sel:DWORD
	s_andn2_b64 s[0:1], s[0:1], exec
	s_and_b64 s[26:27], s[26:27], exec
	v_mov_b32_e32 v15, 0
	s_or_b64 s[0:1], s[0:1], s[26:27]
	s_or_b64 exec, exec, s[24:25]
	v_mov_b32_e32 v8, v17
	s_and_saveexec_b64 s[24:25], s[0:1]
	s_cbranch_execnz .LBB249_107
	s_branch .LBB249_108
.LBB249_174:                            ;   in Loop: Header=BB249_52 Depth=1
	v_cmp_eq_u16_e64 s[0:1], s39, v8
	s_mov_b64 s[24:25], -1
                                        ; implicit-def: $sgpr46
	s_and_saveexec_b64 s[28:29], s[0:1]
; %bb.175:                              ;   in Loop: Header=BB249_52 Depth=1
	s_mov_b32 s46, 0x7fc02000
	s_xor_b64 s[24:25], exec, -1
; %bb.176:                              ;   in Loop: Header=BB249_52 Depth=1
	s_or_b64 exec, exec, s[28:29]
	s_and_b64 s[24:25], s[24:25], exec
	s_or_saveexec_b64 s[26:27], s[26:27]
	v_mov_b32_e32 v16, s46
	s_xor_b64 exec, exec, s[26:27]
	s_cbranch_execz .LBB249_110
.LBB249_177:                            ;   in Loop: Header=BB249_52 Depth=1
	v_cmp_ne_u16_e64 s[0:1], 0, v8
	s_andn2_b64 s[24:25], s[24:25], exec
	s_and_b64 s[0:1], s[0:1], exec
	v_mov_b32_e32 v16, 0
	s_or_b64 s[24:25], s[24:25], s[0:1]
	s_or_b64 exec, exec, s[26:27]
	s_and_saveexec_b64 s[26:27], s[24:25]
	s_cbranch_execnz .LBB249_111
	s_branch .LBB249_112
.LBB249_178:                            ;   in Loop: Header=BB249_52 Depth=1
	v_cmp_eq_u16_sdwa s[46:47], v8, s39 src0_sel:BYTE_0 src1_sel:DWORD
	s_mov_b64 s[0:1], -1
                                        ; implicit-def: $sgpr28
	s_and_saveexec_b64 s[26:27], s[46:47]
; %bb.179:                              ;   in Loop: Header=BB249_52 Depth=1
	s_mov_b32 s28, 0x7fc02000
	s_xor_b64 s[0:1], exec, -1
; %bb.180:                              ;   in Loop: Header=BB249_52 Depth=1
	s_or_b64 exec, exec, s[26:27]
	s_and_b64 s[0:1], s[0:1], exec
	s_or_saveexec_b64 s[24:25], s[24:25]
	v_mov_b32_e32 v32, s28
	s_xor_b64 exec, exec, s[24:25]
	s_cbranch_execz .LBB249_114
.LBB249_181:                            ;   in Loop: Header=BB249_52 Depth=1
	v_cmp_ne_u16_sdwa s[26:27], v8, v9 src0_sel:BYTE_0 src1_sel:DWORD
	s_andn2_b64 s[0:1], s[0:1], exec
	s_and_b64 s[26:27], s[26:27], exec
	v_mov_b32_e32 v32, 0
	s_or_b64 s[0:1], s[0:1], s[26:27]
	s_or_b64 exec, exec, s[24:25]
	s_and_saveexec_b64 s[24:25], s[0:1]
	s_cbranch_execnz .LBB249_115
	s_branch .LBB249_116
.LBB249_182:                            ;   in Loop: Header=BB249_52 Depth=1
	v_cmp_eq_u16_e64 s[0:1], s39, v8
	s_mov_b64 s[24:25], -1
                                        ; implicit-def: $sgpr46
	s_and_saveexec_b64 s[28:29], s[0:1]
; %bb.183:                              ;   in Loop: Header=BB249_52 Depth=1
	s_mov_b32 s46, 0x7fc02000
	s_xor_b64 s[24:25], exec, -1
; %bb.184:                              ;   in Loop: Header=BB249_52 Depth=1
	s_or_b64 exec, exec, s[28:29]
	s_and_b64 s[24:25], s[24:25], exec
	s_or_saveexec_b64 s[26:27], s[26:27]
	v_mov_b32_e32 v33, s46
	s_xor_b64 exec, exec, s[26:27]
	s_cbranch_execz .LBB249_118
.LBB249_185:                            ;   in Loop: Header=BB249_52 Depth=1
	v_cmp_ne_u16_e64 s[0:1], 0, v8
	s_andn2_b64 s[24:25], s[24:25], exec
	s_and_b64 s[0:1], s[0:1], exec
	v_mov_b32_e32 v33, 0
	s_or_b64 s[24:25], s[24:25], s[0:1]
	s_or_b64 exec, exec, s[26:27]
	s_and_saveexec_b64 s[26:27], s[24:25]
	s_cbranch_execnz .LBB249_119
	s_branch .LBB249_120
.LBB249_186:
	s_or_b64 exec, exec, s[16:17]
.LBB249_187:
	s_or_b64 exec, exec, s[12:13]
	v_and_b32_e32 v1, 0x3c0, v0
	v_cmp_eq_u32_e32 vcc, 64, v1
	s_barrier
	s_and_saveexec_b64 s[0:1], vcc
	s_cbranch_execz .LBB249_190
; %bb.188:
	v_mov_b32_e32 v1, 0xf0
	v_lshl_add_u32 v3, v3, 2, v1
	ds_write_b32 v3, v25
	s_and_b64 exec, exec, s[10:11]
	s_cbranch_execz .LBB249_190
; %bb.189:
	v_lshl_add_u32 v1, v0, 2, v1
	ds_write_b32 v1, v24
.LBB249_190:
	s_or_b64 exec, exec, s[0:1]
	v_cmp_gt_u32_e32 vcc, 64, v0
	v_or_b32_e32 v1, 64, v0
	s_waitcnt lgkmcnt(0)
	s_barrier
	s_and_saveexec_b64 s[2:3], vcc
	s_cbranch_execz .LBB249_194
; %bb.191:
	v_mov_b32_e32 v3, 0xf0
	v_lshl_add_u32 v3, v0, 2, v3
	ds_read_b32 v0, v3
	s_movk_i32 s0, 0x70
	v_cmp_gt_u32_e64 s[0:1], s0, v1
	s_and_saveexec_b64 s[6:7], s[0:1]
	s_cbranch_execz .LBB249_193
; %bb.192:
	ds_read_b32 v3, v3 offset:256
	s_waitcnt lgkmcnt(0)
	v_add_f32_e32 v24, v24, v3
.LBB249_193:
	s_or_b64 exec, exec, s[6:7]
	s_waitcnt lgkmcnt(0)
	v_add_f32_e32 v25, v25, v0
.LBB249_194:
	s_or_b64 exec, exec, s[2:3]
	s_barrier
	s_and_saveexec_b64 s[0:1], vcc
	s_cbranch_execz .LBB249_197
; %bb.195:
	s_mul_i32 s0, s8, 0x70
	s_ashr_i32 s1, s0, 31
	s_lshl_b64 s[0:1], s[0:1], 1
	s_add_u32 s3, s34, s0
	s_mul_i32 s0, s15, s14
	s_addc_u32 s5, s35, s1
	s_ashr_i32 s1, s0, 31
	s_lshl_b64 s[0:1], s[0:1], 1
	s_add_u32 s3, s3, s0
	s_mul_i32 s0, s4, 0x70
	s_addc_u32 s5, s5, s1
	s_ashr_i32 s1, s0, 31
	s_lshl_b64 s[0:1], s[0:1], 1
	s_movk_i32 s2, 0x70
	s_add_u32 s0, s3, s0
	s_addc_u32 s1, s5, s1
	v_cmp_gt_u32_e32 vcc, s2, v1
	;;#ASMSTART
	v_cvt_f16_f32 v0, v25;

	;;#ASMEND
	global_store_short v2, v0, s[0:1]
	s_and_b64 exec, exec, vcc
	s_cbranch_execz .LBB249_197
; %bb.196:
	v_mov_b32_e32 v3, 0
	v_lshl_add_u64 v[0:1], s[0:1], 0, v[2:3]
	;;#ASMSTART
	v_cvt_f16_f32 v2, v24;

	;;#ASMEND
	global_store_short v[0:1], v2, off offset:128
.LBB249_197:
	s_endpgm
	.section	.rodata,"a",@progbits
	.p2align	6, 0x0
	.amdhsa_kernel _ZN4vllm25paged_attention_v2_kernelIthLi112ELi8ELi128ELNS_18Fp8KVCacheDataTypeE1ELb1ELi512EEEvPfS2_PT_PKS3_PKT0_S9_ifPKiSB_iPKfiiiSD_SD_iiiii
		.amdhsa_group_segment_fixed_size 240
		.amdhsa_private_segment_fixed_size 0
		.amdhsa_kernarg_size 400
		.amdhsa_user_sgpr_count 2
		.amdhsa_user_sgpr_dispatch_ptr 0
		.amdhsa_user_sgpr_queue_ptr 0
		.amdhsa_user_sgpr_kernarg_segment_ptr 1
		.amdhsa_user_sgpr_dispatch_id 0
		.amdhsa_user_sgpr_kernarg_preload_length 0
		.amdhsa_user_sgpr_kernarg_preload_offset 0
		.amdhsa_user_sgpr_private_segment_size 0
		.amdhsa_uses_dynamic_stack 0
		.amdhsa_enable_private_segment 0
		.amdhsa_system_sgpr_workgroup_id_x 1
		.amdhsa_system_sgpr_workgroup_id_y 1
		.amdhsa_system_sgpr_workgroup_id_z 1
		.amdhsa_system_sgpr_workgroup_info 0
		.amdhsa_system_vgpr_workitem_id 0
		.amdhsa_next_free_vgpr 53
		.amdhsa_next_free_sgpr 58
		.amdhsa_accum_offset 56
		.amdhsa_reserve_vcc 1
		.amdhsa_float_round_mode_32 0
		.amdhsa_float_round_mode_16_64 0
		.amdhsa_float_denorm_mode_32 3
		.amdhsa_float_denorm_mode_16_64 3
		.amdhsa_dx10_clamp 1
		.amdhsa_ieee_mode 1
		.amdhsa_fp16_overflow 0
		.amdhsa_tg_split 0
		.amdhsa_exception_fp_ieee_invalid_op 0
		.amdhsa_exception_fp_denorm_src 0
		.amdhsa_exception_fp_ieee_div_zero 0
		.amdhsa_exception_fp_ieee_overflow 0
		.amdhsa_exception_fp_ieee_underflow 0
		.amdhsa_exception_fp_ieee_inexact 0
		.amdhsa_exception_int_div_zero 0
	.end_amdhsa_kernel
	.section	.text._ZN4vllm25paged_attention_v2_kernelIthLi112ELi8ELi128ELNS_18Fp8KVCacheDataTypeE1ELb1ELi512EEEvPfS2_PT_PKS3_PKT0_S9_ifPKiSB_iPKfiiiSD_SD_iiiii,"axG",@progbits,_ZN4vllm25paged_attention_v2_kernelIthLi112ELi8ELi128ELNS_18Fp8KVCacheDataTypeE1ELb1ELi512EEEvPfS2_PT_PKS3_PKT0_S9_ifPKiSB_iPKfiiiSD_SD_iiiii,comdat
.Lfunc_end249:
	.size	_ZN4vllm25paged_attention_v2_kernelIthLi112ELi8ELi128ELNS_18Fp8KVCacheDataTypeE1ELb1ELi512EEEvPfS2_PT_PKS3_PKT0_S9_ifPKiSB_iPKfiiiSD_SD_iiiii, .Lfunc_end249-_ZN4vllm25paged_attention_v2_kernelIthLi112ELi8ELi128ELNS_18Fp8KVCacheDataTypeE1ELb1ELi512EEEvPfS2_PT_PKS3_PKT0_S9_ifPKiSB_iPKfiiiSD_SD_iiiii
                                        ; -- End function
	.section	.AMDGPU.csdata,"",@progbits
; Kernel info:
; codeLenInByte = 10084
; NumSgprs: 64
; NumVgprs: 53
; NumAgprs: 0
; TotalNumVgprs: 53
; ScratchSize: 0
; MemoryBound: 0
; FloatMode: 240
; IeeeMode: 1
; LDSByteSize: 240 bytes/workgroup (compile time only)
; SGPRBlocks: 7
; VGPRBlocks: 6
; NumSGPRsForWavesPerEU: 64
; NumVGPRsForWavesPerEU: 53
; AccumOffset: 56
; Occupancy: 8
; WaveLimiterHint : 1
; COMPUTE_PGM_RSRC2:SCRATCH_EN: 0
; COMPUTE_PGM_RSRC2:USER_SGPR: 2
; COMPUTE_PGM_RSRC2:TRAP_HANDLER: 0
; COMPUTE_PGM_RSRC2:TGID_X_EN: 1
; COMPUTE_PGM_RSRC2:TGID_Y_EN: 1
; COMPUTE_PGM_RSRC2:TGID_Z_EN: 1
; COMPUTE_PGM_RSRC2:TIDIG_COMP_CNT: 0
; COMPUTE_PGM_RSRC3_GFX90A:ACCUM_OFFSET: 13
; COMPUTE_PGM_RSRC3_GFX90A:TG_SPLIT: 0
	.section	.text._ZN4vllm25paged_attention_v2_kernelIthLi120ELi8ELi128ELNS_18Fp8KVCacheDataTypeE1ELb1ELi512EEEvPfS2_PT_PKS3_PKT0_S9_ifPKiSB_iPKfiiiSD_SD_iiiii,"axG",@progbits,_ZN4vllm25paged_attention_v2_kernelIthLi120ELi8ELi128ELNS_18Fp8KVCacheDataTypeE1ELb1ELi512EEEvPfS2_PT_PKS3_PKT0_S9_ifPKiSB_iPKfiiiSD_SD_iiiii,comdat
	.protected	_ZN4vllm25paged_attention_v2_kernelIthLi120ELi8ELi128ELNS_18Fp8KVCacheDataTypeE1ELb1ELi512EEEvPfS2_PT_PKS3_PKT0_S9_ifPKiSB_iPKfiiiSD_SD_iiiii ; -- Begin function _ZN4vllm25paged_attention_v2_kernelIthLi120ELi8ELi128ELNS_18Fp8KVCacheDataTypeE1ELb1ELi512EEEvPfS2_PT_PKS3_PKT0_S9_ifPKiSB_iPKfiiiSD_SD_iiiii
	.globl	_ZN4vllm25paged_attention_v2_kernelIthLi120ELi8ELi128ELNS_18Fp8KVCacheDataTypeE1ELb1ELi512EEEvPfS2_PT_PKS3_PKT0_S9_ifPKiSB_iPKfiiiSD_SD_iiiii
	.p2align	8
	.type	_ZN4vllm25paged_attention_v2_kernelIthLi120ELi8ELi128ELNS_18Fp8KVCacheDataTypeE1ELb1ELi512EEEvPfS2_PT_PKS3_PKT0_S9_ifPKiSB_iPKfiiiSD_SD_iiiii,@function
_ZN4vllm25paged_attention_v2_kernelIthLi120ELi8ELi128ELNS_18Fp8KVCacheDataTypeE1ELb1ELi512EEEvPfS2_PT_PKS3_PKT0_S9_ifPKiSB_iPKfiiiSD_SD_iiiii: ; @_ZN4vllm25paged_attention_v2_kernelIthLi120ELi8ELi128ELNS_18Fp8KVCacheDataTypeE1ELb1ELi512EEEvPfS2_PT_PKS3_PKT0_S9_ifPKiSB_iPKfiiiSD_SD_iiiii
; %bb.0:
	s_load_dwordx2 s[6:7], s[0:1], 0x40
	s_mov_b32 s36, s3
	s_ashr_i32 s37, s3, 31
	s_lshl_b64 s[8:9], s[36:37], 2
	s_waitcnt lgkmcnt(0)
	s_add_u32 s6, s6, s8
	s_addc_u32 s7, s7, s9
	s_load_dword s33, s[6:7], 0x0
	s_lshl_b32 s53, s4, 9
	s_waitcnt lgkmcnt(0)
	s_cmp_ge_i32 s53, s33
	s_cbranch_scc1 .LBB250_197
; %bb.1:
	s_load_dword s5, s[0:1], 0x90
	s_load_dwordx2 s[44:45], s[0:1], 0x30
	s_mov_b32 s54, 0
	s_waitcnt lgkmcnt(0)
	s_abs_i32 s7, s5
	s_abs_i32 s3, s44
	v_cvt_f32_u32_e32 v1, s3
	s_sub_i32 s8, 0, s3
	s_xor_b32 s6, s5, s44
	s_ashr_i32 s6, s6, 31
	v_rcp_iflag_f32_e32 v1, v1
	s_nop 0
	v_mul_f32_e32 v1, 0x4f7ffffe, v1
	v_cvt_u32_f32_e32 v1, v1
	s_nop 0
	v_readfirstlane_b32 s9, v1
	s_mul_i32 s8, s8, s9
	s_mul_hi_u32 s8, s9, s8
	s_add_i32 s9, s9, s8
	s_mul_hi_u32 s8, s7, s9
	s_mul_i32 s9, s8, s3
	s_sub_i32 s7, s7, s9
	s_add_i32 s10, s8, 1
	s_sub_i32 s9, s7, s3
	s_cmp_ge_u32 s7, s3
	s_cselect_b32 s8, s10, s8
	s_cselect_b32 s7, s9, s7
	s_add_i32 s9, s8, 1
	s_cmp_ge_u32 s7, s3
	s_cselect_b32 s3, s9, s8
	s_xor_b32 s3, s3, s6
	s_sub_i32 s10, s3, s6
	s_abs_i32 s8, s10
	v_cvt_f32_u32_e32 v1, s8
	s_load_dwordx2 s[6:7], s[0:1], 0x50
	s_sub_i32 s3, 0, s8
	s_abs_i32 s9, s2
	v_rcp_iflag_f32_e32 v1, v1
	s_nop 0
	v_mul_f32_e32 v1, 0x4f7ffffe, v1
	v_cvt_u32_f32_e32 v1, v1
	s_nop 0
	v_readfirstlane_b32 s11, v1
	s_mul_i32 s3, s3, s11
	s_mul_hi_u32 s3, s11, s3
	s_add_i32 s11, s11, s3
	s_waitcnt lgkmcnt(0)
	s_cmp_eq_u64 s[6:7], 0
	s_mul_hi_u32 s12, s9, s11
	s_cbranch_scc1 .LBB250_3
; %bb.2:
	s_ashr_i32 s3, s2, 31
	s_lshl_b64 s[14:15], s[2:3], 2
	s_add_u32 s6, s6, s14
	s_addc_u32 s7, s7, s15
	s_load_dword s54, s[6:7], 0x0
.LBB250_3:
	s_load_dwordx4 s[20:23], s[0:1], 0x58
	s_movk_i32 s6, 0x78
	s_ashr_i32 s3, s2, 31
	s_ashr_i32 s13, s10, 31
	v_and_b32_e32 v6, 7, v0
	s_mul_i32 s14, s2, 0x78
	v_cmp_gt_u32_e64 s[10:11], s6, v0
	v_lshlrev_b32_e32 v2, 1, v0
	s_and_saveexec_b64 s[6:7], s[10:11]
	s_cbranch_execz .LBB250_5
; %bb.4:
	s_load_dwordx2 s[16:17], s[0:1], 0x18
	s_waitcnt lgkmcnt(0)
	s_mul_i32 s18, s36, s20
	s_ashr_i32 s19, s18, 31
	s_lshl_b64 s[18:19], s[18:19], 1
	v_lshrrev_b32_e32 v3, 2, v0
	s_add_u32 s18, s16, s18
	s_addc_u32 s19, s17, s19
	s_ashr_i32 s15, s14, 31
	s_lshl_b64 s[16:17], s[14:15], 1
	s_add_u32 s16, s18, s16
	s_addc_u32 s17, s19, s17
	global_load_ushort v1, v2, s[16:17]
	v_and_b32_e32 v3, 0xfe, v3
	v_mad_u32_u24 v3, v6, 30, v3
	s_waitcnt vmcnt(0)
	ds_write_b16 v3, v1
.LBB250_5:
	s_or_b64 exec, exec, s[6:7]
	s_mul_i32 s6, s12, s8
	s_sub_i32 s6, s9, s6
	s_xor_b32 s3, s3, s13
	s_add_i32 s7, s12, 1
	s_sub_i32 s9, s6, s8
	s_load_dwordx4 s[24:27], s[0:1], 0x78
	s_cmp_ge_u32 s6, s8
	s_cselect_b32 s7, s7, s12
	s_load_dword s12, s[0:1], 0x88
	s_cselect_b32 s6, s9, s6
	s_add_i32 s9, s7, 1
	s_cmp_ge_u32 s6, s8
	s_cselect_b32 s6, s9, s7
	s_waitcnt lgkmcnt(0)
	s_abs_i32 s37, s27
	v_cvt_f32_u32_e32 v1, s37
	s_xor_b32 s6, s6, s3
	s_sub_i32 s8, s6, s3
	s_sub_i32 s6, 0, s37
	v_rcp_iflag_f32_e32 v1, v1
	s_add_i32 s13, s33, -1
	s_abs_i32 s3, s13
	v_mul_f32_e32 v1, 0x4f7ffffe, v1
	v_cvt_u32_f32_e32 v1, v1
	s_barrier
	v_readfirstlane_b32 s50, v1
	s_mul_i32 s6, s6, s50
	s_mul_hi_u32 s6, s50, s6
	s_add_i32 s50, s50, s6
	s_cmp_lt_i32 s12, 0
	s_mul_hi_u32 s9, s3, s50
	s_cbranch_scc0 .LBB250_7
; %bb.6:
	s_mul_i32 s6, s24, s44
	s_add_i32 s6, s8, s6
	s_mul_i32 s6, s6, s12
	s_sub_i32 s44, 1, s6
	s_mov_b64 s[6:7], 0
	s_branch .LBB250_8
.LBB250_7:
	s_mov_b64 s[6:7], -1
                                        ; implicit-def: $sgpr44
.LBB250_8:
	s_load_dwordx2 s[38:39], s[0:1], 0x38
	s_ashr_i32 s13, s13, 31
	s_andn2_b64 vcc, exec, s[6:7]
	s_ashr_i32 s51, s27, 31
	s_cbranch_vccnz .LBB250_10
; %bb.9:
	s_mul_i32 s6, s5, s24
	s_add_i32 s6, s6, s2
	s_mul_i32 s6, s6, s12
	s_add_i32 s44, s6, 1
.LBB250_10:
	s_load_dwordx2 s[42:43], s[0:1], 0x28
	s_load_dword s6, s[0:1], 0x48
	s_load_dwordx4 s[28:31], s[0:1], 0x0
	s_load_dwordx2 s[34:35], s[0:1], 0x10
	s_load_dword s15, s[0:1], 0x98
	s_load_dwordx4 s[16:19], s[0:1], 0x68
	s_mul_i32 s7, s9, s37
	s_waitcnt lgkmcnt(0)
	s_mul_i32 s40, s36, s6
	s_sub_i32 s3, s3, s7
	s_ashr_i32 s41, s40, 31
	s_xor_b32 s6, s13, s51
	s_add_i32 s7, s9, 1
	s_sub_i32 s12, s3, s37
	s_cmp_ge_u32 s3, s37
	s_cselect_b32 s7, s7, s9
	s_cselect_b32 s3, s12, s3
	s_add_i32 s9, s7, 1
	s_cmp_ge_u32 s3, s37
	s_cselect_b32 s3, s9, s7
	s_xor_b32 s3, s3, s6
	s_sub_i32 s20, s3, s6
	s_add_i32 s3, s33, 7
	s_ashr_i32 s6, s3, 31
	s_lshr_b32 s6, s6, 29
	s_add_i32 s3, s3, s6
	s_lshl_b32 s27, s4, 6
	s_ashr_i32 s3, s3, 3
	s_add_i32 s6, s27, 64
	v_lshrrev_b32_e32 v14, 6, v0
	s_min_i32 s52, s6, s3
	v_or_b32_e32 v4, s27, v14
	v_cmp_gt_i32_e64 s[6:7], s52, v4
	v_mov_b32_e32 v15, 0xff7fffff
	s_mul_i32 s24, s8, s22
	v_ashrrev_i32_e32 v5, 31, v4
	v_lshl_add_u32 v1, v14, 3, s53
	v_mbcnt_lo_u32_b32 v3, -1, 0
	s_and_saveexec_b64 s[22:23], s[6:7]
	s_cbranch_execz .LBB250_20
; %bb.11:
	s_load_dwordx2 s[0:1], s[0:1], 0x20
	s_sub_i32 s55, s20, s25
	s_ashr_i32 s8, s24, 31
	v_bfe_u32 v12, v0, 3, 3
	v_mov_b32_e32 v7, 0
	s_waitcnt lgkmcnt(0)
	s_add_u32 s0, s0, s24
	s_addc_u32 s1, s1, s8
	s_abs_i32 s56, s26
	v_cvt_f32_u32_e32 v8, s56
	v_lshlrev_b32_e32 v15, 2, v12
	v_lshl_or_b32 v15, v14, 5, v15
	v_add_u32_e32 v18, 0x100, v15
	v_rcp_iflag_f32_e32 v9, v8
	v_lshlrev_b32_e32 v8, 4, v12
	v_subrev_u32_e32 v15, s33, v12
	v_mbcnt_hi_u32_b32 v21, -1, v3
	v_mul_f32_e32 v9, 0x4f7ffffe, v9
	v_cvt_u32_f32_e32 v10, v9
	v_mov_b32_e32 v9, v7
	v_lshl_add_u64 v[8:9], s[0:1], 0, v[8:9]
	s_sub_i32 s0, 0, s56
	v_mul_lo_u32 v11, s0, v10
	s_lshl_b64 s[0:1], s[40:41], 2
	s_add_u32 s0, s38, s0
	v_mul_hi_u32 v11, v10, v11
	s_addc_u32 s1, s39, s1
	v_add_u32_e32 v19, 1, v15
	v_and_b32_e32 v15, 64, v21
	v_cmp_eq_u32_e32 vcc, 0, v6
	s_mov_b32 s57, s21
	v_mul_u32_u24_e32 v13, 30, v6
	v_cmp_neq_f32_e64 s[8:9], s54, 0
	v_add_u32_e32 v16, v10, v11
	v_lshl_add_u64 v[10:11], v[4:5], 2, s[0:1]
	v_lshl_add_u32 v17, v14, 3, s53
	s_mov_b64 s[46:47], 0
	v_mov_b32_e32 v20, 0xff7fffff
	v_add_u32_e32 v22, 64, v15
	v_xor_b32_e32 v23, 4, v21
	v_xor_b32_e32 v24, 2, v21
	;; [unrolled: 1-line block ×3, first 2 shown]
	v_mov_b32_e32 v15, 0xff7fffff
	v_mov_b32_e32 v26, v4
	s_branch .LBB250_14
.LBB250_12:                             ;   in Loop: Header=BB250_14 Depth=1
	s_or_b64 exec, exec, s[48:49]
.LBB250_13:                             ;   in Loop: Header=BB250_14 Depth=1
	s_or_b64 exec, exec, s[12:13]
	v_add_u32_e32 v26, 2, v26
	v_cmp_le_i32_e64 s[0:1], s52, v26
	v_lshl_add_u64 v[10:11], v[10:11], 0, 8
	v_add_u32_e32 v17, 16, v17
	s_or_b64 s[46:47], s[0:1], s[46:47]
	v_add_u32_e32 v18, 64, v18
	s_andn2_b64 exec, exec, s[46:47]
	s_cbranch_execz .LBB250_19
.LBB250_14:                             ; =>This Inner Loop Header: Depth=1
	s_waitcnt lgkmcnt(0)
	v_sub_u32_e32 v28, 0, v17
	v_max_i32_e32 v28, v17, v28
	v_mul_hi_u32 v29, v28, s50
	v_mul_lo_u32 v30, v29, s37
	v_sub_u32_e32 v28, v28, v30
	v_add_u32_e32 v30, 1, v29
	v_cmp_le_u32_e64 s[0:1], s37, v28
	v_ashrrev_i32_e32 v27, 31, v17
	v_xor_b32_e32 v27, s51, v27
	v_cndmask_b32_e64 v29, v29, v30, s[0:1]
	v_subrev_u32_e32 v30, s37, v28
	v_cndmask_b32_e64 v28, v28, v30, s[0:1]
	v_add_u32_e32 v30, 1, v29
	v_cmp_le_u32_e64 s[0:1], s37, v28
	s_nop 1
	v_cndmask_b32_e64 v28, v29, v30, s[0:1]
	v_xor_b32_e32 v28, v28, v27
	v_sub_u32_e32 v27, v28, v27
	v_add_u32_e32 v28, s44, v27
	v_sub_u32_e32 v30, 0, v28
	v_ashrrev_i32_e32 v29, 31, v28
	v_max_i32_e32 v28, v28, v30
	v_mul_hi_u32 v30, v28, v16
	v_mul_lo_u32 v30, v30, s56
	v_sub_u32_e32 v28, v28, v30
	v_subrev_u32_e32 v30, s56, v28
	v_cmp_le_u32_e64 s[0:1], s56, v28
	v_cmp_ge_i32_e64 s[12:13], s55, v27
	s_nop 0
	v_cndmask_b32_e64 v28, v28, v30, s[0:1]
	v_subrev_u32_e32 v30, s56, v28
	v_cmp_le_u32_e64 s[0:1], s56, v28
	s_nop 1
	v_cndmask_b32_e64 v28, v28, v30, s[0:1]
	v_xor_b32_e32 v28, v28, v29
	v_sub_u32_e32 v28, v28, v29
	v_cmp_ne_u32_e64 s[0:1], 0, v28
	s_and_b64 s[0:1], s[0:1], s[12:13]
	s_and_b64 s[48:49], vcc, s[0:1]
	s_and_saveexec_b64 s[12:13], s[48:49]
	s_cbranch_execz .LBB250_16
; %bb.15:                               ;   in Loop: Header=BB250_14 Depth=1
	ds_write_b32 v18, v20
.LBB250_16:                             ;   in Loop: Header=BB250_14 Depth=1
	s_or_b64 exec, exec, s[12:13]
	s_xor_b64 s[0:1], s[0:1], -1
	s_and_saveexec_b64 s[12:13], s[0:1]
	s_cbranch_execz .LBB250_13
; %bb.17:                               ;   in Loop: Header=BB250_14 Depth=1
	global_load_dword v27, v[10:11], off
	s_waitcnt vmcnt(0)
	v_mad_i64_i32 v[28:29], s[0:1], v27, s57, v[8:9]
	v_lshl_add_u64 v[28:29], v[28:29], 0, v[6:7]
	global_load_ubyte v27, v[28:29], off
	global_load_ubyte v30, v[28:29], off offset:8
	global_load_dword v31, v7, s[16:17]
	global_load_ubyte v32, v[28:29], off offset:128
	global_load_ubyte v33, v[28:29], off offset:136
	;; [unrolled: 1-line block ×12, first 2 shown]
	s_nop 0
	global_load_ubyte v28, v[28:29], off offset:896
	ds_read_u16 v29, v13
	s_waitcnt lgkmcnt(0)
	;;#ASMSTART
	v_cvt_f32_f16 v29, v29;
	;;#ASMEND
	v_cmp_lt_i32_e64 s[0:1], v23, v22
	s_waitcnt vmcnt(15)
	v_cvt_f32_fp8_sdwa v27, v27 src0_sel:BYTE_0
	s_waitcnt vmcnt(14)
	v_cvt_f32_fp8_sdwa v30, v30 src0_sel:BYTE_0
	v_cndmask_b32_e64 v44, v21, v23, s[0:1]
	s_waitcnt vmcnt(12)
	v_cvt_f32_fp8_sdwa v32, v32 src0_sel:BYTE_0
	v_fma_mixlo_f16 v27, v31, v27, 0
	v_and_b32_e32 v27, 0xffff, v27
	v_fma_mixlo_f16 v30, v31, v30, 0
	s_waitcnt vmcnt(11)
	v_cvt_f32_fp8_sdwa v33, v33 src0_sel:BYTE_0
	;;#ASMSTART
	v_cvt_f32_f16 v27, v27;
	;;#ASMEND
	ds_read_u16 v45, v13 offset:2
	v_and_b32_e32 v30, 0xffff, v30
	s_waitcnt vmcnt(10)
	v_cvt_f32_fp8_sdwa v34, v34 src0_sel:BYTE_0
	s_waitcnt lgkmcnt(0)
	;;#ASMSTART
	v_cvt_f32_f16 v45, v45;
	;;#ASMEND
	;;#ASMSTART
	v_cvt_f32_f16 v30, v30;
	;;#ASMEND
	s_waitcnt vmcnt(9)
	v_cvt_f32_fp8_sdwa v35, v35 src0_sel:BYTE_0
	v_fma_mixlo_f16 v32, v31, v32, 0
	s_waitcnt vmcnt(8)
	v_cvt_f32_fp8_sdwa v36, v36 src0_sel:BYTE_0
	v_mul_f32_e32 v30, v45, v30
	ds_read_u16 v46, v13 offset:4
	v_and_b32_e32 v32, 0xffff, v32
	v_fma_mixlo_f16 v33, v31, v33, 0
	s_waitcnt vmcnt(7)
	v_cvt_f32_fp8_sdwa v37, v37 src0_sel:BYTE_0
	v_fmac_f32_e32 v30, v29, v27
	s_waitcnt lgkmcnt(0)
	;;#ASMSTART
	v_cvt_f32_f16 v46, v46;
	;;#ASMEND
	;;#ASMSTART
	v_cvt_f32_f16 v32, v32;
	;;#ASMEND
	ds_read_u16 v47, v13 offset:6
	v_and_b32_e32 v33, 0xffff, v33
	s_waitcnt vmcnt(6)
	v_cvt_f32_fp8_sdwa v38, v38 src0_sel:BYTE_0
	v_fma_mixlo_f16 v34, v31, v34, 0
	v_fmac_f32_e32 v30, v46, v32
	s_waitcnt lgkmcnt(0)
	;;#ASMSTART
	v_cvt_f32_f16 v47, v47;
	;;#ASMEND
	;;#ASMSTART
	v_cvt_f32_f16 v33, v33;
	;;#ASMEND
	ds_read_u16 v48, v13 offset:8
	v_and_b32_e32 v34, 0xffff, v34
	s_waitcnt vmcnt(5)
	v_cvt_f32_fp8_sdwa v39, v39 src0_sel:BYTE_0
	v_fma_mixlo_f16 v35, v31, v35, 0
	v_fmac_f32_e32 v30, v47, v33
	s_waitcnt lgkmcnt(0)
	;;#ASMSTART
	v_cvt_f32_f16 v48, v48;
	;;#ASMEND
	;;#ASMSTART
	v_cvt_f32_f16 v34, v34;
	;;#ASMEND
	ds_read_u16 v49, v13 offset:10
	s_waitcnt vmcnt(4)
	v_cvt_f32_fp8_sdwa v40, v40 src0_sel:BYTE_0
	v_and_b32_e32 v35, 0xffff, v35
	v_fma_mixlo_f16 v36, v31, v36, 0
	v_fmac_f32_e32 v30, v48, v34
	s_waitcnt lgkmcnt(0)
	;;#ASMSTART
	v_cvt_f32_f16 v49, v49;
	;;#ASMEND
	;;#ASMSTART
	v_cvt_f32_f16 v35, v35;
	;;#ASMEND
	ds_read_u16 v50, v13 offset:12
	s_waitcnt vmcnt(3)
	v_cvt_f32_fp8_sdwa v41, v41 src0_sel:BYTE_0
	s_waitcnt vmcnt(2)
	v_cvt_f32_fp8_sdwa v42, v42 src0_sel:BYTE_0
	v_and_b32_e32 v36, 0xffff, v36
	s_waitcnt vmcnt(1)
	v_cvt_f32_fp8_sdwa v43, v43 src0_sel:BYTE_0
	s_waitcnt vmcnt(0)
	v_cvt_f32_fp8_sdwa v28, v28 src0_sel:BYTE_0
	v_fma_mixlo_f16 v37, v31, v37, 0
	v_fmac_f32_e32 v30, v49, v35
	s_waitcnt lgkmcnt(0)
	;;#ASMSTART
	v_cvt_f32_f16 v50, v50;
	;;#ASMEND
	;;#ASMSTART
	v_cvt_f32_f16 v36, v36;
	;;#ASMEND
	ds_read_u16 v51, v13 offset:14
	v_and_b32_e32 v37, 0xffff, v37
	v_fma_mixlo_f16 v38, v31, v38, 0
	v_fmac_f32_e32 v30, v50, v36
	s_waitcnt lgkmcnt(0)
	;;#ASMSTART
	v_cvt_f32_f16 v51, v51;
	;;#ASMEND
	;;#ASMSTART
	v_cvt_f32_f16 v37, v37;
	;;#ASMEND
	ds_read_u16 v52, v13 offset:16
	v_fma_mixlo_f16 v39, v31, v39, 0
	v_and_b32_e32 v38, 0xffff, v38
	v_fmac_f32_e32 v30, v51, v37
	v_fma_mixlo_f16 v40, v31, v40, 0
	s_waitcnt lgkmcnt(0)
	;;#ASMSTART
	v_cvt_f32_f16 v52, v52;
	;;#ASMEND
	;;#ASMSTART
	v_cvt_f32_f16 v38, v38;
	;;#ASMEND
	ds_read_u16 v53, v13 offset:18
	v_and_b32_e32 v39, 0xffff, v39
	v_fmac_f32_e32 v30, v52, v38
	v_fma_mixlo_f16 v41, v31, v41, 0
	v_fma_mixlo_f16 v42, v31, v42, 0
	v_fma_mixlo_f16 v43, v31, v43, 0
	s_waitcnt lgkmcnt(0)
	;;#ASMSTART
	v_cvt_f32_f16 v53, v53;
	;;#ASMEND
	;;#ASMSTART
	v_cvt_f32_f16 v39, v39;
	;;#ASMEND
	v_fma_mixlo_f16 v28, v31, v28, 0
	v_and_b32_e32 v31, 0xffff, v40
	v_fmac_f32_e32 v30, v53, v39
	ds_read_u16 v54, v13 offset:20
	v_and_b32_e32 v40, 0xffff, v41
	v_and_b32_e32 v41, 0xffff, v42
	s_waitcnt lgkmcnt(0)
	;;#ASMSTART
	v_cvt_f32_f16 v42, v54;
	;;#ASMEND
	;;#ASMSTART
	v_cvt_f32_f16 v31, v31;
	;;#ASMEND
	ds_read_u16 v54, v13 offset:22
	v_fmac_f32_e32 v30, v42, v31
	s_waitcnt lgkmcnt(0)
	;;#ASMSTART
	v_cvt_f32_f16 v27, v54;
	;;#ASMEND
	;;#ASMSTART
	v_cvt_f32_f16 v29, v40;
	;;#ASMEND
	ds_read_u16 v40, v13 offset:24
	v_fmac_f32_e32 v30, v27, v29
	;; [unrolled: 9-line block ×3, first 2 shown]
	v_and_b32_e32 v43, 0xffff, v43
	v_and_b32_e32 v28, 0xffff, v28
	s_waitcnt lgkmcnt(0)
	;;#ASMSTART
	v_cvt_f32_f16 v34, v34;
	;;#ASMEND
	;;#ASMSTART
	v_cvt_f32_f16 v35, v43;
	;;#ASMEND
	v_lshlrev_b32_e32 v44, 2, v44
	v_fmac_f32_e32 v30, v34, v35
	ds_read_u16 v36, v13 offset:28
	s_waitcnt lgkmcnt(0)
	;;#ASMSTART
	v_cvt_f32_f16 v27, v36;
	;;#ASMEND
	;;#ASMSTART
	v_cvt_f32_f16 v28, v28;
	;;#ASMEND
	v_cmp_lt_i32_e64 s[0:1], v24, v22
	v_fmac_f32_e32 v30, v27, v28
	ds_bpermute_b32 v27, v44, v30
	v_cndmask_b32_e64 v28, v21, v24, s[0:1]
	v_lshlrev_b32_e32 v28, 2, v28
	v_cmp_lt_i32_e64 s[0:1], v25, v22
	s_waitcnt lgkmcnt(0)
	v_add_f32_e32 v27, v30, v27
	ds_bpermute_b32 v28, v28, v27
	v_cndmask_b32_e64 v29, v21, v25, s[0:1]
	s_waitcnt lgkmcnt(0)
	v_add_f32_e32 v27, v27, v28
	v_lshlrev_b32_e32 v28, 2, v29
	ds_bpermute_b32 v28, v28, v27
	s_and_saveexec_b64 s[48:49], vcc
	s_cbranch_execz .LBB250_12
; %bb.18:                               ;   in Loop: Header=BB250_14 Depth=1
	v_add_u32_e32 v29, v19, v17
	v_cvt_f32_i32_e32 v29, v29
	s_waitcnt lgkmcnt(0)
	v_add_f32_e32 v27, v27, v28
	v_add_u32_e32 v30, v12, v17
	v_cmp_gt_i32_e64 s[0:1], s33, v30
	v_mul_f32_e32 v28, s54, v29
	v_cndmask_b32_e64 v28, 0, v28, s[8:9]
	v_fmac_f32_e32 v28, s45, v27
	v_cndmask_b32_e64 v27, 0, v28, s[0:1]
	ds_write_b32 v18, v27
	v_max_f32_e32 v27, v15, v15
	v_max_f32_e32 v27, v27, v28
	v_cndmask_b32_e64 v15, v15, v27, s[0:1]
	s_branch .LBB250_12
.LBB250_19:
	s_or_b64 exec, exec, s[46:47]
.LBB250_20:
	s_or_b64 exec, exec, s[22:23]
	v_mbcnt_hi_u32_b32 v6, -1, v3
	v_and_b32_e32 v3, 64, v6
	v_add_u32_e32 v7, 64, v3
	v_xor_b32_e32 v3, 32, v6
	v_cmp_lt_i32_e32 vcc, v3, v7
	v_xor_b32_e32 v9, 16, v6
	v_max_f32_e32 v8, v15, v15
	v_cndmask_b32_e32 v3, v6, v3, vcc
	v_lshlrev_b32_e32 v10, 2, v3
	ds_bpermute_b32 v3, v10, v15
	v_cmp_lt_i32_e32 vcc, v9, v7
	s_waitcnt lgkmcnt(0)
	v_max_f32_e32 v3, v3, v3
	v_max_f32_e32 v3, v8, v3
	v_cndmask_b32_e32 v8, v6, v9, vcc
	v_lshlrev_b32_e32 v12, 2, v8
	ds_bpermute_b32 v8, v12, v3
	v_xor_b32_e32 v9, 8, v6
	v_cmp_lt_i32_e32 vcc, v9, v7
	s_waitcnt lgkmcnt(0)
	v_max_f32_e32 v8, v8, v8
	v_max_f32_e32 v8, v3, v8
	v_cndmask_b32_e32 v3, v6, v9, vcc
	v_lshlrev_b32_e32 v13, 2, v3
	ds_bpermute_b32 v11, v13, v8
	v_and_b32_e32 v3, 63, v0
	v_cmp_eq_u32_e32 vcc, 0, v3
	v_lshlrev_b32_e32 v9, 2, v14
	s_and_saveexec_b64 s[0:1], vcc
	s_cbranch_execz .LBB250_22
; %bb.21:
	s_waitcnt lgkmcnt(0)
	v_max_f32_e32 v11, v11, v11
	v_max_f32_e32 v8, v8, v8
	;; [unrolled: 1-line block ×3, first 2 shown]
	ds_write_b32 v9, v8 offset:240
.LBB250_22:
	s_or_b64 exec, exec, s[0:1]
	v_cmp_gt_u32_e64 s[0:1], 2, v3
	v_mov_b32_e32 v8, 0xff7fffff
	s_waitcnt lgkmcnt(0)
	v_lshlrev_b32_e32 v11, 2, v3
	s_barrier
	s_and_saveexec_b64 s[8:9], s[0:1]
	s_cbranch_execz .LBB250_24
; %bb.23:
	ds_read_b32 v8, v11 offset:240
.LBB250_24:
	s_or_b64 exec, exec, s[8:9]
	v_xor_b32_e32 v15, 1, v6
	v_cmp_lt_i32_e64 s[8:9], v15, v7
	v_mov_b32_e32 v17, 0
	s_nop 0
	v_cndmask_b32_e64 v15, v6, v15, s[8:9]
	v_lshlrev_b32_e32 v15, 2, v15
	s_waitcnt lgkmcnt(0)
	ds_bpermute_b32 v16, v15, v8
	v_max_f32_e32 v8, v8, v8
	s_sub_i32 s8, s52, s27
	s_lshl_b32 s8, s8, 3
	s_add_i32 s8, s8, s53
	s_waitcnt lgkmcnt(0)
	v_max_f32_e32 v16, v16, v16
	v_max_f32_e32 v8, v8, v16
	v_lshlrev_b32_e32 v16, 2, v6
	v_and_b32_e32 v16, 0x100, v16
	ds_bpermute_b32 v8, v16, v8
	s_min_i32 s45, s8, s33
	s_sub_i32 s27, s45, s53
	v_cmp_gt_i32_e64 s[8:9], s27, v0
	s_and_saveexec_b64 s[16:17], s[8:9]
	s_cbranch_execz .LBB250_28
; %bb.25:
	v_mov_b32_e32 v17, 0x100
	v_lshl_add_u32 v18, v0, 2, v17
	s_mov_b64 s[22:23], 0
	v_mov_b32_e32 v17, 0
	v_mov_b32_e32 v19, v0
.LBB250_26:                             ; =>This Inner Loop Header: Depth=1
	ds_read_b32 v20, v18
	v_add_u32_e32 v19, 0x80, v19
	v_cmp_le_i32_e64 s[12:13], s27, v19
	s_or_b64 s[22:23], s[12:13], s[22:23]
	s_waitcnt lgkmcnt(0)
	v_sub_f32_e32 v20, v20, v8
	v_mul_f32_e32 v20, 0x3fb8aa3b, v20
	v_exp_f32_e32 v20, v20
	ds_write_b32 v18, v20
	v_add_f32_e32 v17, v17, v20
	v_add_u32_e32 v18, 0x200, v18
	s_andn2_b64 exec, exec, s[22:23]
	s_cbranch_execnz .LBB250_26
; %bb.27:
	s_or_b64 exec, exec, s[22:23]
.LBB250_28:
	s_or_b64 exec, exec, s[16:17]
	ds_bpermute_b32 v10, v10, v17
	s_waitcnt lgkmcnt(0)
	v_add_f32_e32 v10, v17, v10
	ds_bpermute_b32 v12, v12, v10
	s_waitcnt lgkmcnt(0)
	v_add_f32_e32 v10, v10, v12
	ds_bpermute_b32 v12, v13, v10
	v_xor_b32_e32 v13, 4, v6
	v_cmp_lt_i32_e64 s[12:13], v13, v7
	s_waitcnt lgkmcnt(0)
	v_add_f32_e32 v10, v10, v12
	v_cndmask_b32_e64 v13, v6, v13, s[12:13]
	v_lshlrev_b32_e32 v13, 2, v13
	ds_bpermute_b32 v12, v13, v10
	v_xor_b32_e32 v13, 2, v6
	v_cmp_lt_i32_e64 s[12:13], v13, v7
	s_waitcnt lgkmcnt(0)
	v_add_f32_e32 v7, v10, v12
	v_cndmask_b32_e64 v6, v6, v13, s[12:13]
	v_lshlrev_b32_e32 v6, 2, v6
	ds_bpermute_b32 v6, v6, v7
	s_waitcnt lgkmcnt(0)
	v_add_f32_e32 v6, v7, v6
	ds_bpermute_b32 v7, v15, v6
	s_waitcnt lgkmcnt(0)
	v_add_f32_e32 v6, v6, v7
	s_and_saveexec_b64 s[12:13], vcc
	s_cbranch_execz .LBB250_30
; %bb.29:
	ds_write_b32 v9, v6 offset:248
.LBB250_30:
	s_or_b64 exec, exec, s[12:13]
	s_waitcnt lgkmcnt(0)
	s_barrier
	s_and_saveexec_b64 s[12:13], s[0:1]
	s_cbranch_execz .LBB250_32
; %bb.31:
	ds_read_b32 v6, v11 offset:248
.LBB250_32:
	s_or_b64 exec, exec, s[12:13]
	s_waitcnt lgkmcnt(0)
	ds_bpermute_b32 v7, v15, v6
	s_waitcnt lgkmcnt(0)
	v_add_f32_e32 v6, v6, v7
	ds_bpermute_b32 v9, v16, v6
	s_and_saveexec_b64 s[0:1], s[8:9]
	s_cbranch_execz .LBB250_45
; %bb.33:
	s_waitcnt lgkmcnt(0)
	v_add_f32_e32 v6, 0x358637bd, v9
	v_div_scale_f32 v7, s[8:9], v6, v6, 1.0
	v_rcp_f32_e32 v10, v7
	v_div_scale_f32 v11, vcc, 1.0, v6, 1.0
	s_movk_i32 s8, 0x7f
	v_fma_f32 v12, -v7, v10, 1.0
	v_fmac_f32_e32 v10, v12, v10
	v_mul_f32_e32 v12, v11, v10
	v_fma_f32 v13, -v7, v12, v11
	v_fmac_f32_e32 v12, v13, v10
	v_fma_f32 v7, -v7, v12, v11
	v_div_fmas_f32 v7, v7, v10, v12
	v_div_fixup_f32 v6, v7, v6, 1.0
	v_xad_u32 v7, v0, -1, s45
	v_subrev_u32_e32 v10, s53, v7
	v_cmp_lt_u32_e32 vcc, s8, v10
	s_mov_b64 s[12:13], -1
	v_mov_b32_e32 v7, v0
	s_and_saveexec_b64 s[8:9], vcc
	s_cbranch_execz .LBB250_42
; %bb.34:
	v_lshrrev_b32_e32 v10, 7, v10
	v_add_u32_e32 v12, -1, v10
	v_lshrrev_b32_e32 v11, 1, v12
	v_mov_b32_e32 v7, v6
	v_add_u32_e32 v11, 1, v11
	v_cmp_lt_u32_e32 vcc, 13, v12
	v_mov_b32_e32 v15, 0
	s_and_saveexec_b64 s[12:13], vcc
	s_cbranch_execz .LBB250_38
; %bb.35:
	v_mov_b32_e32 v13, 0x100
	v_and_b32_e32 v12, -8, v11
	v_lshl_add_u32 v13, v0, 2, v13
	s_mov_b32 s22, 0
	s_mov_b64 s[16:17], 0
.LBB250_36:                             ; =>This Inner Loop Header: Depth=1
	ds_read2st64_b32 v[16:17], v13 offset1:2
	ds_read2st64_b32 v[18:19], v13 offset0:4 offset1:6
	ds_read2st64_b32 v[20:21], v13 offset0:8 offset1:10
	;; [unrolled: 1-line block ×3, first 2 shown]
	v_add_u32_e32 v12, -8, v12
	s_waitcnt lgkmcnt(3)
	v_pk_mul_f32 v[16:17], v[6:7], v[16:17]
	s_waitcnt lgkmcnt(2)
	v_pk_mul_f32 v[18:19], v[6:7], v[18:19]
	ds_write2st64_b32 v13, v16, v17 offset1:2
	ds_write2st64_b32 v13, v18, v19 offset0:4 offset1:6
	ds_read2st64_b32 v[18:19], v13 offset0:16 offset1:18
	s_waitcnt lgkmcnt(4)
	v_pk_mul_f32 v[16:17], v[6:7], v[20:21]
	ds_write2st64_b32 v13, v16, v17 offset0:8 offset1:10
	s_waitcnt lgkmcnt(4)
	v_pk_mul_f32 v[16:17], v[6:7], v[22:23]
	ds_write2st64_b32 v13, v16, v17 offset0:12 offset1:14
	ds_read2st64_b32 v[16:17], v13 offset0:20 offset1:22
	s_waitcnt lgkmcnt(3)
	v_pk_mul_f32 v[18:19], v[6:7], v[18:19]
	ds_read2st64_b32 v[20:21], v13 offset0:24 offset1:26
	ds_write2st64_b32 v13, v18, v19 offset0:16 offset1:18
	ds_read2st64_b32 v[18:19], v13 offset0:28 offset1:30
	s_waitcnt lgkmcnt(3)
	v_pk_mul_f32 v[16:17], v[6:7], v[16:17]
	ds_write2st64_b32 v13, v16, v17 offset0:20 offset1:22
	s_waitcnt lgkmcnt(3)
	v_pk_mul_f32 v[16:17], v[6:7], v[20:21]
	ds_write2st64_b32 v13, v16, v17 offset0:24 offset1:26
	s_waitcnt lgkmcnt(2)
	v_pk_mul_f32 v[16:17], v[6:7], v[18:19]
	s_add_i32 s22, s22, 16
	v_cmp_eq_u32_e32 vcc, 0, v12
	ds_write2st64_b32 v13, v16, v17 offset0:28 offset1:30
	v_add_u32_e32 v13, 0x2000, v13
	s_or_b64 s[16:17], vcc, s[16:17]
	v_mov_b32_e32 v15, s22
	s_andn2_b64 exec, exec, s[16:17]
	s_cbranch_execnz .LBB250_36
; %bb.37:
	s_or_b64 exec, exec, s[16:17]
.LBB250_38:
	s_or_b64 exec, exec, s[12:13]
	v_and_b32_e32 v11, 7, v11
	v_cmp_ne_u32_e32 vcc, 0, v11
	s_and_saveexec_b64 s[12:13], vcc
	s_cbranch_execz .LBB250_41
; %bb.39:
	v_lshlrev_b32_e32 v12, 9, v15
	v_lshlrev_b32_e32 v13, 2, v0
	s_movk_i32 s16, 0x100
	v_add3_u32 v12, v12, v13, s16
	s_mov_b64 s[16:17], 0
.LBB250_40:                             ; =>This Inner Loop Header: Depth=1
	ds_read2st64_b32 v[16:17], v12 offset1:2
	v_add_u32_e32 v11, -1, v11
	v_cmp_eq_u32_e32 vcc, 0, v11
	s_or_b64 s[16:17], vcc, s[16:17]
	s_waitcnt lgkmcnt(0)
	v_pk_mul_f32 v[16:17], v[6:7], v[16:17]
	ds_write2st64_b32 v12, v16, v17 offset1:2
	v_add_u32_e32 v12, 0x400, v12
	s_andn2_b64 exec, exec, s[16:17]
	s_cbranch_execnz .LBB250_40
.LBB250_41:
	s_or_b64 exec, exec, s[12:13]
	v_add_u32_e32 v10, 1, v10
	v_and_b32_e32 v11, 0x3fffffe, v10
	v_cmp_ne_u32_e32 vcc, v10, v11
	v_lshl_add_u32 v7, v11, 7, v0
	s_orn2_b64 s[12:13], vcc, exec
.LBB250_42:
	s_or_b64 exec, exec, s[8:9]
	s_and_b64 exec, exec, s[12:13]
	s_cbranch_execz .LBB250_45
; %bb.43:
	v_mov_b32_e32 v10, 0x100
	v_lshl_add_u32 v10, v7, 2, v10
	s_mov_b64 s[8:9], 0
.LBB250_44:                             ; =>This Inner Loop Header: Depth=1
	ds_read_b32 v11, v10
	v_add_u32_e32 v7, 0x80, v7
	v_cmp_le_i32_e32 vcc, s27, v7
	s_or_b64 s[8:9], vcc, s[8:9]
	s_waitcnt lgkmcnt(0)
	v_mul_f32_e32 v11, v6, v11
	ds_write_b32 v10, v11
	v_add_u32_e32 v10, 0x200, v10
	s_andn2_b64 exec, exec, s[8:9]
	s_cbranch_execnz .LBB250_44
.LBB250_45:
	s_or_b64 exec, exec, s[0:1]
	s_mul_i32 s0, s15, s36
	v_cmp_eq_u32_e32 vcc, 0, v0
	s_mul_i32 s8, s0, s5
	s_waitcnt lgkmcnt(0)
	s_barrier
	s_and_saveexec_b64 s[0:1], vcc
	s_cbranch_execz .LBB250_47
; %bb.46:
	s_ashr_i32 s9, s8, 31
	s_lshl_b64 s[12:13], s[8:9], 2
	s_add_u32 s5, s30, s12
	s_mul_i32 s16, s15, s2
	s_addc_u32 s9, s31, s13
	s_ashr_i32 s17, s16, 31
	s_lshl_b64 s[16:17], s[16:17], 2
	s_add_u32 s2, s5, s16
	s_addc_u32 s9, s9, s17
	s_ashr_i32 s5, s4, 31
	s_lshl_b64 s[22:23], s[4:5], 2
	s_add_u32 s30, s2, s22
	s_addc_u32 s31, s9, s23
	s_add_u32 s2, s28, s12
	s_addc_u32 s5, s29, s13
	;; [unrolled: 2-line block ×3, first 2 shown]
	s_add_u32 s12, s2, s22
	v_mov_b32_e32 v6, 0
	s_addc_u32 s13, s5, s23
	global_store_dword v6, v8, s[30:31]
	global_store_dword v6, v9, s[12:13]
.LBB250_47:
	s_or_b64 exec, exec, s[0:1]
	v_mov_b32_e32 v25, 0
	v_mov_b32_e32 v24, 0
	s_and_saveexec_b64 s[12:13], s[6:7]
	s_cbranch_execz .LBB250_187
; %bb.48:
	s_sub_i32 s5, s20, s25
	s_ashr_i32 s0, s24, 31
	s_add_u32 s6, s42, s24
	s_addc_u32 s7, s43, s0
	s_abs_i32 s31, s26
	v_cvt_f32_u32_e32 v8, s31
	v_or_b32_e32 v10, 64, v3
	s_movk_i32 s0, 0x78
	v_cmp_gt_u32_e32 vcc, s0, v10
	v_rcp_iflag_f32_e32 v8, v8
	s_sub_i32 s0, 0, s31
	s_add_i32 s30, s3, -1
	v_mov_b32_e32 v9, 0
	v_mul_f32_e32 v8, 0x4f7ffffe, v8
	v_cvt_u32_f32_e32 v8, v8
	s_mov_b32 s9, s21
	v_lshlrev_b32_e32 v6, 3, v3
	v_mov_b32_e32 v7, v9
	v_mul_lo_u32 v12, s0, v8
	s_lshl_b64 s[0:1], s[40:41], 2
	s_add_u32 s0, s38, s0
	v_mul_hi_u32 v12, v8, v12
	s_addc_u32 s1, s39, s1
	v_add_u32_e32 v26, v8, v12
	v_lshl_add_u64 v[12:13], v[4:5], 2, s[0:1]
	v_mov_b32_e32 v5, 0x100
	v_lshlrev_b32_e32 v10, 3, v10
	v_mov_b32_e32 v11, v9
	s_mov_b32 s36, s33
	v_lshl_add_u32 v5, v14, 5, v5
	s_mov_b64 s[16:17], 0
	s_movk_i32 s38, 0x7f
	s_movk_i32 s39, 0x80
	s_mov_b32 s40, 0x8000
	s_movk_i32 s41, 0x380
	s_mov_b32 s42, 0x3020706
	s_mov_b32 s43, 0x1000504
	;; [unrolled: 1-line block ×3, first 2 shown]
	v_mov_b32_e32 v27, 0x1c00
	v_mov_b32_e32 v24, 0
	;; [unrolled: 1-line block ×3, first 2 shown]
	s_branch .LBB250_52
.LBB250_49:                             ;   in Loop: Header=BB250_52 Depth=1
	s_or_b64 exec, exec, s[24:25]
	;;#ASMSTART
	v_pk_mul_f16 v16, v31, v17;

	;;#ASMEND
	;;#ASMSTART
	v_pk_mul_f16 v8, v30, v8;

	;;#ASMEND
	;; [unrolled: 4-line block ×4, first 2 shown]
	s_nop 0
	;;#ASMSTART
	v_pk_add_f16 v8, v16, v8;

	;;#ASMEND
	s_nop 0
	;;#ASMSTART
	v_pk_add_f16 v8, v8, v15;

	;;#ASMEND
	;; [unrolled: 5-line block ×3, first 2 shown]
	s_nop 0
	v_lshrrev_b32_e32 v14, 16, v8
	v_and_b32_e32 v8, 0xffff, v8
	;;#ASMSTART
	v_cvt_f32_f16 v8, v8;
	;;#ASMEND
	;;#ASMSTART
	v_cvt_f32_f16 v14, v14;
	;;#ASMEND
	s_nop 0
	v_add_f32_e32 v8, v8, v14
	v_add_f32_e32 v24, v24, v8
.LBB250_50:                             ;   in Loop: Header=BB250_52 Depth=1
	s_or_b64 exec, exec, s[22:23]
	v_add_f32_e32 v8, v22, v23
	v_add_f32_e32 v25, v25, v8
.LBB250_51:                             ;   in Loop: Header=BB250_52 Depth=1
	s_or_b64 exec, exec, s[20:21]
	v_add_u32_e32 v4, 2, v4
	v_cmp_le_i32_e64 s[0:1], s52, v4
	v_lshl_add_u64 v[12:13], v[12:13], 0, 8
	v_add_u32_e32 v1, 16, v1
	s_or_b64 s[16:17], s[0:1], s[16:17]
	v_add_u32_e32 v5, 64, v5
	s_andn2_b64 exec, exec, s[16:17]
	s_cbranch_execz .LBB250_186
.LBB250_52:                             ; =>This Inner Loop Header: Depth=1
	v_sub_u32_e32 v14, 0, v1
	v_max_i32_e32 v14, v1, v14
	v_mul_hi_u32 v15, v14, s50
	v_mul_lo_u32 v16, v15, s37
	v_sub_u32_e32 v14, v14, v16
	v_add_u32_e32 v16, 1, v15
	v_cmp_le_u32_e64 s[0:1], s37, v14
	v_ashrrev_i32_e32 v8, 31, v1
	v_xor_b32_e32 v8, s51, v8
	v_cndmask_b32_e64 v15, v15, v16, s[0:1]
	v_subrev_u32_e32 v16, s37, v14
	v_cndmask_b32_e64 v14, v14, v16, s[0:1]
	v_add_u32_e32 v16, 1, v15
	v_cmp_le_u32_e64 s[0:1], s37, v14
	s_nop 1
	v_cndmask_b32_e64 v14, v15, v16, s[0:1]
	v_xor_b32_e32 v14, v14, v8
	v_sub_u32_e32 v8, v14, v8
	v_add_u32_e32 v14, s44, v8
	v_sub_u32_e32 v16, 0, v14
	v_ashrrev_i32_e32 v15, 31, v14
	v_max_i32_e32 v14, v14, v16
	v_mul_hi_u32 v16, v14, v26
	v_mul_lo_u32 v16, v16, s31
	v_sub_u32_e32 v14, v14, v16
	v_subrev_u32_e32 v16, s31, v14
	v_cmp_le_u32_e64 s[0:1], s31, v14
	v_cmp_lt_i32_e64 s[2:3], s5, v8
	s_nop 0
	v_cndmask_b32_e64 v14, v14, v16, s[0:1]
	v_subrev_u32_e32 v16, s31, v14
	v_cmp_le_u32_e64 s[0:1], s31, v14
	s_nop 1
	v_cndmask_b32_e64 v14, v14, v16, s[0:1]
	v_xor_b32_e32 v14, v14, v15
	v_sub_u32_e32 v14, v14, v15
	v_cmp_eq_u32_e64 s[0:1], 0, v14
	s_or_b64 s[0:1], s[0:1], s[2:3]
	s_and_saveexec_b64 s[20:21], s[0:1]
	s_cbranch_execz .LBB250_51
; %bb.53:                               ;   in Loop: Header=BB250_52 Depth=1
	ds_read2_b64 v[18:21], v5 offset1:1
	ds_read2_b64 v[32:35], v5 offset0:2 offset1:3
	v_mov_b64_e32 v[14:15], s[6:7]
                                        ; implicit-def: $sgpr24
	s_waitcnt lgkmcnt(1)
	;;#ASMSTART
	v_cvt_f16_f32 v17, v18;

	;;#ASMEND
	;;#ASMSTART
	v_cvt_f16_f32 v28, v19;

	;;#ASMEND
	;; [unrolled: 4-line block ×4, first 2 shown]
	s_waitcnt lgkmcnt(0)
	;;#ASMSTART
	v_cvt_f16_f32 v32, v32;

	;;#ASMEND
	;;#ASMSTART
	v_cvt_f16_f32 v33, v33;

	;;#ASMEND
	;;#ASMSTART
	v_cvt_f16_f32 v34, v34;

	;;#ASMEND
	;;#ASMSTART
	v_cvt_f16_f32 v35, v35;

	;;#ASMEND
	global_load_dword v8, v[12:13], off
	s_waitcnt vmcnt(0)
	v_mad_i64_i32 v[14:15], s[0:1], v8, s9, v[14:15]
	v_lshl_add_u64 v[20:21], v[14:15], 0, v[6:7]
	global_load_dwordx2 v[18:19], v[20:21], off
	global_load_dword v16, v9, s[18:19]
	s_mov_b64 s[0:1], 0
	s_waitcnt vmcnt(1)
	v_cmp_gt_i16_sdwa s[2:3], v18, s38 src0_sel:BYTE_0 src1_sel:DWORD
	s_and_saveexec_b64 s[22:23], s[2:3]
	s_xor_b64 s[2:3], exec, s[22:23]
	s_cbranch_execnz .LBB250_122
; %bb.54:                               ;   in Loop: Header=BB250_52 Depth=1
	s_or_saveexec_b64 s[2:3], s[2:3]
	v_mov_b32_e32 v20, s24
	s_xor_b64 exec, exec, s[2:3]
	s_cbranch_execnz .LBB250_125
.LBB250_55:                             ;   in Loop: Header=BB250_52 Depth=1
	s_or_b64 exec, exec, s[2:3]
	s_and_saveexec_b64 s[2:3], s[0:1]
	s_cbranch_execz .LBB250_57
.LBB250_56:                             ;   in Loop: Header=BB250_52 Depth=1
	v_and_b32_e32 v8, 7, v18
	v_ffbh_u32_e32 v8, v8
	v_bfe_u32 v20, v18, 3, 4
	v_min_u32_e32 v8, 32, v8
	v_subrev_u32_e32 v21, 28, v8
	v_sub_u32_e32 v8, 29, v8
	v_cmp_eq_u32_e64 s[0:1], 0, v20
	s_nop 1
	v_cndmask_b32_e64 v8, v20, v8, s[0:1]
	v_cndmask_b32_e64 v20, 0, v21, s[0:1]
	v_lshlrev_b64 v[20:21], v20, v[18:19]
	v_lshlrev_b32_e32 v21, 8, v18
	v_lshl_add_u32 v8, v8, 10, v27
	v_lshlrev_b32_e32 v20, 7, v20
	v_and_or_b32 v8, v21, s40, v8
	v_and_or_b32 v8, v20, s41, v8
	v_cvt_f32_f16_e32 v20, v8
.LBB250_57:                             ;   in Loop: Header=BB250_52 Depth=1
	s_or_b64 exec, exec, s[2:3]
	v_lshrrev_b16_e32 v8, 8, v18
	v_cmp_lt_i16_e64 s[0:1], s38, v8
	s_mov_b64 s[2:3], 0
                                        ; implicit-def: $sgpr26
	s_and_saveexec_b64 s[22:23], s[0:1]
	s_xor_b64 s[22:23], exec, s[22:23]
	s_cbranch_execnz .LBB250_126
; %bb.58:                               ;   in Loop: Header=BB250_52 Depth=1
	s_or_saveexec_b64 s[22:23], s[22:23]
	v_mov_b32_e32 v22, s26
	s_xor_b64 exec, exec, s[22:23]
	s_cbranch_execnz .LBB250_129
.LBB250_59:                             ;   in Loop: Header=BB250_52 Depth=1
	s_or_b64 exec, exec, s[22:23]
	s_and_saveexec_b64 s[22:23], s[2:3]
	s_cbranch_execz .LBB250_61
.LBB250_60:                             ;   in Loop: Header=BB250_52 Depth=1
	v_and_b32_e32 v21, 7, v8
	v_ffbh_u32_e32 v22, v21
	v_min_u32_e32 v36, 32, v22
	v_subrev_u32_e32 v22, 28, v36
	v_bfe_u32 v31, v8, 3, 4
	v_lshlrev_b64 v[22:23], v22, v[8:9]
	v_sub_u32_e32 v23, 29, v36
	v_cmp_eq_u32_e64 s[0:1], 0, v31
	v_and_b32_e32 v22, 7, v22
	v_lshlrev_b32_e32 v8, 8, v8
	v_cndmask_b32_e64 v23, v31, v23, s[0:1]
	v_cndmask_b32_e64 v21, v21, v22, s[0:1]
	v_lshl_add_u32 v22, v23, 10, v27
	v_and_or_b32 v8, v8, s40, v22
	v_lshl_or_b32 v8, v21, 7, v8
	v_cvt_f32_f16_e32 v22, v8
.LBB250_61:                             ;   in Loop: Header=BB250_52 Depth=1
	s_or_b64 exec, exec, s[22:23]
	v_lshrrev_b32_e32 v8, 16, v18
	v_cmp_gt_i16_sdwa s[2:3], v8, s38 src0_sel:BYTE_0 src1_sel:DWORD
	s_mov_b64 s[0:1], 0
                                        ; implicit-def: $sgpr24
	s_and_saveexec_b64 s[22:23], s[2:3]
	s_xor_b64 s[2:3], exec, s[22:23]
	s_cbranch_execnz .LBB250_130
; %bb.62:                               ;   in Loop: Header=BB250_52 Depth=1
	s_or_saveexec_b64 s[2:3], s[2:3]
	v_mov_b32_e32 v21, s24
	s_xor_b64 exec, exec, s[2:3]
	s_cbranch_execnz .LBB250_133
.LBB250_63:                             ;   in Loop: Header=BB250_52 Depth=1
	s_or_b64 exec, exec, s[2:3]
	s_and_saveexec_b64 s[2:3], s[0:1]
	s_cbranch_execz .LBB250_65
.LBB250_64:                             ;   in Loop: Header=BB250_52 Depth=1
	v_bfe_u32 v21, v18, 16, 3
	v_ffbh_u32_e32 v31, v21
	v_bfe_u32 v23, v18, 19, 4
	v_min_u32_e32 v31, 32, v31
	v_subrev_u32_e32 v36, 28, v31
	v_sub_u32_e32 v31, 29, v31
	v_cmp_eq_u32_e64 s[0:1], 0, v23
	v_lshlrev_b64 v[36:37], v36, v[8:9]
	v_and_b32_e32 v36, 7, v36
	v_cndmask_b32_e64 v23, v23, v31, s[0:1]
	v_lshlrev_b32_e32 v8, 8, v8
	v_lshl_add_u32 v23, v23, 10, v27
	v_cndmask_b32_e64 v21, v21, v36, s[0:1]
	v_and_or_b32 v8, v8, s40, v23
	v_lshl_or_b32 v8, v21, 7, v8
	v_cvt_f32_f16_e32 v21, v8
.LBB250_65:                             ;   in Loop: Header=BB250_52 Depth=1
	s_or_b64 exec, exec, s[2:3]
	v_lshrrev_b32_e32 v8, 24, v18
	v_cmp_lt_i16_e64 s[0:1], s38, v8
	s_mov_b64 s[2:3], 0
                                        ; implicit-def: $sgpr26
	s_and_saveexec_b64 s[22:23], s[0:1]
	s_xor_b64 s[22:23], exec, s[22:23]
	s_cbranch_execnz .LBB250_134
; %bb.66:                               ;   in Loop: Header=BB250_52 Depth=1
	s_or_saveexec_b64 s[22:23], s[22:23]
	v_mov_b32_e32 v23, s26
	s_xor_b64 exec, exec, s[22:23]
	s_cbranch_execnz .LBB250_137
.LBB250_67:                             ;   in Loop: Header=BB250_52 Depth=1
	s_or_b64 exec, exec, s[22:23]
	s_and_saveexec_b64 s[22:23], s[2:3]
	s_cbranch_execz .LBB250_69
.LBB250_68:                             ;   in Loop: Header=BB250_52 Depth=1
	v_bfe_u32 v23, v18, 24, 3
	v_ffbh_u32_e32 v31, v23
	v_bfe_u32 v18, v18, 27, 4
	v_min_u32_e32 v31, 32, v31
	v_subrev_u32_e32 v36, 28, v31
	v_sub_u32_e32 v31, 29, v31
	v_cmp_eq_u32_e64 s[0:1], 0, v18
	v_lshlrev_b64 v[36:37], v36, v[8:9]
	v_and_b32_e32 v36, 7, v36
	v_cndmask_b32_e64 v18, v18, v31, s[0:1]
	v_lshlrev_b32_e32 v8, 8, v8
	v_lshl_add_u32 v18, v18, 10, v27
	v_cndmask_b32_e64 v23, v23, v36, s[0:1]
	v_and_or_b32 v8, v8, s40, v18
	v_lshl_or_b32 v8, v23, 7, v8
	v_cvt_f32_f16_e32 v23, v8
.LBB250_69:                             ;   in Loop: Header=BB250_52 Depth=1
	s_or_b64 exec, exec, s[22:23]
	v_cmp_gt_i16_sdwa s[2:3], v19, s38 src0_sel:BYTE_0 src1_sel:DWORD
	s_mov_b64 s[0:1], 0
                                        ; implicit-def: $sgpr24
	s_and_saveexec_b64 s[22:23], s[2:3]
	s_xor_b64 s[2:3], exec, s[22:23]
	s_cbranch_execnz .LBB250_138
; %bb.70:                               ;   in Loop: Header=BB250_52 Depth=1
	s_or_saveexec_b64 s[2:3], s[2:3]
	v_mov_b32_e32 v18, s24
	s_xor_b64 exec, exec, s[2:3]
	s_cbranch_execnz .LBB250_141
.LBB250_71:                             ;   in Loop: Header=BB250_52 Depth=1
	s_or_b64 exec, exec, s[2:3]
	v_mov_b32_e32 v8, v19
	s_and_saveexec_b64 s[2:3], s[0:1]
	s_cbranch_execz .LBB250_73
.LBB250_72:                             ;   in Loop: Header=BB250_52 Depth=1
	v_and_b32_e32 v18, 7, v19
	v_ffbh_u32_e32 v18, v18
	v_bfe_u32 v31, v19, 3, 4
	v_min_u32_e32 v18, 32, v18
	v_subrev_u32_e32 v36, 28, v18
	v_sub_u32_e32 v18, 29, v18
	v_cmp_eq_u32_e64 s[0:1], 0, v31
	s_nop 1
	v_cndmask_b32_e64 v18, v31, v18, s[0:1]
	v_cndmask_b32_e64 v31, 0, v36, s[0:1]
	v_lshlrev_b64 v[36:37], v31, v[8:9]
	v_lshlrev_b32_e32 v31, 7, v36
	v_lshlrev_b32_e32 v36, 8, v19
	v_lshl_add_u32 v18, v18, 10, v27
	v_and_or_b32 v18, v36, s40, v18
	v_and_or_b32 v18, v31, s41, v18
	v_cvt_f32_f16_e32 v18, v18
.LBB250_73:                             ;   in Loop: Header=BB250_52 Depth=1
	s_or_b64 exec, exec, s[2:3]
	v_lshrrev_b16_e32 v8, 8, v8
	v_cmp_lt_i16_e64 s[0:1], s38, v8
	s_mov_b64 s[2:3], 0
                                        ; implicit-def: $sgpr26
	s_and_saveexec_b64 s[22:23], s[0:1]
	s_xor_b64 s[22:23], exec, s[22:23]
	s_cbranch_execnz .LBB250_142
; %bb.74:                               ;   in Loop: Header=BB250_52 Depth=1
	s_or_saveexec_b64 s[22:23], s[22:23]
	v_mov_b32_e32 v31, s26
	s_xor_b64 exec, exec, s[22:23]
	s_cbranch_execnz .LBB250_145
.LBB250_75:                             ;   in Loop: Header=BB250_52 Depth=1
	s_or_b64 exec, exec, s[22:23]
	s_and_saveexec_b64 s[22:23], s[2:3]
	s_cbranch_execz .LBB250_77
.LBB250_76:                             ;   in Loop: Header=BB250_52 Depth=1
	v_and_b32_e32 v31, 7, v8
	v_ffbh_u32_e32 v36, v31
	v_min_u32_e32 v39, 32, v36
	v_subrev_u32_e32 v36, 28, v39
	v_bfe_u32 v38, v8, 3, 4
	v_lshlrev_b64 v[36:37], v36, v[8:9]
	v_sub_u32_e32 v37, 29, v39
	v_cmp_eq_u32_e64 s[0:1], 0, v38
	v_and_b32_e32 v36, 7, v36
	v_lshlrev_b32_e32 v8, 8, v8
	v_cndmask_b32_e64 v37, v38, v37, s[0:1]
	v_cndmask_b32_e64 v31, v31, v36, s[0:1]
	v_lshl_add_u32 v36, v37, 10, v27
	v_and_or_b32 v8, v8, s40, v36
	v_lshl_or_b32 v8, v31, 7, v8
	v_cvt_f32_f16_e32 v31, v8
.LBB250_77:                             ;   in Loop: Header=BB250_52 Depth=1
	s_or_b64 exec, exec, s[22:23]
	v_lshrrev_b32_e32 v8, 16, v19
	v_cmp_gt_i16_sdwa s[2:3], v8, s38 src0_sel:BYTE_0 src1_sel:DWORD
	s_mov_b64 s[0:1], 0
                                        ; implicit-def: $sgpr24
	s_and_saveexec_b64 s[22:23], s[2:3]
	s_xor_b64 s[2:3], exec, s[22:23]
	s_cbranch_execnz .LBB250_146
; %bb.78:                               ;   in Loop: Header=BB250_52 Depth=1
	s_or_saveexec_b64 s[2:3], s[2:3]
	v_mov_b32_e32 v36, s24
	s_xor_b64 exec, exec, s[2:3]
	s_cbranch_execnz .LBB250_149
.LBB250_79:                             ;   in Loop: Header=BB250_52 Depth=1
	s_or_b64 exec, exec, s[2:3]
	s_and_saveexec_b64 s[2:3], s[0:1]
	s_cbranch_execz .LBB250_81
.LBB250_80:                             ;   in Loop: Header=BB250_52 Depth=1
	v_bfe_u32 v38, v19, 16, 3
	v_ffbh_u32_e32 v36, v38
	v_min_u32_e32 v40, 32, v36
	v_subrev_u32_e32 v36, 28, v40
	v_bfe_u32 v39, v19, 19, 4
	v_lshlrev_b64 v[36:37], v36, v[8:9]
	v_sub_u32_e32 v37, 29, v40
	v_cmp_eq_u32_e64 s[0:1], 0, v39
	v_and_b32_e32 v36, 7, v36
	v_lshlrev_b32_e32 v8, 8, v8
	v_cndmask_b32_e64 v37, v39, v37, s[0:1]
	v_lshl_add_u32 v37, v37, 10, v27
	v_cndmask_b32_e64 v36, v38, v36, s[0:1]
	v_and_or_b32 v8, v8, s40, v37
	v_lshl_or_b32 v8, v36, 7, v8
	v_cvt_f32_f16_e32 v36, v8
.LBB250_81:                             ;   in Loop: Header=BB250_52 Depth=1
	s_or_b64 exec, exec, s[2:3]
	v_lshrrev_b32_e32 v8, 24, v19
	v_cmp_lt_i16_e64 s[0:1], s38, v8
	s_mov_b64 s[2:3], 0
                                        ; implicit-def: $sgpr26
	s_and_saveexec_b64 s[22:23], s[0:1]
	s_xor_b64 s[22:23], exec, s[22:23]
	s_cbranch_execnz .LBB250_150
; %bb.82:                               ;   in Loop: Header=BB250_52 Depth=1
	s_or_saveexec_b64 s[22:23], s[22:23]
	v_mov_b32_e32 v37, s26
	s_xor_b64 exec, exec, s[22:23]
	s_cbranch_execnz .LBB250_153
.LBB250_83:                             ;   in Loop: Header=BB250_52 Depth=1
	s_or_b64 exec, exec, s[22:23]
	s_and_saveexec_b64 s[22:23], s[2:3]
	s_cbranch_execz .LBB250_85
.LBB250_84:                             ;   in Loop: Header=BB250_52 Depth=1
	v_bfe_u32 v37, v19, 24, 3
	v_ffbh_u32_e32 v38, v37
	v_min_u32_e32 v40, 32, v38
	v_subrev_u32_e32 v38, 28, v40
	v_bfe_u32 v19, v19, 27, 4
	v_lshlrev_b64 v[38:39], v38, v[8:9]
	v_sub_u32_e32 v39, 29, v40
	v_cmp_eq_u32_e64 s[0:1], 0, v19
	v_and_b32_e32 v38, 7, v38
	v_lshlrev_b32_e32 v8, 8, v8
	v_cndmask_b32_e64 v19, v19, v39, s[0:1]
	v_lshl_add_u32 v19, v19, 10, v27
	v_cndmask_b32_e64 v37, v37, v38, s[0:1]
	v_and_or_b32 v8, v8, s40, v19
	v_lshl_or_b32 v8, v37, 7, v8
	v_cvt_f32_f16_e32 v37, v8
.LBB250_85:                             ;   in Loop: Header=BB250_52 Depth=1
	s_or_b64 exec, exec, s[22:23]
	s_waitcnt vmcnt(0)
	v_pk_mul_f32 v[22:23], v[16:17], v[22:23] op_sel_hi:[0,1]
	v_pk_mul_f32 v[20:21], v[16:17], v[20:21] op_sel_hi:[0,1]
	v_cvt_f16_f32_e32 v8, v23
	v_cvt_f16_f32_e32 v19, v22
	v_cvt_f16_f32_e32 v21, v21
	v_cvt_f16_f32_e32 v20, v20
	v_fma_mixlo_f16 v18, v16, v18, 0
	v_pack_b32_f16 v19, v19, v8
	v_cmp_eq_u32_e64 s[2:3], s30, v4
	v_pack_b32_f16 v20, v20, v21
	v_perm_b32 v8, v20, v19, s42
	v_perm_b32 v19, v20, v19, s43
	v_fma_mixlo_f16 v20, v16, v31, 0
	v_lshlrev_b32_e32 v20, 16, v20
	v_or_b32_sdwa v18, v20, v18 dst_sel:DWORD dst_unused:UNUSED_PAD src0_sel:DWORD src1_sel:WORD_0
	v_fma_mixlo_f16 v20, v16, v36, 0
	v_fma_mixlo_f16 v16, v16, v37, 0
	v_lshlrev_b32_e32 v16, 16, v16
	v_or_b32_sdwa v16, v16, v20 dst_sel:DWORD dst_unused:UNUSED_PAD src0_sel:DWORD src1_sel:WORD_0
	s_and_saveexec_b64 s[22:23], s[2:3]
	s_cbranch_execz .LBB250_87
; %bb.86:                               ;   in Loop: Header=BB250_52 Depth=1
	v_add_u32_e32 v21, 1, v1
	v_lshrrev_b32_e32 v22, 16, v19
	v_cmp_gt_i32_e64 s[0:1], s36, v21
	v_lshrrev_b32_e32 v23, 16, v8
	v_lshrrev_b32_e32 v16, 16, v16
	v_cndmask_b32_e64 v21, 0, v22, s[0:1]
	v_cmp_gt_i32_e64 s[0:1], s33, v1
	v_or_b32_e32 v22, 2, v1
	s_nop 0
	v_cndmask_b32_e64 v19, 0, v19, s[0:1]
	v_perm_b32 v19, v21, v19, s45
	v_or_b32_e32 v21, 3, v1
	v_cmp_gt_i32_e64 s[0:1], s36, v21
	s_nop 1
	v_cndmask_b32_e64 v21, 0, v23, s[0:1]
	v_cmp_gt_i32_e64 s[0:1], s33, v22
	v_or_b32_e32 v22, 4, v1
	v_lshrrev_b32_e32 v23, 16, v18
	v_cndmask_b32_e64 v8, 0, v8, s[0:1]
	v_perm_b32 v8, v21, v8, s45
	v_or_b32_e32 v21, 5, v1
	v_cmp_gt_i32_e64 s[0:1], s36, v21
	s_nop 1
	v_cndmask_b32_e64 v21, 0, v23, s[0:1]
	v_cmp_gt_i32_e64 s[0:1], s33, v22
	v_or_b32_e32 v22, 6, v1
	s_nop 0
	v_cndmask_b32_e64 v18, 0, v18, s[0:1]
	v_perm_b32 v18, v21, v18, s45
	v_or_b32_e32 v21, 7, v1
	v_cmp_gt_i32_e64 s[0:1], s36, v21
	s_nop 1
	v_cndmask_b32_e64 v16, 0, v16, s[0:1]
	v_cmp_gt_i32_e64 s[0:1], s33, v22
	s_nop 1
	v_cndmask_b32_e64 v20, 0, v20, s[0:1]
	v_perm_b32 v16, v16, v20, s45
.LBB250_87:                             ;   in Loop: Header=BB250_52 Depth=1
	s_or_b64 exec, exec, s[22:23]
	v_and_b32_e32 v17, 0xffff, v17
	v_lshl_or_b32 v31, v28, 16, v17
	v_and_b32_e32 v17, 0xffff, v29
	v_lshl_or_b32 v30, v30, 16, v17
	;; [unrolled: 2-line block ×4, first 2 shown]
	;;#ASMSTART
	v_pk_mul_f16 v17, v31, v19;

	;;#ASMEND
	;;#ASMSTART
	v_pk_mul_f16 v8, v30, v8;

	;;#ASMEND
	;; [unrolled: 4-line block ×4, first 2 shown]
	s_nop 0
	;;#ASMSTART
	v_pk_add_f16 v8, v17, v8;

	;;#ASMEND
	s_nop 0
	;;#ASMSTART
	v_pk_add_f16 v8, v8, v18;

	;;#ASMEND
	;; [unrolled: 5-line block ×3, first 2 shown]
	s_nop 0
	v_lshrrev_b32_e32 v16, 16, v8
	v_and_b32_e32 v8, 0xffff, v8
	;;#ASMSTART
	v_cvt_f32_f16 v22, v8;
	;;#ASMEND
	;;#ASMSTART
	v_cvt_f32_f16 v23, v16;
	;;#ASMEND
	s_and_saveexec_b64 s[22:23], vcc
	s_cbranch_execz .LBB250_50
; %bb.88:                               ;   in Loop: Header=BB250_52 Depth=1
	v_lshl_add_u64 v[18:19], v[14:15], 0, v[10:11]
	global_load_dwordx2 v[16:17], v[18:19], off
	global_load_dword v14, v9, s[18:19]
	s_mov_b64 s[0:1], 0
                                        ; implicit-def: $sgpr28
	s_waitcnt vmcnt(1)
	v_cmp_gt_i16_sdwa s[24:25], v16, s38 src0_sel:BYTE_0 src1_sel:DWORD
	s_and_saveexec_b64 s[26:27], s[24:25]
	s_xor_b64 s[24:25], exec, s[26:27]
	s_cbranch_execnz .LBB250_154
; %bb.89:                               ;   in Loop: Header=BB250_52 Depth=1
	s_or_saveexec_b64 s[24:25], s[24:25]
	v_mov_b32_e32 v18, s28
	s_xor_b64 exec, exec, s[24:25]
	s_cbranch_execnz .LBB250_157
.LBB250_90:                             ;   in Loop: Header=BB250_52 Depth=1
	s_or_b64 exec, exec, s[24:25]
	s_and_saveexec_b64 s[24:25], s[0:1]
	s_cbranch_execz .LBB250_92
.LBB250_91:                             ;   in Loop: Header=BB250_52 Depth=1
	v_and_b32_e32 v8, 7, v16
	v_ffbh_u32_e32 v8, v8
	v_bfe_u32 v15, v16, 3, 4
	v_min_u32_e32 v8, 32, v8
	v_subrev_u32_e32 v18, 28, v8
	v_sub_u32_e32 v8, 29, v8
	v_cmp_eq_u32_e64 s[0:1], 0, v15
	s_nop 1
	v_cndmask_b32_e64 v8, v15, v8, s[0:1]
	v_cndmask_b32_e64 v15, 0, v18, s[0:1]
	v_lshlrev_b64 v[18:19], v15, v[16:17]
	v_lshlrev_b32_e32 v15, 7, v18
	v_lshlrev_b32_e32 v18, 8, v16
	v_lshl_add_u32 v8, v8, 10, v27
	v_and_or_b32 v8, v18, s40, v8
	v_and_or_b32 v8, v15, s41, v8
	v_cvt_f32_f16_e32 v18, v8
.LBB250_92:                             ;   in Loop: Header=BB250_52 Depth=1
	s_or_b64 exec, exec, s[24:25]
	v_lshrrev_b16_e32 v8, 8, v16
	v_cmp_lt_i16_e64 s[0:1], s38, v8
	s_mov_b64 s[24:25], 0
                                        ; implicit-def: $sgpr46
	s_and_saveexec_b64 s[26:27], s[0:1]
	s_xor_b64 s[26:27], exec, s[26:27]
	s_cbranch_execnz .LBB250_158
; %bb.93:                               ;   in Loop: Header=BB250_52 Depth=1
	s_or_saveexec_b64 s[26:27], s[26:27]
	v_mov_b32_e32 v20, s46
	s_xor_b64 exec, exec, s[26:27]
	s_cbranch_execnz .LBB250_161
.LBB250_94:                             ;   in Loop: Header=BB250_52 Depth=1
	s_or_b64 exec, exec, s[26:27]
	s_and_saveexec_b64 s[26:27], s[24:25]
	s_cbranch_execz .LBB250_96
.LBB250_95:                             ;   in Loop: Header=BB250_52 Depth=1
	v_and_b32_e32 v15, 7, v8
	v_ffbh_u32_e32 v20, v15
	v_min_u32_e32 v32, 32, v20
	v_subrev_u32_e32 v20, 28, v32
	v_bfe_u32 v19, v8, 3, 4
	v_lshlrev_b64 v[20:21], v20, v[8:9]
	v_sub_u32_e32 v21, 29, v32
	v_cmp_eq_u32_e64 s[0:1], 0, v19
	v_and_b32_e32 v20, 7, v20
	v_lshlrev_b32_e32 v8, 8, v8
	v_cndmask_b32_e64 v19, v19, v21, s[0:1]
	v_lshl_add_u32 v19, v19, 10, v27
	v_cndmask_b32_e64 v15, v15, v20, s[0:1]
	v_and_or_b32 v8, v8, s40, v19
	v_lshl_or_b32 v8, v15, 7, v8
	v_cvt_f32_f16_e32 v20, v8
.LBB250_96:                             ;   in Loop: Header=BB250_52 Depth=1
	s_or_b64 exec, exec, s[26:27]
	v_lshrrev_b32_e32 v8, 16, v16
	v_cmp_gt_i16_sdwa s[24:25], v8, s38 src0_sel:BYTE_0 src1_sel:DWORD
	s_mov_b64 s[0:1], 0
                                        ; implicit-def: $sgpr28
	s_and_saveexec_b64 s[26:27], s[24:25]
	s_xor_b64 s[24:25], exec, s[26:27]
	s_cbranch_execnz .LBB250_162
; %bb.97:                               ;   in Loop: Header=BB250_52 Depth=1
	s_or_saveexec_b64 s[24:25], s[24:25]
	v_mov_b32_e32 v19, s28
	s_xor_b64 exec, exec, s[24:25]
	s_cbranch_execnz .LBB250_165
.LBB250_98:                             ;   in Loop: Header=BB250_52 Depth=1
	s_or_b64 exec, exec, s[24:25]
	s_and_saveexec_b64 s[24:25], s[0:1]
	s_cbranch_execz .LBB250_100
.LBB250_99:                             ;   in Loop: Header=BB250_52 Depth=1
	v_bfe_u32 v15, v16, 16, 3
	v_ffbh_u32_e32 v21, v15
	v_bfe_u32 v19, v16, 19, 4
	v_min_u32_e32 v21, 32, v21
	v_subrev_u32_e32 v32, 28, v21
	v_sub_u32_e32 v21, 29, v21
	v_cmp_eq_u32_e64 s[0:1], 0, v19
	v_lshlrev_b64 v[32:33], v32, v[8:9]
	v_and_b32_e32 v32, 7, v32
	v_cndmask_b32_e64 v19, v19, v21, s[0:1]
	v_lshlrev_b32_e32 v8, 8, v8
	v_lshl_add_u32 v19, v19, 10, v27
	v_cndmask_b32_e64 v15, v15, v32, s[0:1]
	v_and_or_b32 v8, v8, s40, v19
	v_lshl_or_b32 v8, v15, 7, v8
	v_cvt_f32_f16_e32 v19, v8
.LBB250_100:                            ;   in Loop: Header=BB250_52 Depth=1
	s_or_b64 exec, exec, s[24:25]
	v_lshrrev_b32_e32 v8, 24, v16
	v_cmp_lt_i16_e64 s[0:1], s38, v8
	s_mov_b64 s[24:25], 0
                                        ; implicit-def: $sgpr46
	s_and_saveexec_b64 s[26:27], s[0:1]
	s_xor_b64 s[26:27], exec, s[26:27]
	s_cbranch_execnz .LBB250_166
; %bb.101:                              ;   in Loop: Header=BB250_52 Depth=1
	s_or_saveexec_b64 s[26:27], s[26:27]
	v_mov_b32_e32 v21, s46
	s_xor_b64 exec, exec, s[26:27]
	s_cbranch_execnz .LBB250_169
.LBB250_102:                            ;   in Loop: Header=BB250_52 Depth=1
	s_or_b64 exec, exec, s[26:27]
	s_and_saveexec_b64 s[26:27], s[24:25]
	s_cbranch_execz .LBB250_104
.LBB250_103:                            ;   in Loop: Header=BB250_52 Depth=1
	v_bfe_u32 v15, v16, 24, 3
	v_ffbh_u32_e32 v21, v15
	v_bfe_u32 v16, v16, 27, 4
	v_min_u32_e32 v21, 32, v21
	v_subrev_u32_e32 v32, 28, v21
	v_sub_u32_e32 v21, 29, v21
	v_cmp_eq_u32_e64 s[0:1], 0, v16
	v_lshlrev_b64 v[32:33], v32, v[8:9]
	v_and_b32_e32 v32, 7, v32
	v_cndmask_b32_e64 v16, v16, v21, s[0:1]
	v_lshlrev_b32_e32 v8, 8, v8
	v_lshl_add_u32 v16, v16, 10, v27
	v_cndmask_b32_e64 v15, v15, v32, s[0:1]
	v_and_or_b32 v8, v8, s40, v16
	v_lshl_or_b32 v8, v15, 7, v8
	v_cvt_f32_f16_e32 v21, v8
.LBB250_104:                            ;   in Loop: Header=BB250_52 Depth=1
	s_or_b64 exec, exec, s[26:27]
	v_cmp_gt_i16_sdwa s[24:25], v17, s38 src0_sel:BYTE_0 src1_sel:DWORD
	s_mov_b64 s[0:1], 0
                                        ; implicit-def: $sgpr28
	s_and_saveexec_b64 s[26:27], s[24:25]
	s_xor_b64 s[24:25], exec, s[26:27]
	s_cbranch_execnz .LBB250_170
; %bb.105:                              ;   in Loop: Header=BB250_52 Depth=1
	s_or_saveexec_b64 s[24:25], s[24:25]
	v_mov_b32_e32 v15, s28
	s_xor_b64 exec, exec, s[24:25]
	s_cbranch_execnz .LBB250_173
.LBB250_106:                            ;   in Loop: Header=BB250_52 Depth=1
	s_or_b64 exec, exec, s[24:25]
	v_mov_b32_e32 v8, v17
	s_and_saveexec_b64 s[24:25], s[0:1]
	s_cbranch_execz .LBB250_108
.LBB250_107:                            ;   in Loop: Header=BB250_52 Depth=1
	v_and_b32_e32 v15, 7, v17
	v_ffbh_u32_e32 v15, v15
	v_bfe_u32 v16, v17, 3, 4
	v_min_u32_e32 v15, 32, v15
	v_subrev_u32_e32 v32, 28, v15
	v_sub_u32_e32 v15, 29, v15
	v_cmp_eq_u32_e64 s[0:1], 0, v16
	s_nop 1
	v_cndmask_b32_e64 v15, v16, v15, s[0:1]
	v_cndmask_b32_e64 v16, 0, v32, s[0:1]
	v_lshlrev_b64 v[32:33], v16, v[8:9]
	v_lshlrev_b32_e32 v16, 7, v32
	v_lshlrev_b32_e32 v32, 8, v17
	v_lshl_add_u32 v15, v15, 10, v27
	v_and_or_b32 v15, v32, s40, v15
	v_and_or_b32 v15, v16, s41, v15
	v_cvt_f32_f16_e32 v15, v15
.LBB250_108:                            ;   in Loop: Header=BB250_52 Depth=1
	s_or_b64 exec, exec, s[24:25]
	v_lshrrev_b16_e32 v8, 8, v8
	v_cmp_lt_i16_e64 s[0:1], s38, v8
	s_mov_b64 s[24:25], 0
                                        ; implicit-def: $sgpr46
	s_and_saveexec_b64 s[26:27], s[0:1]
	s_xor_b64 s[26:27], exec, s[26:27]
	s_cbranch_execnz .LBB250_174
; %bb.109:                              ;   in Loop: Header=BB250_52 Depth=1
	s_or_saveexec_b64 s[26:27], s[26:27]
	v_mov_b32_e32 v16, s46
	s_xor_b64 exec, exec, s[26:27]
	s_cbranch_execnz .LBB250_177
.LBB250_110:                            ;   in Loop: Header=BB250_52 Depth=1
	s_or_b64 exec, exec, s[26:27]
	s_and_saveexec_b64 s[26:27], s[24:25]
	s_cbranch_execz .LBB250_112
.LBB250_111:                            ;   in Loop: Header=BB250_52 Depth=1
	v_and_b32_e32 v16, 7, v8
	v_ffbh_u32_e32 v32, v16
	v_min_u32_e32 v35, 32, v32
	v_subrev_u32_e32 v32, 28, v35
	v_bfe_u32 v34, v8, 3, 4
	v_lshlrev_b64 v[32:33], v32, v[8:9]
	v_sub_u32_e32 v33, 29, v35
	v_cmp_eq_u32_e64 s[0:1], 0, v34
	v_and_b32_e32 v32, 7, v32
	v_lshlrev_b32_e32 v8, 8, v8
	v_cndmask_b32_e64 v33, v34, v33, s[0:1]
	v_cndmask_b32_e64 v16, v16, v32, s[0:1]
	v_lshl_add_u32 v32, v33, 10, v27
	v_and_or_b32 v8, v8, s40, v32
	v_lshl_or_b32 v8, v16, 7, v8
	v_cvt_f32_f16_e32 v16, v8
.LBB250_112:                            ;   in Loop: Header=BB250_52 Depth=1
	s_or_b64 exec, exec, s[26:27]
	v_lshrrev_b32_e32 v8, 16, v17
	v_cmp_gt_i16_sdwa s[24:25], v8, s38 src0_sel:BYTE_0 src1_sel:DWORD
	s_mov_b64 s[0:1], 0
                                        ; implicit-def: $sgpr28
	s_and_saveexec_b64 s[26:27], s[24:25]
	s_xor_b64 s[24:25], exec, s[26:27]
	s_cbranch_execnz .LBB250_178
; %bb.113:                              ;   in Loop: Header=BB250_52 Depth=1
	s_or_saveexec_b64 s[24:25], s[24:25]
	v_mov_b32_e32 v32, s28
	s_xor_b64 exec, exec, s[24:25]
	s_cbranch_execnz .LBB250_181
.LBB250_114:                            ;   in Loop: Header=BB250_52 Depth=1
	s_or_b64 exec, exec, s[24:25]
	s_and_saveexec_b64 s[24:25], s[0:1]
	s_cbranch_execz .LBB250_116
.LBB250_115:                            ;   in Loop: Header=BB250_52 Depth=1
	v_bfe_u32 v34, v17, 16, 3
	v_ffbh_u32_e32 v32, v34
	v_min_u32_e32 v36, 32, v32
	v_subrev_u32_e32 v32, 28, v36
	v_bfe_u32 v35, v17, 19, 4
	v_lshlrev_b64 v[32:33], v32, v[8:9]
	v_sub_u32_e32 v33, 29, v36
	v_cmp_eq_u32_e64 s[0:1], 0, v35
	v_and_b32_e32 v32, 7, v32
	v_lshlrev_b32_e32 v8, 8, v8
	v_cndmask_b32_e64 v33, v35, v33, s[0:1]
	v_lshl_add_u32 v33, v33, 10, v27
	v_cndmask_b32_e64 v32, v34, v32, s[0:1]
	v_and_or_b32 v8, v8, s40, v33
	v_lshl_or_b32 v8, v32, 7, v8
	v_cvt_f32_f16_e32 v32, v8
.LBB250_116:                            ;   in Loop: Header=BB250_52 Depth=1
	s_or_b64 exec, exec, s[24:25]
	v_lshrrev_b32_e32 v8, 24, v17
	v_cmp_lt_i16_e64 s[0:1], s38, v8
	s_mov_b64 s[24:25], 0
                                        ; implicit-def: $sgpr46
	s_and_saveexec_b64 s[26:27], s[0:1]
	s_xor_b64 s[26:27], exec, s[26:27]
	s_cbranch_execnz .LBB250_182
; %bb.117:                              ;   in Loop: Header=BB250_52 Depth=1
	s_or_saveexec_b64 s[26:27], s[26:27]
	v_mov_b32_e32 v33, s46
	s_xor_b64 exec, exec, s[26:27]
	s_cbranch_execnz .LBB250_185
.LBB250_118:                            ;   in Loop: Header=BB250_52 Depth=1
	s_or_b64 exec, exec, s[26:27]
	s_and_saveexec_b64 s[26:27], s[24:25]
	s_cbranch_execz .LBB250_120
.LBB250_119:                            ;   in Loop: Header=BB250_52 Depth=1
	v_bfe_u32 v33, v17, 24, 3
	v_ffbh_u32_e32 v34, v33
	v_min_u32_e32 v36, 32, v34
	v_subrev_u32_e32 v34, 28, v36
	v_bfe_u32 v17, v17, 27, 4
	v_lshlrev_b64 v[34:35], v34, v[8:9]
	v_sub_u32_e32 v35, 29, v36
	v_cmp_eq_u32_e64 s[0:1], 0, v17
	v_and_b32_e32 v34, 7, v34
	v_lshlrev_b32_e32 v8, 8, v8
	v_cndmask_b32_e64 v17, v17, v35, s[0:1]
	v_lshl_add_u32 v17, v17, 10, v27
	v_cndmask_b32_e64 v33, v33, v34, s[0:1]
	v_and_or_b32 v8, v8, s40, v17
	v_lshl_or_b32 v8, v33, 7, v8
	v_cvt_f32_f16_e32 v33, v8
.LBB250_120:                            ;   in Loop: Header=BB250_52 Depth=1
	s_or_b64 exec, exec, s[26:27]
	s_waitcnt vmcnt(0)
	v_pk_mul_f32 v[20:21], v[14:15], v[20:21] op_sel_hi:[0,1]
	v_pk_mul_f32 v[18:19], v[14:15], v[18:19] op_sel_hi:[0,1]
	v_cvt_f16_f32_e32 v8, v21
	v_cvt_f16_f32_e32 v17, v20
	;; [unrolled: 1-line block ×4, first 2 shown]
	v_fma_mixlo_f16 v16, v14, v16, 0
	v_lshlrev_b32_e32 v16, 16, v16
	v_fma_mixlo_f16 v15, v14, v15, 0
	v_or_b32_sdwa v15, v16, v15 dst_sel:DWORD dst_unused:UNUSED_PAD src0_sel:DWORD src1_sel:WORD_0
	v_fma_mixlo_f16 v16, v14, v32, 0
	v_fma_mixlo_f16 v14, v14, v33, 0
	v_pack_b32_f16 v17, v17, v8
	v_pack_b32_f16 v18, v18, v19
	v_lshlrev_b32_e32 v14, 16, v14
	v_perm_b32 v8, v18, v17, s42
	v_perm_b32 v17, v18, v17, s43
	v_or_b32_sdwa v14, v14, v16 dst_sel:DWORD dst_unused:UNUSED_PAD src0_sel:DWORD src1_sel:WORD_0
	s_and_saveexec_b64 s[24:25], s[2:3]
	s_cbranch_execz .LBB250_49
; %bb.121:                              ;   in Loop: Header=BB250_52 Depth=1
	v_add_u32_e32 v18, 1, v1
	v_lshrrev_b32_e32 v19, 16, v17
	v_cmp_gt_i32_e64 s[0:1], s36, v18
	v_lshrrev_b32_e32 v20, 16, v8
	v_lshrrev_b32_e32 v14, 16, v14
	v_cndmask_b32_e64 v18, 0, v19, s[0:1]
	v_cmp_gt_i32_e64 s[0:1], s33, v1
	v_or_b32_e32 v19, 2, v1
	s_nop 0
	v_cndmask_b32_e64 v17, 0, v17, s[0:1]
	v_perm_b32 v17, v18, v17, s45
	v_or_b32_e32 v18, 3, v1
	v_cmp_gt_i32_e64 s[0:1], s36, v18
	s_nop 1
	v_cndmask_b32_e64 v18, 0, v20, s[0:1]
	v_cmp_gt_i32_e64 s[0:1], s33, v19
	v_or_b32_e32 v19, 4, v1
	v_lshrrev_b32_e32 v20, 16, v15
	v_cndmask_b32_e64 v8, 0, v8, s[0:1]
	v_perm_b32 v8, v18, v8, s45
	v_or_b32_e32 v18, 5, v1
	v_cmp_gt_i32_e64 s[0:1], s36, v18
	s_nop 1
	v_cndmask_b32_e64 v18, 0, v20, s[0:1]
	v_cmp_gt_i32_e64 s[0:1], s33, v19
	v_or_b32_e32 v19, 6, v1
	s_nop 0
	v_cndmask_b32_e64 v15, 0, v15, s[0:1]
	v_perm_b32 v15, v18, v15, s45
	v_or_b32_e32 v18, 7, v1
	v_cmp_gt_i32_e64 s[0:1], s36, v18
	s_nop 1
	v_cndmask_b32_e64 v14, 0, v14, s[0:1]
	v_cmp_gt_i32_e64 s[0:1], s33, v19
	s_nop 1
	v_cndmask_b32_e64 v16, 0, v16, s[0:1]
	v_perm_b32 v14, v14, v16, s45
	s_branch .LBB250_49
.LBB250_122:                            ;   in Loop: Header=BB250_52 Depth=1
	v_cmp_eq_u16_sdwa s[26:27], v18, s39 src0_sel:BYTE_0 src1_sel:DWORD
	s_mov_b64 s[0:1], -1
                                        ; implicit-def: $sgpr24
	s_and_saveexec_b64 s[22:23], s[26:27]
; %bb.123:                              ;   in Loop: Header=BB250_52 Depth=1
	s_mov_b32 s24, 0x7fc02000
	s_xor_b64 s[0:1], exec, -1
; %bb.124:                              ;   in Loop: Header=BB250_52 Depth=1
	s_or_b64 exec, exec, s[22:23]
	s_and_b64 s[0:1], s[0:1], exec
	s_or_saveexec_b64 s[2:3], s[2:3]
	v_mov_b32_e32 v20, s24
	s_xor_b64 exec, exec, s[2:3]
	s_cbranch_execz .LBB250_55
.LBB250_125:                            ;   in Loop: Header=BB250_52 Depth=1
	v_cmp_ne_u16_sdwa s[22:23], v18, v9 src0_sel:BYTE_0 src1_sel:DWORD
	s_andn2_b64 s[0:1], s[0:1], exec
	s_and_b64 s[22:23], s[22:23], exec
	v_mov_b32_e32 v20, 0
	s_or_b64 s[0:1], s[0:1], s[22:23]
	s_or_b64 exec, exec, s[2:3]
	s_and_saveexec_b64 s[2:3], s[0:1]
	s_cbranch_execnz .LBB250_56
	s_branch .LBB250_57
.LBB250_126:                            ;   in Loop: Header=BB250_52 Depth=1
	v_cmp_eq_u16_e64 s[0:1], s39, v8
	s_mov_b64 s[2:3], -1
                                        ; implicit-def: $sgpr26
	s_and_saveexec_b64 s[24:25], s[0:1]
; %bb.127:                              ;   in Loop: Header=BB250_52 Depth=1
	s_mov_b32 s26, 0x7fc02000
	s_xor_b64 s[2:3], exec, -1
; %bb.128:                              ;   in Loop: Header=BB250_52 Depth=1
	s_or_b64 exec, exec, s[24:25]
	s_and_b64 s[2:3], s[2:3], exec
	s_or_saveexec_b64 s[22:23], s[22:23]
	v_mov_b32_e32 v22, s26
	s_xor_b64 exec, exec, s[22:23]
	s_cbranch_execz .LBB250_59
.LBB250_129:                            ;   in Loop: Header=BB250_52 Depth=1
	v_cmp_ne_u16_e64 s[0:1], 0, v8
	s_andn2_b64 s[2:3], s[2:3], exec
	s_and_b64 s[0:1], s[0:1], exec
	v_mov_b32_e32 v22, 0
	s_or_b64 s[2:3], s[2:3], s[0:1]
	s_or_b64 exec, exec, s[22:23]
	s_and_saveexec_b64 s[22:23], s[2:3]
	s_cbranch_execnz .LBB250_60
	s_branch .LBB250_61
.LBB250_130:                            ;   in Loop: Header=BB250_52 Depth=1
	v_cmp_eq_u16_sdwa s[26:27], v8, s39 src0_sel:BYTE_0 src1_sel:DWORD
	s_mov_b64 s[0:1], -1
                                        ; implicit-def: $sgpr24
	s_and_saveexec_b64 s[22:23], s[26:27]
; %bb.131:                              ;   in Loop: Header=BB250_52 Depth=1
	s_mov_b32 s24, 0x7fc02000
	s_xor_b64 s[0:1], exec, -1
; %bb.132:                              ;   in Loop: Header=BB250_52 Depth=1
	s_or_b64 exec, exec, s[22:23]
	s_and_b64 s[0:1], s[0:1], exec
	s_or_saveexec_b64 s[2:3], s[2:3]
	v_mov_b32_e32 v21, s24
	s_xor_b64 exec, exec, s[2:3]
	s_cbranch_execz .LBB250_63
.LBB250_133:                            ;   in Loop: Header=BB250_52 Depth=1
	v_cmp_ne_u16_sdwa s[22:23], v8, v9 src0_sel:BYTE_0 src1_sel:DWORD
	s_andn2_b64 s[0:1], s[0:1], exec
	s_and_b64 s[22:23], s[22:23], exec
	v_mov_b32_e32 v21, 0
	s_or_b64 s[0:1], s[0:1], s[22:23]
	s_or_b64 exec, exec, s[2:3]
	s_and_saveexec_b64 s[2:3], s[0:1]
	s_cbranch_execnz .LBB250_64
	s_branch .LBB250_65
.LBB250_134:                            ;   in Loop: Header=BB250_52 Depth=1
	v_cmp_eq_u16_e64 s[0:1], s39, v8
	s_mov_b64 s[2:3], -1
                                        ; implicit-def: $sgpr26
	s_and_saveexec_b64 s[24:25], s[0:1]
; %bb.135:                              ;   in Loop: Header=BB250_52 Depth=1
	s_mov_b32 s26, 0x7fc02000
	s_xor_b64 s[2:3], exec, -1
; %bb.136:                              ;   in Loop: Header=BB250_52 Depth=1
	s_or_b64 exec, exec, s[24:25]
	s_and_b64 s[2:3], s[2:3], exec
	s_or_saveexec_b64 s[22:23], s[22:23]
	v_mov_b32_e32 v23, s26
	s_xor_b64 exec, exec, s[22:23]
	s_cbranch_execz .LBB250_67
.LBB250_137:                            ;   in Loop: Header=BB250_52 Depth=1
	v_cmp_ne_u16_e64 s[0:1], 0, v8
	s_andn2_b64 s[2:3], s[2:3], exec
	s_and_b64 s[0:1], s[0:1], exec
	v_mov_b32_e32 v23, 0
	s_or_b64 s[2:3], s[2:3], s[0:1]
	s_or_b64 exec, exec, s[22:23]
	s_and_saveexec_b64 s[22:23], s[2:3]
	s_cbranch_execnz .LBB250_68
	s_branch .LBB250_69
.LBB250_138:                            ;   in Loop: Header=BB250_52 Depth=1
	v_cmp_eq_u16_sdwa s[26:27], v19, s39 src0_sel:BYTE_0 src1_sel:DWORD
	s_mov_b64 s[0:1], -1
                                        ; implicit-def: $sgpr24
	s_and_saveexec_b64 s[22:23], s[26:27]
; %bb.139:                              ;   in Loop: Header=BB250_52 Depth=1
	s_mov_b32 s24, 0x7fc02000
	s_xor_b64 s[0:1], exec, -1
; %bb.140:                              ;   in Loop: Header=BB250_52 Depth=1
	s_or_b64 exec, exec, s[22:23]
	s_and_b64 s[0:1], s[0:1], exec
	s_or_saveexec_b64 s[2:3], s[2:3]
	v_mov_b32_e32 v18, s24
	s_xor_b64 exec, exec, s[2:3]
	s_cbranch_execz .LBB250_71
.LBB250_141:                            ;   in Loop: Header=BB250_52 Depth=1
	v_cmp_ne_u16_sdwa s[22:23], v19, v9 src0_sel:BYTE_0 src1_sel:DWORD
	s_andn2_b64 s[0:1], s[0:1], exec
	s_and_b64 s[22:23], s[22:23], exec
	v_mov_b32_e32 v18, 0
	s_or_b64 s[0:1], s[0:1], s[22:23]
	s_or_b64 exec, exec, s[2:3]
	v_mov_b32_e32 v8, v19
	s_and_saveexec_b64 s[2:3], s[0:1]
	s_cbranch_execnz .LBB250_72
	s_branch .LBB250_73
.LBB250_142:                            ;   in Loop: Header=BB250_52 Depth=1
	v_cmp_eq_u16_e64 s[0:1], s39, v8
	s_mov_b64 s[2:3], -1
                                        ; implicit-def: $sgpr26
	s_and_saveexec_b64 s[24:25], s[0:1]
; %bb.143:                              ;   in Loop: Header=BB250_52 Depth=1
	s_mov_b32 s26, 0x7fc02000
	s_xor_b64 s[2:3], exec, -1
; %bb.144:                              ;   in Loop: Header=BB250_52 Depth=1
	s_or_b64 exec, exec, s[24:25]
	s_and_b64 s[2:3], s[2:3], exec
	s_or_saveexec_b64 s[22:23], s[22:23]
	v_mov_b32_e32 v31, s26
	s_xor_b64 exec, exec, s[22:23]
	s_cbranch_execz .LBB250_75
.LBB250_145:                            ;   in Loop: Header=BB250_52 Depth=1
	v_cmp_ne_u16_e64 s[0:1], 0, v8
	s_andn2_b64 s[2:3], s[2:3], exec
	s_and_b64 s[0:1], s[0:1], exec
	v_mov_b32_e32 v31, 0
	s_or_b64 s[2:3], s[2:3], s[0:1]
	s_or_b64 exec, exec, s[22:23]
	s_and_saveexec_b64 s[22:23], s[2:3]
	s_cbranch_execnz .LBB250_76
	s_branch .LBB250_77
.LBB250_146:                            ;   in Loop: Header=BB250_52 Depth=1
	v_cmp_eq_u16_sdwa s[26:27], v8, s39 src0_sel:BYTE_0 src1_sel:DWORD
	s_mov_b64 s[0:1], -1
                                        ; implicit-def: $sgpr24
	s_and_saveexec_b64 s[22:23], s[26:27]
; %bb.147:                              ;   in Loop: Header=BB250_52 Depth=1
	s_mov_b32 s24, 0x7fc02000
	s_xor_b64 s[0:1], exec, -1
; %bb.148:                              ;   in Loop: Header=BB250_52 Depth=1
	s_or_b64 exec, exec, s[22:23]
	s_and_b64 s[0:1], s[0:1], exec
	s_or_saveexec_b64 s[2:3], s[2:3]
	v_mov_b32_e32 v36, s24
	s_xor_b64 exec, exec, s[2:3]
	s_cbranch_execz .LBB250_79
.LBB250_149:                            ;   in Loop: Header=BB250_52 Depth=1
	v_cmp_ne_u16_sdwa s[22:23], v8, v9 src0_sel:BYTE_0 src1_sel:DWORD
	s_andn2_b64 s[0:1], s[0:1], exec
	s_and_b64 s[22:23], s[22:23], exec
	v_mov_b32_e32 v36, 0
	s_or_b64 s[0:1], s[0:1], s[22:23]
	s_or_b64 exec, exec, s[2:3]
	s_and_saveexec_b64 s[2:3], s[0:1]
	s_cbranch_execnz .LBB250_80
	s_branch .LBB250_81
.LBB250_150:                            ;   in Loop: Header=BB250_52 Depth=1
	v_cmp_eq_u16_e64 s[0:1], s39, v8
	s_mov_b64 s[2:3], -1
                                        ; implicit-def: $sgpr26
	s_and_saveexec_b64 s[24:25], s[0:1]
; %bb.151:                              ;   in Loop: Header=BB250_52 Depth=1
	s_mov_b32 s26, 0x7fc02000
	s_xor_b64 s[2:3], exec, -1
; %bb.152:                              ;   in Loop: Header=BB250_52 Depth=1
	s_or_b64 exec, exec, s[24:25]
	s_and_b64 s[2:3], s[2:3], exec
	s_or_saveexec_b64 s[22:23], s[22:23]
	v_mov_b32_e32 v37, s26
	s_xor_b64 exec, exec, s[22:23]
	s_cbranch_execz .LBB250_83
.LBB250_153:                            ;   in Loop: Header=BB250_52 Depth=1
	v_cmp_ne_u16_e64 s[0:1], 0, v8
	s_andn2_b64 s[2:3], s[2:3], exec
	s_and_b64 s[0:1], s[0:1], exec
	v_mov_b32_e32 v37, 0
	s_or_b64 s[2:3], s[2:3], s[0:1]
	s_or_b64 exec, exec, s[22:23]
	s_and_saveexec_b64 s[22:23], s[2:3]
	s_cbranch_execnz .LBB250_84
	s_branch .LBB250_85
.LBB250_154:                            ;   in Loop: Header=BB250_52 Depth=1
	v_cmp_eq_u16_sdwa s[46:47], v16, s39 src0_sel:BYTE_0 src1_sel:DWORD
	s_mov_b64 s[0:1], -1
                                        ; implicit-def: $sgpr28
	s_and_saveexec_b64 s[26:27], s[46:47]
; %bb.155:                              ;   in Loop: Header=BB250_52 Depth=1
	s_mov_b32 s28, 0x7fc02000
	s_xor_b64 s[0:1], exec, -1
; %bb.156:                              ;   in Loop: Header=BB250_52 Depth=1
	s_or_b64 exec, exec, s[26:27]
	s_and_b64 s[0:1], s[0:1], exec
	s_or_saveexec_b64 s[24:25], s[24:25]
	v_mov_b32_e32 v18, s28
	s_xor_b64 exec, exec, s[24:25]
	s_cbranch_execz .LBB250_90
.LBB250_157:                            ;   in Loop: Header=BB250_52 Depth=1
	v_cmp_ne_u16_sdwa s[26:27], v16, v9 src0_sel:BYTE_0 src1_sel:DWORD
	s_andn2_b64 s[0:1], s[0:1], exec
	s_and_b64 s[26:27], s[26:27], exec
	v_mov_b32_e32 v18, 0
	s_or_b64 s[0:1], s[0:1], s[26:27]
	s_or_b64 exec, exec, s[24:25]
	s_and_saveexec_b64 s[24:25], s[0:1]
	s_cbranch_execnz .LBB250_91
	s_branch .LBB250_92
.LBB250_158:                            ;   in Loop: Header=BB250_52 Depth=1
	v_cmp_eq_u16_e64 s[0:1], s39, v8
	s_mov_b64 s[24:25], -1
                                        ; implicit-def: $sgpr46
	s_and_saveexec_b64 s[28:29], s[0:1]
; %bb.159:                              ;   in Loop: Header=BB250_52 Depth=1
	s_mov_b32 s46, 0x7fc02000
	s_xor_b64 s[24:25], exec, -1
; %bb.160:                              ;   in Loop: Header=BB250_52 Depth=1
	s_or_b64 exec, exec, s[28:29]
	s_and_b64 s[24:25], s[24:25], exec
	s_or_saveexec_b64 s[26:27], s[26:27]
	v_mov_b32_e32 v20, s46
	s_xor_b64 exec, exec, s[26:27]
	s_cbranch_execz .LBB250_94
.LBB250_161:                            ;   in Loop: Header=BB250_52 Depth=1
	v_cmp_ne_u16_e64 s[0:1], 0, v8
	s_andn2_b64 s[24:25], s[24:25], exec
	s_and_b64 s[0:1], s[0:1], exec
	v_mov_b32_e32 v20, 0
	s_or_b64 s[24:25], s[24:25], s[0:1]
	s_or_b64 exec, exec, s[26:27]
	s_and_saveexec_b64 s[26:27], s[24:25]
	s_cbranch_execnz .LBB250_95
	s_branch .LBB250_96
.LBB250_162:                            ;   in Loop: Header=BB250_52 Depth=1
	v_cmp_eq_u16_sdwa s[46:47], v8, s39 src0_sel:BYTE_0 src1_sel:DWORD
	s_mov_b64 s[0:1], -1
                                        ; implicit-def: $sgpr28
	s_and_saveexec_b64 s[26:27], s[46:47]
; %bb.163:                              ;   in Loop: Header=BB250_52 Depth=1
	s_mov_b32 s28, 0x7fc02000
	s_xor_b64 s[0:1], exec, -1
; %bb.164:                              ;   in Loop: Header=BB250_52 Depth=1
	s_or_b64 exec, exec, s[26:27]
	s_and_b64 s[0:1], s[0:1], exec
	s_or_saveexec_b64 s[24:25], s[24:25]
	v_mov_b32_e32 v19, s28
	s_xor_b64 exec, exec, s[24:25]
	s_cbranch_execz .LBB250_98
.LBB250_165:                            ;   in Loop: Header=BB250_52 Depth=1
	v_cmp_ne_u16_sdwa s[26:27], v8, v9 src0_sel:BYTE_0 src1_sel:DWORD
	s_andn2_b64 s[0:1], s[0:1], exec
	s_and_b64 s[26:27], s[26:27], exec
	v_mov_b32_e32 v19, 0
	s_or_b64 s[0:1], s[0:1], s[26:27]
	s_or_b64 exec, exec, s[24:25]
	s_and_saveexec_b64 s[24:25], s[0:1]
	s_cbranch_execnz .LBB250_99
	s_branch .LBB250_100
.LBB250_166:                            ;   in Loop: Header=BB250_52 Depth=1
	v_cmp_eq_u16_e64 s[0:1], s39, v8
	s_mov_b64 s[24:25], -1
                                        ; implicit-def: $sgpr46
	s_and_saveexec_b64 s[28:29], s[0:1]
; %bb.167:                              ;   in Loop: Header=BB250_52 Depth=1
	s_mov_b32 s46, 0x7fc02000
	s_xor_b64 s[24:25], exec, -1
; %bb.168:                              ;   in Loop: Header=BB250_52 Depth=1
	s_or_b64 exec, exec, s[28:29]
	s_and_b64 s[24:25], s[24:25], exec
	s_or_saveexec_b64 s[26:27], s[26:27]
	v_mov_b32_e32 v21, s46
	s_xor_b64 exec, exec, s[26:27]
	s_cbranch_execz .LBB250_102
.LBB250_169:                            ;   in Loop: Header=BB250_52 Depth=1
	v_cmp_ne_u16_e64 s[0:1], 0, v8
	s_andn2_b64 s[24:25], s[24:25], exec
	s_and_b64 s[0:1], s[0:1], exec
	v_mov_b32_e32 v21, 0
	s_or_b64 s[24:25], s[24:25], s[0:1]
	s_or_b64 exec, exec, s[26:27]
	s_and_saveexec_b64 s[26:27], s[24:25]
	s_cbranch_execnz .LBB250_103
	s_branch .LBB250_104
.LBB250_170:                            ;   in Loop: Header=BB250_52 Depth=1
	v_cmp_eq_u16_sdwa s[46:47], v17, s39 src0_sel:BYTE_0 src1_sel:DWORD
	s_mov_b64 s[0:1], -1
                                        ; implicit-def: $sgpr28
	s_and_saveexec_b64 s[26:27], s[46:47]
; %bb.171:                              ;   in Loop: Header=BB250_52 Depth=1
	s_mov_b32 s28, 0x7fc02000
	s_xor_b64 s[0:1], exec, -1
; %bb.172:                              ;   in Loop: Header=BB250_52 Depth=1
	s_or_b64 exec, exec, s[26:27]
	s_and_b64 s[0:1], s[0:1], exec
	s_or_saveexec_b64 s[24:25], s[24:25]
	v_mov_b32_e32 v15, s28
	s_xor_b64 exec, exec, s[24:25]
	s_cbranch_execz .LBB250_106
.LBB250_173:                            ;   in Loop: Header=BB250_52 Depth=1
	v_cmp_ne_u16_sdwa s[26:27], v17, v9 src0_sel:BYTE_0 src1_sel:DWORD
	s_andn2_b64 s[0:1], s[0:1], exec
	s_and_b64 s[26:27], s[26:27], exec
	v_mov_b32_e32 v15, 0
	s_or_b64 s[0:1], s[0:1], s[26:27]
	s_or_b64 exec, exec, s[24:25]
	v_mov_b32_e32 v8, v17
	s_and_saveexec_b64 s[24:25], s[0:1]
	s_cbranch_execnz .LBB250_107
	s_branch .LBB250_108
.LBB250_174:                            ;   in Loop: Header=BB250_52 Depth=1
	v_cmp_eq_u16_e64 s[0:1], s39, v8
	s_mov_b64 s[24:25], -1
                                        ; implicit-def: $sgpr46
	s_and_saveexec_b64 s[28:29], s[0:1]
; %bb.175:                              ;   in Loop: Header=BB250_52 Depth=1
	s_mov_b32 s46, 0x7fc02000
	s_xor_b64 s[24:25], exec, -1
; %bb.176:                              ;   in Loop: Header=BB250_52 Depth=1
	s_or_b64 exec, exec, s[28:29]
	s_and_b64 s[24:25], s[24:25], exec
	s_or_saveexec_b64 s[26:27], s[26:27]
	v_mov_b32_e32 v16, s46
	s_xor_b64 exec, exec, s[26:27]
	s_cbranch_execz .LBB250_110
.LBB250_177:                            ;   in Loop: Header=BB250_52 Depth=1
	v_cmp_ne_u16_e64 s[0:1], 0, v8
	s_andn2_b64 s[24:25], s[24:25], exec
	s_and_b64 s[0:1], s[0:1], exec
	v_mov_b32_e32 v16, 0
	s_or_b64 s[24:25], s[24:25], s[0:1]
	s_or_b64 exec, exec, s[26:27]
	s_and_saveexec_b64 s[26:27], s[24:25]
	s_cbranch_execnz .LBB250_111
	s_branch .LBB250_112
.LBB250_178:                            ;   in Loop: Header=BB250_52 Depth=1
	v_cmp_eq_u16_sdwa s[46:47], v8, s39 src0_sel:BYTE_0 src1_sel:DWORD
	s_mov_b64 s[0:1], -1
                                        ; implicit-def: $sgpr28
	s_and_saveexec_b64 s[26:27], s[46:47]
; %bb.179:                              ;   in Loop: Header=BB250_52 Depth=1
	s_mov_b32 s28, 0x7fc02000
	s_xor_b64 s[0:1], exec, -1
; %bb.180:                              ;   in Loop: Header=BB250_52 Depth=1
	s_or_b64 exec, exec, s[26:27]
	s_and_b64 s[0:1], s[0:1], exec
	s_or_saveexec_b64 s[24:25], s[24:25]
	v_mov_b32_e32 v32, s28
	s_xor_b64 exec, exec, s[24:25]
	s_cbranch_execz .LBB250_114
.LBB250_181:                            ;   in Loop: Header=BB250_52 Depth=1
	v_cmp_ne_u16_sdwa s[26:27], v8, v9 src0_sel:BYTE_0 src1_sel:DWORD
	s_andn2_b64 s[0:1], s[0:1], exec
	s_and_b64 s[26:27], s[26:27], exec
	v_mov_b32_e32 v32, 0
	s_or_b64 s[0:1], s[0:1], s[26:27]
	s_or_b64 exec, exec, s[24:25]
	s_and_saveexec_b64 s[24:25], s[0:1]
	s_cbranch_execnz .LBB250_115
	s_branch .LBB250_116
.LBB250_182:                            ;   in Loop: Header=BB250_52 Depth=1
	v_cmp_eq_u16_e64 s[0:1], s39, v8
	s_mov_b64 s[24:25], -1
                                        ; implicit-def: $sgpr46
	s_and_saveexec_b64 s[28:29], s[0:1]
; %bb.183:                              ;   in Loop: Header=BB250_52 Depth=1
	s_mov_b32 s46, 0x7fc02000
	s_xor_b64 s[24:25], exec, -1
; %bb.184:                              ;   in Loop: Header=BB250_52 Depth=1
	s_or_b64 exec, exec, s[28:29]
	s_and_b64 s[24:25], s[24:25], exec
	s_or_saveexec_b64 s[26:27], s[26:27]
	v_mov_b32_e32 v33, s46
	s_xor_b64 exec, exec, s[26:27]
	s_cbranch_execz .LBB250_118
.LBB250_185:                            ;   in Loop: Header=BB250_52 Depth=1
	v_cmp_ne_u16_e64 s[0:1], 0, v8
	s_andn2_b64 s[24:25], s[24:25], exec
	s_and_b64 s[0:1], s[0:1], exec
	v_mov_b32_e32 v33, 0
	s_or_b64 s[24:25], s[24:25], s[0:1]
	s_or_b64 exec, exec, s[26:27]
	s_and_saveexec_b64 s[26:27], s[24:25]
	s_cbranch_execnz .LBB250_119
	s_branch .LBB250_120
.LBB250_186:
	s_or_b64 exec, exec, s[16:17]
.LBB250_187:
	s_or_b64 exec, exec, s[12:13]
	v_and_b32_e32 v1, 0x3c0, v0
	v_cmp_eq_u32_e32 vcc, 64, v1
	s_barrier
	s_and_saveexec_b64 s[0:1], vcc
	s_cbranch_execz .LBB250_190
; %bb.188:
	v_mov_b32_e32 v1, 0x100
	v_lshl_add_u32 v3, v3, 2, v1
	ds_write_b32 v3, v25
	s_and_b64 exec, exec, s[10:11]
	s_cbranch_execz .LBB250_190
; %bb.189:
	v_lshl_add_u32 v1, v0, 2, v1
	ds_write_b32 v1, v24
.LBB250_190:
	s_or_b64 exec, exec, s[0:1]
	v_cmp_gt_u32_e32 vcc, 64, v0
	v_or_b32_e32 v1, 64, v0
	s_waitcnt lgkmcnt(0)
	s_barrier
	s_and_saveexec_b64 s[2:3], vcc
	s_cbranch_execz .LBB250_194
; %bb.191:
	v_mov_b32_e32 v3, 0x100
	v_lshl_add_u32 v3, v0, 2, v3
	ds_read_b32 v0, v3
	s_movk_i32 s0, 0x78
	v_cmp_gt_u32_e64 s[0:1], s0, v1
	s_and_saveexec_b64 s[6:7], s[0:1]
	s_cbranch_execz .LBB250_193
; %bb.192:
	ds_read_b32 v3, v3 offset:256
	s_waitcnt lgkmcnt(0)
	v_add_f32_e32 v24, v24, v3
.LBB250_193:
	s_or_b64 exec, exec, s[6:7]
	s_waitcnt lgkmcnt(0)
	v_add_f32_e32 v25, v25, v0
.LBB250_194:
	s_or_b64 exec, exec, s[2:3]
	s_barrier
	s_and_saveexec_b64 s[0:1], vcc
	s_cbranch_execz .LBB250_197
; %bb.195:
	s_mul_i32 s0, s8, 0x78
	s_ashr_i32 s1, s0, 31
	s_lshl_b64 s[0:1], s[0:1], 1
	s_add_u32 s3, s34, s0
	s_mul_i32 s0, s15, s14
	s_addc_u32 s5, s35, s1
	s_ashr_i32 s1, s0, 31
	s_lshl_b64 s[0:1], s[0:1], 1
	s_add_u32 s3, s3, s0
	s_mul_i32 s0, s4, 0x78
	s_addc_u32 s5, s5, s1
	s_ashr_i32 s1, s0, 31
	s_lshl_b64 s[0:1], s[0:1], 1
	s_movk_i32 s2, 0x78
	s_add_u32 s0, s3, s0
	s_addc_u32 s1, s5, s1
	v_cmp_gt_u32_e32 vcc, s2, v1
	;;#ASMSTART
	v_cvt_f16_f32 v0, v25;

	;;#ASMEND
	global_store_short v2, v0, s[0:1]
	s_and_b64 exec, exec, vcc
	s_cbranch_execz .LBB250_197
; %bb.196:
	v_mov_b32_e32 v3, 0
	v_lshl_add_u64 v[0:1], s[0:1], 0, v[2:3]
	;;#ASMSTART
	v_cvt_f16_f32 v2, v24;

	;;#ASMEND
	global_store_short v[0:1], v2, off offset:128
.LBB250_197:
	s_endpgm
	.section	.rodata,"a",@progbits
	.p2align	6, 0x0
	.amdhsa_kernel _ZN4vllm25paged_attention_v2_kernelIthLi120ELi8ELi128ELNS_18Fp8KVCacheDataTypeE1ELb1ELi512EEEvPfS2_PT_PKS3_PKT0_S9_ifPKiSB_iPKfiiiSD_SD_iiiii
		.amdhsa_group_segment_fixed_size 256
		.amdhsa_private_segment_fixed_size 0
		.amdhsa_kernarg_size 400
		.amdhsa_user_sgpr_count 2
		.amdhsa_user_sgpr_dispatch_ptr 0
		.amdhsa_user_sgpr_queue_ptr 0
		.amdhsa_user_sgpr_kernarg_segment_ptr 1
		.amdhsa_user_sgpr_dispatch_id 0
		.amdhsa_user_sgpr_kernarg_preload_length 0
		.amdhsa_user_sgpr_kernarg_preload_offset 0
		.amdhsa_user_sgpr_private_segment_size 0
		.amdhsa_uses_dynamic_stack 0
		.amdhsa_enable_private_segment 0
		.amdhsa_system_sgpr_workgroup_id_x 1
		.amdhsa_system_sgpr_workgroup_id_y 1
		.amdhsa_system_sgpr_workgroup_id_z 1
		.amdhsa_system_sgpr_workgroup_info 0
		.amdhsa_system_vgpr_workitem_id 0
		.amdhsa_next_free_vgpr 55
		.amdhsa_next_free_sgpr 58
		.amdhsa_accum_offset 56
		.amdhsa_reserve_vcc 1
		.amdhsa_float_round_mode_32 0
		.amdhsa_float_round_mode_16_64 0
		.amdhsa_float_denorm_mode_32 3
		.amdhsa_float_denorm_mode_16_64 3
		.amdhsa_dx10_clamp 1
		.amdhsa_ieee_mode 1
		.amdhsa_fp16_overflow 0
		.amdhsa_tg_split 0
		.amdhsa_exception_fp_ieee_invalid_op 0
		.amdhsa_exception_fp_denorm_src 0
		.amdhsa_exception_fp_ieee_div_zero 0
		.amdhsa_exception_fp_ieee_overflow 0
		.amdhsa_exception_fp_ieee_underflow 0
		.amdhsa_exception_fp_ieee_inexact 0
		.amdhsa_exception_int_div_zero 0
	.end_amdhsa_kernel
	.section	.text._ZN4vllm25paged_attention_v2_kernelIthLi120ELi8ELi128ELNS_18Fp8KVCacheDataTypeE1ELb1ELi512EEEvPfS2_PT_PKS3_PKT0_S9_ifPKiSB_iPKfiiiSD_SD_iiiii,"axG",@progbits,_ZN4vllm25paged_attention_v2_kernelIthLi120ELi8ELi128ELNS_18Fp8KVCacheDataTypeE1ELb1ELi512EEEvPfS2_PT_PKS3_PKT0_S9_ifPKiSB_iPKfiiiSD_SD_iiiii,comdat
.Lfunc_end250:
	.size	_ZN4vllm25paged_attention_v2_kernelIthLi120ELi8ELi128ELNS_18Fp8KVCacheDataTypeE1ELb1ELi512EEEvPfS2_PT_PKS3_PKT0_S9_ifPKiSB_iPKfiiiSD_SD_iiiii, .Lfunc_end250-_ZN4vllm25paged_attention_v2_kernelIthLi120ELi8ELi128ELNS_18Fp8KVCacheDataTypeE1ELb1ELi512EEEvPfS2_PT_PKS3_PKT0_S9_ifPKiSB_iPKfiiiSD_SD_iiiii
                                        ; -- End function
	.section	.AMDGPU.csdata,"",@progbits
; Kernel info:
; codeLenInByte = 10152
; NumSgprs: 64
; NumVgprs: 55
; NumAgprs: 0
; TotalNumVgprs: 55
; ScratchSize: 0
; MemoryBound: 0
; FloatMode: 240
; IeeeMode: 1
; LDSByteSize: 256 bytes/workgroup (compile time only)
; SGPRBlocks: 7
; VGPRBlocks: 6
; NumSGPRsForWavesPerEU: 64
; NumVGPRsForWavesPerEU: 55
; AccumOffset: 56
; Occupancy: 8
; WaveLimiterHint : 1
; COMPUTE_PGM_RSRC2:SCRATCH_EN: 0
; COMPUTE_PGM_RSRC2:USER_SGPR: 2
; COMPUTE_PGM_RSRC2:TRAP_HANDLER: 0
; COMPUTE_PGM_RSRC2:TGID_X_EN: 1
; COMPUTE_PGM_RSRC2:TGID_Y_EN: 1
; COMPUTE_PGM_RSRC2:TGID_Z_EN: 1
; COMPUTE_PGM_RSRC2:TIDIG_COMP_CNT: 0
; COMPUTE_PGM_RSRC3_GFX90A:ACCUM_OFFSET: 13
; COMPUTE_PGM_RSRC3_GFX90A:TG_SPLIT: 0
	.section	.text._ZN4vllm25paged_attention_v2_kernelIthLi128ELi8ELi128ELNS_18Fp8KVCacheDataTypeE1ELb1ELi512EEEvPfS2_PT_PKS3_PKT0_S9_ifPKiSB_iPKfiiiSD_SD_iiiii,"axG",@progbits,_ZN4vllm25paged_attention_v2_kernelIthLi128ELi8ELi128ELNS_18Fp8KVCacheDataTypeE1ELb1ELi512EEEvPfS2_PT_PKS3_PKT0_S9_ifPKiSB_iPKfiiiSD_SD_iiiii,comdat
	.protected	_ZN4vllm25paged_attention_v2_kernelIthLi128ELi8ELi128ELNS_18Fp8KVCacheDataTypeE1ELb1ELi512EEEvPfS2_PT_PKS3_PKT0_S9_ifPKiSB_iPKfiiiSD_SD_iiiii ; -- Begin function _ZN4vllm25paged_attention_v2_kernelIthLi128ELi8ELi128ELNS_18Fp8KVCacheDataTypeE1ELb1ELi512EEEvPfS2_PT_PKS3_PKT0_S9_ifPKiSB_iPKfiiiSD_SD_iiiii
	.globl	_ZN4vllm25paged_attention_v2_kernelIthLi128ELi8ELi128ELNS_18Fp8KVCacheDataTypeE1ELb1ELi512EEEvPfS2_PT_PKS3_PKT0_S9_ifPKiSB_iPKfiiiSD_SD_iiiii
	.p2align	8
	.type	_ZN4vllm25paged_attention_v2_kernelIthLi128ELi8ELi128ELNS_18Fp8KVCacheDataTypeE1ELb1ELi512EEEvPfS2_PT_PKS3_PKT0_S9_ifPKiSB_iPKfiiiSD_SD_iiiii,@function
_ZN4vllm25paged_attention_v2_kernelIthLi128ELi8ELi128ELNS_18Fp8KVCacheDataTypeE1ELb1ELi512EEEvPfS2_PT_PKS3_PKT0_S9_ifPKiSB_iPKfiiiSD_SD_iiiii: ; @_ZN4vllm25paged_attention_v2_kernelIthLi128ELi8ELi128ELNS_18Fp8KVCacheDataTypeE1ELb1ELi512EEEvPfS2_PT_PKS3_PKT0_S9_ifPKiSB_iPKfiiiSD_SD_iiiii
; %bb.0:
	s_load_dwordx2 s[6:7], s[0:1], 0x40
	s_mov_b32 s34, s3
	s_ashr_i32 s35, s3, 31
	s_lshl_b64 s[8:9], s[34:35], 2
	s_waitcnt lgkmcnt(0)
	s_add_u32 s6, s6, s8
	s_addc_u32 s7, s7, s9
	s_load_dword s33, s[6:7], 0x0
	s_lshl_b32 s51, s4, 9
	s_waitcnt lgkmcnt(0)
	s_cmp_ge_i32 s51, s33
	s_cbranch_scc1 .LBB251_191
; %bb.1:
	s_load_dword s5, s[0:1], 0x90
	s_load_dwordx2 s[42:43], s[0:1], 0x30
	s_waitcnt lgkmcnt(0)
	s_abs_i32 s7, s5
	s_abs_i32 s3, s42
	v_cvt_f32_u32_e32 v1, s3
	s_sub_i32 s8, 0, s3
	s_xor_b32 s6, s5, s42
	s_ashr_i32 s6, s6, 31
	v_rcp_iflag_f32_e32 v1, v1
	s_nop 0
	v_mul_f32_e32 v1, 0x4f7ffffe, v1
	v_cvt_u32_f32_e32 v1, v1
	s_nop 0
	v_readfirstlane_b32 s9, v1
	s_mul_i32 s8, s8, s9
	s_mul_hi_u32 s8, s9, s8
	s_add_i32 s9, s9, s8
	s_mul_hi_u32 s8, s7, s9
	s_mul_i32 s9, s8, s3
	s_sub_i32 s7, s7, s9
	s_add_i32 s10, s8, 1
	s_sub_i32 s9, s7, s3
	s_cmp_ge_u32 s7, s3
	s_cselect_b32 s8, s10, s8
	s_cselect_b32 s7, s9, s7
	s_add_i32 s9, s8, 1
	s_cmp_ge_u32 s7, s3
	s_cselect_b32 s3, s9, s8
	s_xor_b32 s3, s3, s6
	s_sub_i32 s12, s3, s6
	s_abs_i32 s8, s12
	v_cvt_f32_u32_e32 v1, s8
	s_load_dwordx2 s[6:7], s[0:1], 0x50
	s_sub_i32 s10, 0, s8
	s_abs_i32 s9, s2
	v_rcp_iflag_f32_e32 v1, v1
	s_mov_b32 s3, 0
	v_mul_f32_e32 v1, 0x4f7ffffe, v1
	v_cvt_u32_f32_e32 v1, v1
	s_nop 0
	v_readfirstlane_b32 s11, v1
	s_mul_i32 s10, s10, s11
	s_mul_hi_u32 s10, s11, s10
	s_add_i32 s11, s11, s10
	s_waitcnt lgkmcnt(0)
	s_cmp_eq_u64 s[6:7], 0
	s_mul_hi_u32 s10, s9, s11
	s_cbranch_scc1 .LBB251_3
; %bb.2:
	s_ashr_i32 s3, s2, 31
	s_lshl_b64 s[14:15], s[2:3], 2
	s_add_u32 s6, s6, s14
	s_addc_u32 s7, s7, s15
	s_load_dword s3, s[6:7], 0x0
.LBB251_3:
	s_load_dwordx4 s[16:19], s[0:1], 0x58
	s_movk_i32 s6, 0x80
	s_ashr_i32 s11, s2, 31
	s_ashr_i32 s12, s12, 31
	v_and_b32_e32 v4, 7, v0
	s_lshl_b32 s28, s2, 7
	v_cmp_gt_u32_e32 vcc, s6, v0
	v_lshlrev_b32_e32 v1, 1, v0
	s_and_saveexec_b64 s[6:7], vcc
	s_cbranch_execz .LBB251_5
; %bb.4:
	s_load_dwordx2 s[14:15], s[0:1], 0x18
	s_waitcnt lgkmcnt(0)
	s_mul_i32 s20, s34, s16
	s_ashr_i32 s21, s20, 31
	s_lshl_b64 s[20:21], s[20:21], 1
	v_lshrrev_b32_e32 v3, 2, v0
	s_add_u32 s13, s14, s20
	s_addc_u32 s16, s15, s21
	s_ashr_i32 s29, s28, 31
	s_lshl_b64 s[14:15], s[28:29], 1
	s_add_u32 s14, s13, s14
	s_addc_u32 s15, s16, s15
	global_load_ushort v2, v1, s[14:15]
	v_and_b32_e32 v3, 0xfe, v3
	v_lshl_add_u32 v3, v4, 5, v3
	s_waitcnt vmcnt(0)
	ds_write_b16 v3, v2
.LBB251_5:
	s_or_b64 exec, exec, s[6:7]
	s_mul_i32 s7, s10, s8
	s_sub_i32 s7, s9, s7
	s_xor_b32 s6, s11, s12
	s_add_i32 s9, s10, 1
	s_sub_i32 s11, s7, s8
	s_load_dwordx4 s[20:23], s[0:1], 0x78
	s_cmp_ge_u32 s7, s8
	s_cselect_b32 s9, s9, s10
	s_cselect_b32 s7, s11, s7
	s_add_i32 s10, s9, 1
	s_cmp_ge_u32 s7, s8
	s_cselect_b32 s7, s10, s9
	s_load_dword s10, s[0:1], 0x88
	s_waitcnt lgkmcnt(0)
	s_abs_i32 s29, s23
	v_cvt_f32_u32_e32 v2, s29
	s_xor_b32 s7, s7, s6
	s_sub_i32 s50, s7, s6
	s_sub_i32 s6, 0, s29
	v_rcp_iflag_f32_e32 v2, v2
	s_add_i32 s11, s33, -1
	s_abs_i32 s8, s11
	v_mul_f32_e32 v2, 0x4f7ffffe, v2
	v_cvt_u32_f32_e32 v2, v2
	s_barrier
	v_readfirstlane_b32 s35, v2
	s_mul_i32 s6, s6, s35
	s_mul_hi_u32 s6, s35, s6
	s_add_i32 s35, s35, s6
	s_cmp_lt_i32 s10, 0
	s_mul_hi_u32 s9, s8, s35
	s_cbranch_scc0 .LBB251_7
; %bb.6:
	s_mul_i32 s6, s20, s42
	s_add_i32 s6, s50, s6
	s_mul_i32 s6, s6, s10
	s_sub_i32 s42, 1, s6
	s_mov_b64 s[6:7], 0
	s_branch .LBB251_8
.LBB251_7:
	s_mov_b64 s[6:7], -1
                                        ; implicit-def: $sgpr42
.LBB251_8:
	s_load_dwordx2 s[36:37], s[0:1], 0x38
	s_ashr_i32 s11, s11, 31
	s_andn2_b64 vcc, exec, s[6:7]
	s_ashr_i32 s23, s23, 31
	s_cbranch_vccnz .LBB251_10
; %bb.9:
	s_mul_i32 s6, s5, s20
	s_add_i32 s6, s6, s2
	s_mul_i32 s6, s6, s10
	s_add_i32 s42, s6, 1
.LBB251_10:
	s_load_dwordx2 s[40:41], s[0:1], 0x28
	s_load_dword s6, s[0:1], 0x48
	s_load_dwordx4 s[24:27], s[0:1], 0x0
	s_load_dwordx2 s[30:31], s[0:1], 0x10
	s_load_dword s20, s[0:1], 0x98
	s_load_dwordx4 s[12:15], s[0:1], 0x68
	s_mul_i32 s7, s9, s29
	s_waitcnt lgkmcnt(0)
	s_mul_i32 s38, s34, s6
	s_sub_i32 s7, s8, s7
	s_ashr_i32 s39, s38, 31
	s_xor_b32 s6, s11, s23
	s_add_i32 s8, s9, 1
	s_sub_i32 s10, s7, s29
	s_cmp_ge_u32 s7, s29
	s_cselect_b32 s8, s8, s9
	s_cselect_b32 s7, s10, s7
	s_add_i32 s9, s8, 1
	s_cmp_ge_u32 s7, s29
	s_cselect_b32 s7, s9, s8
	s_xor_b32 s7, s7, s6
	s_sub_i32 s49, s7, s6
	s_add_i32 s6, s33, 7
	s_ashr_i32 s7, s6, 31
	s_lshr_b32 s7, s7, 29
	s_add_i32 s6, s6, s7
	s_lshl_b32 s52, s4, 6
	s_ashr_i32 s16, s6, 3
	s_add_i32 s6, s52, 64
	v_lshrrev_b32_e32 v12, 6, v0
	s_min_i32 s48, s6, s16
	v_or_b32_e32 v2, s52, v12
	v_cmp_gt_i32_e64 s[8:9], s48, v2
	v_mov_b32_e32 v14, 0xff7fffff
	s_mul_i32 s50, s50, s18
	v_ashrrev_i32_e32 v3, 31, v2
	v_lshl_add_u32 v15, v12, 3, s51
	v_mbcnt_lo_u32_b32 v10, -1, 0
	s_and_saveexec_b64 s[18:19], s[8:9]
	s_cbranch_execz .LBB251_20
; %bb.11:
	s_load_dwordx2 s[0:1], s[0:1], 0x20
	s_sub_i32 s53, s49, s21
	s_ashr_i32 s6, s50, 31
	v_bfe_u32 v11, v0, 3, 3
	v_mov_b32_e32 v5, 0
	s_waitcnt lgkmcnt(0)
	s_add_u32 s0, s0, s50
	s_addc_u32 s1, s1, s6
	s_abs_i32 s54, s22
	v_cvt_f32_u32_e32 v6, s54
	v_lshlrev_b32_e32 v14, 2, v11
	v_lshl_or_b32 v14, v12, 5, v14
	v_add_u32_e32 v18, 0x110, v14
	v_rcp_iflag_f32_e32 v7, v6
	v_lshlrev_b32_e32 v6, 4, v11
	v_subrev_u32_e32 v14, s33, v11
	v_mbcnt_hi_u32_b32 v21, -1, v10
	v_mul_f32_e32 v7, 0x4f7ffffe, v7
	v_cvt_u32_f32_e32 v8, v7
	v_mov_b32_e32 v7, v5
	v_lshl_add_u64 v[6:7], s[0:1], 0, v[6:7]
	s_sub_i32 s0, 0, s54
	v_mul_lo_u32 v9, s0, v8
	s_lshl_b64 s[0:1], s[38:39], 2
	s_add_u32 s0, s36, s0
	v_mul_hi_u32 v9, v8, v9
	s_addc_u32 s1, s37, s1
	v_add_u32_e32 v19, 1, v14
	v_and_b32_e32 v14, 64, v21
	v_cmp_eq_u32_e32 vcc, 0, v4
	s_mov_b32 s55, s17
	v_lshlrev_b32_e32 v13, 5, v4
	v_cmp_neq_f32_e64 s[6:7], s3, 0
	v_add_u32_e32 v16, v8, v9
	v_lshl_add_u64 v[8:9], v[2:3], 2, s[0:1]
	v_lshl_add_u32 v17, v12, 3, s51
	s_mov_b64 s[44:45], 0
	v_mov_b32_e32 v20, 0xff7fffff
	v_add_u32_e32 v22, 64, v14
	v_xor_b32_e32 v23, 4, v21
	v_xor_b32_e32 v24, 2, v21
	;; [unrolled: 1-line block ×3, first 2 shown]
	v_mov_b32_e32 v14, 0xff7fffff
	v_mov_b32_e32 v26, v2
	s_branch .LBB251_14
.LBB251_12:                             ;   in Loop: Header=BB251_14 Depth=1
	s_or_b64 exec, exec, s[46:47]
.LBB251_13:                             ;   in Loop: Header=BB251_14 Depth=1
	s_or_b64 exec, exec, s[10:11]
	v_add_u32_e32 v26, 2, v26
	v_cmp_le_i32_e64 s[0:1], s48, v26
	v_lshl_add_u64 v[8:9], v[8:9], 0, 8
	v_add_u32_e32 v17, 16, v17
	s_or_b64 s[44:45], s[0:1], s[44:45]
	v_add_u32_e32 v18, 64, v18
	s_andn2_b64 exec, exec, s[44:45]
	s_cbranch_execz .LBB251_19
.LBB251_14:                             ; =>This Inner Loop Header: Depth=1
	s_waitcnt lgkmcnt(0)
	v_sub_u32_e32 v28, 0, v17
	v_max_i32_e32 v28, v17, v28
	v_mul_hi_u32 v29, v28, s35
	v_mul_lo_u32 v30, v29, s29
	v_sub_u32_e32 v28, v28, v30
	v_add_u32_e32 v30, 1, v29
	v_cmp_le_u32_e64 s[0:1], s29, v28
	v_ashrrev_i32_e32 v27, 31, v17
	v_xor_b32_e32 v27, s23, v27
	v_cndmask_b32_e64 v29, v29, v30, s[0:1]
	v_subrev_u32_e32 v30, s29, v28
	v_cndmask_b32_e64 v28, v28, v30, s[0:1]
	v_add_u32_e32 v30, 1, v29
	v_cmp_le_u32_e64 s[0:1], s29, v28
	s_nop 1
	v_cndmask_b32_e64 v28, v29, v30, s[0:1]
	v_xor_b32_e32 v28, v28, v27
	v_sub_u32_e32 v27, v28, v27
	v_add_u32_e32 v28, s42, v27
	v_sub_u32_e32 v30, 0, v28
	v_ashrrev_i32_e32 v29, 31, v28
	v_max_i32_e32 v28, v28, v30
	v_mul_hi_u32 v30, v28, v16
	v_mul_lo_u32 v30, v30, s54
	v_sub_u32_e32 v28, v28, v30
	v_subrev_u32_e32 v30, s54, v28
	v_cmp_le_u32_e64 s[0:1], s54, v28
	v_cmp_ge_i32_e64 s[10:11], s53, v27
	s_nop 0
	v_cndmask_b32_e64 v28, v28, v30, s[0:1]
	v_subrev_u32_e32 v30, s54, v28
	v_cmp_le_u32_e64 s[0:1], s54, v28
	s_nop 1
	v_cndmask_b32_e64 v28, v28, v30, s[0:1]
	v_xor_b32_e32 v28, v28, v29
	v_sub_u32_e32 v28, v28, v29
	v_cmp_ne_u32_e64 s[0:1], 0, v28
	s_and_b64 s[0:1], s[0:1], s[10:11]
	s_and_b64 s[46:47], vcc, s[0:1]
	s_and_saveexec_b64 s[10:11], s[46:47]
	s_cbranch_execz .LBB251_16
; %bb.15:                               ;   in Loop: Header=BB251_14 Depth=1
	ds_write_b32 v18, v20
.LBB251_16:                             ;   in Loop: Header=BB251_14 Depth=1
	s_or_b64 exec, exec, s[10:11]
	s_xor_b64 s[0:1], s[0:1], -1
	s_and_saveexec_b64 s[10:11], s[0:1]
	s_cbranch_execz .LBB251_13
; %bb.17:                               ;   in Loop: Header=BB251_14 Depth=1
	global_load_dword v27, v[8:9], off
	s_waitcnt vmcnt(0)
	v_mad_i64_i32 v[28:29], s[0:1], v27, s55, v[6:7]
	v_lshl_add_u64 v[28:29], v[28:29], 0, v[4:5]
	global_load_ubyte v27, v[28:29], off
	global_load_ubyte v30, v[28:29], off offset:8
	global_load_dword v31, v5, s[12:13]
	global_load_ubyte v32, v[28:29], off offset:128
	global_load_ubyte v33, v[28:29], off offset:136
	global_load_ubyte v34, v[28:29], off offset:256
	global_load_ubyte v35, v[28:29], off offset:264
	global_load_ubyte v36, v[28:29], off offset:384
	global_load_ubyte v37, v[28:29], off offset:392
	global_load_ubyte v38, v[28:29], off offset:512
	global_load_ubyte v39, v[28:29], off offset:520
	global_load_ubyte v40, v[28:29], off offset:640
	global_load_ubyte v41, v[28:29], off offset:648
	global_load_ubyte v42, v[28:29], off offset:768
	global_load_ubyte v43, v[28:29], off offset:776
	global_load_ubyte v44, v[28:29], off offset:896
	s_nop 0
	global_load_ubyte v28, v[28:29], off offset:904
	ds_read_u16 v29, v13
	s_waitcnt lgkmcnt(0)
	;;#ASMSTART
	v_cvt_f32_f16 v29, v29;
	;;#ASMEND
	v_cmp_lt_i32_e64 s[0:1], v23, v22
	s_waitcnt vmcnt(16)
	v_cvt_f32_fp8_sdwa v27, v27 src0_sel:BYTE_0
	s_waitcnt vmcnt(15)
	v_cvt_f32_fp8_sdwa v30, v30 src0_sel:BYTE_0
	v_cndmask_b32_e64 v45, v21, v23, s[0:1]
	s_waitcnt vmcnt(13)
	v_cvt_f32_fp8_sdwa v32, v32 src0_sel:BYTE_0
	v_fma_mixlo_f16 v27, v31, v27, 0
	v_and_b32_e32 v27, 0xffff, v27
	v_fma_mixlo_f16 v30, v31, v30, 0
	s_waitcnt vmcnt(12)
	v_cvt_f32_fp8_sdwa v33, v33 src0_sel:BYTE_0
	;;#ASMSTART
	v_cvt_f32_f16 v27, v27;
	;;#ASMEND
	ds_read_u16 v46, v13 offset:2
	v_and_b32_e32 v30, 0xffff, v30
	s_waitcnt vmcnt(11)
	v_cvt_f32_fp8_sdwa v34, v34 src0_sel:BYTE_0
	s_waitcnt lgkmcnt(0)
	;;#ASMSTART
	v_cvt_f32_f16 v46, v46;
	;;#ASMEND
	;;#ASMSTART
	v_cvt_f32_f16 v30, v30;
	;;#ASMEND
	s_waitcnt vmcnt(10)
	v_cvt_f32_fp8_sdwa v35, v35 src0_sel:BYTE_0
	v_fma_mixlo_f16 v32, v31, v32, 0
	s_waitcnt vmcnt(9)
	v_cvt_f32_fp8_sdwa v36, v36 src0_sel:BYTE_0
	v_mul_f32_e32 v30, v46, v30
	ds_read_u16 v47, v13 offset:4
	v_and_b32_e32 v32, 0xffff, v32
	v_fma_mixlo_f16 v33, v31, v33, 0
	s_waitcnt vmcnt(8)
	v_cvt_f32_fp8_sdwa v37, v37 src0_sel:BYTE_0
	v_fmac_f32_e32 v30, v29, v27
	s_waitcnt lgkmcnt(0)
	;;#ASMSTART
	v_cvt_f32_f16 v47, v47;
	;;#ASMEND
	;;#ASMSTART
	v_cvt_f32_f16 v32, v32;
	;;#ASMEND
	ds_read_u16 v48, v13 offset:6
	v_and_b32_e32 v33, 0xffff, v33
	s_waitcnt vmcnt(7)
	v_cvt_f32_fp8_sdwa v38, v38 src0_sel:BYTE_0
	v_fma_mixlo_f16 v34, v31, v34, 0
	v_fmac_f32_e32 v30, v47, v32
	s_waitcnt lgkmcnt(0)
	;;#ASMSTART
	v_cvt_f32_f16 v48, v48;
	;;#ASMEND
	;;#ASMSTART
	v_cvt_f32_f16 v33, v33;
	;;#ASMEND
	ds_read_u16 v49, v13 offset:8
	v_and_b32_e32 v34, 0xffff, v34
	s_waitcnt vmcnt(6)
	v_cvt_f32_fp8_sdwa v39, v39 src0_sel:BYTE_0
	v_fma_mixlo_f16 v35, v31, v35, 0
	v_fmac_f32_e32 v30, v48, v33
	s_waitcnt lgkmcnt(0)
	;;#ASMSTART
	v_cvt_f32_f16 v49, v49;
	;;#ASMEND
	;;#ASMSTART
	v_cvt_f32_f16 v34, v34;
	;;#ASMEND
	ds_read_u16 v50, v13 offset:10
	s_waitcnt vmcnt(5)
	v_cvt_f32_fp8_sdwa v40, v40 src0_sel:BYTE_0
	v_and_b32_e32 v35, 0xffff, v35
	v_fma_mixlo_f16 v36, v31, v36, 0
	v_fmac_f32_e32 v30, v49, v34
	s_waitcnt lgkmcnt(0)
	;;#ASMSTART
	v_cvt_f32_f16 v50, v50;
	;;#ASMEND
	;;#ASMSTART
	v_cvt_f32_f16 v35, v35;
	;;#ASMEND
	ds_read_u16 v51, v13 offset:12
	s_waitcnt vmcnt(4)
	v_cvt_f32_fp8_sdwa v41, v41 src0_sel:BYTE_0
	s_waitcnt vmcnt(3)
	v_cvt_f32_fp8_sdwa v42, v42 src0_sel:BYTE_0
	v_and_b32_e32 v36, 0xffff, v36
	s_waitcnt vmcnt(2)
	v_cvt_f32_fp8_sdwa v43, v43 src0_sel:BYTE_0
	s_waitcnt vmcnt(1)
	v_cvt_f32_fp8_sdwa v44, v44 src0_sel:BYTE_0
	v_fma_mixlo_f16 v37, v31, v37, 0
	s_waitcnt vmcnt(0)
	v_cvt_f32_fp8_sdwa v28, v28 src0_sel:BYTE_0
	v_fmac_f32_e32 v30, v50, v35
	s_waitcnt lgkmcnt(0)
	;;#ASMSTART
	v_cvt_f32_f16 v51, v51;
	;;#ASMEND
	;;#ASMSTART
	v_cvt_f32_f16 v36, v36;
	;;#ASMEND
	ds_read_u16 v52, v13 offset:14
	v_and_b32_e32 v37, 0xffff, v37
	v_fma_mixlo_f16 v38, v31, v38, 0
	v_fmac_f32_e32 v30, v51, v36
	s_waitcnt lgkmcnt(0)
	;;#ASMSTART
	v_cvt_f32_f16 v52, v52;
	;;#ASMEND
	;;#ASMSTART
	v_cvt_f32_f16 v37, v37;
	;;#ASMEND
	ds_read_u16 v53, v13 offset:16
	v_fma_mixlo_f16 v39, v31, v39, 0
	v_and_b32_e32 v38, 0xffff, v38
	v_fmac_f32_e32 v30, v52, v37
	s_waitcnt lgkmcnt(0)
	;;#ASMSTART
	v_cvt_f32_f16 v53, v53;
	;;#ASMEND
	;;#ASMSTART
	v_cvt_f32_f16 v38, v38;
	;;#ASMEND
	ds_read_u16 v54, v13 offset:18
	v_fma_mixlo_f16 v40, v31, v40, 0
	v_and_b32_e32 v39, 0xffff, v39
	v_fmac_f32_e32 v30, v53, v38
	v_fma_mixlo_f16 v41, v31, v41, 0
	v_fma_mixlo_f16 v42, v31, v42, 0
	s_waitcnt lgkmcnt(0)
	;;#ASMSTART
	v_cvt_f32_f16 v54, v54;
	;;#ASMEND
	;;#ASMSTART
	v_cvt_f32_f16 v39, v39;
	;;#ASMEND
	ds_read_u16 v55, v13 offset:20
	v_fma_mixlo_f16 v43, v31, v43, 0
	v_fma_mixlo_f16 v44, v31, v44, 0
	;; [unrolled: 1-line block ×3, first 2 shown]
	v_and_b32_e32 v31, 0xffff, v40
	v_fmac_f32_e32 v30, v54, v39
	s_waitcnt lgkmcnt(0)
	;;#ASMSTART
	v_cvt_f32_f16 v40, v55;
	;;#ASMEND
	;;#ASMSTART
	v_cvt_f32_f16 v31, v31;
	;;#ASMEND
	ds_read_u16 v55, v13 offset:22
	v_and_b32_e32 v41, 0xffff, v41
	v_fmac_f32_e32 v30, v40, v31
	s_waitcnt lgkmcnt(0)
	;;#ASMSTART
	v_cvt_f32_f16 v55, v55;
	;;#ASMEND
	;;#ASMSTART
	v_cvt_f32_f16 v41, v41;
	;;#ASMEND
	v_and_b32_e32 v42, 0xffff, v42
	v_fmac_f32_e32 v30, v55, v41
	ds_read_u16 v56, v13 offset:24
	s_waitcnt lgkmcnt(0)
	;;#ASMSTART
	v_cvt_f32_f16 v27, v56;
	;;#ASMEND
	;;#ASMSTART
	v_cvt_f32_f16 v29, v42;
	;;#ASMEND
	ds_read_u16 v32, v13 offset:26
	v_fmac_f32_e32 v30, v27, v29
	v_and_b32_e32 v43, 0xffff, v43
	s_waitcnt lgkmcnt(0)
	;;#ASMSTART
	v_cvt_f32_f16 v32, v32;
	;;#ASMEND
	;;#ASMSTART
	v_cvt_f32_f16 v33, v43;
	;;#ASMEND
	ds_read_u16 v34, v13 offset:28
	v_fmac_f32_e32 v30, v32, v33
	v_and_b32_e32 v44, 0xffff, v44
	v_and_b32_e32 v28, 0xffff, v28
	s_waitcnt lgkmcnt(0)
	;;#ASMSTART
	v_cvt_f32_f16 v31, v34;
	;;#ASMEND
	;;#ASMSTART
	v_cvt_f32_f16 v34, v44;
	;;#ASMEND
	v_lshlrev_b32_e32 v45, 2, v45
	v_fmac_f32_e32 v30, v31, v34
	ds_read_u16 v35, v13 offset:30
	s_waitcnt lgkmcnt(0)
	;;#ASMSTART
	v_cvt_f32_f16 v27, v35;
	;;#ASMEND
	;;#ASMSTART
	v_cvt_f32_f16 v28, v28;
	;;#ASMEND
	v_cmp_lt_i32_e64 s[0:1], v24, v22
	v_fmac_f32_e32 v30, v27, v28
	ds_bpermute_b32 v27, v45, v30
	v_cndmask_b32_e64 v28, v21, v24, s[0:1]
	v_lshlrev_b32_e32 v28, 2, v28
	v_cmp_lt_i32_e64 s[0:1], v25, v22
	s_waitcnt lgkmcnt(0)
	v_add_f32_e32 v27, v30, v27
	ds_bpermute_b32 v28, v28, v27
	v_cndmask_b32_e64 v29, v21, v25, s[0:1]
	s_waitcnt lgkmcnt(0)
	v_add_f32_e32 v27, v27, v28
	v_lshlrev_b32_e32 v28, 2, v29
	ds_bpermute_b32 v28, v28, v27
	s_and_saveexec_b64 s[46:47], vcc
	s_cbranch_execz .LBB251_12
; %bb.18:                               ;   in Loop: Header=BB251_14 Depth=1
	v_add_u32_e32 v29, v19, v17
	v_cvt_f32_i32_e32 v29, v29
	s_waitcnt lgkmcnt(0)
	v_add_f32_e32 v27, v27, v28
	v_add_u32_e32 v30, v11, v17
	v_cmp_gt_i32_e64 s[0:1], s33, v30
	v_mul_f32_e32 v28, s3, v29
	v_cndmask_b32_e64 v28, 0, v28, s[6:7]
	v_fmac_f32_e32 v28, s43, v27
	v_cndmask_b32_e64 v27, 0, v28, s[0:1]
	ds_write_b32 v18, v27
	v_max_f32_e32 v27, v14, v14
	v_max_f32_e32 v27, v27, v28
	v_cndmask_b32_e64 v14, v14, v27, s[0:1]
	s_branch .LBB251_12
.LBB251_19:
	s_or_b64 exec, exec, s[44:45]
.LBB251_20:
	s_or_b64 exec, exec, s[18:19]
	v_mbcnt_hi_u32_b32 v4, -1, v10
	v_and_b32_e32 v5, 64, v4
	v_add_u32_e32 v5, 64, v5
	v_xor_b32_e32 v6, 32, v4
	v_cmp_lt_i32_e32 vcc, v6, v5
	v_xor_b32_e32 v9, 16, v4
	v_max_f32_e32 v7, v14, v14
	v_cndmask_b32_e32 v6, v4, v6, vcc
	v_lshlrev_b32_e32 v8, 2, v6
	ds_bpermute_b32 v6, v8, v14
	v_cmp_lt_i32_e32 vcc, v9, v5
	v_and_b32_e32 v22, 63, v0
	s_waitcnt lgkmcnt(0)
	v_max_f32_e32 v6, v6, v6
	v_max_f32_e32 v6, v7, v6
	v_cndmask_b32_e32 v7, v4, v9, vcc
	v_lshlrev_b32_e32 v10, 2, v7
	ds_bpermute_b32 v7, v10, v6
	v_xor_b32_e32 v9, 8, v4
	v_cmp_lt_i32_e32 vcc, v9, v5
	s_waitcnt lgkmcnt(0)
	v_max_f32_e32 v7, v7, v7
	v_max_f32_e32 v6, v6, v7
	v_cndmask_b32_e32 v7, v4, v9, vcc
	v_lshlrev_b32_e32 v11, 2, v7
	ds_bpermute_b32 v9, v11, v6
	v_cmp_eq_u32_e32 vcc, 0, v22
	v_lshlrev_b32_e32 v7, 2, v12
	s_and_saveexec_b64 s[0:1], vcc
	s_cbranch_execz .LBB251_22
; %bb.21:
	s_waitcnt lgkmcnt(0)
	v_max_f32_e32 v9, v9, v9
	v_max_f32_e32 v6, v6, v6
	v_max_f32_e32 v6, v6, v9
	ds_write_b32 v7, v6 offset:256
.LBB251_22:
	s_or_b64 exec, exec, s[0:1]
	v_cmp_gt_u32_e64 s[0:1], 2, v22
	v_mov_b32_e32 v6, 0xff7fffff
	s_waitcnt lgkmcnt(0)
	v_lshlrev_b32_e32 v9, 2, v22
	s_barrier
	s_and_saveexec_b64 s[6:7], s[0:1]
	s_cbranch_execz .LBB251_24
; %bb.23:
	ds_read_b32 v6, v9 offset:256
.LBB251_24:
	s_or_b64 exec, exec, s[6:7]
	v_xor_b32_e32 v13, 1, v4
	v_cmp_lt_i32_e64 s[6:7], v13, v5
	s_sub_i32 s3, s48, s52
	s_lshl_b32 s3, s3, 3
	v_cndmask_b32_e64 v13, v4, v13, s[6:7]
	v_lshlrev_b32_e32 v13, 2, v13
	s_waitcnt lgkmcnt(0)
	ds_bpermute_b32 v14, v13, v6
	v_max_f32_e32 v6, v6, v6
	s_add_i32 s3, s3, s51
	s_min_i32 s43, s3, s33
	s_sub_i32 s3, s43, s51
	s_waitcnt lgkmcnt(0)
	v_max_f32_e32 v14, v14, v14
	v_max_f32_e32 v6, v6, v14
	v_lshlrev_b32_e32 v14, 2, v4
	v_and_b32_e32 v14, 0x100, v14
	ds_bpermute_b32 v6, v14, v6
	v_cmp_gt_i32_e64 s[6:7], s3, v0
	v_mov_b32_e32 v16, 0
	s_and_saveexec_b64 s[12:13], s[6:7]
	s_cbranch_execz .LBB251_28
; %bb.25:
	v_mov_b32_e32 v16, 0x110
	v_lshl_add_u32 v17, v0, 2, v16
	s_mov_b64 s[18:19], 0
	v_mov_b32_e32 v16, 0
	v_mov_b32_e32 v18, v0
.LBB251_26:                             ; =>This Inner Loop Header: Depth=1
	ds_read_b32 v19, v17
	v_add_u32_e32 v18, 0x80, v18
	v_cmp_le_i32_e64 s[10:11], s3, v18
	s_or_b64 s[18:19], s[10:11], s[18:19]
	s_waitcnt lgkmcnt(0)
	v_sub_f32_e32 v19, v19, v6
	v_mul_f32_e32 v19, 0x3fb8aa3b, v19
	v_exp_f32_e32 v19, v19
	ds_write_b32 v17, v19
	v_add_f32_e32 v16, v16, v19
	v_add_u32_e32 v17, 0x200, v17
	s_andn2_b64 exec, exec, s[18:19]
	s_cbranch_execnz .LBB251_26
; %bb.27:
	s_or_b64 exec, exec, s[18:19]
.LBB251_28:
	s_or_b64 exec, exec, s[12:13]
	ds_bpermute_b32 v8, v8, v16
	s_waitcnt lgkmcnt(0)
	v_add_f32_e32 v8, v16, v8
	ds_bpermute_b32 v10, v10, v8
	s_waitcnt lgkmcnt(0)
	v_add_f32_e32 v8, v8, v10
	ds_bpermute_b32 v10, v11, v8
	v_xor_b32_e32 v11, 4, v4
	v_cmp_lt_i32_e64 s[10:11], v11, v5
	s_waitcnt lgkmcnt(0)
	v_add_f32_e32 v8, v8, v10
	v_cndmask_b32_e64 v11, v4, v11, s[10:11]
	v_lshlrev_b32_e32 v11, 2, v11
	ds_bpermute_b32 v10, v11, v8
	v_xor_b32_e32 v11, 2, v4
	v_cmp_lt_i32_e64 s[10:11], v11, v5
	s_waitcnt lgkmcnt(0)
	v_add_f32_e32 v5, v8, v10
	v_cndmask_b32_e64 v4, v4, v11, s[10:11]
	v_lshlrev_b32_e32 v4, 2, v4
	ds_bpermute_b32 v4, v4, v5
	s_waitcnt lgkmcnt(0)
	v_add_f32_e32 v4, v5, v4
	ds_bpermute_b32 v5, v13, v4
	s_waitcnt lgkmcnt(0)
	v_add_f32_e32 v4, v4, v5
	s_and_saveexec_b64 s[10:11], vcc
	s_cbranch_execz .LBB251_30
; %bb.29:
	ds_write_b32 v7, v4 offset:264
.LBB251_30:
	s_or_b64 exec, exec, s[10:11]
	s_waitcnt lgkmcnt(0)
	s_barrier
	s_and_saveexec_b64 s[10:11], s[0:1]
	s_cbranch_execz .LBB251_32
; %bb.31:
	ds_read_b32 v4, v9 offset:264
.LBB251_32:
	s_or_b64 exec, exec, s[10:11]
	s_waitcnt lgkmcnt(0)
	ds_bpermute_b32 v5, v13, v4
	s_waitcnt lgkmcnt(0)
	v_add_f32_e32 v4, v4, v5
	ds_bpermute_b32 v7, v14, v4
	s_and_saveexec_b64 s[0:1], s[6:7]
	s_cbranch_execz .LBB251_45
; %bb.33:
	s_waitcnt lgkmcnt(0)
	v_add_f32_e32 v4, 0x358637bd, v7
	v_div_scale_f32 v5, s[6:7], v4, v4, 1.0
	v_rcp_f32_e32 v8, v5
	v_div_scale_f32 v9, vcc, 1.0, v4, 1.0
	s_movk_i32 s6, 0x7f
	v_fma_f32 v10, -v5, v8, 1.0
	v_fmac_f32_e32 v8, v10, v8
	v_mul_f32_e32 v10, v9, v8
	v_fma_f32 v11, -v5, v10, v9
	v_fmac_f32_e32 v10, v11, v8
	v_fma_f32 v5, -v5, v10, v9
	v_div_fmas_f32 v5, v5, v8, v10
	v_div_fixup_f32 v4, v5, v4, 1.0
	v_xad_u32 v5, v0, -1, s43
	v_subrev_u32_e32 v8, s51, v5
	v_cmp_lt_u32_e32 vcc, s6, v8
	s_mov_b64 s[10:11], -1
	v_mov_b32_e32 v5, v0
	s_and_saveexec_b64 s[6:7], vcc
	s_cbranch_execz .LBB251_42
; %bb.34:
	v_lshrrev_b32_e32 v8, 7, v8
	v_add_u32_e32 v10, -1, v8
	v_lshrrev_b32_e32 v9, 1, v10
	v_mov_b32_e32 v5, v4
	v_add_u32_e32 v9, 1, v9
	v_cmp_lt_u32_e32 vcc, 13, v10
	v_mov_b32_e32 v13, 0
	s_and_saveexec_b64 s[10:11], vcc
	s_cbranch_execz .LBB251_38
; %bb.35:
	v_mov_b32_e32 v11, 0x110
	v_and_b32_e32 v10, -8, v9
	v_lshl_add_u32 v11, v0, 2, v11
	s_mov_b32 s18, 0
	s_mov_b64 s[12:13], 0
.LBB251_36:                             ; =>This Inner Loop Header: Depth=1
	ds_read2st64_b32 v[16:17], v11 offset1:2
	ds_read2st64_b32 v[18:19], v11 offset0:4 offset1:6
	ds_read2st64_b32 v[20:21], v11 offset0:8 offset1:10
	;; [unrolled: 1-line block ×3, first 2 shown]
	v_add_u32_e32 v10, -8, v10
	s_waitcnt lgkmcnt(3)
	v_pk_mul_f32 v[16:17], v[4:5], v[16:17]
	s_waitcnt lgkmcnt(2)
	v_pk_mul_f32 v[18:19], v[4:5], v[18:19]
	ds_write2st64_b32 v11, v16, v17 offset1:2
	ds_write2st64_b32 v11, v18, v19 offset0:4 offset1:6
	ds_read2st64_b32 v[18:19], v11 offset0:16 offset1:18
	s_waitcnt lgkmcnt(4)
	v_pk_mul_f32 v[16:17], v[4:5], v[20:21]
	ds_write2st64_b32 v11, v16, v17 offset0:8 offset1:10
	s_waitcnt lgkmcnt(4)
	v_pk_mul_f32 v[16:17], v[4:5], v[24:25]
	ds_write2st64_b32 v11, v16, v17 offset0:12 offset1:14
	ds_read2st64_b32 v[16:17], v11 offset0:20 offset1:22
	s_waitcnt lgkmcnt(3)
	v_pk_mul_f32 v[18:19], v[4:5], v[18:19]
	ds_read2st64_b32 v[20:21], v11 offset0:24 offset1:26
	ds_write2st64_b32 v11, v18, v19 offset0:16 offset1:18
	ds_read2st64_b32 v[18:19], v11 offset0:28 offset1:30
	s_waitcnt lgkmcnt(3)
	v_pk_mul_f32 v[16:17], v[4:5], v[16:17]
	ds_write2st64_b32 v11, v16, v17 offset0:20 offset1:22
	s_waitcnt lgkmcnt(3)
	v_pk_mul_f32 v[16:17], v[4:5], v[20:21]
	ds_write2st64_b32 v11, v16, v17 offset0:24 offset1:26
	s_waitcnt lgkmcnt(2)
	v_pk_mul_f32 v[16:17], v[4:5], v[18:19]
	s_add_i32 s18, s18, 16
	v_cmp_eq_u32_e32 vcc, 0, v10
	ds_write2st64_b32 v11, v16, v17 offset0:28 offset1:30
	v_add_u32_e32 v11, 0x2000, v11
	s_or_b64 s[12:13], vcc, s[12:13]
	v_mov_b32_e32 v13, s18
	s_andn2_b64 exec, exec, s[12:13]
	s_cbranch_execnz .LBB251_36
; %bb.37:
	s_or_b64 exec, exec, s[12:13]
.LBB251_38:
	s_or_b64 exec, exec, s[10:11]
	v_and_b32_e32 v9, 7, v9
	v_cmp_ne_u32_e32 vcc, 0, v9
	s_and_saveexec_b64 s[10:11], vcc
	s_cbranch_execz .LBB251_41
; %bb.39:
	v_lshlrev_b32_e32 v10, 9, v13
	v_lshlrev_b32_e32 v11, 2, v0
	s_movk_i32 s12, 0x110
	v_add3_u32 v10, v10, v11, s12
	s_mov_b64 s[12:13], 0
.LBB251_40:                             ; =>This Inner Loop Header: Depth=1
	ds_read2st64_b32 v[16:17], v10 offset1:2
	v_add_u32_e32 v9, -1, v9
	v_cmp_eq_u32_e32 vcc, 0, v9
	s_or_b64 s[12:13], vcc, s[12:13]
	s_waitcnt lgkmcnt(0)
	v_pk_mul_f32 v[16:17], v[4:5], v[16:17]
	ds_write2st64_b32 v10, v16, v17 offset1:2
	v_add_u32_e32 v10, 0x400, v10
	s_andn2_b64 exec, exec, s[12:13]
	s_cbranch_execnz .LBB251_40
.LBB251_41:
	s_or_b64 exec, exec, s[10:11]
	v_add_u32_e32 v8, 1, v8
	v_and_b32_e32 v9, 0x3fffffe, v8
	v_cmp_ne_u32_e32 vcc, v8, v9
	v_lshl_add_u32 v5, v9, 7, v0
	s_orn2_b64 s[10:11], vcc, exec
.LBB251_42:
	s_or_b64 exec, exec, s[6:7]
	s_and_b64 exec, exec, s[10:11]
	s_cbranch_execz .LBB251_45
; %bb.43:
	v_mov_b32_e32 v8, 0x110
	v_lshl_add_u32 v8, v5, 2, v8
	s_mov_b64 s[6:7], 0
.LBB251_44:                             ; =>This Inner Loop Header: Depth=1
	ds_read_b32 v9, v8
	v_add_u32_e32 v5, 0x80, v5
	v_cmp_le_i32_e32 vcc, s3, v5
	s_or_b64 s[6:7], vcc, s[6:7]
	s_waitcnt lgkmcnt(0)
	v_mul_f32_e32 v9, v4, v9
	ds_write_b32 v8, v9
	v_add_u32_e32 v8, 0x200, v8
	s_andn2_b64 exec, exec, s[6:7]
	s_cbranch_execnz .LBB251_44
.LBB251_45:
	s_or_b64 exec, exec, s[0:1]
	s_mul_i32 s0, s20, s34
	v_cmp_eq_u32_e32 vcc, 0, v0
	s_mul_i32 s6, s0, s5
	s_waitcnt lgkmcnt(0)
	s_barrier
	s_and_saveexec_b64 s[0:1], vcc
	s_cbranch_execz .LBB251_47
; %bb.46:
	s_ashr_i32 s7, s6, 31
	s_lshl_b64 s[10:11], s[6:7], 2
	s_add_u32 s5, s26, s10
	s_mul_i32 s2, s20, s2
	s_addc_u32 s7, s27, s11
	s_ashr_i32 s3, s2, 31
	s_lshl_b64 s[2:3], s[2:3], 2
	s_add_u32 s18, s5, s2
	s_addc_u32 s7, s7, s3
	s_ashr_i32 s5, s4, 31
	s_lshl_b64 s[12:13], s[4:5], 2
	s_add_u32 s18, s18, s12
	s_addc_u32 s19, s7, s13
	s_add_u32 s5, s24, s10
	s_addc_u32 s7, s25, s11
	;; [unrolled: 2-line block ×3, first 2 shown]
	s_add_u32 s2, s2, s12
	v_mov_b32_e32 v4, 0
	s_addc_u32 s3, s3, s13
	global_store_dword v4, v6, s[18:19]
	global_store_dword v4, v7, s[2:3]
.LBB251_47:
	s_or_b64 exec, exec, s[0:1]
	v_mov_b32_e32 v5, 0
	v_mov_b32_e32 v4, 0
	s_and_saveexec_b64 s[2:3], s[8:9]
	s_cbranch_execz .LBB251_185
; %bb.48:
	s_sub_i32 s5, s49, s21
	s_ashr_i32 s1, s50, 31
	s_add_u32 s0, s40, s50
	s_addc_u32 s1, s41, s1
	s_abs_i32 s7, s22
	v_cvt_f32_u32_e32 v4, s7
	v_lshlrev_b32_e32 v6, 3, v22
	v_mov_b32_e32 v7, 0
	s_add_i32 s24, s16, -1
	v_rcp_iflag_f32_e32 v4, v4
	s_sub_i32 s8, 0, s7
	v_lshl_add_u64 v[8:9], s[0:1], 0, v[6:7]
	s_lshl_b64 s[0:1], s[38:39], 2
	v_mul_f32_e32 v4, 0x4f7ffffe, v4
	v_cvt_u32_f32_e32 v4, v4
	s_add_u32 s0, s36, s0
	s_addc_u32 s1, s37, s1
	v_lshl_add_u64 v[10:11], v[2:3], 2, s[0:1]
	v_mul_lo_u32 v5, s8, v4
	v_mul_hi_u32 v5, v4, v5
	v_mov_b32_e32 v3, 0x110
	s_mov_b32 s21, s17
	s_mov_b32 s22, s33
	v_add_u32_e32 v23, v4, v5
	v_lshl_add_u32 v3, v12, 5, v3
	s_mov_b64 s[8:9], 0
	s_movk_i32 s25, 0x7f
	s_movk_i32 s26, 0x80
	s_mov_b32 s27, 0x8000
	s_movk_i32 s34, 0x380
	s_mov_b32 s36, 0x3020706
	s_mov_b32 s37, 0x1000504
	s_mov_b32 s38, 0x5040100
	v_mov_b32_e32 v24, 0x1c00
	v_mov_b32_e32 v4, 0
	;; [unrolled: 1-line block ×3, first 2 shown]
	s_branch .LBB251_51
.LBB251_49:                             ;   in Loop: Header=BB251_51 Depth=1
	s_or_b64 exec, exec, s[0:1]
	;;#ASMSTART
	v_pk_mul_f16 v13, v33, v13;

	;;#ASMEND
	;;#ASMSTART
	v_pk_mul_f16 v6, v32, v6;

	;;#ASMEND
	;; [unrolled: 4-line block ×4, first 2 shown]
	v_add_f32_e32 v16, v34, v35
	;;#ASMSTART
	v_pk_add_f16 v6, v13, v6;

	;;#ASMEND
	v_add_f32_e32 v4, v4, v16
	;;#ASMSTART
	v_pk_add_f16 v6, v6, v12;

	;;#ASMEND
	s_nop 0
	;;#ASMSTART
	v_pk_add_f16 v6, v6, v14;

	;;#ASMEND
	s_nop 0
	v_lshrrev_b32_e32 v12, 16, v6
	v_and_b32_e32 v6, 0xffff, v6
	;;#ASMSTART
	v_cvt_f32_f16 v6, v6;
	;;#ASMEND
	;;#ASMSTART
	v_cvt_f32_f16 v12, v12;
	;;#ASMEND
	s_nop 0
	v_add_f32_e32 v6, v6, v12
	v_add_f32_e32 v5, v5, v6
.LBB251_50:                             ;   in Loop: Header=BB251_51 Depth=1
	s_or_b64 exec, exec, s[10:11]
	v_add_u32_e32 v2, 2, v2
	v_cmp_le_i32_e32 vcc, s48, v2
	v_lshl_add_u64 v[10:11], v[10:11], 0, 8
	v_add_u32_e32 v15, 16, v15
	s_or_b64 s[8:9], vcc, s[8:9]
	v_add_u32_e32 v3, 64, v3
	s_andn2_b64 exec, exec, s[8:9]
	s_cbranch_execz .LBB251_184
.LBB251_51:                             ; =>This Inner Loop Header: Depth=1
	v_sub_u32_e32 v12, 0, v15
	v_max_i32_e32 v12, v15, v12
	v_mul_hi_u32 v13, v12, s35
	v_mul_lo_u32 v14, v13, s29
	v_sub_u32_e32 v12, v12, v14
	v_add_u32_e32 v14, 1, v13
	v_cmp_le_u32_e32 vcc, s29, v12
	v_ashrrev_i32_e32 v6, 31, v15
	v_xor_b32_e32 v6, s23, v6
	v_cndmask_b32_e32 v13, v13, v14, vcc
	v_subrev_u32_e32 v14, s29, v12
	v_cndmask_b32_e32 v12, v12, v14, vcc
	v_add_u32_e32 v14, 1, v13
	v_cmp_le_u32_e32 vcc, s29, v12
	s_nop 1
	v_cndmask_b32_e32 v12, v13, v14, vcc
	v_xor_b32_e32 v12, v12, v6
	v_sub_u32_e32 v6, v12, v6
	v_add_u32_e32 v12, s42, v6
	v_sub_u32_e32 v14, 0, v12
	v_ashrrev_i32_e32 v13, 31, v12
	v_max_i32_e32 v12, v12, v14
	v_mul_hi_u32 v14, v12, v23
	v_mul_lo_u32 v14, v14, s7
	v_sub_u32_e32 v12, v12, v14
	v_subrev_u32_e32 v14, s7, v12
	v_cmp_le_u32_e32 vcc, s7, v12
	v_cmp_lt_i32_e64 s[0:1], s5, v6
	s_nop 0
	v_cndmask_b32_e32 v12, v12, v14, vcc
	v_subrev_u32_e32 v14, s7, v12
	v_cmp_le_u32_e32 vcc, s7, v12
	s_nop 1
	v_cndmask_b32_e32 v12, v12, v14, vcc
	v_xor_b32_e32 v12, v12, v13
	v_sub_u32_e32 v12, v12, v13
	v_cmp_eq_u32_e32 vcc, 0, v12
	s_or_b64 s[0:1], vcc, s[0:1]
	s_and_saveexec_b64 s[10:11], s[0:1]
	s_cbranch_execz .LBB251_50
; %bb.52:                               ;   in Loop: Header=BB251_51 Depth=1
	ds_read2_b64 v[16:19], v3 offset1:1
	ds_read2_b64 v[26:29], v3 offset0:2 offset1:3
                                        ; implicit-def: $sgpr18
	s_waitcnt lgkmcnt(1)
	;;#ASMSTART
	v_cvt_f16_f32 v30, v16;

	;;#ASMEND
	;;#ASMSTART
	v_cvt_f16_f32 v31, v17;

	;;#ASMEND
	;; [unrolled: 4-line block ×4, first 2 shown]
	s_waitcnt lgkmcnt(0)
	;;#ASMSTART
	v_cvt_f16_f32 v35, v26;

	;;#ASMEND
	;;#ASMSTART
	v_cvt_f16_f32 v36, v27;

	;;#ASMEND
	;;#ASMSTART
	v_cvt_f16_f32 v37, v28;

	;;#ASMEND
	;;#ASMSTART
	v_cvt_f16_f32 v38, v29;

	;;#ASMEND
	global_load_dword v6, v[10:11], off
	s_waitcnt vmcnt(0)
	v_mad_i64_i32 v[12:13], s[0:1], v6, s21, v[8:9]
	global_load_dwordx2 v[16:17], v[12:13], off
	global_load_dword v14, v7, s[14:15]
	s_mov_b64 s[0:1], 0
	s_waitcnt vmcnt(1)
	v_cmp_gt_i16_sdwa s[12:13], v16, s25 src0_sel:BYTE_0 src1_sel:DWORD
	s_and_saveexec_b64 s[16:17], s[12:13]
	s_xor_b64 s[12:13], exec, s[16:17]
	s_cbranch_execnz .LBB251_120
; %bb.53:                               ;   in Loop: Header=BB251_51 Depth=1
	s_or_saveexec_b64 s[12:13], s[12:13]
	v_mov_b32_e32 v18, s18
	s_xor_b64 exec, exec, s[12:13]
	s_cbranch_execnz .LBB251_123
.LBB251_54:                             ;   in Loop: Header=BB251_51 Depth=1
	s_or_b64 exec, exec, s[12:13]
	s_and_saveexec_b64 s[12:13], s[0:1]
	s_cbranch_execz .LBB251_56
.LBB251_55:                             ;   in Loop: Header=BB251_51 Depth=1
	v_and_b32_e32 v6, 7, v16
	v_ffbh_u32_e32 v6, v6
	v_bfe_u32 v18, v16, 3, 4
	v_min_u32_e32 v6, 32, v6
	v_subrev_u32_e32 v19, 28, v6
	v_sub_u32_e32 v6, 29, v6
	v_cmp_eq_u32_e32 vcc, 0, v18
	s_nop 1
	v_cndmask_b32_e32 v6, v18, v6, vcc
	v_cndmask_b32_e32 v18, 0, v19, vcc
	v_lshlrev_b64 v[18:19], v18, v[16:17]
	v_lshlrev_b32_e32 v19, 8, v16
	v_lshl_add_u32 v6, v6, 10, v24
	v_lshlrev_b32_e32 v18, 7, v18
	v_and_or_b32 v6, v19, s27, v6
	v_and_or_b32 v6, v18, s34, v6
	v_cvt_f32_f16_e32 v18, v6
.LBB251_56:                             ;   in Loop: Header=BB251_51 Depth=1
	s_or_b64 exec, exec, s[12:13]
	v_lshrrev_b16_e32 v6, 8, v16
	v_cmp_lt_i16_e32 vcc, s25, v6
	s_mov_b64 s[0:1], 0
                                        ; implicit-def: $sgpr18
	s_and_saveexec_b64 s[12:13], vcc
	s_xor_b64 s[12:13], exec, s[12:13]
	s_cbranch_execnz .LBB251_124
; %bb.57:                               ;   in Loop: Header=BB251_51 Depth=1
	s_or_saveexec_b64 s[12:13], s[12:13]
	v_mov_b32_e32 v20, s18
	s_xor_b64 exec, exec, s[12:13]
	s_cbranch_execnz .LBB251_127
.LBB251_58:                             ;   in Loop: Header=BB251_51 Depth=1
	s_or_b64 exec, exec, s[12:13]
	s_and_saveexec_b64 s[12:13], s[0:1]
	s_cbranch_execz .LBB251_60
.LBB251_59:                             ;   in Loop: Header=BB251_51 Depth=1
	v_and_b32_e32 v19, 7, v6
	v_ffbh_u32_e32 v20, v19
	v_min_u32_e32 v26, 32, v20
	v_subrev_u32_e32 v20, 28, v26
	v_bfe_u32 v25, v6, 3, 4
	v_lshlrev_b64 v[20:21], v20, v[6:7]
	v_sub_u32_e32 v21, 29, v26
	v_cmp_eq_u32_e32 vcc, 0, v25
	v_and_b32_e32 v20, 7, v20
	v_lshlrev_b32_e32 v6, 8, v6
	v_cndmask_b32_e32 v21, v25, v21, vcc
	v_cndmask_b32_e32 v19, v19, v20, vcc
	v_lshl_add_u32 v20, v21, 10, v24
	v_and_or_b32 v6, v6, s27, v20
	v_lshl_or_b32 v6, v19, 7, v6
	v_cvt_f32_f16_e32 v20, v6
.LBB251_60:                             ;   in Loop: Header=BB251_51 Depth=1
	s_or_b64 exec, exec, s[12:13]
	v_lshrrev_b32_e32 v6, 16, v16
	v_cmp_gt_i16_sdwa s[12:13], v6, s25 src0_sel:BYTE_0 src1_sel:DWORD
	s_mov_b64 s[0:1], 0
                                        ; implicit-def: $sgpr18
	s_and_saveexec_b64 s[16:17], s[12:13]
	s_xor_b64 s[12:13], exec, s[16:17]
	s_cbranch_execnz .LBB251_128
; %bb.61:                               ;   in Loop: Header=BB251_51 Depth=1
	s_or_saveexec_b64 s[12:13], s[12:13]
	v_mov_b32_e32 v19, s18
	s_xor_b64 exec, exec, s[12:13]
	s_cbranch_execnz .LBB251_131
.LBB251_62:                             ;   in Loop: Header=BB251_51 Depth=1
	s_or_b64 exec, exec, s[12:13]
	s_and_saveexec_b64 s[12:13], s[0:1]
	s_cbranch_execz .LBB251_64
.LBB251_63:                             ;   in Loop: Header=BB251_51 Depth=1
	v_bfe_u32 v19, v16, 16, 3
	v_ffbh_u32_e32 v25, v19
	v_bfe_u32 v21, v16, 19, 4
	v_min_u32_e32 v25, 32, v25
	v_subrev_u32_e32 v26, 28, v25
	v_sub_u32_e32 v25, 29, v25
	v_cmp_eq_u32_e32 vcc, 0, v21
	v_lshlrev_b64 v[26:27], v26, v[6:7]
	v_and_b32_e32 v26, 7, v26
	v_cndmask_b32_e32 v21, v21, v25, vcc
	v_lshlrev_b32_e32 v6, 8, v6
	v_lshl_add_u32 v21, v21, 10, v24
	v_cndmask_b32_e32 v19, v19, v26, vcc
	v_and_or_b32 v6, v6, s27, v21
	v_lshl_or_b32 v6, v19, 7, v6
	v_cvt_f32_f16_e32 v19, v6
.LBB251_64:                             ;   in Loop: Header=BB251_51 Depth=1
	s_or_b64 exec, exec, s[12:13]
	v_lshrrev_b32_e32 v6, 24, v16
	v_cmp_lt_i16_e32 vcc, s25, v6
	s_mov_b64 s[0:1], 0
                                        ; implicit-def: $sgpr18
	s_and_saveexec_b64 s[12:13], vcc
	s_xor_b64 s[12:13], exec, s[12:13]
	s_cbranch_execnz .LBB251_132
; %bb.65:                               ;   in Loop: Header=BB251_51 Depth=1
	s_or_saveexec_b64 s[12:13], s[12:13]
	v_mov_b32_e32 v21, s18
	s_xor_b64 exec, exec, s[12:13]
	s_cbranch_execnz .LBB251_135
.LBB251_66:                             ;   in Loop: Header=BB251_51 Depth=1
	s_or_b64 exec, exec, s[12:13]
	s_and_saveexec_b64 s[12:13], s[0:1]
	s_cbranch_execz .LBB251_68
.LBB251_67:                             ;   in Loop: Header=BB251_51 Depth=1
	v_bfe_u32 v21, v16, 24, 3
	v_ffbh_u32_e32 v25, v21
	v_bfe_u32 v16, v16, 27, 4
	v_min_u32_e32 v25, 32, v25
	v_subrev_u32_e32 v26, 28, v25
	v_sub_u32_e32 v25, 29, v25
	v_cmp_eq_u32_e32 vcc, 0, v16
	v_lshlrev_b64 v[26:27], v26, v[6:7]
	v_and_b32_e32 v26, 7, v26
	v_cndmask_b32_e32 v16, v16, v25, vcc
	v_lshlrev_b32_e32 v6, 8, v6
	v_lshl_add_u32 v16, v16, 10, v24
	v_cndmask_b32_e32 v21, v21, v26, vcc
	v_and_or_b32 v6, v6, s27, v16
	v_lshl_or_b32 v6, v21, 7, v6
	v_cvt_f32_f16_e32 v21, v6
.LBB251_68:                             ;   in Loop: Header=BB251_51 Depth=1
	s_or_b64 exec, exec, s[12:13]
	v_cmp_gt_i16_sdwa s[12:13], v17, s25 src0_sel:BYTE_0 src1_sel:DWORD
	s_mov_b64 s[0:1], 0
                                        ; implicit-def: $sgpr18
	s_and_saveexec_b64 s[16:17], s[12:13]
	s_xor_b64 s[12:13], exec, s[16:17]
	s_cbranch_execnz .LBB251_136
; %bb.69:                               ;   in Loop: Header=BB251_51 Depth=1
	s_or_saveexec_b64 s[12:13], s[12:13]
	v_mov_b32_e32 v16, s18
	s_xor_b64 exec, exec, s[12:13]
	s_cbranch_execnz .LBB251_139
.LBB251_70:                             ;   in Loop: Header=BB251_51 Depth=1
	s_or_b64 exec, exec, s[12:13]
	v_mov_b32_e32 v6, v17
	s_and_saveexec_b64 s[12:13], s[0:1]
	s_cbranch_execz .LBB251_72
.LBB251_71:                             ;   in Loop: Header=BB251_51 Depth=1
	v_and_b32_e32 v16, 7, v17
	v_ffbh_u32_e32 v16, v16
	v_bfe_u32 v25, v17, 3, 4
	v_min_u32_e32 v16, 32, v16
	v_subrev_u32_e32 v26, 28, v16
	v_sub_u32_e32 v16, 29, v16
	v_cmp_eq_u32_e32 vcc, 0, v25
	s_nop 1
	v_cndmask_b32_e32 v16, v25, v16, vcc
	v_cndmask_b32_e32 v25, 0, v26, vcc
	v_lshlrev_b64 v[26:27], v25, v[6:7]
	v_lshlrev_b32_e32 v25, 7, v26
	v_lshlrev_b32_e32 v26, 8, v17
	v_lshl_add_u32 v16, v16, 10, v24
	v_and_or_b32 v16, v26, s27, v16
	v_and_or_b32 v16, v25, s34, v16
	v_cvt_f32_f16_e32 v16, v16
.LBB251_72:                             ;   in Loop: Header=BB251_51 Depth=1
	s_or_b64 exec, exec, s[12:13]
	v_lshrrev_b16_e32 v6, 8, v6
	v_cmp_lt_i16_e32 vcc, s25, v6
	s_mov_b64 s[0:1], 0
                                        ; implicit-def: $sgpr18
	s_and_saveexec_b64 s[12:13], vcc
	s_xor_b64 s[12:13], exec, s[12:13]
	s_cbranch_execnz .LBB251_140
; %bb.73:                               ;   in Loop: Header=BB251_51 Depth=1
	s_or_saveexec_b64 s[12:13], s[12:13]
	v_mov_b32_e32 v25, s18
	s_xor_b64 exec, exec, s[12:13]
	s_cbranch_execnz .LBB251_143
.LBB251_74:                             ;   in Loop: Header=BB251_51 Depth=1
	s_or_b64 exec, exec, s[12:13]
	s_and_saveexec_b64 s[12:13], s[0:1]
	s_cbranch_execz .LBB251_76
.LBB251_75:                             ;   in Loop: Header=BB251_51 Depth=1
	v_and_b32_e32 v25, 7, v6
	v_ffbh_u32_e32 v26, v25
	v_min_u32_e32 v29, 32, v26
	v_subrev_u32_e32 v26, 28, v29
	v_bfe_u32 v28, v6, 3, 4
	v_lshlrev_b64 v[26:27], v26, v[6:7]
	v_sub_u32_e32 v27, 29, v29
	v_cmp_eq_u32_e32 vcc, 0, v28
	v_and_b32_e32 v26, 7, v26
	v_lshlrev_b32_e32 v6, 8, v6
	v_cndmask_b32_e32 v27, v28, v27, vcc
	v_cndmask_b32_e32 v25, v25, v26, vcc
	v_lshl_add_u32 v26, v27, 10, v24
	v_and_or_b32 v6, v6, s27, v26
	v_lshl_or_b32 v6, v25, 7, v6
	v_cvt_f32_f16_e32 v25, v6
.LBB251_76:                             ;   in Loop: Header=BB251_51 Depth=1
	s_or_b64 exec, exec, s[12:13]
	v_lshrrev_b32_e32 v6, 16, v17
	v_cmp_gt_i16_sdwa s[12:13], v6, s25 src0_sel:BYTE_0 src1_sel:DWORD
	s_mov_b64 s[0:1], 0
                                        ; implicit-def: $sgpr18
	s_and_saveexec_b64 s[16:17], s[12:13]
	s_xor_b64 s[12:13], exec, s[16:17]
	s_cbranch_execnz .LBB251_144
; %bb.77:                               ;   in Loop: Header=BB251_51 Depth=1
	s_or_saveexec_b64 s[12:13], s[12:13]
	v_mov_b32_e32 v26, s18
	s_xor_b64 exec, exec, s[12:13]
	s_cbranch_execnz .LBB251_147
.LBB251_78:                             ;   in Loop: Header=BB251_51 Depth=1
	s_or_b64 exec, exec, s[12:13]
	s_and_saveexec_b64 s[12:13], s[0:1]
	s_cbranch_execz .LBB251_80
.LBB251_79:                             ;   in Loop: Header=BB251_51 Depth=1
	v_bfe_u32 v28, v17, 16, 3
	v_ffbh_u32_e32 v26, v28
	v_min_u32_e32 v33, 32, v26
	v_subrev_u32_e32 v26, 28, v33
	v_bfe_u32 v29, v17, 19, 4
	v_lshlrev_b64 v[26:27], v26, v[6:7]
	v_sub_u32_e32 v27, 29, v33
	v_cmp_eq_u32_e32 vcc, 0, v29
	v_and_b32_e32 v26, 7, v26
	v_lshlrev_b32_e32 v6, 8, v6
	v_cndmask_b32_e32 v27, v29, v27, vcc
	v_lshl_add_u32 v27, v27, 10, v24
	v_cndmask_b32_e32 v26, v28, v26, vcc
	v_and_or_b32 v6, v6, s27, v27
	v_lshl_or_b32 v6, v26, 7, v6
	v_cvt_f32_f16_e32 v26, v6
.LBB251_80:                             ;   in Loop: Header=BB251_51 Depth=1
	s_or_b64 exec, exec, s[12:13]
	v_lshrrev_b32_e32 v6, 24, v17
	v_cmp_lt_i16_e32 vcc, s25, v6
	s_mov_b64 s[0:1], 0
                                        ; implicit-def: $sgpr18
	s_and_saveexec_b64 s[12:13], vcc
	s_xor_b64 s[12:13], exec, s[12:13]
	s_cbranch_execnz .LBB251_148
; %bb.81:                               ;   in Loop: Header=BB251_51 Depth=1
	s_or_saveexec_b64 s[12:13], s[12:13]
	v_mov_b32_e32 v27, s18
	s_xor_b64 exec, exec, s[12:13]
	s_cbranch_execnz .LBB251_151
.LBB251_82:                             ;   in Loop: Header=BB251_51 Depth=1
	s_or_b64 exec, exec, s[12:13]
	s_and_saveexec_b64 s[12:13], s[0:1]
	s_cbranch_execz .LBB251_84
.LBB251_83:                             ;   in Loop: Header=BB251_51 Depth=1
	v_bfe_u32 v27, v17, 24, 3
	v_ffbh_u32_e32 v28, v27
	v_min_u32_e32 v33, 32, v28
	v_subrev_u32_e32 v28, 28, v33
	v_bfe_u32 v17, v17, 27, 4
	v_lshlrev_b64 v[28:29], v28, v[6:7]
	v_sub_u32_e32 v29, 29, v33
	v_cmp_eq_u32_e32 vcc, 0, v17
	v_and_b32_e32 v28, 7, v28
	v_lshlrev_b32_e32 v6, 8, v6
	v_cndmask_b32_e32 v17, v17, v29, vcc
	v_lshl_add_u32 v17, v17, 10, v24
	v_cndmask_b32_e32 v27, v27, v28, vcc
	v_and_or_b32 v6, v6, s27, v17
	v_lshl_or_b32 v6, v27, 7, v6
	v_cvt_f32_f16_e32 v27, v6
.LBB251_84:                             ;   in Loop: Header=BB251_51 Depth=1
	s_or_b64 exec, exec, s[12:13]
	s_waitcnt vmcnt(0)
	v_pk_mul_f32 v[20:21], v[14:15], v[20:21] op_sel_hi:[0,1]
	v_pk_mul_f32 v[18:19], v[14:15], v[18:19] op_sel_hi:[0,1]
	v_cvt_f16_f32_e32 v6, v21
	v_cvt_f16_f32_e32 v17, v20
	;; [unrolled: 1-line block ×4, first 2 shown]
	v_fma_mixlo_f16 v16, v14, v16, 0
	v_pack_b32_f16 v17, v17, v6
	v_cmp_eq_u32_e32 vcc, s24, v2
	v_pack_b32_f16 v18, v18, v19
	v_perm_b32 v6, v18, v17, s36
	v_perm_b32 v17, v18, v17, s37
	v_fma_mixlo_f16 v18, v14, v25, 0
	v_lshlrev_b32_e32 v18, 16, v18
	v_or_b32_sdwa v16, v18, v16 dst_sel:DWORD dst_unused:UNUSED_PAD src0_sel:DWORD src1_sel:WORD_0
	v_fma_mixlo_f16 v18, v14, v26, 0
	v_fma_mixlo_f16 v14, v14, v27, 0
	v_lshlrev_b32_e32 v14, 16, v14
	v_or_b32_sdwa v14, v14, v18 dst_sel:DWORD dst_unused:UNUSED_PAD src0_sel:DWORD src1_sel:WORD_0
	v_add_u32_e32 v29, 1, v15
	v_or_b32_e32 v28, 3, v15
	v_or_b32_e32 v27, 2, v15
	;; [unrolled: 1-line block ×6, first 2 shown]
	s_and_saveexec_b64 s[12:13], vcc
	s_cbranch_execz .LBB251_86
; %bb.85:                               ;   in Loop: Header=BB251_51 Depth=1
	v_lshrrev_b32_e32 v19, 16, v17
	v_cmp_gt_i32_e64 s[0:1], s22, v29
	v_lshrrev_b32_e32 v14, 16, v14
	s_nop 0
	v_cndmask_b32_e64 v19, 0, v19, s[0:1]
	v_cmp_gt_i32_e64 s[0:1], s33, v15
	s_nop 1
	v_cndmask_b32_e64 v17, 0, v17, s[0:1]
	v_perm_b32 v17, v19, v17, s38
	v_lshrrev_b32_e32 v19, 16, v6
	v_cmp_gt_i32_e64 s[0:1], s22, v28
	s_nop 1
	v_cndmask_b32_e64 v19, 0, v19, s[0:1]
	v_cmp_gt_i32_e64 s[0:1], s33, v27
	s_nop 1
	v_cndmask_b32_e64 v6, 0, v6, s[0:1]
	v_perm_b32 v6, v19, v6, s38
	v_lshrrev_b32_e32 v19, 16, v16
	v_cmp_gt_i32_e64 s[0:1], s22, v26
	s_nop 1
	v_cndmask_b32_e64 v19, 0, v19, s[0:1]
	v_cmp_gt_i32_e64 s[0:1], s33, v25
	s_nop 1
	v_cndmask_b32_e64 v16, 0, v16, s[0:1]
	v_cmp_gt_i32_e64 s[0:1], s22, v21
	v_perm_b32 v16, v19, v16, s38
	s_nop 0
	v_cndmask_b32_e64 v14, 0, v14, s[0:1]
	v_cmp_gt_i32_e64 s[0:1], s33, v20
	s_nop 1
	v_cndmask_b32_e64 v18, 0, v18, s[0:1]
	v_perm_b32 v14, v14, v18, s38
.LBB251_86:                             ;   in Loop: Header=BB251_51 Depth=1
	s_or_b64 exec, exec, s[12:13]
	v_and_b32_e32 v18, 0xffff, v30
	v_lshl_or_b32 v33, v31, 16, v18
	v_and_b32_e32 v18, 0xffff, v32
	v_lshl_or_b32 v32, v34, 16, v18
	;; [unrolled: 2-line block ×3, first 2 shown]
	v_and_b32_e32 v18, 0xffff, v37
	;;#ASMSTART
	v_pk_mul_f16 v17, v33, v17;

	;;#ASMEND
	;;#ASMSTART
	v_pk_mul_f16 v6, v32, v6;

	;;#ASMEND
	v_lshl_or_b32 v30, v38, 16, v18
	;;#ASMSTART
	v_pk_mul_f16 v16, v31, v16;

	;;#ASMEND
	;;#ASMSTART
	v_pk_mul_f16 v14, v30, v14;

	;;#ASMEND
	;;#ASMSTART
	v_pk_add_f16 v6, v17, v6;

	;;#ASMEND
	s_mov_b64 s[0:1], 0
	;;#ASMSTART
	v_pk_add_f16 v6, v6, v16;

	;;#ASMEND
                                        ; implicit-def: $sgpr18
	s_nop 0
	;;#ASMSTART
	v_pk_add_f16 v6, v6, v14;

	;;#ASMEND
	s_nop 0
	v_lshrrev_b32_e32 v14, 16, v6
	v_and_b32_e32 v6, 0xffff, v6
	;;#ASMSTART
	v_cvt_f32_f16 v34, v6;
	;;#ASMEND
	;;#ASMSTART
	v_cvt_f32_f16 v35, v14;
	;;#ASMEND
	global_load_dwordx2 v[16:17], v[12:13], off offset:512
	global_load_dword v14, v7, s[14:15]
	s_waitcnt vmcnt(1)
	v_cmp_gt_i16_sdwa s[12:13], v16, s25 src0_sel:BYTE_0 src1_sel:DWORD
	s_and_saveexec_b64 s[16:17], s[12:13]
	s_xor_b64 s[12:13], exec, s[16:17]
	s_cbranch_execnz .LBB251_152
; %bb.87:                               ;   in Loop: Header=BB251_51 Depth=1
	s_or_saveexec_b64 s[12:13], s[12:13]
	v_mov_b32_e32 v12, s18
	s_xor_b64 exec, exec, s[12:13]
	s_cbranch_execnz .LBB251_155
.LBB251_88:                             ;   in Loop: Header=BB251_51 Depth=1
	s_or_b64 exec, exec, s[12:13]
	s_and_saveexec_b64 s[12:13], s[0:1]
	s_cbranch_execz .LBB251_90
.LBB251_89:                             ;   in Loop: Header=BB251_51 Depth=1
	v_and_b32_e32 v6, 7, v16
	v_ffbh_u32_e32 v6, v6
	v_bfe_u32 v12, v16, 3, 4
	v_min_u32_e32 v6, 32, v6
	v_subrev_u32_e32 v13, 28, v6
	v_sub_u32_e32 v6, 29, v6
	v_cmp_eq_u32_e64 s[0:1], 0, v12
	s_nop 1
	v_cndmask_b32_e64 v6, v12, v6, s[0:1]
	v_cndmask_b32_e64 v12, 0, v13, s[0:1]
	v_lshlrev_b64 v[12:13], v12, v[16:17]
	v_lshlrev_b32_e32 v13, 8, v16
	v_lshl_add_u32 v6, v6, 10, v24
	v_lshlrev_b32_e32 v12, 7, v12
	v_and_or_b32 v6, v13, s27, v6
	v_and_or_b32 v6, v12, s34, v6
	v_cvt_f32_f16_e32 v12, v6
.LBB251_90:                             ;   in Loop: Header=BB251_51 Depth=1
	s_or_b64 exec, exec, s[12:13]
	v_lshrrev_b16_e32 v6, 8, v16
	v_cmp_lt_i16_e64 s[0:1], s25, v6
	s_mov_b64 s[12:13], 0
                                        ; implicit-def: $sgpr39
	s_and_saveexec_b64 s[16:17], s[0:1]
	s_xor_b64 s[16:17], exec, s[16:17]
	s_cbranch_execnz .LBB251_156
; %bb.91:                               ;   in Loop: Header=BB251_51 Depth=1
	s_or_saveexec_b64 s[16:17], s[16:17]
	v_mov_b32_e32 v18, s39
	s_xor_b64 exec, exec, s[16:17]
	s_cbranch_execnz .LBB251_159
.LBB251_92:                             ;   in Loop: Header=BB251_51 Depth=1
	s_or_b64 exec, exec, s[16:17]
	s_and_saveexec_b64 s[16:17], s[12:13]
	s_cbranch_execz .LBB251_94
.LBB251_93:                             ;   in Loop: Header=BB251_51 Depth=1
	v_and_b32_e32 v13, 7, v6
	v_ffbh_u32_e32 v18, v13
	v_min_u32_e32 v37, 32, v18
	v_subrev_u32_e32 v18, 28, v37
	v_bfe_u32 v36, v6, 3, 4
	v_lshlrev_b64 v[18:19], v18, v[6:7]
	v_sub_u32_e32 v19, 29, v37
	v_cmp_eq_u32_e64 s[0:1], 0, v36
	v_and_b32_e32 v18, 7, v18
	v_lshlrev_b32_e32 v6, 8, v6
	v_cndmask_b32_e64 v19, v36, v19, s[0:1]
	v_cndmask_b32_e64 v13, v13, v18, s[0:1]
	v_lshl_add_u32 v18, v19, 10, v24
	v_and_or_b32 v6, v6, s27, v18
	v_lshl_or_b32 v6, v13, 7, v6
	v_cvt_f32_f16_e32 v18, v6
.LBB251_94:                             ;   in Loop: Header=BB251_51 Depth=1
	s_or_b64 exec, exec, s[16:17]
	v_lshrrev_b32_e32 v6, 16, v16
	v_cmp_gt_i16_sdwa s[12:13], v6, s25 src0_sel:BYTE_0 src1_sel:DWORD
	s_mov_b64 s[0:1], 0
                                        ; implicit-def: $sgpr18
	s_and_saveexec_b64 s[16:17], s[12:13]
	s_xor_b64 s[12:13], exec, s[16:17]
	s_cbranch_execnz .LBB251_160
; %bb.95:                               ;   in Loop: Header=BB251_51 Depth=1
	s_or_saveexec_b64 s[12:13], s[12:13]
	v_mov_b32_e32 v13, s18
	s_xor_b64 exec, exec, s[12:13]
	s_cbranch_execnz .LBB251_163
.LBB251_96:                             ;   in Loop: Header=BB251_51 Depth=1
	s_or_b64 exec, exec, s[12:13]
	s_and_saveexec_b64 s[12:13], s[0:1]
	s_cbranch_execz .LBB251_98
.LBB251_97:                             ;   in Loop: Header=BB251_51 Depth=1
	v_bfe_u32 v13, v16, 16, 3
	v_ffbh_u32_e32 v36, v13
	v_min_u32_e32 v38, 32, v36
	v_subrev_u32_e32 v36, 28, v38
	v_bfe_u32 v19, v16, 19, 4
	v_lshlrev_b64 v[36:37], v36, v[6:7]
	v_sub_u32_e32 v37, 29, v38
	v_cmp_eq_u32_e64 s[0:1], 0, v19
	v_and_b32_e32 v36, 7, v36
	v_lshlrev_b32_e32 v6, 8, v6
	v_cndmask_b32_e64 v19, v19, v37, s[0:1]
	v_lshl_add_u32 v19, v19, 10, v24
	v_cndmask_b32_e64 v13, v13, v36, s[0:1]
	v_and_or_b32 v6, v6, s27, v19
	v_lshl_or_b32 v6, v13, 7, v6
	v_cvt_f32_f16_e32 v13, v6
.LBB251_98:                             ;   in Loop: Header=BB251_51 Depth=1
	s_or_b64 exec, exec, s[12:13]
	v_lshrrev_b32_e32 v6, 24, v16
	v_cmp_lt_i16_e64 s[0:1], s25, v6
	s_mov_b64 s[12:13], 0
                                        ; implicit-def: $sgpr39
	s_and_saveexec_b64 s[16:17], s[0:1]
	s_xor_b64 s[16:17], exec, s[16:17]
	s_cbranch_execnz .LBB251_164
; %bb.99:                               ;   in Loop: Header=BB251_51 Depth=1
	s_or_saveexec_b64 s[16:17], s[16:17]
	v_mov_b32_e32 v19, s39
	s_xor_b64 exec, exec, s[16:17]
	s_cbranch_execnz .LBB251_167
.LBB251_100:                            ;   in Loop: Header=BB251_51 Depth=1
	s_or_b64 exec, exec, s[16:17]
	s_and_saveexec_b64 s[16:17], s[12:13]
	s_cbranch_execz .LBB251_102
.LBB251_101:                            ;   in Loop: Header=BB251_51 Depth=1
	v_bfe_u32 v19, v16, 24, 3
	v_ffbh_u32_e32 v36, v19
	v_min_u32_e32 v38, 32, v36
	v_subrev_u32_e32 v36, 28, v38
	v_bfe_u32 v16, v16, 27, 4
	v_lshlrev_b64 v[36:37], v36, v[6:7]
	v_sub_u32_e32 v37, 29, v38
	v_cmp_eq_u32_e64 s[0:1], 0, v16
	v_and_b32_e32 v36, 7, v36
	v_lshlrev_b32_e32 v6, 8, v6
	v_cndmask_b32_e64 v16, v16, v37, s[0:1]
	v_lshl_add_u32 v16, v16, 10, v24
	v_cndmask_b32_e64 v19, v19, v36, s[0:1]
	v_and_or_b32 v6, v6, s27, v16
	v_lshl_or_b32 v6, v19, 7, v6
	v_cvt_f32_f16_e32 v19, v6
.LBB251_102:                            ;   in Loop: Header=BB251_51 Depth=1
	s_or_b64 exec, exec, s[16:17]
	v_cmp_gt_i16_sdwa s[12:13], v17, s25 src0_sel:BYTE_0 src1_sel:DWORD
	s_mov_b64 s[0:1], 0
                                        ; implicit-def: $sgpr18
	s_and_saveexec_b64 s[16:17], s[12:13]
	s_xor_b64 s[12:13], exec, s[16:17]
	s_cbranch_execnz .LBB251_168
; %bb.103:                              ;   in Loop: Header=BB251_51 Depth=1
	s_or_saveexec_b64 s[12:13], s[12:13]
	v_mov_b32_e32 v16, s18
	s_xor_b64 exec, exec, s[12:13]
	s_cbranch_execnz .LBB251_171
.LBB251_104:                            ;   in Loop: Header=BB251_51 Depth=1
	s_or_b64 exec, exec, s[12:13]
	v_mov_b32_e32 v6, v17
	s_and_saveexec_b64 s[12:13], s[0:1]
	s_cbranch_execz .LBB251_106
.LBB251_105:                            ;   in Loop: Header=BB251_51 Depth=1
	v_and_b32_e32 v16, 7, v17
	v_ffbh_u32_e32 v16, v16
	v_bfe_u32 v36, v17, 3, 4
	v_min_u32_e32 v16, 32, v16
	v_subrev_u32_e32 v37, 28, v16
	v_sub_u32_e32 v16, 29, v16
	v_cmp_eq_u32_e64 s[0:1], 0, v36
	s_nop 1
	v_cndmask_b32_e64 v16, v36, v16, s[0:1]
	v_cndmask_b32_e64 v36, 0, v37, s[0:1]
	v_lshlrev_b64 v[36:37], v36, v[6:7]
	v_lshlrev_b32_e32 v37, 8, v17
	v_lshl_add_u32 v16, v16, 10, v24
	v_lshlrev_b32_e32 v36, 7, v36
	v_and_or_b32 v16, v37, s27, v16
	v_and_or_b32 v16, v36, s34, v16
	v_cvt_f32_f16_e32 v16, v16
.LBB251_106:                            ;   in Loop: Header=BB251_51 Depth=1
	s_or_b64 exec, exec, s[12:13]
	v_lshrrev_b16_e32 v6, 8, v6
	v_cmp_lt_i16_e64 s[0:1], s25, v6
	s_mov_b64 s[12:13], 0
                                        ; implicit-def: $sgpr39
	s_and_saveexec_b64 s[16:17], s[0:1]
	s_xor_b64 s[16:17], exec, s[16:17]
	s_cbranch_execnz .LBB251_172
; %bb.107:                              ;   in Loop: Header=BB251_51 Depth=1
	s_or_saveexec_b64 s[16:17], s[16:17]
	v_mov_b32_e32 v36, s39
	s_xor_b64 exec, exec, s[16:17]
	s_cbranch_execnz .LBB251_175
.LBB251_108:                            ;   in Loop: Header=BB251_51 Depth=1
	s_or_b64 exec, exec, s[16:17]
	s_and_saveexec_b64 s[16:17], s[12:13]
	s_cbranch_execz .LBB251_110
.LBB251_109:                            ;   in Loop: Header=BB251_51 Depth=1
	v_and_b32_e32 v38, 7, v6
	v_ffbh_u32_e32 v36, v38
	v_min_u32_e32 v40, 32, v36
	v_subrev_u32_e32 v36, 28, v40
	v_bfe_u32 v39, v6, 3, 4
	v_lshlrev_b64 v[36:37], v36, v[6:7]
	v_sub_u32_e32 v37, 29, v40
	v_cmp_eq_u32_e64 s[0:1], 0, v39
	v_and_b32_e32 v36, 7, v36
	v_lshlrev_b32_e32 v6, 8, v6
	v_cndmask_b32_e64 v37, v39, v37, s[0:1]
	v_lshl_add_u32 v37, v37, 10, v24
	v_cndmask_b32_e64 v36, v38, v36, s[0:1]
	v_and_or_b32 v6, v6, s27, v37
	v_lshl_or_b32 v6, v36, 7, v6
	v_cvt_f32_f16_e32 v36, v6
.LBB251_110:                            ;   in Loop: Header=BB251_51 Depth=1
	s_or_b64 exec, exec, s[16:17]
	v_lshrrev_b32_e32 v6, 16, v17
	v_cmp_gt_i16_sdwa s[12:13], v6, s25 src0_sel:BYTE_0 src1_sel:DWORD
	s_mov_b64 s[0:1], 0
                                        ; implicit-def: $sgpr18
	s_and_saveexec_b64 s[16:17], s[12:13]
	s_xor_b64 s[12:13], exec, s[16:17]
	s_cbranch_execnz .LBB251_176
; %bb.111:                              ;   in Loop: Header=BB251_51 Depth=1
	s_or_saveexec_b64 s[12:13], s[12:13]
	v_mov_b32_e32 v37, s18
	s_xor_b64 exec, exec, s[12:13]
	s_cbranch_execnz .LBB251_179
.LBB251_112:                            ;   in Loop: Header=BB251_51 Depth=1
	s_or_b64 exec, exec, s[12:13]
	s_and_saveexec_b64 s[12:13], s[0:1]
	s_cbranch_execz .LBB251_114
.LBB251_113:                            ;   in Loop: Header=BB251_51 Depth=1
	v_bfe_u32 v37, v17, 16, 3
	v_ffbh_u32_e32 v38, v37
	v_min_u32_e32 v41, 32, v38
	v_subrev_u32_e32 v38, 28, v41
	v_bfe_u32 v40, v17, 19, 4
	v_lshlrev_b64 v[38:39], v38, v[6:7]
	v_sub_u32_e32 v39, 29, v41
	v_cmp_eq_u32_e64 s[0:1], 0, v40
	v_and_b32_e32 v38, 7, v38
	v_lshlrev_b32_e32 v6, 8, v6
	v_cndmask_b32_e64 v39, v40, v39, s[0:1]
	v_cndmask_b32_e64 v37, v37, v38, s[0:1]
	v_lshl_add_u32 v38, v39, 10, v24
	v_and_or_b32 v6, v6, s27, v38
	v_lshl_or_b32 v6, v37, 7, v6
	v_cvt_f32_f16_e32 v37, v6
.LBB251_114:                            ;   in Loop: Header=BB251_51 Depth=1
	s_or_b64 exec, exec, s[12:13]
	v_lshrrev_b32_e32 v6, 24, v17
	v_cmp_lt_i16_e64 s[0:1], s25, v6
	s_mov_b64 s[12:13], 0
                                        ; implicit-def: $sgpr39
	s_and_saveexec_b64 s[16:17], s[0:1]
	s_xor_b64 s[16:17], exec, s[16:17]
	s_cbranch_execnz .LBB251_180
; %bb.115:                              ;   in Loop: Header=BB251_51 Depth=1
	s_or_saveexec_b64 s[16:17], s[16:17]
	v_mov_b32_e32 v38, s39
	s_xor_b64 exec, exec, s[16:17]
	s_cbranch_execnz .LBB251_183
.LBB251_116:                            ;   in Loop: Header=BB251_51 Depth=1
	s_or_b64 exec, exec, s[16:17]
	s_and_saveexec_b64 s[16:17], s[12:13]
	s_cbranch_execz .LBB251_118
.LBB251_117:                            ;   in Loop: Header=BB251_51 Depth=1
	v_bfe_u32 v40, v17, 24, 3
	v_ffbh_u32_e32 v38, v40
	v_min_u32_e32 v41, 32, v38
	v_subrev_u32_e32 v38, 28, v41
	v_bfe_u32 v17, v17, 27, 4
	v_lshlrev_b64 v[38:39], v38, v[6:7]
	v_sub_u32_e32 v39, 29, v41
	v_cmp_eq_u32_e64 s[0:1], 0, v17
	v_and_b32_e32 v38, 7, v38
	v_lshlrev_b32_e32 v6, 8, v6
	v_cndmask_b32_e64 v17, v17, v39, s[0:1]
	v_lshl_add_u32 v17, v17, 10, v24
	v_cndmask_b32_e64 v38, v40, v38, s[0:1]
	v_and_or_b32 v6, v6, s27, v17
	v_lshl_or_b32 v6, v38, 7, v6
	v_cvt_f32_f16_e32 v38, v6
.LBB251_118:                            ;   in Loop: Header=BB251_51 Depth=1
	s_or_b64 exec, exec, s[16:17]
	s_waitcnt vmcnt(0)
	v_pk_mul_f32 v[18:19], v[14:15], v[18:19] op_sel_hi:[0,1]
	v_pk_mul_f32 v[12:13], v[14:15], v[12:13] op_sel_hi:[0,1]
	v_cvt_f16_f32_e32 v6, v19
	v_cvt_f16_f32_e32 v17, v18
	;; [unrolled: 1-line block ×4, first 2 shown]
	v_fma_mixlo_f16 v16, v14, v16, 0
	v_pack_b32_f16 v17, v17, v6
	v_pack_b32_f16 v12, v12, v13
	v_perm_b32 v6, v12, v17, s36
	v_perm_b32 v13, v12, v17, s37
	v_fma_mixlo_f16 v12, v14, v36, 0
	v_lshlrev_b32_e32 v12, 16, v12
	v_or_b32_sdwa v12, v12, v16 dst_sel:DWORD dst_unused:UNUSED_PAD src0_sel:DWORD src1_sel:WORD_0
	v_fma_mixlo_f16 v16, v14, v37, 0
	v_fma_mixlo_f16 v14, v14, v38, 0
	v_lshlrev_b32_e32 v14, 16, v14
	v_or_b32_sdwa v14, v14, v16 dst_sel:DWORD dst_unused:UNUSED_PAD src0_sel:DWORD src1_sel:WORD_0
	s_and_saveexec_b64 s[0:1], vcc
	s_cbranch_execz .LBB251_49
; %bb.119:                              ;   in Loop: Header=BB251_51 Depth=1
	v_lshrrev_b32_e32 v17, 16, v13
	v_cmp_gt_i32_e32 vcc, s22, v29
	v_lshrrev_b32_e32 v14, 16, v14
	s_nop 0
	v_cndmask_b32_e32 v17, 0, v17, vcc
	v_cmp_gt_i32_e32 vcc, s33, v15
	s_nop 1
	v_cndmask_b32_e32 v13, 0, v13, vcc
	v_perm_b32 v13, v17, v13, s38
	v_lshrrev_b32_e32 v17, 16, v6
	v_cmp_gt_i32_e32 vcc, s22, v28
	s_nop 1
	v_cndmask_b32_e32 v17, 0, v17, vcc
	v_cmp_gt_i32_e32 vcc, s33, v27
	s_nop 1
	v_cndmask_b32_e32 v6, 0, v6, vcc
	v_perm_b32 v6, v17, v6, s38
	v_lshrrev_b32_e32 v17, 16, v12
	v_cmp_gt_i32_e32 vcc, s22, v26
	s_nop 1
	v_cndmask_b32_e32 v17, 0, v17, vcc
	v_cmp_gt_i32_e32 vcc, s33, v25
	s_nop 1
	v_cndmask_b32_e32 v12, 0, v12, vcc
	v_cmp_gt_i32_e32 vcc, s22, v21
	v_perm_b32 v12, v17, v12, s38
	s_nop 0
	v_cndmask_b32_e32 v14, 0, v14, vcc
	v_cmp_gt_i32_e32 vcc, s33, v20
	s_nop 1
	v_cndmask_b32_e32 v16, 0, v16, vcc
	v_perm_b32 v14, v14, v16, s38
	s_branch .LBB251_49
.LBB251_120:                            ;   in Loop: Header=BB251_51 Depth=1
	v_cmp_eq_u16_sdwa s[40:41], v16, s26 src0_sel:BYTE_0 src1_sel:DWORD
	s_mov_b64 s[0:1], -1
                                        ; implicit-def: $sgpr18
	s_and_saveexec_b64 s[16:17], s[40:41]
; %bb.121:                              ;   in Loop: Header=BB251_51 Depth=1
	s_mov_b32 s18, 0x7fc02000
	s_xor_b64 s[0:1], exec, -1
; %bb.122:                              ;   in Loop: Header=BB251_51 Depth=1
	s_or_b64 exec, exec, s[16:17]
	s_and_b64 s[0:1], s[0:1], exec
	s_or_saveexec_b64 s[12:13], s[12:13]
	v_mov_b32_e32 v18, s18
	s_xor_b64 exec, exec, s[12:13]
	s_cbranch_execz .LBB251_54
.LBB251_123:                            ;   in Loop: Header=BB251_51 Depth=1
	v_cmp_ne_u16_sdwa s[16:17], v16, v7 src0_sel:BYTE_0 src1_sel:DWORD
	s_andn2_b64 s[0:1], s[0:1], exec
	s_and_b64 s[16:17], s[16:17], exec
	v_mov_b32_e32 v18, 0
	s_or_b64 s[0:1], s[0:1], s[16:17]
	s_or_b64 exec, exec, s[12:13]
	s_and_saveexec_b64 s[12:13], s[0:1]
	s_cbranch_execnz .LBB251_55
	s_branch .LBB251_56
.LBB251_124:                            ;   in Loop: Header=BB251_51 Depth=1
	v_cmp_eq_u16_e32 vcc, s26, v6
	s_mov_b64 s[0:1], -1
                                        ; implicit-def: $sgpr18
	s_and_saveexec_b64 s[16:17], vcc
; %bb.125:                              ;   in Loop: Header=BB251_51 Depth=1
	s_mov_b32 s18, 0x7fc02000
	s_xor_b64 s[0:1], exec, -1
; %bb.126:                              ;   in Loop: Header=BB251_51 Depth=1
	s_or_b64 exec, exec, s[16:17]
	s_and_b64 s[0:1], s[0:1], exec
	s_or_saveexec_b64 s[12:13], s[12:13]
	v_mov_b32_e32 v20, s18
	s_xor_b64 exec, exec, s[12:13]
	s_cbranch_execz .LBB251_58
.LBB251_127:                            ;   in Loop: Header=BB251_51 Depth=1
	v_cmp_ne_u16_e32 vcc, 0, v6
	s_andn2_b64 s[0:1], s[0:1], exec
	s_and_b64 s[16:17], vcc, exec
	v_mov_b32_e32 v20, 0
	s_or_b64 s[0:1], s[0:1], s[16:17]
	s_or_b64 exec, exec, s[12:13]
	s_and_saveexec_b64 s[12:13], s[0:1]
	s_cbranch_execnz .LBB251_59
	s_branch .LBB251_60
.LBB251_128:                            ;   in Loop: Header=BB251_51 Depth=1
	v_cmp_eq_u16_sdwa s[40:41], v6, s26 src0_sel:BYTE_0 src1_sel:DWORD
	s_mov_b64 s[0:1], -1
                                        ; implicit-def: $sgpr18
	s_and_saveexec_b64 s[16:17], s[40:41]
; %bb.129:                              ;   in Loop: Header=BB251_51 Depth=1
	s_mov_b32 s18, 0x7fc02000
	s_xor_b64 s[0:1], exec, -1
; %bb.130:                              ;   in Loop: Header=BB251_51 Depth=1
	s_or_b64 exec, exec, s[16:17]
	s_and_b64 s[0:1], s[0:1], exec
	s_or_saveexec_b64 s[12:13], s[12:13]
	v_mov_b32_e32 v19, s18
	s_xor_b64 exec, exec, s[12:13]
	s_cbranch_execz .LBB251_62
.LBB251_131:                            ;   in Loop: Header=BB251_51 Depth=1
	v_cmp_ne_u16_sdwa s[16:17], v6, v7 src0_sel:BYTE_0 src1_sel:DWORD
	s_andn2_b64 s[0:1], s[0:1], exec
	s_and_b64 s[16:17], s[16:17], exec
	v_mov_b32_e32 v19, 0
	s_or_b64 s[0:1], s[0:1], s[16:17]
	s_or_b64 exec, exec, s[12:13]
	s_and_saveexec_b64 s[12:13], s[0:1]
	s_cbranch_execnz .LBB251_63
	s_branch .LBB251_64
.LBB251_132:                            ;   in Loop: Header=BB251_51 Depth=1
	v_cmp_eq_u16_e32 vcc, s26, v6
	s_mov_b64 s[0:1], -1
                                        ; implicit-def: $sgpr18
	s_and_saveexec_b64 s[16:17], vcc
; %bb.133:                              ;   in Loop: Header=BB251_51 Depth=1
	s_mov_b32 s18, 0x7fc02000
	s_xor_b64 s[0:1], exec, -1
; %bb.134:                              ;   in Loop: Header=BB251_51 Depth=1
	s_or_b64 exec, exec, s[16:17]
	s_and_b64 s[0:1], s[0:1], exec
	s_or_saveexec_b64 s[12:13], s[12:13]
	v_mov_b32_e32 v21, s18
	s_xor_b64 exec, exec, s[12:13]
	s_cbranch_execz .LBB251_66
.LBB251_135:                            ;   in Loop: Header=BB251_51 Depth=1
	v_cmp_ne_u16_e32 vcc, 0, v6
	s_andn2_b64 s[0:1], s[0:1], exec
	s_and_b64 s[16:17], vcc, exec
	v_mov_b32_e32 v21, 0
	s_or_b64 s[0:1], s[0:1], s[16:17]
	s_or_b64 exec, exec, s[12:13]
	s_and_saveexec_b64 s[12:13], s[0:1]
	s_cbranch_execnz .LBB251_67
	s_branch .LBB251_68
.LBB251_136:                            ;   in Loop: Header=BB251_51 Depth=1
	v_cmp_eq_u16_sdwa s[40:41], v17, s26 src0_sel:BYTE_0 src1_sel:DWORD
	s_mov_b64 s[0:1], -1
                                        ; implicit-def: $sgpr18
	s_and_saveexec_b64 s[16:17], s[40:41]
; %bb.137:                              ;   in Loop: Header=BB251_51 Depth=1
	s_mov_b32 s18, 0x7fc02000
	s_xor_b64 s[0:1], exec, -1
; %bb.138:                              ;   in Loop: Header=BB251_51 Depth=1
	s_or_b64 exec, exec, s[16:17]
	s_and_b64 s[0:1], s[0:1], exec
	s_or_saveexec_b64 s[12:13], s[12:13]
	v_mov_b32_e32 v16, s18
	s_xor_b64 exec, exec, s[12:13]
	s_cbranch_execz .LBB251_70
.LBB251_139:                            ;   in Loop: Header=BB251_51 Depth=1
	v_cmp_ne_u16_sdwa s[16:17], v17, v7 src0_sel:BYTE_0 src1_sel:DWORD
	s_andn2_b64 s[0:1], s[0:1], exec
	s_and_b64 s[16:17], s[16:17], exec
	v_mov_b32_e32 v16, 0
	s_or_b64 s[0:1], s[0:1], s[16:17]
	s_or_b64 exec, exec, s[12:13]
	v_mov_b32_e32 v6, v17
	s_and_saveexec_b64 s[12:13], s[0:1]
	s_cbranch_execnz .LBB251_71
	s_branch .LBB251_72
.LBB251_140:                            ;   in Loop: Header=BB251_51 Depth=1
	v_cmp_eq_u16_e32 vcc, s26, v6
	s_mov_b64 s[0:1], -1
                                        ; implicit-def: $sgpr18
	s_and_saveexec_b64 s[16:17], vcc
; %bb.141:                              ;   in Loop: Header=BB251_51 Depth=1
	s_mov_b32 s18, 0x7fc02000
	s_xor_b64 s[0:1], exec, -1
; %bb.142:                              ;   in Loop: Header=BB251_51 Depth=1
	s_or_b64 exec, exec, s[16:17]
	s_and_b64 s[0:1], s[0:1], exec
	s_or_saveexec_b64 s[12:13], s[12:13]
	v_mov_b32_e32 v25, s18
	s_xor_b64 exec, exec, s[12:13]
	s_cbranch_execz .LBB251_74
.LBB251_143:                            ;   in Loop: Header=BB251_51 Depth=1
	v_cmp_ne_u16_e32 vcc, 0, v6
	s_andn2_b64 s[0:1], s[0:1], exec
	s_and_b64 s[16:17], vcc, exec
	v_mov_b32_e32 v25, 0
	s_or_b64 s[0:1], s[0:1], s[16:17]
	s_or_b64 exec, exec, s[12:13]
	s_and_saveexec_b64 s[12:13], s[0:1]
	s_cbranch_execnz .LBB251_75
	s_branch .LBB251_76
.LBB251_144:                            ;   in Loop: Header=BB251_51 Depth=1
	v_cmp_eq_u16_sdwa s[40:41], v6, s26 src0_sel:BYTE_0 src1_sel:DWORD
	s_mov_b64 s[0:1], -1
                                        ; implicit-def: $sgpr18
	s_and_saveexec_b64 s[16:17], s[40:41]
; %bb.145:                              ;   in Loop: Header=BB251_51 Depth=1
	s_mov_b32 s18, 0x7fc02000
	s_xor_b64 s[0:1], exec, -1
; %bb.146:                              ;   in Loop: Header=BB251_51 Depth=1
	s_or_b64 exec, exec, s[16:17]
	s_and_b64 s[0:1], s[0:1], exec
	s_or_saveexec_b64 s[12:13], s[12:13]
	v_mov_b32_e32 v26, s18
	s_xor_b64 exec, exec, s[12:13]
	s_cbranch_execz .LBB251_78
.LBB251_147:                            ;   in Loop: Header=BB251_51 Depth=1
	v_cmp_ne_u16_sdwa s[16:17], v6, v7 src0_sel:BYTE_0 src1_sel:DWORD
	s_andn2_b64 s[0:1], s[0:1], exec
	s_and_b64 s[16:17], s[16:17], exec
	v_mov_b32_e32 v26, 0
	s_or_b64 s[0:1], s[0:1], s[16:17]
	s_or_b64 exec, exec, s[12:13]
	s_and_saveexec_b64 s[12:13], s[0:1]
	s_cbranch_execnz .LBB251_79
	s_branch .LBB251_80
.LBB251_148:                            ;   in Loop: Header=BB251_51 Depth=1
	v_cmp_eq_u16_e32 vcc, s26, v6
	s_mov_b64 s[0:1], -1
                                        ; implicit-def: $sgpr18
	s_and_saveexec_b64 s[16:17], vcc
; %bb.149:                              ;   in Loop: Header=BB251_51 Depth=1
	s_mov_b32 s18, 0x7fc02000
	s_xor_b64 s[0:1], exec, -1
; %bb.150:                              ;   in Loop: Header=BB251_51 Depth=1
	s_or_b64 exec, exec, s[16:17]
	s_and_b64 s[0:1], s[0:1], exec
	s_or_saveexec_b64 s[12:13], s[12:13]
	v_mov_b32_e32 v27, s18
	s_xor_b64 exec, exec, s[12:13]
	s_cbranch_execz .LBB251_82
.LBB251_151:                            ;   in Loop: Header=BB251_51 Depth=1
	v_cmp_ne_u16_e32 vcc, 0, v6
	s_andn2_b64 s[0:1], s[0:1], exec
	s_and_b64 s[16:17], vcc, exec
	v_mov_b32_e32 v27, 0
	s_or_b64 s[0:1], s[0:1], s[16:17]
	s_or_b64 exec, exec, s[12:13]
	s_and_saveexec_b64 s[12:13], s[0:1]
	s_cbranch_execnz .LBB251_83
	s_branch .LBB251_84
.LBB251_152:                            ;   in Loop: Header=BB251_51 Depth=1
	v_cmp_eq_u16_sdwa s[40:41], v16, s26 src0_sel:BYTE_0 src1_sel:DWORD
	s_mov_b64 s[0:1], -1
                                        ; implicit-def: $sgpr18
	s_and_saveexec_b64 s[16:17], s[40:41]
; %bb.153:                              ;   in Loop: Header=BB251_51 Depth=1
	s_mov_b32 s18, 0x7fc02000
	s_xor_b64 s[0:1], exec, -1
; %bb.154:                              ;   in Loop: Header=BB251_51 Depth=1
	s_or_b64 exec, exec, s[16:17]
	s_and_b64 s[0:1], s[0:1], exec
	s_or_saveexec_b64 s[12:13], s[12:13]
	v_mov_b32_e32 v12, s18
	s_xor_b64 exec, exec, s[12:13]
	s_cbranch_execz .LBB251_88
.LBB251_155:                            ;   in Loop: Header=BB251_51 Depth=1
	v_cmp_ne_u16_sdwa s[16:17], v16, v7 src0_sel:BYTE_0 src1_sel:DWORD
	s_andn2_b64 s[0:1], s[0:1], exec
	s_and_b64 s[16:17], s[16:17], exec
	v_mov_b32_e32 v12, 0
	s_or_b64 s[0:1], s[0:1], s[16:17]
	s_or_b64 exec, exec, s[12:13]
	s_and_saveexec_b64 s[12:13], s[0:1]
	s_cbranch_execnz .LBB251_89
	s_branch .LBB251_90
.LBB251_156:                            ;   in Loop: Header=BB251_51 Depth=1
	v_cmp_eq_u16_e64 s[0:1], s26, v6
	s_mov_b64 s[12:13], -1
                                        ; implicit-def: $sgpr39
	s_and_saveexec_b64 s[18:19], s[0:1]
; %bb.157:                              ;   in Loop: Header=BB251_51 Depth=1
	s_mov_b32 s39, 0x7fc02000
	s_xor_b64 s[12:13], exec, -1
; %bb.158:                              ;   in Loop: Header=BB251_51 Depth=1
	s_or_b64 exec, exec, s[18:19]
	s_and_b64 s[12:13], s[12:13], exec
	s_or_saveexec_b64 s[16:17], s[16:17]
	v_mov_b32_e32 v18, s39
	s_xor_b64 exec, exec, s[16:17]
	s_cbranch_execz .LBB251_92
.LBB251_159:                            ;   in Loop: Header=BB251_51 Depth=1
	v_cmp_ne_u16_e64 s[0:1], 0, v6
	s_andn2_b64 s[12:13], s[12:13], exec
	s_and_b64 s[0:1], s[0:1], exec
	v_mov_b32_e32 v18, 0
	s_or_b64 s[12:13], s[12:13], s[0:1]
	s_or_b64 exec, exec, s[16:17]
	s_and_saveexec_b64 s[16:17], s[12:13]
	s_cbranch_execnz .LBB251_93
	s_branch .LBB251_94
.LBB251_160:                            ;   in Loop: Header=BB251_51 Depth=1
	v_cmp_eq_u16_sdwa s[40:41], v6, s26 src0_sel:BYTE_0 src1_sel:DWORD
	s_mov_b64 s[0:1], -1
                                        ; implicit-def: $sgpr18
	s_and_saveexec_b64 s[16:17], s[40:41]
; %bb.161:                              ;   in Loop: Header=BB251_51 Depth=1
	s_mov_b32 s18, 0x7fc02000
	s_xor_b64 s[0:1], exec, -1
; %bb.162:                              ;   in Loop: Header=BB251_51 Depth=1
	s_or_b64 exec, exec, s[16:17]
	s_and_b64 s[0:1], s[0:1], exec
	s_or_saveexec_b64 s[12:13], s[12:13]
	v_mov_b32_e32 v13, s18
	s_xor_b64 exec, exec, s[12:13]
	s_cbranch_execz .LBB251_96
.LBB251_163:                            ;   in Loop: Header=BB251_51 Depth=1
	v_cmp_ne_u16_sdwa s[16:17], v6, v7 src0_sel:BYTE_0 src1_sel:DWORD
	s_andn2_b64 s[0:1], s[0:1], exec
	s_and_b64 s[16:17], s[16:17], exec
	v_mov_b32_e32 v13, 0
	s_or_b64 s[0:1], s[0:1], s[16:17]
	s_or_b64 exec, exec, s[12:13]
	s_and_saveexec_b64 s[12:13], s[0:1]
	s_cbranch_execnz .LBB251_97
	s_branch .LBB251_98
.LBB251_164:                            ;   in Loop: Header=BB251_51 Depth=1
	v_cmp_eq_u16_e64 s[0:1], s26, v6
	s_mov_b64 s[12:13], -1
                                        ; implicit-def: $sgpr39
	s_and_saveexec_b64 s[18:19], s[0:1]
; %bb.165:                              ;   in Loop: Header=BB251_51 Depth=1
	s_mov_b32 s39, 0x7fc02000
	s_xor_b64 s[12:13], exec, -1
; %bb.166:                              ;   in Loop: Header=BB251_51 Depth=1
	s_or_b64 exec, exec, s[18:19]
	s_and_b64 s[12:13], s[12:13], exec
	s_or_saveexec_b64 s[16:17], s[16:17]
	v_mov_b32_e32 v19, s39
	s_xor_b64 exec, exec, s[16:17]
	s_cbranch_execz .LBB251_100
.LBB251_167:                            ;   in Loop: Header=BB251_51 Depth=1
	v_cmp_ne_u16_e64 s[0:1], 0, v6
	s_andn2_b64 s[12:13], s[12:13], exec
	s_and_b64 s[0:1], s[0:1], exec
	v_mov_b32_e32 v19, 0
	s_or_b64 s[12:13], s[12:13], s[0:1]
	s_or_b64 exec, exec, s[16:17]
	s_and_saveexec_b64 s[16:17], s[12:13]
	s_cbranch_execnz .LBB251_101
	s_branch .LBB251_102
.LBB251_168:                            ;   in Loop: Header=BB251_51 Depth=1
	v_cmp_eq_u16_sdwa s[40:41], v17, s26 src0_sel:BYTE_0 src1_sel:DWORD
	s_mov_b64 s[0:1], -1
                                        ; implicit-def: $sgpr18
	s_and_saveexec_b64 s[16:17], s[40:41]
; %bb.169:                              ;   in Loop: Header=BB251_51 Depth=1
	s_mov_b32 s18, 0x7fc02000
	s_xor_b64 s[0:1], exec, -1
; %bb.170:                              ;   in Loop: Header=BB251_51 Depth=1
	s_or_b64 exec, exec, s[16:17]
	s_and_b64 s[0:1], s[0:1], exec
	s_or_saveexec_b64 s[12:13], s[12:13]
	v_mov_b32_e32 v16, s18
	s_xor_b64 exec, exec, s[12:13]
	s_cbranch_execz .LBB251_104
.LBB251_171:                            ;   in Loop: Header=BB251_51 Depth=1
	v_cmp_ne_u16_sdwa s[16:17], v17, v7 src0_sel:BYTE_0 src1_sel:DWORD
	s_andn2_b64 s[0:1], s[0:1], exec
	s_and_b64 s[16:17], s[16:17], exec
	v_mov_b32_e32 v16, 0
	s_or_b64 s[0:1], s[0:1], s[16:17]
	s_or_b64 exec, exec, s[12:13]
	v_mov_b32_e32 v6, v17
	s_and_saveexec_b64 s[12:13], s[0:1]
	s_cbranch_execnz .LBB251_105
	s_branch .LBB251_106
.LBB251_172:                            ;   in Loop: Header=BB251_51 Depth=1
	v_cmp_eq_u16_e64 s[0:1], s26, v6
	s_mov_b64 s[12:13], -1
                                        ; implicit-def: $sgpr39
	s_and_saveexec_b64 s[18:19], s[0:1]
; %bb.173:                              ;   in Loop: Header=BB251_51 Depth=1
	s_mov_b32 s39, 0x7fc02000
	s_xor_b64 s[12:13], exec, -1
; %bb.174:                              ;   in Loop: Header=BB251_51 Depth=1
	s_or_b64 exec, exec, s[18:19]
	s_and_b64 s[12:13], s[12:13], exec
	s_or_saveexec_b64 s[16:17], s[16:17]
	v_mov_b32_e32 v36, s39
	s_xor_b64 exec, exec, s[16:17]
	s_cbranch_execz .LBB251_108
.LBB251_175:                            ;   in Loop: Header=BB251_51 Depth=1
	v_cmp_ne_u16_e64 s[0:1], 0, v6
	s_andn2_b64 s[12:13], s[12:13], exec
	s_and_b64 s[0:1], s[0:1], exec
	v_mov_b32_e32 v36, 0
	s_or_b64 s[12:13], s[12:13], s[0:1]
	s_or_b64 exec, exec, s[16:17]
	s_and_saveexec_b64 s[16:17], s[12:13]
	s_cbranch_execnz .LBB251_109
	s_branch .LBB251_110
.LBB251_176:                            ;   in Loop: Header=BB251_51 Depth=1
	v_cmp_eq_u16_sdwa s[40:41], v6, s26 src0_sel:BYTE_0 src1_sel:DWORD
	s_mov_b64 s[0:1], -1
                                        ; implicit-def: $sgpr18
	s_and_saveexec_b64 s[16:17], s[40:41]
; %bb.177:                              ;   in Loop: Header=BB251_51 Depth=1
	s_mov_b32 s18, 0x7fc02000
	s_xor_b64 s[0:1], exec, -1
; %bb.178:                              ;   in Loop: Header=BB251_51 Depth=1
	s_or_b64 exec, exec, s[16:17]
	s_and_b64 s[0:1], s[0:1], exec
	s_or_saveexec_b64 s[12:13], s[12:13]
	v_mov_b32_e32 v37, s18
	s_xor_b64 exec, exec, s[12:13]
	s_cbranch_execz .LBB251_112
.LBB251_179:                            ;   in Loop: Header=BB251_51 Depth=1
	v_cmp_ne_u16_sdwa s[16:17], v6, v7 src0_sel:BYTE_0 src1_sel:DWORD
	s_andn2_b64 s[0:1], s[0:1], exec
	s_and_b64 s[16:17], s[16:17], exec
	v_mov_b32_e32 v37, 0
	s_or_b64 s[0:1], s[0:1], s[16:17]
	s_or_b64 exec, exec, s[12:13]
	s_and_saveexec_b64 s[12:13], s[0:1]
	s_cbranch_execnz .LBB251_113
	s_branch .LBB251_114
.LBB251_180:                            ;   in Loop: Header=BB251_51 Depth=1
	v_cmp_eq_u16_e64 s[0:1], s26, v6
	s_mov_b64 s[12:13], -1
                                        ; implicit-def: $sgpr39
	s_and_saveexec_b64 s[18:19], s[0:1]
; %bb.181:                              ;   in Loop: Header=BB251_51 Depth=1
	s_mov_b32 s39, 0x7fc02000
	s_xor_b64 s[12:13], exec, -1
; %bb.182:                              ;   in Loop: Header=BB251_51 Depth=1
	s_or_b64 exec, exec, s[18:19]
	s_and_b64 s[12:13], s[12:13], exec
	s_or_saveexec_b64 s[16:17], s[16:17]
	v_mov_b32_e32 v38, s39
	s_xor_b64 exec, exec, s[16:17]
	s_cbranch_execz .LBB251_116
.LBB251_183:                            ;   in Loop: Header=BB251_51 Depth=1
	v_cmp_ne_u16_e64 s[0:1], 0, v6
	s_andn2_b64 s[12:13], s[12:13], exec
	s_and_b64 s[0:1], s[0:1], exec
	v_mov_b32_e32 v38, 0
	s_or_b64 s[12:13], s[12:13], s[0:1]
	s_or_b64 exec, exec, s[16:17]
	s_and_saveexec_b64 s[16:17], s[12:13]
	s_cbranch_execnz .LBB251_117
	s_branch .LBB251_118
.LBB251_184:
	s_or_b64 exec, exec, s[8:9]
.LBB251_185:
	s_or_b64 exec, exec, s[2:3]
	v_and_b32_e32 v2, 0x3c0, v0
	v_cmp_eq_u32_e32 vcc, 64, v2
	s_barrier
	s_and_saveexec_b64 s[0:1], vcc
	s_cbranch_execz .LBB251_187
; %bb.186:
	v_mov_b32_e32 v2, 0x110
	v_lshl_add_u32 v3, v0, 2, v2
	v_lshl_add_u32 v2, v22, 2, v2
	ds_write_b32 v2, v4
	ds_write_b32 v3, v5
.LBB251_187:
	s_or_b64 exec, exec, s[0:1]
	v_cmp_gt_u32_e32 vcc, 64, v0
	s_waitcnt lgkmcnt(0)
	s_barrier
	s_and_saveexec_b64 s[0:1], vcc
	s_cbranch_execz .LBB251_189
; %bb.188:
	v_mov_b32_e32 v2, 0x110
	v_lshl_add_u32 v0, v0, 2, v2
	ds_read2st64_b32 v[2:3], v0 offset1:1
	s_waitcnt lgkmcnt(0)
	v_pk_add_f32 v[4:5], v[4:5], v[2:3]
.LBB251_189:
	s_or_b64 exec, exec, s[0:1]
	s_barrier
	s_and_saveexec_b64 s[0:1], vcc
	s_cbranch_execz .LBB251_191
; %bb.190:
	s_lshl_b32 s0, s6, 7
	s_ashr_i32 s1, s0, 31
	s_lshl_b64 s[0:1], s[0:1], 1
	s_add_u32 s2, s30, s0
	s_mul_i32 s0, s20, s28
	s_addc_u32 s3, s31, s1
	s_ashr_i32 s1, s0, 31
	s_lshl_b64 s[0:1], s[0:1], 1
	s_add_u32 s2, s2, s0
	s_addc_u32 s3, s3, s1
	s_lshl_b32 s0, s4, 7
	s_ashr_i32 s1, s0, 31
	s_lshl_b64 s[0:1], s[0:1], 1
	s_add_u32 s0, s2, s0
	s_addc_u32 s1, s3, s1
	;;#ASMSTART
	v_cvt_f16_f32 v0, v4;

	;;#ASMEND
	global_store_short v1, v0, s[0:1]
	;;#ASMSTART
	v_cvt_f16_f32 v0, v5;

	;;#ASMEND
	global_store_short v1, v0, s[0:1] offset:128
.LBB251_191:
	s_endpgm
	.section	.rodata,"a",@progbits
	.p2align	6, 0x0
	.amdhsa_kernel _ZN4vllm25paged_attention_v2_kernelIthLi128ELi8ELi128ELNS_18Fp8KVCacheDataTypeE1ELb1ELi512EEEvPfS2_PT_PKS3_PKT0_S9_ifPKiSB_iPKfiiiSD_SD_iiiii
		.amdhsa_group_segment_fixed_size 272
		.amdhsa_private_segment_fixed_size 0
		.amdhsa_kernarg_size 400
		.amdhsa_user_sgpr_count 2
		.amdhsa_user_sgpr_dispatch_ptr 0
		.amdhsa_user_sgpr_queue_ptr 0
		.amdhsa_user_sgpr_kernarg_segment_ptr 1
		.amdhsa_user_sgpr_dispatch_id 0
		.amdhsa_user_sgpr_kernarg_preload_length 0
		.amdhsa_user_sgpr_kernarg_preload_offset 0
		.amdhsa_user_sgpr_private_segment_size 0
		.amdhsa_uses_dynamic_stack 0
		.amdhsa_enable_private_segment 0
		.amdhsa_system_sgpr_workgroup_id_x 1
		.amdhsa_system_sgpr_workgroup_id_y 1
		.amdhsa_system_sgpr_workgroup_id_z 1
		.amdhsa_system_sgpr_workgroup_info 0
		.amdhsa_system_vgpr_workitem_id 0
		.amdhsa_next_free_vgpr 57
		.amdhsa_next_free_sgpr 56
		.amdhsa_accum_offset 60
		.amdhsa_reserve_vcc 1
		.amdhsa_float_round_mode_32 0
		.amdhsa_float_round_mode_16_64 0
		.amdhsa_float_denorm_mode_32 3
		.amdhsa_float_denorm_mode_16_64 3
		.amdhsa_dx10_clamp 1
		.amdhsa_ieee_mode 1
		.amdhsa_fp16_overflow 0
		.amdhsa_tg_split 0
		.amdhsa_exception_fp_ieee_invalid_op 0
		.amdhsa_exception_fp_denorm_src 0
		.amdhsa_exception_fp_ieee_div_zero 0
		.amdhsa_exception_fp_ieee_overflow 0
		.amdhsa_exception_fp_ieee_underflow 0
		.amdhsa_exception_fp_ieee_inexact 0
		.amdhsa_exception_int_div_zero 0
	.end_amdhsa_kernel
	.section	.text._ZN4vllm25paged_attention_v2_kernelIthLi128ELi8ELi128ELNS_18Fp8KVCacheDataTypeE1ELb1ELi512EEEvPfS2_PT_PKS3_PKT0_S9_ifPKiSB_iPKfiiiSD_SD_iiiii,"axG",@progbits,_ZN4vllm25paged_attention_v2_kernelIthLi128ELi8ELi128ELNS_18Fp8KVCacheDataTypeE1ELb1ELi512EEEvPfS2_PT_PKS3_PKT0_S9_ifPKiSB_iPKfiiiSD_SD_iiiii,comdat
.Lfunc_end251:
	.size	_ZN4vllm25paged_attention_v2_kernelIthLi128ELi8ELi128ELNS_18Fp8KVCacheDataTypeE1ELb1ELi512EEEvPfS2_PT_PKS3_PKT0_S9_ifPKiSB_iPKfiiiSD_SD_iiiii, .Lfunc_end251-_ZN4vllm25paged_attention_v2_kernelIthLi128ELi8ELi128ELNS_18Fp8KVCacheDataTypeE1ELb1ELi512EEEvPfS2_PT_PKS3_PKT0_S9_ifPKiSB_iPKfiiiSD_SD_iiiii
                                        ; -- End function
	.section	.AMDGPU.csdata,"",@progbits
; Kernel info:
; codeLenInByte = 9788
; NumSgprs: 62
; NumVgprs: 57
; NumAgprs: 0
; TotalNumVgprs: 57
; ScratchSize: 0
; MemoryBound: 0
; FloatMode: 240
; IeeeMode: 1
; LDSByteSize: 272 bytes/workgroup (compile time only)
; SGPRBlocks: 7
; VGPRBlocks: 7
; NumSGPRsForWavesPerEU: 62
; NumVGPRsForWavesPerEU: 57
; AccumOffset: 60
; Occupancy: 8
; WaveLimiterHint : 1
; COMPUTE_PGM_RSRC2:SCRATCH_EN: 0
; COMPUTE_PGM_RSRC2:USER_SGPR: 2
; COMPUTE_PGM_RSRC2:TRAP_HANDLER: 0
; COMPUTE_PGM_RSRC2:TGID_X_EN: 1
; COMPUTE_PGM_RSRC2:TGID_Y_EN: 1
; COMPUTE_PGM_RSRC2:TGID_Z_EN: 1
; COMPUTE_PGM_RSRC2:TIDIG_COMP_CNT: 0
; COMPUTE_PGM_RSRC3_GFX90A:ACCUM_OFFSET: 14
; COMPUTE_PGM_RSRC3_GFX90A:TG_SPLIT: 0
	.section	.text._ZN4vllm25paged_attention_v2_kernelIthLi192ELi8ELi128ELNS_18Fp8KVCacheDataTypeE1ELb1ELi512EEEvPfS2_PT_PKS3_PKT0_S9_ifPKiSB_iPKfiiiSD_SD_iiiii,"axG",@progbits,_ZN4vllm25paged_attention_v2_kernelIthLi192ELi8ELi128ELNS_18Fp8KVCacheDataTypeE1ELb1ELi512EEEvPfS2_PT_PKS3_PKT0_S9_ifPKiSB_iPKfiiiSD_SD_iiiii,comdat
	.protected	_ZN4vllm25paged_attention_v2_kernelIthLi192ELi8ELi128ELNS_18Fp8KVCacheDataTypeE1ELb1ELi512EEEvPfS2_PT_PKS3_PKT0_S9_ifPKiSB_iPKfiiiSD_SD_iiiii ; -- Begin function _ZN4vllm25paged_attention_v2_kernelIthLi192ELi8ELi128ELNS_18Fp8KVCacheDataTypeE1ELb1ELi512EEEvPfS2_PT_PKS3_PKT0_S9_ifPKiSB_iPKfiiiSD_SD_iiiii
	.globl	_ZN4vllm25paged_attention_v2_kernelIthLi192ELi8ELi128ELNS_18Fp8KVCacheDataTypeE1ELb1ELi512EEEvPfS2_PT_PKS3_PKT0_S9_ifPKiSB_iPKfiiiSD_SD_iiiii
	.p2align	8
	.type	_ZN4vllm25paged_attention_v2_kernelIthLi192ELi8ELi128ELNS_18Fp8KVCacheDataTypeE1ELb1ELi512EEEvPfS2_PT_PKS3_PKT0_S9_ifPKiSB_iPKfiiiSD_SD_iiiii,@function
_ZN4vllm25paged_attention_v2_kernelIthLi192ELi8ELi128ELNS_18Fp8KVCacheDataTypeE1ELb1ELi512EEEvPfS2_PT_PKS3_PKT0_S9_ifPKiSB_iPKfiiiSD_SD_iiiii: ; @_ZN4vllm25paged_attention_v2_kernelIthLi192ELi8ELi128ELNS_18Fp8KVCacheDataTypeE1ELb1ELi512EEEvPfS2_PT_PKS3_PKT0_S9_ifPKiSB_iPKfiiiSD_SD_iiiii
; %bb.0:
	s_load_dwordx2 s[6:7], s[0:1], 0x40
	s_mov_b32 s38, s3
	s_ashr_i32 s39, s3, 31
	s_lshl_b64 s[8:9], s[38:39], 2
	s_waitcnt lgkmcnt(0)
	s_add_u32 s6, s6, s8
	s_addc_u32 s7, s7, s9
	s_load_dword s39, s[6:7], 0x0
	s_lshl_b32 s51, s4, 9
	s_waitcnt lgkmcnt(0)
	s_cmp_ge_i32 s51, s39
	s_cbranch_scc1 .LBB252_257
; %bb.1:
	s_load_dword s5, s[0:1], 0x90
	s_load_dwordx2 s[44:45], s[0:1], 0x30
	s_waitcnt lgkmcnt(0)
	s_abs_i32 s7, s5
	s_abs_i32 s3, s44
	v_cvt_f32_u32_e32 v1, s3
	s_sub_i32 s8, 0, s3
	s_xor_b32 s6, s5, s44
	s_ashr_i32 s6, s6, 31
	v_rcp_iflag_f32_e32 v1, v1
	s_nop 0
	v_mul_f32_e32 v1, 0x4f7ffffe, v1
	v_cvt_u32_f32_e32 v1, v1
	s_nop 0
	v_readfirstlane_b32 s9, v1
	s_mul_i32 s8, s8, s9
	s_mul_hi_u32 s8, s9, s8
	s_add_i32 s9, s9, s8
	s_mul_hi_u32 s8, s7, s9
	s_mul_i32 s9, s8, s3
	s_sub_i32 s7, s7, s9
	s_add_i32 s10, s8, 1
	s_sub_i32 s9, s7, s3
	s_cmp_ge_u32 s7, s3
	s_cselect_b32 s8, s10, s8
	s_cselect_b32 s7, s9, s7
	s_add_i32 s9, s8, 1
	s_cmp_ge_u32 s7, s3
	s_cselect_b32 s3, s9, s8
	s_xor_b32 s3, s3, s6
	s_sub_i32 s13, s3, s6
	s_abs_i32 s12, s13
	v_cvt_f32_u32_e32 v1, s12
	s_load_dwordx2 s[6:7], s[0:1], 0x50
	s_sub_i32 s3, 0, s12
	s_abs_i32 s14, s2
	v_rcp_iflag_f32_e32 v1, v1
	s_nop 0
	v_mul_f32_e32 v1, 0x4f7ffffe, v1
	v_cvt_u32_f32_e32 v1, v1
	s_nop 0
	v_readfirstlane_b32 s8, v1
	s_mul_i32 s3, s3, s8
	s_mul_hi_u32 s3, s8, s3
	s_add_i32 s8, s8, s3
	s_waitcnt lgkmcnt(0)
	s_cmp_eq_u64 s[6:7], 0
	s_mov_b32 s3, 0
	s_cbranch_scc1 .LBB252_3
; %bb.2:
	s_ashr_i32 s3, s2, 31
	s_lshl_b64 s[10:11], s[2:3], 2
	s_add_u32 s6, s6, s10
	s_addc_u32 s7, s7, s11
	s_load_dword s3, s[6:7], 0x0
.LBB252_3:
	s_load_dwordx4 s[24:27], s[0:1], 0x0
	s_load_dwordx2 s[34:35], s[0:1], 0x10
	s_load_dwordx4 s[20:23], s[0:1], 0x20
	s_load_dwordx2 s[40:41], s[0:1], 0x38
	s_load_dword s33, s[0:1], 0x98
	s_load_dwordx4 s[16:19], s[0:1], 0x58
	s_movk_i32 s6, 0xc0
	s_mul_i32 s36, s2, 0xc0
	s_mul_hi_u32 s15, s14, s8
	v_and_b32_e32 v4, 7, v0
	s_ashr_i32 s37, s36, 31
	v_cmp_gt_u32_e32 vcc, s6, v0
	s_and_saveexec_b64 s[6:7], vcc
	s_cbranch_execz .LBB252_6
; %bb.4:
	s_load_dwordx2 s[8:9], s[0:1], 0x18
	s_waitcnt lgkmcnt(0)
	s_mul_i32 s10, s38, s16
	s_ashr_i32 s11, s10, 31
	s_lshl_b64 s[10:11], s[10:11], 1
	s_lshl_b64 s[28:29], s[36:37], 1
	v_lshrrev_b32_e32 v2, 3, v0
	s_add_u32 s10, s10, s28
	v_lshlrev_b32_e32 v3, 1, v2
	s_addc_u32 s11, s11, s29
	v_mad_u32_u24 v5, v4, 48, v3
	v_lshlrev_b32_e32 v3, 1, v4
	s_add_u32 s8, s8, s10
	v_add_u32_e32 v1, -16, v2
	v_lshl_or_b32 v2, v2, 4, v3
	v_mov_b32_e32 v3, 0
	s_addc_u32 s9, s9, s11
	v_lshl_add_u64 v[2:3], s[8:9], 0, v[2:3]
	s_mov_b64 s[8:9], 0
	s_mov_b64 s[10:11], 0x100
.LBB252_5:                              ; =>This Inner Loop Header: Depth=1
	global_load_ushort v6, v[2:3], off
	v_add_u32_e32 v1, 16, v1
	v_cmp_lt_u32_e32 vcc, 7, v1
	v_lshl_add_u64 v[2:3], v[2:3], 0, s[10:11]
	s_or_b64 s[8:9], vcc, s[8:9]
	s_waitcnt vmcnt(0)
	ds_write_b16 v5, v6
	v_add_u32_e32 v5, 32, v5
	s_andn2_b64 exec, exec, s[8:9]
	s_cbranch_execnz .LBB252_5
.LBB252_6:
	s_or_b64 exec, exec, s[6:7]
	s_ashr_i32 s6, s2, 31
	s_ashr_i32 s7, s13, 31
	s_xor_b32 s6, s6, s7
	s_mul_i32 s7, s15, s12
	s_sub_i32 s7, s14, s7
	s_add_i32 s8, s15, 1
	s_sub_i32 s9, s7, s12
	s_load_dwordx4 s[28:31], s[0:1], 0x78
	s_cmp_ge_u32 s7, s12
	s_cselect_b32 s8, s8, s15
	s_cselect_b32 s7, s9, s7
	s_add_i32 s9, s8, 1
	s_cmp_ge_u32 s7, s12
	s_cselect_b32 s7, s9, s8
	s_load_dword s8, s[0:1], 0x88
	s_waitcnt lgkmcnt(0)
	s_abs_i32 s37, s31
	v_cvt_f32_u32_e32 v1, s37
	s_xor_b32 s7, s7, s6
	s_sub_i32 s50, s7, s6
	s_sub_i32 s6, 0, s37
	v_rcp_iflag_f32_e32 v1, v1
	s_add_i32 s11, s39, -1
	s_abs_i32 s9, s11
	v_mul_f32_e32 v1, 0x4f7ffffe, v1
	v_cvt_u32_f32_e32 v1, v1
	s_barrier
	v_readfirstlane_b32 s48, v1
	s_mul_i32 s6, s6, s48
	s_mul_hi_u32 s6, s48, s6
	s_add_i32 s48, s48, s6
	s_cmp_lt_i32 s8, 0
	s_mul_hi_u32 s10, s9, s48
	s_cbranch_scc0 .LBB252_8
; %bb.7:
	s_mul_i32 s6, s28, s44
	s_add_i32 s6, s50, s6
	s_mul_i32 s6, s6, s8
	s_sub_i32 s44, 1, s6
	s_ashr_i32 s11, s11, 31
	s_ashr_i32 s31, s31, 31
	s_cbranch_execz .LBB252_9
	s_branch .LBB252_10
.LBB252_8:
                                        ; implicit-def: $sgpr44
	s_ashr_i32 s11, s11, 31
	s_ashr_i32 s31, s31, 31
.LBB252_9:
	s_mul_i32 s6, s5, s28
	s_add_i32 s6, s6, s2
	s_mul_i32 s6, s6, s8
	s_add_i32 s44, s6, 1
.LBB252_10:
	s_load_dword s6, s[0:1], 0x48
	s_load_dwordx4 s[12:15], s[0:1], 0x68
	s_mul_i32 s1, s10, s37
	s_sub_i32 s1, s9, s1
	s_xor_b32 s0, s11, s31
	s_waitcnt lgkmcnt(0)
	s_mul_i32 s42, s38, s6
	s_ashr_i32 s43, s42, 31
	s_add_i32 s6, s10, 1
	s_sub_i32 s7, s1, s37
	s_cmp_ge_u32 s1, s37
	s_cselect_b32 s6, s6, s10
	s_cselect_b32 s1, s7, s1
	s_add_i32 s7, s6, 1
	s_cmp_ge_u32 s1, s37
	s_cselect_b32 s1, s7, s6
	s_xor_b32 s1, s1, s0
	s_sub_i32 s49, s1, s0
	s_add_i32 s0, s39, 7
	s_ashr_i32 s1, s0, 31
	s_lshr_b32 s1, s1, 29
	s_add_i32 s0, s0, s1
	s_lshl_b32 s52, s4, 6
	s_ashr_i32 s16, s0, 3
	s_add_i32 s0, s52, 64
	v_lshrrev_b32_e32 v12, 6, v0
	s_min_i32 s28, s0, s16
	v_or_b32_e32 v2, s52, v12
	v_cmp_gt_i32_e64 s[0:1], s28, v2
	v_mov_b32_e32 v16, 0xff7fffff
	s_mul_i32 s50, s50, s18
	v_ashrrev_i32_e32 v3, 31, v2
	v_lshl_add_u32 v1, v12, 3, s51
	v_mbcnt_lo_u32_b32 v13, -1, 0
	s_and_saveexec_b64 s[18:19], s[0:1]
	s_cbranch_execz .LBB252_20
; %bb.11:
	s_sub_i32 s53, s49, s29
	s_ashr_i32 s7, s50, 31
	s_add_u32 s6, s20, s50
	s_addc_u32 s7, s21, s7
	s_abs_i32 s54, s30
	v_cvt_f32_u32_e32 v5, s54
	v_bfe_u32 v14, v0, 3, 3
	s_sub_i32 s8, 0, s54
	v_lshlrev_b32_e32 v10, 2, v14
	v_rcp_iflag_f32_e32 v8, v5
	v_lshl_or_b32 v10, v12, 5, v10
	v_mov_b32_e32 v5, 0
	v_add_u32_e32 v19, 0x190, v10
	v_mul_f32_e32 v8, 0x4f7ffffe, v8
	v_cvt_u32_f32_e32 v8, v8
	v_subrev_u32_e32 v10, s39, v14
	v_mbcnt_hi_u32_b32 v22, -1, v13
	v_lshlrev_b32_e32 v6, 4, v14
	v_mul_lo_u32 v9, s8, v8
	s_lshl_b64 s[8:9], s[42:43], 2
	s_add_u32 s8, s40, s8
	v_mov_b32_e32 v7, v5
	v_mul_hi_u32 v9, v8, v9
	s_addc_u32 s9, s41, s9
	v_add_u32_e32 v20, 1, v10
	v_and_b32_e32 v10, 64, v22
	v_cmp_eq_u32_e32 vcc, 0, v4
	s_mov_b32 s55, s17
	v_lshl_add_u64 v[6:7], s[6:7], 0, v[6:7]
	v_mul_u32_u24_e32 v15, 48, v4
	v_cmp_neq_f32_e64 s[6:7], s3, 0
	v_add_u32_e32 v17, v8, v9
	v_lshl_add_u64 v[8:9], v[2:3], 2, s[8:9]
	v_lshl_add_u32 v18, v12, 3, s51
	s_mov_b64 s[20:21], 0
	v_mov_b32_e32 v21, 0xff7fffff
	v_add_u32_e32 v23, 64, v10
	v_xor_b32_e32 v24, 4, v22
	v_xor_b32_e32 v25, 2, v22
	;; [unrolled: 1-line block ×3, first 2 shown]
	v_mov_b32_e32 v16, 0xff7fffff
	v_mov_b32_e32 v27, v2
	s_branch .LBB252_14
.LBB252_12:                             ;   in Loop: Header=BB252_14 Depth=1
	s_or_b64 exec, exec, s[46:47]
.LBB252_13:                             ;   in Loop: Header=BB252_14 Depth=1
	s_or_b64 exec, exec, s[10:11]
	v_add_u32_e32 v27, 2, v27
	v_cmp_le_i32_e64 s[8:9], s28, v27
	v_lshl_add_u64 v[8:9], v[8:9], 0, 8
	v_add_u32_e32 v18, 16, v18
	s_or_b64 s[20:21], s[8:9], s[20:21]
	v_add_u32_e32 v19, 64, v19
	s_andn2_b64 exec, exec, s[20:21]
	s_cbranch_execz .LBB252_19
.LBB252_14:                             ; =>This Inner Loop Header: Depth=1
	s_waitcnt lgkmcnt(0)
	v_sub_u32_e32 v11, 0, v18
	v_max_i32_e32 v11, v18, v11
	v_mul_hi_u32 v28, v11, s48
	v_mul_lo_u32 v29, v28, s37
	v_sub_u32_e32 v11, v11, v29
	v_add_u32_e32 v29, 1, v28
	v_cmp_le_u32_e64 s[8:9], s37, v11
	v_ashrrev_i32_e32 v10, 31, v18
	v_xor_b32_e32 v10, s31, v10
	v_cndmask_b32_e64 v28, v28, v29, s[8:9]
	v_subrev_u32_e32 v29, s37, v11
	v_cndmask_b32_e64 v11, v11, v29, s[8:9]
	v_add_u32_e32 v29, 1, v28
	v_cmp_le_u32_e64 s[8:9], s37, v11
	s_nop 1
	v_cndmask_b32_e64 v11, v28, v29, s[8:9]
	v_xor_b32_e32 v11, v11, v10
	v_sub_u32_e32 v10, v11, v10
	v_add_u32_e32 v11, s44, v10
	v_sub_u32_e32 v29, 0, v11
	v_ashrrev_i32_e32 v28, 31, v11
	v_max_i32_e32 v11, v11, v29
	v_mul_hi_u32 v29, v11, v17
	v_mul_lo_u32 v29, v29, s54
	v_sub_u32_e32 v11, v11, v29
	v_subrev_u32_e32 v29, s54, v11
	v_cmp_le_u32_e64 s[8:9], s54, v11
	v_cmp_ge_i32_e64 s[10:11], s53, v10
	s_nop 0
	v_cndmask_b32_e64 v11, v11, v29, s[8:9]
	v_subrev_u32_e32 v29, s54, v11
	v_cmp_le_u32_e64 s[8:9], s54, v11
	s_nop 1
	v_cndmask_b32_e64 v11, v11, v29, s[8:9]
	v_xor_b32_e32 v11, v11, v28
	v_sub_u32_e32 v11, v11, v28
	v_cmp_ne_u32_e64 s[8:9], 0, v11
	s_and_b64 s[8:9], s[8:9], s[10:11]
	s_and_b64 s[46:47], vcc, s[8:9]
	s_and_saveexec_b64 s[10:11], s[46:47]
	s_cbranch_execz .LBB252_16
; %bb.15:                               ;   in Loop: Header=BB252_14 Depth=1
	ds_write_b32 v19, v21
.LBB252_16:                             ;   in Loop: Header=BB252_14 Depth=1
	s_or_b64 exec, exec, s[10:11]
	s_xor_b64 s[8:9], s[8:9], -1
	s_and_saveexec_b64 s[10:11], s[8:9]
	s_cbranch_execz .LBB252_13
; %bb.17:                               ;   in Loop: Header=BB252_14 Depth=1
	global_load_dword v10, v[8:9], off
	s_waitcnt vmcnt(0)
	v_mad_i64_i32 v[10:11], s[8:9], v10, s55, v[6:7]
	v_lshl_add_u64 v[10:11], v[10:11], 0, v[4:5]
	global_load_ubyte v29, v[10:11], off
	global_load_ubyte v30, v[10:11], off offset:8
	global_load_dword v28, v5, s[12:13]
	global_load_ubyte v31, v[10:11], off offset:128
	global_load_ubyte v32, v[10:11], off offset:136
	;; [unrolled: 1-line block ×19, first 2 shown]
	ds_read_u16 v50, v15
	global_load_ubyte v52, v[10:11], off offset:1288
	global_load_ubyte v53, v[10:11], off offset:1408
	v_cmp_lt_i32_e64 s[8:9], v24, v23
	global_load_ubyte v10, v[10:11], off offset:1416
	s_waitcnt lgkmcnt(0)
	;;#ASMSTART
	v_cvt_f32_f16 v11, v50;
	;;#ASMEND
	s_waitcnt vmcnt(24)
	v_cvt_f32_fp8_sdwa v29, v29 src0_sel:BYTE_0
	s_waitcnt vmcnt(23)
	v_cvt_f32_fp8_sdwa v30, v30 src0_sel:BYTE_0
	v_cndmask_b32_e64 v51, v22, v24, s[8:9]
	s_waitcnt vmcnt(21)
	v_cvt_f32_fp8_sdwa v31, v31 src0_sel:BYTE_0
	v_fma_mixlo_f16 v29, v28, v29, 0
	v_and_b32_e32 v29, 0xffff, v29
	v_fma_mixlo_f16 v30, v28, v30, 0
	s_waitcnt vmcnt(20)
	v_cvt_f32_fp8_sdwa v32, v32 src0_sel:BYTE_0
	;;#ASMSTART
	v_cvt_f32_f16 v29, v29;
	;;#ASMEND
	ds_read_u16 v50, v15 offset:2
	v_and_b32_e32 v30, 0xffff, v30
	s_waitcnt vmcnt(19)
	v_cvt_f32_fp8_sdwa v33, v33 src0_sel:BYTE_0
	s_waitcnt lgkmcnt(0)
	;;#ASMSTART
	v_cvt_f32_f16 v50, v50;
	;;#ASMEND
	;;#ASMSTART
	v_cvt_f32_f16 v30, v30;
	;;#ASMEND
	s_waitcnt vmcnt(18)
	v_cvt_f32_fp8_sdwa v34, v34 src0_sel:BYTE_0
	v_fma_mixlo_f16 v31, v28, v31, 0
	s_waitcnt vmcnt(17)
	v_cvt_f32_fp8_sdwa v35, v35 src0_sel:BYTE_0
	v_mul_f32_e32 v30, v50, v30
	ds_read_u16 v54, v15 offset:4
	v_and_b32_e32 v31, 0xffff, v31
	v_fma_mixlo_f16 v32, v28, v32, 0
	s_waitcnt vmcnt(16)
	v_cvt_f32_fp8_sdwa v36, v36 src0_sel:BYTE_0
	v_fmac_f32_e32 v30, v11, v29
	s_waitcnt lgkmcnt(0)
	;;#ASMSTART
	v_cvt_f32_f16 v54, v54;
	;;#ASMEND
	;;#ASMSTART
	v_cvt_f32_f16 v31, v31;
	;;#ASMEND
	ds_read_u16 v55, v15 offset:6
	v_and_b32_e32 v32, 0xffff, v32
	s_waitcnt vmcnt(15)
	v_cvt_f32_fp8_sdwa v37, v37 src0_sel:BYTE_0
	v_fma_mixlo_f16 v33, v28, v33, 0
	v_fmac_f32_e32 v30, v54, v31
	s_waitcnt lgkmcnt(0)
	;;#ASMSTART
	v_cvt_f32_f16 v55, v55;
	;;#ASMEND
	;;#ASMSTART
	v_cvt_f32_f16 v32, v32;
	;;#ASMEND
	ds_read_u16 v56, v15 offset:8
	v_and_b32_e32 v33, 0xffff, v33
	s_waitcnt vmcnt(14)
	v_cvt_f32_fp8_sdwa v38, v38 src0_sel:BYTE_0
	v_fma_mixlo_f16 v34, v28, v34, 0
	v_fmac_f32_e32 v30, v55, v32
	s_waitcnt lgkmcnt(0)
	;;#ASMSTART
	v_cvt_f32_f16 v56, v56;
	;;#ASMEND
	;;#ASMSTART
	v_cvt_f32_f16 v33, v33;
	;;#ASMEND
	ds_read_u16 v57, v15 offset:10
	s_waitcnt vmcnt(13)
	v_cvt_f32_fp8_sdwa v39, v39 src0_sel:BYTE_0
	v_and_b32_e32 v34, 0xffff, v34
	v_fma_mixlo_f16 v35, v28, v35, 0
	v_fmac_f32_e32 v30, v56, v33
	s_waitcnt lgkmcnt(0)
	;;#ASMSTART
	v_cvt_f32_f16 v57, v57;
	;;#ASMEND
	;;#ASMSTART
	v_cvt_f32_f16 v34, v34;
	;;#ASMEND
	ds_read_u16 v58, v15 offset:12
	s_waitcnt vmcnt(12)
	v_cvt_f32_fp8_sdwa v40, v40 src0_sel:BYTE_0
	v_and_b32_e32 v35, 0xffff, v35
	v_fma_mixlo_f16 v36, v28, v36, 0
	v_fmac_f32_e32 v30, v57, v34
	s_waitcnt vmcnt(11)
	v_cvt_f32_fp8_sdwa v41, v41 src0_sel:BYTE_0
	s_waitcnt lgkmcnt(0)
	;;#ASMSTART
	v_cvt_f32_f16 v58, v58;
	;;#ASMEND
	;;#ASMSTART
	v_cvt_f32_f16 v35, v35;
	;;#ASMEND
	ds_read_u16 v59, v15 offset:14
	v_and_b32_e32 v36, 0xffff, v36
	v_fma_mixlo_f16 v37, v28, v37, 0
	v_fmac_f32_e32 v30, v58, v35
	s_waitcnt vmcnt(10)
	v_cvt_f32_fp8_sdwa v42, v42 src0_sel:BYTE_0
	s_waitcnt lgkmcnt(0)
	;;#ASMSTART
	v_cvt_f32_f16 v59, v59;
	;;#ASMEND
	;;#ASMSTART
	v_cvt_f32_f16 v36, v36;
	;;#ASMEND
	ds_read_u16 v60, v15 offset:16
	;; [unrolled: 13-line block ×5, first 2 shown]
	v_and_b32_e32 v40, 0xffff, v40
	v_fma_mixlo_f16 v41, v28, v41, 0
	v_fmac_f32_e32 v30, v62, v39
	s_waitcnt vmcnt(6)
	v_cvt_f32_fp8_sdwa v46, v46 src0_sel:BYTE_0
	s_waitcnt vmcnt(5)
	v_cvt_f32_fp8_sdwa v47, v47 src0_sel:BYTE_0
	;; [unrolled: 2-line block ×6, first 2 shown]
	s_waitcnt lgkmcnt(0)
	;;#ASMSTART
	v_cvt_f32_f16 v63, v63;
	;;#ASMEND
	;;#ASMSTART
	v_cvt_f32_f16 v40, v40;
	;;#ASMEND
	ds_read_u16 v64, v15 offset:24
	s_waitcnt vmcnt(0)
	v_cvt_f32_fp8_sdwa v10, v10 src0_sel:BYTE_0
	v_fma_mixlo_f16 v42, v28, v42, 0
	v_and_b32_e32 v41, 0xffff, v41
	v_fmac_f32_e32 v30, v63, v40
	s_waitcnt lgkmcnt(0)
	;;#ASMSTART
	v_cvt_f32_f16 v64, v64;
	;;#ASMEND
	;;#ASMSTART
	v_cvt_f32_f16 v41, v41;
	;;#ASMEND
	ds_read_u16 v65, v15 offset:26
	v_fma_mixlo_f16 v43, v28, v43, 0
	v_and_b32_e32 v42, 0xffff, v42
	v_fmac_f32_e32 v30, v64, v41
	v_fma_mixlo_f16 v44, v28, v44, 0
	s_waitcnt lgkmcnt(0)
	;;#ASMSTART
	v_cvt_f32_f16 v65, v65;
	;;#ASMEND
	;;#ASMSTART
	v_cvt_f32_f16 v42, v42;
	;;#ASMEND
	ds_read_u16 v66, v15 offset:28
	v_and_b32_e32 v43, 0xffff, v43
	v_fmac_f32_e32 v30, v65, v42
	v_fma_mixlo_f16 v45, v28, v45, 0
	s_waitcnt lgkmcnt(0)
	;;#ASMSTART
	v_cvt_f32_f16 v66, v66;
	;;#ASMEND
	;;#ASMSTART
	v_cvt_f32_f16 v43, v43;
	;;#ASMEND
	ds_read_u16 v67, v15 offset:30
	v_and_b32_e32 v44, 0xffff, v44
	v_fmac_f32_e32 v30, v66, v43
	v_fma_mixlo_f16 v46, v28, v46, 0
	v_fma_mixlo_f16 v47, v28, v47, 0
	v_fma_mixlo_f16 v48, v28, v48, 0
	v_fma_mixlo_f16 v49, v28, v49, 0
	v_fma_mixlo_f16 v52, v28, v52, 0
	v_fma_mixlo_f16 v53, v28, v53, 0
	s_waitcnt lgkmcnt(0)
	;;#ASMSTART
	v_cvt_f32_f16 v67, v67;
	;;#ASMEND
	;;#ASMSTART
	v_cvt_f32_f16 v44, v44;
	;;#ASMEND
	ds_read_u16 v68, v15 offset:32
	v_fma_mixlo_f16 v10, v28, v10, 0
	v_and_b32_e32 v28, 0xffff, v45
	v_fmac_f32_e32 v30, v67, v44
	v_and_b32_e32 v45, 0xffff, v46
	v_and_b32_e32 v46, 0xffff, v47
	s_waitcnt lgkmcnt(0)
	;;#ASMSTART
	v_cvt_f32_f16 v47, v68;
	;;#ASMEND
	;;#ASMSTART
	v_cvt_f32_f16 v28, v28;
	;;#ASMEND
	ds_read_u16 v68, v15 offset:34
	v_fmac_f32_e32 v30, v47, v28
	s_waitcnt lgkmcnt(0)
	;;#ASMSTART
	v_cvt_f32_f16 v68, v68;
	;;#ASMEND
	;;#ASMSTART
	v_cvt_f32_f16 v45, v45;
	;;#ASMEND
	ds_read_u16 v69, v15 offset:36
	v_fmac_f32_e32 v30, v68, v45
	;; [unrolled: 9-line block ×3, first 2 shown]
	v_and_b32_e32 v48, 0xffff, v48
	s_waitcnt lgkmcnt(0)
	;;#ASMSTART
	v_cvt_f32_f16 v31, v31;
	;;#ASMEND
	;;#ASMSTART
	v_cvt_f32_f16 v32, v48;
	;;#ASMEND
	ds_read_u16 v33, v15 offset:40
	v_fmac_f32_e32 v30, v31, v32
	v_and_b32_e32 v49, 0xffff, v49
	s_waitcnt lgkmcnt(0)
	;;#ASMSTART
	v_cvt_f32_f16 v33, v33;
	;;#ASMEND
	;;#ASMSTART
	v_cvt_f32_f16 v34, v49;
	;;#ASMEND
	ds_read_u16 v35, v15 offset:42
	v_fmac_f32_e32 v30, v33, v34
	v_and_b32_e32 v52, 0xffff, v52
	s_waitcnt lgkmcnt(0)
	;;#ASMSTART
	v_cvt_f32_f16 v35, v35;
	;;#ASMEND
	;;#ASMSTART
	v_cvt_f32_f16 v36, v52;
	;;#ASMEND
	v_and_b32_e32 v53, 0xffff, v53
	v_fmac_f32_e32 v30, v35, v36
	v_and_b32_e32 v10, 0xffff, v10
	ds_read_u16 v37, v15 offset:44
	s_waitcnt lgkmcnt(0)
	;;#ASMSTART
	v_cvt_f32_f16 v11, v37;
	;;#ASMEND
	;;#ASMSTART
	v_cvt_f32_f16 v28, v53;
	;;#ASMEND
	v_lshlrev_b32_e32 v51, 2, v51
	v_fmac_f32_e32 v30, v11, v28
	ds_read_u16 v29, v15 offset:46
	s_waitcnt lgkmcnt(0)
	;;#ASMSTART
	v_cvt_f32_f16 v11, v29;
	;;#ASMEND
	;;#ASMSTART
	v_cvt_f32_f16 v10, v10;
	;;#ASMEND
	v_cmp_lt_i32_e64 s[8:9], v25, v23
	v_fmac_f32_e32 v30, v11, v10
	ds_bpermute_b32 v10, v51, v30
	v_cndmask_b32_e64 v11, v22, v25, s[8:9]
	v_lshlrev_b32_e32 v11, 2, v11
	v_cmp_lt_i32_e64 s[8:9], v26, v23
	s_waitcnt lgkmcnt(0)
	v_add_f32_e32 v10, v30, v10
	ds_bpermute_b32 v11, v11, v10
	v_cndmask_b32_e64 v28, v22, v26, s[8:9]
	s_waitcnt lgkmcnt(0)
	v_add_f32_e32 v10, v10, v11
	v_lshlrev_b32_e32 v11, 2, v28
	ds_bpermute_b32 v11, v11, v10
	s_and_saveexec_b64 s[46:47], vcc
	s_cbranch_execz .LBB252_12
; %bb.18:                               ;   in Loop: Header=BB252_14 Depth=1
	v_add_u32_e32 v28, v20, v18
	v_cvt_f32_i32_e32 v28, v28
	s_waitcnt lgkmcnt(0)
	v_add_f32_e32 v10, v10, v11
	v_add_u32_e32 v29, v14, v18
	v_cmp_gt_i32_e64 s[8:9], s39, v29
	v_mul_f32_e32 v11, s3, v28
	v_cndmask_b32_e64 v11, 0, v11, s[6:7]
	v_fmac_f32_e32 v11, s45, v10
	v_cndmask_b32_e64 v10, 0, v11, s[8:9]
	ds_write_b32 v19, v10
	v_max_f32_e32 v10, v16, v16
	v_max_f32_e32 v10, v10, v11
	v_cndmask_b32_e64 v16, v16, v10, s[8:9]
	s_branch .LBB252_12
.LBB252_19:
	s_or_b64 exec, exec, s[20:21]
.LBB252_20:
	s_or_b64 exec, exec, s[18:19]
	v_mbcnt_hi_u32_b32 v4, -1, v13
	v_and_b32_e32 v5, 64, v4
	v_add_u32_e32 v5, 64, v5
	v_xor_b32_e32 v6, 32, v4
	v_cmp_lt_i32_e32 vcc, v6, v5
	v_xor_b32_e32 v9, 16, v4
	v_max_f32_e32 v7, v16, v16
	v_cndmask_b32_e32 v6, v4, v6, vcc
	v_lshlrev_b32_e32 v8, 2, v6
	ds_bpermute_b32 v6, v8, v16
	v_cmp_lt_i32_e32 vcc, v9, v5
	v_and_b32_e32 v15, 63, v0
	s_waitcnt lgkmcnt(0)
	v_max_f32_e32 v6, v6, v6
	v_max_f32_e32 v6, v7, v6
	v_cndmask_b32_e32 v7, v4, v9, vcc
	v_lshlrev_b32_e32 v10, 2, v7
	ds_bpermute_b32 v7, v10, v6
	v_xor_b32_e32 v9, 8, v4
	v_cmp_lt_i32_e32 vcc, v9, v5
	s_waitcnt lgkmcnt(0)
	v_max_f32_e32 v7, v7, v7
	v_max_f32_e32 v6, v6, v7
	v_cndmask_b32_e32 v7, v4, v9, vcc
	v_lshlrev_b32_e32 v11, 2, v7
	ds_bpermute_b32 v9, v11, v6
	v_cmp_eq_u32_e32 vcc, 0, v15
	v_lshlrev_b32_e32 v7, 2, v12
	s_and_saveexec_b64 s[6:7], vcc
	s_cbranch_execz .LBB252_22
; %bb.21:
	s_waitcnt lgkmcnt(0)
	v_max_f32_e32 v9, v9, v9
	v_max_f32_e32 v6, v6, v6
	;; [unrolled: 1-line block ×3, first 2 shown]
	ds_write_b32 v7, v6 offset:384
.LBB252_22:
	s_or_b64 exec, exec, s[6:7]
	v_cmp_gt_u32_e64 s[6:7], 2, v15
	v_mov_b32_e32 v6, 0xff7fffff
	s_waitcnt lgkmcnt(0)
	v_lshlrev_b32_e32 v9, 2, v15
	s_barrier
	s_and_saveexec_b64 s[8:9], s[6:7]
	s_cbranch_execz .LBB252_24
; %bb.23:
	ds_read_b32 v6, v9 offset:384
.LBB252_24:
	s_or_b64 exec, exec, s[8:9]
	v_xor_b32_e32 v13, 1, v4
	v_cmp_lt_i32_e64 s[8:9], v13, v5
	s_sub_i32 s3, s28, s52
	s_lshl_b32 s3, s3, 3
	v_cndmask_b32_e64 v13, v4, v13, s[8:9]
	v_lshlrev_b32_e32 v13, 2, v13
	s_waitcnt lgkmcnt(0)
	ds_bpermute_b32 v14, v13, v6
	v_max_f32_e32 v6, v6, v6
	s_add_i32 s3, s3, s51
	s_min_i32 s20, s3, s39
	s_sub_i32 s3, s20, s51
	s_waitcnt lgkmcnt(0)
	v_max_f32_e32 v14, v14, v14
	v_max_f32_e32 v6, v6, v14
	v_lshlrev_b32_e32 v14, 2, v4
	v_and_b32_e32 v14, 0x100, v14
	ds_bpermute_b32 v6, v14, v6
	v_cmp_gt_i32_e64 s[8:9], s3, v0
	v_mov_b32_e32 v16, 0
	s_and_saveexec_b64 s[12:13], s[8:9]
	s_cbranch_execz .LBB252_28
; %bb.25:
	v_mov_b32_e32 v16, 0x190
	v_lshl_add_u32 v17, v0, 2, v16
	s_mov_b64 s[18:19], 0
	v_mov_b32_e32 v16, 0
	v_mov_b32_e32 v18, v0
.LBB252_26:                             ; =>This Inner Loop Header: Depth=1
	ds_read_b32 v19, v17
	v_add_u32_e32 v18, 0x80, v18
	v_cmp_le_i32_e64 s[10:11], s3, v18
	s_or_b64 s[18:19], s[10:11], s[18:19]
	s_waitcnt lgkmcnt(0)
	v_sub_f32_e32 v19, v19, v6
	v_mul_f32_e32 v19, 0x3fb8aa3b, v19
	v_exp_f32_e32 v19, v19
	ds_write_b32 v17, v19
	v_add_f32_e32 v16, v16, v19
	v_add_u32_e32 v17, 0x200, v17
	s_andn2_b64 exec, exec, s[18:19]
	s_cbranch_execnz .LBB252_26
; %bb.27:
	s_or_b64 exec, exec, s[18:19]
.LBB252_28:
	s_or_b64 exec, exec, s[12:13]
	ds_bpermute_b32 v8, v8, v16
	s_waitcnt lgkmcnt(0)
	v_add_f32_e32 v8, v16, v8
	ds_bpermute_b32 v10, v10, v8
	s_waitcnt lgkmcnt(0)
	v_add_f32_e32 v8, v8, v10
	ds_bpermute_b32 v10, v11, v8
	v_xor_b32_e32 v11, 4, v4
	v_cmp_lt_i32_e64 s[10:11], v11, v5
	s_waitcnt lgkmcnt(0)
	v_add_f32_e32 v8, v8, v10
	v_cndmask_b32_e64 v11, v4, v11, s[10:11]
	v_lshlrev_b32_e32 v11, 2, v11
	ds_bpermute_b32 v10, v11, v8
	v_xor_b32_e32 v11, 2, v4
	v_cmp_lt_i32_e64 s[10:11], v11, v5
	s_waitcnt lgkmcnt(0)
	v_add_f32_e32 v5, v8, v10
	v_cndmask_b32_e64 v4, v4, v11, s[10:11]
	v_lshlrev_b32_e32 v4, 2, v4
	ds_bpermute_b32 v4, v4, v5
	s_waitcnt lgkmcnt(0)
	v_add_f32_e32 v4, v5, v4
	ds_bpermute_b32 v5, v13, v4
	s_waitcnt lgkmcnt(0)
	v_add_f32_e32 v4, v4, v5
	s_and_saveexec_b64 s[10:11], vcc
	s_cbranch_execz .LBB252_30
; %bb.29:
	ds_write_b32 v7, v4 offset:392
.LBB252_30:
	s_or_b64 exec, exec, s[10:11]
	s_waitcnt lgkmcnt(0)
	s_barrier
	s_and_saveexec_b64 s[10:11], s[6:7]
	s_cbranch_execz .LBB252_32
; %bb.31:
	ds_read_b32 v4, v9 offset:392
.LBB252_32:
	s_or_b64 exec, exec, s[10:11]
	s_waitcnt lgkmcnt(0)
	ds_bpermute_b32 v5, v13, v4
	s_waitcnt lgkmcnt(0)
	v_add_f32_e32 v4, v4, v5
	ds_bpermute_b32 v7, v14, v4
	s_and_saveexec_b64 s[6:7], s[8:9]
	s_cbranch_execz .LBB252_45
; %bb.33:
	s_waitcnt lgkmcnt(0)
	v_add_f32_e32 v4, 0x358637bd, v7
	v_div_scale_f32 v5, s[8:9], v4, v4, 1.0
	v_rcp_f32_e32 v8, v5
	v_div_scale_f32 v9, vcc, 1.0, v4, 1.0
	s_movk_i32 s8, 0x7f
	v_fma_f32 v10, -v5, v8, 1.0
	v_fmac_f32_e32 v8, v10, v8
	v_mul_f32_e32 v10, v9, v8
	v_fma_f32 v11, -v5, v10, v9
	v_fmac_f32_e32 v10, v11, v8
	v_fma_f32 v5, -v5, v10, v9
	v_div_fmas_f32 v5, v5, v8, v10
	v_div_fixup_f32 v4, v5, v4, 1.0
	v_xad_u32 v5, v0, -1, s20
	v_subrev_u32_e32 v8, s51, v5
	v_cmp_lt_u32_e32 vcc, s8, v8
	s_mov_b64 s[10:11], -1
	v_mov_b32_e32 v5, v0
	s_and_saveexec_b64 s[8:9], vcc
	s_cbranch_execz .LBB252_42
; %bb.34:
	v_lshrrev_b32_e32 v8, 7, v8
	v_add_u32_e32 v10, -1, v8
	v_lshrrev_b32_e32 v9, 1, v10
	v_mov_b32_e32 v5, v4
	v_add_u32_e32 v9, 1, v9
	v_cmp_lt_u32_e32 vcc, 13, v10
	v_mov_b32_e32 v13, 0
	s_and_saveexec_b64 s[10:11], vcc
	s_cbranch_execz .LBB252_38
; %bb.35:
	v_mov_b32_e32 v11, 0x190
	v_and_b32_e32 v10, -8, v9
	v_lshl_add_u32 v11, v0, 2, v11
	s_mov_b32 s18, 0
	s_mov_b64 s[12:13], 0
.LBB252_36:                             ; =>This Inner Loop Header: Depth=1
	ds_read2st64_b32 v[16:17], v11 offset1:2
	ds_read2st64_b32 v[18:19], v11 offset0:4 offset1:6
	ds_read2st64_b32 v[20:21], v11 offset0:8 offset1:10
	;; [unrolled: 1-line block ×3, first 2 shown]
	v_add_u32_e32 v10, -8, v10
	s_waitcnt lgkmcnt(3)
	v_pk_mul_f32 v[16:17], v[4:5], v[16:17]
	s_waitcnt lgkmcnt(2)
	v_pk_mul_f32 v[18:19], v[4:5], v[18:19]
	ds_write2st64_b32 v11, v16, v17 offset1:2
	ds_write2st64_b32 v11, v18, v19 offset0:4 offset1:6
	ds_read2st64_b32 v[18:19], v11 offset0:16 offset1:18
	s_waitcnt lgkmcnt(4)
	v_pk_mul_f32 v[16:17], v[4:5], v[20:21]
	ds_write2st64_b32 v11, v16, v17 offset0:8 offset1:10
	s_waitcnt lgkmcnt(4)
	v_pk_mul_f32 v[16:17], v[4:5], v[22:23]
	ds_write2st64_b32 v11, v16, v17 offset0:12 offset1:14
	ds_read2st64_b32 v[16:17], v11 offset0:20 offset1:22
	s_waitcnt lgkmcnt(3)
	v_pk_mul_f32 v[18:19], v[4:5], v[18:19]
	ds_read2st64_b32 v[20:21], v11 offset0:24 offset1:26
	ds_write2st64_b32 v11, v18, v19 offset0:16 offset1:18
	ds_read2st64_b32 v[18:19], v11 offset0:28 offset1:30
	s_waitcnt lgkmcnt(3)
	v_pk_mul_f32 v[16:17], v[4:5], v[16:17]
	ds_write2st64_b32 v11, v16, v17 offset0:20 offset1:22
	s_waitcnt lgkmcnt(3)
	v_pk_mul_f32 v[16:17], v[4:5], v[20:21]
	ds_write2st64_b32 v11, v16, v17 offset0:24 offset1:26
	s_waitcnt lgkmcnt(2)
	v_pk_mul_f32 v[16:17], v[4:5], v[18:19]
	s_add_i32 s18, s18, 16
	v_cmp_eq_u32_e32 vcc, 0, v10
	ds_write2st64_b32 v11, v16, v17 offset0:28 offset1:30
	v_add_u32_e32 v11, 0x2000, v11
	s_or_b64 s[12:13], vcc, s[12:13]
	v_mov_b32_e32 v13, s18
	s_andn2_b64 exec, exec, s[12:13]
	s_cbranch_execnz .LBB252_36
; %bb.37:
	s_or_b64 exec, exec, s[12:13]
.LBB252_38:
	s_or_b64 exec, exec, s[10:11]
	v_and_b32_e32 v9, 7, v9
	v_cmp_ne_u32_e32 vcc, 0, v9
	s_and_saveexec_b64 s[10:11], vcc
	s_cbranch_execz .LBB252_41
; %bb.39:
	v_lshlrev_b32_e32 v10, 9, v13
	v_lshlrev_b32_e32 v11, 2, v0
	s_movk_i32 s12, 0x190
	v_add3_u32 v10, v10, v11, s12
	s_mov_b64 s[12:13], 0
.LBB252_40:                             ; =>This Inner Loop Header: Depth=1
	ds_read2st64_b32 v[16:17], v10 offset1:2
	v_add_u32_e32 v9, -1, v9
	v_cmp_eq_u32_e32 vcc, 0, v9
	s_or_b64 s[12:13], vcc, s[12:13]
	s_waitcnt lgkmcnt(0)
	v_pk_mul_f32 v[16:17], v[4:5], v[16:17]
	ds_write2st64_b32 v10, v16, v17 offset1:2
	v_add_u32_e32 v10, 0x400, v10
	s_andn2_b64 exec, exec, s[12:13]
	s_cbranch_execnz .LBB252_40
.LBB252_41:
	s_or_b64 exec, exec, s[10:11]
	v_add_u32_e32 v8, 1, v8
	v_and_b32_e32 v9, 0x3fffffe, v8
	v_cmp_ne_u32_e32 vcc, v8, v9
	v_lshl_add_u32 v5, v9, 7, v0
	s_orn2_b64 s[10:11], vcc, exec
.LBB252_42:
	s_or_b64 exec, exec, s[8:9]
	s_and_b64 exec, exec, s[10:11]
	s_cbranch_execz .LBB252_45
; %bb.43:
	v_mov_b32_e32 v8, 0x190
	v_lshl_add_u32 v8, v5, 2, v8
	s_mov_b64 s[8:9], 0
.LBB252_44:                             ; =>This Inner Loop Header: Depth=1
	ds_read_b32 v9, v8
	v_add_u32_e32 v5, 0x80, v5
	v_cmp_le_i32_e32 vcc, s3, v5
	s_or_b64 s[8:9], vcc, s[8:9]
	s_waitcnt lgkmcnt(0)
	v_mul_f32_e32 v9, v4, v9
	ds_write_b32 v8, v9
	v_add_u32_e32 v8, 0x200, v8
	s_andn2_b64 exec, exec, s[8:9]
	s_cbranch_execnz .LBB252_44
.LBB252_45:
	s_or_b64 exec, exec, s[6:7]
	s_mul_i32 s3, s33, s38
	v_cmp_eq_u32_e32 vcc, 0, v0
	s_mul_i32 s6, s3, s5
	s_waitcnt lgkmcnt(0)
	s_barrier
	s_and_saveexec_b64 s[8:9], vcc
	s_cbranch_execz .LBB252_47
; %bb.46:
	s_ashr_i32 s7, s6, 31
	s_lshl_b64 s[10:11], s[6:7], 2
	s_add_u32 s5, s26, s10
	s_mul_i32 s2, s33, s2
	s_addc_u32 s7, s27, s11
	s_ashr_i32 s3, s2, 31
	s_lshl_b64 s[2:3], s[2:3], 2
	s_add_u32 s18, s5, s2
	s_addc_u32 s7, s7, s3
	s_ashr_i32 s5, s4, 31
	s_lshl_b64 s[12:13], s[4:5], 2
	s_add_u32 s18, s18, s12
	s_addc_u32 s19, s7, s13
	s_add_u32 s5, s24, s10
	s_addc_u32 s7, s25, s11
	;; [unrolled: 2-line block ×3, first 2 shown]
	s_add_u32 s2, s2, s12
	v_mov_b32_e32 v4, 0
	s_addc_u32 s3, s3, s13
	global_store_dword v4, v6, s[18:19]
	global_store_dword v4, v7, s[2:3]
.LBB252_47:
	s_or_b64 exec, exec, s[8:9]
	v_mov_b32_e32 v22, 0
	v_mov_b32_e32 v5, 0
	v_mov_b32_e32 v4, 0
	s_and_saveexec_b64 s[2:3], s[0:1]
	s_cbranch_execz .LBB252_251
; %bb.48:
	s_sub_i32 s5, s49, s29
	s_ashr_i32 s1, s50, 31
	s_add_u32 s0, s22, s50
	s_addc_u32 s1, s23, s1
	s_abs_i32 s7, s30
	v_cvt_f32_u32_e32 v4, s7
	v_lshlrev_b32_e32 v6, 3, v15
	v_mov_b32_e32 v7, 0
	s_add_i32 s22, s16, -1
	v_rcp_iflag_f32_e32 v4, v4
	s_sub_i32 s8, 0, s7
	v_lshl_add_u64 v[8:9], s[0:1], 0, v[6:7]
	s_lshl_b64 s[0:1], s[42:43], 2
	v_mul_f32_e32 v4, 0x4f7ffffe, v4
	v_cvt_u32_f32_e32 v4, v4
	s_add_u32 s0, s40, s0
	s_addc_u32 s1, s41, s1
	v_lshl_add_u64 v[10:11], v[2:3], 2, s[0:1]
	v_mul_lo_u32 v5, s8, v4
	v_mul_hi_u32 v5, v4, v5
	v_mov_b32_e32 v3, 0x190
	s_mov_b32 s20, s17
	s_mov_b32 s21, s39
	v_add_u32_e32 v23, v4, v5
	v_lshl_add_u32 v3, v12, 5, v3
	s_mov_b64 s[8:9], 0
	s_movk_i32 s23, 0x7f
	s_movk_i32 s24, 0x80
	s_mov_b32 s25, 0x8000
	s_movk_i32 s26, 0x380
	s_mov_b32 s27, 0x3020706
	s_mov_b32 s29, 0x1000504
	;; [unrolled: 1-line block ×3, first 2 shown]
	v_mov_b32_e32 v24, 0x1c00
	v_mov_b32_e32 v4, 0
	;; [unrolled: 1-line block ×4, first 2 shown]
	s_branch .LBB252_51
.LBB252_49:                             ;   in Loop: Header=BB252_51 Depth=1
	s_or_b64 exec, exec, s[0:1]
	;;#ASMSTART
	v_pk_mul_f16 v13, v35, v13;

	;;#ASMEND
	;;#ASMSTART
	v_pk_mul_f16 v6, v34, v6;

	;;#ASMEND
	;; [unrolled: 4-line block ×4, first 2 shown]
	v_add_f32_e32 v16, v20, v21
	;;#ASMSTART
	v_pk_add_f16 v6, v13, v6;

	;;#ASMEND
	v_add_f32_e32 v5, v5, v16
	;;#ASMSTART
	v_pk_add_f16 v6, v6, v12;

	;;#ASMEND
	;; [unrolled: 5-line block ×3, first 2 shown]
	v_add_f32_e32 v4, v4, v16
	v_lshrrev_b32_e32 v12, 16, v6
	v_and_b32_e32 v6, 0xffff, v6
	;;#ASMSTART
	v_cvt_f32_f16 v6, v6;
	;;#ASMEND
	;;#ASMSTART
	v_cvt_f32_f16 v12, v12;
	;;#ASMEND
	s_nop 0
	v_add_f32_e32 v6, v6, v12
	v_add_f32_e32 v22, v22, v6
.LBB252_50:                             ;   in Loop: Header=BB252_51 Depth=1
	s_or_b64 exec, exec, s[10:11]
	v_add_u32_e32 v2, 2, v2
	v_cmp_le_i32_e32 vcc, s28, v2
	v_lshl_add_u64 v[10:11], v[10:11], 0, 8
	v_add_u32_e32 v1, 16, v1
	s_or_b64 s[8:9], vcc, s[8:9]
	v_add_u32_e32 v3, 64, v3
	s_andn2_b64 exec, exec, s[8:9]
	s_cbranch_execz .LBB252_250
.LBB252_51:                             ; =>This Inner Loop Header: Depth=1
	v_sub_u32_e32 v12, 0, v1
	v_max_i32_e32 v12, v1, v12
	v_mul_hi_u32 v13, v12, s48
	v_mul_lo_u32 v14, v13, s37
	v_sub_u32_e32 v12, v12, v14
	v_add_u32_e32 v14, 1, v13
	v_cmp_le_u32_e32 vcc, s37, v12
	v_ashrrev_i32_e32 v6, 31, v1
	v_xor_b32_e32 v6, s31, v6
	v_cndmask_b32_e32 v13, v13, v14, vcc
	v_subrev_u32_e32 v14, s37, v12
	v_cndmask_b32_e32 v12, v12, v14, vcc
	v_add_u32_e32 v14, 1, v13
	v_cmp_le_u32_e32 vcc, s37, v12
	s_nop 1
	v_cndmask_b32_e32 v12, v13, v14, vcc
	v_xor_b32_e32 v12, v12, v6
	v_sub_u32_e32 v6, v12, v6
	v_add_u32_e32 v12, s44, v6
	v_sub_u32_e32 v14, 0, v12
	v_ashrrev_i32_e32 v13, 31, v12
	v_max_i32_e32 v12, v12, v14
	v_mul_hi_u32 v14, v12, v23
	v_mul_lo_u32 v14, v14, s7
	v_sub_u32_e32 v12, v12, v14
	v_subrev_u32_e32 v14, s7, v12
	v_cmp_le_u32_e32 vcc, s7, v12
	v_cmp_lt_i32_e64 s[0:1], s5, v6
	s_nop 0
	v_cndmask_b32_e32 v12, v12, v14, vcc
	v_subrev_u32_e32 v14, s7, v12
	v_cmp_le_u32_e32 vcc, s7, v12
	s_nop 1
	v_cndmask_b32_e32 v12, v12, v14, vcc
	v_xor_b32_e32 v12, v12, v13
	v_sub_u32_e32 v12, v12, v13
	v_cmp_eq_u32_e32 vcc, 0, v12
	s_or_b64 s[0:1], vcc, s[0:1]
	s_and_saveexec_b64 s[10:11], s[0:1]
	s_cbranch_execz .LBB252_50
; %bb.52:                               ;   in Loop: Header=BB252_51 Depth=1
	ds_read2_b64 v[16:19], v3 offset1:1
	ds_read2_b64 v[26:29], v3 offset0:2 offset1:3
                                        ; implicit-def: $sgpr18
	s_waitcnt lgkmcnt(1)
	;;#ASMSTART
	v_cvt_f16_f32 v32, v16;

	;;#ASMEND
	;;#ASMSTART
	v_cvt_f16_f32 v33, v17;

	;;#ASMEND
	;; [unrolled: 4-line block ×4, first 2 shown]
	s_waitcnt lgkmcnt(0)
	;;#ASMSTART
	v_cvt_f16_f32 v37, v26;

	;;#ASMEND
	;;#ASMSTART
	v_cvt_f16_f32 v38, v27;

	;;#ASMEND
	;; [unrolled: 4-line block ×4, first 2 shown]
	global_load_dword v6, v[10:11], off
	s_waitcnt vmcnt(0)
	v_mad_i64_i32 v[12:13], s[0:1], v6, s20, v[8:9]
	global_load_dwordx2 v[16:17], v[12:13], off
	global_load_dword v14, v7, s[14:15]
	s_mov_b64 s[0:1], 0
	s_waitcnt vmcnt(1)
	v_cmp_gt_i16_sdwa s[12:13], v16, s23 src0_sel:BYTE_0 src1_sel:DWORD
	s_and_saveexec_b64 s[16:17], s[12:13]
	s_xor_b64 s[12:13], exec, s[16:17]
	s_cbranch_execnz .LBB252_154
; %bb.53:                               ;   in Loop: Header=BB252_51 Depth=1
	s_or_saveexec_b64 s[12:13], s[12:13]
	v_mov_b32_e32 v18, s18
	s_xor_b64 exec, exec, s[12:13]
	s_cbranch_execnz .LBB252_157
.LBB252_54:                             ;   in Loop: Header=BB252_51 Depth=1
	s_or_b64 exec, exec, s[12:13]
	s_and_saveexec_b64 s[12:13], s[0:1]
	s_cbranch_execz .LBB252_56
.LBB252_55:                             ;   in Loop: Header=BB252_51 Depth=1
	v_and_b32_e32 v6, 7, v16
	v_ffbh_u32_e32 v6, v6
	v_bfe_u32 v18, v16, 3, 4
	v_min_u32_e32 v6, 32, v6
	v_subrev_u32_e32 v19, 28, v6
	v_sub_u32_e32 v6, 29, v6
	v_cmp_eq_u32_e32 vcc, 0, v18
	s_nop 1
	v_cndmask_b32_e32 v6, v18, v6, vcc
	v_cndmask_b32_e32 v18, 0, v19, vcc
	v_lshlrev_b64 v[18:19], v18, v[16:17]
	v_lshlrev_b32_e32 v19, 8, v16
	v_lshl_add_u32 v6, v6, 10, v24
	v_lshlrev_b32_e32 v18, 7, v18
	v_and_or_b32 v6, v19, s25, v6
	v_and_or_b32 v6, v18, s26, v6
	v_cvt_f32_f16_e32 v18, v6
.LBB252_56:                             ;   in Loop: Header=BB252_51 Depth=1
	s_or_b64 exec, exec, s[12:13]
	v_lshrrev_b16_e32 v6, 8, v16
	v_cmp_lt_i16_e32 vcc, s23, v6
	s_mov_b64 s[0:1], 0
                                        ; implicit-def: $sgpr18
	s_and_saveexec_b64 s[12:13], vcc
	s_xor_b64 s[12:13], exec, s[12:13]
	s_cbranch_execnz .LBB252_158
; %bb.57:                               ;   in Loop: Header=BB252_51 Depth=1
	s_or_saveexec_b64 s[12:13], s[12:13]
	v_mov_b32_e32 v20, s18
	s_xor_b64 exec, exec, s[12:13]
	s_cbranch_execnz .LBB252_161
.LBB252_58:                             ;   in Loop: Header=BB252_51 Depth=1
	s_or_b64 exec, exec, s[12:13]
	s_and_saveexec_b64 s[12:13], s[0:1]
	s_cbranch_execz .LBB252_60
.LBB252_59:                             ;   in Loop: Header=BB252_51 Depth=1
	v_and_b32_e32 v19, 7, v6
	v_ffbh_u32_e32 v20, v19
	v_min_u32_e32 v26, 32, v20
	v_subrev_u32_e32 v20, 28, v26
	v_bfe_u32 v25, v6, 3, 4
	v_lshlrev_b64 v[20:21], v20, v[6:7]
	v_sub_u32_e32 v21, 29, v26
	v_cmp_eq_u32_e32 vcc, 0, v25
	v_and_b32_e32 v20, 7, v20
	v_lshlrev_b32_e32 v6, 8, v6
	v_cndmask_b32_e32 v21, v25, v21, vcc
	v_cndmask_b32_e32 v19, v19, v20, vcc
	v_lshl_add_u32 v20, v21, 10, v24
	v_and_or_b32 v6, v6, s25, v20
	v_lshl_or_b32 v6, v19, 7, v6
	v_cvt_f32_f16_e32 v20, v6
.LBB252_60:                             ;   in Loop: Header=BB252_51 Depth=1
	s_or_b64 exec, exec, s[12:13]
	v_lshrrev_b32_e32 v6, 16, v16
	v_cmp_gt_i16_sdwa s[12:13], v6, s23 src0_sel:BYTE_0 src1_sel:DWORD
	s_mov_b64 s[0:1], 0
                                        ; implicit-def: $sgpr18
	s_and_saveexec_b64 s[16:17], s[12:13]
	s_xor_b64 s[12:13], exec, s[16:17]
	s_cbranch_execnz .LBB252_162
; %bb.61:                               ;   in Loop: Header=BB252_51 Depth=1
	s_or_saveexec_b64 s[12:13], s[12:13]
	v_mov_b32_e32 v19, s18
	s_xor_b64 exec, exec, s[12:13]
	s_cbranch_execnz .LBB252_165
.LBB252_62:                             ;   in Loop: Header=BB252_51 Depth=1
	s_or_b64 exec, exec, s[12:13]
	s_and_saveexec_b64 s[12:13], s[0:1]
	s_cbranch_execz .LBB252_64
.LBB252_63:                             ;   in Loop: Header=BB252_51 Depth=1
	v_bfe_u32 v19, v16, 16, 3
	v_ffbh_u32_e32 v25, v19
	v_bfe_u32 v21, v16, 19, 4
	v_min_u32_e32 v25, 32, v25
	v_subrev_u32_e32 v26, 28, v25
	v_sub_u32_e32 v25, 29, v25
	v_cmp_eq_u32_e32 vcc, 0, v21
	v_lshlrev_b64 v[26:27], v26, v[6:7]
	v_and_b32_e32 v26, 7, v26
	v_cndmask_b32_e32 v21, v21, v25, vcc
	v_lshlrev_b32_e32 v6, 8, v6
	v_lshl_add_u32 v21, v21, 10, v24
	v_cndmask_b32_e32 v19, v19, v26, vcc
	v_and_or_b32 v6, v6, s25, v21
	v_lshl_or_b32 v6, v19, 7, v6
	v_cvt_f32_f16_e32 v19, v6
.LBB252_64:                             ;   in Loop: Header=BB252_51 Depth=1
	s_or_b64 exec, exec, s[12:13]
	v_lshrrev_b32_e32 v6, 24, v16
	v_cmp_lt_i16_e32 vcc, s23, v6
	s_mov_b64 s[0:1], 0
                                        ; implicit-def: $sgpr18
	s_and_saveexec_b64 s[12:13], vcc
	s_xor_b64 s[12:13], exec, s[12:13]
	s_cbranch_execnz .LBB252_166
; %bb.65:                               ;   in Loop: Header=BB252_51 Depth=1
	s_or_saveexec_b64 s[12:13], s[12:13]
	v_mov_b32_e32 v21, s18
	s_xor_b64 exec, exec, s[12:13]
	s_cbranch_execnz .LBB252_169
.LBB252_66:                             ;   in Loop: Header=BB252_51 Depth=1
	s_or_b64 exec, exec, s[12:13]
	s_and_saveexec_b64 s[12:13], s[0:1]
	s_cbranch_execz .LBB252_68
.LBB252_67:                             ;   in Loop: Header=BB252_51 Depth=1
	v_bfe_u32 v21, v16, 24, 3
	v_ffbh_u32_e32 v25, v21
	v_bfe_u32 v16, v16, 27, 4
	v_min_u32_e32 v25, 32, v25
	v_subrev_u32_e32 v26, 28, v25
	v_sub_u32_e32 v25, 29, v25
	v_cmp_eq_u32_e32 vcc, 0, v16
	v_lshlrev_b64 v[26:27], v26, v[6:7]
	v_and_b32_e32 v26, 7, v26
	v_cndmask_b32_e32 v16, v16, v25, vcc
	v_lshlrev_b32_e32 v6, 8, v6
	v_lshl_add_u32 v16, v16, 10, v24
	v_cndmask_b32_e32 v21, v21, v26, vcc
	v_and_or_b32 v6, v6, s25, v16
	v_lshl_or_b32 v6, v21, 7, v6
	v_cvt_f32_f16_e32 v21, v6
.LBB252_68:                             ;   in Loop: Header=BB252_51 Depth=1
	s_or_b64 exec, exec, s[12:13]
	v_cmp_gt_i16_sdwa s[12:13], v17, s23 src0_sel:BYTE_0 src1_sel:DWORD
	s_mov_b64 s[0:1], 0
                                        ; implicit-def: $sgpr18
	s_and_saveexec_b64 s[16:17], s[12:13]
	s_xor_b64 s[12:13], exec, s[16:17]
	s_cbranch_execnz .LBB252_170
; %bb.69:                               ;   in Loop: Header=BB252_51 Depth=1
	s_or_saveexec_b64 s[12:13], s[12:13]
	v_mov_b32_e32 v16, s18
	s_xor_b64 exec, exec, s[12:13]
	s_cbranch_execnz .LBB252_173
.LBB252_70:                             ;   in Loop: Header=BB252_51 Depth=1
	s_or_b64 exec, exec, s[12:13]
	v_mov_b32_e32 v6, v17
	s_and_saveexec_b64 s[12:13], s[0:1]
	s_cbranch_execz .LBB252_72
.LBB252_71:                             ;   in Loop: Header=BB252_51 Depth=1
	v_and_b32_e32 v16, 7, v17
	v_ffbh_u32_e32 v16, v16
	v_bfe_u32 v25, v17, 3, 4
	v_min_u32_e32 v16, 32, v16
	v_subrev_u32_e32 v26, 28, v16
	v_sub_u32_e32 v16, 29, v16
	v_cmp_eq_u32_e32 vcc, 0, v25
	s_nop 1
	v_cndmask_b32_e32 v16, v25, v16, vcc
	v_cndmask_b32_e32 v25, 0, v26, vcc
	v_lshlrev_b64 v[26:27], v25, v[6:7]
	v_lshlrev_b32_e32 v25, 7, v26
	v_lshlrev_b32_e32 v26, 8, v17
	v_lshl_add_u32 v16, v16, 10, v24
	v_and_or_b32 v16, v26, s25, v16
	v_and_or_b32 v16, v25, s26, v16
	v_cvt_f32_f16_e32 v16, v16
.LBB252_72:                             ;   in Loop: Header=BB252_51 Depth=1
	s_or_b64 exec, exec, s[12:13]
	v_lshrrev_b16_e32 v6, 8, v6
	v_cmp_lt_i16_e32 vcc, s23, v6
	s_mov_b64 s[0:1], 0
                                        ; implicit-def: $sgpr18
	s_and_saveexec_b64 s[12:13], vcc
	s_xor_b64 s[12:13], exec, s[12:13]
	s_cbranch_execnz .LBB252_174
; %bb.73:                               ;   in Loop: Header=BB252_51 Depth=1
	s_or_saveexec_b64 s[12:13], s[12:13]
	v_mov_b32_e32 v25, s18
	s_xor_b64 exec, exec, s[12:13]
	s_cbranch_execnz .LBB252_177
.LBB252_74:                             ;   in Loop: Header=BB252_51 Depth=1
	s_or_b64 exec, exec, s[12:13]
	s_and_saveexec_b64 s[12:13], s[0:1]
	s_cbranch_execz .LBB252_76
.LBB252_75:                             ;   in Loop: Header=BB252_51 Depth=1
	v_and_b32_e32 v25, 7, v6
	v_ffbh_u32_e32 v26, v25
	v_min_u32_e32 v29, 32, v26
	v_subrev_u32_e32 v26, 28, v29
	v_bfe_u32 v28, v6, 3, 4
	v_lshlrev_b64 v[26:27], v26, v[6:7]
	v_sub_u32_e32 v27, 29, v29
	v_cmp_eq_u32_e32 vcc, 0, v28
	v_and_b32_e32 v26, 7, v26
	v_lshlrev_b32_e32 v6, 8, v6
	v_cndmask_b32_e32 v27, v28, v27, vcc
	v_cndmask_b32_e32 v25, v25, v26, vcc
	v_lshl_add_u32 v26, v27, 10, v24
	v_and_or_b32 v6, v6, s25, v26
	v_lshl_or_b32 v6, v25, 7, v6
	v_cvt_f32_f16_e32 v25, v6
.LBB252_76:                             ;   in Loop: Header=BB252_51 Depth=1
	s_or_b64 exec, exec, s[12:13]
	v_lshrrev_b32_e32 v6, 16, v17
	v_cmp_gt_i16_sdwa s[12:13], v6, s23 src0_sel:BYTE_0 src1_sel:DWORD
	s_mov_b64 s[0:1], 0
                                        ; implicit-def: $sgpr18
	s_and_saveexec_b64 s[16:17], s[12:13]
	s_xor_b64 s[12:13], exec, s[16:17]
	s_cbranch_execnz .LBB252_178
; %bb.77:                               ;   in Loop: Header=BB252_51 Depth=1
	s_or_saveexec_b64 s[12:13], s[12:13]
	v_mov_b32_e32 v26, s18
	s_xor_b64 exec, exec, s[12:13]
	s_cbranch_execnz .LBB252_181
.LBB252_78:                             ;   in Loop: Header=BB252_51 Depth=1
	s_or_b64 exec, exec, s[12:13]
	s_and_saveexec_b64 s[12:13], s[0:1]
	s_cbranch_execz .LBB252_80
.LBB252_79:                             ;   in Loop: Header=BB252_51 Depth=1
	v_bfe_u32 v28, v17, 16, 3
	v_ffbh_u32_e32 v26, v28
	v_min_u32_e32 v30, 32, v26
	v_subrev_u32_e32 v26, 28, v30
	v_bfe_u32 v29, v17, 19, 4
	v_lshlrev_b64 v[26:27], v26, v[6:7]
	v_sub_u32_e32 v27, 29, v30
	v_cmp_eq_u32_e32 vcc, 0, v29
	v_and_b32_e32 v26, 7, v26
	v_lshlrev_b32_e32 v6, 8, v6
	v_cndmask_b32_e32 v27, v29, v27, vcc
	v_lshl_add_u32 v27, v27, 10, v24
	v_cndmask_b32_e32 v26, v28, v26, vcc
	v_and_or_b32 v6, v6, s25, v27
	v_lshl_or_b32 v6, v26, 7, v6
	v_cvt_f32_f16_e32 v26, v6
.LBB252_80:                             ;   in Loop: Header=BB252_51 Depth=1
	s_or_b64 exec, exec, s[12:13]
	v_lshrrev_b32_e32 v6, 24, v17
	v_cmp_lt_i16_e32 vcc, s23, v6
	s_mov_b64 s[0:1], 0
                                        ; implicit-def: $sgpr18
	s_and_saveexec_b64 s[12:13], vcc
	s_xor_b64 s[12:13], exec, s[12:13]
	s_cbranch_execnz .LBB252_182
; %bb.81:                               ;   in Loop: Header=BB252_51 Depth=1
	s_or_saveexec_b64 s[12:13], s[12:13]
	v_mov_b32_e32 v27, s18
	s_xor_b64 exec, exec, s[12:13]
	s_cbranch_execnz .LBB252_185
.LBB252_82:                             ;   in Loop: Header=BB252_51 Depth=1
	s_or_b64 exec, exec, s[12:13]
	s_and_saveexec_b64 s[12:13], s[0:1]
	s_cbranch_execz .LBB252_84
.LBB252_83:                             ;   in Loop: Header=BB252_51 Depth=1
	v_bfe_u32 v27, v17, 24, 3
	v_ffbh_u32_e32 v28, v27
	v_min_u32_e32 v30, 32, v28
	v_subrev_u32_e32 v28, 28, v30
	v_bfe_u32 v17, v17, 27, 4
	v_lshlrev_b64 v[28:29], v28, v[6:7]
	v_sub_u32_e32 v29, 29, v30
	v_cmp_eq_u32_e32 vcc, 0, v17
	v_and_b32_e32 v28, 7, v28
	v_lshlrev_b32_e32 v6, 8, v6
	v_cndmask_b32_e32 v17, v17, v29, vcc
	v_lshl_add_u32 v17, v17, 10, v24
	v_cndmask_b32_e32 v27, v27, v28, vcc
	v_and_or_b32 v6, v6, s25, v17
	v_lshl_or_b32 v6, v27, 7, v6
	v_cvt_f32_f16_e32 v27, v6
.LBB252_84:                             ;   in Loop: Header=BB252_51 Depth=1
	s_or_b64 exec, exec, s[12:13]
	s_waitcnt vmcnt(0)
	v_pk_mul_f32 v[20:21], v[14:15], v[20:21] op_sel_hi:[0,1]
	v_pk_mul_f32 v[18:19], v[14:15], v[18:19] op_sel_hi:[0,1]
	v_cvt_f16_f32_e32 v6, v21
	v_cvt_f16_f32_e32 v17, v20
	;; [unrolled: 1-line block ×4, first 2 shown]
	v_fma_mixlo_f16 v16, v14, v16, 0
	v_pack_b32_f16 v17, v17, v6
	v_cmp_eq_u32_e32 vcc, s22, v2
	v_pack_b32_f16 v18, v18, v19
	v_perm_b32 v6, v18, v17, s27
	v_perm_b32 v17, v18, v17, s29
	v_fma_mixlo_f16 v18, v14, v25, 0
	v_lshlrev_b32_e32 v18, 16, v18
	v_or_b32_sdwa v16, v18, v16 dst_sel:DWORD dst_unused:UNUSED_PAD src0_sel:DWORD src1_sel:WORD_0
	v_fma_mixlo_f16 v18, v14, v26, 0
	v_fma_mixlo_f16 v14, v14, v27, 0
	v_lshlrev_b32_e32 v14, 16, v14
	v_or_b32_sdwa v14, v14, v18 dst_sel:DWORD dst_unused:UNUSED_PAD src0_sel:DWORD src1_sel:WORD_0
	v_add_u32_e32 v31, 1, v1
	v_or_b32_e32 v30, 3, v1
	v_or_b32_e32 v29, 2, v1
	;; [unrolled: 1-line block ×6, first 2 shown]
	s_and_saveexec_b64 s[12:13], vcc
	s_cbranch_execz .LBB252_86
; %bb.85:                               ;   in Loop: Header=BB252_51 Depth=1
	v_lshrrev_b32_e32 v19, 16, v17
	v_cmp_gt_i32_e64 s[0:1], s21, v31
	v_lshrrev_b32_e32 v14, 16, v14
	s_nop 0
	v_cndmask_b32_e64 v19, 0, v19, s[0:1]
	v_cmp_gt_i32_e64 s[0:1], s39, v1
	s_nop 1
	v_cndmask_b32_e64 v17, 0, v17, s[0:1]
	v_perm_b32 v17, v19, v17, s30
	v_lshrrev_b32_e32 v19, 16, v6
	v_cmp_gt_i32_e64 s[0:1], s21, v30
	s_nop 1
	v_cndmask_b32_e64 v19, 0, v19, s[0:1]
	v_cmp_gt_i32_e64 s[0:1], s39, v29
	s_nop 1
	v_cndmask_b32_e64 v6, 0, v6, s[0:1]
	v_perm_b32 v6, v19, v6, s30
	v_lshrrev_b32_e32 v19, 16, v16
	v_cmp_gt_i32_e64 s[0:1], s21, v28
	s_nop 1
	v_cndmask_b32_e64 v19, 0, v19, s[0:1]
	v_cmp_gt_i32_e64 s[0:1], s39, v27
	s_nop 1
	v_cndmask_b32_e64 v16, 0, v16, s[0:1]
	v_cmp_gt_i32_e64 s[0:1], s21, v26
	v_perm_b32 v16, v19, v16, s30
	s_nop 0
	v_cndmask_b32_e64 v14, 0, v14, s[0:1]
	v_cmp_gt_i32_e64 s[0:1], s39, v25
	s_nop 1
	v_cndmask_b32_e64 v18, 0, v18, s[0:1]
	v_perm_b32 v14, v14, v18, s30
.LBB252_86:                             ;   in Loop: Header=BB252_51 Depth=1
	s_or_b64 exec, exec, s[12:13]
	v_and_b32_e32 v18, 0xffff, v32
	v_lshl_or_b32 v35, v33, 16, v18
	v_and_b32_e32 v18, 0xffff, v34
	v_lshl_or_b32 v34, v36, 16, v18
	;; [unrolled: 2-line block ×3, first 2 shown]
	v_and_b32_e32 v18, 0xffff, v39
	;;#ASMSTART
	v_pk_mul_f16 v17, v35, v17;

	;;#ASMEND
	;;#ASMSTART
	v_pk_mul_f16 v6, v34, v6;

	;;#ASMEND
	v_lshl_or_b32 v32, v40, 16, v18
	;;#ASMSTART
	v_pk_mul_f16 v16, v33, v16;

	;;#ASMEND
	;;#ASMSTART
	v_pk_mul_f16 v14, v32, v14;

	;;#ASMEND
	;;#ASMSTART
	v_pk_add_f16 v6, v17, v6;

	;;#ASMEND
	s_mov_b64 s[0:1], 0
	;;#ASMSTART
	v_pk_add_f16 v6, v6, v16;

	;;#ASMEND
                                        ; implicit-def: $sgpr18
	s_nop 0
	;;#ASMSTART
	v_pk_add_f16 v6, v6, v14;

	;;#ASMEND
	s_nop 0
	v_lshrrev_b32_e32 v14, 16, v6
	v_and_b32_e32 v6, 0xffff, v6
	;;#ASMSTART
	v_cvt_f32_f16 v36, v6;
	;;#ASMEND
	;;#ASMSTART
	v_cvt_f32_f16 v37, v14;
	;;#ASMEND
	global_load_dwordx2 v[16:17], v[12:13], off offset:512
	global_load_dword v14, v7, s[14:15]
	s_waitcnt vmcnt(1)
	v_cmp_gt_i16_sdwa s[12:13], v16, s23 src0_sel:BYTE_0 src1_sel:DWORD
	s_and_saveexec_b64 s[16:17], s[12:13]
	s_xor_b64 s[12:13], exec, s[16:17]
	s_cbranch_execnz .LBB252_186
; %bb.87:                               ;   in Loop: Header=BB252_51 Depth=1
	s_or_saveexec_b64 s[12:13], s[12:13]
	v_mov_b32_e32 v18, s18
	s_xor_b64 exec, exec, s[12:13]
	s_cbranch_execnz .LBB252_189
.LBB252_88:                             ;   in Loop: Header=BB252_51 Depth=1
	s_or_b64 exec, exec, s[12:13]
	s_and_saveexec_b64 s[12:13], s[0:1]
	s_cbranch_execz .LBB252_90
.LBB252_89:                             ;   in Loop: Header=BB252_51 Depth=1
	v_and_b32_e32 v6, 7, v16
	v_ffbh_u32_e32 v6, v6
	v_bfe_u32 v18, v16, 3, 4
	v_min_u32_e32 v6, 32, v6
	v_subrev_u32_e32 v19, 28, v6
	v_sub_u32_e32 v6, 29, v6
	v_cmp_eq_u32_e64 s[0:1], 0, v18
	s_nop 1
	v_cndmask_b32_e64 v6, v18, v6, s[0:1]
	v_cndmask_b32_e64 v18, 0, v19, s[0:1]
	v_lshlrev_b64 v[18:19], v18, v[16:17]
	v_lshlrev_b32_e32 v19, 8, v16
	v_lshl_add_u32 v6, v6, 10, v24
	v_lshlrev_b32_e32 v18, 7, v18
	v_and_or_b32 v6, v19, s25, v6
	v_and_or_b32 v6, v18, s26, v6
	v_cvt_f32_f16_e32 v18, v6
.LBB252_90:                             ;   in Loop: Header=BB252_51 Depth=1
	s_or_b64 exec, exec, s[12:13]
	v_lshrrev_b16_e32 v6, 8, v16
	v_cmp_lt_i16_e64 s[0:1], s23, v6
	s_mov_b64 s[12:13], 0
                                        ; implicit-def: $sgpr38
	s_and_saveexec_b64 s[16:17], s[0:1]
	s_xor_b64 s[16:17], exec, s[16:17]
	s_cbranch_execnz .LBB252_190
; %bb.91:                               ;   in Loop: Header=BB252_51 Depth=1
	s_or_saveexec_b64 s[16:17], s[16:17]
	v_mov_b32_e32 v20, s38
	s_xor_b64 exec, exec, s[16:17]
	s_cbranch_execnz .LBB252_193
.LBB252_92:                             ;   in Loop: Header=BB252_51 Depth=1
	s_or_b64 exec, exec, s[16:17]
	s_and_saveexec_b64 s[16:17], s[12:13]
	s_cbranch_execz .LBB252_94
.LBB252_93:                             ;   in Loop: Header=BB252_51 Depth=1
	v_and_b32_e32 v19, 7, v6
	v_ffbh_u32_e32 v20, v19
	v_min_u32_e32 v39, 32, v20
	v_subrev_u32_e32 v20, 28, v39
	v_bfe_u32 v38, v6, 3, 4
	v_lshlrev_b64 v[20:21], v20, v[6:7]
	v_sub_u32_e32 v21, 29, v39
	v_cmp_eq_u32_e64 s[0:1], 0, v38
	v_and_b32_e32 v20, 7, v20
	v_lshlrev_b32_e32 v6, 8, v6
	v_cndmask_b32_e64 v21, v38, v21, s[0:1]
	v_cndmask_b32_e64 v19, v19, v20, s[0:1]
	v_lshl_add_u32 v20, v21, 10, v24
	v_and_or_b32 v6, v6, s25, v20
	v_lshl_or_b32 v6, v19, 7, v6
	v_cvt_f32_f16_e32 v20, v6
.LBB252_94:                             ;   in Loop: Header=BB252_51 Depth=1
	s_or_b64 exec, exec, s[16:17]
	v_lshrrev_b32_e32 v6, 16, v16
	v_cmp_gt_i16_sdwa s[12:13], v6, s23 src0_sel:BYTE_0 src1_sel:DWORD
	s_mov_b64 s[0:1], 0
                                        ; implicit-def: $sgpr18
	s_and_saveexec_b64 s[16:17], s[12:13]
	s_xor_b64 s[12:13], exec, s[16:17]
	s_cbranch_execnz .LBB252_194
; %bb.95:                               ;   in Loop: Header=BB252_51 Depth=1
	s_or_saveexec_b64 s[12:13], s[12:13]
	v_mov_b32_e32 v19, s18
	s_xor_b64 exec, exec, s[12:13]
	s_cbranch_execnz .LBB252_197
.LBB252_96:                             ;   in Loop: Header=BB252_51 Depth=1
	s_or_b64 exec, exec, s[12:13]
	s_and_saveexec_b64 s[12:13], s[0:1]
	s_cbranch_execz .LBB252_98
.LBB252_97:                             ;   in Loop: Header=BB252_51 Depth=1
	v_bfe_u32 v19, v16, 16, 3
	v_ffbh_u32_e32 v38, v19
	v_min_u32_e32 v40, 32, v38
	v_subrev_u32_e32 v38, 28, v40
	v_bfe_u32 v21, v16, 19, 4
	v_lshlrev_b64 v[38:39], v38, v[6:7]
	v_sub_u32_e32 v39, 29, v40
	v_cmp_eq_u32_e64 s[0:1], 0, v21
	v_and_b32_e32 v38, 7, v38
	v_lshlrev_b32_e32 v6, 8, v6
	v_cndmask_b32_e64 v21, v21, v39, s[0:1]
	v_lshl_add_u32 v21, v21, 10, v24
	v_cndmask_b32_e64 v19, v19, v38, s[0:1]
	v_and_or_b32 v6, v6, s25, v21
	v_lshl_or_b32 v6, v19, 7, v6
	v_cvt_f32_f16_e32 v19, v6
.LBB252_98:                             ;   in Loop: Header=BB252_51 Depth=1
	s_or_b64 exec, exec, s[12:13]
	v_lshrrev_b32_e32 v6, 24, v16
	v_cmp_lt_i16_e64 s[0:1], s23, v6
	s_mov_b64 s[12:13], 0
                                        ; implicit-def: $sgpr38
	s_and_saveexec_b64 s[16:17], s[0:1]
	s_xor_b64 s[16:17], exec, s[16:17]
	s_cbranch_execnz .LBB252_198
; %bb.99:                               ;   in Loop: Header=BB252_51 Depth=1
	s_or_saveexec_b64 s[16:17], s[16:17]
	v_mov_b32_e32 v21, s38
	s_xor_b64 exec, exec, s[16:17]
	s_cbranch_execnz .LBB252_201
.LBB252_100:                            ;   in Loop: Header=BB252_51 Depth=1
	s_or_b64 exec, exec, s[16:17]
	s_and_saveexec_b64 s[16:17], s[12:13]
	s_cbranch_execz .LBB252_102
.LBB252_101:                            ;   in Loop: Header=BB252_51 Depth=1
	v_bfe_u32 v21, v16, 24, 3
	v_ffbh_u32_e32 v38, v21
	v_min_u32_e32 v40, 32, v38
	v_subrev_u32_e32 v38, 28, v40
	v_bfe_u32 v16, v16, 27, 4
	v_lshlrev_b64 v[38:39], v38, v[6:7]
	v_sub_u32_e32 v39, 29, v40
	v_cmp_eq_u32_e64 s[0:1], 0, v16
	v_and_b32_e32 v38, 7, v38
	v_lshlrev_b32_e32 v6, 8, v6
	v_cndmask_b32_e64 v16, v16, v39, s[0:1]
	v_lshl_add_u32 v16, v16, 10, v24
	v_cndmask_b32_e64 v21, v21, v38, s[0:1]
	v_and_or_b32 v6, v6, s25, v16
	v_lshl_or_b32 v6, v21, 7, v6
	v_cvt_f32_f16_e32 v21, v6
.LBB252_102:                            ;   in Loop: Header=BB252_51 Depth=1
	s_or_b64 exec, exec, s[16:17]
	v_cmp_gt_i16_sdwa s[12:13], v17, s23 src0_sel:BYTE_0 src1_sel:DWORD
	s_mov_b64 s[0:1], 0
                                        ; implicit-def: $sgpr18
	s_and_saveexec_b64 s[16:17], s[12:13]
	s_xor_b64 s[12:13], exec, s[16:17]
	s_cbranch_execnz .LBB252_202
; %bb.103:                              ;   in Loop: Header=BB252_51 Depth=1
	s_or_saveexec_b64 s[12:13], s[12:13]
	v_mov_b32_e32 v16, s18
	s_xor_b64 exec, exec, s[12:13]
	s_cbranch_execnz .LBB252_205
.LBB252_104:                            ;   in Loop: Header=BB252_51 Depth=1
	s_or_b64 exec, exec, s[12:13]
	v_mov_b32_e32 v6, v17
	s_and_saveexec_b64 s[12:13], s[0:1]
	s_cbranch_execz .LBB252_106
.LBB252_105:                            ;   in Loop: Header=BB252_51 Depth=1
	v_and_b32_e32 v16, 7, v17
	v_ffbh_u32_e32 v16, v16
	v_bfe_u32 v38, v17, 3, 4
	v_min_u32_e32 v16, 32, v16
	v_subrev_u32_e32 v39, 28, v16
	v_sub_u32_e32 v16, 29, v16
	v_cmp_eq_u32_e64 s[0:1], 0, v38
	s_nop 1
	v_cndmask_b32_e64 v16, v38, v16, s[0:1]
	v_cndmask_b32_e64 v38, 0, v39, s[0:1]
	v_lshlrev_b64 v[38:39], v38, v[6:7]
	v_lshlrev_b32_e32 v39, 8, v17
	v_lshl_add_u32 v16, v16, 10, v24
	v_lshlrev_b32_e32 v38, 7, v38
	v_and_or_b32 v16, v39, s25, v16
	v_and_or_b32 v16, v38, s26, v16
	v_cvt_f32_f16_e32 v16, v16
.LBB252_106:                            ;   in Loop: Header=BB252_51 Depth=1
	s_or_b64 exec, exec, s[12:13]
	v_lshrrev_b16_e32 v6, 8, v6
	v_cmp_lt_i16_e64 s[0:1], s23, v6
	s_mov_b64 s[12:13], 0
                                        ; implicit-def: $sgpr38
	s_and_saveexec_b64 s[16:17], s[0:1]
	s_xor_b64 s[16:17], exec, s[16:17]
	s_cbranch_execnz .LBB252_206
; %bb.107:                              ;   in Loop: Header=BB252_51 Depth=1
	s_or_saveexec_b64 s[16:17], s[16:17]
	v_mov_b32_e32 v38, s38
	s_xor_b64 exec, exec, s[16:17]
	s_cbranch_execnz .LBB252_209
.LBB252_108:                            ;   in Loop: Header=BB252_51 Depth=1
	s_or_b64 exec, exec, s[16:17]
	s_and_saveexec_b64 s[16:17], s[12:13]
	s_cbranch_execz .LBB252_110
.LBB252_109:                            ;   in Loop: Header=BB252_51 Depth=1
	v_and_b32_e32 v40, 7, v6
	v_ffbh_u32_e32 v38, v40
	v_min_u32_e32 v42, 32, v38
	v_subrev_u32_e32 v38, 28, v42
	v_bfe_u32 v41, v6, 3, 4
	v_lshlrev_b64 v[38:39], v38, v[6:7]
	v_sub_u32_e32 v39, 29, v42
	v_cmp_eq_u32_e64 s[0:1], 0, v41
	v_and_b32_e32 v38, 7, v38
	v_lshlrev_b32_e32 v6, 8, v6
	v_cndmask_b32_e64 v39, v41, v39, s[0:1]
	v_lshl_add_u32 v39, v39, 10, v24
	v_cndmask_b32_e64 v38, v40, v38, s[0:1]
	v_and_or_b32 v6, v6, s25, v39
	v_lshl_or_b32 v6, v38, 7, v6
	v_cvt_f32_f16_e32 v38, v6
.LBB252_110:                            ;   in Loop: Header=BB252_51 Depth=1
	s_or_b64 exec, exec, s[16:17]
	v_lshrrev_b32_e32 v6, 16, v17
	v_cmp_gt_i16_sdwa s[12:13], v6, s23 src0_sel:BYTE_0 src1_sel:DWORD
	s_mov_b64 s[0:1], 0
                                        ; implicit-def: $sgpr18
	s_and_saveexec_b64 s[16:17], s[12:13]
	s_xor_b64 s[12:13], exec, s[16:17]
	s_cbranch_execnz .LBB252_210
; %bb.111:                              ;   in Loop: Header=BB252_51 Depth=1
	s_or_saveexec_b64 s[12:13], s[12:13]
	v_mov_b32_e32 v39, s18
	s_xor_b64 exec, exec, s[12:13]
	s_cbranch_execnz .LBB252_213
.LBB252_112:                            ;   in Loop: Header=BB252_51 Depth=1
	s_or_b64 exec, exec, s[12:13]
	s_and_saveexec_b64 s[12:13], s[0:1]
	s_cbranch_execz .LBB252_114
.LBB252_113:                            ;   in Loop: Header=BB252_51 Depth=1
	v_bfe_u32 v39, v17, 16, 3
	v_ffbh_u32_e32 v40, v39
	v_min_u32_e32 v43, 32, v40
	v_subrev_u32_e32 v40, 28, v43
	v_bfe_u32 v42, v17, 19, 4
	v_lshlrev_b64 v[40:41], v40, v[6:7]
	v_sub_u32_e32 v41, 29, v43
	v_cmp_eq_u32_e64 s[0:1], 0, v42
	v_and_b32_e32 v40, 7, v40
	v_lshlrev_b32_e32 v6, 8, v6
	v_cndmask_b32_e64 v41, v42, v41, s[0:1]
	v_cndmask_b32_e64 v39, v39, v40, s[0:1]
	v_lshl_add_u32 v40, v41, 10, v24
	v_and_or_b32 v6, v6, s25, v40
	v_lshl_or_b32 v6, v39, 7, v6
	v_cvt_f32_f16_e32 v39, v6
.LBB252_114:                            ;   in Loop: Header=BB252_51 Depth=1
	s_or_b64 exec, exec, s[12:13]
	v_lshrrev_b32_e32 v6, 24, v17
	v_cmp_lt_i16_e64 s[0:1], s23, v6
	s_mov_b64 s[12:13], 0
                                        ; implicit-def: $sgpr38
	s_and_saveexec_b64 s[16:17], s[0:1]
	s_xor_b64 s[16:17], exec, s[16:17]
	s_cbranch_execnz .LBB252_214
; %bb.115:                              ;   in Loop: Header=BB252_51 Depth=1
	s_or_saveexec_b64 s[16:17], s[16:17]
	v_mov_b32_e32 v40, s38
	s_xor_b64 exec, exec, s[16:17]
	s_cbranch_execnz .LBB252_217
.LBB252_116:                            ;   in Loop: Header=BB252_51 Depth=1
	s_or_b64 exec, exec, s[16:17]
	s_and_saveexec_b64 s[16:17], s[12:13]
	s_cbranch_execz .LBB252_118
.LBB252_117:                            ;   in Loop: Header=BB252_51 Depth=1
	v_bfe_u32 v42, v17, 24, 3
	v_ffbh_u32_e32 v40, v42
	v_min_u32_e32 v43, 32, v40
	v_subrev_u32_e32 v40, 28, v43
	v_bfe_u32 v17, v17, 27, 4
	v_lshlrev_b64 v[40:41], v40, v[6:7]
	v_sub_u32_e32 v41, 29, v43
	v_cmp_eq_u32_e64 s[0:1], 0, v17
	v_and_b32_e32 v40, 7, v40
	v_lshlrev_b32_e32 v6, 8, v6
	v_cndmask_b32_e64 v17, v17, v41, s[0:1]
	v_lshl_add_u32 v17, v17, 10, v24
	v_cndmask_b32_e64 v40, v42, v40, s[0:1]
	v_and_or_b32 v6, v6, s25, v17
	v_lshl_or_b32 v6, v40, 7, v6
	v_cvt_f32_f16_e32 v40, v6
.LBB252_118:                            ;   in Loop: Header=BB252_51 Depth=1
	s_or_b64 exec, exec, s[16:17]
	s_waitcnt vmcnt(0)
	v_pk_mul_f32 v[20:21], v[14:15], v[20:21] op_sel_hi:[0,1]
	v_pk_mul_f32 v[18:19], v[14:15], v[18:19] op_sel_hi:[0,1]
	v_cvt_f16_f32_e32 v6, v21
	v_cvt_f16_f32_e32 v17, v20
	;; [unrolled: 1-line block ×4, first 2 shown]
	v_fma_mixlo_f16 v16, v14, v16, 0
	v_pack_b32_f16 v17, v17, v6
	v_pack_b32_f16 v18, v18, v19
	v_perm_b32 v6, v18, v17, s27
	v_perm_b32 v17, v18, v17, s29
	v_fma_mixlo_f16 v18, v14, v38, 0
	v_lshlrev_b32_e32 v18, 16, v18
	v_or_b32_sdwa v16, v18, v16 dst_sel:DWORD dst_unused:UNUSED_PAD src0_sel:DWORD src1_sel:WORD_0
	v_fma_mixlo_f16 v18, v14, v39, 0
	v_fma_mixlo_f16 v14, v14, v40, 0
	v_lshlrev_b32_e32 v14, 16, v14
	v_or_b32_sdwa v14, v14, v18 dst_sel:DWORD dst_unused:UNUSED_PAD src0_sel:DWORD src1_sel:WORD_0
	s_and_saveexec_b64 s[12:13], vcc
	s_cbranch_execz .LBB252_120
; %bb.119:                              ;   in Loop: Header=BB252_51 Depth=1
	v_lshrrev_b32_e32 v19, 16, v17
	v_cmp_gt_i32_e64 s[0:1], s21, v31
	v_lshrrev_b32_e32 v14, 16, v14
	s_nop 0
	v_cndmask_b32_e64 v19, 0, v19, s[0:1]
	v_cmp_gt_i32_e64 s[0:1], s39, v1
	s_nop 1
	v_cndmask_b32_e64 v17, 0, v17, s[0:1]
	v_perm_b32 v17, v19, v17, s30
	v_lshrrev_b32_e32 v19, 16, v6
	v_cmp_gt_i32_e64 s[0:1], s21, v30
	s_nop 1
	v_cndmask_b32_e64 v19, 0, v19, s[0:1]
	v_cmp_gt_i32_e64 s[0:1], s39, v29
	s_nop 1
	v_cndmask_b32_e64 v6, 0, v6, s[0:1]
	v_perm_b32 v6, v19, v6, s30
	v_lshrrev_b32_e32 v19, 16, v16
	v_cmp_gt_i32_e64 s[0:1], s21, v28
	s_nop 1
	v_cndmask_b32_e64 v19, 0, v19, s[0:1]
	v_cmp_gt_i32_e64 s[0:1], s39, v27
	s_nop 1
	v_cndmask_b32_e64 v16, 0, v16, s[0:1]
	v_cmp_gt_i32_e64 s[0:1], s21, v26
	v_perm_b32 v16, v19, v16, s30
	s_nop 0
	v_cndmask_b32_e64 v14, 0, v14, s[0:1]
	v_cmp_gt_i32_e64 s[0:1], s39, v25
	s_nop 1
	v_cndmask_b32_e64 v18, 0, v18, s[0:1]
	v_perm_b32 v14, v14, v18, s30
.LBB252_120:                            ;   in Loop: Header=BB252_51 Depth=1
	s_or_b64 exec, exec, s[12:13]
	;;#ASMSTART
	v_pk_mul_f16 v17, v35, v17;

	;;#ASMEND
	;;#ASMSTART
	v_pk_mul_f16 v6, v34, v6;

	;;#ASMEND
	;; [unrolled: 4-line block ×4, first 2 shown]
	s_mov_b64 s[0:1], 0
	;;#ASMSTART
	v_pk_add_f16 v6, v17, v6;

	;;#ASMEND
                                        ; implicit-def: $sgpr18
	s_nop 0
	;;#ASMSTART
	v_pk_add_f16 v6, v6, v16;

	;;#ASMEND
	s_nop 0
	;;#ASMSTART
	v_pk_add_f16 v6, v6, v14;

	;;#ASMEND
	s_nop 0
	v_lshrrev_b32_e32 v14, 16, v6
	v_and_b32_e32 v6, 0xffff, v6
	;;#ASMSTART
	v_cvt_f32_f16 v20, v6;
	;;#ASMEND
	;;#ASMSTART
	v_cvt_f32_f16 v21, v14;
	;;#ASMEND
	global_load_dwordx2 v[16:17], v[12:13], off offset:1024
	global_load_dword v14, v7, s[14:15]
	s_waitcnt vmcnt(1)
	v_cmp_gt_i16_sdwa s[12:13], v16, s23 src0_sel:BYTE_0 src1_sel:DWORD
	s_and_saveexec_b64 s[16:17], s[12:13]
	s_xor_b64 s[12:13], exec, s[16:17]
	s_cbranch_execnz .LBB252_218
; %bb.121:                              ;   in Loop: Header=BB252_51 Depth=1
	s_or_saveexec_b64 s[12:13], s[12:13]
	v_mov_b32_e32 v12, s18
	s_xor_b64 exec, exec, s[12:13]
	s_cbranch_execnz .LBB252_221
.LBB252_122:                            ;   in Loop: Header=BB252_51 Depth=1
	s_or_b64 exec, exec, s[12:13]
	s_and_saveexec_b64 s[12:13], s[0:1]
	s_cbranch_execz .LBB252_124
.LBB252_123:                            ;   in Loop: Header=BB252_51 Depth=1
	v_and_b32_e32 v6, 7, v16
	v_ffbh_u32_e32 v6, v6
	v_bfe_u32 v12, v16, 3, 4
	v_min_u32_e32 v6, 32, v6
	v_subrev_u32_e32 v13, 28, v6
	v_sub_u32_e32 v6, 29, v6
	v_cmp_eq_u32_e64 s[0:1], 0, v12
	s_nop 1
	v_cndmask_b32_e64 v6, v12, v6, s[0:1]
	v_cndmask_b32_e64 v12, 0, v13, s[0:1]
	v_lshlrev_b64 v[12:13], v12, v[16:17]
	v_lshlrev_b32_e32 v13, 8, v16
	v_lshl_add_u32 v6, v6, 10, v24
	v_lshlrev_b32_e32 v12, 7, v12
	v_and_or_b32 v6, v13, s25, v6
	v_and_or_b32 v6, v12, s26, v6
	v_cvt_f32_f16_e32 v12, v6
.LBB252_124:                            ;   in Loop: Header=BB252_51 Depth=1
	s_or_b64 exec, exec, s[12:13]
	v_lshrrev_b16_e32 v6, 8, v16
	v_cmp_lt_i16_e64 s[0:1], s23, v6
	s_mov_b64 s[12:13], 0
                                        ; implicit-def: $sgpr38
	s_and_saveexec_b64 s[16:17], s[0:1]
	s_xor_b64 s[16:17], exec, s[16:17]
	s_cbranch_execnz .LBB252_222
; %bb.125:                              ;   in Loop: Header=BB252_51 Depth=1
	s_or_saveexec_b64 s[16:17], s[16:17]
	v_mov_b32_e32 v18, s38
	s_xor_b64 exec, exec, s[16:17]
	s_cbranch_execnz .LBB252_225
.LBB252_126:                            ;   in Loop: Header=BB252_51 Depth=1
	s_or_b64 exec, exec, s[16:17]
	s_and_saveexec_b64 s[16:17], s[12:13]
	s_cbranch_execz .LBB252_128
.LBB252_127:                            ;   in Loop: Header=BB252_51 Depth=1
	v_and_b32_e32 v13, 7, v6
	v_ffbh_u32_e32 v18, v13
	v_min_u32_e32 v39, 32, v18
	v_subrev_u32_e32 v18, 28, v39
	v_bfe_u32 v38, v6, 3, 4
	v_lshlrev_b64 v[18:19], v18, v[6:7]
	v_sub_u32_e32 v19, 29, v39
	v_cmp_eq_u32_e64 s[0:1], 0, v38
	v_and_b32_e32 v18, 7, v18
	v_lshlrev_b32_e32 v6, 8, v6
	v_cndmask_b32_e64 v19, v38, v19, s[0:1]
	v_cndmask_b32_e64 v13, v13, v18, s[0:1]
	v_lshl_add_u32 v18, v19, 10, v24
	v_and_or_b32 v6, v6, s25, v18
	v_lshl_or_b32 v6, v13, 7, v6
	v_cvt_f32_f16_e32 v18, v6
.LBB252_128:                            ;   in Loop: Header=BB252_51 Depth=1
	s_or_b64 exec, exec, s[16:17]
	v_lshrrev_b32_e32 v6, 16, v16
	v_cmp_gt_i16_sdwa s[12:13], v6, s23 src0_sel:BYTE_0 src1_sel:DWORD
	s_mov_b64 s[0:1], 0
                                        ; implicit-def: $sgpr18
	s_and_saveexec_b64 s[16:17], s[12:13]
	s_xor_b64 s[12:13], exec, s[16:17]
	s_cbranch_execnz .LBB252_226
; %bb.129:                              ;   in Loop: Header=BB252_51 Depth=1
	s_or_saveexec_b64 s[12:13], s[12:13]
	v_mov_b32_e32 v13, s18
	s_xor_b64 exec, exec, s[12:13]
	s_cbranch_execnz .LBB252_229
.LBB252_130:                            ;   in Loop: Header=BB252_51 Depth=1
	s_or_b64 exec, exec, s[12:13]
	s_and_saveexec_b64 s[12:13], s[0:1]
	s_cbranch_execz .LBB252_132
.LBB252_131:                            ;   in Loop: Header=BB252_51 Depth=1
	v_bfe_u32 v13, v16, 16, 3
	v_ffbh_u32_e32 v38, v13
	v_min_u32_e32 v40, 32, v38
	v_subrev_u32_e32 v38, 28, v40
	v_bfe_u32 v19, v16, 19, 4
	v_lshlrev_b64 v[38:39], v38, v[6:7]
	v_sub_u32_e32 v39, 29, v40
	v_cmp_eq_u32_e64 s[0:1], 0, v19
	v_and_b32_e32 v38, 7, v38
	v_lshlrev_b32_e32 v6, 8, v6
	v_cndmask_b32_e64 v19, v19, v39, s[0:1]
	v_lshl_add_u32 v19, v19, 10, v24
	v_cndmask_b32_e64 v13, v13, v38, s[0:1]
	v_and_or_b32 v6, v6, s25, v19
	v_lshl_or_b32 v6, v13, 7, v6
	v_cvt_f32_f16_e32 v13, v6
.LBB252_132:                            ;   in Loop: Header=BB252_51 Depth=1
	s_or_b64 exec, exec, s[12:13]
	v_lshrrev_b32_e32 v6, 24, v16
	v_cmp_lt_i16_e64 s[0:1], s23, v6
	s_mov_b64 s[12:13], 0
                                        ; implicit-def: $sgpr38
	s_and_saveexec_b64 s[16:17], s[0:1]
	s_xor_b64 s[16:17], exec, s[16:17]
	s_cbranch_execnz .LBB252_230
; %bb.133:                              ;   in Loop: Header=BB252_51 Depth=1
	s_or_saveexec_b64 s[16:17], s[16:17]
	v_mov_b32_e32 v19, s38
	s_xor_b64 exec, exec, s[16:17]
	s_cbranch_execnz .LBB252_233
.LBB252_134:                            ;   in Loop: Header=BB252_51 Depth=1
	s_or_b64 exec, exec, s[16:17]
	s_and_saveexec_b64 s[16:17], s[12:13]
	s_cbranch_execz .LBB252_136
.LBB252_135:                            ;   in Loop: Header=BB252_51 Depth=1
	v_bfe_u32 v19, v16, 24, 3
	v_ffbh_u32_e32 v38, v19
	v_min_u32_e32 v40, 32, v38
	v_subrev_u32_e32 v38, 28, v40
	v_bfe_u32 v16, v16, 27, 4
	v_lshlrev_b64 v[38:39], v38, v[6:7]
	v_sub_u32_e32 v39, 29, v40
	v_cmp_eq_u32_e64 s[0:1], 0, v16
	v_and_b32_e32 v38, 7, v38
	v_lshlrev_b32_e32 v6, 8, v6
	v_cndmask_b32_e64 v16, v16, v39, s[0:1]
	v_lshl_add_u32 v16, v16, 10, v24
	v_cndmask_b32_e64 v19, v19, v38, s[0:1]
	v_and_or_b32 v6, v6, s25, v16
	v_lshl_or_b32 v6, v19, 7, v6
	v_cvt_f32_f16_e32 v19, v6
.LBB252_136:                            ;   in Loop: Header=BB252_51 Depth=1
	s_or_b64 exec, exec, s[16:17]
	v_cmp_gt_i16_sdwa s[12:13], v17, s23 src0_sel:BYTE_0 src1_sel:DWORD
	s_mov_b64 s[0:1], 0
                                        ; implicit-def: $sgpr18
	s_and_saveexec_b64 s[16:17], s[12:13]
	s_xor_b64 s[12:13], exec, s[16:17]
	s_cbranch_execnz .LBB252_234
; %bb.137:                              ;   in Loop: Header=BB252_51 Depth=1
	s_or_saveexec_b64 s[12:13], s[12:13]
	v_mov_b32_e32 v16, s18
	s_xor_b64 exec, exec, s[12:13]
	s_cbranch_execnz .LBB252_237
.LBB252_138:                            ;   in Loop: Header=BB252_51 Depth=1
	s_or_b64 exec, exec, s[12:13]
	v_mov_b32_e32 v6, v17
	s_and_saveexec_b64 s[12:13], s[0:1]
	s_cbranch_execz .LBB252_140
.LBB252_139:                            ;   in Loop: Header=BB252_51 Depth=1
	v_and_b32_e32 v16, 7, v17
	v_ffbh_u32_e32 v16, v16
	v_bfe_u32 v38, v17, 3, 4
	v_min_u32_e32 v16, 32, v16
	v_subrev_u32_e32 v39, 28, v16
	v_sub_u32_e32 v16, 29, v16
	v_cmp_eq_u32_e64 s[0:1], 0, v38
	s_nop 1
	v_cndmask_b32_e64 v16, v38, v16, s[0:1]
	v_cndmask_b32_e64 v38, 0, v39, s[0:1]
	v_lshlrev_b64 v[38:39], v38, v[6:7]
	v_lshlrev_b32_e32 v39, 8, v17
	v_lshl_add_u32 v16, v16, 10, v24
	v_lshlrev_b32_e32 v38, 7, v38
	v_and_or_b32 v16, v39, s25, v16
	v_and_or_b32 v16, v38, s26, v16
	v_cvt_f32_f16_e32 v16, v16
.LBB252_140:                            ;   in Loop: Header=BB252_51 Depth=1
	s_or_b64 exec, exec, s[12:13]
	v_lshrrev_b16_e32 v6, 8, v6
	v_cmp_lt_i16_e64 s[0:1], s23, v6
	s_mov_b64 s[12:13], 0
                                        ; implicit-def: $sgpr38
	s_and_saveexec_b64 s[16:17], s[0:1]
	s_xor_b64 s[16:17], exec, s[16:17]
	s_cbranch_execnz .LBB252_238
; %bb.141:                              ;   in Loop: Header=BB252_51 Depth=1
	s_or_saveexec_b64 s[16:17], s[16:17]
	v_mov_b32_e32 v38, s38
	s_xor_b64 exec, exec, s[16:17]
	s_cbranch_execnz .LBB252_241
.LBB252_142:                            ;   in Loop: Header=BB252_51 Depth=1
	s_or_b64 exec, exec, s[16:17]
	s_and_saveexec_b64 s[16:17], s[12:13]
	s_cbranch_execz .LBB252_144
.LBB252_143:                            ;   in Loop: Header=BB252_51 Depth=1
	v_and_b32_e32 v40, 7, v6
	v_ffbh_u32_e32 v38, v40
	v_min_u32_e32 v42, 32, v38
	v_subrev_u32_e32 v38, 28, v42
	v_bfe_u32 v41, v6, 3, 4
	v_lshlrev_b64 v[38:39], v38, v[6:7]
	v_sub_u32_e32 v39, 29, v42
	v_cmp_eq_u32_e64 s[0:1], 0, v41
	v_and_b32_e32 v38, 7, v38
	v_lshlrev_b32_e32 v6, 8, v6
	v_cndmask_b32_e64 v39, v41, v39, s[0:1]
	v_lshl_add_u32 v39, v39, 10, v24
	v_cndmask_b32_e64 v38, v40, v38, s[0:1]
	v_and_or_b32 v6, v6, s25, v39
	v_lshl_or_b32 v6, v38, 7, v6
	v_cvt_f32_f16_e32 v38, v6
.LBB252_144:                            ;   in Loop: Header=BB252_51 Depth=1
	s_or_b64 exec, exec, s[16:17]
	v_lshrrev_b32_e32 v6, 16, v17
	v_cmp_gt_i16_sdwa s[12:13], v6, s23 src0_sel:BYTE_0 src1_sel:DWORD
	s_mov_b64 s[0:1], 0
                                        ; implicit-def: $sgpr18
	s_and_saveexec_b64 s[16:17], s[12:13]
	s_xor_b64 s[12:13], exec, s[16:17]
	s_cbranch_execnz .LBB252_242
; %bb.145:                              ;   in Loop: Header=BB252_51 Depth=1
	s_or_saveexec_b64 s[12:13], s[12:13]
	v_mov_b32_e32 v39, s18
	s_xor_b64 exec, exec, s[12:13]
	s_cbranch_execnz .LBB252_245
.LBB252_146:                            ;   in Loop: Header=BB252_51 Depth=1
	s_or_b64 exec, exec, s[12:13]
	s_and_saveexec_b64 s[12:13], s[0:1]
	s_cbranch_execz .LBB252_148
.LBB252_147:                            ;   in Loop: Header=BB252_51 Depth=1
	v_bfe_u32 v39, v17, 16, 3
	v_ffbh_u32_e32 v40, v39
	v_min_u32_e32 v43, 32, v40
	v_subrev_u32_e32 v40, 28, v43
	v_bfe_u32 v42, v17, 19, 4
	v_lshlrev_b64 v[40:41], v40, v[6:7]
	v_sub_u32_e32 v41, 29, v43
	v_cmp_eq_u32_e64 s[0:1], 0, v42
	v_and_b32_e32 v40, 7, v40
	v_lshlrev_b32_e32 v6, 8, v6
	v_cndmask_b32_e64 v41, v42, v41, s[0:1]
	v_cndmask_b32_e64 v39, v39, v40, s[0:1]
	v_lshl_add_u32 v40, v41, 10, v24
	v_and_or_b32 v6, v6, s25, v40
	v_lshl_or_b32 v6, v39, 7, v6
	v_cvt_f32_f16_e32 v39, v6
.LBB252_148:                            ;   in Loop: Header=BB252_51 Depth=1
	s_or_b64 exec, exec, s[12:13]
	v_lshrrev_b32_e32 v6, 24, v17
	v_cmp_lt_i16_e64 s[0:1], s23, v6
	s_mov_b64 s[12:13], 0
                                        ; implicit-def: $sgpr38
	s_and_saveexec_b64 s[16:17], s[0:1]
	s_xor_b64 s[16:17], exec, s[16:17]
	s_cbranch_execnz .LBB252_246
; %bb.149:                              ;   in Loop: Header=BB252_51 Depth=1
	s_or_saveexec_b64 s[16:17], s[16:17]
	v_mov_b32_e32 v40, s38
	s_xor_b64 exec, exec, s[16:17]
	s_cbranch_execnz .LBB252_249
.LBB252_150:                            ;   in Loop: Header=BB252_51 Depth=1
	s_or_b64 exec, exec, s[16:17]
	s_and_saveexec_b64 s[16:17], s[12:13]
	s_cbranch_execz .LBB252_152
.LBB252_151:                            ;   in Loop: Header=BB252_51 Depth=1
	v_bfe_u32 v42, v17, 24, 3
	v_ffbh_u32_e32 v40, v42
	v_min_u32_e32 v43, 32, v40
	v_subrev_u32_e32 v40, 28, v43
	v_bfe_u32 v17, v17, 27, 4
	v_lshlrev_b64 v[40:41], v40, v[6:7]
	v_sub_u32_e32 v41, 29, v43
	v_cmp_eq_u32_e64 s[0:1], 0, v17
	v_and_b32_e32 v40, 7, v40
	v_lshlrev_b32_e32 v6, 8, v6
	v_cndmask_b32_e64 v17, v17, v41, s[0:1]
	v_lshl_add_u32 v17, v17, 10, v24
	v_cndmask_b32_e64 v40, v42, v40, s[0:1]
	v_and_or_b32 v6, v6, s25, v17
	v_lshl_or_b32 v6, v40, 7, v6
	v_cvt_f32_f16_e32 v40, v6
.LBB252_152:                            ;   in Loop: Header=BB252_51 Depth=1
	s_or_b64 exec, exec, s[16:17]
	s_waitcnt vmcnt(0)
	v_pk_mul_f32 v[18:19], v[14:15], v[18:19] op_sel_hi:[0,1]
	v_pk_mul_f32 v[12:13], v[14:15], v[12:13] op_sel_hi:[0,1]
	v_cvt_f16_f32_e32 v6, v19
	v_cvt_f16_f32_e32 v17, v18
	;; [unrolled: 1-line block ×4, first 2 shown]
	v_fma_mixlo_f16 v16, v14, v16, 0
	v_pack_b32_f16 v17, v17, v6
	v_pack_b32_f16 v12, v12, v13
	v_perm_b32 v6, v12, v17, s27
	v_perm_b32 v13, v12, v17, s29
	v_fma_mixlo_f16 v12, v14, v38, 0
	v_lshlrev_b32_e32 v12, 16, v12
	v_or_b32_sdwa v12, v12, v16 dst_sel:DWORD dst_unused:UNUSED_PAD src0_sel:DWORD src1_sel:WORD_0
	v_fma_mixlo_f16 v16, v14, v39, 0
	v_fma_mixlo_f16 v14, v14, v40, 0
	v_lshlrev_b32_e32 v14, 16, v14
	v_or_b32_sdwa v14, v14, v16 dst_sel:DWORD dst_unused:UNUSED_PAD src0_sel:DWORD src1_sel:WORD_0
	s_and_saveexec_b64 s[0:1], vcc
	s_cbranch_execz .LBB252_49
; %bb.153:                              ;   in Loop: Header=BB252_51 Depth=1
	v_lshrrev_b32_e32 v17, 16, v13
	v_cmp_gt_i32_e32 vcc, s21, v31
	v_lshrrev_b32_e32 v14, 16, v14
	s_nop 0
	v_cndmask_b32_e32 v17, 0, v17, vcc
	v_cmp_gt_i32_e32 vcc, s39, v1
	s_nop 1
	v_cndmask_b32_e32 v13, 0, v13, vcc
	v_perm_b32 v13, v17, v13, s30
	v_lshrrev_b32_e32 v17, 16, v6
	v_cmp_gt_i32_e32 vcc, s21, v30
	s_nop 1
	v_cndmask_b32_e32 v17, 0, v17, vcc
	v_cmp_gt_i32_e32 vcc, s39, v29
	s_nop 1
	v_cndmask_b32_e32 v6, 0, v6, vcc
	v_perm_b32 v6, v17, v6, s30
	v_lshrrev_b32_e32 v17, 16, v12
	v_cmp_gt_i32_e32 vcc, s21, v28
	s_nop 1
	v_cndmask_b32_e32 v17, 0, v17, vcc
	v_cmp_gt_i32_e32 vcc, s39, v27
	s_nop 1
	v_cndmask_b32_e32 v12, 0, v12, vcc
	v_cmp_gt_i32_e32 vcc, s21, v26
	v_perm_b32 v12, v17, v12, s30
	s_nop 0
	v_cndmask_b32_e32 v14, 0, v14, vcc
	v_cmp_gt_i32_e32 vcc, s39, v25
	s_nop 1
	v_cndmask_b32_e32 v16, 0, v16, vcc
	v_perm_b32 v14, v14, v16, s30
	s_branch .LBB252_49
.LBB252_154:                            ;   in Loop: Header=BB252_51 Depth=1
	v_cmp_eq_u16_sdwa s[40:41], v16, s24 src0_sel:BYTE_0 src1_sel:DWORD
	s_mov_b64 s[0:1], -1
                                        ; implicit-def: $sgpr18
	s_and_saveexec_b64 s[16:17], s[40:41]
; %bb.155:                              ;   in Loop: Header=BB252_51 Depth=1
	s_mov_b32 s18, 0x7fc02000
	s_xor_b64 s[0:1], exec, -1
; %bb.156:                              ;   in Loop: Header=BB252_51 Depth=1
	s_or_b64 exec, exec, s[16:17]
	s_and_b64 s[0:1], s[0:1], exec
	s_or_saveexec_b64 s[12:13], s[12:13]
	v_mov_b32_e32 v18, s18
	s_xor_b64 exec, exec, s[12:13]
	s_cbranch_execz .LBB252_54
.LBB252_157:                            ;   in Loop: Header=BB252_51 Depth=1
	v_cmp_ne_u16_sdwa s[16:17], v16, v7 src0_sel:BYTE_0 src1_sel:DWORD
	s_andn2_b64 s[0:1], s[0:1], exec
	s_and_b64 s[16:17], s[16:17], exec
	v_mov_b32_e32 v18, 0
	s_or_b64 s[0:1], s[0:1], s[16:17]
	s_or_b64 exec, exec, s[12:13]
	s_and_saveexec_b64 s[12:13], s[0:1]
	s_cbranch_execnz .LBB252_55
	s_branch .LBB252_56
.LBB252_158:                            ;   in Loop: Header=BB252_51 Depth=1
	v_cmp_eq_u16_e32 vcc, s24, v6
	s_mov_b64 s[0:1], -1
                                        ; implicit-def: $sgpr18
	s_and_saveexec_b64 s[16:17], vcc
; %bb.159:                              ;   in Loop: Header=BB252_51 Depth=1
	s_mov_b32 s18, 0x7fc02000
	s_xor_b64 s[0:1], exec, -1
; %bb.160:                              ;   in Loop: Header=BB252_51 Depth=1
	s_or_b64 exec, exec, s[16:17]
	s_and_b64 s[0:1], s[0:1], exec
	s_or_saveexec_b64 s[12:13], s[12:13]
	v_mov_b32_e32 v20, s18
	s_xor_b64 exec, exec, s[12:13]
	s_cbranch_execz .LBB252_58
.LBB252_161:                            ;   in Loop: Header=BB252_51 Depth=1
	v_cmp_ne_u16_e32 vcc, 0, v6
	s_andn2_b64 s[0:1], s[0:1], exec
	s_and_b64 s[16:17], vcc, exec
	v_mov_b32_e32 v20, 0
	s_or_b64 s[0:1], s[0:1], s[16:17]
	s_or_b64 exec, exec, s[12:13]
	s_and_saveexec_b64 s[12:13], s[0:1]
	s_cbranch_execnz .LBB252_59
	s_branch .LBB252_60
.LBB252_162:                            ;   in Loop: Header=BB252_51 Depth=1
	v_cmp_eq_u16_sdwa s[40:41], v6, s24 src0_sel:BYTE_0 src1_sel:DWORD
	s_mov_b64 s[0:1], -1
                                        ; implicit-def: $sgpr18
	s_and_saveexec_b64 s[16:17], s[40:41]
; %bb.163:                              ;   in Loop: Header=BB252_51 Depth=1
	s_mov_b32 s18, 0x7fc02000
	s_xor_b64 s[0:1], exec, -1
; %bb.164:                              ;   in Loop: Header=BB252_51 Depth=1
	s_or_b64 exec, exec, s[16:17]
	s_and_b64 s[0:1], s[0:1], exec
	s_or_saveexec_b64 s[12:13], s[12:13]
	v_mov_b32_e32 v19, s18
	s_xor_b64 exec, exec, s[12:13]
	s_cbranch_execz .LBB252_62
.LBB252_165:                            ;   in Loop: Header=BB252_51 Depth=1
	v_cmp_ne_u16_sdwa s[16:17], v6, v7 src0_sel:BYTE_0 src1_sel:DWORD
	s_andn2_b64 s[0:1], s[0:1], exec
	s_and_b64 s[16:17], s[16:17], exec
	v_mov_b32_e32 v19, 0
	s_or_b64 s[0:1], s[0:1], s[16:17]
	s_or_b64 exec, exec, s[12:13]
	s_and_saveexec_b64 s[12:13], s[0:1]
	s_cbranch_execnz .LBB252_63
	s_branch .LBB252_64
.LBB252_166:                            ;   in Loop: Header=BB252_51 Depth=1
	v_cmp_eq_u16_e32 vcc, s24, v6
	s_mov_b64 s[0:1], -1
                                        ; implicit-def: $sgpr18
	s_and_saveexec_b64 s[16:17], vcc
; %bb.167:                              ;   in Loop: Header=BB252_51 Depth=1
	s_mov_b32 s18, 0x7fc02000
	s_xor_b64 s[0:1], exec, -1
; %bb.168:                              ;   in Loop: Header=BB252_51 Depth=1
	s_or_b64 exec, exec, s[16:17]
	s_and_b64 s[0:1], s[0:1], exec
	s_or_saveexec_b64 s[12:13], s[12:13]
	v_mov_b32_e32 v21, s18
	s_xor_b64 exec, exec, s[12:13]
	s_cbranch_execz .LBB252_66
.LBB252_169:                            ;   in Loop: Header=BB252_51 Depth=1
	v_cmp_ne_u16_e32 vcc, 0, v6
	s_andn2_b64 s[0:1], s[0:1], exec
	s_and_b64 s[16:17], vcc, exec
	v_mov_b32_e32 v21, 0
	s_or_b64 s[0:1], s[0:1], s[16:17]
	s_or_b64 exec, exec, s[12:13]
	s_and_saveexec_b64 s[12:13], s[0:1]
	s_cbranch_execnz .LBB252_67
	s_branch .LBB252_68
.LBB252_170:                            ;   in Loop: Header=BB252_51 Depth=1
	v_cmp_eq_u16_sdwa s[40:41], v17, s24 src0_sel:BYTE_0 src1_sel:DWORD
	s_mov_b64 s[0:1], -1
                                        ; implicit-def: $sgpr18
	s_and_saveexec_b64 s[16:17], s[40:41]
; %bb.171:                              ;   in Loop: Header=BB252_51 Depth=1
	s_mov_b32 s18, 0x7fc02000
	s_xor_b64 s[0:1], exec, -1
; %bb.172:                              ;   in Loop: Header=BB252_51 Depth=1
	s_or_b64 exec, exec, s[16:17]
	s_and_b64 s[0:1], s[0:1], exec
	s_or_saveexec_b64 s[12:13], s[12:13]
	v_mov_b32_e32 v16, s18
	s_xor_b64 exec, exec, s[12:13]
	s_cbranch_execz .LBB252_70
.LBB252_173:                            ;   in Loop: Header=BB252_51 Depth=1
	v_cmp_ne_u16_sdwa s[16:17], v17, v7 src0_sel:BYTE_0 src1_sel:DWORD
	s_andn2_b64 s[0:1], s[0:1], exec
	s_and_b64 s[16:17], s[16:17], exec
	v_mov_b32_e32 v16, 0
	s_or_b64 s[0:1], s[0:1], s[16:17]
	s_or_b64 exec, exec, s[12:13]
	v_mov_b32_e32 v6, v17
	s_and_saveexec_b64 s[12:13], s[0:1]
	s_cbranch_execnz .LBB252_71
	s_branch .LBB252_72
.LBB252_174:                            ;   in Loop: Header=BB252_51 Depth=1
	v_cmp_eq_u16_e32 vcc, s24, v6
	s_mov_b64 s[0:1], -1
                                        ; implicit-def: $sgpr18
	s_and_saveexec_b64 s[16:17], vcc
; %bb.175:                              ;   in Loop: Header=BB252_51 Depth=1
	s_mov_b32 s18, 0x7fc02000
	s_xor_b64 s[0:1], exec, -1
; %bb.176:                              ;   in Loop: Header=BB252_51 Depth=1
	s_or_b64 exec, exec, s[16:17]
	s_and_b64 s[0:1], s[0:1], exec
	s_or_saveexec_b64 s[12:13], s[12:13]
	v_mov_b32_e32 v25, s18
	s_xor_b64 exec, exec, s[12:13]
	s_cbranch_execz .LBB252_74
.LBB252_177:                            ;   in Loop: Header=BB252_51 Depth=1
	v_cmp_ne_u16_e32 vcc, 0, v6
	s_andn2_b64 s[0:1], s[0:1], exec
	s_and_b64 s[16:17], vcc, exec
	v_mov_b32_e32 v25, 0
	s_or_b64 s[0:1], s[0:1], s[16:17]
	s_or_b64 exec, exec, s[12:13]
	s_and_saveexec_b64 s[12:13], s[0:1]
	s_cbranch_execnz .LBB252_75
	s_branch .LBB252_76
.LBB252_178:                            ;   in Loop: Header=BB252_51 Depth=1
	v_cmp_eq_u16_sdwa s[40:41], v6, s24 src0_sel:BYTE_0 src1_sel:DWORD
	s_mov_b64 s[0:1], -1
                                        ; implicit-def: $sgpr18
	s_and_saveexec_b64 s[16:17], s[40:41]
; %bb.179:                              ;   in Loop: Header=BB252_51 Depth=1
	s_mov_b32 s18, 0x7fc02000
	s_xor_b64 s[0:1], exec, -1
; %bb.180:                              ;   in Loop: Header=BB252_51 Depth=1
	s_or_b64 exec, exec, s[16:17]
	s_and_b64 s[0:1], s[0:1], exec
	s_or_saveexec_b64 s[12:13], s[12:13]
	v_mov_b32_e32 v26, s18
	s_xor_b64 exec, exec, s[12:13]
	s_cbranch_execz .LBB252_78
.LBB252_181:                            ;   in Loop: Header=BB252_51 Depth=1
	v_cmp_ne_u16_sdwa s[16:17], v6, v7 src0_sel:BYTE_0 src1_sel:DWORD
	s_andn2_b64 s[0:1], s[0:1], exec
	s_and_b64 s[16:17], s[16:17], exec
	v_mov_b32_e32 v26, 0
	s_or_b64 s[0:1], s[0:1], s[16:17]
	s_or_b64 exec, exec, s[12:13]
	s_and_saveexec_b64 s[12:13], s[0:1]
	s_cbranch_execnz .LBB252_79
	s_branch .LBB252_80
.LBB252_182:                            ;   in Loop: Header=BB252_51 Depth=1
	v_cmp_eq_u16_e32 vcc, s24, v6
	s_mov_b64 s[0:1], -1
                                        ; implicit-def: $sgpr18
	s_and_saveexec_b64 s[16:17], vcc
; %bb.183:                              ;   in Loop: Header=BB252_51 Depth=1
	s_mov_b32 s18, 0x7fc02000
	s_xor_b64 s[0:1], exec, -1
; %bb.184:                              ;   in Loop: Header=BB252_51 Depth=1
	s_or_b64 exec, exec, s[16:17]
	s_and_b64 s[0:1], s[0:1], exec
	s_or_saveexec_b64 s[12:13], s[12:13]
	v_mov_b32_e32 v27, s18
	s_xor_b64 exec, exec, s[12:13]
	s_cbranch_execz .LBB252_82
.LBB252_185:                            ;   in Loop: Header=BB252_51 Depth=1
	v_cmp_ne_u16_e32 vcc, 0, v6
	s_andn2_b64 s[0:1], s[0:1], exec
	s_and_b64 s[16:17], vcc, exec
	v_mov_b32_e32 v27, 0
	s_or_b64 s[0:1], s[0:1], s[16:17]
	s_or_b64 exec, exec, s[12:13]
	s_and_saveexec_b64 s[12:13], s[0:1]
	s_cbranch_execnz .LBB252_83
	s_branch .LBB252_84
.LBB252_186:                            ;   in Loop: Header=BB252_51 Depth=1
	v_cmp_eq_u16_sdwa s[40:41], v16, s24 src0_sel:BYTE_0 src1_sel:DWORD
	s_mov_b64 s[0:1], -1
                                        ; implicit-def: $sgpr18
	s_and_saveexec_b64 s[16:17], s[40:41]
; %bb.187:                              ;   in Loop: Header=BB252_51 Depth=1
	s_mov_b32 s18, 0x7fc02000
	s_xor_b64 s[0:1], exec, -1
; %bb.188:                              ;   in Loop: Header=BB252_51 Depth=1
	s_or_b64 exec, exec, s[16:17]
	s_and_b64 s[0:1], s[0:1], exec
	s_or_saveexec_b64 s[12:13], s[12:13]
	v_mov_b32_e32 v18, s18
	s_xor_b64 exec, exec, s[12:13]
	s_cbranch_execz .LBB252_88
.LBB252_189:                            ;   in Loop: Header=BB252_51 Depth=1
	v_cmp_ne_u16_sdwa s[16:17], v16, v7 src0_sel:BYTE_0 src1_sel:DWORD
	s_andn2_b64 s[0:1], s[0:1], exec
	s_and_b64 s[16:17], s[16:17], exec
	v_mov_b32_e32 v18, 0
	s_or_b64 s[0:1], s[0:1], s[16:17]
	s_or_b64 exec, exec, s[12:13]
	s_and_saveexec_b64 s[12:13], s[0:1]
	s_cbranch_execnz .LBB252_89
	s_branch .LBB252_90
.LBB252_190:                            ;   in Loop: Header=BB252_51 Depth=1
	v_cmp_eq_u16_e64 s[0:1], s24, v6
	s_mov_b64 s[12:13], -1
                                        ; implicit-def: $sgpr38
	s_and_saveexec_b64 s[18:19], s[0:1]
; %bb.191:                              ;   in Loop: Header=BB252_51 Depth=1
	s_mov_b32 s38, 0x7fc02000
	s_xor_b64 s[12:13], exec, -1
; %bb.192:                              ;   in Loop: Header=BB252_51 Depth=1
	s_or_b64 exec, exec, s[18:19]
	s_and_b64 s[12:13], s[12:13], exec
	s_or_saveexec_b64 s[16:17], s[16:17]
	v_mov_b32_e32 v20, s38
	s_xor_b64 exec, exec, s[16:17]
	s_cbranch_execz .LBB252_92
.LBB252_193:                            ;   in Loop: Header=BB252_51 Depth=1
	v_cmp_ne_u16_e64 s[0:1], 0, v6
	s_andn2_b64 s[12:13], s[12:13], exec
	s_and_b64 s[0:1], s[0:1], exec
	v_mov_b32_e32 v20, 0
	s_or_b64 s[12:13], s[12:13], s[0:1]
	s_or_b64 exec, exec, s[16:17]
	s_and_saveexec_b64 s[16:17], s[12:13]
	s_cbranch_execnz .LBB252_93
	s_branch .LBB252_94
.LBB252_194:                            ;   in Loop: Header=BB252_51 Depth=1
	v_cmp_eq_u16_sdwa s[40:41], v6, s24 src0_sel:BYTE_0 src1_sel:DWORD
	s_mov_b64 s[0:1], -1
                                        ; implicit-def: $sgpr18
	s_and_saveexec_b64 s[16:17], s[40:41]
; %bb.195:                              ;   in Loop: Header=BB252_51 Depth=1
	s_mov_b32 s18, 0x7fc02000
	s_xor_b64 s[0:1], exec, -1
; %bb.196:                              ;   in Loop: Header=BB252_51 Depth=1
	s_or_b64 exec, exec, s[16:17]
	s_and_b64 s[0:1], s[0:1], exec
	s_or_saveexec_b64 s[12:13], s[12:13]
	v_mov_b32_e32 v19, s18
	s_xor_b64 exec, exec, s[12:13]
	s_cbranch_execz .LBB252_96
.LBB252_197:                            ;   in Loop: Header=BB252_51 Depth=1
	v_cmp_ne_u16_sdwa s[16:17], v6, v7 src0_sel:BYTE_0 src1_sel:DWORD
	s_andn2_b64 s[0:1], s[0:1], exec
	s_and_b64 s[16:17], s[16:17], exec
	v_mov_b32_e32 v19, 0
	s_or_b64 s[0:1], s[0:1], s[16:17]
	s_or_b64 exec, exec, s[12:13]
	s_and_saveexec_b64 s[12:13], s[0:1]
	s_cbranch_execnz .LBB252_97
	s_branch .LBB252_98
.LBB252_198:                            ;   in Loop: Header=BB252_51 Depth=1
	v_cmp_eq_u16_e64 s[0:1], s24, v6
	s_mov_b64 s[12:13], -1
                                        ; implicit-def: $sgpr38
	s_and_saveexec_b64 s[18:19], s[0:1]
; %bb.199:                              ;   in Loop: Header=BB252_51 Depth=1
	s_mov_b32 s38, 0x7fc02000
	s_xor_b64 s[12:13], exec, -1
; %bb.200:                              ;   in Loop: Header=BB252_51 Depth=1
	s_or_b64 exec, exec, s[18:19]
	s_and_b64 s[12:13], s[12:13], exec
	s_or_saveexec_b64 s[16:17], s[16:17]
	v_mov_b32_e32 v21, s38
	s_xor_b64 exec, exec, s[16:17]
	s_cbranch_execz .LBB252_100
.LBB252_201:                            ;   in Loop: Header=BB252_51 Depth=1
	v_cmp_ne_u16_e64 s[0:1], 0, v6
	s_andn2_b64 s[12:13], s[12:13], exec
	s_and_b64 s[0:1], s[0:1], exec
	v_mov_b32_e32 v21, 0
	s_or_b64 s[12:13], s[12:13], s[0:1]
	s_or_b64 exec, exec, s[16:17]
	s_and_saveexec_b64 s[16:17], s[12:13]
	s_cbranch_execnz .LBB252_101
	s_branch .LBB252_102
.LBB252_202:                            ;   in Loop: Header=BB252_51 Depth=1
	v_cmp_eq_u16_sdwa s[40:41], v17, s24 src0_sel:BYTE_0 src1_sel:DWORD
	s_mov_b64 s[0:1], -1
                                        ; implicit-def: $sgpr18
	s_and_saveexec_b64 s[16:17], s[40:41]
; %bb.203:                              ;   in Loop: Header=BB252_51 Depth=1
	s_mov_b32 s18, 0x7fc02000
	s_xor_b64 s[0:1], exec, -1
; %bb.204:                              ;   in Loop: Header=BB252_51 Depth=1
	s_or_b64 exec, exec, s[16:17]
	s_and_b64 s[0:1], s[0:1], exec
	s_or_saveexec_b64 s[12:13], s[12:13]
	v_mov_b32_e32 v16, s18
	s_xor_b64 exec, exec, s[12:13]
	s_cbranch_execz .LBB252_104
.LBB252_205:                            ;   in Loop: Header=BB252_51 Depth=1
	v_cmp_ne_u16_sdwa s[16:17], v17, v7 src0_sel:BYTE_0 src1_sel:DWORD
	s_andn2_b64 s[0:1], s[0:1], exec
	s_and_b64 s[16:17], s[16:17], exec
	v_mov_b32_e32 v16, 0
	s_or_b64 s[0:1], s[0:1], s[16:17]
	s_or_b64 exec, exec, s[12:13]
	v_mov_b32_e32 v6, v17
	s_and_saveexec_b64 s[12:13], s[0:1]
	s_cbranch_execnz .LBB252_105
	s_branch .LBB252_106
.LBB252_206:                            ;   in Loop: Header=BB252_51 Depth=1
	v_cmp_eq_u16_e64 s[0:1], s24, v6
	s_mov_b64 s[12:13], -1
                                        ; implicit-def: $sgpr38
	s_and_saveexec_b64 s[18:19], s[0:1]
; %bb.207:                              ;   in Loop: Header=BB252_51 Depth=1
	s_mov_b32 s38, 0x7fc02000
	s_xor_b64 s[12:13], exec, -1
; %bb.208:                              ;   in Loop: Header=BB252_51 Depth=1
	s_or_b64 exec, exec, s[18:19]
	s_and_b64 s[12:13], s[12:13], exec
	s_or_saveexec_b64 s[16:17], s[16:17]
	v_mov_b32_e32 v38, s38
	s_xor_b64 exec, exec, s[16:17]
	s_cbranch_execz .LBB252_108
.LBB252_209:                            ;   in Loop: Header=BB252_51 Depth=1
	v_cmp_ne_u16_e64 s[0:1], 0, v6
	s_andn2_b64 s[12:13], s[12:13], exec
	s_and_b64 s[0:1], s[0:1], exec
	v_mov_b32_e32 v38, 0
	s_or_b64 s[12:13], s[12:13], s[0:1]
	s_or_b64 exec, exec, s[16:17]
	s_and_saveexec_b64 s[16:17], s[12:13]
	s_cbranch_execnz .LBB252_109
	s_branch .LBB252_110
.LBB252_210:                            ;   in Loop: Header=BB252_51 Depth=1
	v_cmp_eq_u16_sdwa s[40:41], v6, s24 src0_sel:BYTE_0 src1_sel:DWORD
	s_mov_b64 s[0:1], -1
                                        ; implicit-def: $sgpr18
	s_and_saveexec_b64 s[16:17], s[40:41]
; %bb.211:                              ;   in Loop: Header=BB252_51 Depth=1
	s_mov_b32 s18, 0x7fc02000
	s_xor_b64 s[0:1], exec, -1
; %bb.212:                              ;   in Loop: Header=BB252_51 Depth=1
	s_or_b64 exec, exec, s[16:17]
	s_and_b64 s[0:1], s[0:1], exec
	s_or_saveexec_b64 s[12:13], s[12:13]
	v_mov_b32_e32 v39, s18
	s_xor_b64 exec, exec, s[12:13]
	s_cbranch_execz .LBB252_112
.LBB252_213:                            ;   in Loop: Header=BB252_51 Depth=1
	v_cmp_ne_u16_sdwa s[16:17], v6, v7 src0_sel:BYTE_0 src1_sel:DWORD
	s_andn2_b64 s[0:1], s[0:1], exec
	s_and_b64 s[16:17], s[16:17], exec
	v_mov_b32_e32 v39, 0
	s_or_b64 s[0:1], s[0:1], s[16:17]
	s_or_b64 exec, exec, s[12:13]
	s_and_saveexec_b64 s[12:13], s[0:1]
	s_cbranch_execnz .LBB252_113
	s_branch .LBB252_114
.LBB252_214:                            ;   in Loop: Header=BB252_51 Depth=1
	v_cmp_eq_u16_e64 s[0:1], s24, v6
	s_mov_b64 s[12:13], -1
                                        ; implicit-def: $sgpr38
	s_and_saveexec_b64 s[18:19], s[0:1]
; %bb.215:                              ;   in Loop: Header=BB252_51 Depth=1
	s_mov_b32 s38, 0x7fc02000
	s_xor_b64 s[12:13], exec, -1
; %bb.216:                              ;   in Loop: Header=BB252_51 Depth=1
	s_or_b64 exec, exec, s[18:19]
	s_and_b64 s[12:13], s[12:13], exec
	s_or_saveexec_b64 s[16:17], s[16:17]
	v_mov_b32_e32 v40, s38
	s_xor_b64 exec, exec, s[16:17]
	s_cbranch_execz .LBB252_116
.LBB252_217:                            ;   in Loop: Header=BB252_51 Depth=1
	v_cmp_ne_u16_e64 s[0:1], 0, v6
	s_andn2_b64 s[12:13], s[12:13], exec
	s_and_b64 s[0:1], s[0:1], exec
	v_mov_b32_e32 v40, 0
	s_or_b64 s[12:13], s[12:13], s[0:1]
	s_or_b64 exec, exec, s[16:17]
	s_and_saveexec_b64 s[16:17], s[12:13]
	s_cbranch_execnz .LBB252_117
	s_branch .LBB252_118
.LBB252_218:                            ;   in Loop: Header=BB252_51 Depth=1
	v_cmp_eq_u16_sdwa s[40:41], v16, s24 src0_sel:BYTE_0 src1_sel:DWORD
	s_mov_b64 s[0:1], -1
                                        ; implicit-def: $sgpr18
	s_and_saveexec_b64 s[16:17], s[40:41]
; %bb.219:                              ;   in Loop: Header=BB252_51 Depth=1
	s_mov_b32 s18, 0x7fc02000
	s_xor_b64 s[0:1], exec, -1
; %bb.220:                              ;   in Loop: Header=BB252_51 Depth=1
	s_or_b64 exec, exec, s[16:17]
	s_and_b64 s[0:1], s[0:1], exec
	s_or_saveexec_b64 s[12:13], s[12:13]
	v_mov_b32_e32 v12, s18
	s_xor_b64 exec, exec, s[12:13]
	s_cbranch_execz .LBB252_122
.LBB252_221:                            ;   in Loop: Header=BB252_51 Depth=1
	v_cmp_ne_u16_sdwa s[16:17], v16, v7 src0_sel:BYTE_0 src1_sel:DWORD
	s_andn2_b64 s[0:1], s[0:1], exec
	s_and_b64 s[16:17], s[16:17], exec
	v_mov_b32_e32 v12, 0
	s_or_b64 s[0:1], s[0:1], s[16:17]
	s_or_b64 exec, exec, s[12:13]
	s_and_saveexec_b64 s[12:13], s[0:1]
	s_cbranch_execnz .LBB252_123
	s_branch .LBB252_124
.LBB252_222:                            ;   in Loop: Header=BB252_51 Depth=1
	v_cmp_eq_u16_e64 s[0:1], s24, v6
	s_mov_b64 s[12:13], -1
                                        ; implicit-def: $sgpr38
	s_and_saveexec_b64 s[18:19], s[0:1]
; %bb.223:                              ;   in Loop: Header=BB252_51 Depth=1
	s_mov_b32 s38, 0x7fc02000
	s_xor_b64 s[12:13], exec, -1
; %bb.224:                              ;   in Loop: Header=BB252_51 Depth=1
	s_or_b64 exec, exec, s[18:19]
	s_and_b64 s[12:13], s[12:13], exec
	s_or_saveexec_b64 s[16:17], s[16:17]
	v_mov_b32_e32 v18, s38
	s_xor_b64 exec, exec, s[16:17]
	s_cbranch_execz .LBB252_126
.LBB252_225:                            ;   in Loop: Header=BB252_51 Depth=1
	v_cmp_ne_u16_e64 s[0:1], 0, v6
	s_andn2_b64 s[12:13], s[12:13], exec
	s_and_b64 s[0:1], s[0:1], exec
	v_mov_b32_e32 v18, 0
	s_or_b64 s[12:13], s[12:13], s[0:1]
	s_or_b64 exec, exec, s[16:17]
	s_and_saveexec_b64 s[16:17], s[12:13]
	s_cbranch_execnz .LBB252_127
	s_branch .LBB252_128
.LBB252_226:                            ;   in Loop: Header=BB252_51 Depth=1
	v_cmp_eq_u16_sdwa s[40:41], v6, s24 src0_sel:BYTE_0 src1_sel:DWORD
	s_mov_b64 s[0:1], -1
                                        ; implicit-def: $sgpr18
	s_and_saveexec_b64 s[16:17], s[40:41]
; %bb.227:                              ;   in Loop: Header=BB252_51 Depth=1
	s_mov_b32 s18, 0x7fc02000
	s_xor_b64 s[0:1], exec, -1
; %bb.228:                              ;   in Loop: Header=BB252_51 Depth=1
	s_or_b64 exec, exec, s[16:17]
	s_and_b64 s[0:1], s[0:1], exec
	s_or_saveexec_b64 s[12:13], s[12:13]
	v_mov_b32_e32 v13, s18
	s_xor_b64 exec, exec, s[12:13]
	s_cbranch_execz .LBB252_130
.LBB252_229:                            ;   in Loop: Header=BB252_51 Depth=1
	v_cmp_ne_u16_sdwa s[16:17], v6, v7 src0_sel:BYTE_0 src1_sel:DWORD
	s_andn2_b64 s[0:1], s[0:1], exec
	s_and_b64 s[16:17], s[16:17], exec
	v_mov_b32_e32 v13, 0
	s_or_b64 s[0:1], s[0:1], s[16:17]
	s_or_b64 exec, exec, s[12:13]
	s_and_saveexec_b64 s[12:13], s[0:1]
	s_cbranch_execnz .LBB252_131
	s_branch .LBB252_132
.LBB252_230:                            ;   in Loop: Header=BB252_51 Depth=1
	v_cmp_eq_u16_e64 s[0:1], s24, v6
	s_mov_b64 s[12:13], -1
                                        ; implicit-def: $sgpr38
	s_and_saveexec_b64 s[18:19], s[0:1]
; %bb.231:                              ;   in Loop: Header=BB252_51 Depth=1
	s_mov_b32 s38, 0x7fc02000
	s_xor_b64 s[12:13], exec, -1
; %bb.232:                              ;   in Loop: Header=BB252_51 Depth=1
	s_or_b64 exec, exec, s[18:19]
	s_and_b64 s[12:13], s[12:13], exec
	s_or_saveexec_b64 s[16:17], s[16:17]
	v_mov_b32_e32 v19, s38
	s_xor_b64 exec, exec, s[16:17]
	s_cbranch_execz .LBB252_134
.LBB252_233:                            ;   in Loop: Header=BB252_51 Depth=1
	v_cmp_ne_u16_e64 s[0:1], 0, v6
	s_andn2_b64 s[12:13], s[12:13], exec
	s_and_b64 s[0:1], s[0:1], exec
	v_mov_b32_e32 v19, 0
	s_or_b64 s[12:13], s[12:13], s[0:1]
	s_or_b64 exec, exec, s[16:17]
	s_and_saveexec_b64 s[16:17], s[12:13]
	s_cbranch_execnz .LBB252_135
	s_branch .LBB252_136
.LBB252_234:                            ;   in Loop: Header=BB252_51 Depth=1
	v_cmp_eq_u16_sdwa s[40:41], v17, s24 src0_sel:BYTE_0 src1_sel:DWORD
	s_mov_b64 s[0:1], -1
                                        ; implicit-def: $sgpr18
	s_and_saveexec_b64 s[16:17], s[40:41]
; %bb.235:                              ;   in Loop: Header=BB252_51 Depth=1
	s_mov_b32 s18, 0x7fc02000
	s_xor_b64 s[0:1], exec, -1
; %bb.236:                              ;   in Loop: Header=BB252_51 Depth=1
	s_or_b64 exec, exec, s[16:17]
	s_and_b64 s[0:1], s[0:1], exec
	s_or_saveexec_b64 s[12:13], s[12:13]
	v_mov_b32_e32 v16, s18
	s_xor_b64 exec, exec, s[12:13]
	s_cbranch_execz .LBB252_138
.LBB252_237:                            ;   in Loop: Header=BB252_51 Depth=1
	v_cmp_ne_u16_sdwa s[16:17], v17, v7 src0_sel:BYTE_0 src1_sel:DWORD
	s_andn2_b64 s[0:1], s[0:1], exec
	s_and_b64 s[16:17], s[16:17], exec
	v_mov_b32_e32 v16, 0
	s_or_b64 s[0:1], s[0:1], s[16:17]
	s_or_b64 exec, exec, s[12:13]
	v_mov_b32_e32 v6, v17
	s_and_saveexec_b64 s[12:13], s[0:1]
	s_cbranch_execnz .LBB252_139
	s_branch .LBB252_140
.LBB252_238:                            ;   in Loop: Header=BB252_51 Depth=1
	v_cmp_eq_u16_e64 s[0:1], s24, v6
	s_mov_b64 s[12:13], -1
                                        ; implicit-def: $sgpr38
	s_and_saveexec_b64 s[18:19], s[0:1]
; %bb.239:                              ;   in Loop: Header=BB252_51 Depth=1
	s_mov_b32 s38, 0x7fc02000
	s_xor_b64 s[12:13], exec, -1
; %bb.240:                              ;   in Loop: Header=BB252_51 Depth=1
	s_or_b64 exec, exec, s[18:19]
	s_and_b64 s[12:13], s[12:13], exec
	s_or_saveexec_b64 s[16:17], s[16:17]
	v_mov_b32_e32 v38, s38
	s_xor_b64 exec, exec, s[16:17]
	s_cbranch_execz .LBB252_142
.LBB252_241:                            ;   in Loop: Header=BB252_51 Depth=1
	v_cmp_ne_u16_e64 s[0:1], 0, v6
	s_andn2_b64 s[12:13], s[12:13], exec
	s_and_b64 s[0:1], s[0:1], exec
	v_mov_b32_e32 v38, 0
	s_or_b64 s[12:13], s[12:13], s[0:1]
	s_or_b64 exec, exec, s[16:17]
	s_and_saveexec_b64 s[16:17], s[12:13]
	s_cbranch_execnz .LBB252_143
	s_branch .LBB252_144
.LBB252_242:                            ;   in Loop: Header=BB252_51 Depth=1
	v_cmp_eq_u16_sdwa s[40:41], v6, s24 src0_sel:BYTE_0 src1_sel:DWORD
	s_mov_b64 s[0:1], -1
                                        ; implicit-def: $sgpr18
	s_and_saveexec_b64 s[16:17], s[40:41]
; %bb.243:                              ;   in Loop: Header=BB252_51 Depth=1
	s_mov_b32 s18, 0x7fc02000
	s_xor_b64 s[0:1], exec, -1
; %bb.244:                              ;   in Loop: Header=BB252_51 Depth=1
	s_or_b64 exec, exec, s[16:17]
	s_and_b64 s[0:1], s[0:1], exec
	s_or_saveexec_b64 s[12:13], s[12:13]
	v_mov_b32_e32 v39, s18
	s_xor_b64 exec, exec, s[12:13]
	s_cbranch_execz .LBB252_146
.LBB252_245:                            ;   in Loop: Header=BB252_51 Depth=1
	v_cmp_ne_u16_sdwa s[16:17], v6, v7 src0_sel:BYTE_0 src1_sel:DWORD
	s_andn2_b64 s[0:1], s[0:1], exec
	s_and_b64 s[16:17], s[16:17], exec
	v_mov_b32_e32 v39, 0
	s_or_b64 s[0:1], s[0:1], s[16:17]
	s_or_b64 exec, exec, s[12:13]
	s_and_saveexec_b64 s[12:13], s[0:1]
	s_cbranch_execnz .LBB252_147
	s_branch .LBB252_148
.LBB252_246:                            ;   in Loop: Header=BB252_51 Depth=1
	v_cmp_eq_u16_e64 s[0:1], s24, v6
	s_mov_b64 s[12:13], -1
                                        ; implicit-def: $sgpr38
	s_and_saveexec_b64 s[18:19], s[0:1]
; %bb.247:                              ;   in Loop: Header=BB252_51 Depth=1
	s_mov_b32 s38, 0x7fc02000
	s_xor_b64 s[12:13], exec, -1
; %bb.248:                              ;   in Loop: Header=BB252_51 Depth=1
	s_or_b64 exec, exec, s[18:19]
	s_and_b64 s[12:13], s[12:13], exec
	s_or_saveexec_b64 s[16:17], s[16:17]
	v_mov_b32_e32 v40, s38
	s_xor_b64 exec, exec, s[16:17]
	s_cbranch_execz .LBB252_150
.LBB252_249:                            ;   in Loop: Header=BB252_51 Depth=1
	v_cmp_ne_u16_e64 s[0:1], 0, v6
	s_andn2_b64 s[12:13], s[12:13], exec
	s_and_b64 s[0:1], s[0:1], exec
	v_mov_b32_e32 v40, 0
	s_or_b64 s[12:13], s[12:13], s[0:1]
	s_or_b64 exec, exec, s[16:17]
	s_and_saveexec_b64 s[16:17], s[12:13]
	s_cbranch_execnz .LBB252_151
	s_branch .LBB252_152
.LBB252_250:
	s_or_b64 exec, exec, s[8:9]
.LBB252_251:
	s_or_b64 exec, exec, s[2:3]
	v_and_b32_e32 v1, 0x3c0, v0
	v_cmp_eq_u32_e32 vcc, 64, v1
	s_barrier
	s_and_saveexec_b64 s[0:1], vcc
	s_cbranch_execz .LBB252_253
; %bb.252:
	v_mov_b32_e32 v1, 0x190
	v_lshl_add_u32 v2, v15, 2, v1
	v_lshl_add_u32 v1, v0, 2, v1
	ds_write_b32 v2, v4
	ds_write_b32 v1, v5
	ds_write_b32 v2, v22 offset:512
.LBB252_253:
	s_or_b64 exec, exec, s[0:1]
	v_cmp_gt_u32_e32 vcc, 64, v0
	s_waitcnt lgkmcnt(0)
	s_barrier
	s_and_saveexec_b64 s[0:1], vcc
	s_cbranch_execz .LBB252_255
; %bb.254:
	v_mov_b32_e32 v1, 0x190
	v_lshl_add_u32 v1, v0, 2, v1
	ds_read2st64_b32 v[2:3], v1 offset1:1
	ds_read_b32 v1, v1 offset:512
	s_waitcnt lgkmcnt(1)
	v_pk_add_f32 v[4:5], v[4:5], v[2:3]
	s_waitcnt lgkmcnt(0)
	v_add_f32_e32 v22, v22, v1
.LBB252_255:
	s_or_b64 exec, exec, s[0:1]
	s_barrier
	s_and_saveexec_b64 s[0:1], vcc
	s_cbranch_execz .LBB252_257
; %bb.256:
	s_mul_i32 s0, s6, 0xc0
	s_ashr_i32 s1, s0, 31
	s_lshl_b64 s[0:1], s[0:1], 1
	s_add_u32 s2, s34, s0
	s_mul_i32 s0, s33, s36
	s_addc_u32 s3, s35, s1
	s_ashr_i32 s1, s0, 31
	s_lshl_b64 s[0:1], s[0:1], 1
	s_add_u32 s2, s2, s0
	s_mul_i32 s0, s4, 0xc0
	s_addc_u32 s3, s3, s1
	s_ashr_i32 s1, s0, 31
	s_lshl_b64 s[0:1], s[0:1], 1
	s_add_u32 s0, s2, s0
	s_addc_u32 s1, s3, s1
	v_lshlrev_b32_e32 v0, 1, v0
	;;#ASMSTART
	v_cvt_f16_f32 v1, v4;

	;;#ASMEND
	global_store_short v0, v1, s[0:1]
	;;#ASMSTART
	v_cvt_f16_f32 v1, v5;

	;;#ASMEND
	global_store_short v0, v1, s[0:1] offset:128
	;;#ASMSTART
	v_cvt_f16_f32 v1, v22;

	;;#ASMEND
	global_store_short v0, v1, s[0:1] offset:256
.LBB252_257:
	s_endpgm
	.section	.rodata,"a",@progbits
	.p2align	6, 0x0
	.amdhsa_kernel _ZN4vllm25paged_attention_v2_kernelIthLi192ELi8ELi128ELNS_18Fp8KVCacheDataTypeE1ELb1ELi512EEEvPfS2_PT_PKS3_PKT0_S9_ifPKiSB_iPKfiiiSD_SD_iiiii
		.amdhsa_group_segment_fixed_size 400
		.amdhsa_private_segment_fixed_size 0
		.amdhsa_kernarg_size 400
		.amdhsa_user_sgpr_count 2
		.amdhsa_user_sgpr_dispatch_ptr 0
		.amdhsa_user_sgpr_queue_ptr 0
		.amdhsa_user_sgpr_kernarg_segment_ptr 1
		.amdhsa_user_sgpr_dispatch_id 0
		.amdhsa_user_sgpr_kernarg_preload_length 0
		.amdhsa_user_sgpr_kernarg_preload_offset 0
		.amdhsa_user_sgpr_private_segment_size 0
		.amdhsa_uses_dynamic_stack 0
		.amdhsa_enable_private_segment 0
		.amdhsa_system_sgpr_workgroup_id_x 1
		.amdhsa_system_sgpr_workgroup_id_y 1
		.amdhsa_system_sgpr_workgroup_id_z 1
		.amdhsa_system_sgpr_workgroup_info 0
		.amdhsa_system_vgpr_workitem_id 0
		.amdhsa_next_free_vgpr 70
		.amdhsa_next_free_sgpr 56
		.amdhsa_accum_offset 72
		.amdhsa_reserve_vcc 1
		.amdhsa_float_round_mode_32 0
		.amdhsa_float_round_mode_16_64 0
		.amdhsa_float_denorm_mode_32 3
		.amdhsa_float_denorm_mode_16_64 3
		.amdhsa_dx10_clamp 1
		.amdhsa_ieee_mode 1
		.amdhsa_fp16_overflow 0
		.amdhsa_tg_split 0
		.amdhsa_exception_fp_ieee_invalid_op 0
		.amdhsa_exception_fp_denorm_src 0
		.amdhsa_exception_fp_ieee_div_zero 0
		.amdhsa_exception_fp_ieee_overflow 0
		.amdhsa_exception_fp_ieee_underflow 0
		.amdhsa_exception_fp_ieee_inexact 0
		.amdhsa_exception_int_div_zero 0
	.end_amdhsa_kernel
	.section	.text._ZN4vllm25paged_attention_v2_kernelIthLi192ELi8ELi128ELNS_18Fp8KVCacheDataTypeE1ELb1ELi512EEEvPfS2_PT_PKS3_PKT0_S9_ifPKiSB_iPKfiiiSD_SD_iiiii,"axG",@progbits,_ZN4vllm25paged_attention_v2_kernelIthLi192ELi8ELi128ELNS_18Fp8KVCacheDataTypeE1ELb1ELi512EEEvPfS2_PT_PKS3_PKT0_S9_ifPKiSB_iPKfiiiSD_SD_iiiii,comdat
.Lfunc_end252:
	.size	_ZN4vllm25paged_attention_v2_kernelIthLi192ELi8ELi128ELNS_18Fp8KVCacheDataTypeE1ELb1ELi512EEEvPfS2_PT_PKS3_PKT0_S9_ifPKiSB_iPKfiiiSD_SD_iiiii, .Lfunc_end252-_ZN4vllm25paged_attention_v2_kernelIthLi192ELi8ELi128ELNS_18Fp8KVCacheDataTypeE1ELb1ELi512EEEvPfS2_PT_PKS3_PKT0_S9_ifPKiSB_iPKfiiiSD_SD_iiiii
                                        ; -- End function
	.section	.AMDGPU.csdata,"",@progbits
; Kernel info:
; codeLenInByte = 12912
; NumSgprs: 62
; NumVgprs: 70
; NumAgprs: 0
; TotalNumVgprs: 70
; ScratchSize: 0
; MemoryBound: 0
; FloatMode: 240
; IeeeMode: 1
; LDSByteSize: 400 bytes/workgroup (compile time only)
; SGPRBlocks: 7
; VGPRBlocks: 8
; NumSGPRsForWavesPerEU: 62
; NumVGPRsForWavesPerEU: 70
; AccumOffset: 72
; Occupancy: 7
; WaveLimiterHint : 1
; COMPUTE_PGM_RSRC2:SCRATCH_EN: 0
; COMPUTE_PGM_RSRC2:USER_SGPR: 2
; COMPUTE_PGM_RSRC2:TRAP_HANDLER: 0
; COMPUTE_PGM_RSRC2:TGID_X_EN: 1
; COMPUTE_PGM_RSRC2:TGID_Y_EN: 1
; COMPUTE_PGM_RSRC2:TGID_Z_EN: 1
; COMPUTE_PGM_RSRC2:TIDIG_COMP_CNT: 0
; COMPUTE_PGM_RSRC3_GFX90A:ACCUM_OFFSET: 17
; COMPUTE_PGM_RSRC3_GFX90A:TG_SPLIT: 0
	.section	.text._ZN4vllm25paged_attention_v2_kernelIthLi256ELi8ELi128ELNS_18Fp8KVCacheDataTypeE1ELb1ELi512EEEvPfS2_PT_PKS3_PKT0_S9_ifPKiSB_iPKfiiiSD_SD_iiiii,"axG",@progbits,_ZN4vllm25paged_attention_v2_kernelIthLi256ELi8ELi128ELNS_18Fp8KVCacheDataTypeE1ELb1ELi512EEEvPfS2_PT_PKS3_PKT0_S9_ifPKiSB_iPKfiiiSD_SD_iiiii,comdat
	.protected	_ZN4vllm25paged_attention_v2_kernelIthLi256ELi8ELi128ELNS_18Fp8KVCacheDataTypeE1ELb1ELi512EEEvPfS2_PT_PKS3_PKT0_S9_ifPKiSB_iPKfiiiSD_SD_iiiii ; -- Begin function _ZN4vllm25paged_attention_v2_kernelIthLi256ELi8ELi128ELNS_18Fp8KVCacheDataTypeE1ELb1ELi512EEEvPfS2_PT_PKS3_PKT0_S9_ifPKiSB_iPKfiiiSD_SD_iiiii
	.globl	_ZN4vllm25paged_attention_v2_kernelIthLi256ELi8ELi128ELNS_18Fp8KVCacheDataTypeE1ELb1ELi512EEEvPfS2_PT_PKS3_PKT0_S9_ifPKiSB_iPKfiiiSD_SD_iiiii
	.p2align	8
	.type	_ZN4vllm25paged_attention_v2_kernelIthLi256ELi8ELi128ELNS_18Fp8KVCacheDataTypeE1ELb1ELi512EEEvPfS2_PT_PKS3_PKT0_S9_ifPKiSB_iPKfiiiSD_SD_iiiii,@function
_ZN4vllm25paged_attention_v2_kernelIthLi256ELi8ELi128ELNS_18Fp8KVCacheDataTypeE1ELb1ELi512EEEvPfS2_PT_PKS3_PKT0_S9_ifPKiSB_iPKfiiiSD_SD_iiiii: ; @_ZN4vllm25paged_attention_v2_kernelIthLi256ELi8ELi128ELNS_18Fp8KVCacheDataTypeE1ELb1ELi512EEEvPfS2_PT_PKS3_PKT0_S9_ifPKiSB_iPKfiiiSD_SD_iiiii
; %bb.0:
	s_load_dwordx2 s[6:7], s[0:1], 0x40
	s_mov_b32 s40, s3
	s_ashr_i32 s41, s3, 31
	s_lshl_b64 s[8:9], s[40:41], 2
	s_waitcnt lgkmcnt(0)
	s_add_u32 s6, s6, s8
	s_addc_u32 s7, s7, s9
	s_load_dword s41, s[6:7], 0x0
	s_lshl_b32 s51, s4, 9
	s_waitcnt lgkmcnt(0)
	s_cmp_ge_i32 s51, s41
	s_cbranch_scc1 .LBB253_323
; %bb.1:
	s_load_dword s5, s[0:1], 0x90
	s_load_dwordx2 s[44:45], s[0:1], 0x30
	s_waitcnt lgkmcnt(0)
	s_abs_i32 s7, s5
	s_abs_i32 s3, s44
	v_cvt_f32_u32_e32 v1, s3
	s_sub_i32 s8, 0, s3
	s_xor_b32 s6, s5, s44
	s_ashr_i32 s6, s6, 31
	v_rcp_iflag_f32_e32 v1, v1
	s_nop 0
	v_mul_f32_e32 v1, 0x4f7ffffe, v1
	v_cvt_u32_f32_e32 v1, v1
	s_nop 0
	v_readfirstlane_b32 s9, v1
	s_mul_i32 s8, s8, s9
	s_mul_hi_u32 s8, s9, s8
	s_add_i32 s9, s9, s8
	s_mul_hi_u32 s8, s7, s9
	s_mul_i32 s9, s8, s3
	s_sub_i32 s7, s7, s9
	s_add_i32 s10, s8, 1
	s_sub_i32 s9, s7, s3
	s_cmp_ge_u32 s7, s3
	s_cselect_b32 s8, s10, s8
	s_cselect_b32 s7, s9, s7
	s_add_i32 s9, s8, 1
	s_cmp_ge_u32 s7, s3
	s_cselect_b32 s3, s9, s8
	s_xor_b32 s3, s3, s6
	s_sub_i32 s13, s3, s6
	s_abs_i32 s12, s13
	v_cvt_f32_u32_e32 v1, s12
	s_load_dwordx2 s[6:7], s[0:1], 0x50
	s_sub_i32 s3, 0, s12
	s_abs_i32 s14, s2
	v_rcp_iflag_f32_e32 v1, v1
	s_nop 0
	v_mul_f32_e32 v1, 0x4f7ffffe, v1
	v_cvt_u32_f32_e32 v1, v1
	s_nop 0
	v_readfirstlane_b32 s8, v1
	s_mul_i32 s3, s3, s8
	s_mul_hi_u32 s3, s8, s3
	s_add_i32 s8, s8, s3
	s_waitcnt lgkmcnt(0)
	s_cmp_eq_u64 s[6:7], 0
	s_mov_b32 s3, 0
	s_cbranch_scc1 .LBB253_3
; %bb.2:
	s_ashr_i32 s3, s2, 31
	s_lshl_b64 s[10:11], s[2:3], 2
	s_add_u32 s6, s6, s10
	s_addc_u32 s7, s7, s11
	s_load_dword s3, s[6:7], 0x0
.LBB253_3:
	s_load_dwordx4 s[24:27], s[0:1], 0x0
	s_load_dwordx2 s[34:35], s[0:1], 0x10
	s_load_dwordx4 s[20:23], s[0:1], 0x20
	s_load_dwordx2 s[38:39], s[0:1], 0x38
	s_load_dword s33, s[0:1], 0x98
	s_load_dwordx4 s[16:19], s[0:1], 0x58
	s_lshl_b32 s36, s2, 8
	s_movk_i32 s6, 0x100
	s_mul_hi_u32 s15, s14, s8
	v_and_b32_e32 v2, 7, v0
	s_ashr_i32 s37, s36, 31
	v_cmp_gt_u32_e32 vcc, s6, v0
	s_and_saveexec_b64 s[6:7], vcc
	s_cbranch_execz .LBB253_6
; %bb.4:
	s_load_dwordx2 s[8:9], s[0:1], 0x18
	s_waitcnt lgkmcnt(0)
	s_mul_i32 s10, s40, s16
	s_ashr_i32 s11, s10, 31
	s_lshl_b64 s[10:11], s[10:11], 1
	s_lshl_b64 s[28:29], s[36:37], 1
	s_add_u32 s10, s10, s28
	s_addc_u32 s11, s11, s29
	v_lshrrev_b32_e32 v4, 3, v0
	v_lshlrev_b32_e32 v5, 1, v2
	s_add_u32 s8, s8, s10
	v_add_u32_e32 v1, -16, v4
	v_lshlrev_b32_e32 v3, 1, v4
	v_lshl_or_b32 v4, v4, 4, v5
	v_mov_b32_e32 v5, 0
	s_addc_u32 s9, s9, s11
	v_lshl_add_u32 v3, v2, 6, v3
	v_lshl_add_u64 v[4:5], s[8:9], 0, v[4:5]
	s_mov_b64 s[8:9], 0
	s_mov_b64 s[10:11], 0x100
.LBB253_5:                              ; =>This Inner Loop Header: Depth=1
	global_load_ushort v6, v[4:5], off
	v_add_co_u32_e32 v1, vcc, 16, v1
	s_xor_b64 s[28:29], vcc, -1
	s_and_b64 s[28:29], exec, s[28:29]
	v_lshl_add_u64 v[4:5], v[4:5], 0, s[10:11]
	s_or_b64 s[8:9], s[28:29], s[8:9]
	s_waitcnt vmcnt(0)
	ds_write_b16 v3, v6
	v_add_u32_e32 v3, 32, v3
	s_andn2_b64 exec, exec, s[8:9]
	s_cbranch_execnz .LBB253_5
.LBB253_6:
	s_or_b64 exec, exec, s[6:7]
	s_ashr_i32 s6, s2, 31
	s_ashr_i32 s7, s13, 31
	s_xor_b32 s6, s6, s7
	s_mul_i32 s7, s15, s12
	s_sub_i32 s7, s14, s7
	s_add_i32 s8, s15, 1
	s_sub_i32 s9, s7, s12
	s_load_dwordx4 s[28:31], s[0:1], 0x78
	s_cmp_ge_u32 s7, s12
	s_cselect_b32 s8, s8, s15
	s_cselect_b32 s7, s9, s7
	s_add_i32 s9, s8, 1
	s_cmp_ge_u32 s7, s12
	s_cselect_b32 s7, s9, s8
	s_load_dword s8, s[0:1], 0x88
	s_waitcnt lgkmcnt(0)
	s_abs_i32 s37, s31
	v_cvt_f32_u32_e32 v1, s37
	s_xor_b32 s7, s7, s6
	s_sub_i32 s50, s7, s6
	s_sub_i32 s6, 0, s37
	v_rcp_iflag_f32_e32 v1, v1
	s_add_i32 s11, s41, -1
	s_abs_i32 s9, s11
	v_mul_f32_e32 v1, 0x4f7ffffe, v1
	v_cvt_u32_f32_e32 v1, v1
	s_barrier
	v_readfirstlane_b32 s48, v1
	s_mul_i32 s6, s6, s48
	s_mul_hi_u32 s6, s48, s6
	s_add_i32 s48, s48, s6
	s_cmp_lt_i32 s8, 0
	s_mul_hi_u32 s10, s9, s48
	s_cbranch_scc0 .LBB253_8
; %bb.7:
	s_mul_i32 s6, s28, s44
	s_add_i32 s6, s50, s6
	s_mul_i32 s6, s6, s8
	s_sub_i32 s44, 1, s6
	s_ashr_i32 s11, s11, 31
	s_ashr_i32 s31, s31, 31
	s_cbranch_execz .LBB253_9
	s_branch .LBB253_10
.LBB253_8:
                                        ; implicit-def: $sgpr44
	s_ashr_i32 s11, s11, 31
	s_ashr_i32 s31, s31, 31
.LBB253_9:
	s_mul_i32 s6, s5, s28
	s_add_i32 s6, s6, s2
	s_mul_i32 s6, s6, s8
	s_add_i32 s44, s6, 1
.LBB253_10:
	s_load_dword s6, s[0:1], 0x48
	s_load_dwordx4 s[12:15], s[0:1], 0x68
	s_mul_i32 s1, s10, s37
	s_sub_i32 s1, s9, s1
	s_xor_b32 s0, s11, s31
	s_waitcnt lgkmcnt(0)
	s_mul_i32 s42, s40, s6
	s_ashr_i32 s43, s42, 31
	s_add_i32 s6, s10, 1
	s_sub_i32 s7, s1, s37
	s_cmp_ge_u32 s1, s37
	s_cselect_b32 s6, s6, s10
	s_cselect_b32 s1, s7, s1
	s_add_i32 s7, s6, 1
	s_cmp_ge_u32 s1, s37
	s_cselect_b32 s1, s7, s6
	s_xor_b32 s1, s1, s0
	s_sub_i32 s49, s1, s0
	s_add_i32 s0, s41, 7
	s_ashr_i32 s1, s0, 31
	s_lshr_b32 s1, s1, 29
	s_add_i32 s0, s0, s1
	s_lshl_b32 s52, s4, 6
	s_ashr_i32 s16, s0, 3
	s_add_i32 s0, s52, 64
	v_lshrrev_b32_e32 v14, 6, v0
	s_min_i32 s28, s0, s16
	v_or_b32_e32 v6, s52, v14
	v_cmp_gt_i32_e64 s[0:1], s28, v6
	v_mov_b32_e32 v16, 0xff7fffff
	s_mul_i32 s50, s50, s18
	v_ashrrev_i32_e32 v7, 31, v6
	v_lshl_add_u32 v1, v14, 3, s51
	v_mbcnt_lo_u32_b32 v12, -1, 0
	s_and_saveexec_b64 s[18:19], s[0:1]
	s_cbranch_execz .LBB253_20
; %bb.11:
	s_sub_i32 s53, s49, s29
	s_ashr_i32 s7, s50, 31
	s_add_u32 s6, s20, s50
	s_addc_u32 s7, s21, s7
	s_abs_i32 s54, s30
	v_cvt_f32_u32_e32 v3, s54
	v_bfe_u32 v13, v0, 3, 3
	s_sub_i32 s8, 0, s54
	v_lshlrev_b32_e32 v10, 2, v13
	v_rcp_iflag_f32_e32 v8, v3
	v_lshl_or_b32 v10, v14, 5, v10
	v_mov_b32_e32 v3, 0
	v_add_u32_e32 v19, 0x210, v10
	v_mul_f32_e32 v8, 0x4f7ffffe, v8
	v_cvt_u32_f32_e32 v8, v8
	v_subrev_u32_e32 v10, s41, v13
	v_mbcnt_hi_u32_b32 v22, -1, v12
	v_lshlrev_b32_e32 v4, 4, v13
	v_mul_lo_u32 v9, s8, v8
	s_lshl_b64 s[8:9], s[42:43], 2
	s_add_u32 s8, s38, s8
	v_mov_b32_e32 v5, v3
	v_mul_hi_u32 v9, v8, v9
	s_addc_u32 s9, s39, s9
	v_add_u32_e32 v20, 1, v10
	v_and_b32_e32 v10, 64, v22
	v_cmp_eq_u32_e32 vcc, 0, v2
	s_mov_b32 s55, s17
	v_lshl_add_u64 v[4:5], s[6:7], 0, v[4:5]
	v_lshlrev_b32_e32 v15, 6, v2
	v_cmp_neq_f32_e64 s[6:7], s3, 0
	v_add_u32_e32 v17, v8, v9
	v_lshl_add_u64 v[8:9], v[6:7], 2, s[8:9]
	v_lshl_add_u32 v18, v14, 3, s51
	s_mov_b64 s[20:21], 0
	v_mov_b32_e32 v21, 0xff7fffff
	v_add_u32_e32 v23, 64, v10
	v_xor_b32_e32 v24, 4, v22
	v_xor_b32_e32 v25, 2, v22
	;; [unrolled: 1-line block ×3, first 2 shown]
	v_mov_b32_e32 v16, 0xff7fffff
	v_mov_b32_e32 v27, v6
	s_branch .LBB253_14
.LBB253_12:                             ;   in Loop: Header=BB253_14 Depth=1
	s_or_b64 exec, exec, s[46:47]
.LBB253_13:                             ;   in Loop: Header=BB253_14 Depth=1
	s_or_b64 exec, exec, s[10:11]
	v_add_u32_e32 v27, 2, v27
	v_cmp_le_i32_e64 s[8:9], s28, v27
	v_lshl_add_u64 v[8:9], v[8:9], 0, 8
	v_add_u32_e32 v18, 16, v18
	s_or_b64 s[20:21], s[8:9], s[20:21]
	v_add_u32_e32 v19, 64, v19
	s_andn2_b64 exec, exec, s[20:21]
	s_cbranch_execz .LBB253_19
.LBB253_14:                             ; =>This Inner Loop Header: Depth=1
	s_waitcnt lgkmcnt(0)
	v_sub_u32_e32 v11, 0, v18
	v_max_i32_e32 v11, v18, v11
	v_mul_hi_u32 v28, v11, s48
	v_mul_lo_u32 v29, v28, s37
	v_sub_u32_e32 v11, v11, v29
	v_add_u32_e32 v29, 1, v28
	v_cmp_le_u32_e64 s[8:9], s37, v11
	v_ashrrev_i32_e32 v10, 31, v18
	v_xor_b32_e32 v10, s31, v10
	v_cndmask_b32_e64 v28, v28, v29, s[8:9]
	v_subrev_u32_e32 v29, s37, v11
	v_cndmask_b32_e64 v11, v11, v29, s[8:9]
	v_add_u32_e32 v29, 1, v28
	v_cmp_le_u32_e64 s[8:9], s37, v11
	s_nop 1
	v_cndmask_b32_e64 v11, v28, v29, s[8:9]
	v_xor_b32_e32 v11, v11, v10
	v_sub_u32_e32 v10, v11, v10
	v_add_u32_e32 v11, s44, v10
	v_sub_u32_e32 v29, 0, v11
	v_ashrrev_i32_e32 v28, 31, v11
	v_max_i32_e32 v11, v11, v29
	v_mul_hi_u32 v29, v11, v17
	v_mul_lo_u32 v29, v29, s54
	v_sub_u32_e32 v11, v11, v29
	v_subrev_u32_e32 v29, s54, v11
	v_cmp_le_u32_e64 s[8:9], s54, v11
	v_cmp_ge_i32_e64 s[10:11], s53, v10
	s_nop 0
	v_cndmask_b32_e64 v11, v11, v29, s[8:9]
	v_subrev_u32_e32 v29, s54, v11
	v_cmp_le_u32_e64 s[8:9], s54, v11
	s_nop 1
	v_cndmask_b32_e64 v11, v11, v29, s[8:9]
	v_xor_b32_e32 v11, v11, v28
	v_sub_u32_e32 v11, v11, v28
	v_cmp_ne_u32_e64 s[8:9], 0, v11
	s_and_b64 s[8:9], s[8:9], s[10:11]
	s_and_b64 s[46:47], vcc, s[8:9]
	s_and_saveexec_b64 s[10:11], s[46:47]
	s_cbranch_execz .LBB253_16
; %bb.15:                               ;   in Loop: Header=BB253_14 Depth=1
	ds_write_b32 v19, v21
.LBB253_16:                             ;   in Loop: Header=BB253_14 Depth=1
	s_or_b64 exec, exec, s[10:11]
	s_xor_b64 s[8:9], s[8:9], -1
	s_and_saveexec_b64 s[10:11], s[8:9]
	s_cbranch_execz .LBB253_13
; %bb.17:                               ;   in Loop: Header=BB253_14 Depth=1
	global_load_dword v10, v[8:9], off
	s_waitcnt vmcnt(0)
	v_mad_i64_i32 v[10:11], s[8:9], v10, s55, v[4:5]
	v_lshl_add_u64 v[10:11], v[10:11], 0, v[2:3]
	global_load_ubyte v47, v[10:11], off
	global_load_ubyte v46, v[10:11], off offset:8
	global_load_dword v28, v3, s[12:13]
	global_load_ubyte v43, v[10:11], off offset:128
	global_load_ubyte v39, v[10:11], off offset:136
	;; [unrolled: 1-line block ×15, first 2 shown]
	ds_read_u16 v51, v15
	global_load_ubyte v44, v[10:11], off offset:1032
	global_load_ubyte v45, v[10:11], off offset:1152
	;; [unrolled: 1-line block ×7, first 2 shown]
	v_cmp_lt_i32_e64 s[8:9], v24, v23
	s_waitcnt vmcnt(24)
	v_cvt_f32_fp8_sdwa v58, v47 src0_sel:BYTE_0
	global_load_ubyte v59, v[10:11], off offset:1536
	global_load_ubyte v60, v[10:11], off offset:1544
	;; [unrolled: 1-line block ×8, first 2 shown]
	s_waitcnt lgkmcnt(0)
	;;#ASMSTART
	v_cvt_f32_f16 v10, v51;
	;;#ASMEND
	s_waitcnt vmcnt(31)
	v_cvt_f32_fp8_sdwa v51, v46 src0_sel:BYTE_0
	s_waitcnt vmcnt(29)
	v_cvt_f32_fp8_sdwa v43, v43 src0_sel:BYTE_0
	v_fma_mixlo_f16 v11, v28, v58, 0
	s_waitcnt vmcnt(28)
	v_cvt_f32_fp8_sdwa v39, v39 src0_sel:BYTE_0
	v_fma_mixlo_f16 v51, v28, v51, 0
	v_cndmask_b32_e64 v52, v22, v24, s[8:9]
	v_and_b32_e32 v11, 0xffff, v11
	v_and_b32_e32 v51, 0xffff, v51
	s_waitcnt vmcnt(27)
	v_cvt_f32_fp8_sdwa v42, v42 src0_sel:BYTE_0
	;;#ASMSTART
	v_cvt_f32_f16 v11, v11;
	;;#ASMEND
	ds_read_u16 v58, v15 offset:2
	v_lshlrev_b32_e32 v46, 2, v52
	s_waitcnt lgkmcnt(0)
	;;#ASMSTART
	v_cvt_f32_f16 v52, v58;
	;;#ASMEND
	;;#ASMSTART
	v_cvt_f32_f16 v51, v51;
	;;#ASMEND
	s_waitcnt vmcnt(26)
	v_cvt_f32_fp8_sdwa v37, v37 src0_sel:BYTE_0
	v_fma_mixlo_f16 v43, v28, v43, 0
	s_waitcnt vmcnt(25)
	v_cvt_f32_fp8_sdwa v41, v41 src0_sel:BYTE_0
	v_mul_f32_e32 v51, v52, v51
	ds_read_u16 v58, v15 offset:4
	v_and_b32_e32 v43, 0xffff, v43
	v_fma_mixlo_f16 v39, v28, v39, 0
	s_waitcnt vmcnt(24)
	v_cvt_f32_fp8_sdwa v35, v35 src0_sel:BYTE_0
	v_fmac_f32_e32 v51, v10, v11
	s_waitcnt lgkmcnt(0)
	;;#ASMSTART
	v_cvt_f32_f16 v58, v58;
	;;#ASMEND
	;;#ASMSTART
	v_cvt_f32_f16 v43, v43;
	;;#ASMEND
	ds_read_u16 v63, v15 offset:6
	v_and_b32_e32 v39, 0xffff, v39
	s_waitcnt vmcnt(23)
	v_cvt_f32_fp8_sdwa v40, v40 src0_sel:BYTE_0
	v_fma_mixlo_f16 v42, v28, v42, 0
	v_fmac_f32_e32 v51, v58, v43
	s_waitcnt lgkmcnt(0)
	;;#ASMSTART
	v_cvt_f32_f16 v63, v63;
	;;#ASMEND
	;;#ASMSTART
	v_cvt_f32_f16 v39, v39;
	;;#ASMEND
	ds_read_u16 v64, v15 offset:8
	v_and_b32_e32 v42, 0xffff, v42
	s_waitcnt vmcnt(22)
	v_cvt_f32_fp8_sdwa v33, v33 src0_sel:BYTE_0
	v_fma_mixlo_f16 v37, v28, v37, 0
	v_fmac_f32_e32 v51, v63, v39
	s_waitcnt lgkmcnt(0)
	;;#ASMSTART
	v_cvt_f32_f16 v64, v64;
	;;#ASMEND
	;;#ASMSTART
	v_cvt_f32_f16 v42, v42;
	;;#ASMEND
	ds_read_u16 v65, v15 offset:10
	s_waitcnt vmcnt(21)
	v_cvt_f32_fp8_sdwa v38, v38 src0_sel:BYTE_0
	v_and_b32_e32 v37, 0xffff, v37
	v_fma_mixlo_f16 v41, v28, v41, 0
	v_fmac_f32_e32 v51, v64, v42
	s_waitcnt lgkmcnt(0)
	;;#ASMSTART
	v_cvt_f32_f16 v65, v65;
	;;#ASMEND
	;;#ASMSTART
	v_cvt_f32_f16 v37, v37;
	;;#ASMEND
	ds_read_u16 v66, v15 offset:12
	s_waitcnt vmcnt(20)
	v_cvt_f32_fp8_sdwa v31, v31 src0_sel:BYTE_0
	v_and_b32_e32 v41, 0xffff, v41
	v_fma_mixlo_f16 v35, v28, v35, 0
	v_fmac_f32_e32 v51, v65, v37
	s_waitcnt vmcnt(19)
	v_cvt_f32_fp8_sdwa v36, v36 src0_sel:BYTE_0
	s_waitcnt lgkmcnt(0)
	;;#ASMSTART
	v_cvt_f32_f16 v66, v66;
	;;#ASMEND
	;;#ASMSTART
	v_cvt_f32_f16 v41, v41;
	;;#ASMEND
	ds_read_u16 v67, v15 offset:14
	v_and_b32_e32 v35, 0xffff, v35
	v_fma_mixlo_f16 v40, v28, v40, 0
	v_fmac_f32_e32 v51, v66, v41
	s_waitcnt vmcnt(18)
	v_cvt_f32_fp8_sdwa v30, v30 src0_sel:BYTE_0
	s_waitcnt lgkmcnt(0)
	;;#ASMSTART
	v_cvt_f32_f16 v67, v67;
	;;#ASMEND
	;;#ASMSTART
	v_cvt_f32_f16 v35, v35;
	;;#ASMEND
	ds_read_u16 v68, v15 offset:16
	;; [unrolled: 13-line block ×10, first 2 shown]
	v_fma_mixlo_f16 v44, v28, v44, 0
	v_and_b32_e32 v32, 0xffff, v32
	v_fmac_f32_e32 v51, v75, v29
	s_waitcnt vmcnt(9)
	v_cvt_f32_fp8_sdwa v56, v56 src0_sel:BYTE_0
	s_waitcnt vmcnt(8)
	v_cvt_f32_fp8_sdwa v57, v57 src0_sel:BYTE_0
	;; [unrolled: 2-line block ×10, first 2 shown]
	s_waitcnt lgkmcnt(0)
	;;#ASMSTART
	v_cvt_f32_f16 v76, v76;
	;;#ASMEND
	;;#ASMSTART
	v_cvt_f32_f16 v32, v32;
	;;#ASMEND
	ds_read_u16 v77, v15 offset:34
	v_fma_mixlo_f16 v45, v28, v45, 0
	v_and_b32_e32 v44, 0xffff, v44
	v_fmac_f32_e32 v51, v76, v32
	v_fma_mixlo_f16 v53, v28, v53, 0
	s_waitcnt lgkmcnt(0)
	;;#ASMSTART
	v_cvt_f32_f16 v77, v77;
	;;#ASMEND
	;;#ASMSTART
	v_cvt_f32_f16 v44, v44;
	;;#ASMEND
	ds_read_u16 v78, v15 offset:36
	v_and_b32_e32 v45, 0xffff, v45
	v_fmac_f32_e32 v51, v77, v44
	v_fma_mixlo_f16 v54, v28, v54, 0
	s_waitcnt lgkmcnt(0)
	;;#ASMSTART
	v_cvt_f32_f16 v78, v78;
	;;#ASMEND
	;;#ASMSTART
	v_cvt_f32_f16 v45, v45;
	;;#ASMEND
	ds_read_u16 v79, v15 offset:38
	;; [unrolled: 11-line block ×3, first 2 shown]
	v_and_b32_e32 v54, 0xffff, v54
	v_fmac_f32_e32 v51, v79, v53
	v_fma_mixlo_f16 v56, v28, v56, 0
	v_fma_mixlo_f16 v57, v28, v57, 0
	;; [unrolled: 1-line block ×8, first 2 shown]
	s_waitcnt lgkmcnt(0)
	;;#ASMSTART
	v_cvt_f32_f16 v80, v80;
	;;#ASMEND
	;;#ASMSTART
	v_cvt_f32_f16 v54, v54;
	;;#ASMEND
	ds_read_u16 v81, v15 offset:42
	v_fma_mixlo_f16 v49, v28, v49, 0
	v_fma_mixlo_f16 v28, v28, v47, 0
	v_and_b32_e32 v47, 0xffff, v55
	v_fmac_f32_e32 v51, v80, v54
	v_and_b32_e32 v55, 0xffff, v56
	s_waitcnt lgkmcnt(0)
	;;#ASMSTART
	v_cvt_f32_f16 v56, v81;
	;;#ASMEND
	;;#ASMSTART
	v_cvt_f32_f16 v47, v47;
	;;#ASMEND
	ds_read_u16 v81, v15 offset:44
	v_fmac_f32_e32 v51, v56, v47
	v_and_b32_e32 v57, 0xffff, v57
	s_waitcnt lgkmcnt(0)
	;;#ASMSTART
	v_cvt_f32_f16 v81, v81;
	;;#ASMEND
	;;#ASMSTART
	v_cvt_f32_f16 v55, v55;
	;;#ASMEND
	ds_read_u16 v82, v15 offset:46
	v_fmac_f32_e32 v51, v81, v55
	s_waitcnt lgkmcnt(0)
	;;#ASMSTART
	v_cvt_f32_f16 v82, v82;
	;;#ASMEND
	;;#ASMSTART
	v_cvt_f32_f16 v57, v57;
	;;#ASMEND
	v_and_b32_e32 v59, 0xffff, v59
	v_fmac_f32_e32 v51, v82, v57
	ds_read_u16 v83, v15 offset:48
	s_waitcnt lgkmcnt(0)
	;;#ASMSTART
	v_cvt_f32_f16 v10, v83;
	;;#ASMEND
	;;#ASMSTART
	v_cvt_f32_f16 v11, v59;
	;;#ASMEND
	v_and_b32_e32 v60, 0xffff, v60
	v_fmac_f32_e32 v51, v10, v11
	ds_read_u16 v43, v15 offset:50
	;; [unrolled: 10-line block ×4, first 2 shown]
	s_waitcnt lgkmcnt(0)
	;;#ASMSTART
	v_cvt_f32_f16 v30, v38;
	;;#ASMEND
	;;#ASMSTART
	v_cvt_f32_f16 v31, v62;
	;;#ASMEND
	ds_read_u16 v34, v15 offset:56
	v_fmac_f32_e32 v51, v30, v31
	v_and_b32_e32 v50, 0xffff, v50
	s_waitcnt lgkmcnt(0)
	;;#ASMSTART
	v_cvt_f32_f16 v29, v34;
	;;#ASMEND
	;;#ASMSTART
	v_cvt_f32_f16 v32, v50;
	;;#ASMEND
	ds_read_u16 v34, v15 offset:58
	v_fmac_f32_e32 v51, v29, v32
	v_and_b32_e32 v48, 0xffff, v48
	s_waitcnt lgkmcnt(0)
	;;#ASMSTART
	v_cvt_f32_f16 v34, v34;
	;;#ASMEND
	;;#ASMSTART
	v_cvt_f32_f16 v36, v48;
	;;#ASMEND
	v_and_b32_e32 v49, 0xffff, v49
	v_fmac_f32_e32 v51, v34, v36
	ds_read_u16 v38, v15 offset:60
	s_waitcnt lgkmcnt(0)
	;;#ASMSTART
	v_cvt_f32_f16 v10, v38;
	;;#ASMEND
	;;#ASMSTART
	v_cvt_f32_f16 v11, v49;
	;;#ASMEND
	v_and_b32_e32 v28, 0xffff, v28
	v_fmac_f32_e32 v51, v10, v11
	ds_read_u16 v33, v15 offset:62
	s_waitcnt lgkmcnt(0)
	;;#ASMSTART
	v_cvt_f32_f16 v10, v33;
	;;#ASMEND
	;;#ASMSTART
	v_cvt_f32_f16 v11, v28;
	;;#ASMEND
	v_cmp_lt_i32_e64 s[8:9], v25, v23
	v_fmac_f32_e32 v51, v10, v11
	ds_bpermute_b32 v10, v46, v51
	v_cndmask_b32_e64 v11, v22, v25, s[8:9]
	v_lshlrev_b32_e32 v11, 2, v11
	v_cmp_lt_i32_e64 s[8:9], v26, v23
	s_waitcnt lgkmcnt(0)
	v_add_f32_e32 v10, v51, v10
	ds_bpermute_b32 v11, v11, v10
	v_cndmask_b32_e64 v28, v22, v26, s[8:9]
	s_waitcnt lgkmcnt(0)
	v_add_f32_e32 v10, v10, v11
	v_lshlrev_b32_e32 v11, 2, v28
	ds_bpermute_b32 v11, v11, v10
	s_and_saveexec_b64 s[46:47], vcc
	s_cbranch_execz .LBB253_12
; %bb.18:                               ;   in Loop: Header=BB253_14 Depth=1
	v_add_u32_e32 v28, v20, v18
	v_cvt_f32_i32_e32 v28, v28
	s_waitcnt lgkmcnt(0)
	v_add_f32_e32 v10, v10, v11
	v_add_u32_e32 v29, v13, v18
	v_cmp_gt_i32_e64 s[8:9], s41, v29
	v_mul_f32_e32 v11, s3, v28
	v_cndmask_b32_e64 v11, 0, v11, s[6:7]
	v_fmac_f32_e32 v11, s45, v10
	v_cndmask_b32_e64 v10, 0, v11, s[8:9]
	ds_write_b32 v19, v10
	v_max_f32_e32 v10, v16, v16
	v_max_f32_e32 v10, v10, v11
	v_cndmask_b32_e64 v16, v16, v10, s[8:9]
	s_branch .LBB253_12
.LBB253_19:
	s_or_b64 exec, exec, s[20:21]
.LBB253_20:
	s_or_b64 exec, exec, s[18:19]
	v_mbcnt_hi_u32_b32 v2, -1, v12
	v_and_b32_e32 v3, 64, v2
	v_add_u32_e32 v3, 64, v3
	v_xor_b32_e32 v4, 32, v2
	v_cmp_lt_i32_e32 vcc, v4, v3
	v_xor_b32_e32 v9, 16, v2
	v_max_f32_e32 v5, v16, v16
	v_cndmask_b32_e32 v4, v2, v4, vcc
	v_lshlrev_b32_e32 v8, 2, v4
	ds_bpermute_b32 v4, v8, v16
	v_cmp_lt_i32_e32 vcc, v9, v3
	v_and_b32_e32 v17, 63, v0
	s_waitcnt lgkmcnt(0)
	v_max_f32_e32 v4, v4, v4
	v_max_f32_e32 v4, v5, v4
	v_cndmask_b32_e32 v5, v2, v9, vcc
	v_lshlrev_b32_e32 v10, 2, v5
	ds_bpermute_b32 v5, v10, v4
	v_xor_b32_e32 v9, 8, v2
	v_cmp_lt_i32_e32 vcc, v9, v3
	s_waitcnt lgkmcnt(0)
	v_max_f32_e32 v5, v5, v5
	v_max_f32_e32 v4, v4, v5
	v_cndmask_b32_e32 v5, v2, v9, vcc
	v_lshlrev_b32_e32 v11, 2, v5
	ds_bpermute_b32 v9, v11, v4
	v_cmp_eq_u32_e32 vcc, 0, v17
	v_lshlrev_b32_e32 v5, 2, v14
	s_and_saveexec_b64 s[6:7], vcc
	s_cbranch_execz .LBB253_22
; %bb.21:
	s_waitcnt lgkmcnt(0)
	v_max_f32_e32 v9, v9, v9
	v_max_f32_e32 v4, v4, v4
	;; [unrolled: 1-line block ×3, first 2 shown]
	ds_write_b32 v5, v4 offset:512
.LBB253_22:
	s_or_b64 exec, exec, s[6:7]
	v_cmp_gt_u32_e64 s[6:7], 2, v17
	v_mov_b32_e32 v4, 0xff7fffff
	s_waitcnt lgkmcnt(0)
	v_lshlrev_b32_e32 v9, 2, v17
	s_barrier
	s_and_saveexec_b64 s[8:9], s[6:7]
	s_cbranch_execz .LBB253_24
; %bb.23:
	ds_read_b32 v4, v9 offset:512
.LBB253_24:
	s_or_b64 exec, exec, s[8:9]
	v_xor_b32_e32 v12, 1, v2
	v_cmp_lt_i32_e64 s[8:9], v12, v3
	s_sub_i32 s3, s28, s52
	s_lshl_b32 s3, s3, 3
	v_cndmask_b32_e64 v12, v2, v12, s[8:9]
	v_lshlrev_b32_e32 v12, 2, v12
	s_waitcnt lgkmcnt(0)
	ds_bpermute_b32 v13, v12, v4
	v_max_f32_e32 v4, v4, v4
	s_add_i32 s3, s3, s51
	s_min_i32 s20, s3, s41
	s_sub_i32 s3, s20, s51
	s_waitcnt lgkmcnt(0)
	v_max_f32_e32 v13, v13, v13
	v_max_f32_e32 v4, v4, v13
	v_lshlrev_b32_e32 v13, 2, v2
	v_and_b32_e32 v13, 0x100, v13
	ds_bpermute_b32 v4, v13, v4
	v_cmp_gt_i32_e64 s[8:9], s3, v0
	v_mov_b32_e32 v15, 0
	s_and_saveexec_b64 s[12:13], s[8:9]
	s_cbranch_execz .LBB253_28
; %bb.25:
	v_mov_b32_e32 v15, 0x210
	v_lshl_add_u32 v16, v0, 2, v15
	s_mov_b64 s[18:19], 0
	v_mov_b32_e32 v15, 0
	v_mov_b32_e32 v18, v0
.LBB253_26:                             ; =>This Inner Loop Header: Depth=1
	ds_read_b32 v19, v16
	v_add_u32_e32 v18, 0x80, v18
	v_cmp_le_i32_e64 s[10:11], s3, v18
	s_or_b64 s[18:19], s[10:11], s[18:19]
	s_waitcnt lgkmcnt(0)
	v_sub_f32_e32 v19, v19, v4
	v_mul_f32_e32 v19, 0x3fb8aa3b, v19
	v_exp_f32_e32 v19, v19
	ds_write_b32 v16, v19
	v_add_f32_e32 v15, v15, v19
	v_add_u32_e32 v16, 0x200, v16
	s_andn2_b64 exec, exec, s[18:19]
	s_cbranch_execnz .LBB253_26
; %bb.27:
	s_or_b64 exec, exec, s[18:19]
.LBB253_28:
	s_or_b64 exec, exec, s[12:13]
	ds_bpermute_b32 v8, v8, v15
	s_waitcnt lgkmcnt(0)
	v_add_f32_e32 v8, v15, v8
	ds_bpermute_b32 v10, v10, v8
	s_waitcnt lgkmcnt(0)
	v_add_f32_e32 v8, v8, v10
	ds_bpermute_b32 v10, v11, v8
	v_xor_b32_e32 v11, 4, v2
	v_cmp_lt_i32_e64 s[10:11], v11, v3
	s_waitcnt lgkmcnt(0)
	v_add_f32_e32 v8, v8, v10
	v_cndmask_b32_e64 v11, v2, v11, s[10:11]
	v_lshlrev_b32_e32 v11, 2, v11
	ds_bpermute_b32 v10, v11, v8
	v_xor_b32_e32 v11, 2, v2
	v_cmp_lt_i32_e64 s[10:11], v11, v3
	s_waitcnt lgkmcnt(0)
	v_add_f32_e32 v3, v8, v10
	v_cndmask_b32_e64 v2, v2, v11, s[10:11]
	v_lshlrev_b32_e32 v2, 2, v2
	ds_bpermute_b32 v2, v2, v3
	s_waitcnt lgkmcnt(0)
	v_add_f32_e32 v2, v3, v2
	ds_bpermute_b32 v3, v12, v2
	s_waitcnt lgkmcnt(0)
	v_add_f32_e32 v2, v2, v3
	s_and_saveexec_b64 s[10:11], vcc
	s_cbranch_execz .LBB253_30
; %bb.29:
	ds_write_b32 v5, v2 offset:520
.LBB253_30:
	s_or_b64 exec, exec, s[10:11]
	s_waitcnt lgkmcnt(0)
	s_barrier
	s_and_saveexec_b64 s[10:11], s[6:7]
	s_cbranch_execz .LBB253_32
; %bb.31:
	ds_read_b32 v2, v9 offset:520
.LBB253_32:
	s_or_b64 exec, exec, s[10:11]
	s_waitcnt lgkmcnt(0)
	ds_bpermute_b32 v3, v12, v2
	s_waitcnt lgkmcnt(0)
	v_add_f32_e32 v2, v2, v3
	ds_bpermute_b32 v5, v13, v2
	s_and_saveexec_b64 s[6:7], s[8:9]
	s_cbranch_execz .LBB253_45
; %bb.33:
	s_waitcnt lgkmcnt(0)
	v_add_f32_e32 v2, 0x358637bd, v5
	v_div_scale_f32 v3, s[8:9], v2, v2, 1.0
	v_rcp_f32_e32 v8, v3
	v_div_scale_f32 v9, vcc, 1.0, v2, 1.0
	s_movk_i32 s8, 0x7f
	v_fma_f32 v10, -v3, v8, 1.0
	v_fmac_f32_e32 v8, v10, v8
	v_mul_f32_e32 v10, v9, v8
	v_fma_f32 v11, -v3, v10, v9
	v_fmac_f32_e32 v10, v11, v8
	v_fma_f32 v3, -v3, v10, v9
	v_div_fmas_f32 v3, v3, v8, v10
	v_div_fixup_f32 v2, v3, v2, 1.0
	v_xad_u32 v3, v0, -1, s20
	v_subrev_u32_e32 v8, s51, v3
	v_cmp_lt_u32_e32 vcc, s8, v8
	s_mov_b64 s[10:11], -1
	v_mov_b32_e32 v3, v0
	s_and_saveexec_b64 s[8:9], vcc
	s_cbranch_execz .LBB253_42
; %bb.34:
	v_lshrrev_b32_e32 v8, 7, v8
	v_add_u32_e32 v10, -1, v8
	v_lshrrev_b32_e32 v9, 1, v10
	v_mov_b32_e32 v3, v2
	v_add_u32_e32 v9, 1, v9
	v_cmp_lt_u32_e32 vcc, 13, v10
	v_mov_b32_e32 v12, 0
	s_and_saveexec_b64 s[10:11], vcc
	s_cbranch_execz .LBB253_38
; %bb.35:
	v_mov_b32_e32 v11, 0x210
	v_and_b32_e32 v10, -8, v9
	v_lshl_add_u32 v11, v0, 2, v11
	s_mov_b32 s18, 0
	s_mov_b64 s[12:13], 0
.LBB253_36:                             ; =>This Inner Loop Header: Depth=1
	ds_read2st64_b32 v[12:13], v11 offset1:2
	ds_read2st64_b32 v[18:19], v11 offset0:4 offset1:6
	ds_read2st64_b32 v[20:21], v11 offset0:8 offset1:10
	;; [unrolled: 1-line block ×3, first 2 shown]
	v_add_u32_e32 v10, -8, v10
	s_waitcnt lgkmcnt(3)
	v_pk_mul_f32 v[12:13], v[2:3], v[12:13]
	s_waitcnt lgkmcnt(2)
	v_pk_mul_f32 v[18:19], v[2:3], v[18:19]
	ds_write2st64_b32 v11, v12, v13 offset1:2
	ds_write2st64_b32 v11, v18, v19 offset0:4 offset1:6
	ds_read2st64_b32 v[18:19], v11 offset0:16 offset1:18
	s_waitcnt lgkmcnt(4)
	v_pk_mul_f32 v[12:13], v[2:3], v[20:21]
	ds_write2st64_b32 v11, v12, v13 offset0:8 offset1:10
	s_waitcnt lgkmcnt(4)
	v_pk_mul_f32 v[12:13], v[2:3], v[22:23]
	ds_write2st64_b32 v11, v12, v13 offset0:12 offset1:14
	ds_read2st64_b32 v[12:13], v11 offset0:20 offset1:22
	s_waitcnt lgkmcnt(3)
	v_pk_mul_f32 v[18:19], v[2:3], v[18:19]
	ds_read2st64_b32 v[20:21], v11 offset0:24 offset1:26
	ds_write2st64_b32 v11, v18, v19 offset0:16 offset1:18
	ds_read2st64_b32 v[18:19], v11 offset0:28 offset1:30
	s_waitcnt lgkmcnt(3)
	v_pk_mul_f32 v[12:13], v[2:3], v[12:13]
	ds_write2st64_b32 v11, v12, v13 offset0:20 offset1:22
	s_waitcnt lgkmcnt(3)
	v_pk_mul_f32 v[12:13], v[2:3], v[20:21]
	ds_write2st64_b32 v11, v12, v13 offset0:24 offset1:26
	s_waitcnt lgkmcnt(2)
	v_pk_mul_f32 v[12:13], v[2:3], v[18:19]
	s_add_i32 s18, s18, 16
	v_cmp_eq_u32_e32 vcc, 0, v10
	ds_write2st64_b32 v11, v12, v13 offset0:28 offset1:30
	v_add_u32_e32 v11, 0x2000, v11
	s_or_b64 s[12:13], vcc, s[12:13]
	v_mov_b32_e32 v12, s18
	s_andn2_b64 exec, exec, s[12:13]
	s_cbranch_execnz .LBB253_36
; %bb.37:
	s_or_b64 exec, exec, s[12:13]
.LBB253_38:
	s_or_b64 exec, exec, s[10:11]
	v_and_b32_e32 v9, 7, v9
	v_cmp_ne_u32_e32 vcc, 0, v9
	s_and_saveexec_b64 s[10:11], vcc
	s_cbranch_execz .LBB253_41
; %bb.39:
	v_lshlrev_b32_e32 v10, 9, v12
	v_lshlrev_b32_e32 v11, 2, v0
	s_movk_i32 s12, 0x210
	v_add3_u32 v10, v10, v11, s12
	s_mov_b64 s[12:13], 0
.LBB253_40:                             ; =>This Inner Loop Header: Depth=1
	ds_read2st64_b32 v[12:13], v10 offset1:2
	v_add_u32_e32 v9, -1, v9
	v_cmp_eq_u32_e32 vcc, 0, v9
	s_or_b64 s[12:13], vcc, s[12:13]
	s_waitcnt lgkmcnt(0)
	v_pk_mul_f32 v[12:13], v[2:3], v[12:13]
	ds_write2st64_b32 v10, v12, v13 offset1:2
	v_add_u32_e32 v10, 0x400, v10
	s_andn2_b64 exec, exec, s[12:13]
	s_cbranch_execnz .LBB253_40
.LBB253_41:
	s_or_b64 exec, exec, s[10:11]
	v_add_u32_e32 v8, 1, v8
	v_and_b32_e32 v9, 0x3fffffe, v8
	v_cmp_ne_u32_e32 vcc, v8, v9
	v_lshl_add_u32 v3, v9, 7, v0
	s_orn2_b64 s[10:11], vcc, exec
.LBB253_42:
	s_or_b64 exec, exec, s[8:9]
	s_and_b64 exec, exec, s[10:11]
	s_cbranch_execz .LBB253_45
; %bb.43:
	v_mov_b32_e32 v8, 0x210
	v_lshl_add_u32 v8, v3, 2, v8
	s_mov_b64 s[8:9], 0
.LBB253_44:                             ; =>This Inner Loop Header: Depth=1
	ds_read_b32 v9, v8
	v_add_u32_e32 v3, 0x80, v3
	v_cmp_le_i32_e32 vcc, s3, v3
	s_or_b64 s[8:9], vcc, s[8:9]
	s_waitcnt lgkmcnt(0)
	v_mul_f32_e32 v9, v2, v9
	ds_write_b32 v8, v9
	v_add_u32_e32 v8, 0x200, v8
	s_andn2_b64 exec, exec, s[8:9]
	s_cbranch_execnz .LBB253_44
.LBB253_45:
	s_or_b64 exec, exec, s[6:7]
	s_mul_i32 s3, s33, s40
	s_mov_b32 s8, 0
	v_cmp_eq_u32_e32 vcc, 0, v0
	s_mul_i32 s6, s3, s5
	s_waitcnt lgkmcnt(0)
	s_barrier
	s_and_saveexec_b64 s[10:11], vcc
	s_cbranch_execz .LBB253_47
; %bb.46:
	s_ashr_i32 s7, s6, 31
	s_lshl_b64 s[12:13], s[6:7], 2
	s_add_u32 s5, s26, s12
	s_mul_i32 s2, s33, s2
	s_addc_u32 s7, s27, s13
	s_ashr_i32 s3, s2, 31
	s_lshl_b64 s[2:3], s[2:3], 2
	s_add_u32 s9, s5, s2
	s_addc_u32 s7, s7, s3
	s_ashr_i32 s5, s4, 31
	s_lshl_b64 s[18:19], s[4:5], 2
	s_add_u32 s20, s9, s18
	s_addc_u32 s21, s7, s19
	s_add_u32 s5, s24, s12
	s_addc_u32 s7, s25, s13
	;; [unrolled: 2-line block ×3, first 2 shown]
	s_add_u32 s2, s2, s18
	v_mov_b32_e32 v2, 0
	s_addc_u32 s3, s3, s19
	global_store_dword v2, v4, s[20:21]
	global_store_dword v2, v5, s[2:3]
.LBB253_47:
	s_or_b64 exec, exec, s[10:11]
	s_mov_b32 s9, s8
	s_mov_b32 s10, s8
	s_mov_b32 s11, s8
	v_mov_b64_e32 v[2:3], s[8:9]
	v_mov_b64_e32 v[4:5], s[10:11]
	s_and_saveexec_b64 s[2:3], s[0:1]
	s_cbranch_execz .LBB253_317
; %bb.48:
	s_sub_i32 s5, s49, s29
	s_ashr_i32 s1, s50, 31
	s_add_u32 s0, s22, s50
	s_addc_u32 s1, s23, s1
	s_abs_i32 s7, s30
	v_cvt_f32_u32_e32 v2, s7
	v_lshlrev_b32_e32 v8, 3, v17
	v_mov_b32_e32 v9, 0
	s_sub_i32 s8, 0, s7
	v_rcp_iflag_f32_e32 v2, v2
	s_add_i32 s22, s16, -1
	v_lshl_add_u64 v[10:11], s[0:1], 0, v[8:9]
	s_lshl_b64 s[0:1], s[42:43], 2
	v_mul_f32_e32 v2, 0x4f7ffffe, v2
	v_cvt_u32_f32_e32 v2, v2
	s_mov_b32 s24, 0
	s_add_u32 s0, s38, s0
	s_addc_u32 s1, s39, s1
	v_mul_lo_u32 v3, s8, v2
	v_mul_hi_u32 v3, v2, v3
	v_add_u32_e32 v24, v2, v3
	v_mov_b32_e32 v2, 0x210
	s_mov_b32 s25, s24
	v_lshl_add_u64 v[12:13], v[6:7], 2, s[0:1]
	v_lshl_add_u32 v7, v14, 5, v2
	s_mov_b32 s26, s24
	s_mov_b32 s27, s24
	v_mov_b64_e32 v[2:3], s[24:25]
	s_mov_b32 s20, s17
	s_mov_b32 s21, s41
	s_mov_b64 s[8:9], 0
	v_mov_b64_e32 v[4:5], s[26:27]
	s_movk_i32 s23, 0x7f
	s_movk_i32 s24, 0x80
	s_mov_b32 s25, 0x8000
	s_movk_i32 s26, 0x380
	s_mov_b32 s27, 0x3020706
	s_mov_b32 s29, 0x1000504
	s_mov_b32 s30, 0x5040100
	v_mov_b32_e32 v25, 0x1c00
	s_branch .LBB253_51
.LBB253_49:                             ;   in Loop: Header=BB253_51 Depth=1
	s_or_b64 exec, exec, s[0:1]
	;;#ASMSTART
	v_pk_mul_f16 v15, v36, v15;

	;;#ASMEND
	;;#ASMSTART
	v_pk_mul_f16 v8, v35, v8;

	;;#ASMEND
	;; [unrolled: 4-line block ×4, first 2 shown]
	v_add_f32_e32 v18, v37, v38
	;;#ASMSTART
	v_pk_add_f16 v8, v15, v8;

	;;#ASMEND
	v_add_f32_e32 v2, v2, v18
	;;#ASMSTART
	v_pk_add_f16 v8, v8, v14;

	;;#ASMEND
	;; [unrolled: 5-line block ×3, first 2 shown]
	v_add_f32_e32 v3, v3, v18
	v_lshrrev_b32_e32 v14, 16, v8
	v_and_b32_e32 v8, 0xffff, v8
	;;#ASMSTART
	v_cvt_f32_f16 v8, v8;
	;;#ASMEND
	v_add_f32_e32 v18, v22, v23
	;;#ASMSTART
	v_cvt_f32_f16 v14, v14;
	;;#ASMEND
	v_add_f32_e32 v4, v4, v18
	v_add_f32_e32 v8, v8, v14
	;; [unrolled: 1-line block ×3, first 2 shown]
.LBB253_50:                             ;   in Loop: Header=BB253_51 Depth=1
	s_or_b64 exec, exec, s[10:11]
	v_add_u32_e32 v6, 2, v6
	v_cmp_le_i32_e32 vcc, s28, v6
	v_lshl_add_u64 v[12:13], v[12:13], 0, 8
	v_add_u32_e32 v1, 16, v1
	s_or_b64 s[8:9], vcc, s[8:9]
	v_add_u32_e32 v7, 64, v7
	s_andn2_b64 exec, exec, s[8:9]
	s_cbranch_execz .LBB253_316
.LBB253_51:                             ; =>This Inner Loop Header: Depth=1
	v_sub_u32_e32 v14, 0, v1
	v_max_i32_e32 v14, v1, v14
	v_mul_hi_u32 v15, v14, s48
	v_mul_lo_u32 v16, v15, s37
	v_sub_u32_e32 v14, v14, v16
	v_add_u32_e32 v16, 1, v15
	v_cmp_le_u32_e32 vcc, s37, v14
	v_ashrrev_i32_e32 v8, 31, v1
	v_xor_b32_e32 v8, s31, v8
	v_cndmask_b32_e32 v15, v15, v16, vcc
	v_subrev_u32_e32 v16, s37, v14
	v_cndmask_b32_e32 v14, v14, v16, vcc
	v_add_u32_e32 v16, 1, v15
	v_cmp_le_u32_e32 vcc, s37, v14
	s_nop 1
	v_cndmask_b32_e32 v14, v15, v16, vcc
	v_xor_b32_e32 v14, v14, v8
	v_sub_u32_e32 v8, v14, v8
	v_add_u32_e32 v14, s44, v8
	v_sub_u32_e32 v16, 0, v14
	v_ashrrev_i32_e32 v15, 31, v14
	v_max_i32_e32 v14, v14, v16
	v_mul_hi_u32 v16, v14, v24
	v_mul_lo_u32 v16, v16, s7
	v_sub_u32_e32 v14, v14, v16
	v_subrev_u32_e32 v16, s7, v14
	v_cmp_le_u32_e32 vcc, s7, v14
	v_cmp_lt_i32_e64 s[0:1], s5, v8
	s_nop 0
	v_cndmask_b32_e32 v14, v14, v16, vcc
	v_subrev_u32_e32 v16, s7, v14
	v_cmp_le_u32_e32 vcc, s7, v14
	s_nop 1
	v_cndmask_b32_e32 v14, v14, v16, vcc
	v_xor_b32_e32 v14, v14, v15
	v_sub_u32_e32 v14, v14, v15
	v_cmp_eq_u32_e32 vcc, 0, v14
	s_or_b64 s[0:1], vcc, s[0:1]
	s_and_saveexec_b64 s[10:11], s[0:1]
	s_cbranch_execz .LBB253_50
; %bb.52:                               ;   in Loop: Header=BB253_51 Depth=1
	ds_read2_b64 v[18:21], v7 offset1:1
	ds_read2_b64 v[26:29], v7 offset0:2 offset1:3
                                        ; implicit-def: $sgpr18
	s_waitcnt lgkmcnt(1)
	;;#ASMSTART
	v_cvt_f16_f32 v33, v18;

	;;#ASMEND
	;;#ASMSTART
	v_cvt_f16_f32 v34, v19;

	;;#ASMEND
	;; [unrolled: 4-line block ×4, first 2 shown]
	s_waitcnt lgkmcnt(0)
	;;#ASMSTART
	v_cvt_f16_f32 v38, v26;

	;;#ASMEND
	;;#ASMSTART
	v_cvt_f16_f32 v39, v27;

	;;#ASMEND
	;; [unrolled: 4-line block ×4, first 2 shown]
	global_load_dword v8, v[12:13], off
	s_waitcnt vmcnt(0)
	v_mad_i64_i32 v[14:15], s[0:1], v8, s20, v[10:11]
	global_load_dwordx2 v[18:19], v[14:15], off
	global_load_dword v16, v9, s[14:15]
	s_mov_b64 s[0:1], 0
	s_waitcnt vmcnt(1)
	v_cmp_gt_i16_sdwa s[12:13], v18, s23 src0_sel:BYTE_0 src1_sel:DWORD
	s_and_saveexec_b64 s[16:17], s[12:13]
	s_xor_b64 s[12:13], exec, s[16:17]
	s_cbranch_execnz .LBB253_188
; %bb.53:                               ;   in Loop: Header=BB253_51 Depth=1
	s_or_saveexec_b64 s[12:13], s[12:13]
	v_mov_b32_e32 v20, s18
	s_xor_b64 exec, exec, s[12:13]
	s_cbranch_execnz .LBB253_191
.LBB253_54:                             ;   in Loop: Header=BB253_51 Depth=1
	s_or_b64 exec, exec, s[12:13]
	s_and_saveexec_b64 s[12:13], s[0:1]
	s_cbranch_execz .LBB253_56
.LBB253_55:                             ;   in Loop: Header=BB253_51 Depth=1
	v_and_b32_e32 v8, 7, v18
	v_ffbh_u32_e32 v8, v8
	v_bfe_u32 v20, v18, 3, 4
	v_min_u32_e32 v8, 32, v8
	v_subrev_u32_e32 v21, 28, v8
	v_sub_u32_e32 v8, 29, v8
	v_cmp_eq_u32_e32 vcc, 0, v20
	s_nop 1
	v_cndmask_b32_e32 v8, v20, v8, vcc
	v_cndmask_b32_e32 v20, 0, v21, vcc
	v_lshlrev_b64 v[20:21], v20, v[18:19]
	v_lshlrev_b32_e32 v21, 8, v18
	v_lshl_add_u32 v8, v8, 10, v25
	v_lshlrev_b32_e32 v20, 7, v20
	v_and_or_b32 v8, v21, s25, v8
	v_and_or_b32 v8, v20, s26, v8
	v_cvt_f32_f16_e32 v20, v8
.LBB253_56:                             ;   in Loop: Header=BB253_51 Depth=1
	s_or_b64 exec, exec, s[12:13]
	v_lshrrev_b16_e32 v8, 8, v18
	v_cmp_lt_i16_e32 vcc, s23, v8
	s_mov_b64 s[0:1], 0
                                        ; implicit-def: $sgpr18
	s_and_saveexec_b64 s[12:13], vcc
	s_xor_b64 s[12:13], exec, s[12:13]
	s_cbranch_execnz .LBB253_192
; %bb.57:                               ;   in Loop: Header=BB253_51 Depth=1
	s_or_saveexec_b64 s[12:13], s[12:13]
	v_mov_b32_e32 v22, s18
	s_xor_b64 exec, exec, s[12:13]
	s_cbranch_execnz .LBB253_195
.LBB253_58:                             ;   in Loop: Header=BB253_51 Depth=1
	s_or_b64 exec, exec, s[12:13]
	s_and_saveexec_b64 s[12:13], s[0:1]
	s_cbranch_execz .LBB253_60
.LBB253_59:                             ;   in Loop: Header=BB253_51 Depth=1
	v_and_b32_e32 v21, 7, v8
	v_ffbh_u32_e32 v22, v21
	v_min_u32_e32 v27, 32, v22
	v_subrev_u32_e32 v22, 28, v27
	v_bfe_u32 v26, v8, 3, 4
	v_lshlrev_b64 v[22:23], v22, v[8:9]
	v_sub_u32_e32 v23, 29, v27
	v_cmp_eq_u32_e32 vcc, 0, v26
	v_and_b32_e32 v22, 7, v22
	v_lshlrev_b32_e32 v8, 8, v8
	v_cndmask_b32_e32 v23, v26, v23, vcc
	v_cndmask_b32_e32 v21, v21, v22, vcc
	v_lshl_add_u32 v22, v23, 10, v25
	v_and_or_b32 v8, v8, s25, v22
	v_lshl_or_b32 v8, v21, 7, v8
	v_cvt_f32_f16_e32 v22, v8
.LBB253_60:                             ;   in Loop: Header=BB253_51 Depth=1
	s_or_b64 exec, exec, s[12:13]
	v_lshrrev_b32_e32 v8, 16, v18
	v_cmp_gt_i16_sdwa s[12:13], v8, s23 src0_sel:BYTE_0 src1_sel:DWORD
	s_mov_b64 s[0:1], 0
                                        ; implicit-def: $sgpr18
	s_and_saveexec_b64 s[16:17], s[12:13]
	s_xor_b64 s[12:13], exec, s[16:17]
	s_cbranch_execnz .LBB253_196
; %bb.61:                               ;   in Loop: Header=BB253_51 Depth=1
	s_or_saveexec_b64 s[12:13], s[12:13]
	v_mov_b32_e32 v21, s18
	s_xor_b64 exec, exec, s[12:13]
	s_cbranch_execnz .LBB253_199
.LBB253_62:                             ;   in Loop: Header=BB253_51 Depth=1
	s_or_b64 exec, exec, s[12:13]
	s_and_saveexec_b64 s[12:13], s[0:1]
	s_cbranch_execz .LBB253_64
.LBB253_63:                             ;   in Loop: Header=BB253_51 Depth=1
	v_bfe_u32 v21, v18, 16, 3
	v_ffbh_u32_e32 v26, v21
	v_min_u32_e32 v28, 32, v26
	v_subrev_u32_e32 v26, 28, v28
	v_bfe_u32 v23, v18, 19, 4
	v_lshlrev_b64 v[26:27], v26, v[8:9]
	v_sub_u32_e32 v27, 29, v28
	v_cmp_eq_u32_e32 vcc, 0, v23
	v_and_b32_e32 v26, 7, v26
	v_lshlrev_b32_e32 v8, 8, v8
	v_cndmask_b32_e32 v23, v23, v27, vcc
	v_lshl_add_u32 v23, v23, 10, v25
	v_cndmask_b32_e32 v21, v21, v26, vcc
	v_and_or_b32 v8, v8, s25, v23
	v_lshl_or_b32 v8, v21, 7, v8
	v_cvt_f32_f16_e32 v21, v8
.LBB253_64:                             ;   in Loop: Header=BB253_51 Depth=1
	s_or_b64 exec, exec, s[12:13]
	v_lshrrev_b32_e32 v8, 24, v18
	v_cmp_lt_i16_e32 vcc, s23, v8
	s_mov_b64 s[0:1], 0
                                        ; implicit-def: $sgpr18
	s_and_saveexec_b64 s[12:13], vcc
	s_xor_b64 s[12:13], exec, s[12:13]
	s_cbranch_execnz .LBB253_200
; %bb.65:                               ;   in Loop: Header=BB253_51 Depth=1
	s_or_saveexec_b64 s[12:13], s[12:13]
	v_mov_b32_e32 v23, s18
	s_xor_b64 exec, exec, s[12:13]
	s_cbranch_execnz .LBB253_203
.LBB253_66:                             ;   in Loop: Header=BB253_51 Depth=1
	s_or_b64 exec, exec, s[12:13]
	s_and_saveexec_b64 s[12:13], s[0:1]
	s_cbranch_execz .LBB253_68
.LBB253_67:                             ;   in Loop: Header=BB253_51 Depth=1
	v_bfe_u32 v23, v18, 24, 3
	v_ffbh_u32_e32 v26, v23
	v_min_u32_e32 v28, 32, v26
	v_subrev_u32_e32 v26, 28, v28
	v_bfe_u32 v18, v18, 27, 4
	v_lshlrev_b64 v[26:27], v26, v[8:9]
	v_sub_u32_e32 v27, 29, v28
	v_cmp_eq_u32_e32 vcc, 0, v18
	v_and_b32_e32 v26, 7, v26
	v_lshlrev_b32_e32 v8, 8, v8
	v_cndmask_b32_e32 v18, v18, v27, vcc
	v_lshl_add_u32 v18, v18, 10, v25
	v_cndmask_b32_e32 v23, v23, v26, vcc
	v_and_or_b32 v8, v8, s25, v18
	v_lshl_or_b32 v8, v23, 7, v8
	v_cvt_f32_f16_e32 v23, v8
.LBB253_68:                             ;   in Loop: Header=BB253_51 Depth=1
	s_or_b64 exec, exec, s[12:13]
	v_cmp_gt_i16_sdwa s[12:13], v19, s23 src0_sel:BYTE_0 src1_sel:DWORD
	s_mov_b64 s[0:1], 0
                                        ; implicit-def: $sgpr18
	s_and_saveexec_b64 s[16:17], s[12:13]
	s_xor_b64 s[12:13], exec, s[16:17]
	s_cbranch_execnz .LBB253_204
; %bb.69:                               ;   in Loop: Header=BB253_51 Depth=1
	s_or_saveexec_b64 s[12:13], s[12:13]
	v_mov_b32_e32 v18, s18
	s_xor_b64 exec, exec, s[12:13]
	s_cbranch_execnz .LBB253_207
.LBB253_70:                             ;   in Loop: Header=BB253_51 Depth=1
	s_or_b64 exec, exec, s[12:13]
	v_mov_b32_e32 v8, v19
	s_and_saveexec_b64 s[12:13], s[0:1]
	s_cbranch_execz .LBB253_72
.LBB253_71:                             ;   in Loop: Header=BB253_51 Depth=1
	v_and_b32_e32 v18, 7, v19
	v_ffbh_u32_e32 v18, v18
	v_bfe_u32 v26, v19, 3, 4
	v_min_u32_e32 v18, 32, v18
	v_subrev_u32_e32 v27, 28, v18
	v_sub_u32_e32 v18, 29, v18
	v_cmp_eq_u32_e32 vcc, 0, v26
	s_nop 1
	v_cndmask_b32_e32 v18, v26, v18, vcc
	v_cndmask_b32_e32 v26, 0, v27, vcc
	v_lshlrev_b64 v[26:27], v26, v[8:9]
	v_lshlrev_b32_e32 v27, 8, v19
	v_lshl_add_u32 v18, v18, 10, v25
	v_lshlrev_b32_e32 v26, 7, v26
	v_and_or_b32 v18, v27, s25, v18
	v_and_or_b32 v18, v26, s26, v18
	v_cvt_f32_f16_e32 v18, v18
.LBB253_72:                             ;   in Loop: Header=BB253_51 Depth=1
	s_or_b64 exec, exec, s[12:13]
	v_lshrrev_b16_e32 v8, 8, v8
	v_cmp_lt_i16_e32 vcc, s23, v8
	s_mov_b64 s[0:1], 0
                                        ; implicit-def: $sgpr18
	s_and_saveexec_b64 s[12:13], vcc
	s_xor_b64 s[12:13], exec, s[12:13]
	s_cbranch_execnz .LBB253_208
; %bb.73:                               ;   in Loop: Header=BB253_51 Depth=1
	s_or_saveexec_b64 s[12:13], s[12:13]
	v_mov_b32_e32 v26, s18
	s_xor_b64 exec, exec, s[12:13]
	s_cbranch_execnz .LBB253_211
.LBB253_74:                             ;   in Loop: Header=BB253_51 Depth=1
	s_or_b64 exec, exec, s[12:13]
	s_and_saveexec_b64 s[12:13], s[0:1]
	s_cbranch_execz .LBB253_76
.LBB253_75:                             ;   in Loop: Header=BB253_51 Depth=1
	v_and_b32_e32 v28, 7, v8
	v_ffbh_u32_e32 v26, v28
	v_min_u32_e32 v30, 32, v26
	v_subrev_u32_e32 v26, 28, v30
	v_bfe_u32 v29, v8, 3, 4
	v_lshlrev_b64 v[26:27], v26, v[8:9]
	v_sub_u32_e32 v27, 29, v30
	v_cmp_eq_u32_e32 vcc, 0, v29
	v_and_b32_e32 v26, 7, v26
	v_lshlrev_b32_e32 v8, 8, v8
	v_cndmask_b32_e32 v27, v29, v27, vcc
	v_lshl_add_u32 v27, v27, 10, v25
	v_cndmask_b32_e32 v26, v28, v26, vcc
	v_and_or_b32 v8, v8, s25, v27
	v_lshl_or_b32 v8, v26, 7, v8
	v_cvt_f32_f16_e32 v26, v8
.LBB253_76:                             ;   in Loop: Header=BB253_51 Depth=1
	s_or_b64 exec, exec, s[12:13]
	v_lshrrev_b32_e32 v8, 16, v19
	v_cmp_gt_i16_sdwa s[12:13], v8, s23 src0_sel:BYTE_0 src1_sel:DWORD
	s_mov_b64 s[0:1], 0
                                        ; implicit-def: $sgpr18
	s_and_saveexec_b64 s[16:17], s[12:13]
	s_xor_b64 s[12:13], exec, s[16:17]
	s_cbranch_execnz .LBB253_212
; %bb.77:                               ;   in Loop: Header=BB253_51 Depth=1
	s_or_saveexec_b64 s[12:13], s[12:13]
	v_mov_b32_e32 v27, s18
	s_xor_b64 exec, exec, s[12:13]
	s_cbranch_execnz .LBB253_215
.LBB253_78:                             ;   in Loop: Header=BB253_51 Depth=1
	s_or_b64 exec, exec, s[12:13]
	s_and_saveexec_b64 s[12:13], s[0:1]
	s_cbranch_execz .LBB253_80
.LBB253_79:                             ;   in Loop: Header=BB253_51 Depth=1
	v_bfe_u32 v27, v19, 16, 3
	v_ffbh_u32_e32 v28, v27
	v_min_u32_e32 v31, 32, v28
	v_subrev_u32_e32 v28, 28, v31
	v_bfe_u32 v30, v19, 19, 4
	v_lshlrev_b64 v[28:29], v28, v[8:9]
	v_sub_u32_e32 v29, 29, v31
	v_cmp_eq_u32_e32 vcc, 0, v30
	v_and_b32_e32 v28, 7, v28
	v_lshlrev_b32_e32 v8, 8, v8
	v_cndmask_b32_e32 v29, v30, v29, vcc
	v_cndmask_b32_e32 v27, v27, v28, vcc
	v_lshl_add_u32 v28, v29, 10, v25
	v_and_or_b32 v8, v8, s25, v28
	v_lshl_or_b32 v8, v27, 7, v8
	v_cvt_f32_f16_e32 v27, v8
.LBB253_80:                             ;   in Loop: Header=BB253_51 Depth=1
	s_or_b64 exec, exec, s[12:13]
	v_lshrrev_b32_e32 v8, 24, v19
	v_cmp_lt_i16_e32 vcc, s23, v8
	s_mov_b64 s[0:1], 0
                                        ; implicit-def: $sgpr18
	s_and_saveexec_b64 s[12:13], vcc
	s_xor_b64 s[12:13], exec, s[12:13]
	s_cbranch_execnz .LBB253_216
; %bb.81:                               ;   in Loop: Header=BB253_51 Depth=1
	s_or_saveexec_b64 s[12:13], s[12:13]
	v_mov_b32_e32 v28, s18
	s_xor_b64 exec, exec, s[12:13]
	s_cbranch_execnz .LBB253_219
.LBB253_82:                             ;   in Loop: Header=BB253_51 Depth=1
	s_or_b64 exec, exec, s[12:13]
	s_and_saveexec_b64 s[12:13], s[0:1]
	s_cbranch_execz .LBB253_84
.LBB253_83:                             ;   in Loop: Header=BB253_51 Depth=1
	v_bfe_u32 v30, v19, 24, 3
	v_ffbh_u32_e32 v28, v30
	v_min_u32_e32 v31, 32, v28
	v_subrev_u32_e32 v28, 28, v31
	v_bfe_u32 v19, v19, 27, 4
	v_lshlrev_b64 v[28:29], v28, v[8:9]
	v_sub_u32_e32 v29, 29, v31
	v_cmp_eq_u32_e32 vcc, 0, v19
	v_and_b32_e32 v28, 7, v28
	v_lshlrev_b32_e32 v8, 8, v8
	v_cndmask_b32_e32 v19, v19, v29, vcc
	v_lshl_add_u32 v19, v19, 10, v25
	v_cndmask_b32_e32 v28, v30, v28, vcc
	v_and_or_b32 v8, v8, s25, v19
	v_lshl_or_b32 v8, v28, 7, v8
	v_cvt_f32_f16_e32 v28, v8
.LBB253_84:                             ;   in Loop: Header=BB253_51 Depth=1
	s_or_b64 exec, exec, s[12:13]
	s_waitcnt vmcnt(0)
	v_pk_mul_f32 v[22:23], v[16:17], v[22:23] op_sel_hi:[0,1]
	v_pk_mul_f32 v[20:21], v[16:17], v[20:21] op_sel_hi:[0,1]
	v_cvt_f16_f32_e32 v8, v23
	v_cvt_f16_f32_e32 v19, v22
	;; [unrolled: 1-line block ×4, first 2 shown]
	v_fma_mixlo_f16 v18, v16, v18, 0
	v_pack_b32_f16 v19, v19, v8
	v_cmp_eq_u32_e32 vcc, s22, v6
	v_pack_b32_f16 v20, v20, v21
	v_perm_b32 v8, v20, v19, s27
	v_perm_b32 v19, v20, v19, s29
	v_fma_mixlo_f16 v20, v16, v26, 0
	v_lshlrev_b32_e32 v20, 16, v20
	v_or_b32_sdwa v18, v20, v18 dst_sel:DWORD dst_unused:UNUSED_PAD src0_sel:DWORD src1_sel:WORD_0
	v_fma_mixlo_f16 v20, v16, v27, 0
	v_fma_mixlo_f16 v16, v16, v28, 0
	v_lshlrev_b32_e32 v16, 16, v16
	v_or_b32_sdwa v16, v16, v20 dst_sel:DWORD dst_unused:UNUSED_PAD src0_sel:DWORD src1_sel:WORD_0
	v_add_u32_e32 v32, 1, v1
	v_or_b32_e32 v31, 3, v1
	v_or_b32_e32 v30, 2, v1
	;; [unrolled: 1-line block ×6, first 2 shown]
	s_and_saveexec_b64 s[12:13], vcc
	s_cbranch_execz .LBB253_86
; %bb.85:                               ;   in Loop: Header=BB253_51 Depth=1
	v_lshrrev_b32_e32 v21, 16, v19
	v_cmp_gt_i32_e64 s[0:1], s21, v32
	v_lshrrev_b32_e32 v16, 16, v16
	s_nop 0
	v_cndmask_b32_e64 v21, 0, v21, s[0:1]
	v_cmp_gt_i32_e64 s[0:1], s41, v1
	s_nop 1
	v_cndmask_b32_e64 v19, 0, v19, s[0:1]
	v_perm_b32 v19, v21, v19, s30
	v_lshrrev_b32_e32 v21, 16, v8
	v_cmp_gt_i32_e64 s[0:1], s21, v31
	s_nop 1
	v_cndmask_b32_e64 v21, 0, v21, s[0:1]
	v_cmp_gt_i32_e64 s[0:1], s41, v30
	s_nop 1
	v_cndmask_b32_e64 v8, 0, v8, s[0:1]
	v_perm_b32 v8, v21, v8, s30
	v_lshrrev_b32_e32 v21, 16, v18
	v_cmp_gt_i32_e64 s[0:1], s21, v29
	s_nop 1
	v_cndmask_b32_e64 v21, 0, v21, s[0:1]
	v_cmp_gt_i32_e64 s[0:1], s41, v28
	s_nop 1
	v_cndmask_b32_e64 v18, 0, v18, s[0:1]
	v_cmp_gt_i32_e64 s[0:1], s21, v27
	v_perm_b32 v18, v21, v18, s30
	s_nop 0
	v_cndmask_b32_e64 v16, 0, v16, s[0:1]
	v_cmp_gt_i32_e64 s[0:1], s41, v26
	s_nop 1
	v_cndmask_b32_e64 v20, 0, v20, s[0:1]
	v_perm_b32 v16, v16, v20, s30
.LBB253_86:                             ;   in Loop: Header=BB253_51 Depth=1
	s_or_b64 exec, exec, s[12:13]
	v_and_b32_e32 v20, 0xffff, v33
	v_lshl_or_b32 v36, v34, 16, v20
	v_and_b32_e32 v20, 0xffff, v35
	v_lshl_or_b32 v35, v37, 16, v20
	;; [unrolled: 2-line block ×3, first 2 shown]
	v_and_b32_e32 v20, 0xffff, v40
	;;#ASMSTART
	v_pk_mul_f16 v19, v36, v19;

	;;#ASMEND
	;;#ASMSTART
	v_pk_mul_f16 v8, v35, v8;

	;;#ASMEND
	v_lshl_or_b32 v33, v41, 16, v20
	;;#ASMSTART
	v_pk_mul_f16 v18, v34, v18;

	;;#ASMEND
	;;#ASMSTART
	v_pk_mul_f16 v16, v33, v16;

	;;#ASMEND
	;;#ASMSTART
	v_pk_add_f16 v8, v19, v8;

	;;#ASMEND
	s_mov_b64 s[0:1], 0
	;;#ASMSTART
	v_pk_add_f16 v8, v8, v18;

	;;#ASMEND
                                        ; implicit-def: $sgpr18
	s_nop 0
	;;#ASMSTART
	v_pk_add_f16 v8, v8, v16;

	;;#ASMEND
	s_nop 0
	v_lshrrev_b32_e32 v16, 16, v8
	v_and_b32_e32 v8, 0xffff, v8
	;;#ASMSTART
	v_cvt_f32_f16 v37, v8;
	;;#ASMEND
	;;#ASMSTART
	v_cvt_f32_f16 v38, v16;
	;;#ASMEND
	global_load_dwordx2 v[18:19], v[14:15], off offset:512
	global_load_dword v16, v9, s[14:15]
	s_waitcnt vmcnt(1)
	v_cmp_gt_i16_sdwa s[12:13], v18, s23 src0_sel:BYTE_0 src1_sel:DWORD
	s_and_saveexec_b64 s[16:17], s[12:13]
	s_xor_b64 s[12:13], exec, s[16:17]
	s_cbranch_execnz .LBB253_220
; %bb.87:                               ;   in Loop: Header=BB253_51 Depth=1
	s_or_saveexec_b64 s[12:13], s[12:13]
	v_mov_b32_e32 v20, s18
	s_xor_b64 exec, exec, s[12:13]
	s_cbranch_execnz .LBB253_223
.LBB253_88:                             ;   in Loop: Header=BB253_51 Depth=1
	s_or_b64 exec, exec, s[12:13]
	s_and_saveexec_b64 s[12:13], s[0:1]
	s_cbranch_execz .LBB253_90
.LBB253_89:                             ;   in Loop: Header=BB253_51 Depth=1
	v_and_b32_e32 v8, 7, v18
	v_ffbh_u32_e32 v8, v8
	v_bfe_u32 v20, v18, 3, 4
	v_min_u32_e32 v8, 32, v8
	v_subrev_u32_e32 v21, 28, v8
	v_sub_u32_e32 v8, 29, v8
	v_cmp_eq_u32_e64 s[0:1], 0, v20
	s_nop 1
	v_cndmask_b32_e64 v8, v20, v8, s[0:1]
	v_cndmask_b32_e64 v20, 0, v21, s[0:1]
	v_lshlrev_b64 v[20:21], v20, v[18:19]
	v_lshlrev_b32_e32 v21, 8, v18
	v_lshl_add_u32 v8, v8, 10, v25
	v_lshlrev_b32_e32 v20, 7, v20
	v_and_or_b32 v8, v21, s25, v8
	v_and_or_b32 v8, v20, s26, v8
	v_cvt_f32_f16_e32 v20, v8
.LBB253_90:                             ;   in Loop: Header=BB253_51 Depth=1
	s_or_b64 exec, exec, s[12:13]
	v_lshrrev_b16_e32 v8, 8, v18
	v_cmp_lt_i16_e64 s[0:1], s23, v8
	s_mov_b64 s[12:13], 0
                                        ; implicit-def: $sgpr38
	s_and_saveexec_b64 s[16:17], s[0:1]
	s_xor_b64 s[16:17], exec, s[16:17]
	s_cbranch_execnz .LBB253_224
; %bb.91:                               ;   in Loop: Header=BB253_51 Depth=1
	s_or_saveexec_b64 s[16:17], s[16:17]
	v_mov_b32_e32 v22, s38
	s_xor_b64 exec, exec, s[16:17]
	s_cbranch_execnz .LBB253_227
.LBB253_92:                             ;   in Loop: Header=BB253_51 Depth=1
	s_or_b64 exec, exec, s[16:17]
	s_and_saveexec_b64 s[16:17], s[12:13]
	s_cbranch_execz .LBB253_94
.LBB253_93:                             ;   in Loop: Header=BB253_51 Depth=1
	v_and_b32_e32 v21, 7, v8
	v_ffbh_u32_e32 v22, v21
	v_min_u32_e32 v40, 32, v22
	v_subrev_u32_e32 v22, 28, v40
	v_bfe_u32 v39, v8, 3, 4
	v_lshlrev_b64 v[22:23], v22, v[8:9]
	v_sub_u32_e32 v23, 29, v40
	v_cmp_eq_u32_e64 s[0:1], 0, v39
	v_and_b32_e32 v22, 7, v22
	v_lshlrev_b32_e32 v8, 8, v8
	v_cndmask_b32_e64 v23, v39, v23, s[0:1]
	v_cndmask_b32_e64 v21, v21, v22, s[0:1]
	v_lshl_add_u32 v22, v23, 10, v25
	v_and_or_b32 v8, v8, s25, v22
	v_lshl_or_b32 v8, v21, 7, v8
	v_cvt_f32_f16_e32 v22, v8
.LBB253_94:                             ;   in Loop: Header=BB253_51 Depth=1
	s_or_b64 exec, exec, s[16:17]
	v_lshrrev_b32_e32 v8, 16, v18
	v_cmp_gt_i16_sdwa s[12:13], v8, s23 src0_sel:BYTE_0 src1_sel:DWORD
	s_mov_b64 s[0:1], 0
                                        ; implicit-def: $sgpr18
	s_and_saveexec_b64 s[16:17], s[12:13]
	s_xor_b64 s[12:13], exec, s[16:17]
	s_cbranch_execnz .LBB253_228
; %bb.95:                               ;   in Loop: Header=BB253_51 Depth=1
	s_or_saveexec_b64 s[12:13], s[12:13]
	v_mov_b32_e32 v21, s18
	s_xor_b64 exec, exec, s[12:13]
	s_cbranch_execnz .LBB253_231
.LBB253_96:                             ;   in Loop: Header=BB253_51 Depth=1
	s_or_b64 exec, exec, s[12:13]
	s_and_saveexec_b64 s[12:13], s[0:1]
	s_cbranch_execz .LBB253_98
.LBB253_97:                             ;   in Loop: Header=BB253_51 Depth=1
	v_bfe_u32 v21, v18, 16, 3
	v_ffbh_u32_e32 v39, v21
	v_bfe_u32 v23, v18, 19, 4
	v_min_u32_e32 v39, 32, v39
	v_subrev_u32_e32 v40, 28, v39
	v_sub_u32_e32 v39, 29, v39
	v_cmp_eq_u32_e64 s[0:1], 0, v23
	v_lshlrev_b64 v[40:41], v40, v[8:9]
	v_and_b32_e32 v40, 7, v40
	v_cndmask_b32_e64 v23, v23, v39, s[0:1]
	v_lshlrev_b32_e32 v8, 8, v8
	v_lshl_add_u32 v23, v23, 10, v25
	v_cndmask_b32_e64 v21, v21, v40, s[0:1]
	v_and_or_b32 v8, v8, s25, v23
	v_lshl_or_b32 v8, v21, 7, v8
	v_cvt_f32_f16_e32 v21, v8
.LBB253_98:                             ;   in Loop: Header=BB253_51 Depth=1
	s_or_b64 exec, exec, s[12:13]
	v_lshrrev_b32_e32 v8, 24, v18
	v_cmp_lt_i16_e64 s[0:1], s23, v8
	s_mov_b64 s[12:13], 0
                                        ; implicit-def: $sgpr38
	s_and_saveexec_b64 s[16:17], s[0:1]
	s_xor_b64 s[16:17], exec, s[16:17]
	s_cbranch_execnz .LBB253_232
; %bb.99:                               ;   in Loop: Header=BB253_51 Depth=1
	s_or_saveexec_b64 s[16:17], s[16:17]
	v_mov_b32_e32 v23, s38
	s_xor_b64 exec, exec, s[16:17]
	s_cbranch_execnz .LBB253_235
.LBB253_100:                            ;   in Loop: Header=BB253_51 Depth=1
	s_or_b64 exec, exec, s[16:17]
	s_and_saveexec_b64 s[16:17], s[12:13]
	s_cbranch_execz .LBB253_102
.LBB253_101:                            ;   in Loop: Header=BB253_51 Depth=1
	v_bfe_u32 v23, v18, 24, 3
	v_ffbh_u32_e32 v39, v23
	v_bfe_u32 v18, v18, 27, 4
	v_min_u32_e32 v39, 32, v39
	v_subrev_u32_e32 v40, 28, v39
	v_sub_u32_e32 v39, 29, v39
	v_cmp_eq_u32_e64 s[0:1], 0, v18
	v_lshlrev_b64 v[40:41], v40, v[8:9]
	v_and_b32_e32 v40, 7, v40
	v_cndmask_b32_e64 v18, v18, v39, s[0:1]
	v_lshlrev_b32_e32 v8, 8, v8
	v_lshl_add_u32 v18, v18, 10, v25
	v_cndmask_b32_e64 v23, v23, v40, s[0:1]
	v_and_or_b32 v8, v8, s25, v18
	v_lshl_or_b32 v8, v23, 7, v8
	v_cvt_f32_f16_e32 v23, v8
.LBB253_102:                            ;   in Loop: Header=BB253_51 Depth=1
	s_or_b64 exec, exec, s[16:17]
	v_cmp_gt_i16_sdwa s[12:13], v19, s23 src0_sel:BYTE_0 src1_sel:DWORD
	s_mov_b64 s[0:1], 0
                                        ; implicit-def: $sgpr18
	s_and_saveexec_b64 s[16:17], s[12:13]
	s_xor_b64 s[12:13], exec, s[16:17]
	s_cbranch_execnz .LBB253_236
; %bb.103:                              ;   in Loop: Header=BB253_51 Depth=1
	s_or_saveexec_b64 s[12:13], s[12:13]
	v_mov_b32_e32 v18, s18
	s_xor_b64 exec, exec, s[12:13]
	s_cbranch_execnz .LBB253_239
.LBB253_104:                            ;   in Loop: Header=BB253_51 Depth=1
	s_or_b64 exec, exec, s[12:13]
	v_mov_b32_e32 v8, v19
	s_and_saveexec_b64 s[12:13], s[0:1]
	s_cbranch_execz .LBB253_106
.LBB253_105:                            ;   in Loop: Header=BB253_51 Depth=1
	v_and_b32_e32 v18, 7, v19
	v_ffbh_u32_e32 v18, v18
	v_bfe_u32 v39, v19, 3, 4
	v_min_u32_e32 v18, 32, v18
	v_subrev_u32_e32 v40, 28, v18
	v_sub_u32_e32 v18, 29, v18
	v_cmp_eq_u32_e64 s[0:1], 0, v39
	s_nop 1
	v_cndmask_b32_e64 v18, v39, v18, s[0:1]
	v_cndmask_b32_e64 v39, 0, v40, s[0:1]
	v_lshlrev_b64 v[40:41], v39, v[8:9]
	v_lshlrev_b32_e32 v39, 7, v40
	v_lshlrev_b32_e32 v40, 8, v19
	v_lshl_add_u32 v18, v18, 10, v25
	v_and_or_b32 v18, v40, s25, v18
	v_and_or_b32 v18, v39, s26, v18
	v_cvt_f32_f16_e32 v18, v18
.LBB253_106:                            ;   in Loop: Header=BB253_51 Depth=1
	s_or_b64 exec, exec, s[12:13]
	v_lshrrev_b16_e32 v8, 8, v8
	v_cmp_lt_i16_e64 s[0:1], s23, v8
	s_mov_b64 s[12:13], 0
                                        ; implicit-def: $sgpr38
	s_and_saveexec_b64 s[16:17], s[0:1]
	s_xor_b64 s[16:17], exec, s[16:17]
	s_cbranch_execnz .LBB253_240
; %bb.107:                              ;   in Loop: Header=BB253_51 Depth=1
	s_or_saveexec_b64 s[16:17], s[16:17]
	v_mov_b32_e32 v39, s38
	s_xor_b64 exec, exec, s[16:17]
	s_cbranch_execnz .LBB253_243
.LBB253_108:                            ;   in Loop: Header=BB253_51 Depth=1
	s_or_b64 exec, exec, s[16:17]
	s_and_saveexec_b64 s[16:17], s[12:13]
	s_cbranch_execz .LBB253_110
.LBB253_109:                            ;   in Loop: Header=BB253_51 Depth=1
	v_and_b32_e32 v39, 7, v8
	v_ffbh_u32_e32 v40, v39
	v_min_u32_e32 v43, 32, v40
	v_subrev_u32_e32 v40, 28, v43
	v_bfe_u32 v42, v8, 3, 4
	v_lshlrev_b64 v[40:41], v40, v[8:9]
	v_sub_u32_e32 v41, 29, v43
	v_cmp_eq_u32_e64 s[0:1], 0, v42
	v_and_b32_e32 v40, 7, v40
	v_lshlrev_b32_e32 v8, 8, v8
	v_cndmask_b32_e64 v41, v42, v41, s[0:1]
	v_cndmask_b32_e64 v39, v39, v40, s[0:1]
	v_lshl_add_u32 v40, v41, 10, v25
	v_and_or_b32 v8, v8, s25, v40
	v_lshl_or_b32 v8, v39, 7, v8
	v_cvt_f32_f16_e32 v39, v8
.LBB253_110:                            ;   in Loop: Header=BB253_51 Depth=1
	s_or_b64 exec, exec, s[16:17]
	v_lshrrev_b32_e32 v8, 16, v19
	v_cmp_gt_i16_sdwa s[12:13], v8, s23 src0_sel:BYTE_0 src1_sel:DWORD
	s_mov_b64 s[0:1], 0
                                        ; implicit-def: $sgpr18
	s_and_saveexec_b64 s[16:17], s[12:13]
	s_xor_b64 s[12:13], exec, s[16:17]
	s_cbranch_execnz .LBB253_244
; %bb.111:                              ;   in Loop: Header=BB253_51 Depth=1
	s_or_saveexec_b64 s[12:13], s[12:13]
	v_mov_b32_e32 v40, s18
	s_xor_b64 exec, exec, s[12:13]
	s_cbranch_execnz .LBB253_247
.LBB253_112:                            ;   in Loop: Header=BB253_51 Depth=1
	s_or_b64 exec, exec, s[12:13]
	s_and_saveexec_b64 s[12:13], s[0:1]
	s_cbranch_execz .LBB253_114
.LBB253_113:                            ;   in Loop: Header=BB253_51 Depth=1
	v_bfe_u32 v42, v19, 16, 3
	v_ffbh_u32_e32 v40, v42
	v_min_u32_e32 v44, 32, v40
	v_subrev_u32_e32 v40, 28, v44
	v_bfe_u32 v43, v19, 19, 4
	v_lshlrev_b64 v[40:41], v40, v[8:9]
	v_sub_u32_e32 v41, 29, v44
	v_cmp_eq_u32_e64 s[0:1], 0, v43
	v_and_b32_e32 v40, 7, v40
	v_lshlrev_b32_e32 v8, 8, v8
	v_cndmask_b32_e64 v41, v43, v41, s[0:1]
	v_lshl_add_u32 v41, v41, 10, v25
	v_cndmask_b32_e64 v40, v42, v40, s[0:1]
	v_and_or_b32 v8, v8, s25, v41
	v_lshl_or_b32 v8, v40, 7, v8
	v_cvt_f32_f16_e32 v40, v8
.LBB253_114:                            ;   in Loop: Header=BB253_51 Depth=1
	s_or_b64 exec, exec, s[12:13]
	v_lshrrev_b32_e32 v8, 24, v19
	v_cmp_lt_i16_e64 s[0:1], s23, v8
	s_mov_b64 s[12:13], 0
                                        ; implicit-def: $sgpr38
	s_and_saveexec_b64 s[16:17], s[0:1]
	s_xor_b64 s[16:17], exec, s[16:17]
	s_cbranch_execnz .LBB253_248
; %bb.115:                              ;   in Loop: Header=BB253_51 Depth=1
	s_or_saveexec_b64 s[16:17], s[16:17]
	v_mov_b32_e32 v41, s38
	s_xor_b64 exec, exec, s[16:17]
	s_cbranch_execnz .LBB253_251
.LBB253_116:                            ;   in Loop: Header=BB253_51 Depth=1
	s_or_b64 exec, exec, s[16:17]
	s_and_saveexec_b64 s[16:17], s[12:13]
	s_cbranch_execz .LBB253_118
.LBB253_117:                            ;   in Loop: Header=BB253_51 Depth=1
	v_bfe_u32 v41, v19, 24, 3
	v_ffbh_u32_e32 v42, v41
	v_min_u32_e32 v44, 32, v42
	v_subrev_u32_e32 v42, 28, v44
	v_bfe_u32 v19, v19, 27, 4
	v_lshlrev_b64 v[42:43], v42, v[8:9]
	v_sub_u32_e32 v43, 29, v44
	v_cmp_eq_u32_e64 s[0:1], 0, v19
	v_and_b32_e32 v42, 7, v42
	v_lshlrev_b32_e32 v8, 8, v8
	v_cndmask_b32_e64 v19, v19, v43, s[0:1]
	v_lshl_add_u32 v19, v19, 10, v25
	v_cndmask_b32_e64 v41, v41, v42, s[0:1]
	v_and_or_b32 v8, v8, s25, v19
	v_lshl_or_b32 v8, v41, 7, v8
	v_cvt_f32_f16_e32 v41, v8
.LBB253_118:                            ;   in Loop: Header=BB253_51 Depth=1
	s_or_b64 exec, exec, s[16:17]
	s_waitcnt vmcnt(0)
	v_pk_mul_f32 v[22:23], v[16:17], v[22:23] op_sel_hi:[0,1]
	v_pk_mul_f32 v[20:21], v[16:17], v[20:21] op_sel_hi:[0,1]
	v_cvt_f16_f32_e32 v8, v23
	v_cvt_f16_f32_e32 v19, v22
	;; [unrolled: 1-line block ×4, first 2 shown]
	v_fma_mixlo_f16 v18, v16, v18, 0
	v_pack_b32_f16 v19, v19, v8
	v_pack_b32_f16 v20, v20, v21
	v_perm_b32 v8, v20, v19, s27
	v_perm_b32 v19, v20, v19, s29
	v_fma_mixlo_f16 v20, v16, v39, 0
	v_lshlrev_b32_e32 v20, 16, v20
	v_or_b32_sdwa v18, v20, v18 dst_sel:DWORD dst_unused:UNUSED_PAD src0_sel:DWORD src1_sel:WORD_0
	v_fma_mixlo_f16 v20, v16, v40, 0
	v_fma_mixlo_f16 v16, v16, v41, 0
	v_lshlrev_b32_e32 v16, 16, v16
	v_or_b32_sdwa v16, v16, v20 dst_sel:DWORD dst_unused:UNUSED_PAD src0_sel:DWORD src1_sel:WORD_0
	s_and_saveexec_b64 s[12:13], vcc
	s_cbranch_execz .LBB253_120
; %bb.119:                              ;   in Loop: Header=BB253_51 Depth=1
	v_lshrrev_b32_e32 v21, 16, v19
	v_cmp_gt_i32_e64 s[0:1], s21, v32
	v_lshrrev_b32_e32 v16, 16, v16
	s_nop 0
	v_cndmask_b32_e64 v21, 0, v21, s[0:1]
	v_cmp_gt_i32_e64 s[0:1], s41, v1
	s_nop 1
	v_cndmask_b32_e64 v19, 0, v19, s[0:1]
	v_perm_b32 v19, v21, v19, s30
	v_lshrrev_b32_e32 v21, 16, v8
	v_cmp_gt_i32_e64 s[0:1], s21, v31
	s_nop 1
	v_cndmask_b32_e64 v21, 0, v21, s[0:1]
	v_cmp_gt_i32_e64 s[0:1], s41, v30
	s_nop 1
	v_cndmask_b32_e64 v8, 0, v8, s[0:1]
	v_perm_b32 v8, v21, v8, s30
	v_lshrrev_b32_e32 v21, 16, v18
	v_cmp_gt_i32_e64 s[0:1], s21, v29
	s_nop 1
	v_cndmask_b32_e64 v21, 0, v21, s[0:1]
	v_cmp_gt_i32_e64 s[0:1], s41, v28
	s_nop 1
	v_cndmask_b32_e64 v18, 0, v18, s[0:1]
	v_cmp_gt_i32_e64 s[0:1], s21, v27
	v_perm_b32 v18, v21, v18, s30
	s_nop 0
	v_cndmask_b32_e64 v16, 0, v16, s[0:1]
	v_cmp_gt_i32_e64 s[0:1], s41, v26
	s_nop 1
	v_cndmask_b32_e64 v20, 0, v20, s[0:1]
	v_perm_b32 v16, v16, v20, s30
.LBB253_120:                            ;   in Loop: Header=BB253_51 Depth=1
	s_or_b64 exec, exec, s[12:13]
	;;#ASMSTART
	v_pk_mul_f16 v19, v36, v19;

	;;#ASMEND
	;;#ASMSTART
	v_pk_mul_f16 v8, v35, v8;

	;;#ASMEND
	;;#ASMSTART
	v_pk_mul_f16 v18, v34, v18;

	;;#ASMEND
	;;#ASMSTART
	v_pk_mul_f16 v16, v33, v16;

	;;#ASMEND
	s_mov_b64 s[0:1], 0
	;;#ASMSTART
	v_pk_add_f16 v8, v19, v8;

	;;#ASMEND
                                        ; implicit-def: $sgpr18
	s_nop 0
	;;#ASMSTART
	v_pk_add_f16 v8, v8, v18;

	;;#ASMEND
	s_nop 0
	;;#ASMSTART
	v_pk_add_f16 v8, v8, v16;

	;;#ASMEND
	s_nop 0
	v_lshrrev_b32_e32 v16, 16, v8
	v_and_b32_e32 v8, 0xffff, v8
	;;#ASMSTART
	v_cvt_f32_f16 v39, v8;
	;;#ASMEND
	;;#ASMSTART
	v_cvt_f32_f16 v40, v16;
	;;#ASMEND
	global_load_dwordx2 v[18:19], v[14:15], off offset:1024
	global_load_dword v16, v9, s[14:15]
	s_waitcnt vmcnt(1)
	v_cmp_gt_i16_sdwa s[12:13], v18, s23 src0_sel:BYTE_0 src1_sel:DWORD
	s_and_saveexec_b64 s[16:17], s[12:13]
	s_xor_b64 s[12:13], exec, s[16:17]
	s_cbranch_execnz .LBB253_252
; %bb.121:                              ;   in Loop: Header=BB253_51 Depth=1
	s_or_saveexec_b64 s[12:13], s[12:13]
	v_mov_b32_e32 v20, s18
	s_xor_b64 exec, exec, s[12:13]
	s_cbranch_execnz .LBB253_255
.LBB253_122:                            ;   in Loop: Header=BB253_51 Depth=1
	s_or_b64 exec, exec, s[12:13]
	s_and_saveexec_b64 s[12:13], s[0:1]
	s_cbranch_execz .LBB253_124
.LBB253_123:                            ;   in Loop: Header=BB253_51 Depth=1
	v_and_b32_e32 v8, 7, v18
	v_ffbh_u32_e32 v8, v8
	v_bfe_u32 v20, v18, 3, 4
	v_min_u32_e32 v8, 32, v8
	v_subrev_u32_e32 v21, 28, v8
	v_sub_u32_e32 v8, 29, v8
	v_cmp_eq_u32_e64 s[0:1], 0, v20
	s_nop 1
	v_cndmask_b32_e64 v8, v20, v8, s[0:1]
	v_cndmask_b32_e64 v20, 0, v21, s[0:1]
	v_lshlrev_b64 v[20:21], v20, v[18:19]
	v_lshlrev_b32_e32 v21, 8, v18
	v_lshl_add_u32 v8, v8, 10, v25
	v_lshlrev_b32_e32 v20, 7, v20
	v_and_or_b32 v8, v21, s25, v8
	v_and_or_b32 v8, v20, s26, v8
	v_cvt_f32_f16_e32 v20, v8
.LBB253_124:                            ;   in Loop: Header=BB253_51 Depth=1
	s_or_b64 exec, exec, s[12:13]
	v_lshrrev_b16_e32 v8, 8, v18
	v_cmp_lt_i16_e64 s[0:1], s23, v8
	s_mov_b64 s[12:13], 0
                                        ; implicit-def: $sgpr38
	s_and_saveexec_b64 s[16:17], s[0:1]
	s_xor_b64 s[16:17], exec, s[16:17]
	s_cbranch_execnz .LBB253_256
; %bb.125:                              ;   in Loop: Header=BB253_51 Depth=1
	s_or_saveexec_b64 s[16:17], s[16:17]
	v_mov_b32_e32 v22, s38
	s_xor_b64 exec, exec, s[16:17]
	s_cbranch_execnz .LBB253_259
.LBB253_126:                            ;   in Loop: Header=BB253_51 Depth=1
	s_or_b64 exec, exec, s[16:17]
	s_and_saveexec_b64 s[16:17], s[12:13]
	s_cbranch_execz .LBB253_128
.LBB253_127:                            ;   in Loop: Header=BB253_51 Depth=1
	v_and_b32_e32 v21, 7, v8
	v_ffbh_u32_e32 v22, v21
	v_min_u32_e32 v42, 32, v22
	v_subrev_u32_e32 v22, 28, v42
	v_bfe_u32 v41, v8, 3, 4
	v_lshlrev_b64 v[22:23], v22, v[8:9]
	v_sub_u32_e32 v23, 29, v42
	v_cmp_eq_u32_e64 s[0:1], 0, v41
	v_and_b32_e32 v22, 7, v22
	v_lshlrev_b32_e32 v8, 8, v8
	v_cndmask_b32_e64 v23, v41, v23, s[0:1]
	v_cndmask_b32_e64 v21, v21, v22, s[0:1]
	v_lshl_add_u32 v22, v23, 10, v25
	v_and_or_b32 v8, v8, s25, v22
	v_lshl_or_b32 v8, v21, 7, v8
	v_cvt_f32_f16_e32 v22, v8
.LBB253_128:                            ;   in Loop: Header=BB253_51 Depth=1
	s_or_b64 exec, exec, s[16:17]
	v_lshrrev_b32_e32 v8, 16, v18
	v_cmp_gt_i16_sdwa s[12:13], v8, s23 src0_sel:BYTE_0 src1_sel:DWORD
	s_mov_b64 s[0:1], 0
                                        ; implicit-def: $sgpr18
	s_and_saveexec_b64 s[16:17], s[12:13]
	s_xor_b64 s[12:13], exec, s[16:17]
	s_cbranch_execnz .LBB253_260
; %bb.129:                              ;   in Loop: Header=BB253_51 Depth=1
	s_or_saveexec_b64 s[12:13], s[12:13]
	v_mov_b32_e32 v21, s18
	s_xor_b64 exec, exec, s[12:13]
	s_cbranch_execnz .LBB253_263
.LBB253_130:                            ;   in Loop: Header=BB253_51 Depth=1
	s_or_b64 exec, exec, s[12:13]
	s_and_saveexec_b64 s[12:13], s[0:1]
	s_cbranch_execz .LBB253_132
.LBB253_131:                            ;   in Loop: Header=BB253_51 Depth=1
	v_bfe_u32 v21, v18, 16, 3
	v_ffbh_u32_e32 v41, v21
	v_bfe_u32 v23, v18, 19, 4
	v_min_u32_e32 v41, 32, v41
	v_subrev_u32_e32 v42, 28, v41
	v_sub_u32_e32 v41, 29, v41
	v_cmp_eq_u32_e64 s[0:1], 0, v23
	v_lshlrev_b64 v[42:43], v42, v[8:9]
	v_and_b32_e32 v42, 7, v42
	v_cndmask_b32_e64 v23, v23, v41, s[0:1]
	v_lshlrev_b32_e32 v8, 8, v8
	v_lshl_add_u32 v23, v23, 10, v25
	v_cndmask_b32_e64 v21, v21, v42, s[0:1]
	v_and_or_b32 v8, v8, s25, v23
	v_lshl_or_b32 v8, v21, 7, v8
	v_cvt_f32_f16_e32 v21, v8
.LBB253_132:                            ;   in Loop: Header=BB253_51 Depth=1
	s_or_b64 exec, exec, s[12:13]
	v_lshrrev_b32_e32 v8, 24, v18
	v_cmp_lt_i16_e64 s[0:1], s23, v8
	s_mov_b64 s[12:13], 0
                                        ; implicit-def: $sgpr38
	s_and_saveexec_b64 s[16:17], s[0:1]
	s_xor_b64 s[16:17], exec, s[16:17]
	s_cbranch_execnz .LBB253_264
; %bb.133:                              ;   in Loop: Header=BB253_51 Depth=1
	s_or_saveexec_b64 s[16:17], s[16:17]
	v_mov_b32_e32 v23, s38
	s_xor_b64 exec, exec, s[16:17]
	s_cbranch_execnz .LBB253_267
.LBB253_134:                            ;   in Loop: Header=BB253_51 Depth=1
	s_or_b64 exec, exec, s[16:17]
	s_and_saveexec_b64 s[16:17], s[12:13]
	s_cbranch_execz .LBB253_136
.LBB253_135:                            ;   in Loop: Header=BB253_51 Depth=1
	v_bfe_u32 v23, v18, 24, 3
	v_ffbh_u32_e32 v41, v23
	v_bfe_u32 v18, v18, 27, 4
	v_min_u32_e32 v41, 32, v41
	v_subrev_u32_e32 v42, 28, v41
	v_sub_u32_e32 v41, 29, v41
	v_cmp_eq_u32_e64 s[0:1], 0, v18
	v_lshlrev_b64 v[42:43], v42, v[8:9]
	v_and_b32_e32 v42, 7, v42
	v_cndmask_b32_e64 v18, v18, v41, s[0:1]
	v_lshlrev_b32_e32 v8, 8, v8
	v_lshl_add_u32 v18, v18, 10, v25
	v_cndmask_b32_e64 v23, v23, v42, s[0:1]
	v_and_or_b32 v8, v8, s25, v18
	v_lshl_or_b32 v8, v23, 7, v8
	v_cvt_f32_f16_e32 v23, v8
.LBB253_136:                            ;   in Loop: Header=BB253_51 Depth=1
	s_or_b64 exec, exec, s[16:17]
	v_cmp_gt_i16_sdwa s[12:13], v19, s23 src0_sel:BYTE_0 src1_sel:DWORD
	s_mov_b64 s[0:1], 0
                                        ; implicit-def: $sgpr18
	s_and_saveexec_b64 s[16:17], s[12:13]
	s_xor_b64 s[12:13], exec, s[16:17]
	s_cbranch_execnz .LBB253_268
; %bb.137:                              ;   in Loop: Header=BB253_51 Depth=1
	s_or_saveexec_b64 s[12:13], s[12:13]
	v_mov_b32_e32 v18, s18
	s_xor_b64 exec, exec, s[12:13]
	s_cbranch_execnz .LBB253_271
.LBB253_138:                            ;   in Loop: Header=BB253_51 Depth=1
	s_or_b64 exec, exec, s[12:13]
	v_mov_b32_e32 v8, v19
	s_and_saveexec_b64 s[12:13], s[0:1]
	s_cbranch_execz .LBB253_140
.LBB253_139:                            ;   in Loop: Header=BB253_51 Depth=1
	v_and_b32_e32 v18, 7, v19
	v_ffbh_u32_e32 v18, v18
	v_bfe_u32 v41, v19, 3, 4
	v_min_u32_e32 v18, 32, v18
	v_subrev_u32_e32 v42, 28, v18
	v_sub_u32_e32 v18, 29, v18
	v_cmp_eq_u32_e64 s[0:1], 0, v41
	s_nop 1
	v_cndmask_b32_e64 v18, v41, v18, s[0:1]
	v_cndmask_b32_e64 v41, 0, v42, s[0:1]
	v_lshlrev_b64 v[42:43], v41, v[8:9]
	v_lshlrev_b32_e32 v41, 7, v42
	v_lshlrev_b32_e32 v42, 8, v19
	v_lshl_add_u32 v18, v18, 10, v25
	v_and_or_b32 v18, v42, s25, v18
	v_and_or_b32 v18, v41, s26, v18
	v_cvt_f32_f16_e32 v18, v18
.LBB253_140:                            ;   in Loop: Header=BB253_51 Depth=1
	s_or_b64 exec, exec, s[12:13]
	v_lshrrev_b16_e32 v8, 8, v8
	v_cmp_lt_i16_e64 s[0:1], s23, v8
	s_mov_b64 s[12:13], 0
                                        ; implicit-def: $sgpr38
	s_and_saveexec_b64 s[16:17], s[0:1]
	s_xor_b64 s[16:17], exec, s[16:17]
	s_cbranch_execnz .LBB253_272
; %bb.141:                              ;   in Loop: Header=BB253_51 Depth=1
	s_or_saveexec_b64 s[16:17], s[16:17]
	v_mov_b32_e32 v41, s38
	s_xor_b64 exec, exec, s[16:17]
	s_cbranch_execnz .LBB253_275
.LBB253_142:                            ;   in Loop: Header=BB253_51 Depth=1
	s_or_b64 exec, exec, s[16:17]
	s_and_saveexec_b64 s[16:17], s[12:13]
	s_cbranch_execz .LBB253_144
.LBB253_143:                            ;   in Loop: Header=BB253_51 Depth=1
	v_and_b32_e32 v41, 7, v8
	v_ffbh_u32_e32 v42, v41
	v_min_u32_e32 v45, 32, v42
	v_subrev_u32_e32 v42, 28, v45
	v_bfe_u32 v44, v8, 3, 4
	v_lshlrev_b64 v[42:43], v42, v[8:9]
	v_sub_u32_e32 v43, 29, v45
	v_cmp_eq_u32_e64 s[0:1], 0, v44
	v_and_b32_e32 v42, 7, v42
	v_lshlrev_b32_e32 v8, 8, v8
	v_cndmask_b32_e64 v43, v44, v43, s[0:1]
	v_cndmask_b32_e64 v41, v41, v42, s[0:1]
	v_lshl_add_u32 v42, v43, 10, v25
	v_and_or_b32 v8, v8, s25, v42
	v_lshl_or_b32 v8, v41, 7, v8
	v_cvt_f32_f16_e32 v41, v8
.LBB253_144:                            ;   in Loop: Header=BB253_51 Depth=1
	s_or_b64 exec, exec, s[16:17]
	v_lshrrev_b32_e32 v8, 16, v19
	v_cmp_gt_i16_sdwa s[12:13], v8, s23 src0_sel:BYTE_0 src1_sel:DWORD
	s_mov_b64 s[0:1], 0
                                        ; implicit-def: $sgpr18
	s_and_saveexec_b64 s[16:17], s[12:13]
	s_xor_b64 s[12:13], exec, s[16:17]
	s_cbranch_execnz .LBB253_276
; %bb.145:                              ;   in Loop: Header=BB253_51 Depth=1
	s_or_saveexec_b64 s[12:13], s[12:13]
	v_mov_b32_e32 v42, s18
	s_xor_b64 exec, exec, s[12:13]
	s_cbranch_execnz .LBB253_279
.LBB253_146:                            ;   in Loop: Header=BB253_51 Depth=1
	s_or_b64 exec, exec, s[12:13]
	s_and_saveexec_b64 s[12:13], s[0:1]
	s_cbranch_execz .LBB253_148
.LBB253_147:                            ;   in Loop: Header=BB253_51 Depth=1
	v_bfe_u32 v44, v19, 16, 3
	v_ffbh_u32_e32 v42, v44
	v_min_u32_e32 v46, 32, v42
	v_subrev_u32_e32 v42, 28, v46
	v_bfe_u32 v45, v19, 19, 4
	v_lshlrev_b64 v[42:43], v42, v[8:9]
	v_sub_u32_e32 v43, 29, v46
	v_cmp_eq_u32_e64 s[0:1], 0, v45
	v_and_b32_e32 v42, 7, v42
	v_lshlrev_b32_e32 v8, 8, v8
	v_cndmask_b32_e64 v43, v45, v43, s[0:1]
	v_lshl_add_u32 v43, v43, 10, v25
	v_cndmask_b32_e64 v42, v44, v42, s[0:1]
	v_and_or_b32 v8, v8, s25, v43
	v_lshl_or_b32 v8, v42, 7, v8
	v_cvt_f32_f16_e32 v42, v8
.LBB253_148:                            ;   in Loop: Header=BB253_51 Depth=1
	s_or_b64 exec, exec, s[12:13]
	v_lshrrev_b32_e32 v8, 24, v19
	v_cmp_lt_i16_e64 s[0:1], s23, v8
	s_mov_b64 s[12:13], 0
                                        ; implicit-def: $sgpr38
	s_and_saveexec_b64 s[16:17], s[0:1]
	s_xor_b64 s[16:17], exec, s[16:17]
	s_cbranch_execnz .LBB253_280
; %bb.149:                              ;   in Loop: Header=BB253_51 Depth=1
	s_or_saveexec_b64 s[16:17], s[16:17]
	v_mov_b32_e32 v43, s38
	s_xor_b64 exec, exec, s[16:17]
	s_cbranch_execnz .LBB253_283
.LBB253_150:                            ;   in Loop: Header=BB253_51 Depth=1
	s_or_b64 exec, exec, s[16:17]
	s_and_saveexec_b64 s[16:17], s[12:13]
	s_cbranch_execz .LBB253_152
.LBB253_151:                            ;   in Loop: Header=BB253_51 Depth=1
	v_bfe_u32 v43, v19, 24, 3
	v_ffbh_u32_e32 v44, v43
	v_min_u32_e32 v46, 32, v44
	v_subrev_u32_e32 v44, 28, v46
	v_bfe_u32 v19, v19, 27, 4
	v_lshlrev_b64 v[44:45], v44, v[8:9]
	v_sub_u32_e32 v45, 29, v46
	v_cmp_eq_u32_e64 s[0:1], 0, v19
	v_and_b32_e32 v44, 7, v44
	v_lshlrev_b32_e32 v8, 8, v8
	v_cndmask_b32_e64 v19, v19, v45, s[0:1]
	v_lshl_add_u32 v19, v19, 10, v25
	v_cndmask_b32_e64 v43, v43, v44, s[0:1]
	v_and_or_b32 v8, v8, s25, v19
	v_lshl_or_b32 v8, v43, 7, v8
	v_cvt_f32_f16_e32 v43, v8
.LBB253_152:                            ;   in Loop: Header=BB253_51 Depth=1
	s_or_b64 exec, exec, s[16:17]
	s_waitcnt vmcnt(0)
	v_pk_mul_f32 v[22:23], v[16:17], v[22:23] op_sel_hi:[0,1]
	v_pk_mul_f32 v[20:21], v[16:17], v[20:21] op_sel_hi:[0,1]
	v_cvt_f16_f32_e32 v8, v23
	v_cvt_f16_f32_e32 v19, v22
	;; [unrolled: 1-line block ×4, first 2 shown]
	v_fma_mixlo_f16 v18, v16, v18, 0
	v_pack_b32_f16 v19, v19, v8
	v_pack_b32_f16 v20, v20, v21
	v_perm_b32 v8, v20, v19, s27
	v_perm_b32 v19, v20, v19, s29
	v_fma_mixlo_f16 v20, v16, v41, 0
	v_lshlrev_b32_e32 v20, 16, v20
	v_or_b32_sdwa v18, v20, v18 dst_sel:DWORD dst_unused:UNUSED_PAD src0_sel:DWORD src1_sel:WORD_0
	v_fma_mixlo_f16 v20, v16, v42, 0
	v_fma_mixlo_f16 v16, v16, v43, 0
	v_lshlrev_b32_e32 v16, 16, v16
	v_or_b32_sdwa v16, v16, v20 dst_sel:DWORD dst_unused:UNUSED_PAD src0_sel:DWORD src1_sel:WORD_0
	s_and_saveexec_b64 s[12:13], vcc
	s_cbranch_execz .LBB253_154
; %bb.153:                              ;   in Loop: Header=BB253_51 Depth=1
	v_lshrrev_b32_e32 v21, 16, v19
	v_cmp_gt_i32_e64 s[0:1], s21, v32
	v_lshrrev_b32_e32 v16, 16, v16
	s_nop 0
	v_cndmask_b32_e64 v21, 0, v21, s[0:1]
	v_cmp_gt_i32_e64 s[0:1], s41, v1
	s_nop 1
	v_cndmask_b32_e64 v19, 0, v19, s[0:1]
	v_perm_b32 v19, v21, v19, s30
	v_lshrrev_b32_e32 v21, 16, v8
	v_cmp_gt_i32_e64 s[0:1], s21, v31
	s_nop 1
	v_cndmask_b32_e64 v21, 0, v21, s[0:1]
	v_cmp_gt_i32_e64 s[0:1], s41, v30
	s_nop 1
	v_cndmask_b32_e64 v8, 0, v8, s[0:1]
	v_perm_b32 v8, v21, v8, s30
	v_lshrrev_b32_e32 v21, 16, v18
	v_cmp_gt_i32_e64 s[0:1], s21, v29
	s_nop 1
	v_cndmask_b32_e64 v21, 0, v21, s[0:1]
	v_cmp_gt_i32_e64 s[0:1], s41, v28
	s_nop 1
	v_cndmask_b32_e64 v18, 0, v18, s[0:1]
	v_cmp_gt_i32_e64 s[0:1], s21, v27
	v_perm_b32 v18, v21, v18, s30
	s_nop 0
	v_cndmask_b32_e64 v16, 0, v16, s[0:1]
	v_cmp_gt_i32_e64 s[0:1], s41, v26
	s_nop 1
	v_cndmask_b32_e64 v20, 0, v20, s[0:1]
	v_perm_b32 v16, v16, v20, s30
.LBB253_154:                            ;   in Loop: Header=BB253_51 Depth=1
	s_or_b64 exec, exec, s[12:13]
	;;#ASMSTART
	v_pk_mul_f16 v19, v36, v19;

	;;#ASMEND
	;;#ASMSTART
	v_pk_mul_f16 v8, v35, v8;

	;;#ASMEND
	;; [unrolled: 4-line block ×4, first 2 shown]
	s_mov_b64 s[0:1], 0
	;;#ASMSTART
	v_pk_add_f16 v8, v19, v8;

	;;#ASMEND
                                        ; implicit-def: $sgpr18
	s_nop 0
	;;#ASMSTART
	v_pk_add_f16 v8, v8, v18;

	;;#ASMEND
	s_nop 0
	;;#ASMSTART
	v_pk_add_f16 v8, v8, v16;

	;;#ASMEND
	s_nop 0
	v_lshrrev_b32_e32 v16, 16, v8
	v_and_b32_e32 v8, 0xffff, v8
	;;#ASMSTART
	v_cvt_f32_f16 v22, v8;
	;;#ASMEND
	;;#ASMSTART
	v_cvt_f32_f16 v23, v16;
	;;#ASMEND
	global_load_dwordx2 v[18:19], v[14:15], off offset:1536
	global_load_dword v16, v9, s[14:15]
	s_waitcnt vmcnt(1)
	v_cmp_gt_i16_sdwa s[12:13], v18, s23 src0_sel:BYTE_0 src1_sel:DWORD
	s_and_saveexec_b64 s[16:17], s[12:13]
	s_xor_b64 s[12:13], exec, s[16:17]
	s_cbranch_execnz .LBB253_284
; %bb.155:                              ;   in Loop: Header=BB253_51 Depth=1
	s_or_saveexec_b64 s[12:13], s[12:13]
	v_mov_b32_e32 v14, s18
	s_xor_b64 exec, exec, s[12:13]
	s_cbranch_execnz .LBB253_287
.LBB253_156:                            ;   in Loop: Header=BB253_51 Depth=1
	s_or_b64 exec, exec, s[12:13]
	s_and_saveexec_b64 s[12:13], s[0:1]
	s_cbranch_execz .LBB253_158
.LBB253_157:                            ;   in Loop: Header=BB253_51 Depth=1
	v_and_b32_e32 v8, 7, v18
	v_ffbh_u32_e32 v8, v8
	v_bfe_u32 v14, v18, 3, 4
	v_min_u32_e32 v8, 32, v8
	v_subrev_u32_e32 v15, 28, v8
	v_sub_u32_e32 v8, 29, v8
	v_cmp_eq_u32_e64 s[0:1], 0, v14
	s_nop 1
	v_cndmask_b32_e64 v8, v14, v8, s[0:1]
	v_cndmask_b32_e64 v14, 0, v15, s[0:1]
	v_lshlrev_b64 v[14:15], v14, v[18:19]
	v_lshlrev_b32_e32 v15, 8, v18
	v_lshl_add_u32 v8, v8, 10, v25
	v_lshlrev_b32_e32 v14, 7, v14
	v_and_or_b32 v8, v15, s25, v8
	v_and_or_b32 v8, v14, s26, v8
	v_cvt_f32_f16_e32 v14, v8
.LBB253_158:                            ;   in Loop: Header=BB253_51 Depth=1
	s_or_b64 exec, exec, s[12:13]
	v_lshrrev_b16_e32 v8, 8, v18
	v_cmp_lt_i16_e64 s[0:1], s23, v8
	s_mov_b64 s[12:13], 0
                                        ; implicit-def: $sgpr38
	s_and_saveexec_b64 s[16:17], s[0:1]
	s_xor_b64 s[16:17], exec, s[16:17]
	s_cbranch_execnz .LBB253_288
; %bb.159:                              ;   in Loop: Header=BB253_51 Depth=1
	s_or_saveexec_b64 s[16:17], s[16:17]
	v_mov_b32_e32 v20, s38
	s_xor_b64 exec, exec, s[16:17]
	s_cbranch_execnz .LBB253_291
.LBB253_160:                            ;   in Loop: Header=BB253_51 Depth=1
	s_or_b64 exec, exec, s[16:17]
	s_and_saveexec_b64 s[16:17], s[12:13]
	s_cbranch_execz .LBB253_162
.LBB253_161:                            ;   in Loop: Header=BB253_51 Depth=1
	v_and_b32_e32 v15, 7, v8
	v_ffbh_u32_e32 v20, v15
	v_min_u32_e32 v42, 32, v20
	v_subrev_u32_e32 v20, 28, v42
	v_bfe_u32 v41, v8, 3, 4
	v_lshlrev_b64 v[20:21], v20, v[8:9]
	v_sub_u32_e32 v21, 29, v42
	v_cmp_eq_u32_e64 s[0:1], 0, v41
	v_and_b32_e32 v20, 7, v20
	v_lshlrev_b32_e32 v8, 8, v8
	v_cndmask_b32_e64 v21, v41, v21, s[0:1]
	v_cndmask_b32_e64 v15, v15, v20, s[0:1]
	v_lshl_add_u32 v20, v21, 10, v25
	v_and_or_b32 v8, v8, s25, v20
	v_lshl_or_b32 v8, v15, 7, v8
	v_cvt_f32_f16_e32 v20, v8
.LBB253_162:                            ;   in Loop: Header=BB253_51 Depth=1
	s_or_b64 exec, exec, s[16:17]
	v_lshrrev_b32_e32 v8, 16, v18
	v_cmp_gt_i16_sdwa s[12:13], v8, s23 src0_sel:BYTE_0 src1_sel:DWORD
	s_mov_b64 s[0:1], 0
                                        ; implicit-def: $sgpr18
	s_and_saveexec_b64 s[16:17], s[12:13]
	s_xor_b64 s[12:13], exec, s[16:17]
	s_cbranch_execnz .LBB253_292
; %bb.163:                              ;   in Loop: Header=BB253_51 Depth=1
	s_or_saveexec_b64 s[12:13], s[12:13]
	v_mov_b32_e32 v15, s18
	s_xor_b64 exec, exec, s[12:13]
	s_cbranch_execnz .LBB253_295
.LBB253_164:                            ;   in Loop: Header=BB253_51 Depth=1
	s_or_b64 exec, exec, s[12:13]
	s_and_saveexec_b64 s[12:13], s[0:1]
	s_cbranch_execz .LBB253_166
.LBB253_165:                            ;   in Loop: Header=BB253_51 Depth=1
	v_bfe_u32 v15, v18, 16, 3
	v_ffbh_u32_e32 v41, v15
	v_bfe_u32 v21, v18, 19, 4
	v_min_u32_e32 v41, 32, v41
	v_subrev_u32_e32 v42, 28, v41
	v_sub_u32_e32 v41, 29, v41
	v_cmp_eq_u32_e64 s[0:1], 0, v21
	v_lshlrev_b64 v[42:43], v42, v[8:9]
	v_and_b32_e32 v42, 7, v42
	v_cndmask_b32_e64 v21, v21, v41, s[0:1]
	v_lshlrev_b32_e32 v8, 8, v8
	v_lshl_add_u32 v21, v21, 10, v25
	v_cndmask_b32_e64 v15, v15, v42, s[0:1]
	v_and_or_b32 v8, v8, s25, v21
	v_lshl_or_b32 v8, v15, 7, v8
	v_cvt_f32_f16_e32 v15, v8
.LBB253_166:                            ;   in Loop: Header=BB253_51 Depth=1
	s_or_b64 exec, exec, s[12:13]
	v_lshrrev_b32_e32 v8, 24, v18
	v_cmp_lt_i16_e64 s[0:1], s23, v8
	s_mov_b64 s[12:13], 0
                                        ; implicit-def: $sgpr38
	s_and_saveexec_b64 s[16:17], s[0:1]
	s_xor_b64 s[16:17], exec, s[16:17]
	s_cbranch_execnz .LBB253_296
; %bb.167:                              ;   in Loop: Header=BB253_51 Depth=1
	s_or_saveexec_b64 s[16:17], s[16:17]
	v_mov_b32_e32 v21, s38
	s_xor_b64 exec, exec, s[16:17]
	s_cbranch_execnz .LBB253_299
.LBB253_168:                            ;   in Loop: Header=BB253_51 Depth=1
	s_or_b64 exec, exec, s[16:17]
	s_and_saveexec_b64 s[16:17], s[12:13]
	s_cbranch_execz .LBB253_170
.LBB253_169:                            ;   in Loop: Header=BB253_51 Depth=1
	v_bfe_u32 v21, v18, 24, 3
	v_ffbh_u32_e32 v41, v21
	v_bfe_u32 v18, v18, 27, 4
	v_min_u32_e32 v41, 32, v41
	v_subrev_u32_e32 v42, 28, v41
	v_sub_u32_e32 v41, 29, v41
	v_cmp_eq_u32_e64 s[0:1], 0, v18
	v_lshlrev_b64 v[42:43], v42, v[8:9]
	v_and_b32_e32 v42, 7, v42
	v_cndmask_b32_e64 v18, v18, v41, s[0:1]
	v_lshlrev_b32_e32 v8, 8, v8
	v_lshl_add_u32 v18, v18, 10, v25
	v_cndmask_b32_e64 v21, v21, v42, s[0:1]
	v_and_or_b32 v8, v8, s25, v18
	v_lshl_or_b32 v8, v21, 7, v8
	v_cvt_f32_f16_e32 v21, v8
.LBB253_170:                            ;   in Loop: Header=BB253_51 Depth=1
	s_or_b64 exec, exec, s[16:17]
	v_cmp_gt_i16_sdwa s[12:13], v19, s23 src0_sel:BYTE_0 src1_sel:DWORD
	s_mov_b64 s[0:1], 0
                                        ; implicit-def: $sgpr18
	s_and_saveexec_b64 s[16:17], s[12:13]
	s_xor_b64 s[12:13], exec, s[16:17]
	s_cbranch_execnz .LBB253_300
; %bb.171:                              ;   in Loop: Header=BB253_51 Depth=1
	s_or_saveexec_b64 s[12:13], s[12:13]
	v_mov_b32_e32 v18, s18
	s_xor_b64 exec, exec, s[12:13]
	s_cbranch_execnz .LBB253_303
.LBB253_172:                            ;   in Loop: Header=BB253_51 Depth=1
	s_or_b64 exec, exec, s[12:13]
	v_mov_b32_e32 v8, v19
	s_and_saveexec_b64 s[12:13], s[0:1]
	s_cbranch_execz .LBB253_174
.LBB253_173:                            ;   in Loop: Header=BB253_51 Depth=1
	v_and_b32_e32 v18, 7, v19
	v_ffbh_u32_e32 v18, v18
	v_bfe_u32 v41, v19, 3, 4
	v_min_u32_e32 v18, 32, v18
	v_subrev_u32_e32 v42, 28, v18
	v_sub_u32_e32 v18, 29, v18
	v_cmp_eq_u32_e64 s[0:1], 0, v41
	s_nop 1
	v_cndmask_b32_e64 v18, v41, v18, s[0:1]
	v_cndmask_b32_e64 v41, 0, v42, s[0:1]
	v_lshlrev_b64 v[42:43], v41, v[8:9]
	v_lshlrev_b32_e32 v41, 7, v42
	v_lshlrev_b32_e32 v42, 8, v19
	v_lshl_add_u32 v18, v18, 10, v25
	v_and_or_b32 v18, v42, s25, v18
	v_and_or_b32 v18, v41, s26, v18
	v_cvt_f32_f16_e32 v18, v18
.LBB253_174:                            ;   in Loop: Header=BB253_51 Depth=1
	s_or_b64 exec, exec, s[12:13]
	v_lshrrev_b16_e32 v8, 8, v8
	v_cmp_lt_i16_e64 s[0:1], s23, v8
	s_mov_b64 s[12:13], 0
                                        ; implicit-def: $sgpr38
	s_and_saveexec_b64 s[16:17], s[0:1]
	s_xor_b64 s[16:17], exec, s[16:17]
	s_cbranch_execnz .LBB253_304
; %bb.175:                              ;   in Loop: Header=BB253_51 Depth=1
	s_or_saveexec_b64 s[16:17], s[16:17]
	v_mov_b32_e32 v41, s38
	s_xor_b64 exec, exec, s[16:17]
	s_cbranch_execnz .LBB253_307
.LBB253_176:                            ;   in Loop: Header=BB253_51 Depth=1
	s_or_b64 exec, exec, s[16:17]
	s_and_saveexec_b64 s[16:17], s[12:13]
	s_cbranch_execz .LBB253_178
.LBB253_177:                            ;   in Loop: Header=BB253_51 Depth=1
	v_and_b32_e32 v41, 7, v8
	v_ffbh_u32_e32 v42, v41
	v_min_u32_e32 v45, 32, v42
	v_subrev_u32_e32 v42, 28, v45
	v_bfe_u32 v44, v8, 3, 4
	v_lshlrev_b64 v[42:43], v42, v[8:9]
	v_sub_u32_e32 v43, 29, v45
	v_cmp_eq_u32_e64 s[0:1], 0, v44
	v_and_b32_e32 v42, 7, v42
	v_lshlrev_b32_e32 v8, 8, v8
	v_cndmask_b32_e64 v43, v44, v43, s[0:1]
	v_cndmask_b32_e64 v41, v41, v42, s[0:1]
	v_lshl_add_u32 v42, v43, 10, v25
	v_and_or_b32 v8, v8, s25, v42
	v_lshl_or_b32 v8, v41, 7, v8
	v_cvt_f32_f16_e32 v41, v8
.LBB253_178:                            ;   in Loop: Header=BB253_51 Depth=1
	s_or_b64 exec, exec, s[16:17]
	v_lshrrev_b32_e32 v8, 16, v19
	v_cmp_gt_i16_sdwa s[12:13], v8, s23 src0_sel:BYTE_0 src1_sel:DWORD
	s_mov_b64 s[0:1], 0
                                        ; implicit-def: $sgpr18
	s_and_saveexec_b64 s[16:17], s[12:13]
	s_xor_b64 s[12:13], exec, s[16:17]
	s_cbranch_execnz .LBB253_308
; %bb.179:                              ;   in Loop: Header=BB253_51 Depth=1
	s_or_saveexec_b64 s[12:13], s[12:13]
	v_mov_b32_e32 v42, s18
	s_xor_b64 exec, exec, s[12:13]
	s_cbranch_execnz .LBB253_311
.LBB253_180:                            ;   in Loop: Header=BB253_51 Depth=1
	s_or_b64 exec, exec, s[12:13]
	s_and_saveexec_b64 s[12:13], s[0:1]
	s_cbranch_execz .LBB253_182
.LBB253_181:                            ;   in Loop: Header=BB253_51 Depth=1
	v_bfe_u32 v44, v19, 16, 3
	v_ffbh_u32_e32 v42, v44
	v_min_u32_e32 v46, 32, v42
	v_subrev_u32_e32 v42, 28, v46
	v_bfe_u32 v45, v19, 19, 4
	v_lshlrev_b64 v[42:43], v42, v[8:9]
	v_sub_u32_e32 v43, 29, v46
	v_cmp_eq_u32_e64 s[0:1], 0, v45
	v_and_b32_e32 v42, 7, v42
	v_lshlrev_b32_e32 v8, 8, v8
	v_cndmask_b32_e64 v43, v45, v43, s[0:1]
	v_lshl_add_u32 v43, v43, 10, v25
	v_cndmask_b32_e64 v42, v44, v42, s[0:1]
	v_and_or_b32 v8, v8, s25, v43
	v_lshl_or_b32 v8, v42, 7, v8
	v_cvt_f32_f16_e32 v42, v8
.LBB253_182:                            ;   in Loop: Header=BB253_51 Depth=1
	s_or_b64 exec, exec, s[12:13]
	v_lshrrev_b32_e32 v8, 24, v19
	v_cmp_lt_i16_e64 s[0:1], s23, v8
	s_mov_b64 s[12:13], 0
                                        ; implicit-def: $sgpr38
	s_and_saveexec_b64 s[16:17], s[0:1]
	s_xor_b64 s[16:17], exec, s[16:17]
	s_cbranch_execnz .LBB253_312
; %bb.183:                              ;   in Loop: Header=BB253_51 Depth=1
	s_or_saveexec_b64 s[16:17], s[16:17]
	v_mov_b32_e32 v43, s38
	s_xor_b64 exec, exec, s[16:17]
	s_cbranch_execnz .LBB253_315
.LBB253_184:                            ;   in Loop: Header=BB253_51 Depth=1
	s_or_b64 exec, exec, s[16:17]
	s_and_saveexec_b64 s[16:17], s[12:13]
	s_cbranch_execz .LBB253_186
.LBB253_185:                            ;   in Loop: Header=BB253_51 Depth=1
	v_bfe_u32 v43, v19, 24, 3
	v_ffbh_u32_e32 v44, v43
	v_min_u32_e32 v46, 32, v44
	v_subrev_u32_e32 v44, 28, v46
	v_bfe_u32 v19, v19, 27, 4
	v_lshlrev_b64 v[44:45], v44, v[8:9]
	v_sub_u32_e32 v45, 29, v46
	v_cmp_eq_u32_e64 s[0:1], 0, v19
	v_and_b32_e32 v44, 7, v44
	v_lshlrev_b32_e32 v8, 8, v8
	v_cndmask_b32_e64 v19, v19, v45, s[0:1]
	v_lshl_add_u32 v19, v19, 10, v25
	v_cndmask_b32_e64 v43, v43, v44, s[0:1]
	v_and_or_b32 v8, v8, s25, v19
	v_lshl_or_b32 v8, v43, 7, v8
	v_cvt_f32_f16_e32 v43, v8
.LBB253_186:                            ;   in Loop: Header=BB253_51 Depth=1
	s_or_b64 exec, exec, s[16:17]
	s_waitcnt vmcnt(0)
	v_pk_mul_f32 v[20:21], v[16:17], v[20:21] op_sel_hi:[0,1]
	v_pk_mul_f32 v[14:15], v[16:17], v[14:15] op_sel_hi:[0,1]
	v_cvt_f16_f32_e32 v8, v21
	v_cvt_f16_f32_e32 v19, v20
	;; [unrolled: 1-line block ×4, first 2 shown]
	v_fma_mixlo_f16 v18, v16, v18, 0
	v_pack_b32_f16 v19, v19, v8
	v_pack_b32_f16 v14, v14, v15
	v_perm_b32 v8, v14, v19, s27
	v_perm_b32 v15, v14, v19, s29
	v_fma_mixlo_f16 v14, v16, v41, 0
	v_lshlrev_b32_e32 v14, 16, v14
	v_or_b32_sdwa v14, v14, v18 dst_sel:DWORD dst_unused:UNUSED_PAD src0_sel:DWORD src1_sel:WORD_0
	v_fma_mixlo_f16 v18, v16, v42, 0
	v_fma_mixlo_f16 v16, v16, v43, 0
	v_lshlrev_b32_e32 v16, 16, v16
	v_or_b32_sdwa v16, v16, v18 dst_sel:DWORD dst_unused:UNUSED_PAD src0_sel:DWORD src1_sel:WORD_0
	s_and_saveexec_b64 s[0:1], vcc
	s_cbranch_execz .LBB253_49
; %bb.187:                              ;   in Loop: Header=BB253_51 Depth=1
	v_lshrrev_b32_e32 v19, 16, v15
	v_cmp_gt_i32_e32 vcc, s21, v32
	v_lshrrev_b32_e32 v16, 16, v16
	s_nop 0
	v_cndmask_b32_e32 v19, 0, v19, vcc
	v_cmp_gt_i32_e32 vcc, s41, v1
	s_nop 1
	v_cndmask_b32_e32 v15, 0, v15, vcc
	v_perm_b32 v15, v19, v15, s30
	v_lshrrev_b32_e32 v19, 16, v8
	v_cmp_gt_i32_e32 vcc, s21, v31
	s_nop 1
	v_cndmask_b32_e32 v19, 0, v19, vcc
	v_cmp_gt_i32_e32 vcc, s41, v30
	s_nop 1
	v_cndmask_b32_e32 v8, 0, v8, vcc
	v_perm_b32 v8, v19, v8, s30
	v_lshrrev_b32_e32 v19, 16, v14
	v_cmp_gt_i32_e32 vcc, s21, v29
	s_nop 1
	v_cndmask_b32_e32 v19, 0, v19, vcc
	v_cmp_gt_i32_e32 vcc, s41, v28
	s_nop 1
	v_cndmask_b32_e32 v14, 0, v14, vcc
	v_cmp_gt_i32_e32 vcc, s21, v27
	v_perm_b32 v14, v19, v14, s30
	s_nop 0
	v_cndmask_b32_e32 v16, 0, v16, vcc
	v_cmp_gt_i32_e32 vcc, s41, v26
	s_nop 1
	v_cndmask_b32_e32 v18, 0, v18, vcc
	v_perm_b32 v16, v16, v18, s30
	s_branch .LBB253_49
.LBB253_188:                            ;   in Loop: Header=BB253_51 Depth=1
	v_cmp_eq_u16_sdwa s[38:39], v18, s24 src0_sel:BYTE_0 src1_sel:DWORD
	s_mov_b64 s[0:1], -1
                                        ; implicit-def: $sgpr18
	s_and_saveexec_b64 s[16:17], s[38:39]
; %bb.189:                              ;   in Loop: Header=BB253_51 Depth=1
	s_mov_b32 s18, 0x7fc02000
	s_xor_b64 s[0:1], exec, -1
; %bb.190:                              ;   in Loop: Header=BB253_51 Depth=1
	s_or_b64 exec, exec, s[16:17]
	s_and_b64 s[0:1], s[0:1], exec
	s_or_saveexec_b64 s[12:13], s[12:13]
	v_mov_b32_e32 v20, s18
	s_xor_b64 exec, exec, s[12:13]
	s_cbranch_execz .LBB253_54
.LBB253_191:                            ;   in Loop: Header=BB253_51 Depth=1
	v_cmp_ne_u16_sdwa s[16:17], v18, v9 src0_sel:BYTE_0 src1_sel:DWORD
	s_andn2_b64 s[0:1], s[0:1], exec
	s_and_b64 s[16:17], s[16:17], exec
	v_mov_b32_e32 v20, 0
	s_or_b64 s[0:1], s[0:1], s[16:17]
	s_or_b64 exec, exec, s[12:13]
	s_and_saveexec_b64 s[12:13], s[0:1]
	s_cbranch_execnz .LBB253_55
	s_branch .LBB253_56
.LBB253_192:                            ;   in Loop: Header=BB253_51 Depth=1
	v_cmp_eq_u16_e32 vcc, s24, v8
	s_mov_b64 s[0:1], -1
                                        ; implicit-def: $sgpr18
	s_and_saveexec_b64 s[16:17], vcc
; %bb.193:                              ;   in Loop: Header=BB253_51 Depth=1
	s_mov_b32 s18, 0x7fc02000
	s_xor_b64 s[0:1], exec, -1
; %bb.194:                              ;   in Loop: Header=BB253_51 Depth=1
	s_or_b64 exec, exec, s[16:17]
	s_and_b64 s[0:1], s[0:1], exec
	s_or_saveexec_b64 s[12:13], s[12:13]
	v_mov_b32_e32 v22, s18
	s_xor_b64 exec, exec, s[12:13]
	s_cbranch_execz .LBB253_58
.LBB253_195:                            ;   in Loop: Header=BB253_51 Depth=1
	v_cmp_ne_u16_e32 vcc, 0, v8
	s_andn2_b64 s[0:1], s[0:1], exec
	s_and_b64 s[16:17], vcc, exec
	v_mov_b32_e32 v22, 0
	s_or_b64 s[0:1], s[0:1], s[16:17]
	s_or_b64 exec, exec, s[12:13]
	s_and_saveexec_b64 s[12:13], s[0:1]
	s_cbranch_execnz .LBB253_59
	s_branch .LBB253_60
.LBB253_196:                            ;   in Loop: Header=BB253_51 Depth=1
	v_cmp_eq_u16_sdwa s[38:39], v8, s24 src0_sel:BYTE_0 src1_sel:DWORD
	s_mov_b64 s[0:1], -1
                                        ; implicit-def: $sgpr18
	s_and_saveexec_b64 s[16:17], s[38:39]
; %bb.197:                              ;   in Loop: Header=BB253_51 Depth=1
	s_mov_b32 s18, 0x7fc02000
	s_xor_b64 s[0:1], exec, -1
; %bb.198:                              ;   in Loop: Header=BB253_51 Depth=1
	s_or_b64 exec, exec, s[16:17]
	s_and_b64 s[0:1], s[0:1], exec
	s_or_saveexec_b64 s[12:13], s[12:13]
	v_mov_b32_e32 v21, s18
	s_xor_b64 exec, exec, s[12:13]
	s_cbranch_execz .LBB253_62
.LBB253_199:                            ;   in Loop: Header=BB253_51 Depth=1
	v_cmp_ne_u16_sdwa s[16:17], v8, v9 src0_sel:BYTE_0 src1_sel:DWORD
	s_andn2_b64 s[0:1], s[0:1], exec
	s_and_b64 s[16:17], s[16:17], exec
	v_mov_b32_e32 v21, 0
	s_or_b64 s[0:1], s[0:1], s[16:17]
	s_or_b64 exec, exec, s[12:13]
	s_and_saveexec_b64 s[12:13], s[0:1]
	s_cbranch_execnz .LBB253_63
	s_branch .LBB253_64
.LBB253_200:                            ;   in Loop: Header=BB253_51 Depth=1
	v_cmp_eq_u16_e32 vcc, s24, v8
	s_mov_b64 s[0:1], -1
                                        ; implicit-def: $sgpr18
	s_and_saveexec_b64 s[16:17], vcc
; %bb.201:                              ;   in Loop: Header=BB253_51 Depth=1
	s_mov_b32 s18, 0x7fc02000
	s_xor_b64 s[0:1], exec, -1
; %bb.202:                              ;   in Loop: Header=BB253_51 Depth=1
	s_or_b64 exec, exec, s[16:17]
	s_and_b64 s[0:1], s[0:1], exec
	s_or_saveexec_b64 s[12:13], s[12:13]
	v_mov_b32_e32 v23, s18
	s_xor_b64 exec, exec, s[12:13]
	s_cbranch_execz .LBB253_66
.LBB253_203:                            ;   in Loop: Header=BB253_51 Depth=1
	v_cmp_ne_u16_e32 vcc, 0, v8
	s_andn2_b64 s[0:1], s[0:1], exec
	s_and_b64 s[16:17], vcc, exec
	v_mov_b32_e32 v23, 0
	s_or_b64 s[0:1], s[0:1], s[16:17]
	s_or_b64 exec, exec, s[12:13]
	s_and_saveexec_b64 s[12:13], s[0:1]
	s_cbranch_execnz .LBB253_67
	s_branch .LBB253_68
.LBB253_204:                            ;   in Loop: Header=BB253_51 Depth=1
	v_cmp_eq_u16_sdwa s[38:39], v19, s24 src0_sel:BYTE_0 src1_sel:DWORD
	s_mov_b64 s[0:1], -1
                                        ; implicit-def: $sgpr18
	s_and_saveexec_b64 s[16:17], s[38:39]
; %bb.205:                              ;   in Loop: Header=BB253_51 Depth=1
	s_mov_b32 s18, 0x7fc02000
	s_xor_b64 s[0:1], exec, -1
; %bb.206:                              ;   in Loop: Header=BB253_51 Depth=1
	s_or_b64 exec, exec, s[16:17]
	s_and_b64 s[0:1], s[0:1], exec
	s_or_saveexec_b64 s[12:13], s[12:13]
	v_mov_b32_e32 v18, s18
	s_xor_b64 exec, exec, s[12:13]
	s_cbranch_execz .LBB253_70
.LBB253_207:                            ;   in Loop: Header=BB253_51 Depth=1
	v_cmp_ne_u16_sdwa s[16:17], v19, v9 src0_sel:BYTE_0 src1_sel:DWORD
	s_andn2_b64 s[0:1], s[0:1], exec
	s_and_b64 s[16:17], s[16:17], exec
	v_mov_b32_e32 v18, 0
	s_or_b64 s[0:1], s[0:1], s[16:17]
	s_or_b64 exec, exec, s[12:13]
	v_mov_b32_e32 v8, v19
	s_and_saveexec_b64 s[12:13], s[0:1]
	s_cbranch_execnz .LBB253_71
	s_branch .LBB253_72
.LBB253_208:                            ;   in Loop: Header=BB253_51 Depth=1
	v_cmp_eq_u16_e32 vcc, s24, v8
	s_mov_b64 s[0:1], -1
                                        ; implicit-def: $sgpr18
	s_and_saveexec_b64 s[16:17], vcc
; %bb.209:                              ;   in Loop: Header=BB253_51 Depth=1
	s_mov_b32 s18, 0x7fc02000
	s_xor_b64 s[0:1], exec, -1
; %bb.210:                              ;   in Loop: Header=BB253_51 Depth=1
	s_or_b64 exec, exec, s[16:17]
	s_and_b64 s[0:1], s[0:1], exec
	s_or_saveexec_b64 s[12:13], s[12:13]
	v_mov_b32_e32 v26, s18
	s_xor_b64 exec, exec, s[12:13]
	s_cbranch_execz .LBB253_74
.LBB253_211:                            ;   in Loop: Header=BB253_51 Depth=1
	v_cmp_ne_u16_e32 vcc, 0, v8
	s_andn2_b64 s[0:1], s[0:1], exec
	s_and_b64 s[16:17], vcc, exec
	v_mov_b32_e32 v26, 0
	s_or_b64 s[0:1], s[0:1], s[16:17]
	s_or_b64 exec, exec, s[12:13]
	s_and_saveexec_b64 s[12:13], s[0:1]
	s_cbranch_execnz .LBB253_75
	s_branch .LBB253_76
.LBB253_212:                            ;   in Loop: Header=BB253_51 Depth=1
	v_cmp_eq_u16_sdwa s[38:39], v8, s24 src0_sel:BYTE_0 src1_sel:DWORD
	s_mov_b64 s[0:1], -1
                                        ; implicit-def: $sgpr18
	s_and_saveexec_b64 s[16:17], s[38:39]
; %bb.213:                              ;   in Loop: Header=BB253_51 Depth=1
	s_mov_b32 s18, 0x7fc02000
	s_xor_b64 s[0:1], exec, -1
; %bb.214:                              ;   in Loop: Header=BB253_51 Depth=1
	s_or_b64 exec, exec, s[16:17]
	s_and_b64 s[0:1], s[0:1], exec
	s_or_saveexec_b64 s[12:13], s[12:13]
	v_mov_b32_e32 v27, s18
	s_xor_b64 exec, exec, s[12:13]
	s_cbranch_execz .LBB253_78
.LBB253_215:                            ;   in Loop: Header=BB253_51 Depth=1
	v_cmp_ne_u16_sdwa s[16:17], v8, v9 src0_sel:BYTE_0 src1_sel:DWORD
	s_andn2_b64 s[0:1], s[0:1], exec
	s_and_b64 s[16:17], s[16:17], exec
	v_mov_b32_e32 v27, 0
	s_or_b64 s[0:1], s[0:1], s[16:17]
	s_or_b64 exec, exec, s[12:13]
	s_and_saveexec_b64 s[12:13], s[0:1]
	s_cbranch_execnz .LBB253_79
	s_branch .LBB253_80
.LBB253_216:                            ;   in Loop: Header=BB253_51 Depth=1
	v_cmp_eq_u16_e32 vcc, s24, v8
	s_mov_b64 s[0:1], -1
                                        ; implicit-def: $sgpr18
	s_and_saveexec_b64 s[16:17], vcc
; %bb.217:                              ;   in Loop: Header=BB253_51 Depth=1
	s_mov_b32 s18, 0x7fc02000
	s_xor_b64 s[0:1], exec, -1
; %bb.218:                              ;   in Loop: Header=BB253_51 Depth=1
	s_or_b64 exec, exec, s[16:17]
	s_and_b64 s[0:1], s[0:1], exec
	s_or_saveexec_b64 s[12:13], s[12:13]
	v_mov_b32_e32 v28, s18
	s_xor_b64 exec, exec, s[12:13]
	s_cbranch_execz .LBB253_82
.LBB253_219:                            ;   in Loop: Header=BB253_51 Depth=1
	v_cmp_ne_u16_e32 vcc, 0, v8
	s_andn2_b64 s[0:1], s[0:1], exec
	s_and_b64 s[16:17], vcc, exec
	v_mov_b32_e32 v28, 0
	s_or_b64 s[0:1], s[0:1], s[16:17]
	s_or_b64 exec, exec, s[12:13]
	s_and_saveexec_b64 s[12:13], s[0:1]
	s_cbranch_execnz .LBB253_83
	s_branch .LBB253_84
.LBB253_220:                            ;   in Loop: Header=BB253_51 Depth=1
	v_cmp_eq_u16_sdwa s[38:39], v18, s24 src0_sel:BYTE_0 src1_sel:DWORD
	s_mov_b64 s[0:1], -1
                                        ; implicit-def: $sgpr18
	s_and_saveexec_b64 s[16:17], s[38:39]
; %bb.221:                              ;   in Loop: Header=BB253_51 Depth=1
	s_mov_b32 s18, 0x7fc02000
	s_xor_b64 s[0:1], exec, -1
; %bb.222:                              ;   in Loop: Header=BB253_51 Depth=1
	s_or_b64 exec, exec, s[16:17]
	s_and_b64 s[0:1], s[0:1], exec
	s_or_saveexec_b64 s[12:13], s[12:13]
	v_mov_b32_e32 v20, s18
	s_xor_b64 exec, exec, s[12:13]
	s_cbranch_execz .LBB253_88
.LBB253_223:                            ;   in Loop: Header=BB253_51 Depth=1
	v_cmp_ne_u16_sdwa s[16:17], v18, v9 src0_sel:BYTE_0 src1_sel:DWORD
	s_andn2_b64 s[0:1], s[0:1], exec
	s_and_b64 s[16:17], s[16:17], exec
	v_mov_b32_e32 v20, 0
	s_or_b64 s[0:1], s[0:1], s[16:17]
	s_or_b64 exec, exec, s[12:13]
	s_and_saveexec_b64 s[12:13], s[0:1]
	s_cbranch_execnz .LBB253_89
	s_branch .LBB253_90
.LBB253_224:                            ;   in Loop: Header=BB253_51 Depth=1
	v_cmp_eq_u16_e64 s[0:1], s24, v8
	s_mov_b64 s[12:13], -1
                                        ; implicit-def: $sgpr38
	s_and_saveexec_b64 s[18:19], s[0:1]
; %bb.225:                              ;   in Loop: Header=BB253_51 Depth=1
	s_mov_b32 s38, 0x7fc02000
	s_xor_b64 s[12:13], exec, -1
; %bb.226:                              ;   in Loop: Header=BB253_51 Depth=1
	s_or_b64 exec, exec, s[18:19]
	s_and_b64 s[12:13], s[12:13], exec
	s_or_saveexec_b64 s[16:17], s[16:17]
	v_mov_b32_e32 v22, s38
	s_xor_b64 exec, exec, s[16:17]
	s_cbranch_execz .LBB253_92
.LBB253_227:                            ;   in Loop: Header=BB253_51 Depth=1
	v_cmp_ne_u16_e64 s[0:1], 0, v8
	s_andn2_b64 s[12:13], s[12:13], exec
	s_and_b64 s[0:1], s[0:1], exec
	v_mov_b32_e32 v22, 0
	s_or_b64 s[12:13], s[12:13], s[0:1]
	s_or_b64 exec, exec, s[16:17]
	s_and_saveexec_b64 s[16:17], s[12:13]
	s_cbranch_execnz .LBB253_93
	s_branch .LBB253_94
.LBB253_228:                            ;   in Loop: Header=BB253_51 Depth=1
	v_cmp_eq_u16_sdwa s[38:39], v8, s24 src0_sel:BYTE_0 src1_sel:DWORD
	s_mov_b64 s[0:1], -1
                                        ; implicit-def: $sgpr18
	s_and_saveexec_b64 s[16:17], s[38:39]
; %bb.229:                              ;   in Loop: Header=BB253_51 Depth=1
	s_mov_b32 s18, 0x7fc02000
	s_xor_b64 s[0:1], exec, -1
; %bb.230:                              ;   in Loop: Header=BB253_51 Depth=1
	s_or_b64 exec, exec, s[16:17]
	s_and_b64 s[0:1], s[0:1], exec
	s_or_saveexec_b64 s[12:13], s[12:13]
	v_mov_b32_e32 v21, s18
	s_xor_b64 exec, exec, s[12:13]
	s_cbranch_execz .LBB253_96
.LBB253_231:                            ;   in Loop: Header=BB253_51 Depth=1
	v_cmp_ne_u16_sdwa s[16:17], v8, v9 src0_sel:BYTE_0 src1_sel:DWORD
	s_andn2_b64 s[0:1], s[0:1], exec
	s_and_b64 s[16:17], s[16:17], exec
	v_mov_b32_e32 v21, 0
	s_or_b64 s[0:1], s[0:1], s[16:17]
	s_or_b64 exec, exec, s[12:13]
	s_and_saveexec_b64 s[12:13], s[0:1]
	s_cbranch_execnz .LBB253_97
	s_branch .LBB253_98
.LBB253_232:                            ;   in Loop: Header=BB253_51 Depth=1
	v_cmp_eq_u16_e64 s[0:1], s24, v8
	s_mov_b64 s[12:13], -1
                                        ; implicit-def: $sgpr38
	s_and_saveexec_b64 s[18:19], s[0:1]
; %bb.233:                              ;   in Loop: Header=BB253_51 Depth=1
	s_mov_b32 s38, 0x7fc02000
	s_xor_b64 s[12:13], exec, -1
; %bb.234:                              ;   in Loop: Header=BB253_51 Depth=1
	s_or_b64 exec, exec, s[18:19]
	s_and_b64 s[12:13], s[12:13], exec
	s_or_saveexec_b64 s[16:17], s[16:17]
	v_mov_b32_e32 v23, s38
	s_xor_b64 exec, exec, s[16:17]
	s_cbranch_execz .LBB253_100
.LBB253_235:                            ;   in Loop: Header=BB253_51 Depth=1
	v_cmp_ne_u16_e64 s[0:1], 0, v8
	s_andn2_b64 s[12:13], s[12:13], exec
	s_and_b64 s[0:1], s[0:1], exec
	v_mov_b32_e32 v23, 0
	s_or_b64 s[12:13], s[12:13], s[0:1]
	s_or_b64 exec, exec, s[16:17]
	s_and_saveexec_b64 s[16:17], s[12:13]
	s_cbranch_execnz .LBB253_101
	s_branch .LBB253_102
.LBB253_236:                            ;   in Loop: Header=BB253_51 Depth=1
	v_cmp_eq_u16_sdwa s[38:39], v19, s24 src0_sel:BYTE_0 src1_sel:DWORD
	s_mov_b64 s[0:1], -1
                                        ; implicit-def: $sgpr18
	s_and_saveexec_b64 s[16:17], s[38:39]
; %bb.237:                              ;   in Loop: Header=BB253_51 Depth=1
	s_mov_b32 s18, 0x7fc02000
	s_xor_b64 s[0:1], exec, -1
; %bb.238:                              ;   in Loop: Header=BB253_51 Depth=1
	s_or_b64 exec, exec, s[16:17]
	s_and_b64 s[0:1], s[0:1], exec
	s_or_saveexec_b64 s[12:13], s[12:13]
	v_mov_b32_e32 v18, s18
	s_xor_b64 exec, exec, s[12:13]
	s_cbranch_execz .LBB253_104
.LBB253_239:                            ;   in Loop: Header=BB253_51 Depth=1
	v_cmp_ne_u16_sdwa s[16:17], v19, v9 src0_sel:BYTE_0 src1_sel:DWORD
	s_andn2_b64 s[0:1], s[0:1], exec
	s_and_b64 s[16:17], s[16:17], exec
	v_mov_b32_e32 v18, 0
	s_or_b64 s[0:1], s[0:1], s[16:17]
	s_or_b64 exec, exec, s[12:13]
	v_mov_b32_e32 v8, v19
	s_and_saveexec_b64 s[12:13], s[0:1]
	s_cbranch_execnz .LBB253_105
	s_branch .LBB253_106
.LBB253_240:                            ;   in Loop: Header=BB253_51 Depth=1
	v_cmp_eq_u16_e64 s[0:1], s24, v8
	s_mov_b64 s[12:13], -1
                                        ; implicit-def: $sgpr38
	s_and_saveexec_b64 s[18:19], s[0:1]
; %bb.241:                              ;   in Loop: Header=BB253_51 Depth=1
	s_mov_b32 s38, 0x7fc02000
	s_xor_b64 s[12:13], exec, -1
; %bb.242:                              ;   in Loop: Header=BB253_51 Depth=1
	s_or_b64 exec, exec, s[18:19]
	s_and_b64 s[12:13], s[12:13], exec
	s_or_saveexec_b64 s[16:17], s[16:17]
	v_mov_b32_e32 v39, s38
	s_xor_b64 exec, exec, s[16:17]
	s_cbranch_execz .LBB253_108
.LBB253_243:                            ;   in Loop: Header=BB253_51 Depth=1
	v_cmp_ne_u16_e64 s[0:1], 0, v8
	s_andn2_b64 s[12:13], s[12:13], exec
	s_and_b64 s[0:1], s[0:1], exec
	v_mov_b32_e32 v39, 0
	s_or_b64 s[12:13], s[12:13], s[0:1]
	s_or_b64 exec, exec, s[16:17]
	s_and_saveexec_b64 s[16:17], s[12:13]
	s_cbranch_execnz .LBB253_109
	s_branch .LBB253_110
.LBB253_244:                            ;   in Loop: Header=BB253_51 Depth=1
	v_cmp_eq_u16_sdwa s[38:39], v8, s24 src0_sel:BYTE_0 src1_sel:DWORD
	s_mov_b64 s[0:1], -1
                                        ; implicit-def: $sgpr18
	s_and_saveexec_b64 s[16:17], s[38:39]
; %bb.245:                              ;   in Loop: Header=BB253_51 Depth=1
	s_mov_b32 s18, 0x7fc02000
	s_xor_b64 s[0:1], exec, -1
; %bb.246:                              ;   in Loop: Header=BB253_51 Depth=1
	s_or_b64 exec, exec, s[16:17]
	s_and_b64 s[0:1], s[0:1], exec
	s_or_saveexec_b64 s[12:13], s[12:13]
	v_mov_b32_e32 v40, s18
	s_xor_b64 exec, exec, s[12:13]
	s_cbranch_execz .LBB253_112
.LBB253_247:                            ;   in Loop: Header=BB253_51 Depth=1
	v_cmp_ne_u16_sdwa s[16:17], v8, v9 src0_sel:BYTE_0 src1_sel:DWORD
	s_andn2_b64 s[0:1], s[0:1], exec
	s_and_b64 s[16:17], s[16:17], exec
	v_mov_b32_e32 v40, 0
	s_or_b64 s[0:1], s[0:1], s[16:17]
	s_or_b64 exec, exec, s[12:13]
	s_and_saveexec_b64 s[12:13], s[0:1]
	s_cbranch_execnz .LBB253_113
	s_branch .LBB253_114
.LBB253_248:                            ;   in Loop: Header=BB253_51 Depth=1
	v_cmp_eq_u16_e64 s[0:1], s24, v8
	s_mov_b64 s[12:13], -1
                                        ; implicit-def: $sgpr38
	s_and_saveexec_b64 s[18:19], s[0:1]
; %bb.249:                              ;   in Loop: Header=BB253_51 Depth=1
	s_mov_b32 s38, 0x7fc02000
	s_xor_b64 s[12:13], exec, -1
; %bb.250:                              ;   in Loop: Header=BB253_51 Depth=1
	s_or_b64 exec, exec, s[18:19]
	s_and_b64 s[12:13], s[12:13], exec
	s_or_saveexec_b64 s[16:17], s[16:17]
	v_mov_b32_e32 v41, s38
	s_xor_b64 exec, exec, s[16:17]
	s_cbranch_execz .LBB253_116
.LBB253_251:                            ;   in Loop: Header=BB253_51 Depth=1
	v_cmp_ne_u16_e64 s[0:1], 0, v8
	s_andn2_b64 s[12:13], s[12:13], exec
	s_and_b64 s[0:1], s[0:1], exec
	v_mov_b32_e32 v41, 0
	s_or_b64 s[12:13], s[12:13], s[0:1]
	s_or_b64 exec, exec, s[16:17]
	s_and_saveexec_b64 s[16:17], s[12:13]
	s_cbranch_execnz .LBB253_117
	s_branch .LBB253_118
.LBB253_252:                            ;   in Loop: Header=BB253_51 Depth=1
	v_cmp_eq_u16_sdwa s[38:39], v18, s24 src0_sel:BYTE_0 src1_sel:DWORD
	s_mov_b64 s[0:1], -1
                                        ; implicit-def: $sgpr18
	s_and_saveexec_b64 s[16:17], s[38:39]
; %bb.253:                              ;   in Loop: Header=BB253_51 Depth=1
	s_mov_b32 s18, 0x7fc02000
	s_xor_b64 s[0:1], exec, -1
; %bb.254:                              ;   in Loop: Header=BB253_51 Depth=1
	s_or_b64 exec, exec, s[16:17]
	s_and_b64 s[0:1], s[0:1], exec
	s_or_saveexec_b64 s[12:13], s[12:13]
	v_mov_b32_e32 v20, s18
	s_xor_b64 exec, exec, s[12:13]
	s_cbranch_execz .LBB253_122
.LBB253_255:                            ;   in Loop: Header=BB253_51 Depth=1
	v_cmp_ne_u16_sdwa s[16:17], v18, v9 src0_sel:BYTE_0 src1_sel:DWORD
	s_andn2_b64 s[0:1], s[0:1], exec
	s_and_b64 s[16:17], s[16:17], exec
	v_mov_b32_e32 v20, 0
	s_or_b64 s[0:1], s[0:1], s[16:17]
	s_or_b64 exec, exec, s[12:13]
	s_and_saveexec_b64 s[12:13], s[0:1]
	s_cbranch_execnz .LBB253_123
	s_branch .LBB253_124
.LBB253_256:                            ;   in Loop: Header=BB253_51 Depth=1
	v_cmp_eq_u16_e64 s[0:1], s24, v8
	s_mov_b64 s[12:13], -1
                                        ; implicit-def: $sgpr38
	s_and_saveexec_b64 s[18:19], s[0:1]
; %bb.257:                              ;   in Loop: Header=BB253_51 Depth=1
	s_mov_b32 s38, 0x7fc02000
	s_xor_b64 s[12:13], exec, -1
; %bb.258:                              ;   in Loop: Header=BB253_51 Depth=1
	s_or_b64 exec, exec, s[18:19]
	s_and_b64 s[12:13], s[12:13], exec
	s_or_saveexec_b64 s[16:17], s[16:17]
	v_mov_b32_e32 v22, s38
	s_xor_b64 exec, exec, s[16:17]
	s_cbranch_execz .LBB253_126
.LBB253_259:                            ;   in Loop: Header=BB253_51 Depth=1
	v_cmp_ne_u16_e64 s[0:1], 0, v8
	s_andn2_b64 s[12:13], s[12:13], exec
	s_and_b64 s[0:1], s[0:1], exec
	v_mov_b32_e32 v22, 0
	s_or_b64 s[12:13], s[12:13], s[0:1]
	s_or_b64 exec, exec, s[16:17]
	s_and_saveexec_b64 s[16:17], s[12:13]
	s_cbranch_execnz .LBB253_127
	s_branch .LBB253_128
.LBB253_260:                            ;   in Loop: Header=BB253_51 Depth=1
	v_cmp_eq_u16_sdwa s[38:39], v8, s24 src0_sel:BYTE_0 src1_sel:DWORD
	s_mov_b64 s[0:1], -1
                                        ; implicit-def: $sgpr18
	s_and_saveexec_b64 s[16:17], s[38:39]
; %bb.261:                              ;   in Loop: Header=BB253_51 Depth=1
	s_mov_b32 s18, 0x7fc02000
	s_xor_b64 s[0:1], exec, -1
; %bb.262:                              ;   in Loop: Header=BB253_51 Depth=1
	s_or_b64 exec, exec, s[16:17]
	s_and_b64 s[0:1], s[0:1], exec
	s_or_saveexec_b64 s[12:13], s[12:13]
	v_mov_b32_e32 v21, s18
	s_xor_b64 exec, exec, s[12:13]
	s_cbranch_execz .LBB253_130
.LBB253_263:                            ;   in Loop: Header=BB253_51 Depth=1
	v_cmp_ne_u16_sdwa s[16:17], v8, v9 src0_sel:BYTE_0 src1_sel:DWORD
	s_andn2_b64 s[0:1], s[0:1], exec
	s_and_b64 s[16:17], s[16:17], exec
	v_mov_b32_e32 v21, 0
	s_or_b64 s[0:1], s[0:1], s[16:17]
	s_or_b64 exec, exec, s[12:13]
	s_and_saveexec_b64 s[12:13], s[0:1]
	s_cbranch_execnz .LBB253_131
	s_branch .LBB253_132
.LBB253_264:                            ;   in Loop: Header=BB253_51 Depth=1
	v_cmp_eq_u16_e64 s[0:1], s24, v8
	s_mov_b64 s[12:13], -1
                                        ; implicit-def: $sgpr38
	s_and_saveexec_b64 s[18:19], s[0:1]
; %bb.265:                              ;   in Loop: Header=BB253_51 Depth=1
	s_mov_b32 s38, 0x7fc02000
	s_xor_b64 s[12:13], exec, -1
; %bb.266:                              ;   in Loop: Header=BB253_51 Depth=1
	s_or_b64 exec, exec, s[18:19]
	s_and_b64 s[12:13], s[12:13], exec
	s_or_saveexec_b64 s[16:17], s[16:17]
	v_mov_b32_e32 v23, s38
	s_xor_b64 exec, exec, s[16:17]
	s_cbranch_execz .LBB253_134
.LBB253_267:                            ;   in Loop: Header=BB253_51 Depth=1
	v_cmp_ne_u16_e64 s[0:1], 0, v8
	s_andn2_b64 s[12:13], s[12:13], exec
	s_and_b64 s[0:1], s[0:1], exec
	v_mov_b32_e32 v23, 0
	s_or_b64 s[12:13], s[12:13], s[0:1]
	s_or_b64 exec, exec, s[16:17]
	s_and_saveexec_b64 s[16:17], s[12:13]
	s_cbranch_execnz .LBB253_135
	s_branch .LBB253_136
.LBB253_268:                            ;   in Loop: Header=BB253_51 Depth=1
	v_cmp_eq_u16_sdwa s[38:39], v19, s24 src0_sel:BYTE_0 src1_sel:DWORD
	s_mov_b64 s[0:1], -1
                                        ; implicit-def: $sgpr18
	s_and_saveexec_b64 s[16:17], s[38:39]
; %bb.269:                              ;   in Loop: Header=BB253_51 Depth=1
	s_mov_b32 s18, 0x7fc02000
	s_xor_b64 s[0:1], exec, -1
; %bb.270:                              ;   in Loop: Header=BB253_51 Depth=1
	s_or_b64 exec, exec, s[16:17]
	s_and_b64 s[0:1], s[0:1], exec
	s_or_saveexec_b64 s[12:13], s[12:13]
	v_mov_b32_e32 v18, s18
	s_xor_b64 exec, exec, s[12:13]
	s_cbranch_execz .LBB253_138
.LBB253_271:                            ;   in Loop: Header=BB253_51 Depth=1
	v_cmp_ne_u16_sdwa s[16:17], v19, v9 src0_sel:BYTE_0 src1_sel:DWORD
	s_andn2_b64 s[0:1], s[0:1], exec
	s_and_b64 s[16:17], s[16:17], exec
	v_mov_b32_e32 v18, 0
	s_or_b64 s[0:1], s[0:1], s[16:17]
	s_or_b64 exec, exec, s[12:13]
	v_mov_b32_e32 v8, v19
	s_and_saveexec_b64 s[12:13], s[0:1]
	s_cbranch_execnz .LBB253_139
	s_branch .LBB253_140
.LBB253_272:                            ;   in Loop: Header=BB253_51 Depth=1
	v_cmp_eq_u16_e64 s[0:1], s24, v8
	s_mov_b64 s[12:13], -1
                                        ; implicit-def: $sgpr38
	s_and_saveexec_b64 s[18:19], s[0:1]
; %bb.273:                              ;   in Loop: Header=BB253_51 Depth=1
	s_mov_b32 s38, 0x7fc02000
	s_xor_b64 s[12:13], exec, -1
; %bb.274:                              ;   in Loop: Header=BB253_51 Depth=1
	s_or_b64 exec, exec, s[18:19]
	s_and_b64 s[12:13], s[12:13], exec
	s_or_saveexec_b64 s[16:17], s[16:17]
	v_mov_b32_e32 v41, s38
	s_xor_b64 exec, exec, s[16:17]
	s_cbranch_execz .LBB253_142
.LBB253_275:                            ;   in Loop: Header=BB253_51 Depth=1
	v_cmp_ne_u16_e64 s[0:1], 0, v8
	s_andn2_b64 s[12:13], s[12:13], exec
	s_and_b64 s[0:1], s[0:1], exec
	v_mov_b32_e32 v41, 0
	s_or_b64 s[12:13], s[12:13], s[0:1]
	s_or_b64 exec, exec, s[16:17]
	s_and_saveexec_b64 s[16:17], s[12:13]
	s_cbranch_execnz .LBB253_143
	s_branch .LBB253_144
.LBB253_276:                            ;   in Loop: Header=BB253_51 Depth=1
	v_cmp_eq_u16_sdwa s[38:39], v8, s24 src0_sel:BYTE_0 src1_sel:DWORD
	s_mov_b64 s[0:1], -1
                                        ; implicit-def: $sgpr18
	s_and_saveexec_b64 s[16:17], s[38:39]
; %bb.277:                              ;   in Loop: Header=BB253_51 Depth=1
	s_mov_b32 s18, 0x7fc02000
	s_xor_b64 s[0:1], exec, -1
; %bb.278:                              ;   in Loop: Header=BB253_51 Depth=1
	s_or_b64 exec, exec, s[16:17]
	s_and_b64 s[0:1], s[0:1], exec
	s_or_saveexec_b64 s[12:13], s[12:13]
	v_mov_b32_e32 v42, s18
	s_xor_b64 exec, exec, s[12:13]
	s_cbranch_execz .LBB253_146
.LBB253_279:                            ;   in Loop: Header=BB253_51 Depth=1
	v_cmp_ne_u16_sdwa s[16:17], v8, v9 src0_sel:BYTE_0 src1_sel:DWORD
	s_andn2_b64 s[0:1], s[0:1], exec
	s_and_b64 s[16:17], s[16:17], exec
	v_mov_b32_e32 v42, 0
	s_or_b64 s[0:1], s[0:1], s[16:17]
	s_or_b64 exec, exec, s[12:13]
	s_and_saveexec_b64 s[12:13], s[0:1]
	s_cbranch_execnz .LBB253_147
	s_branch .LBB253_148
.LBB253_280:                            ;   in Loop: Header=BB253_51 Depth=1
	v_cmp_eq_u16_e64 s[0:1], s24, v8
	s_mov_b64 s[12:13], -1
                                        ; implicit-def: $sgpr38
	s_and_saveexec_b64 s[18:19], s[0:1]
; %bb.281:                              ;   in Loop: Header=BB253_51 Depth=1
	s_mov_b32 s38, 0x7fc02000
	s_xor_b64 s[12:13], exec, -1
; %bb.282:                              ;   in Loop: Header=BB253_51 Depth=1
	s_or_b64 exec, exec, s[18:19]
	s_and_b64 s[12:13], s[12:13], exec
	s_or_saveexec_b64 s[16:17], s[16:17]
	v_mov_b32_e32 v43, s38
	s_xor_b64 exec, exec, s[16:17]
	s_cbranch_execz .LBB253_150
.LBB253_283:                            ;   in Loop: Header=BB253_51 Depth=1
	v_cmp_ne_u16_e64 s[0:1], 0, v8
	s_andn2_b64 s[12:13], s[12:13], exec
	s_and_b64 s[0:1], s[0:1], exec
	v_mov_b32_e32 v43, 0
	s_or_b64 s[12:13], s[12:13], s[0:1]
	s_or_b64 exec, exec, s[16:17]
	s_and_saveexec_b64 s[16:17], s[12:13]
	s_cbranch_execnz .LBB253_151
	s_branch .LBB253_152
.LBB253_284:                            ;   in Loop: Header=BB253_51 Depth=1
	v_cmp_eq_u16_sdwa s[38:39], v18, s24 src0_sel:BYTE_0 src1_sel:DWORD
	s_mov_b64 s[0:1], -1
                                        ; implicit-def: $sgpr18
	s_and_saveexec_b64 s[16:17], s[38:39]
; %bb.285:                              ;   in Loop: Header=BB253_51 Depth=1
	s_mov_b32 s18, 0x7fc02000
	s_xor_b64 s[0:1], exec, -1
; %bb.286:                              ;   in Loop: Header=BB253_51 Depth=1
	s_or_b64 exec, exec, s[16:17]
	s_and_b64 s[0:1], s[0:1], exec
	s_or_saveexec_b64 s[12:13], s[12:13]
	v_mov_b32_e32 v14, s18
	s_xor_b64 exec, exec, s[12:13]
	s_cbranch_execz .LBB253_156
.LBB253_287:                            ;   in Loop: Header=BB253_51 Depth=1
	v_cmp_ne_u16_sdwa s[16:17], v18, v9 src0_sel:BYTE_0 src1_sel:DWORD
	s_andn2_b64 s[0:1], s[0:1], exec
	s_and_b64 s[16:17], s[16:17], exec
	v_mov_b32_e32 v14, 0
	s_or_b64 s[0:1], s[0:1], s[16:17]
	s_or_b64 exec, exec, s[12:13]
	s_and_saveexec_b64 s[12:13], s[0:1]
	s_cbranch_execnz .LBB253_157
	s_branch .LBB253_158
.LBB253_288:                            ;   in Loop: Header=BB253_51 Depth=1
	v_cmp_eq_u16_e64 s[0:1], s24, v8
	s_mov_b64 s[12:13], -1
                                        ; implicit-def: $sgpr38
	s_and_saveexec_b64 s[18:19], s[0:1]
; %bb.289:                              ;   in Loop: Header=BB253_51 Depth=1
	s_mov_b32 s38, 0x7fc02000
	s_xor_b64 s[12:13], exec, -1
; %bb.290:                              ;   in Loop: Header=BB253_51 Depth=1
	s_or_b64 exec, exec, s[18:19]
	s_and_b64 s[12:13], s[12:13], exec
	s_or_saveexec_b64 s[16:17], s[16:17]
	v_mov_b32_e32 v20, s38
	s_xor_b64 exec, exec, s[16:17]
	s_cbranch_execz .LBB253_160
.LBB253_291:                            ;   in Loop: Header=BB253_51 Depth=1
	v_cmp_ne_u16_e64 s[0:1], 0, v8
	s_andn2_b64 s[12:13], s[12:13], exec
	s_and_b64 s[0:1], s[0:1], exec
	v_mov_b32_e32 v20, 0
	s_or_b64 s[12:13], s[12:13], s[0:1]
	s_or_b64 exec, exec, s[16:17]
	s_and_saveexec_b64 s[16:17], s[12:13]
	s_cbranch_execnz .LBB253_161
	s_branch .LBB253_162
.LBB253_292:                            ;   in Loop: Header=BB253_51 Depth=1
	v_cmp_eq_u16_sdwa s[38:39], v8, s24 src0_sel:BYTE_0 src1_sel:DWORD
	s_mov_b64 s[0:1], -1
                                        ; implicit-def: $sgpr18
	s_and_saveexec_b64 s[16:17], s[38:39]
; %bb.293:                              ;   in Loop: Header=BB253_51 Depth=1
	s_mov_b32 s18, 0x7fc02000
	s_xor_b64 s[0:1], exec, -1
; %bb.294:                              ;   in Loop: Header=BB253_51 Depth=1
	s_or_b64 exec, exec, s[16:17]
	s_and_b64 s[0:1], s[0:1], exec
	s_or_saveexec_b64 s[12:13], s[12:13]
	v_mov_b32_e32 v15, s18
	s_xor_b64 exec, exec, s[12:13]
	s_cbranch_execz .LBB253_164
.LBB253_295:                            ;   in Loop: Header=BB253_51 Depth=1
	v_cmp_ne_u16_sdwa s[16:17], v8, v9 src0_sel:BYTE_0 src1_sel:DWORD
	s_andn2_b64 s[0:1], s[0:1], exec
	s_and_b64 s[16:17], s[16:17], exec
	v_mov_b32_e32 v15, 0
	s_or_b64 s[0:1], s[0:1], s[16:17]
	s_or_b64 exec, exec, s[12:13]
	s_and_saveexec_b64 s[12:13], s[0:1]
	s_cbranch_execnz .LBB253_165
	s_branch .LBB253_166
.LBB253_296:                            ;   in Loop: Header=BB253_51 Depth=1
	v_cmp_eq_u16_e64 s[0:1], s24, v8
	s_mov_b64 s[12:13], -1
                                        ; implicit-def: $sgpr38
	s_and_saveexec_b64 s[18:19], s[0:1]
; %bb.297:                              ;   in Loop: Header=BB253_51 Depth=1
	s_mov_b32 s38, 0x7fc02000
	s_xor_b64 s[12:13], exec, -1
; %bb.298:                              ;   in Loop: Header=BB253_51 Depth=1
	s_or_b64 exec, exec, s[18:19]
	s_and_b64 s[12:13], s[12:13], exec
	s_or_saveexec_b64 s[16:17], s[16:17]
	v_mov_b32_e32 v21, s38
	s_xor_b64 exec, exec, s[16:17]
	s_cbranch_execz .LBB253_168
.LBB253_299:                            ;   in Loop: Header=BB253_51 Depth=1
	v_cmp_ne_u16_e64 s[0:1], 0, v8
	s_andn2_b64 s[12:13], s[12:13], exec
	s_and_b64 s[0:1], s[0:1], exec
	v_mov_b32_e32 v21, 0
	s_or_b64 s[12:13], s[12:13], s[0:1]
	s_or_b64 exec, exec, s[16:17]
	s_and_saveexec_b64 s[16:17], s[12:13]
	s_cbranch_execnz .LBB253_169
	s_branch .LBB253_170
.LBB253_300:                            ;   in Loop: Header=BB253_51 Depth=1
	v_cmp_eq_u16_sdwa s[38:39], v19, s24 src0_sel:BYTE_0 src1_sel:DWORD
	s_mov_b64 s[0:1], -1
                                        ; implicit-def: $sgpr18
	s_and_saveexec_b64 s[16:17], s[38:39]
; %bb.301:                              ;   in Loop: Header=BB253_51 Depth=1
	s_mov_b32 s18, 0x7fc02000
	s_xor_b64 s[0:1], exec, -1
; %bb.302:                              ;   in Loop: Header=BB253_51 Depth=1
	s_or_b64 exec, exec, s[16:17]
	s_and_b64 s[0:1], s[0:1], exec
	s_or_saveexec_b64 s[12:13], s[12:13]
	v_mov_b32_e32 v18, s18
	s_xor_b64 exec, exec, s[12:13]
	s_cbranch_execz .LBB253_172
.LBB253_303:                            ;   in Loop: Header=BB253_51 Depth=1
	v_cmp_ne_u16_sdwa s[16:17], v19, v9 src0_sel:BYTE_0 src1_sel:DWORD
	s_andn2_b64 s[0:1], s[0:1], exec
	s_and_b64 s[16:17], s[16:17], exec
	v_mov_b32_e32 v18, 0
	s_or_b64 s[0:1], s[0:1], s[16:17]
	s_or_b64 exec, exec, s[12:13]
	v_mov_b32_e32 v8, v19
	s_and_saveexec_b64 s[12:13], s[0:1]
	s_cbranch_execnz .LBB253_173
	s_branch .LBB253_174
.LBB253_304:                            ;   in Loop: Header=BB253_51 Depth=1
	v_cmp_eq_u16_e64 s[0:1], s24, v8
	s_mov_b64 s[12:13], -1
                                        ; implicit-def: $sgpr38
	s_and_saveexec_b64 s[18:19], s[0:1]
; %bb.305:                              ;   in Loop: Header=BB253_51 Depth=1
	s_mov_b32 s38, 0x7fc02000
	s_xor_b64 s[12:13], exec, -1
; %bb.306:                              ;   in Loop: Header=BB253_51 Depth=1
	s_or_b64 exec, exec, s[18:19]
	s_and_b64 s[12:13], s[12:13], exec
	s_or_saveexec_b64 s[16:17], s[16:17]
	v_mov_b32_e32 v41, s38
	s_xor_b64 exec, exec, s[16:17]
	s_cbranch_execz .LBB253_176
.LBB253_307:                            ;   in Loop: Header=BB253_51 Depth=1
	v_cmp_ne_u16_e64 s[0:1], 0, v8
	s_andn2_b64 s[12:13], s[12:13], exec
	s_and_b64 s[0:1], s[0:1], exec
	v_mov_b32_e32 v41, 0
	s_or_b64 s[12:13], s[12:13], s[0:1]
	s_or_b64 exec, exec, s[16:17]
	s_and_saveexec_b64 s[16:17], s[12:13]
	s_cbranch_execnz .LBB253_177
	s_branch .LBB253_178
.LBB253_308:                            ;   in Loop: Header=BB253_51 Depth=1
	v_cmp_eq_u16_sdwa s[38:39], v8, s24 src0_sel:BYTE_0 src1_sel:DWORD
	s_mov_b64 s[0:1], -1
                                        ; implicit-def: $sgpr18
	s_and_saveexec_b64 s[16:17], s[38:39]
; %bb.309:                              ;   in Loop: Header=BB253_51 Depth=1
	s_mov_b32 s18, 0x7fc02000
	s_xor_b64 s[0:1], exec, -1
; %bb.310:                              ;   in Loop: Header=BB253_51 Depth=1
	s_or_b64 exec, exec, s[16:17]
	s_and_b64 s[0:1], s[0:1], exec
	s_or_saveexec_b64 s[12:13], s[12:13]
	v_mov_b32_e32 v42, s18
	s_xor_b64 exec, exec, s[12:13]
	s_cbranch_execz .LBB253_180
.LBB253_311:                            ;   in Loop: Header=BB253_51 Depth=1
	v_cmp_ne_u16_sdwa s[16:17], v8, v9 src0_sel:BYTE_0 src1_sel:DWORD
	s_andn2_b64 s[0:1], s[0:1], exec
	s_and_b64 s[16:17], s[16:17], exec
	v_mov_b32_e32 v42, 0
	s_or_b64 s[0:1], s[0:1], s[16:17]
	s_or_b64 exec, exec, s[12:13]
	s_and_saveexec_b64 s[12:13], s[0:1]
	s_cbranch_execnz .LBB253_181
	s_branch .LBB253_182
.LBB253_312:                            ;   in Loop: Header=BB253_51 Depth=1
	v_cmp_eq_u16_e64 s[0:1], s24, v8
	s_mov_b64 s[12:13], -1
                                        ; implicit-def: $sgpr38
	s_and_saveexec_b64 s[18:19], s[0:1]
; %bb.313:                              ;   in Loop: Header=BB253_51 Depth=1
	s_mov_b32 s38, 0x7fc02000
	s_xor_b64 s[12:13], exec, -1
; %bb.314:                              ;   in Loop: Header=BB253_51 Depth=1
	s_or_b64 exec, exec, s[18:19]
	s_and_b64 s[12:13], s[12:13], exec
	s_or_saveexec_b64 s[16:17], s[16:17]
	v_mov_b32_e32 v43, s38
	s_xor_b64 exec, exec, s[16:17]
	s_cbranch_execz .LBB253_184
.LBB253_315:                            ;   in Loop: Header=BB253_51 Depth=1
	v_cmp_ne_u16_e64 s[0:1], 0, v8
	s_andn2_b64 s[12:13], s[12:13], exec
	s_and_b64 s[0:1], s[0:1], exec
	v_mov_b32_e32 v43, 0
	s_or_b64 s[12:13], s[12:13], s[0:1]
	s_or_b64 exec, exec, s[16:17]
	s_and_saveexec_b64 s[16:17], s[12:13]
	s_cbranch_execnz .LBB253_185
	s_branch .LBB253_186
.LBB253_316:
	s_or_b64 exec, exec, s[8:9]
.LBB253_317:
	s_or_b64 exec, exec, s[2:3]
	v_and_b32_e32 v1, 0x3c0, v0
	v_cmp_eq_u32_e32 vcc, 64, v1
	s_barrier
	s_and_saveexec_b64 s[0:1], vcc
	s_cbranch_execz .LBB253_319
; %bb.318:
	v_lshlrev_b32_e32 v1, 2, v0
	v_mov_b32_e32 v7, 0x210
	v_or_b32_e32 v6, 0x300, v1
	v_lshl_add_u32 v7, v17, 2, v7
	v_add_u32_e32 v6, 0x210, v6
	v_add_u32_e32 v1, 0x210, v1
	ds_write_b32 v7, v2
	ds_write_b32 v1, v3
	ds_write_b32 v7, v4 offset:512
	ds_write_b32 v6, v5
.LBB253_319:
	s_or_b64 exec, exec, s[0:1]
	v_cmp_gt_u32_e32 vcc, 64, v0
	s_waitcnt lgkmcnt(0)
	s_barrier
	s_and_saveexec_b64 s[0:1], vcc
	s_cbranch_execz .LBB253_321
; %bb.320:
	v_mov_b32_e32 v1, 0x210
	v_lshl_add_u32 v1, v0, 2, v1
	ds_read2st64_b32 v[6:7], v1 offset0:2 offset1:3
	ds_read2st64_b32 v[8:9], v1 offset1:1
	s_waitcnt lgkmcnt(1)
	v_pk_add_f32 v[4:5], v[4:5], v[6:7]
	s_waitcnt lgkmcnt(0)
	v_pk_add_f32 v[2:3], v[2:3], v[8:9]
.LBB253_321:
	s_or_b64 exec, exec, s[0:1]
	s_barrier
	s_and_saveexec_b64 s[0:1], vcc
	s_cbranch_execz .LBB253_323
; %bb.322:
	s_lshl_b32 s0, s6, 8
	s_ashr_i32 s1, s0, 31
	s_lshl_b64 s[0:1], s[0:1], 1
	s_add_u32 s2, s34, s0
	s_mul_i32 s0, s33, s36
	s_addc_u32 s3, s35, s1
	s_ashr_i32 s1, s0, 31
	s_lshl_b64 s[0:1], s[0:1], 1
	s_add_u32 s2, s2, s0
	s_addc_u32 s3, s3, s1
	s_lshl_b32 s0, s4, 8
	s_ashr_i32 s1, s0, 31
	s_lshl_b64 s[0:1], s[0:1], 1
	s_add_u32 s0, s2, s0
	s_addc_u32 s1, s3, s1
	v_lshlrev_b32_e32 v0, 1, v0
	;;#ASMSTART
	v_cvt_f16_f32 v1, v2;

	;;#ASMEND
	global_store_short v0, v1, s[0:1]
	;;#ASMSTART
	v_cvt_f16_f32 v1, v3;

	;;#ASMEND
	global_store_short v0, v1, s[0:1] offset:128
	;;#ASMSTART
	v_cvt_f16_f32 v1, v4;

	;;#ASMEND
	global_store_short v0, v1, s[0:1] offset:256
	;; [unrolled: 5-line block ×3, first 2 shown]
.LBB253_323:
	s_endpgm
	.section	.rodata,"a",@progbits
	.p2align	6, 0x0
	.amdhsa_kernel _ZN4vllm25paged_attention_v2_kernelIthLi256ELi8ELi128ELNS_18Fp8KVCacheDataTypeE1ELb1ELi512EEEvPfS2_PT_PKS3_PKT0_S9_ifPKiSB_iPKfiiiSD_SD_iiiii
		.amdhsa_group_segment_fixed_size 528
		.amdhsa_private_segment_fixed_size 0
		.amdhsa_kernarg_size 400
		.amdhsa_user_sgpr_count 2
		.amdhsa_user_sgpr_dispatch_ptr 0
		.amdhsa_user_sgpr_queue_ptr 0
		.amdhsa_user_sgpr_kernarg_segment_ptr 1
		.amdhsa_user_sgpr_dispatch_id 0
		.amdhsa_user_sgpr_kernarg_preload_length 0
		.amdhsa_user_sgpr_kernarg_preload_offset 0
		.amdhsa_user_sgpr_private_segment_size 0
		.amdhsa_uses_dynamic_stack 0
		.amdhsa_enable_private_segment 0
		.amdhsa_system_sgpr_workgroup_id_x 1
		.amdhsa_system_sgpr_workgroup_id_y 1
		.amdhsa_system_sgpr_workgroup_id_z 1
		.amdhsa_system_sgpr_workgroup_info 0
		.amdhsa_system_vgpr_workitem_id 0
		.amdhsa_next_free_vgpr 84
		.amdhsa_next_free_sgpr 56
		.amdhsa_accum_offset 84
		.amdhsa_reserve_vcc 1
		.amdhsa_float_round_mode_32 0
		.amdhsa_float_round_mode_16_64 0
		.amdhsa_float_denorm_mode_32 3
		.amdhsa_float_denorm_mode_16_64 3
		.amdhsa_dx10_clamp 1
		.amdhsa_ieee_mode 1
		.amdhsa_fp16_overflow 0
		.amdhsa_tg_split 0
		.amdhsa_exception_fp_ieee_invalid_op 0
		.amdhsa_exception_fp_denorm_src 0
		.amdhsa_exception_fp_ieee_div_zero 0
		.amdhsa_exception_fp_ieee_overflow 0
		.amdhsa_exception_fp_ieee_underflow 0
		.amdhsa_exception_fp_ieee_inexact 0
		.amdhsa_exception_int_div_zero 0
	.end_amdhsa_kernel
	.section	.text._ZN4vllm25paged_attention_v2_kernelIthLi256ELi8ELi128ELNS_18Fp8KVCacheDataTypeE1ELb1ELi512EEEvPfS2_PT_PKS3_PKT0_S9_ifPKiSB_iPKfiiiSD_SD_iiiii,"axG",@progbits,_ZN4vllm25paged_attention_v2_kernelIthLi256ELi8ELi128ELNS_18Fp8KVCacheDataTypeE1ELb1ELi512EEEvPfS2_PT_PKS3_PKT0_S9_ifPKiSB_iPKfiiiSD_SD_iiiii,comdat
.Lfunc_end253:
	.size	_ZN4vllm25paged_attention_v2_kernelIthLi256ELi8ELi128ELNS_18Fp8KVCacheDataTypeE1ELb1ELi512EEEvPfS2_PT_PKS3_PKT0_S9_ifPKiSB_iPKfiiiSD_SD_iiiii, .Lfunc_end253-_ZN4vllm25paged_attention_v2_kernelIthLi256ELi8ELi128ELNS_18Fp8KVCacheDataTypeE1ELb1ELi512EEEvPfS2_PT_PKS3_PKT0_S9_ifPKiSB_iPKfiiiSD_SD_iiiii
                                        ; -- End function
	.section	.AMDGPU.csdata,"",@progbits
; Kernel info:
; codeLenInByte = 15992
; NumSgprs: 62
; NumVgprs: 84
; NumAgprs: 0
; TotalNumVgprs: 84
; ScratchSize: 0
; MemoryBound: 0
; FloatMode: 240
; IeeeMode: 1
; LDSByteSize: 528 bytes/workgroup (compile time only)
; SGPRBlocks: 7
; VGPRBlocks: 10
; NumSGPRsForWavesPerEU: 62
; NumVGPRsForWavesPerEU: 84
; AccumOffset: 84
; Occupancy: 5
; WaveLimiterHint : 1
; COMPUTE_PGM_RSRC2:SCRATCH_EN: 0
; COMPUTE_PGM_RSRC2:USER_SGPR: 2
; COMPUTE_PGM_RSRC2:TRAP_HANDLER: 0
; COMPUTE_PGM_RSRC2:TGID_X_EN: 1
; COMPUTE_PGM_RSRC2:TGID_Y_EN: 1
; COMPUTE_PGM_RSRC2:TGID_Z_EN: 1
; COMPUTE_PGM_RSRC2:TIDIG_COMP_CNT: 0
; COMPUTE_PGM_RSRC3_GFX90A:ACCUM_OFFSET: 20
; COMPUTE_PGM_RSRC3_GFX90A:TG_SPLIT: 0
	.section	.text._ZN4vllm25paged_attention_v2_kernelIthLi32ELi8ELi128ELNS_18Fp8KVCacheDataTypeE1ELb0ELi512EEEvPfS2_PT_PKS3_PKT0_S9_ifPKiSB_iPKfiiiSD_SD_iiiii,"axG",@progbits,_ZN4vllm25paged_attention_v2_kernelIthLi32ELi8ELi128ELNS_18Fp8KVCacheDataTypeE1ELb0ELi512EEEvPfS2_PT_PKS3_PKT0_S9_ifPKiSB_iPKfiiiSD_SD_iiiii,comdat
	.protected	_ZN4vllm25paged_attention_v2_kernelIthLi32ELi8ELi128ELNS_18Fp8KVCacheDataTypeE1ELb0ELi512EEEvPfS2_PT_PKS3_PKT0_S9_ifPKiSB_iPKfiiiSD_SD_iiiii ; -- Begin function _ZN4vllm25paged_attention_v2_kernelIthLi32ELi8ELi128ELNS_18Fp8KVCacheDataTypeE1ELb0ELi512EEEvPfS2_PT_PKS3_PKT0_S9_ifPKiSB_iPKfiiiSD_SD_iiiii
	.globl	_ZN4vllm25paged_attention_v2_kernelIthLi32ELi8ELi128ELNS_18Fp8KVCacheDataTypeE1ELb0ELi512EEEvPfS2_PT_PKS3_PKT0_S9_ifPKiSB_iPKfiiiSD_SD_iiiii
	.p2align	8
	.type	_ZN4vllm25paged_attention_v2_kernelIthLi32ELi8ELi128ELNS_18Fp8KVCacheDataTypeE1ELb0ELi512EEEvPfS2_PT_PKS3_PKT0_S9_ifPKiSB_iPKfiiiSD_SD_iiiii,@function
_ZN4vllm25paged_attention_v2_kernelIthLi32ELi8ELi128ELNS_18Fp8KVCacheDataTypeE1ELb0ELi512EEEvPfS2_PT_PKS3_PKT0_S9_ifPKiSB_iPKfiiiSD_SD_iiiii: ; @_ZN4vllm25paged_attention_v2_kernelIthLi32ELi8ELi128ELNS_18Fp8KVCacheDataTypeE1ELb0ELi512EEEvPfS2_PT_PKS3_PKT0_S9_ifPKiSB_iPKfiiiSD_SD_iiiii
; %bb.0:
	s_load_dwordx2 s[6:7], s[0:1], 0x40
	s_mov_b32 s28, s3
	s_ashr_i32 s29, s3, 31
	s_lshl_b64 s[8:9], s[28:29], 2
	s_waitcnt lgkmcnt(0)
	s_add_u32 s6, s6, s8
	s_addc_u32 s7, s7, s9
	s_load_dword s29, s[6:7], 0x0
	s_lshl_b32 s42, s4, 9
	s_waitcnt lgkmcnt(0)
	s_cmp_ge_i32 s42, s29
	s_cbranch_scc1 .LBB254_118
; %bb.1:
	s_load_dword s5, s[0:1], 0x90
	s_load_dwordx2 s[10:11], s[0:1], 0x30
	s_waitcnt lgkmcnt(0)
	s_abs_i32 s7, s5
	s_abs_i32 s3, s10
	v_cvt_f32_u32_e32 v1, s3
	s_sub_i32 s8, 0, s3
	s_xor_b32 s6, s5, s10
	s_ashr_i32 s6, s6, 31
	v_rcp_iflag_f32_e32 v1, v1
	s_nop 0
	v_mul_f32_e32 v1, 0x4f7ffffe, v1
	v_cvt_u32_f32_e32 v1, v1
	s_nop 0
	v_readfirstlane_b32 s9, v1
	s_mul_i32 s8, s8, s9
	s_mul_hi_u32 s8, s9, s8
	s_add_i32 s9, s9, s8
	s_mul_hi_u32 s8, s7, s9
	s_mul_i32 s9, s8, s3
	s_sub_i32 s7, s7, s9
	s_add_i32 s10, s8, 1
	s_sub_i32 s9, s7, s3
	s_cmp_ge_u32 s7, s3
	s_cselect_b32 s8, s10, s8
	s_cselect_b32 s7, s9, s7
	s_add_i32 s9, s8, 1
	s_cmp_ge_u32 s7, s3
	s_cselect_b32 s3, s9, s8
	s_xor_b32 s3, s3, s6
	s_sub_i32 s14, s3, s6
	s_abs_i32 s8, s14
	v_cvt_f32_u32_e32 v1, s8
	s_load_dwordx2 s[6:7], s[0:1], 0x50
	s_sub_i32 s3, 0, s8
	s_abs_i32 s9, s2
	v_rcp_iflag_f32_e32 v1, v1
	s_mov_b32 s10, 0
	v_mul_f32_e32 v1, 0x4f7ffffe, v1
	v_cvt_u32_f32_e32 v1, v1
	s_nop 0
	v_readfirstlane_b32 s12, v1
	s_mul_i32 s3, s3, s12
	s_mul_hi_u32 s3, s12, s3
	s_add_i32 s12, s12, s3
	s_waitcnt lgkmcnt(0)
	s_cmp_eq_u64 s[6:7], 0
	s_mul_hi_u32 s12, s9, s12
	s_cbranch_scc1 .LBB254_3
; %bb.2:
	s_ashr_i32 s3, s2, 31
	s_lshl_b64 s[16:17], s[2:3], 2
	s_add_u32 s6, s6, s16
	s_addc_u32 s7, s7, s17
	s_load_dword s10, s[6:7], 0x0
.LBB254_3:
	s_load_dwordx4 s[16:19], s[0:1], 0x58
	s_ashr_i32 s13, s2, 31
	s_ashr_i32 s14, s14, 31
	v_and_b32_e32 v4, 7, v0
	s_lshl_b32 s24, s2, 5
	v_cmp_gt_u32_e32 vcc, 32, v0
	s_and_saveexec_b64 s[6:7], vcc
	s_cbranch_execz .LBB254_5
; %bb.4:
	s_load_dwordx2 s[20:21], s[0:1], 0x18
	s_waitcnt lgkmcnt(0)
	s_mul_i32 s22, s28, s16
	s_ashr_i32 s23, s22, 31
	s_lshl_b64 s[22:23], s[22:23], 1
	v_lshlrev_b32_e32 v1, 1, v0
	s_add_u32 s3, s20, s22
	s_addc_u32 s15, s21, s23
	s_ashr_i32 s25, s24, 31
	s_lshl_b64 s[20:21], s[24:25], 1
	s_add_u32 s20, s3, s20
	s_addc_u32 s21, s15, s21
	global_load_ushort v1, v1, s[20:21]
	v_lshrrev_b32_e32 v2, 2, v0
	v_and_b32_e32 v2, 0xfe, v2
	v_lshl_add_u32 v2, v4, 3, v2
	s_waitcnt vmcnt(0)
	ds_write_b16 v2, v1
.LBB254_5:
	s_or_b64 exec, exec, s[6:7]
	s_add_i32 s3, s29, 7
	s_ashr_i32 s6, s3, 31
	s_lshr_b32 s6, s6, 29
	s_add_i32 s3, s3, s6
	s_waitcnt lgkmcnt(0)
	s_ashr_i32 s16, s3, 3
	s_lshl_b32 s3, s4, 6
	s_mul_i32 s7, s12, s8
	s_add_i32 s6, s3, 64
	s_sub_i32 s7, s9, s7
	s_min_i32 s33, s6, s16
	s_xor_b32 s6, s13, s14
	s_add_i32 s9, s12, 1
	s_sub_i32 s13, s7, s8
	s_cmp_ge_u32 s7, s8
	s_cselect_b32 s9, s9, s12
	s_cselect_b32 s7, s13, s7
	s_add_i32 s12, s9, 1
	s_cmp_ge_u32 s7, s8
	s_load_dwordx2 s[30:31], s[0:1], 0x38
	s_load_dword s8, s[0:1], 0x48
	v_lshrrev_b32_e32 v10, 6, v0
	s_cselect_b32 s7, s12, s9
	s_xor_b32 s7, s7, s6
	v_or_b32_e32 v2, s3, v10
	s_waitcnt lgkmcnt(0)
	s_mul_i32 s34, s28, s8
	s_sub_i32 s43, s7, s6
	s_ashr_i32 s35, s34, 31
	v_cmp_gt_i32_e64 s[6:7], s33, v2
	v_cmp_le_i32_e32 vcc, s33, v2
	v_mbcnt_lo_u32_b32 v16, -1, 0
	s_barrier
	s_waitcnt lgkmcnt(0)
                                        ; implicit-def: $sgpr19
                                        ; implicit-def: $vgpr11
                                        ; implicit-def: $vgpr12
	s_and_saveexec_b64 s[8:9], vcc
	s_xor_b64 s[8:9], exec, s[8:9]
; %bb.6:
	v_mbcnt_hi_u32_b32 v11, -1, v16
	v_and_b32_e32 v1, 64, v11
	v_add_u32_e32 v12, 64, v1
	s_mov_b32 s19, 0xff7fffff
                                        ; implicit-def: $vgpr4
                                        ; implicit-def: $vgpr16
; %bb.7:
	s_or_saveexec_b64 s[38:39], s[8:9]
	s_load_dwordx4 s[20:23], s[0:1], 0x0
	s_load_dwordx2 s[26:27], s[0:1], 0x10
	s_load_dword s25, s[0:1], 0x98
	s_load_dwordx2 s[36:37], s[0:1], 0x28
	s_load_dwordx4 s[12:15], s[0:1], 0x68
	v_mov_b32_e32 v1, s19
	s_mul_i32 s43, s43, s18
	v_ashrrev_i32_e32 v3, 31, v2
	s_xor_b64 exec, exec, s[38:39]
	s_cbranch_execz .LBB254_13
; %bb.8:
	s_load_dwordx2 s[0:1], s[0:1], 0x20
	s_ashr_i32 s8, s43, 31
	v_bfe_u32 v1, v0, 3, 3
	v_lshlrev_b32_e32 v8, 3, v10
	v_lshlrev_b32_e32 v6, 4, v1
	s_waitcnt lgkmcnt(0)
	s_add_u32 s0, s0, s43
	s_addc_u32 s1, s1, s8
	s_sub_i32 s45, 1, s29
	s_lshl_b64 s[8:9], s[34:35], 2
	v_mov_b32_e32 v5, 0
	v_add3_u32 v14, s42, v8, v1
	v_lshlrev_b32_e32 v1, 2, v1
	s_add_u32 s8, s30, s8
	v_mbcnt_hi_u32_b32 v11, -1, v16
	v_mov_b32_e32 v7, v5
	v_lshl_or_b32 v1, v10, 5, v1
	s_addc_u32 s9, s31, s9
	v_and_b32_e32 v12, 64, v11
	s_mov_b32 s44, s17
	v_lshl_add_u64 v[6:7], s[0:1], 0, v[6:7]
	v_lshlrev_b32_e32 v13, 3, v4
	v_cmp_eq_u32_e32 vcc, 0, v4
	v_cmp_neq_f32_e64 s[0:1], s10, 0
	v_add_u32_e32 v15, 0x50, v1
	v_lshl_add_u64 v[8:9], v[2:3], 2, s[8:9]
	s_mov_b64 s[18:19], 0
	v_mov_b32_e32 v1, 0xff7fffff
	v_add_u32_e32 v12, 64, v12
	v_xor_b32_e32 v16, 4, v11
	v_xor_b32_e32 v17, 2, v11
	;; [unrolled: 1-line block ×3, first 2 shown]
	v_mov_b32_e32 v19, v2
	s_branch .LBB254_10
.LBB254_9:                              ;   in Loop: Header=BB254_10 Depth=1
	s_or_b64 exec, exec, s[40:41]
	v_add_u32_e32 v19, 2, v19
	v_cmp_le_i32_e64 s[8:9], s33, v19
	v_add_u32_e32 v14, 16, v14
	v_add_u32_e32 v15, 64, v15
	s_or_b64 s[18:19], s[8:9], s[18:19]
	v_lshl_add_u64 v[8:9], v[8:9], 0, 8
	s_andn2_b64 exec, exec, s[18:19]
	s_cbranch_execz .LBB254_12
.LBB254_10:                             ; =>This Inner Loop Header: Depth=1
	global_load_dword v20, v[8:9], off
	s_waitcnt vmcnt(0) lgkmcnt(0)
	v_mad_i64_i32 v[20:21], s[8:9], v20, s44, v[6:7]
	v_lshl_add_u64 v[20:21], v[20:21], 0, v[4:5]
	global_load_ubyte v22, v[20:21], off
	global_load_ubyte v23, v[20:21], off offset:8
	global_load_dword v24, v5, s[12:13]
	global_load_ubyte v25, v[20:21], off offset:128
	global_load_ubyte v26, v[20:21], off offset:136
	ds_read_u16 v20, v13
	s_waitcnt lgkmcnt(0)
	;;#ASMSTART
	v_cvt_f32_f16 v20, v20;
	;;#ASMEND
	v_cmp_lt_i32_e64 s[8:9], v16, v12
	s_waitcnt vmcnt(4)
	v_cvt_f32_fp8_sdwa v21, v22 src0_sel:BYTE_0
	s_waitcnt vmcnt(3)
	v_cvt_f32_fp8_sdwa v23, v23 src0_sel:BYTE_0
	v_cndmask_b32_e64 v22, v11, v16, s[8:9]
	s_waitcnt vmcnt(1)
	v_cvt_f32_fp8_sdwa v25, v25 src0_sel:BYTE_0
	v_fma_mixlo_f16 v21, v24, v21, 0
	v_and_b32_e32 v21, 0xffff, v21
	v_fma_mixlo_f16 v23, v24, v23, 0
	;;#ASMSTART
	v_cvt_f32_f16 v21, v21;
	;;#ASMEND
	ds_read_u16 v27, v13 offset:2
	s_waitcnt vmcnt(0)
	v_cvt_f32_fp8_sdwa v26, v26 src0_sel:BYTE_0
	v_and_b32_e32 v23, 0xffff, v23
	s_waitcnt lgkmcnt(0)
	;;#ASMSTART
	v_cvt_f32_f16 v27, v27;
	;;#ASMEND
	;;#ASMSTART
	v_cvt_f32_f16 v23, v23;
	;;#ASMEND
	v_fma_mixlo_f16 v25, v24, v25, 0
	v_mul_f32_e32 v23, v27, v23
	v_and_b32_e32 v25, 0xffff, v25
	v_fmac_f32_e32 v23, v20, v21
	ds_read_u16 v28, v13 offset:4
	v_fma_mixlo_f16 v24, v24, v26, 0
	s_waitcnt lgkmcnt(0)
	;;#ASMSTART
	v_cvt_f32_f16 v26, v28;
	;;#ASMEND
	;;#ASMSTART
	v_cvt_f32_f16 v25, v25;
	;;#ASMEND
	v_lshlrev_b32_e32 v22, 2, v22
	v_fmac_f32_e32 v23, v26, v25
	ds_read_u16 v28, v13 offset:6
	v_and_b32_e32 v24, 0xffff, v24
	s_waitcnt lgkmcnt(0)
	;;#ASMSTART
	v_cvt_f32_f16 v20, v28;
	;;#ASMEND
	;;#ASMSTART
	v_cvt_f32_f16 v21, v24;
	;;#ASMEND
	v_cmp_lt_i32_e64 s[8:9], v17, v12
	v_fmac_f32_e32 v23, v20, v21
	ds_bpermute_b32 v20, v22, v23
	v_cndmask_b32_e64 v21, v11, v17, s[8:9]
	v_lshlrev_b32_e32 v21, 2, v21
	v_cmp_lt_i32_e64 s[8:9], v18, v12
	s_waitcnt lgkmcnt(0)
	v_add_f32_e32 v20, v23, v20
	ds_bpermute_b32 v21, v21, v20
	v_cndmask_b32_e64 v22, v11, v18, s[8:9]
	s_waitcnt lgkmcnt(0)
	v_add_f32_e32 v20, v20, v21
	v_lshlrev_b32_e32 v21, 2, v22
	ds_bpermute_b32 v21, v21, v20
	s_and_saveexec_b64 s[40:41], vcc
	s_cbranch_execz .LBB254_9
; %bb.11:                               ;   in Loop: Header=BB254_10 Depth=1
	v_add_u32_e32 v22, s45, v14
	v_cvt_f32_i32_e32 v22, v22
	s_waitcnt lgkmcnt(0)
	v_add_f32_e32 v20, v20, v21
	v_cmp_gt_i32_e64 s[8:9], s29, v14
	v_max_f32_e32 v21, v1, v1
	v_mul_f32_e32 v22, s10, v22
	v_cndmask_b32_e64 v22, 0, v22, s[0:1]
	v_fmac_f32_e32 v22, s11, v20
	v_cndmask_b32_e64 v20, 0, v22, s[8:9]
	ds_write_b32 v15, v20
	v_max_f32_e32 v20, v21, v22
	v_cndmask_b32_e64 v1, v1, v20, s[8:9]
	s_branch .LBB254_9
.LBB254_12:
	s_or_b64 exec, exec, s[18:19]
.LBB254_13:
	s_or_b64 exec, exec, s[38:39]
	v_xor_b32_e32 v4, 32, v11
	v_cmp_lt_i32_e32 vcc, v4, v12
	v_xor_b32_e32 v6, 16, v11
	v_xor_b32_e32 v7, 8, v11
	v_cndmask_b32_e32 v4, v11, v4, vcc
	v_lshlrev_b32_e32 v5, 2, v4
	ds_bpermute_b32 v4, v5, v1
	v_max_f32_e32 v1, v1, v1
	v_cmp_lt_i32_e32 vcc, v6, v12
	s_waitcnt lgkmcnt(0)
	v_max_f32_e32 v4, v4, v4
	v_max_f32_e32 v1, v1, v4
	v_cndmask_b32_e32 v4, v11, v6, vcc
	v_lshlrev_b32_e32 v8, 2, v4
	ds_bpermute_b32 v4, v8, v1
	v_cmp_lt_i32_e32 vcc, v7, v12
	s_waitcnt lgkmcnt(0)
	v_max_f32_e32 v4, v4, v4
	v_max_f32_e32 v6, v1, v4
	v_cndmask_b32_e32 v1, v11, v7, vcc
	v_lshlrev_b32_e32 v9, 2, v1
	ds_bpermute_b32 v7, v9, v6
	v_and_b32_e32 v1, 63, v0
	v_cmp_eq_u32_e32 vcc, 0, v1
	v_lshlrev_b32_e32 v4, 2, v10
	s_and_saveexec_b64 s[0:1], vcc
	s_cbranch_execz .LBB254_15
; %bb.14:
	s_waitcnt lgkmcnt(0)
	v_max_f32_e32 v7, v7, v7
	v_max_f32_e32 v6, v6, v6
	v_max_f32_e32 v6, v6, v7
	ds_write_b32 v4, v6 offset:64
.LBB254_15:
	s_or_b64 exec, exec, s[0:1]
	v_cmp_gt_u32_e64 s[0:1], 2, v1
	v_mov_b32_e32 v6, 0xff7fffff
	s_waitcnt lgkmcnt(0)
	v_lshlrev_b32_e32 v7, 2, v1
	s_barrier
	s_and_saveexec_b64 s[8:9], s[0:1]
	s_cbranch_execz .LBB254_17
; %bb.16:
	ds_read_b32 v6, v7 offset:64
.LBB254_17:
	s_or_b64 exec, exec, s[8:9]
	v_xor_b32_e32 v13, 1, v11
	v_cmp_lt_i32_e64 s[8:9], v13, v12
	s_sub_i32 s3, s33, s3
	s_lshl_b32 s3, s3, 3
	v_cndmask_b32_e64 v13, v11, v13, s[8:9]
	v_lshlrev_b32_e32 v13, 2, v13
	s_waitcnt lgkmcnt(0)
	ds_bpermute_b32 v14, v13, v6
	v_max_f32_e32 v6, v6, v6
	s_add_i32 s3, s3, s42
	s_min_i32 s38, s3, s29
	s_sub_i32 s3, s38, s42
	s_waitcnt lgkmcnt(0)
	v_max_f32_e32 v14, v14, v14
	v_max_f32_e32 v6, v6, v14
	v_lshlrev_b32_e32 v14, 2, v11
	v_and_b32_e32 v14, 0xffffff00, v14
	ds_bpermute_b32 v6, v14, v6
	v_cmp_gt_i32_e64 s[8:9], s3, v0
	v_mov_b32_e32 v15, 0
	s_and_saveexec_b64 s[12:13], s[8:9]
	s_cbranch_execz .LBB254_21
; %bb.18:
	v_mov_b32_e32 v15, 0x50
	v_lshl_add_u32 v16, v0, 2, v15
	s_mov_b64 s[18:19], 0
	v_mov_b32_e32 v15, 0
	v_mov_b32_e32 v17, v0
.LBB254_19:                             ; =>This Inner Loop Header: Depth=1
	ds_read_b32 v18, v16
	v_add_u32_e32 v17, 0x80, v17
	v_cmp_le_i32_e64 s[10:11], s3, v17
	s_or_b64 s[18:19], s[10:11], s[18:19]
	s_waitcnt lgkmcnt(0)
	v_sub_f32_e32 v18, v18, v6
	v_mul_f32_e32 v18, 0x3fb8aa3b, v18
	v_exp_f32_e32 v18, v18
	ds_write_b32 v16, v18
	v_add_f32_e32 v15, v15, v18
	v_add_u32_e32 v16, 0x200, v16
	s_andn2_b64 exec, exec, s[18:19]
	s_cbranch_execnz .LBB254_19
; %bb.20:
	s_or_b64 exec, exec, s[18:19]
.LBB254_21:
	s_or_b64 exec, exec, s[12:13]
	ds_bpermute_b32 v5, v5, v15
	s_waitcnt lgkmcnt(0)
	v_add_f32_e32 v5, v15, v5
	ds_bpermute_b32 v8, v8, v5
	s_waitcnt lgkmcnt(0)
	v_add_f32_e32 v5, v5, v8
	ds_bpermute_b32 v8, v9, v5
	v_xor_b32_e32 v9, 4, v11
	v_cmp_lt_i32_e64 s[10:11], v9, v12
	s_waitcnt lgkmcnt(0)
	v_add_f32_e32 v5, v5, v8
	v_cndmask_b32_e64 v9, v11, v9, s[10:11]
	v_lshlrev_b32_e32 v9, 2, v9
	ds_bpermute_b32 v8, v9, v5
	v_xor_b32_e32 v9, 2, v11
	v_cmp_lt_i32_e64 s[10:11], v9, v12
	s_waitcnt lgkmcnt(0)
	v_add_f32_e32 v5, v5, v8
	v_cndmask_b32_e64 v9, v11, v9, s[10:11]
	v_lshlrev_b32_e32 v8, 2, v9
	ds_bpermute_b32 v8, v8, v5
	s_waitcnt lgkmcnt(0)
	v_add_f32_e32 v5, v5, v8
	ds_bpermute_b32 v8, v13, v5
	s_waitcnt lgkmcnt(0)
	v_add_f32_e32 v5, v5, v8
	s_and_saveexec_b64 s[10:11], vcc
	s_cbranch_execz .LBB254_23
; %bb.22:
	ds_write_b32 v4, v5 offset:72
.LBB254_23:
	s_or_b64 exec, exec, s[10:11]
	s_waitcnt lgkmcnt(0)
	s_barrier
	s_and_saveexec_b64 s[10:11], s[0:1]
	s_cbranch_execz .LBB254_25
; %bb.24:
	ds_read_b32 v5, v7 offset:72
.LBB254_25:
	s_or_b64 exec, exec, s[10:11]
	s_waitcnt lgkmcnt(0)
	ds_bpermute_b32 v4, v13, v5
	s_waitcnt lgkmcnt(0)
	v_add_f32_e32 v4, v5, v4
	ds_bpermute_b32 v7, v14, v4
	s_and_saveexec_b64 s[0:1], s[8:9]
	s_cbranch_execz .LBB254_38
; %bb.26:
	s_waitcnt lgkmcnt(0)
	v_add_f32_e32 v4, 0x358637bd, v7
	v_div_scale_f32 v5, s[8:9], v4, v4, 1.0
	v_rcp_f32_e32 v8, v5
	v_div_scale_f32 v9, vcc, 1.0, v4, 1.0
	s_movk_i32 s8, 0x7f
	v_fma_f32 v11, -v5, v8, 1.0
	v_fmac_f32_e32 v8, v11, v8
	v_mul_f32_e32 v11, v9, v8
	v_fma_f32 v12, -v5, v11, v9
	v_fmac_f32_e32 v11, v12, v8
	v_fma_f32 v5, -v5, v11, v9
	v_div_fmas_f32 v5, v5, v8, v11
	v_div_fixup_f32 v4, v5, v4, 1.0
	v_xad_u32 v5, v0, -1, s38
	v_subrev_u32_e32 v8, s42, v5
	v_cmp_lt_u32_e32 vcc, s8, v8
	s_mov_b64 s[10:11], -1
	v_mov_b32_e32 v5, v0
	s_and_saveexec_b64 s[8:9], vcc
	s_cbranch_execz .LBB254_35
; %bb.27:
	v_lshrrev_b32_e32 v8, 7, v8
	v_add_u32_e32 v11, -1, v8
	v_lshrrev_b32_e32 v9, 1, v11
	v_mov_b32_e32 v5, v4
	v_add_u32_e32 v9, 1, v9
	v_cmp_lt_u32_e32 vcc, 13, v11
	v_mov_b32_e32 v13, 0
	s_and_saveexec_b64 s[10:11], vcc
	s_cbranch_execz .LBB254_31
; %bb.28:
	v_mov_b32_e32 v12, 0x50
	v_and_b32_e32 v11, -8, v9
	v_lshl_add_u32 v12, v0, 2, v12
	s_mov_b32 s18, 0
	s_mov_b64 s[12:13], 0
.LBB254_29:                             ; =>This Inner Loop Header: Depth=1
	ds_read2st64_b32 v[14:15], v12 offset1:2
	ds_read2st64_b32 v[16:17], v12 offset0:4 offset1:6
	ds_read2st64_b32 v[18:19], v12 offset0:8 offset1:10
	;; [unrolled: 1-line block ×3, first 2 shown]
	v_add_u32_e32 v11, -8, v11
	s_waitcnt lgkmcnt(3)
	v_pk_mul_f32 v[14:15], v[4:5], v[14:15]
	s_waitcnt lgkmcnt(2)
	v_pk_mul_f32 v[16:17], v[4:5], v[16:17]
	ds_write2st64_b32 v12, v14, v15 offset1:2
	ds_write2st64_b32 v12, v16, v17 offset0:4 offset1:6
	ds_read2st64_b32 v[16:17], v12 offset0:16 offset1:18
	s_waitcnt lgkmcnt(4)
	v_pk_mul_f32 v[14:15], v[4:5], v[18:19]
	ds_write2st64_b32 v12, v14, v15 offset0:8 offset1:10
	s_waitcnt lgkmcnt(4)
	v_pk_mul_f32 v[14:15], v[4:5], v[20:21]
	ds_write2st64_b32 v12, v14, v15 offset0:12 offset1:14
	ds_read2st64_b32 v[14:15], v12 offset0:20 offset1:22
	s_waitcnt lgkmcnt(3)
	v_pk_mul_f32 v[16:17], v[4:5], v[16:17]
	ds_read2st64_b32 v[18:19], v12 offset0:24 offset1:26
	ds_write2st64_b32 v12, v16, v17 offset0:16 offset1:18
	ds_read2st64_b32 v[16:17], v12 offset0:28 offset1:30
	s_waitcnt lgkmcnt(3)
	v_pk_mul_f32 v[14:15], v[4:5], v[14:15]
	ds_write2st64_b32 v12, v14, v15 offset0:20 offset1:22
	s_waitcnt lgkmcnt(3)
	v_pk_mul_f32 v[14:15], v[4:5], v[18:19]
	ds_write2st64_b32 v12, v14, v15 offset0:24 offset1:26
	s_waitcnt lgkmcnt(2)
	v_pk_mul_f32 v[14:15], v[4:5], v[16:17]
	s_add_i32 s18, s18, 16
	v_cmp_eq_u32_e32 vcc, 0, v11
	ds_write2st64_b32 v12, v14, v15 offset0:28 offset1:30
	v_add_u32_e32 v12, 0x2000, v12
	s_or_b64 s[12:13], vcc, s[12:13]
	v_mov_b32_e32 v13, s18
	s_andn2_b64 exec, exec, s[12:13]
	s_cbranch_execnz .LBB254_29
; %bb.30:
	s_or_b64 exec, exec, s[12:13]
.LBB254_31:
	s_or_b64 exec, exec, s[10:11]
	v_and_b32_e32 v9, 7, v9
	v_cmp_ne_u32_e32 vcc, 0, v9
	s_and_saveexec_b64 s[10:11], vcc
	s_cbranch_execz .LBB254_34
; %bb.32:
	v_lshlrev_b32_e32 v11, 9, v13
	v_lshlrev_b32_e32 v12, 2, v0
	s_movk_i32 s12, 0x50
	v_add3_u32 v11, v11, v12, s12
	s_mov_b64 s[12:13], 0
.LBB254_33:                             ; =>This Inner Loop Header: Depth=1
	ds_read2st64_b32 v[12:13], v11 offset1:2
	v_add_u32_e32 v9, -1, v9
	v_cmp_eq_u32_e32 vcc, 0, v9
	s_or_b64 s[12:13], vcc, s[12:13]
	s_waitcnt lgkmcnt(0)
	v_pk_mul_f32 v[12:13], v[4:5], v[12:13]
	ds_write2st64_b32 v11, v12, v13 offset1:2
	v_add_u32_e32 v11, 0x400, v11
	s_andn2_b64 exec, exec, s[12:13]
	s_cbranch_execnz .LBB254_33
.LBB254_34:
	s_or_b64 exec, exec, s[10:11]
	v_add_u32_e32 v8, 1, v8
	v_and_b32_e32 v9, 0x3fffffe, v8
	v_cmp_ne_u32_e32 vcc, v8, v9
	v_lshl_add_u32 v5, v9, 7, v0
	s_orn2_b64 s[10:11], vcc, exec
.LBB254_35:
	s_or_b64 exec, exec, s[8:9]
	s_and_b64 exec, exec, s[10:11]
	s_cbranch_execz .LBB254_38
; %bb.36:
	v_mov_b32_e32 v8, 0x50
	v_lshl_add_u32 v8, v5, 2, v8
	s_mov_b64 s[8:9], 0
.LBB254_37:                             ; =>This Inner Loop Header: Depth=1
	ds_read_b32 v9, v8
	v_add_u32_e32 v5, 0x80, v5
	v_cmp_le_i32_e32 vcc, s3, v5
	s_or_b64 s[8:9], vcc, s[8:9]
	s_waitcnt lgkmcnt(0)
	v_mul_f32_e32 v9, v4, v9
	ds_write_b32 v8, v9
	v_add_u32_e32 v8, 0x200, v8
	s_andn2_b64 exec, exec, s[8:9]
	s_cbranch_execnz .LBB254_37
.LBB254_38:
	s_or_b64 exec, exec, s[0:1]
	s_mul_i32 s0, s25, s28
	v_cmp_eq_u32_e32 vcc, 0, v0
	s_mul_i32 s8, s0, s5
	s_waitcnt lgkmcnt(0)
	s_barrier
	s_and_saveexec_b64 s[0:1], vcc
	s_cbranch_execz .LBB254_40
; %bb.39:
	s_ashr_i32 s9, s8, 31
	s_lshl_b64 s[10:11], s[8:9], 2
	s_add_u32 s5, s22, s10
	s_mul_i32 s2, s25, s2
	s_addc_u32 s9, s23, s11
	s_ashr_i32 s3, s2, 31
	s_lshl_b64 s[2:3], s[2:3], 2
	s_add_u32 s18, s5, s2
	s_addc_u32 s9, s9, s3
	s_ashr_i32 s5, s4, 31
	s_lshl_b64 s[12:13], s[4:5], 2
	s_add_u32 s18, s18, s12
	s_addc_u32 s19, s9, s13
	s_add_u32 s5, s20, s10
	s_addc_u32 s9, s21, s11
	;; [unrolled: 2-line block ×3, first 2 shown]
	s_add_u32 s2, s2, s12
	v_mov_b32_e32 v4, 0
	s_addc_u32 s3, s3, s13
	global_store_dword v4, v6, s[18:19]
	global_store_dword v4, v7, s[2:3]
.LBB254_40:
	s_or_b64 exec, exec, s[0:1]
	v_mov_b32_e32 v11, 0
	s_and_saveexec_b64 s[2:3], s[6:7]
	s_cbranch_execz .LBB254_112
; %bb.41:
	s_ashr_i32 s1, s43, 31
	s_add_u32 s0, s36, s43
	s_addc_u32 s1, s37, s1
	v_lshlrev_b32_e32 v4, 3, v1
	v_mov_b32_e32 v5, 0
	v_lshl_add_u64 v[6:7], s[0:1], 0, v[4:5]
	s_add_i32 s9, s16, -1
	s_lshl_b64 s[0:1], s[34:35], 2
	s_add_u32 s0, s30, s0
	v_mov_b32_e32 v4, 0x50
	s_addc_u32 s1, s31, s1
	v_cmp_gt_u32_e32 vcc, 32, v1
	s_mov_b32 s5, s17
	s_mov_b32 s20, s29
	v_lshl_add_u32 v18, v10, 3, s42
	v_lshl_add_u32 v19, v10, 5, v4
	v_lshl_add_u64 v[8:9], v[2:3], 2, s[0:1]
	s_mov_b64 s[6:7], 0
	s_movk_i32 s21, 0x7f
	s_movk_i32 s22, 0x80
	s_mov_b32 s23, 0x8000
	s_movk_i32 s28, 0x380
	s_mov_b32 s30, 0x3020706
	s_mov_b32 s31, 0x1000504
	;; [unrolled: 1-line block ×3, first 2 shown]
	v_mov_b32_e32 v3, 0x1c00
	v_mov_b32_e32 v11, 0
	s_branch .LBB254_44
.LBB254_42:                             ;   in Loop: Header=BB254_44 Depth=1
	s_or_b64 exec, exec, s[12:13]
	v_and_b32_e32 v14, 0xffff, v20
	v_and_b32_e32 v15, 0xffff, v22
	v_lshl_or_b32 v14, v21, 16, v14
	v_lshl_or_b32 v15, v23, 16, v15
	v_and_b32_e32 v16, 0xffff, v24
	v_and_b32_e32 v17, 0xffff, v26
	;;#ASMSTART
	v_pk_mul_f16 v13, v14, v13;

	;;#ASMEND
	;;#ASMSTART
	v_pk_mul_f16 v4, v15, v4;

	;;#ASMEND
	v_lshl_or_b32 v16, v25, 16, v16
	v_lshl_or_b32 v17, v27, 16, v17
	;;#ASMSTART
	v_pk_mul_f16 v12, v16, v12;

	;;#ASMEND
	;;#ASMSTART
	v_pk_mul_f16 v10, v17, v10;

	;;#ASMEND
	;;#ASMSTART
	v_pk_add_f16 v4, v13, v4;

	;;#ASMEND
	s_nop 0
	;;#ASMSTART
	v_pk_add_f16 v4, v4, v12;

	;;#ASMEND
	s_nop 0
	;; [unrolled: 5-line block ×3, first 2 shown]
	v_lshrrev_b32_e32 v10, 16, v4
	v_and_b32_e32 v4, 0xffff, v4
	;;#ASMSTART
	v_cvt_f32_f16 v4, v4;
	;;#ASMEND
	;;#ASMSTART
	v_cvt_f32_f16 v10, v10;
	;;#ASMEND
	s_nop 0
	v_add_f32_e32 v4, v4, v10
	v_add_f32_e32 v11, v11, v4
.LBB254_43:                             ;   in Loop: Header=BB254_44 Depth=1
	s_or_b64 exec, exec, s[10:11]
	v_add_u32_e32 v2, 2, v2
	v_cmp_le_i32_e64 s[0:1], s33, v2
	v_add_u32_e32 v18, 16, v18
	v_add_u32_e32 v19, 64, v19
	s_or_b64 s[6:7], s[0:1], s[6:7]
	v_lshl_add_u64 v[8:9], v[8:9], 0, 8
	s_andn2_b64 exec, exec, s[6:7]
	s_cbranch_execz .LBB254_111
.LBB254_44:                             ; =>This Inner Loop Header: Depth=1
	ds_read2_b64 v[12:15], v19 offset1:1
	ds_read2_b64 v[24:27], v19 offset0:2 offset1:3
	s_waitcnt lgkmcnt(1)
	;;#ASMSTART
	v_cvt_f16_f32 v20, v12;

	;;#ASMEND
	;;#ASMSTART
	v_cvt_f16_f32 v21, v13;

	;;#ASMEND
	;; [unrolled: 4-line block ×4, first 2 shown]
	s_waitcnt lgkmcnt(0)
	;;#ASMSTART
	v_cvt_f16_f32 v24, v24;

	;;#ASMEND
	;;#ASMSTART
	v_cvt_f16_f32 v25, v25;

	;;#ASMEND
	;; [unrolled: 4-line block ×4, first 2 shown]
	s_and_saveexec_b64 s[10:11], vcc
	s_cbranch_execz .LBB254_43
; %bb.45:                               ;   in Loop: Header=BB254_44 Depth=1
	global_load_dword v4, v[8:9], off
                                        ; implicit-def: $sgpr18
	s_waitcnt vmcnt(0)
	v_mad_i64_i32 v[14:15], s[0:1], v4, s5, v[6:7]
	global_load_dwordx2 v[12:13], v[14:15], off
	global_load_dword v10, v5, s[14:15]
	s_mov_b64 s[0:1], 0
	s_waitcnt vmcnt(1)
	v_cmp_gt_i16_sdwa s[12:13], v12, s21 src0_sel:BYTE_0 src1_sel:DWORD
	s_and_saveexec_b64 s[16:17], s[12:13]
	s_xor_b64 s[12:13], exec, s[16:17]
	s_cbranch_execnz .LBB254_79
; %bb.46:                               ;   in Loop: Header=BB254_44 Depth=1
	s_or_saveexec_b64 s[12:13], s[12:13]
	v_mov_b32_e32 v14, s18
	s_xor_b64 exec, exec, s[12:13]
	s_cbranch_execnz .LBB254_82
.LBB254_47:                             ;   in Loop: Header=BB254_44 Depth=1
	s_or_b64 exec, exec, s[12:13]
	s_and_saveexec_b64 s[12:13], s[0:1]
	s_cbranch_execz .LBB254_49
.LBB254_48:                             ;   in Loop: Header=BB254_44 Depth=1
	v_and_b32_e32 v4, 7, v12
	v_ffbh_u32_e32 v4, v4
	v_bfe_u32 v14, v12, 3, 4
	v_min_u32_e32 v4, 32, v4
	v_subrev_u32_e32 v15, 28, v4
	v_sub_u32_e32 v4, 29, v4
	v_cmp_eq_u32_e64 s[0:1], 0, v14
	s_nop 1
	v_cndmask_b32_e64 v4, v14, v4, s[0:1]
	v_cndmask_b32_e64 v14, 0, v15, s[0:1]
	v_lshlrev_b64 v[14:15], v14, v[12:13]
	v_lshlrev_b32_e32 v15, 8, v12
	v_lshl_add_u32 v4, v4, 10, v3
	v_lshlrev_b32_e32 v14, 7, v14
	v_and_or_b32 v4, v15, s23, v4
	v_and_or_b32 v4, v14, s28, v4
	v_cvt_f32_f16_e32 v14, v4
.LBB254_49:                             ;   in Loop: Header=BB254_44 Depth=1
	s_or_b64 exec, exec, s[12:13]
	v_lshrrev_b16_e32 v4, 8, v12
	v_cmp_lt_i16_e64 s[0:1], s21, v4
	s_mov_b64 s[12:13], 0
                                        ; implicit-def: $sgpr35
	s_and_saveexec_b64 s[16:17], s[0:1]
	s_xor_b64 s[16:17], exec, s[16:17]
	s_cbranch_execnz .LBB254_83
; %bb.50:                               ;   in Loop: Header=BB254_44 Depth=1
	s_or_saveexec_b64 s[16:17], s[16:17]
	v_mov_b32_e32 v16, s35
	s_xor_b64 exec, exec, s[16:17]
	s_cbranch_execnz .LBB254_86
.LBB254_51:                             ;   in Loop: Header=BB254_44 Depth=1
	s_or_b64 exec, exec, s[16:17]
	s_and_saveexec_b64 s[16:17], s[12:13]
	s_cbranch_execz .LBB254_53
.LBB254_52:                             ;   in Loop: Header=BB254_44 Depth=1
	v_and_b32_e32 v15, 7, v4
	v_ffbh_u32_e32 v16, v15
	v_min_u32_e32 v29, 32, v16
	v_subrev_u32_e32 v16, 28, v29
	v_bfe_u32 v28, v4, 3, 4
	v_lshlrev_b64 v[16:17], v16, v[4:5]
	v_sub_u32_e32 v17, 29, v29
	v_cmp_eq_u32_e64 s[0:1], 0, v28
	v_and_b32_e32 v16, 7, v16
	v_lshlrev_b32_e32 v4, 8, v4
	v_cndmask_b32_e64 v17, v28, v17, s[0:1]
	v_cndmask_b32_e64 v15, v15, v16, s[0:1]
	v_lshl_add_u32 v16, v17, 10, v3
	v_and_or_b32 v4, v4, s23, v16
	v_lshl_or_b32 v4, v15, 7, v4
	v_cvt_f32_f16_e32 v16, v4
.LBB254_53:                             ;   in Loop: Header=BB254_44 Depth=1
	s_or_b64 exec, exec, s[16:17]
	v_lshrrev_b32_e32 v4, 16, v12
	v_cmp_gt_i16_sdwa s[12:13], v4, s21 src0_sel:BYTE_0 src1_sel:DWORD
	s_mov_b64 s[0:1], 0
                                        ; implicit-def: $sgpr18
	s_and_saveexec_b64 s[16:17], s[12:13]
	s_xor_b64 s[12:13], exec, s[16:17]
	s_cbranch_execnz .LBB254_87
; %bb.54:                               ;   in Loop: Header=BB254_44 Depth=1
	s_or_saveexec_b64 s[12:13], s[12:13]
	v_mov_b32_e32 v15, s18
	s_xor_b64 exec, exec, s[12:13]
	s_cbranch_execnz .LBB254_90
.LBB254_55:                             ;   in Loop: Header=BB254_44 Depth=1
	s_or_b64 exec, exec, s[12:13]
	s_and_saveexec_b64 s[12:13], s[0:1]
	s_cbranch_execz .LBB254_57
.LBB254_56:                             ;   in Loop: Header=BB254_44 Depth=1
	v_bfe_u32 v15, v12, 16, 3
	v_ffbh_u32_e32 v28, v15
	v_min_u32_e32 v30, 32, v28
	v_subrev_u32_e32 v28, 28, v30
	v_bfe_u32 v17, v12, 19, 4
	v_lshlrev_b64 v[28:29], v28, v[4:5]
	v_sub_u32_e32 v29, 29, v30
	v_cmp_eq_u32_e64 s[0:1], 0, v17
	v_and_b32_e32 v28, 7, v28
	v_lshlrev_b32_e32 v4, 8, v4
	v_cndmask_b32_e64 v17, v17, v29, s[0:1]
	v_lshl_add_u32 v17, v17, 10, v3
	v_cndmask_b32_e64 v15, v15, v28, s[0:1]
	v_and_or_b32 v4, v4, s23, v17
	v_lshl_or_b32 v4, v15, 7, v4
	v_cvt_f32_f16_e32 v15, v4
.LBB254_57:                             ;   in Loop: Header=BB254_44 Depth=1
	s_or_b64 exec, exec, s[12:13]
	v_lshrrev_b32_e32 v4, 24, v12
	v_cmp_lt_i16_e64 s[0:1], s21, v4
	s_mov_b64 s[12:13], 0
                                        ; implicit-def: $sgpr35
	s_and_saveexec_b64 s[16:17], s[0:1]
	s_xor_b64 s[16:17], exec, s[16:17]
	s_cbranch_execnz .LBB254_91
; %bb.58:                               ;   in Loop: Header=BB254_44 Depth=1
	s_or_saveexec_b64 s[16:17], s[16:17]
	v_mov_b32_e32 v17, s35
	s_xor_b64 exec, exec, s[16:17]
	s_cbranch_execnz .LBB254_94
.LBB254_59:                             ;   in Loop: Header=BB254_44 Depth=1
	s_or_b64 exec, exec, s[16:17]
	s_and_saveexec_b64 s[16:17], s[12:13]
	s_cbranch_execz .LBB254_61
.LBB254_60:                             ;   in Loop: Header=BB254_44 Depth=1
	v_bfe_u32 v17, v12, 24, 3
	v_ffbh_u32_e32 v28, v17
	v_min_u32_e32 v30, 32, v28
	v_subrev_u32_e32 v28, 28, v30
	v_bfe_u32 v12, v12, 27, 4
	v_lshlrev_b64 v[28:29], v28, v[4:5]
	v_sub_u32_e32 v29, 29, v30
	v_cmp_eq_u32_e64 s[0:1], 0, v12
	v_and_b32_e32 v28, 7, v28
	v_lshlrev_b32_e32 v4, 8, v4
	v_cndmask_b32_e64 v12, v12, v29, s[0:1]
	v_lshl_add_u32 v12, v12, 10, v3
	v_cndmask_b32_e64 v17, v17, v28, s[0:1]
	v_and_or_b32 v4, v4, s23, v12
	v_lshl_or_b32 v4, v17, 7, v4
	v_cvt_f32_f16_e32 v17, v4
.LBB254_61:                             ;   in Loop: Header=BB254_44 Depth=1
	s_or_b64 exec, exec, s[16:17]
	v_cmp_gt_i16_sdwa s[12:13], v13, s21 src0_sel:BYTE_0 src1_sel:DWORD
	s_mov_b64 s[0:1], 0
                                        ; implicit-def: $sgpr18
	s_and_saveexec_b64 s[16:17], s[12:13]
	s_xor_b64 s[12:13], exec, s[16:17]
	s_cbranch_execnz .LBB254_95
; %bb.62:                               ;   in Loop: Header=BB254_44 Depth=1
	s_or_saveexec_b64 s[12:13], s[12:13]
	v_mov_b32_e32 v12, s18
	s_xor_b64 exec, exec, s[12:13]
	s_cbranch_execnz .LBB254_98
.LBB254_63:                             ;   in Loop: Header=BB254_44 Depth=1
	s_or_b64 exec, exec, s[12:13]
	v_mov_b32_e32 v4, v13
	s_and_saveexec_b64 s[12:13], s[0:1]
	s_cbranch_execz .LBB254_65
.LBB254_64:                             ;   in Loop: Header=BB254_44 Depth=1
	v_and_b32_e32 v12, 7, v13
	v_ffbh_u32_e32 v12, v12
	v_bfe_u32 v28, v13, 3, 4
	v_min_u32_e32 v12, 32, v12
	v_subrev_u32_e32 v29, 28, v12
	v_sub_u32_e32 v12, 29, v12
	v_cmp_eq_u32_e64 s[0:1], 0, v28
	s_nop 1
	v_cndmask_b32_e64 v12, v28, v12, s[0:1]
	v_cndmask_b32_e64 v28, 0, v29, s[0:1]
	v_lshlrev_b64 v[28:29], v28, v[4:5]
	v_lshlrev_b32_e32 v29, 8, v13
	v_lshl_add_u32 v12, v12, 10, v3
	v_lshlrev_b32_e32 v28, 7, v28
	v_and_or_b32 v12, v29, s23, v12
	v_and_or_b32 v12, v28, s28, v12
	v_cvt_f32_f16_e32 v12, v12
.LBB254_65:                             ;   in Loop: Header=BB254_44 Depth=1
	s_or_b64 exec, exec, s[12:13]
	v_lshrrev_b16_e32 v4, 8, v4
	v_cmp_lt_i16_e64 s[0:1], s21, v4
	s_mov_b64 s[12:13], 0
                                        ; implicit-def: $sgpr35
	s_and_saveexec_b64 s[16:17], s[0:1]
	s_xor_b64 s[16:17], exec, s[16:17]
	s_cbranch_execnz .LBB254_99
; %bb.66:                               ;   in Loop: Header=BB254_44 Depth=1
	s_or_saveexec_b64 s[16:17], s[16:17]
	v_mov_b32_e32 v28, s35
	s_xor_b64 exec, exec, s[16:17]
	s_cbranch_execnz .LBB254_102
.LBB254_67:                             ;   in Loop: Header=BB254_44 Depth=1
	s_or_b64 exec, exec, s[16:17]
	s_and_saveexec_b64 s[16:17], s[12:13]
	s_cbranch_execz .LBB254_69
.LBB254_68:                             ;   in Loop: Header=BB254_44 Depth=1
	v_and_b32_e32 v30, 7, v4
	v_ffbh_u32_e32 v28, v30
	v_min_u32_e32 v32, 32, v28
	v_subrev_u32_e32 v28, 28, v32
	v_bfe_u32 v31, v4, 3, 4
	v_lshlrev_b64 v[28:29], v28, v[4:5]
	v_sub_u32_e32 v29, 29, v32
	v_cmp_eq_u32_e64 s[0:1], 0, v31
	v_and_b32_e32 v28, 7, v28
	v_lshlrev_b32_e32 v4, 8, v4
	v_cndmask_b32_e64 v29, v31, v29, s[0:1]
	v_lshl_add_u32 v29, v29, 10, v3
	v_cndmask_b32_e64 v28, v30, v28, s[0:1]
	v_and_or_b32 v4, v4, s23, v29
	v_lshl_or_b32 v4, v28, 7, v4
	v_cvt_f32_f16_e32 v28, v4
.LBB254_69:                             ;   in Loop: Header=BB254_44 Depth=1
	s_or_b64 exec, exec, s[16:17]
	v_lshrrev_b32_e32 v4, 16, v13
	v_cmp_gt_i16_sdwa s[12:13], v4, s21 src0_sel:BYTE_0 src1_sel:DWORD
	s_mov_b64 s[0:1], 0
                                        ; implicit-def: $sgpr18
	s_and_saveexec_b64 s[16:17], s[12:13]
	s_xor_b64 s[12:13], exec, s[16:17]
	s_cbranch_execnz .LBB254_103
; %bb.70:                               ;   in Loop: Header=BB254_44 Depth=1
	s_or_saveexec_b64 s[12:13], s[12:13]
	v_mov_b32_e32 v29, s18
	s_xor_b64 exec, exec, s[12:13]
	s_cbranch_execnz .LBB254_106
.LBB254_71:                             ;   in Loop: Header=BB254_44 Depth=1
	s_or_b64 exec, exec, s[12:13]
	s_and_saveexec_b64 s[12:13], s[0:1]
	s_cbranch_execz .LBB254_73
.LBB254_72:                             ;   in Loop: Header=BB254_44 Depth=1
	v_bfe_u32 v29, v13, 16, 3
	v_ffbh_u32_e32 v30, v29
	v_min_u32_e32 v33, 32, v30
	v_subrev_u32_e32 v30, 28, v33
	v_bfe_u32 v32, v13, 19, 4
	v_lshlrev_b64 v[30:31], v30, v[4:5]
	v_sub_u32_e32 v31, 29, v33
	v_cmp_eq_u32_e64 s[0:1], 0, v32
	v_and_b32_e32 v30, 7, v30
	v_lshlrev_b32_e32 v4, 8, v4
	v_cndmask_b32_e64 v31, v32, v31, s[0:1]
	v_cndmask_b32_e64 v29, v29, v30, s[0:1]
	v_lshl_add_u32 v30, v31, 10, v3
	v_and_or_b32 v4, v4, s23, v30
	v_lshl_or_b32 v4, v29, 7, v4
	v_cvt_f32_f16_e32 v29, v4
.LBB254_73:                             ;   in Loop: Header=BB254_44 Depth=1
	s_or_b64 exec, exec, s[12:13]
	v_lshrrev_b32_e32 v4, 24, v13
	v_cmp_lt_i16_e64 s[0:1], s21, v4
	s_mov_b64 s[12:13], 0
                                        ; implicit-def: $sgpr35
	s_and_saveexec_b64 s[16:17], s[0:1]
	s_xor_b64 s[16:17], exec, s[16:17]
	s_cbranch_execnz .LBB254_107
; %bb.74:                               ;   in Loop: Header=BB254_44 Depth=1
	s_or_saveexec_b64 s[16:17], s[16:17]
	v_mov_b32_e32 v30, s35
	s_xor_b64 exec, exec, s[16:17]
	s_cbranch_execnz .LBB254_110
.LBB254_75:                             ;   in Loop: Header=BB254_44 Depth=1
	s_or_b64 exec, exec, s[16:17]
	s_and_saveexec_b64 s[16:17], s[12:13]
	s_cbranch_execz .LBB254_77
.LBB254_76:                             ;   in Loop: Header=BB254_44 Depth=1
	v_bfe_u32 v32, v13, 24, 3
	v_ffbh_u32_e32 v30, v32
	v_min_u32_e32 v33, 32, v30
	v_subrev_u32_e32 v30, 28, v33
	v_bfe_u32 v13, v13, 27, 4
	v_lshlrev_b64 v[30:31], v30, v[4:5]
	v_sub_u32_e32 v31, 29, v33
	v_cmp_eq_u32_e64 s[0:1], 0, v13
	v_and_b32_e32 v30, 7, v30
	v_lshlrev_b32_e32 v4, 8, v4
	v_cndmask_b32_e64 v13, v13, v31, s[0:1]
	v_lshl_add_u32 v13, v13, 10, v3
	v_cndmask_b32_e64 v30, v32, v30, s[0:1]
	v_and_or_b32 v4, v4, s23, v13
	v_lshl_or_b32 v4, v30, 7, v4
	v_cvt_f32_f16_e32 v30, v4
.LBB254_77:                             ;   in Loop: Header=BB254_44 Depth=1
	s_or_b64 exec, exec, s[16:17]
	s_waitcnt vmcnt(0)
	v_pk_mul_f32 v[16:17], v[10:11], v[16:17] op_sel_hi:[0,1]
	v_pk_mul_f32 v[14:15], v[10:11], v[14:15] op_sel_hi:[0,1]
	v_cvt_f16_f32_e32 v4, v17
	v_cvt_f16_f32_e32 v13, v16
	v_cvt_f16_f32_e32 v15, v15
	v_cvt_f16_f32_e32 v14, v14
	v_fma_mixlo_f16 v12, v10, v12, 0
	v_pack_b32_f16 v13, v13, v4
	v_cmp_eq_u32_e64 s[0:1], s9, v2
	v_pack_b32_f16 v14, v14, v15
	v_perm_b32 v4, v14, v13, s30
	v_perm_b32 v13, v14, v13, s31
	v_fma_mixlo_f16 v14, v10, v28, 0
	v_lshlrev_b32_e32 v14, 16, v14
	v_or_b32_sdwa v12, v14, v12 dst_sel:DWORD dst_unused:UNUSED_PAD src0_sel:DWORD src1_sel:WORD_0
	v_fma_mixlo_f16 v14, v10, v29, 0
	v_fma_mixlo_f16 v10, v10, v30, 0
	v_lshlrev_b32_e32 v10, 16, v10
	v_or_b32_sdwa v10, v10, v14 dst_sel:DWORD dst_unused:UNUSED_PAD src0_sel:DWORD src1_sel:WORD_0
	s_and_saveexec_b64 s[12:13], s[0:1]
	s_cbranch_execz .LBB254_42
; %bb.78:                               ;   in Loop: Header=BB254_44 Depth=1
	v_add_u32_e32 v15, 1, v18
	v_lshrrev_b32_e32 v16, 16, v13
	v_cmp_gt_i32_e64 s[0:1], s20, v15
	v_lshrrev_b32_e32 v17, 16, v4
	v_lshrrev_b32_e32 v10, 16, v10
	v_cndmask_b32_e64 v15, 0, v16, s[0:1]
	v_cmp_gt_i32_e64 s[0:1], s29, v18
	v_or_b32_e32 v16, 2, v18
	s_nop 0
	v_cndmask_b32_e64 v13, 0, v13, s[0:1]
	v_perm_b32 v13, v15, v13, s34
	v_or_b32_e32 v15, 3, v18
	v_cmp_gt_i32_e64 s[0:1], s20, v15
	s_nop 1
	v_cndmask_b32_e64 v15, 0, v17, s[0:1]
	v_cmp_gt_i32_e64 s[0:1], s29, v16
	v_or_b32_e32 v16, 4, v18
	v_lshrrev_b32_e32 v17, 16, v12
	v_cndmask_b32_e64 v4, 0, v4, s[0:1]
	v_perm_b32 v4, v15, v4, s34
	v_or_b32_e32 v15, 5, v18
	v_cmp_gt_i32_e64 s[0:1], s20, v15
	s_nop 1
	v_cndmask_b32_e64 v15, 0, v17, s[0:1]
	v_cmp_gt_i32_e64 s[0:1], s29, v16
	v_or_b32_e32 v16, 6, v18
	s_nop 0
	v_cndmask_b32_e64 v12, 0, v12, s[0:1]
	v_perm_b32 v12, v15, v12, s34
	v_or_b32_e32 v15, 7, v18
	v_cmp_gt_i32_e64 s[0:1], s20, v15
	s_nop 1
	v_cndmask_b32_e64 v10, 0, v10, s[0:1]
	v_cmp_gt_i32_e64 s[0:1], s29, v16
	s_nop 1
	v_cndmask_b32_e64 v14, 0, v14, s[0:1]
	v_perm_b32 v10, v10, v14, s34
	s_branch .LBB254_42
.LBB254_79:                             ;   in Loop: Header=BB254_44 Depth=1
	v_cmp_eq_u16_sdwa s[36:37], v12, s22 src0_sel:BYTE_0 src1_sel:DWORD
	s_mov_b64 s[0:1], -1
                                        ; implicit-def: $sgpr18
	s_and_saveexec_b64 s[16:17], s[36:37]
; %bb.80:                               ;   in Loop: Header=BB254_44 Depth=1
	s_mov_b32 s18, 0x7fc02000
	s_xor_b64 s[0:1], exec, -1
; %bb.81:                               ;   in Loop: Header=BB254_44 Depth=1
	s_or_b64 exec, exec, s[16:17]
	s_and_b64 s[0:1], s[0:1], exec
	s_or_saveexec_b64 s[12:13], s[12:13]
	v_mov_b32_e32 v14, s18
	s_xor_b64 exec, exec, s[12:13]
	s_cbranch_execz .LBB254_47
.LBB254_82:                             ;   in Loop: Header=BB254_44 Depth=1
	v_cmp_ne_u16_sdwa s[16:17], v12, v5 src0_sel:BYTE_0 src1_sel:DWORD
	s_andn2_b64 s[0:1], s[0:1], exec
	s_and_b64 s[16:17], s[16:17], exec
	v_mov_b32_e32 v14, 0
	s_or_b64 s[0:1], s[0:1], s[16:17]
	s_or_b64 exec, exec, s[12:13]
	s_and_saveexec_b64 s[12:13], s[0:1]
	s_cbranch_execnz .LBB254_48
	s_branch .LBB254_49
.LBB254_83:                             ;   in Loop: Header=BB254_44 Depth=1
	v_cmp_eq_u16_e64 s[0:1], s22, v4
	s_mov_b64 s[12:13], -1
                                        ; implicit-def: $sgpr35
	s_and_saveexec_b64 s[18:19], s[0:1]
; %bb.84:                               ;   in Loop: Header=BB254_44 Depth=1
	s_mov_b32 s35, 0x7fc02000
	s_xor_b64 s[12:13], exec, -1
; %bb.85:                               ;   in Loop: Header=BB254_44 Depth=1
	s_or_b64 exec, exec, s[18:19]
	s_and_b64 s[12:13], s[12:13], exec
	s_or_saveexec_b64 s[16:17], s[16:17]
	v_mov_b32_e32 v16, s35
	s_xor_b64 exec, exec, s[16:17]
	s_cbranch_execz .LBB254_51
.LBB254_86:                             ;   in Loop: Header=BB254_44 Depth=1
	v_cmp_ne_u16_e64 s[0:1], 0, v4
	s_andn2_b64 s[12:13], s[12:13], exec
	s_and_b64 s[0:1], s[0:1], exec
	v_mov_b32_e32 v16, 0
	s_or_b64 s[12:13], s[12:13], s[0:1]
	s_or_b64 exec, exec, s[16:17]
	s_and_saveexec_b64 s[16:17], s[12:13]
	s_cbranch_execnz .LBB254_52
	s_branch .LBB254_53
.LBB254_87:                             ;   in Loop: Header=BB254_44 Depth=1
	v_cmp_eq_u16_sdwa s[36:37], v4, s22 src0_sel:BYTE_0 src1_sel:DWORD
	s_mov_b64 s[0:1], -1
                                        ; implicit-def: $sgpr18
	s_and_saveexec_b64 s[16:17], s[36:37]
; %bb.88:                               ;   in Loop: Header=BB254_44 Depth=1
	s_mov_b32 s18, 0x7fc02000
	s_xor_b64 s[0:1], exec, -1
; %bb.89:                               ;   in Loop: Header=BB254_44 Depth=1
	s_or_b64 exec, exec, s[16:17]
	s_and_b64 s[0:1], s[0:1], exec
	s_or_saveexec_b64 s[12:13], s[12:13]
	v_mov_b32_e32 v15, s18
	s_xor_b64 exec, exec, s[12:13]
	s_cbranch_execz .LBB254_55
.LBB254_90:                             ;   in Loop: Header=BB254_44 Depth=1
	v_cmp_ne_u16_sdwa s[16:17], v4, v5 src0_sel:BYTE_0 src1_sel:DWORD
	s_andn2_b64 s[0:1], s[0:1], exec
	s_and_b64 s[16:17], s[16:17], exec
	v_mov_b32_e32 v15, 0
	s_or_b64 s[0:1], s[0:1], s[16:17]
	s_or_b64 exec, exec, s[12:13]
	s_and_saveexec_b64 s[12:13], s[0:1]
	s_cbranch_execnz .LBB254_56
	s_branch .LBB254_57
.LBB254_91:                             ;   in Loop: Header=BB254_44 Depth=1
	v_cmp_eq_u16_e64 s[0:1], s22, v4
	s_mov_b64 s[12:13], -1
                                        ; implicit-def: $sgpr35
	s_and_saveexec_b64 s[18:19], s[0:1]
; %bb.92:                               ;   in Loop: Header=BB254_44 Depth=1
	s_mov_b32 s35, 0x7fc02000
	s_xor_b64 s[12:13], exec, -1
; %bb.93:                               ;   in Loop: Header=BB254_44 Depth=1
	s_or_b64 exec, exec, s[18:19]
	s_and_b64 s[12:13], s[12:13], exec
	s_or_saveexec_b64 s[16:17], s[16:17]
	v_mov_b32_e32 v17, s35
	s_xor_b64 exec, exec, s[16:17]
	s_cbranch_execz .LBB254_59
.LBB254_94:                             ;   in Loop: Header=BB254_44 Depth=1
	v_cmp_ne_u16_e64 s[0:1], 0, v4
	s_andn2_b64 s[12:13], s[12:13], exec
	s_and_b64 s[0:1], s[0:1], exec
	v_mov_b32_e32 v17, 0
	s_or_b64 s[12:13], s[12:13], s[0:1]
	s_or_b64 exec, exec, s[16:17]
	s_and_saveexec_b64 s[16:17], s[12:13]
	s_cbranch_execnz .LBB254_60
	s_branch .LBB254_61
.LBB254_95:                             ;   in Loop: Header=BB254_44 Depth=1
	v_cmp_eq_u16_sdwa s[36:37], v13, s22 src0_sel:BYTE_0 src1_sel:DWORD
	s_mov_b64 s[0:1], -1
                                        ; implicit-def: $sgpr18
	s_and_saveexec_b64 s[16:17], s[36:37]
; %bb.96:                               ;   in Loop: Header=BB254_44 Depth=1
	s_mov_b32 s18, 0x7fc02000
	s_xor_b64 s[0:1], exec, -1
; %bb.97:                               ;   in Loop: Header=BB254_44 Depth=1
	s_or_b64 exec, exec, s[16:17]
	s_and_b64 s[0:1], s[0:1], exec
	s_or_saveexec_b64 s[12:13], s[12:13]
	v_mov_b32_e32 v12, s18
	s_xor_b64 exec, exec, s[12:13]
	s_cbranch_execz .LBB254_63
.LBB254_98:                             ;   in Loop: Header=BB254_44 Depth=1
	v_cmp_ne_u16_sdwa s[16:17], v13, v5 src0_sel:BYTE_0 src1_sel:DWORD
	s_andn2_b64 s[0:1], s[0:1], exec
	s_and_b64 s[16:17], s[16:17], exec
	v_mov_b32_e32 v12, 0
	s_or_b64 s[0:1], s[0:1], s[16:17]
	s_or_b64 exec, exec, s[12:13]
	v_mov_b32_e32 v4, v13
	s_and_saveexec_b64 s[12:13], s[0:1]
	s_cbranch_execnz .LBB254_64
	s_branch .LBB254_65
.LBB254_99:                             ;   in Loop: Header=BB254_44 Depth=1
	v_cmp_eq_u16_e64 s[0:1], s22, v4
	s_mov_b64 s[12:13], -1
                                        ; implicit-def: $sgpr35
	s_and_saveexec_b64 s[18:19], s[0:1]
; %bb.100:                              ;   in Loop: Header=BB254_44 Depth=1
	s_mov_b32 s35, 0x7fc02000
	s_xor_b64 s[12:13], exec, -1
; %bb.101:                              ;   in Loop: Header=BB254_44 Depth=1
	s_or_b64 exec, exec, s[18:19]
	s_and_b64 s[12:13], s[12:13], exec
	s_or_saveexec_b64 s[16:17], s[16:17]
	v_mov_b32_e32 v28, s35
	s_xor_b64 exec, exec, s[16:17]
	s_cbranch_execz .LBB254_67
.LBB254_102:                            ;   in Loop: Header=BB254_44 Depth=1
	v_cmp_ne_u16_e64 s[0:1], 0, v4
	s_andn2_b64 s[12:13], s[12:13], exec
	s_and_b64 s[0:1], s[0:1], exec
	v_mov_b32_e32 v28, 0
	s_or_b64 s[12:13], s[12:13], s[0:1]
	s_or_b64 exec, exec, s[16:17]
	s_and_saveexec_b64 s[16:17], s[12:13]
	s_cbranch_execnz .LBB254_68
	s_branch .LBB254_69
.LBB254_103:                            ;   in Loop: Header=BB254_44 Depth=1
	v_cmp_eq_u16_sdwa s[36:37], v4, s22 src0_sel:BYTE_0 src1_sel:DWORD
	s_mov_b64 s[0:1], -1
                                        ; implicit-def: $sgpr18
	s_and_saveexec_b64 s[16:17], s[36:37]
; %bb.104:                              ;   in Loop: Header=BB254_44 Depth=1
	s_mov_b32 s18, 0x7fc02000
	s_xor_b64 s[0:1], exec, -1
; %bb.105:                              ;   in Loop: Header=BB254_44 Depth=1
	s_or_b64 exec, exec, s[16:17]
	s_and_b64 s[0:1], s[0:1], exec
	s_or_saveexec_b64 s[12:13], s[12:13]
	v_mov_b32_e32 v29, s18
	s_xor_b64 exec, exec, s[12:13]
	s_cbranch_execz .LBB254_71
.LBB254_106:                            ;   in Loop: Header=BB254_44 Depth=1
	v_cmp_ne_u16_sdwa s[16:17], v4, v5 src0_sel:BYTE_0 src1_sel:DWORD
	s_andn2_b64 s[0:1], s[0:1], exec
	s_and_b64 s[16:17], s[16:17], exec
	v_mov_b32_e32 v29, 0
	s_or_b64 s[0:1], s[0:1], s[16:17]
	s_or_b64 exec, exec, s[12:13]
	s_and_saveexec_b64 s[12:13], s[0:1]
	s_cbranch_execnz .LBB254_72
	s_branch .LBB254_73
.LBB254_107:                            ;   in Loop: Header=BB254_44 Depth=1
	v_cmp_eq_u16_e64 s[0:1], s22, v4
	s_mov_b64 s[12:13], -1
                                        ; implicit-def: $sgpr35
	s_and_saveexec_b64 s[18:19], s[0:1]
; %bb.108:                              ;   in Loop: Header=BB254_44 Depth=1
	s_mov_b32 s35, 0x7fc02000
	s_xor_b64 s[12:13], exec, -1
; %bb.109:                              ;   in Loop: Header=BB254_44 Depth=1
	s_or_b64 exec, exec, s[18:19]
	s_and_b64 s[12:13], s[12:13], exec
	s_or_saveexec_b64 s[16:17], s[16:17]
	v_mov_b32_e32 v30, s35
	s_xor_b64 exec, exec, s[16:17]
	s_cbranch_execz .LBB254_75
.LBB254_110:                            ;   in Loop: Header=BB254_44 Depth=1
	v_cmp_ne_u16_e64 s[0:1], 0, v4
	s_andn2_b64 s[12:13], s[12:13], exec
	s_and_b64 s[0:1], s[0:1], exec
	v_mov_b32_e32 v30, 0
	s_or_b64 s[12:13], s[12:13], s[0:1]
	s_or_b64 exec, exec, s[16:17]
	s_and_saveexec_b64 s[16:17], s[12:13]
	s_cbranch_execnz .LBB254_76
	s_branch .LBB254_77
.LBB254_111:
	s_or_b64 exec, exec, s[6:7]
.LBB254_112:
	s_or_b64 exec, exec, s[2:3]
	v_and_b32_e32 v2, 0x3c0, v0
	v_cmp_eq_u32_e64 s[0:1], 64, v2
	v_cmp_gt_u32_e32 vcc, 32, v1
	s_and_b64 s[2:3], s[0:1], vcc
	s_barrier
	s_and_saveexec_b64 s[0:1], s[2:3]
	s_cbranch_execz .LBB254_114
; %bb.113:
	v_mov_b32_e32 v2, 0x50
	v_lshl_add_u32 v2, v1, 2, v2
	ds_write_b32 v2, v11
.LBB254_114:
	s_or_b64 exec, exec, s[0:1]
	v_cmp_gt_u32_e64 s[0:1], 64, v0
	s_and_b64 s[0:1], s[0:1], vcc
	s_waitcnt lgkmcnt(0)
	s_barrier
	s_and_saveexec_b64 s[2:3], s[0:1]
	s_cbranch_execz .LBB254_116
; %bb.115:
	v_mov_b32_e32 v0, 0x50
	v_lshl_add_u32 v0, v1, 2, v0
	ds_read_b32 v0, v0
	s_waitcnt lgkmcnt(0)
	v_add_f32_e32 v11, v11, v0
.LBB254_116:
	s_or_b64 exec, exec, s[2:3]
	s_barrier
	s_and_saveexec_b64 s[2:3], s[0:1]
	s_cbranch_execz .LBB254_118
; %bb.117:
	s_lshl_b32 s0, s8, 5
	s_ashr_i32 s1, s0, 31
	s_lshl_b64 s[0:1], s[0:1], 1
	s_add_u32 s2, s26, s0
	s_mul_i32 s0, s25, s24
	s_addc_u32 s3, s27, s1
	s_ashr_i32 s1, s0, 31
	s_lshl_b64 s[0:1], s[0:1], 1
	s_add_u32 s2, s2, s0
	s_addc_u32 s3, s3, s1
	s_lshl_b32 s0, s4, 5
	s_ashr_i32 s1, s0, 31
	s_lshl_b64 s[0:1], s[0:1], 1
	s_add_u32 s0, s2, s0
	s_addc_u32 s1, s3, s1
	v_lshlrev_b32_e32 v0, 1, v1
	;;#ASMSTART
	v_cvt_f16_f32 v1, v11;

	;;#ASMEND
	global_store_short v0, v1, s[0:1]
.LBB254_118:
	s_endpgm
	.section	.rodata,"a",@progbits
	.p2align	6, 0x0
	.amdhsa_kernel _ZN4vllm25paged_attention_v2_kernelIthLi32ELi8ELi128ELNS_18Fp8KVCacheDataTypeE1ELb0ELi512EEEvPfS2_PT_PKS3_PKT0_S9_ifPKiSB_iPKfiiiSD_SD_iiiii
		.amdhsa_group_segment_fixed_size 80
		.amdhsa_private_segment_fixed_size 0
		.amdhsa_kernarg_size 400
		.amdhsa_user_sgpr_count 2
		.amdhsa_user_sgpr_dispatch_ptr 0
		.amdhsa_user_sgpr_queue_ptr 0
		.amdhsa_user_sgpr_kernarg_segment_ptr 1
		.amdhsa_user_sgpr_dispatch_id 0
		.amdhsa_user_sgpr_kernarg_preload_length 0
		.amdhsa_user_sgpr_kernarg_preload_offset 0
		.amdhsa_user_sgpr_private_segment_size 0
		.amdhsa_uses_dynamic_stack 0
		.amdhsa_enable_private_segment 0
		.amdhsa_system_sgpr_workgroup_id_x 1
		.amdhsa_system_sgpr_workgroup_id_y 1
		.amdhsa_system_sgpr_workgroup_id_z 1
		.amdhsa_system_sgpr_workgroup_info 0
		.amdhsa_system_vgpr_workitem_id 0
		.amdhsa_next_free_vgpr 34
		.amdhsa_next_free_sgpr 46
		.amdhsa_accum_offset 36
		.amdhsa_reserve_vcc 1
		.amdhsa_float_round_mode_32 0
		.amdhsa_float_round_mode_16_64 0
		.amdhsa_float_denorm_mode_32 3
		.amdhsa_float_denorm_mode_16_64 3
		.amdhsa_dx10_clamp 1
		.amdhsa_ieee_mode 1
		.amdhsa_fp16_overflow 0
		.amdhsa_tg_split 0
		.amdhsa_exception_fp_ieee_invalid_op 0
		.amdhsa_exception_fp_denorm_src 0
		.amdhsa_exception_fp_ieee_div_zero 0
		.amdhsa_exception_fp_ieee_overflow 0
		.amdhsa_exception_fp_ieee_underflow 0
		.amdhsa_exception_fp_ieee_inexact 0
		.amdhsa_exception_int_div_zero 0
	.end_amdhsa_kernel
	.section	.text._ZN4vllm25paged_attention_v2_kernelIthLi32ELi8ELi128ELNS_18Fp8KVCacheDataTypeE1ELb0ELi512EEEvPfS2_PT_PKS3_PKT0_S9_ifPKiSB_iPKfiiiSD_SD_iiiii,"axG",@progbits,_ZN4vllm25paged_attention_v2_kernelIthLi32ELi8ELi128ELNS_18Fp8KVCacheDataTypeE1ELb0ELi512EEEvPfS2_PT_PKS3_PKT0_S9_ifPKiSB_iPKfiiiSD_SD_iiiii,comdat
.Lfunc_end254:
	.size	_ZN4vllm25paged_attention_v2_kernelIthLi32ELi8ELi128ELNS_18Fp8KVCacheDataTypeE1ELb0ELi512EEEvPfS2_PT_PKS3_PKT0_S9_ifPKiSB_iPKfiiiSD_SD_iiiii, .Lfunc_end254-_ZN4vllm25paged_attention_v2_kernelIthLi32ELi8ELi128ELNS_18Fp8KVCacheDataTypeE1ELb0ELi512EEEvPfS2_PT_PKS3_PKT0_S9_ifPKiSB_iPKfiiiSD_SD_iiiii
                                        ; -- End function
	.section	.AMDGPU.csdata,"",@progbits
; Kernel info:
; codeLenInByte = 5976
; NumSgprs: 52
; NumVgprs: 34
; NumAgprs: 0
; TotalNumVgprs: 34
; ScratchSize: 0
; MemoryBound: 0
; FloatMode: 240
; IeeeMode: 1
; LDSByteSize: 80 bytes/workgroup (compile time only)
; SGPRBlocks: 6
; VGPRBlocks: 4
; NumSGPRsForWavesPerEU: 52
; NumVGPRsForWavesPerEU: 34
; AccumOffset: 36
; Occupancy: 8
; WaveLimiterHint : 1
; COMPUTE_PGM_RSRC2:SCRATCH_EN: 0
; COMPUTE_PGM_RSRC2:USER_SGPR: 2
; COMPUTE_PGM_RSRC2:TRAP_HANDLER: 0
; COMPUTE_PGM_RSRC2:TGID_X_EN: 1
; COMPUTE_PGM_RSRC2:TGID_Y_EN: 1
; COMPUTE_PGM_RSRC2:TGID_Z_EN: 1
; COMPUTE_PGM_RSRC2:TIDIG_COMP_CNT: 0
; COMPUTE_PGM_RSRC3_GFX90A:ACCUM_OFFSET: 8
; COMPUTE_PGM_RSRC3_GFX90A:TG_SPLIT: 0
	.section	.text._ZN4vllm25paged_attention_v2_kernelIthLi64ELi8ELi128ELNS_18Fp8KVCacheDataTypeE1ELb0ELi512EEEvPfS2_PT_PKS3_PKT0_S9_ifPKiSB_iPKfiiiSD_SD_iiiii,"axG",@progbits,_ZN4vllm25paged_attention_v2_kernelIthLi64ELi8ELi128ELNS_18Fp8KVCacheDataTypeE1ELb0ELi512EEEvPfS2_PT_PKS3_PKT0_S9_ifPKiSB_iPKfiiiSD_SD_iiiii,comdat
	.protected	_ZN4vllm25paged_attention_v2_kernelIthLi64ELi8ELi128ELNS_18Fp8KVCacheDataTypeE1ELb0ELi512EEEvPfS2_PT_PKS3_PKT0_S9_ifPKiSB_iPKfiiiSD_SD_iiiii ; -- Begin function _ZN4vllm25paged_attention_v2_kernelIthLi64ELi8ELi128ELNS_18Fp8KVCacheDataTypeE1ELb0ELi512EEEvPfS2_PT_PKS3_PKT0_S9_ifPKiSB_iPKfiiiSD_SD_iiiii
	.globl	_ZN4vllm25paged_attention_v2_kernelIthLi64ELi8ELi128ELNS_18Fp8KVCacheDataTypeE1ELb0ELi512EEEvPfS2_PT_PKS3_PKT0_S9_ifPKiSB_iPKfiiiSD_SD_iiiii
	.p2align	8
	.type	_ZN4vllm25paged_attention_v2_kernelIthLi64ELi8ELi128ELNS_18Fp8KVCacheDataTypeE1ELb0ELi512EEEvPfS2_PT_PKS3_PKT0_S9_ifPKiSB_iPKfiiiSD_SD_iiiii,@function
_ZN4vllm25paged_attention_v2_kernelIthLi64ELi8ELi128ELNS_18Fp8KVCacheDataTypeE1ELb0ELi512EEEvPfS2_PT_PKS3_PKT0_S9_ifPKiSB_iPKfiiiSD_SD_iiiii: ; @_ZN4vllm25paged_attention_v2_kernelIthLi64ELi8ELi128ELNS_18Fp8KVCacheDataTypeE1ELb0ELi512EEEvPfS2_PT_PKS3_PKT0_S9_ifPKiSB_iPKfiiiSD_SD_iiiii
; %bb.0:
	s_load_dwordx2 s[6:7], s[0:1], 0x40
	s_mov_b32 s28, s3
	s_ashr_i32 s29, s3, 31
	s_lshl_b64 s[8:9], s[28:29], 2
	s_waitcnt lgkmcnt(0)
	s_add_u32 s6, s6, s8
	s_addc_u32 s7, s7, s9
	s_load_dword s29, s[6:7], 0x0
	s_lshl_b32 s44, s4, 9
	s_waitcnt lgkmcnt(0)
	s_cmp_ge_i32 s44, s29
	s_cbranch_scc1 .LBB255_116
; %bb.1:
	s_load_dword s5, s[0:1], 0x90
	s_load_dwordx2 s[38:39], s[0:1], 0x30
	s_waitcnt lgkmcnt(0)
	s_abs_i32 s7, s5
	s_abs_i32 s3, s38
	v_cvt_f32_u32_e32 v1, s3
	s_sub_i32 s8, 0, s3
	s_xor_b32 s6, s5, s38
	s_ashr_i32 s6, s6, 31
	v_rcp_iflag_f32_e32 v1, v1
	s_nop 0
	v_mul_f32_e32 v1, 0x4f7ffffe, v1
	v_cvt_u32_f32_e32 v1, v1
	s_nop 0
	v_readfirstlane_b32 s9, v1
	s_mul_i32 s8, s8, s9
	s_mul_hi_u32 s8, s9, s8
	s_add_i32 s9, s9, s8
	s_mul_hi_u32 s8, s7, s9
	s_mul_i32 s9, s8, s3
	s_sub_i32 s7, s7, s9
	s_add_i32 s10, s8, 1
	s_sub_i32 s9, s7, s3
	s_cmp_ge_u32 s7, s3
	s_cselect_b32 s8, s10, s8
	s_cselect_b32 s7, s9, s7
	s_add_i32 s9, s8, 1
	s_cmp_ge_u32 s7, s3
	s_cselect_b32 s3, s9, s8
	s_xor_b32 s3, s3, s6
	s_sub_i32 s10, s3, s6
	s_abs_i32 s8, s10
	v_cvt_f32_u32_e32 v1, s8
	s_load_dwordx2 s[6:7], s[0:1], 0x50
	s_sub_i32 s11, 0, s8
	s_abs_i32 s9, s2
	v_rcp_iflag_f32_e32 v1, v1
	s_mov_b32 s3, 0
	v_mul_f32_e32 v1, 0x4f7ffffe, v1
	v_cvt_u32_f32_e32 v1, v1
	s_nop 0
	v_readfirstlane_b32 s12, v1
	s_mul_i32 s11, s11, s12
	s_mul_hi_u32 s11, s12, s11
	s_add_i32 s12, s12, s11
	s_waitcnt lgkmcnt(0)
	s_cmp_eq_u64 s[6:7], 0
	s_mul_hi_u32 s12, s9, s12
	s_cbranch_scc1 .LBB255_3
; %bb.2:
	s_ashr_i32 s3, s2, 31
	s_lshl_b64 s[14:15], s[2:3], 2
	s_add_u32 s6, s6, s14
	s_addc_u32 s7, s7, s15
	s_load_dword s3, s[6:7], 0x0
.LBB255_3:
	s_load_dwordx4 s[16:19], s[0:1], 0x58
	s_ashr_i32 s13, s2, 31
	s_ashr_i32 s14, s10, 31
	v_and_b32_e32 v4, 7, v0
	s_lshl_b32 s24, s2, 6
	v_cmp_gt_u32_e64 s[10:11], 64, v0
	s_and_saveexec_b64 s[6:7], s[10:11]
	s_cbranch_execz .LBB255_5
; %bb.4:
	s_load_dwordx2 s[20:21], s[0:1], 0x18
	s_waitcnt lgkmcnt(0)
	s_mul_i32 s22, s28, s16
	s_ashr_i32 s23, s22, 31
	s_lshl_b64 s[22:23], s[22:23], 1
	v_lshlrev_b32_e32 v1, 1, v0
	s_add_u32 s15, s20, s22
	s_addc_u32 s16, s21, s23
	s_ashr_i32 s25, s24, 31
	s_lshl_b64 s[20:21], s[24:25], 1
	s_add_u32 s20, s15, s20
	s_addc_u32 s21, s16, s21
	global_load_ushort v1, v1, s[20:21]
	v_lshrrev_b32_e32 v2, 2, v0
	v_and_b32_e32 v2, 0xfe, v2
	v_lshl_add_u32 v2, v4, 4, v2
	s_waitcnt vmcnt(0)
	ds_write_b16 v2, v1
.LBB255_5:
	s_or_b64 exec, exec, s[6:7]
	s_add_i32 s6, s29, 7
	s_ashr_i32 s7, s6, 31
	s_lshr_b32 s7, s7, 29
	s_add_i32 s6, s6, s7
	s_waitcnt lgkmcnt(0)
	s_lshl_b32 s16, s4, 6
	s_mul_i32 s7, s12, s8
	s_ashr_i32 s45, s6, 3
	s_add_i32 s6, s16, 64
	s_sub_i32 s7, s9, s7
	s_min_i32 s25, s6, s45
	s_xor_b32 s6, s13, s14
	s_add_i32 s9, s12, 1
	s_sub_i32 s13, s7, s8
	s_cmp_ge_u32 s7, s8
	s_cselect_b32 s9, s9, s12
	s_cselect_b32 s7, s13, s7
	s_add_i32 s12, s9, 1
	s_cmp_ge_u32 s7, s8
	s_load_dwordx2 s[30:31], s[0:1], 0x38
	s_load_dword s8, s[0:1], 0x48
	v_lshrrev_b32_e32 v10, 6, v0
	s_cselect_b32 s7, s12, s9
	s_xor_b32 s7, s7, s6
	v_or_b32_e32 v2, s16, v10
	s_waitcnt lgkmcnt(0)
	s_mul_i32 s34, s28, s8
	s_sub_i32 s46, s7, s6
	s_ashr_i32 s35, s34, 31
	v_cmp_gt_i32_e64 s[6:7], s25, v2
	v_cmp_le_i32_e32 vcc, s25, v2
	v_mbcnt_lo_u32_b32 v16, -1, 0
	s_barrier
	s_waitcnt lgkmcnt(0)
                                        ; implicit-def: $sgpr19
                                        ; implicit-def: $vgpr11
                                        ; implicit-def: $vgpr12
	s_and_saveexec_b64 s[8:9], vcc
	s_xor_b64 s[8:9], exec, s[8:9]
; %bb.6:
	v_mbcnt_hi_u32_b32 v11, -1, v16
	v_and_b32_e32 v1, 64, v11
	v_add_u32_e32 v12, 64, v1
	s_mov_b32 s19, 0xff7fffff
                                        ; implicit-def: $vgpr4
                                        ; implicit-def: $vgpr16
; %bb.7:
	s_or_saveexec_b64 s[40:41], s[8:9]
	s_load_dwordx4 s[20:23], s[0:1], 0x0
	s_load_dwordx2 s[26:27], s[0:1], 0x10
	s_load_dword s33, s[0:1], 0x98
	s_load_dwordx2 s[36:37], s[0:1], 0x28
	s_load_dwordx4 s[12:15], s[0:1], 0x68
	v_mov_b32_e32 v1, s19
	s_mul_i32 s46, s46, s18
	v_ashrrev_i32_e32 v3, 31, v2
	s_xor_b64 exec, exec, s[40:41]
	s_cbranch_execz .LBB255_13
; %bb.8:
	s_load_dwordx2 s[0:1], s[0:1], 0x20
	s_ashr_i32 s8, s46, 31
	v_bfe_u32 v1, v0, 3, 3
	v_mov_b32_e32 v5, 0
	v_lshlrev_b32_e32 v6, 4, v1
	s_waitcnt lgkmcnt(0)
	s_add_u32 s0, s0, s46
	s_addc_u32 s1, s1, s8
	v_mov_b32_e32 v7, v5
	v_lshl_add_u64 v[6:7], s[0:1], 0, v[6:7]
	s_sub_i32 s47, 1, s29
	v_lshlrev_b32_e32 v8, 3, v10
	s_lshl_b64 s[0:1], s[34:35], 2
	v_add3_u32 v14, s44, v8, v1
	v_lshlrev_b32_e32 v1, 2, v1
	s_add_u32 s0, s30, s0
	v_mbcnt_hi_u32_b32 v11, -1, v16
	v_lshl_or_b32 v1, v10, 5, v1
	s_addc_u32 s1, s31, s1
	v_and_b32_e32 v12, 64, v11
	s_mov_b32 s38, s17
	v_lshlrev_b32_e32 v13, 4, v4
	v_cmp_eq_u32_e32 vcc, 0, v4
	v_cmp_neq_f32_e64 s[8:9], s3, 0
	v_add_u32_e32 v15, 0x90, v1
	v_lshl_add_u64 v[8:9], v[2:3], 2, s[0:1]
	s_mov_b64 s[18:19], 0
	v_mov_b32_e32 v1, 0xff7fffff
	v_add_u32_e32 v12, 64, v12
	v_xor_b32_e32 v16, 4, v11
	v_xor_b32_e32 v17, 2, v11
	;; [unrolled: 1-line block ×3, first 2 shown]
	v_mov_b32_e32 v19, v2
	s_branch .LBB255_10
.LBB255_9:                              ;   in Loop: Header=BB255_10 Depth=1
	s_or_b64 exec, exec, s[42:43]
	v_add_u32_e32 v19, 2, v19
	v_cmp_le_i32_e64 s[0:1], s25, v19
	v_add_u32_e32 v14, 16, v14
	v_add_u32_e32 v15, 64, v15
	s_or_b64 s[18:19], s[0:1], s[18:19]
	v_lshl_add_u64 v[8:9], v[8:9], 0, 8
	s_andn2_b64 exec, exec, s[18:19]
	s_cbranch_execz .LBB255_12
.LBB255_10:                             ; =>This Inner Loop Header: Depth=1
	global_load_dword v20, v[8:9], off
	s_waitcnt vmcnt(0) lgkmcnt(0)
	v_mad_i64_i32 v[20:21], s[0:1], v20, s38, v[6:7]
	v_lshl_add_u64 v[20:21], v[20:21], 0, v[4:5]
	global_load_ubyte v22, v[20:21], off
	global_load_ubyte v23, v[20:21], off offset:8
	global_load_dword v24, v5, s[12:13]
	global_load_ubyte v25, v[20:21], off offset:128
	global_load_ubyte v26, v[20:21], off offset:136
	;; [unrolled: 1-line block ×6, first 2 shown]
	ds_read_u16 v20, v13
	s_waitcnt lgkmcnt(0)
	;;#ASMSTART
	v_cvt_f32_f16 v20, v20;
	;;#ASMEND
	v_cmp_lt_i32_e64 s[0:1], v16, v12
	s_waitcnt vmcnt(8)
	v_cvt_f32_fp8_sdwa v21, v22 src0_sel:BYTE_0
	s_waitcnt vmcnt(7)
	v_cvt_f32_fp8_sdwa v23, v23 src0_sel:BYTE_0
	v_cndmask_b32_e64 v22, v11, v16, s[0:1]
	s_waitcnt vmcnt(5)
	v_cvt_f32_fp8_sdwa v25, v25 src0_sel:BYTE_0
	v_fma_mixlo_f16 v21, v24, v21, 0
	v_and_b32_e32 v21, 0xffff, v21
	v_fma_mixlo_f16 v23, v24, v23, 0
	s_waitcnt vmcnt(4)
	v_cvt_f32_fp8_sdwa v26, v26 src0_sel:BYTE_0
	;;#ASMSTART
	v_cvt_f32_f16 v21, v21;
	;;#ASMEND
	ds_read_u16 v31, v13 offset:2
	v_and_b32_e32 v23, 0xffff, v23
	s_waitcnt vmcnt(3)
	v_cvt_f32_fp8_sdwa v27, v27 src0_sel:BYTE_0
	s_waitcnt lgkmcnt(0)
	;;#ASMSTART
	v_cvt_f32_f16 v31, v31;
	;;#ASMEND
	;;#ASMSTART
	v_cvt_f32_f16 v23, v23;
	;;#ASMEND
	s_waitcnt vmcnt(2)
	v_cvt_f32_fp8_sdwa v28, v28 src0_sel:BYTE_0
	v_fma_mixlo_f16 v25, v24, v25, 0
	v_mul_f32_e32 v23, v31, v23
	ds_read_u16 v32, v13 offset:4
	v_and_b32_e32 v25, 0xffff, v25
	s_waitcnt vmcnt(1)
	v_cvt_f32_fp8_sdwa v29, v29 src0_sel:BYTE_0
	v_fma_mixlo_f16 v26, v24, v26, 0
	s_waitcnt vmcnt(0)
	v_cvt_f32_fp8_sdwa v30, v30 src0_sel:BYTE_0
	v_fmac_f32_e32 v23, v20, v21
	s_waitcnt lgkmcnt(0)
	;;#ASMSTART
	v_cvt_f32_f16 v32, v32;
	;;#ASMEND
	;;#ASMSTART
	v_cvt_f32_f16 v25, v25;
	;;#ASMEND
	ds_read_u16 v33, v13 offset:6
	v_and_b32_e32 v26, 0xffff, v26
	v_fma_mixlo_f16 v27, v24, v27, 0
	v_fmac_f32_e32 v23, v32, v25
	s_waitcnt lgkmcnt(0)
	;;#ASMSTART
	v_cvt_f32_f16 v33, v33;
	;;#ASMEND
	;;#ASMSTART
	v_cvt_f32_f16 v26, v26;
	;;#ASMEND
	ds_read_u16 v34, v13 offset:8
	v_fma_mixlo_f16 v28, v24, v28, 0
	v_and_b32_e32 v27, 0xffff, v27
	v_fmac_f32_e32 v23, v33, v26
	s_waitcnt lgkmcnt(0)
	;;#ASMSTART
	v_cvt_f32_f16 v34, v34;
	;;#ASMEND
	;;#ASMSTART
	v_cvt_f32_f16 v27, v27;
	;;#ASMEND
	v_and_b32_e32 v28, 0xffff, v28
	v_fmac_f32_e32 v23, v34, v27
	ds_read_u16 v35, v13 offset:10
	v_fma_mixlo_f16 v29, v24, v29, 0
	v_fma_mixlo_f16 v24, v24, v30, 0
	s_waitcnt lgkmcnt(0)
	;;#ASMSTART
	v_cvt_f32_f16 v30, v35;
	;;#ASMEND
	;;#ASMSTART
	v_cvt_f32_f16 v28, v28;
	;;#ASMEND
	v_and_b32_e32 v29, 0xffff, v29
	v_fmac_f32_e32 v23, v30, v28
	ds_read_u16 v35, v13 offset:12
	s_waitcnt lgkmcnt(0)
	;;#ASMSTART
	v_cvt_f32_f16 v20, v35;
	;;#ASMEND
	;;#ASMSTART
	v_cvt_f32_f16 v21, v29;
	;;#ASMEND
	v_lshlrev_b32_e32 v22, 2, v22
	v_fmac_f32_e32 v23, v20, v21
	v_and_b32_e32 v24, 0xffff, v24
	ds_read_u16 v25, v13 offset:14
	s_waitcnt lgkmcnt(0)
	;;#ASMSTART
	v_cvt_f32_f16 v20, v25;
	;;#ASMEND
	;;#ASMSTART
	v_cvt_f32_f16 v21, v24;
	;;#ASMEND
	v_cmp_lt_i32_e64 s[0:1], v17, v12
	v_fmac_f32_e32 v23, v20, v21
	ds_bpermute_b32 v20, v22, v23
	v_cndmask_b32_e64 v21, v11, v17, s[0:1]
	v_lshlrev_b32_e32 v21, 2, v21
	v_cmp_lt_i32_e64 s[0:1], v18, v12
	s_waitcnt lgkmcnt(0)
	v_add_f32_e32 v20, v23, v20
	ds_bpermute_b32 v21, v21, v20
	v_cndmask_b32_e64 v22, v11, v18, s[0:1]
	s_waitcnt lgkmcnt(0)
	v_add_f32_e32 v20, v20, v21
	v_lshlrev_b32_e32 v21, 2, v22
	ds_bpermute_b32 v21, v21, v20
	s_and_saveexec_b64 s[42:43], vcc
	s_cbranch_execz .LBB255_9
; %bb.11:                               ;   in Loop: Header=BB255_10 Depth=1
	v_add_u32_e32 v22, s47, v14
	v_cvt_f32_i32_e32 v22, v22
	s_waitcnt lgkmcnt(0)
	v_add_f32_e32 v20, v20, v21
	v_cmp_gt_i32_e64 s[0:1], s29, v14
	v_max_f32_e32 v21, v1, v1
	v_mul_f32_e32 v22, s3, v22
	v_cndmask_b32_e64 v22, 0, v22, s[8:9]
	v_fmac_f32_e32 v22, s39, v20
	v_cndmask_b32_e64 v20, 0, v22, s[0:1]
	ds_write_b32 v15, v20
	v_max_f32_e32 v20, v21, v22
	v_cndmask_b32_e64 v1, v1, v20, s[0:1]
	s_branch .LBB255_9
.LBB255_12:
	s_or_b64 exec, exec, s[18:19]
.LBB255_13:
	s_or_b64 exec, exec, s[40:41]
	v_xor_b32_e32 v4, 32, v11
	v_cmp_lt_i32_e32 vcc, v4, v12
	v_xor_b32_e32 v6, 16, v11
	v_xor_b32_e32 v7, 8, v11
	v_cndmask_b32_e32 v4, v11, v4, vcc
	v_lshlrev_b32_e32 v5, 2, v4
	ds_bpermute_b32 v4, v5, v1
	v_max_f32_e32 v1, v1, v1
	v_cmp_lt_i32_e32 vcc, v6, v12
	s_waitcnt lgkmcnt(0)
	v_max_f32_e32 v4, v4, v4
	v_max_f32_e32 v1, v1, v4
	v_cndmask_b32_e32 v4, v11, v6, vcc
	v_lshlrev_b32_e32 v8, 2, v4
	ds_bpermute_b32 v4, v8, v1
	v_cmp_lt_i32_e32 vcc, v7, v12
	s_waitcnt lgkmcnt(0)
	v_max_f32_e32 v4, v4, v4
	v_max_f32_e32 v6, v1, v4
	v_cndmask_b32_e32 v1, v11, v7, vcc
	v_lshlrev_b32_e32 v9, 2, v1
	ds_bpermute_b32 v7, v9, v6
	v_and_b32_e32 v1, 63, v0
	v_cmp_eq_u32_e32 vcc, 0, v1
	v_lshlrev_b32_e32 v4, 2, v10
	s_and_saveexec_b64 s[0:1], vcc
	s_cbranch_execz .LBB255_15
; %bb.14:
	s_waitcnt lgkmcnt(0)
	v_max_f32_e32 v7, v7, v7
	v_max_f32_e32 v6, v6, v6
	;; [unrolled: 1-line block ×3, first 2 shown]
	ds_write_b32 v4, v6 offset:128
.LBB255_15:
	s_or_b64 exec, exec, s[0:1]
	v_cmp_gt_u32_e64 s[0:1], 2, v1
	v_mov_b32_e32 v6, 0xff7fffff
	s_waitcnt lgkmcnt(0)
	v_lshlrev_b32_e32 v7, 2, v1
	s_barrier
	s_and_saveexec_b64 s[8:9], s[0:1]
	s_cbranch_execz .LBB255_17
; %bb.16:
	ds_read_b32 v6, v7 offset:128
.LBB255_17:
	s_or_b64 exec, exec, s[8:9]
	v_xor_b32_e32 v13, 1, v11
	v_cmp_lt_i32_e64 s[8:9], v13, v12
	s_sub_i32 s3, s25, s16
	s_lshl_b32 s3, s3, 3
	v_cndmask_b32_e64 v13, v11, v13, s[8:9]
	v_lshlrev_b32_e32 v13, 2, v13
	s_waitcnt lgkmcnt(0)
	ds_bpermute_b32 v14, v13, v6
	v_max_f32_e32 v6, v6, v6
	s_add_i32 s3, s3, s44
	s_min_i32 s40, s3, s29
	s_sub_i32 s3, s40, s44
	s_waitcnt lgkmcnt(0)
	v_max_f32_e32 v14, v14, v14
	v_max_f32_e32 v6, v6, v14
	v_lshlrev_b32_e32 v14, 2, v11
	v_and_b32_e32 v14, 0xffffff00, v14
	ds_bpermute_b32 v6, v14, v6
	v_cmp_gt_i32_e64 s[8:9], s3, v0
	v_mov_b32_e32 v15, 0
	s_and_saveexec_b64 s[18:19], s[8:9]
	s_cbranch_execz .LBB255_21
; %bb.18:
	v_mov_b32_e32 v15, 0x90
	v_lshl_add_u32 v16, v0, 2, v15
	s_mov_b64 s[38:39], 0
	v_mov_b32_e32 v15, 0
	v_mov_b32_e32 v17, v0
.LBB255_19:                             ; =>This Inner Loop Header: Depth=1
	ds_read_b32 v18, v16
	v_add_u32_e32 v17, 0x80, v17
	v_cmp_le_i32_e64 s[12:13], s3, v17
	s_or_b64 s[38:39], s[12:13], s[38:39]
	s_waitcnt lgkmcnt(0)
	v_sub_f32_e32 v18, v18, v6
	v_mul_f32_e32 v18, 0x3fb8aa3b, v18
	v_exp_f32_e32 v18, v18
	ds_write_b32 v16, v18
	v_add_f32_e32 v15, v15, v18
	v_add_u32_e32 v16, 0x200, v16
	s_andn2_b64 exec, exec, s[38:39]
	s_cbranch_execnz .LBB255_19
; %bb.20:
	s_or_b64 exec, exec, s[38:39]
.LBB255_21:
	s_or_b64 exec, exec, s[18:19]
	ds_bpermute_b32 v5, v5, v15
	s_waitcnt lgkmcnt(0)
	v_add_f32_e32 v5, v15, v5
	ds_bpermute_b32 v8, v8, v5
	s_waitcnt lgkmcnt(0)
	v_add_f32_e32 v5, v5, v8
	ds_bpermute_b32 v8, v9, v5
	v_xor_b32_e32 v9, 4, v11
	v_cmp_lt_i32_e64 s[12:13], v9, v12
	s_waitcnt lgkmcnt(0)
	v_add_f32_e32 v5, v5, v8
	v_cndmask_b32_e64 v9, v11, v9, s[12:13]
	v_lshlrev_b32_e32 v9, 2, v9
	ds_bpermute_b32 v8, v9, v5
	v_xor_b32_e32 v9, 2, v11
	v_cmp_lt_i32_e64 s[12:13], v9, v12
	s_waitcnt lgkmcnt(0)
	v_add_f32_e32 v5, v5, v8
	v_cndmask_b32_e64 v9, v11, v9, s[12:13]
	v_lshlrev_b32_e32 v8, 2, v9
	ds_bpermute_b32 v8, v8, v5
	s_waitcnt lgkmcnt(0)
	v_add_f32_e32 v5, v5, v8
	ds_bpermute_b32 v8, v13, v5
	s_waitcnt lgkmcnt(0)
	v_add_f32_e32 v5, v5, v8
	s_and_saveexec_b64 s[12:13], vcc
	s_cbranch_execz .LBB255_23
; %bb.22:
	ds_write_b32 v4, v5 offset:136
.LBB255_23:
	s_or_b64 exec, exec, s[12:13]
	s_waitcnt lgkmcnt(0)
	s_barrier
	s_and_saveexec_b64 s[12:13], s[0:1]
	s_cbranch_execz .LBB255_25
; %bb.24:
	ds_read_b32 v5, v7 offset:136
.LBB255_25:
	s_or_b64 exec, exec, s[12:13]
	s_waitcnt lgkmcnt(0)
	ds_bpermute_b32 v4, v13, v5
	s_waitcnt lgkmcnt(0)
	v_add_f32_e32 v4, v5, v4
	ds_bpermute_b32 v7, v14, v4
	s_and_saveexec_b64 s[0:1], s[8:9]
	s_cbranch_execz .LBB255_38
; %bb.26:
	s_waitcnt lgkmcnt(0)
	v_add_f32_e32 v4, 0x358637bd, v7
	v_div_scale_f32 v5, s[8:9], v4, v4, 1.0
	v_rcp_f32_e32 v8, v5
	v_div_scale_f32 v9, vcc, 1.0, v4, 1.0
	s_movk_i32 s8, 0x7f
	v_fma_f32 v11, -v5, v8, 1.0
	v_fmac_f32_e32 v8, v11, v8
	v_mul_f32_e32 v11, v9, v8
	v_fma_f32 v12, -v5, v11, v9
	v_fmac_f32_e32 v11, v12, v8
	v_fma_f32 v5, -v5, v11, v9
	v_div_fmas_f32 v5, v5, v8, v11
	v_div_fixup_f32 v4, v5, v4, 1.0
	v_xad_u32 v5, v0, -1, s40
	v_subrev_u32_e32 v8, s44, v5
	v_cmp_lt_u32_e32 vcc, s8, v8
	s_mov_b64 s[12:13], -1
	v_mov_b32_e32 v5, v0
	s_and_saveexec_b64 s[8:9], vcc
	s_cbranch_execz .LBB255_35
; %bb.27:
	v_lshrrev_b32_e32 v8, 7, v8
	v_add_u32_e32 v11, -1, v8
	v_lshrrev_b32_e32 v9, 1, v11
	v_mov_b32_e32 v5, v4
	v_add_u32_e32 v9, 1, v9
	v_cmp_lt_u32_e32 vcc, 13, v11
	v_mov_b32_e32 v13, 0
	s_and_saveexec_b64 s[12:13], vcc
	s_cbranch_execz .LBB255_31
; %bb.28:
	v_mov_b32_e32 v12, 0x90
	v_and_b32_e32 v11, -8, v9
	v_lshl_add_u32 v12, v0, 2, v12
	s_mov_b32 s38, 0
	s_mov_b64 s[18:19], 0
.LBB255_29:                             ; =>This Inner Loop Header: Depth=1
	ds_read2st64_b32 v[14:15], v12 offset1:2
	ds_read2st64_b32 v[16:17], v12 offset0:4 offset1:6
	ds_read2st64_b32 v[18:19], v12 offset0:8 offset1:10
	;; [unrolled: 1-line block ×3, first 2 shown]
	v_add_u32_e32 v11, -8, v11
	s_waitcnt lgkmcnt(3)
	v_pk_mul_f32 v[14:15], v[4:5], v[14:15]
	s_waitcnt lgkmcnt(2)
	v_pk_mul_f32 v[16:17], v[4:5], v[16:17]
	ds_write2st64_b32 v12, v14, v15 offset1:2
	ds_write2st64_b32 v12, v16, v17 offset0:4 offset1:6
	ds_read2st64_b32 v[16:17], v12 offset0:16 offset1:18
	s_waitcnt lgkmcnt(4)
	v_pk_mul_f32 v[14:15], v[4:5], v[18:19]
	ds_write2st64_b32 v12, v14, v15 offset0:8 offset1:10
	s_waitcnt lgkmcnt(4)
	v_pk_mul_f32 v[14:15], v[4:5], v[20:21]
	ds_write2st64_b32 v12, v14, v15 offset0:12 offset1:14
	ds_read2st64_b32 v[14:15], v12 offset0:20 offset1:22
	s_waitcnt lgkmcnt(3)
	v_pk_mul_f32 v[16:17], v[4:5], v[16:17]
	ds_read2st64_b32 v[18:19], v12 offset0:24 offset1:26
	ds_write2st64_b32 v12, v16, v17 offset0:16 offset1:18
	ds_read2st64_b32 v[16:17], v12 offset0:28 offset1:30
	s_waitcnt lgkmcnt(3)
	v_pk_mul_f32 v[14:15], v[4:5], v[14:15]
	ds_write2st64_b32 v12, v14, v15 offset0:20 offset1:22
	s_waitcnt lgkmcnt(3)
	v_pk_mul_f32 v[14:15], v[4:5], v[18:19]
	ds_write2st64_b32 v12, v14, v15 offset0:24 offset1:26
	s_waitcnt lgkmcnt(2)
	v_pk_mul_f32 v[14:15], v[4:5], v[16:17]
	s_add_i32 s38, s38, 16
	v_cmp_eq_u32_e32 vcc, 0, v11
	ds_write2st64_b32 v12, v14, v15 offset0:28 offset1:30
	v_add_u32_e32 v12, 0x2000, v12
	s_or_b64 s[18:19], vcc, s[18:19]
	v_mov_b32_e32 v13, s38
	s_andn2_b64 exec, exec, s[18:19]
	s_cbranch_execnz .LBB255_29
; %bb.30:
	s_or_b64 exec, exec, s[18:19]
.LBB255_31:
	s_or_b64 exec, exec, s[12:13]
	v_and_b32_e32 v9, 7, v9
	v_cmp_ne_u32_e32 vcc, 0, v9
	s_and_saveexec_b64 s[12:13], vcc
	s_cbranch_execz .LBB255_34
; %bb.32:
	v_lshlrev_b32_e32 v11, 9, v13
	v_lshlrev_b32_e32 v12, 2, v0
	s_movk_i32 s18, 0x90
	v_add3_u32 v11, v11, v12, s18
	s_mov_b64 s[18:19], 0
.LBB255_33:                             ; =>This Inner Loop Header: Depth=1
	ds_read2st64_b32 v[12:13], v11 offset1:2
	v_add_u32_e32 v9, -1, v9
	v_cmp_eq_u32_e32 vcc, 0, v9
	s_or_b64 s[18:19], vcc, s[18:19]
	s_waitcnt lgkmcnt(0)
	v_pk_mul_f32 v[12:13], v[4:5], v[12:13]
	ds_write2st64_b32 v11, v12, v13 offset1:2
	v_add_u32_e32 v11, 0x400, v11
	s_andn2_b64 exec, exec, s[18:19]
	s_cbranch_execnz .LBB255_33
.LBB255_34:
	s_or_b64 exec, exec, s[12:13]
	v_add_u32_e32 v8, 1, v8
	v_and_b32_e32 v9, 0x3fffffe, v8
	v_cmp_ne_u32_e32 vcc, v8, v9
	v_lshl_add_u32 v5, v9, 7, v0
	s_orn2_b64 s[12:13], vcc, exec
.LBB255_35:
	s_or_b64 exec, exec, s[8:9]
	s_and_b64 exec, exec, s[12:13]
	s_cbranch_execz .LBB255_38
; %bb.36:
	v_mov_b32_e32 v8, 0x90
	v_lshl_add_u32 v8, v5, 2, v8
	s_mov_b64 s[8:9], 0
.LBB255_37:                             ; =>This Inner Loop Header: Depth=1
	ds_read_b32 v9, v8
	v_add_u32_e32 v5, 0x80, v5
	v_cmp_le_i32_e32 vcc, s3, v5
	s_or_b64 s[8:9], vcc, s[8:9]
	s_waitcnt lgkmcnt(0)
	v_mul_f32_e32 v9, v4, v9
	ds_write_b32 v8, v9
	v_add_u32_e32 v8, 0x200, v8
	s_andn2_b64 exec, exec, s[8:9]
	s_cbranch_execnz .LBB255_37
.LBB255_38:
	s_or_b64 exec, exec, s[0:1]
	s_mul_i32 s0, s33, s28
	v_cmp_eq_u32_e32 vcc, 0, v0
	s_mul_i32 s0, s0, s5
	s_waitcnt lgkmcnt(0)
	s_barrier
	s_and_saveexec_b64 s[8:9], vcc
	s_cbranch_execz .LBB255_40
; %bb.39:
	s_ashr_i32 s1, s0, 31
	s_lshl_b64 s[12:13], s[0:1], 2
	s_add_u32 s1, s22, s12
	s_mul_i32 s2, s33, s2
	s_addc_u32 s5, s23, s13
	s_ashr_i32 s3, s2, 31
	s_lshl_b64 s[2:3], s[2:3], 2
	s_add_u32 s1, s1, s2
	s_addc_u32 s19, s5, s3
	s_ashr_i32 s5, s4, 31
	s_lshl_b64 s[4:5], s[4:5], 2
	s_add_u32 s18, s1, s4
	s_addc_u32 s19, s19, s5
	s_add_u32 s1, s20, s12
	s_addc_u32 s12, s21, s13
	;; [unrolled: 2-line block ×3, first 2 shown]
	s_add_u32 s2, s1, s4
	v_mov_b32_e32 v4, 0
	s_addc_u32 s3, s3, s5
	global_store_dword v4, v6, s[18:19]
	global_store_dword v4, v7, s[2:3]
.LBB255_40:
	s_or_b64 exec, exec, s[8:9]
	v_mov_b32_e32 v11, 0
	s_and_saveexec_b64 s[2:3], s[6:7]
	s_cbranch_execz .LBB255_110
; %bb.41:
	s_ashr_i32 s5, s46, 31
	s_add_u32 s4, s36, s46
	s_addc_u32 s5, s37, s5
	v_lshlrev_b32_e32 v4, 3, v1
	v_mov_b32_e32 v5, 0
	s_mov_b32 s1, s17
	v_lshl_add_u64 v[6:7], s[4:5], 0, v[4:5]
	s_add_i32 s17, s45, -1
	s_lshl_b64 s[4:5], s[34:35], 2
	s_add_u32 s4, s30, s4
	v_mov_b32_e32 v4, 0x90
	s_addc_u32 s5, s31, s5
	s_mov_b32 s18, s29
	v_lshl_add_u32 v18, v10, 3, s44
	v_lshl_add_u32 v19, v10, 5, v4
	v_lshl_add_u64 v[8:9], v[2:3], 2, s[4:5]
	s_mov_b64 s[4:5], 0
	s_movk_i32 s19, 0x7f
	s_movk_i32 s20, 0x80
	s_mov_b32 s21, 0x8000
	s_movk_i32 s22, 0x380
	s_mov_b32 s23, 0x3020706
	s_mov_b32 s28, 0x1000504
	s_mov_b32 s30, 0x5040100
	v_mov_b32_e32 v3, 0x1c00
	v_mov_b32_e32 v11, 0
	s_branch .LBB255_43
.LBB255_42:                             ;   in Loop: Header=BB255_43 Depth=1
	s_or_b64 exec, exec, s[6:7]
	v_and_b32_e32 v14, 0xffff, v20
	v_and_b32_e32 v15, 0xffff, v22
	v_lshl_or_b32 v14, v21, 16, v14
	v_lshl_or_b32 v15, v23, 16, v15
	v_and_b32_e32 v16, 0xffff, v24
	v_and_b32_e32 v17, 0xffff, v26
	;;#ASMSTART
	v_pk_mul_f16 v13, v14, v13;

	;;#ASMEND
	;;#ASMSTART
	v_pk_mul_f16 v4, v15, v4;

	;;#ASMEND
	v_lshl_or_b32 v16, v25, 16, v16
	v_lshl_or_b32 v17, v27, 16, v17
	;;#ASMSTART
	v_pk_mul_f16 v12, v16, v12;

	;;#ASMEND
	;;#ASMSTART
	v_pk_mul_f16 v10, v17, v10;

	;;#ASMEND
	;;#ASMSTART
	v_pk_add_f16 v4, v13, v4;

	;;#ASMEND
	v_add_u32_e32 v2, 2, v2
	;;#ASMSTART
	v_pk_add_f16 v4, v4, v12;

	;;#ASMEND
	v_cmp_le_i32_e32 vcc, s25, v2
	;;#ASMSTART
	v_pk_add_f16 v4, v4, v10;

	;;#ASMEND
	v_add_u32_e32 v18, 16, v18
	v_lshrrev_b32_e32 v10, 16, v4
	v_and_b32_e32 v4, 0xffff, v4
	;;#ASMSTART
	v_cvt_f32_f16 v4, v4;
	;;#ASMEND
	;;#ASMSTART
	v_cvt_f32_f16 v10, v10;
	;;#ASMEND
	v_add_u32_e32 v19, 64, v19
	v_add_f32_e32 v4, v4, v10
	v_add_f32_e32 v11, v11, v4
	s_or_b64 s[4:5], vcc, s[4:5]
	v_lshl_add_u64 v[8:9], v[8:9], 0, 8
	s_andn2_b64 exec, exec, s[4:5]
	s_cbranch_execz .LBB255_109
.LBB255_43:                             ; =>This Inner Loop Header: Depth=1
	ds_read2_b64 v[12:15], v19 offset1:1
	ds_read2_b64 v[24:27], v19 offset0:2 offset1:3
                                        ; implicit-def: $sgpr31
	s_waitcnt lgkmcnt(1)
	;;#ASMSTART
	v_cvt_f16_f32 v20, v12;

	;;#ASMEND
	;;#ASMSTART
	v_cvt_f16_f32 v21, v13;

	;;#ASMEND
	;; [unrolled: 4-line block ×4, first 2 shown]
	s_waitcnt lgkmcnt(0)
	;;#ASMSTART
	v_cvt_f16_f32 v24, v24;

	;;#ASMEND
	;;#ASMSTART
	v_cvt_f16_f32 v25, v25;

	;;#ASMEND
	;; [unrolled: 4-line block ×4, first 2 shown]
	global_load_dword v4, v[8:9], off
	s_waitcnt vmcnt(0)
	v_mad_i64_i32 v[14:15], s[6:7], v4, s1, v[6:7]
	global_load_dwordx2 v[12:13], v[14:15], off
	global_load_dword v10, v5, s[14:15]
	s_mov_b64 s[6:7], 0
	s_waitcnt vmcnt(1)
	v_cmp_gt_i16_sdwa s[8:9], v12, s19 src0_sel:BYTE_0 src1_sel:DWORD
	s_and_saveexec_b64 s[12:13], s[8:9]
	s_xor_b64 s[8:9], exec, s[12:13]
	s_cbranch_execnz .LBB255_77
; %bb.44:                               ;   in Loop: Header=BB255_43 Depth=1
	s_or_saveexec_b64 s[8:9], s[8:9]
	v_mov_b32_e32 v14, s31
	s_xor_b64 exec, exec, s[8:9]
	s_cbranch_execnz .LBB255_80
.LBB255_45:                             ;   in Loop: Header=BB255_43 Depth=1
	s_or_b64 exec, exec, s[8:9]
	s_and_saveexec_b64 s[8:9], s[6:7]
	s_cbranch_execz .LBB255_47
.LBB255_46:                             ;   in Loop: Header=BB255_43 Depth=1
	v_and_b32_e32 v4, 7, v12
	v_ffbh_u32_e32 v4, v4
	v_bfe_u32 v14, v12, 3, 4
	v_min_u32_e32 v4, 32, v4
	v_subrev_u32_e32 v15, 28, v4
	v_sub_u32_e32 v4, 29, v4
	v_cmp_eq_u32_e32 vcc, 0, v14
	s_nop 1
	v_cndmask_b32_e32 v4, v14, v4, vcc
	v_cndmask_b32_e32 v14, 0, v15, vcc
	v_lshlrev_b64 v[14:15], v14, v[12:13]
	v_lshlrev_b32_e32 v15, 8, v12
	v_lshl_add_u32 v4, v4, 10, v3
	v_lshlrev_b32_e32 v14, 7, v14
	v_and_or_b32 v4, v15, s21, v4
	v_and_or_b32 v4, v14, s22, v4
	v_cvt_f32_f16_e32 v14, v4
.LBB255_47:                             ;   in Loop: Header=BB255_43 Depth=1
	s_or_b64 exec, exec, s[8:9]
	v_lshrrev_b16_e32 v4, 8, v12
	v_cmp_lt_i16_e32 vcc, s19, v4
	s_mov_b64 s[6:7], 0
                                        ; implicit-def: $sgpr31
	s_and_saveexec_b64 s[8:9], vcc
	s_xor_b64 s[8:9], exec, s[8:9]
	s_cbranch_execnz .LBB255_81
; %bb.48:                               ;   in Loop: Header=BB255_43 Depth=1
	s_or_saveexec_b64 s[8:9], s[8:9]
	v_mov_b32_e32 v16, s31
	s_xor_b64 exec, exec, s[8:9]
	s_cbranch_execnz .LBB255_84
.LBB255_49:                             ;   in Loop: Header=BB255_43 Depth=1
	s_or_b64 exec, exec, s[8:9]
	s_and_saveexec_b64 s[8:9], s[6:7]
	s_cbranch_execz .LBB255_51
.LBB255_50:                             ;   in Loop: Header=BB255_43 Depth=1
	v_and_b32_e32 v15, 7, v4
	v_ffbh_u32_e32 v16, v15
	v_min_u32_e32 v29, 32, v16
	v_subrev_u32_e32 v16, 28, v29
	v_bfe_u32 v28, v4, 3, 4
	v_lshlrev_b64 v[16:17], v16, v[4:5]
	v_sub_u32_e32 v17, 29, v29
	v_cmp_eq_u32_e32 vcc, 0, v28
	v_and_b32_e32 v16, 7, v16
	v_lshlrev_b32_e32 v4, 8, v4
	v_cndmask_b32_e32 v17, v28, v17, vcc
	v_cndmask_b32_e32 v15, v15, v16, vcc
	v_lshl_add_u32 v16, v17, 10, v3
	v_and_or_b32 v4, v4, s21, v16
	v_lshl_or_b32 v4, v15, 7, v4
	v_cvt_f32_f16_e32 v16, v4
.LBB255_51:                             ;   in Loop: Header=BB255_43 Depth=1
	s_or_b64 exec, exec, s[8:9]
	v_lshrrev_b32_e32 v4, 16, v12
	v_cmp_gt_i16_sdwa s[8:9], v4, s19 src0_sel:BYTE_0 src1_sel:DWORD
	s_mov_b64 s[6:7], 0
                                        ; implicit-def: $sgpr31
	s_and_saveexec_b64 s[12:13], s[8:9]
	s_xor_b64 s[8:9], exec, s[12:13]
	s_cbranch_execnz .LBB255_85
; %bb.52:                               ;   in Loop: Header=BB255_43 Depth=1
	s_or_saveexec_b64 s[8:9], s[8:9]
	v_mov_b32_e32 v15, s31
	s_xor_b64 exec, exec, s[8:9]
	s_cbranch_execnz .LBB255_88
.LBB255_53:                             ;   in Loop: Header=BB255_43 Depth=1
	s_or_b64 exec, exec, s[8:9]
	s_and_saveexec_b64 s[8:9], s[6:7]
	s_cbranch_execz .LBB255_55
.LBB255_54:                             ;   in Loop: Header=BB255_43 Depth=1
	v_bfe_u32 v15, v12, 16, 3
	v_ffbh_u32_e32 v28, v15
	v_min_u32_e32 v30, 32, v28
	v_subrev_u32_e32 v28, 28, v30
	v_bfe_u32 v17, v12, 19, 4
	v_lshlrev_b64 v[28:29], v28, v[4:5]
	v_sub_u32_e32 v29, 29, v30
	v_cmp_eq_u32_e32 vcc, 0, v17
	v_and_b32_e32 v28, 7, v28
	v_lshlrev_b32_e32 v4, 8, v4
	v_cndmask_b32_e32 v17, v17, v29, vcc
	v_lshl_add_u32 v17, v17, 10, v3
	v_cndmask_b32_e32 v15, v15, v28, vcc
	v_and_or_b32 v4, v4, s21, v17
	v_lshl_or_b32 v4, v15, 7, v4
	v_cvt_f32_f16_e32 v15, v4
.LBB255_55:                             ;   in Loop: Header=BB255_43 Depth=1
	s_or_b64 exec, exec, s[8:9]
	v_lshrrev_b32_e32 v4, 24, v12
	v_cmp_lt_i16_e32 vcc, s19, v4
	s_mov_b64 s[6:7], 0
                                        ; implicit-def: $sgpr31
	s_and_saveexec_b64 s[8:9], vcc
	s_xor_b64 s[8:9], exec, s[8:9]
	s_cbranch_execnz .LBB255_89
; %bb.56:                               ;   in Loop: Header=BB255_43 Depth=1
	s_or_saveexec_b64 s[8:9], s[8:9]
	v_mov_b32_e32 v17, s31
	s_xor_b64 exec, exec, s[8:9]
	s_cbranch_execnz .LBB255_92
.LBB255_57:                             ;   in Loop: Header=BB255_43 Depth=1
	s_or_b64 exec, exec, s[8:9]
	s_and_saveexec_b64 s[8:9], s[6:7]
	s_cbranch_execz .LBB255_59
.LBB255_58:                             ;   in Loop: Header=BB255_43 Depth=1
	v_bfe_u32 v17, v12, 24, 3
	v_ffbh_u32_e32 v28, v17
	v_min_u32_e32 v30, 32, v28
	v_subrev_u32_e32 v28, 28, v30
	v_bfe_u32 v12, v12, 27, 4
	v_lshlrev_b64 v[28:29], v28, v[4:5]
	v_sub_u32_e32 v29, 29, v30
	v_cmp_eq_u32_e32 vcc, 0, v12
	v_and_b32_e32 v28, 7, v28
	v_lshlrev_b32_e32 v4, 8, v4
	v_cndmask_b32_e32 v12, v12, v29, vcc
	v_lshl_add_u32 v12, v12, 10, v3
	v_cndmask_b32_e32 v17, v17, v28, vcc
	v_and_or_b32 v4, v4, s21, v12
	v_lshl_or_b32 v4, v17, 7, v4
	v_cvt_f32_f16_e32 v17, v4
.LBB255_59:                             ;   in Loop: Header=BB255_43 Depth=1
	s_or_b64 exec, exec, s[8:9]
	v_cmp_gt_i16_sdwa s[8:9], v13, s19 src0_sel:BYTE_0 src1_sel:DWORD
	s_mov_b64 s[6:7], 0
                                        ; implicit-def: $sgpr31
	s_and_saveexec_b64 s[12:13], s[8:9]
	s_xor_b64 s[8:9], exec, s[12:13]
	s_cbranch_execnz .LBB255_93
; %bb.60:                               ;   in Loop: Header=BB255_43 Depth=1
	s_or_saveexec_b64 s[8:9], s[8:9]
	v_mov_b32_e32 v12, s31
	s_xor_b64 exec, exec, s[8:9]
	s_cbranch_execnz .LBB255_96
.LBB255_61:                             ;   in Loop: Header=BB255_43 Depth=1
	s_or_b64 exec, exec, s[8:9]
	v_mov_b32_e32 v4, v13
	s_and_saveexec_b64 s[8:9], s[6:7]
	s_cbranch_execz .LBB255_63
.LBB255_62:                             ;   in Loop: Header=BB255_43 Depth=1
	v_and_b32_e32 v12, 7, v13
	v_ffbh_u32_e32 v12, v12
	v_bfe_u32 v28, v13, 3, 4
	v_min_u32_e32 v12, 32, v12
	v_subrev_u32_e32 v29, 28, v12
	v_sub_u32_e32 v12, 29, v12
	v_cmp_eq_u32_e32 vcc, 0, v28
	s_nop 1
	v_cndmask_b32_e32 v12, v28, v12, vcc
	v_cndmask_b32_e32 v28, 0, v29, vcc
	v_lshlrev_b64 v[28:29], v28, v[4:5]
	v_lshlrev_b32_e32 v29, 8, v13
	v_lshl_add_u32 v12, v12, 10, v3
	v_lshlrev_b32_e32 v28, 7, v28
	v_and_or_b32 v12, v29, s21, v12
	v_and_or_b32 v12, v28, s22, v12
	v_cvt_f32_f16_e32 v12, v12
.LBB255_63:                             ;   in Loop: Header=BB255_43 Depth=1
	s_or_b64 exec, exec, s[8:9]
	v_lshrrev_b16_e32 v4, 8, v4
	v_cmp_lt_i16_e32 vcc, s19, v4
	s_mov_b64 s[6:7], 0
                                        ; implicit-def: $sgpr31
	s_and_saveexec_b64 s[8:9], vcc
	s_xor_b64 s[8:9], exec, s[8:9]
	s_cbranch_execnz .LBB255_97
; %bb.64:                               ;   in Loop: Header=BB255_43 Depth=1
	s_or_saveexec_b64 s[8:9], s[8:9]
	v_mov_b32_e32 v28, s31
	s_xor_b64 exec, exec, s[8:9]
	s_cbranch_execnz .LBB255_100
.LBB255_65:                             ;   in Loop: Header=BB255_43 Depth=1
	s_or_b64 exec, exec, s[8:9]
	s_and_saveexec_b64 s[8:9], s[6:7]
	s_cbranch_execz .LBB255_67
.LBB255_66:                             ;   in Loop: Header=BB255_43 Depth=1
	v_and_b32_e32 v30, 7, v4
	v_ffbh_u32_e32 v28, v30
	v_min_u32_e32 v32, 32, v28
	v_subrev_u32_e32 v28, 28, v32
	v_bfe_u32 v31, v4, 3, 4
	v_lshlrev_b64 v[28:29], v28, v[4:5]
	v_sub_u32_e32 v29, 29, v32
	v_cmp_eq_u32_e32 vcc, 0, v31
	v_and_b32_e32 v28, 7, v28
	v_lshlrev_b32_e32 v4, 8, v4
	v_cndmask_b32_e32 v29, v31, v29, vcc
	v_lshl_add_u32 v29, v29, 10, v3
	v_cndmask_b32_e32 v28, v30, v28, vcc
	v_and_or_b32 v4, v4, s21, v29
	v_lshl_or_b32 v4, v28, 7, v4
	v_cvt_f32_f16_e32 v28, v4
.LBB255_67:                             ;   in Loop: Header=BB255_43 Depth=1
	s_or_b64 exec, exec, s[8:9]
	v_lshrrev_b32_e32 v4, 16, v13
	v_cmp_gt_i16_sdwa s[8:9], v4, s19 src0_sel:BYTE_0 src1_sel:DWORD
	s_mov_b64 s[6:7], 0
                                        ; implicit-def: $sgpr31
	s_and_saveexec_b64 s[12:13], s[8:9]
	s_xor_b64 s[8:9], exec, s[12:13]
	s_cbranch_execnz .LBB255_101
; %bb.68:                               ;   in Loop: Header=BB255_43 Depth=1
	s_or_saveexec_b64 s[8:9], s[8:9]
	v_mov_b32_e32 v29, s31
	s_xor_b64 exec, exec, s[8:9]
	s_cbranch_execnz .LBB255_104
.LBB255_69:                             ;   in Loop: Header=BB255_43 Depth=1
	s_or_b64 exec, exec, s[8:9]
	s_and_saveexec_b64 s[8:9], s[6:7]
	s_cbranch_execz .LBB255_71
.LBB255_70:                             ;   in Loop: Header=BB255_43 Depth=1
	v_bfe_u32 v29, v13, 16, 3
	v_ffbh_u32_e32 v30, v29
	v_min_u32_e32 v33, 32, v30
	v_subrev_u32_e32 v30, 28, v33
	v_bfe_u32 v32, v13, 19, 4
	v_lshlrev_b64 v[30:31], v30, v[4:5]
	v_sub_u32_e32 v31, 29, v33
	v_cmp_eq_u32_e32 vcc, 0, v32
	v_and_b32_e32 v30, 7, v30
	v_lshlrev_b32_e32 v4, 8, v4
	v_cndmask_b32_e32 v31, v32, v31, vcc
	v_cndmask_b32_e32 v29, v29, v30, vcc
	v_lshl_add_u32 v30, v31, 10, v3
	v_and_or_b32 v4, v4, s21, v30
	v_lshl_or_b32 v4, v29, 7, v4
	v_cvt_f32_f16_e32 v29, v4
.LBB255_71:                             ;   in Loop: Header=BB255_43 Depth=1
	s_or_b64 exec, exec, s[8:9]
	v_lshrrev_b32_e32 v4, 24, v13
	v_cmp_lt_i16_e32 vcc, s19, v4
	s_mov_b64 s[6:7], 0
                                        ; implicit-def: $sgpr31
	s_and_saveexec_b64 s[8:9], vcc
	s_xor_b64 s[8:9], exec, s[8:9]
	s_cbranch_execnz .LBB255_105
; %bb.72:                               ;   in Loop: Header=BB255_43 Depth=1
	s_or_saveexec_b64 s[8:9], s[8:9]
	v_mov_b32_e32 v30, s31
	s_xor_b64 exec, exec, s[8:9]
	s_cbranch_execnz .LBB255_108
.LBB255_73:                             ;   in Loop: Header=BB255_43 Depth=1
	s_or_b64 exec, exec, s[8:9]
	s_and_saveexec_b64 s[8:9], s[6:7]
	s_cbranch_execz .LBB255_75
.LBB255_74:                             ;   in Loop: Header=BB255_43 Depth=1
	v_bfe_u32 v32, v13, 24, 3
	v_ffbh_u32_e32 v30, v32
	v_min_u32_e32 v33, 32, v30
	v_subrev_u32_e32 v30, 28, v33
	v_bfe_u32 v13, v13, 27, 4
	v_lshlrev_b64 v[30:31], v30, v[4:5]
	v_sub_u32_e32 v31, 29, v33
	v_cmp_eq_u32_e32 vcc, 0, v13
	v_and_b32_e32 v30, 7, v30
	v_lshlrev_b32_e32 v4, 8, v4
	v_cndmask_b32_e32 v13, v13, v31, vcc
	v_lshl_add_u32 v13, v13, 10, v3
	v_cndmask_b32_e32 v30, v32, v30, vcc
	v_and_or_b32 v4, v4, s21, v13
	v_lshl_or_b32 v4, v30, 7, v4
	v_cvt_f32_f16_e32 v30, v4
.LBB255_75:                             ;   in Loop: Header=BB255_43 Depth=1
	s_or_b64 exec, exec, s[8:9]
	s_waitcnt vmcnt(0)
	v_pk_mul_f32 v[16:17], v[10:11], v[16:17] op_sel_hi:[0,1]
	v_pk_mul_f32 v[14:15], v[10:11], v[14:15] op_sel_hi:[0,1]
	v_cvt_f16_f32_e32 v4, v17
	v_cvt_f16_f32_e32 v13, v16
	;; [unrolled: 1-line block ×4, first 2 shown]
	v_fma_mixlo_f16 v12, v10, v12, 0
	v_pack_b32_f16 v13, v13, v4
	v_cmp_eq_u32_e32 vcc, s17, v2
	v_pack_b32_f16 v14, v14, v15
	v_perm_b32 v4, v14, v13, s23
	v_perm_b32 v13, v14, v13, s28
	v_fma_mixlo_f16 v14, v10, v28, 0
	v_lshlrev_b32_e32 v14, 16, v14
	v_or_b32_sdwa v12, v14, v12 dst_sel:DWORD dst_unused:UNUSED_PAD src0_sel:DWORD src1_sel:WORD_0
	v_fma_mixlo_f16 v14, v10, v29, 0
	v_fma_mixlo_f16 v10, v10, v30, 0
	v_lshlrev_b32_e32 v10, 16, v10
	v_or_b32_sdwa v10, v10, v14 dst_sel:DWORD dst_unused:UNUSED_PAD src0_sel:DWORD src1_sel:WORD_0
	s_and_saveexec_b64 s[6:7], vcc
	s_cbranch_execz .LBB255_42
; %bb.76:                               ;   in Loop: Header=BB255_43 Depth=1
	v_add_u32_e32 v15, 1, v18
	v_lshrrev_b32_e32 v16, 16, v13
	v_cmp_gt_i32_e32 vcc, s18, v15
	v_lshrrev_b32_e32 v17, 16, v4
	v_lshrrev_b32_e32 v10, 16, v10
	v_cndmask_b32_e32 v15, 0, v16, vcc
	v_cmp_gt_i32_e32 vcc, s29, v18
	v_or_b32_e32 v16, 2, v18
	s_nop 0
	v_cndmask_b32_e32 v13, 0, v13, vcc
	v_perm_b32 v13, v15, v13, s30
	v_or_b32_e32 v15, 3, v18
	v_cmp_gt_i32_e32 vcc, s18, v15
	s_nop 1
	v_cndmask_b32_e32 v15, 0, v17, vcc
	v_cmp_gt_i32_e32 vcc, s29, v16
	v_or_b32_e32 v16, 4, v18
	v_lshrrev_b32_e32 v17, 16, v12
	v_cndmask_b32_e32 v4, 0, v4, vcc
	v_perm_b32 v4, v15, v4, s30
	v_or_b32_e32 v15, 5, v18
	v_cmp_gt_i32_e32 vcc, s18, v15
	s_nop 1
	v_cndmask_b32_e32 v15, 0, v17, vcc
	v_cmp_gt_i32_e32 vcc, s29, v16
	v_or_b32_e32 v16, 6, v18
	s_nop 0
	v_cndmask_b32_e32 v12, 0, v12, vcc
	v_perm_b32 v12, v15, v12, s30
	v_or_b32_e32 v15, 7, v18
	v_cmp_gt_i32_e32 vcc, s18, v15
	s_nop 1
	v_cndmask_b32_e32 v10, 0, v10, vcc
	v_cmp_gt_i32_e32 vcc, s29, v16
	s_nop 1
	v_cndmask_b32_e32 v14, 0, v14, vcc
	v_perm_b32 v10, v10, v14, s30
	s_branch .LBB255_42
.LBB255_77:                             ;   in Loop: Header=BB255_43 Depth=1
	v_cmp_eq_u16_sdwa s[34:35], v12, s20 src0_sel:BYTE_0 src1_sel:DWORD
	s_mov_b64 s[6:7], -1
                                        ; implicit-def: $sgpr31
	s_and_saveexec_b64 s[12:13], s[34:35]
; %bb.78:                               ;   in Loop: Header=BB255_43 Depth=1
	s_mov_b32 s31, 0x7fc02000
	s_xor_b64 s[6:7], exec, -1
; %bb.79:                               ;   in Loop: Header=BB255_43 Depth=1
	s_or_b64 exec, exec, s[12:13]
	s_and_b64 s[6:7], s[6:7], exec
	s_or_saveexec_b64 s[8:9], s[8:9]
	v_mov_b32_e32 v14, s31
	s_xor_b64 exec, exec, s[8:9]
	s_cbranch_execz .LBB255_45
.LBB255_80:                             ;   in Loop: Header=BB255_43 Depth=1
	v_cmp_ne_u16_sdwa s[12:13], v12, v5 src0_sel:BYTE_0 src1_sel:DWORD
	s_andn2_b64 s[6:7], s[6:7], exec
	s_and_b64 s[12:13], s[12:13], exec
	v_mov_b32_e32 v14, 0
	s_or_b64 s[6:7], s[6:7], s[12:13]
	s_or_b64 exec, exec, s[8:9]
	s_and_saveexec_b64 s[8:9], s[6:7]
	s_cbranch_execnz .LBB255_46
	s_branch .LBB255_47
.LBB255_81:                             ;   in Loop: Header=BB255_43 Depth=1
	v_cmp_eq_u16_e32 vcc, s20, v4
	s_mov_b64 s[6:7], -1
                                        ; implicit-def: $sgpr31
	s_and_saveexec_b64 s[12:13], vcc
; %bb.82:                               ;   in Loop: Header=BB255_43 Depth=1
	s_mov_b32 s31, 0x7fc02000
	s_xor_b64 s[6:7], exec, -1
; %bb.83:                               ;   in Loop: Header=BB255_43 Depth=1
	s_or_b64 exec, exec, s[12:13]
	s_and_b64 s[6:7], s[6:7], exec
	s_or_saveexec_b64 s[8:9], s[8:9]
	v_mov_b32_e32 v16, s31
	s_xor_b64 exec, exec, s[8:9]
	s_cbranch_execz .LBB255_49
.LBB255_84:                             ;   in Loop: Header=BB255_43 Depth=1
	v_cmp_ne_u16_e32 vcc, 0, v4
	s_andn2_b64 s[6:7], s[6:7], exec
	s_and_b64 s[12:13], vcc, exec
	v_mov_b32_e32 v16, 0
	s_or_b64 s[6:7], s[6:7], s[12:13]
	s_or_b64 exec, exec, s[8:9]
	s_and_saveexec_b64 s[8:9], s[6:7]
	s_cbranch_execnz .LBB255_50
	s_branch .LBB255_51
.LBB255_85:                             ;   in Loop: Header=BB255_43 Depth=1
	v_cmp_eq_u16_sdwa s[34:35], v4, s20 src0_sel:BYTE_0 src1_sel:DWORD
	s_mov_b64 s[6:7], -1
                                        ; implicit-def: $sgpr31
	s_and_saveexec_b64 s[12:13], s[34:35]
; %bb.86:                               ;   in Loop: Header=BB255_43 Depth=1
	s_mov_b32 s31, 0x7fc02000
	s_xor_b64 s[6:7], exec, -1
; %bb.87:                               ;   in Loop: Header=BB255_43 Depth=1
	s_or_b64 exec, exec, s[12:13]
	s_and_b64 s[6:7], s[6:7], exec
	s_or_saveexec_b64 s[8:9], s[8:9]
	v_mov_b32_e32 v15, s31
	s_xor_b64 exec, exec, s[8:9]
	s_cbranch_execz .LBB255_53
.LBB255_88:                             ;   in Loop: Header=BB255_43 Depth=1
	v_cmp_ne_u16_sdwa s[12:13], v4, v5 src0_sel:BYTE_0 src1_sel:DWORD
	s_andn2_b64 s[6:7], s[6:7], exec
	s_and_b64 s[12:13], s[12:13], exec
	v_mov_b32_e32 v15, 0
	s_or_b64 s[6:7], s[6:7], s[12:13]
	s_or_b64 exec, exec, s[8:9]
	s_and_saveexec_b64 s[8:9], s[6:7]
	s_cbranch_execnz .LBB255_54
	s_branch .LBB255_55
.LBB255_89:                             ;   in Loop: Header=BB255_43 Depth=1
	v_cmp_eq_u16_e32 vcc, s20, v4
	s_mov_b64 s[6:7], -1
                                        ; implicit-def: $sgpr31
	s_and_saveexec_b64 s[12:13], vcc
; %bb.90:                               ;   in Loop: Header=BB255_43 Depth=1
	s_mov_b32 s31, 0x7fc02000
	s_xor_b64 s[6:7], exec, -1
; %bb.91:                               ;   in Loop: Header=BB255_43 Depth=1
	s_or_b64 exec, exec, s[12:13]
	s_and_b64 s[6:7], s[6:7], exec
	s_or_saveexec_b64 s[8:9], s[8:9]
	v_mov_b32_e32 v17, s31
	s_xor_b64 exec, exec, s[8:9]
	s_cbranch_execz .LBB255_57
.LBB255_92:                             ;   in Loop: Header=BB255_43 Depth=1
	v_cmp_ne_u16_e32 vcc, 0, v4
	s_andn2_b64 s[6:7], s[6:7], exec
	s_and_b64 s[12:13], vcc, exec
	v_mov_b32_e32 v17, 0
	s_or_b64 s[6:7], s[6:7], s[12:13]
	s_or_b64 exec, exec, s[8:9]
	s_and_saveexec_b64 s[8:9], s[6:7]
	s_cbranch_execnz .LBB255_58
	s_branch .LBB255_59
.LBB255_93:                             ;   in Loop: Header=BB255_43 Depth=1
	v_cmp_eq_u16_sdwa s[34:35], v13, s20 src0_sel:BYTE_0 src1_sel:DWORD
	s_mov_b64 s[6:7], -1
                                        ; implicit-def: $sgpr31
	s_and_saveexec_b64 s[12:13], s[34:35]
; %bb.94:                               ;   in Loop: Header=BB255_43 Depth=1
	s_mov_b32 s31, 0x7fc02000
	s_xor_b64 s[6:7], exec, -1
; %bb.95:                               ;   in Loop: Header=BB255_43 Depth=1
	s_or_b64 exec, exec, s[12:13]
	s_and_b64 s[6:7], s[6:7], exec
	s_or_saveexec_b64 s[8:9], s[8:9]
	v_mov_b32_e32 v12, s31
	s_xor_b64 exec, exec, s[8:9]
	s_cbranch_execz .LBB255_61
.LBB255_96:                             ;   in Loop: Header=BB255_43 Depth=1
	v_cmp_ne_u16_sdwa s[12:13], v13, v5 src0_sel:BYTE_0 src1_sel:DWORD
	s_andn2_b64 s[6:7], s[6:7], exec
	s_and_b64 s[12:13], s[12:13], exec
	v_mov_b32_e32 v12, 0
	s_or_b64 s[6:7], s[6:7], s[12:13]
	s_or_b64 exec, exec, s[8:9]
	v_mov_b32_e32 v4, v13
	s_and_saveexec_b64 s[8:9], s[6:7]
	s_cbranch_execnz .LBB255_62
	s_branch .LBB255_63
.LBB255_97:                             ;   in Loop: Header=BB255_43 Depth=1
	v_cmp_eq_u16_e32 vcc, s20, v4
	s_mov_b64 s[6:7], -1
                                        ; implicit-def: $sgpr31
	s_and_saveexec_b64 s[12:13], vcc
; %bb.98:                               ;   in Loop: Header=BB255_43 Depth=1
	s_mov_b32 s31, 0x7fc02000
	s_xor_b64 s[6:7], exec, -1
; %bb.99:                               ;   in Loop: Header=BB255_43 Depth=1
	s_or_b64 exec, exec, s[12:13]
	s_and_b64 s[6:7], s[6:7], exec
	s_or_saveexec_b64 s[8:9], s[8:9]
	v_mov_b32_e32 v28, s31
	s_xor_b64 exec, exec, s[8:9]
	s_cbranch_execz .LBB255_65
.LBB255_100:                            ;   in Loop: Header=BB255_43 Depth=1
	v_cmp_ne_u16_e32 vcc, 0, v4
	s_andn2_b64 s[6:7], s[6:7], exec
	s_and_b64 s[12:13], vcc, exec
	v_mov_b32_e32 v28, 0
	s_or_b64 s[6:7], s[6:7], s[12:13]
	s_or_b64 exec, exec, s[8:9]
	s_and_saveexec_b64 s[8:9], s[6:7]
	s_cbranch_execnz .LBB255_66
	s_branch .LBB255_67
.LBB255_101:                            ;   in Loop: Header=BB255_43 Depth=1
	v_cmp_eq_u16_sdwa s[34:35], v4, s20 src0_sel:BYTE_0 src1_sel:DWORD
	s_mov_b64 s[6:7], -1
                                        ; implicit-def: $sgpr31
	s_and_saveexec_b64 s[12:13], s[34:35]
; %bb.102:                              ;   in Loop: Header=BB255_43 Depth=1
	s_mov_b32 s31, 0x7fc02000
	s_xor_b64 s[6:7], exec, -1
; %bb.103:                              ;   in Loop: Header=BB255_43 Depth=1
	s_or_b64 exec, exec, s[12:13]
	s_and_b64 s[6:7], s[6:7], exec
	s_or_saveexec_b64 s[8:9], s[8:9]
	v_mov_b32_e32 v29, s31
	s_xor_b64 exec, exec, s[8:9]
	s_cbranch_execz .LBB255_69
.LBB255_104:                            ;   in Loop: Header=BB255_43 Depth=1
	v_cmp_ne_u16_sdwa s[12:13], v4, v5 src0_sel:BYTE_0 src1_sel:DWORD
	s_andn2_b64 s[6:7], s[6:7], exec
	s_and_b64 s[12:13], s[12:13], exec
	v_mov_b32_e32 v29, 0
	s_or_b64 s[6:7], s[6:7], s[12:13]
	s_or_b64 exec, exec, s[8:9]
	s_and_saveexec_b64 s[8:9], s[6:7]
	s_cbranch_execnz .LBB255_70
	s_branch .LBB255_71
.LBB255_105:                            ;   in Loop: Header=BB255_43 Depth=1
	v_cmp_eq_u16_e32 vcc, s20, v4
	s_mov_b64 s[6:7], -1
                                        ; implicit-def: $sgpr31
	s_and_saveexec_b64 s[12:13], vcc
; %bb.106:                              ;   in Loop: Header=BB255_43 Depth=1
	s_mov_b32 s31, 0x7fc02000
	s_xor_b64 s[6:7], exec, -1
; %bb.107:                              ;   in Loop: Header=BB255_43 Depth=1
	s_or_b64 exec, exec, s[12:13]
	s_and_b64 s[6:7], s[6:7], exec
	s_or_saveexec_b64 s[8:9], s[8:9]
	v_mov_b32_e32 v30, s31
	s_xor_b64 exec, exec, s[8:9]
	s_cbranch_execz .LBB255_73
.LBB255_108:                            ;   in Loop: Header=BB255_43 Depth=1
	v_cmp_ne_u16_e32 vcc, 0, v4
	s_andn2_b64 s[6:7], s[6:7], exec
	s_and_b64 s[12:13], vcc, exec
	v_mov_b32_e32 v30, 0
	s_or_b64 s[6:7], s[6:7], s[12:13]
	s_or_b64 exec, exec, s[8:9]
	s_and_saveexec_b64 s[8:9], s[6:7]
	s_cbranch_execnz .LBB255_74
	s_branch .LBB255_75
.LBB255_109:
	s_or_b64 exec, exec, s[4:5]
.LBB255_110:
	s_or_b64 exec, exec, s[2:3]
	v_and_b32_e32 v0, 0x3c0, v0
	v_cmp_eq_u32_e32 vcc, 64, v0
	s_barrier
	s_and_saveexec_b64 s[2:3], vcc
	s_cbranch_execz .LBB255_112
; %bb.111:
	v_mov_b32_e32 v0, 0x90
	v_lshl_add_u32 v0, v1, 2, v0
	ds_write_b32 v0, v11
.LBB255_112:
	s_or_b64 exec, exec, s[2:3]
	s_waitcnt lgkmcnt(0)
	s_barrier
	s_and_saveexec_b64 s[2:3], s[10:11]
	s_cbranch_execz .LBB255_114
; %bb.113:
	v_mov_b32_e32 v0, 0x90
	v_lshl_add_u32 v0, v1, 2, v0
	ds_read_b32 v0, v0
	s_waitcnt lgkmcnt(0)
	v_add_f32_e32 v11, v11, v0
.LBB255_114:
	s_or_b64 exec, exec, s[2:3]
	s_barrier
	s_and_saveexec_b64 s[2:3], s[10:11]
	s_cbranch_execz .LBB255_116
; %bb.115:
	s_lshl_b32 s0, s0, 6
	s_ashr_i32 s1, s0, 31
	s_lshl_b64 s[0:1], s[0:1], 1
	s_add_u32 s2, s26, s0
	s_mul_i32 s0, s33, s24
	s_addc_u32 s3, s27, s1
	s_ashr_i32 s1, s0, 31
	s_lshl_b64 s[0:1], s[0:1], 1
	s_add_u32 s2, s2, s0
	s_addc_u32 s3, s3, s1
	s_ashr_i32 s17, s16, 31
	s_lshl_b64 s[0:1], s[16:17], 1
	s_add_u32 s0, s2, s0
	s_addc_u32 s1, s3, s1
	v_lshlrev_b32_e32 v0, 1, v1
	;;#ASMSTART
	v_cvt_f16_f32 v1, v11;

	;;#ASMEND
	global_store_short v0, v1, s[0:1]
.LBB255_116:
	s_endpgm
	.section	.rodata,"a",@progbits
	.p2align	6, 0x0
	.amdhsa_kernel _ZN4vllm25paged_attention_v2_kernelIthLi64ELi8ELi128ELNS_18Fp8KVCacheDataTypeE1ELb0ELi512EEEvPfS2_PT_PKS3_PKT0_S9_ifPKiSB_iPKfiiiSD_SD_iiiii
		.amdhsa_group_segment_fixed_size 144
		.amdhsa_private_segment_fixed_size 0
		.amdhsa_kernarg_size 400
		.amdhsa_user_sgpr_count 2
		.amdhsa_user_sgpr_dispatch_ptr 0
		.amdhsa_user_sgpr_queue_ptr 0
		.amdhsa_user_sgpr_kernarg_segment_ptr 1
		.amdhsa_user_sgpr_dispatch_id 0
		.amdhsa_user_sgpr_kernarg_preload_length 0
		.amdhsa_user_sgpr_kernarg_preload_offset 0
		.amdhsa_user_sgpr_private_segment_size 0
		.amdhsa_uses_dynamic_stack 0
		.amdhsa_enable_private_segment 0
		.amdhsa_system_sgpr_workgroup_id_x 1
		.amdhsa_system_sgpr_workgroup_id_y 1
		.amdhsa_system_sgpr_workgroup_id_z 1
		.amdhsa_system_sgpr_workgroup_info 0
		.amdhsa_system_vgpr_workitem_id 0
		.amdhsa_next_free_vgpr 36
		.amdhsa_next_free_sgpr 48
		.amdhsa_accum_offset 36
		.amdhsa_reserve_vcc 1
		.amdhsa_float_round_mode_32 0
		.amdhsa_float_round_mode_16_64 0
		.amdhsa_float_denorm_mode_32 3
		.amdhsa_float_denorm_mode_16_64 3
		.amdhsa_dx10_clamp 1
		.amdhsa_ieee_mode 1
		.amdhsa_fp16_overflow 0
		.amdhsa_tg_split 0
		.amdhsa_exception_fp_ieee_invalid_op 0
		.amdhsa_exception_fp_denorm_src 0
		.amdhsa_exception_fp_ieee_div_zero 0
		.amdhsa_exception_fp_ieee_overflow 0
		.amdhsa_exception_fp_ieee_underflow 0
		.amdhsa_exception_fp_ieee_inexact 0
		.amdhsa_exception_int_div_zero 0
	.end_amdhsa_kernel
	.section	.text._ZN4vllm25paged_attention_v2_kernelIthLi64ELi8ELi128ELNS_18Fp8KVCacheDataTypeE1ELb0ELi512EEEvPfS2_PT_PKS3_PKT0_S9_ifPKiSB_iPKfiiiSD_SD_iiiii,"axG",@progbits,_ZN4vllm25paged_attention_v2_kernelIthLi64ELi8ELi128ELNS_18Fp8KVCacheDataTypeE1ELb0ELi512EEEvPfS2_PT_PKS3_PKT0_S9_ifPKiSB_iPKfiiiSD_SD_iiiii,comdat
.Lfunc_end255:
	.size	_ZN4vllm25paged_attention_v2_kernelIthLi64ELi8ELi128ELNS_18Fp8KVCacheDataTypeE1ELb0ELi512EEEvPfS2_PT_PKS3_PKT0_S9_ifPKiSB_iPKfiiiSD_SD_iiiii, .Lfunc_end255-_ZN4vllm25paged_attention_v2_kernelIthLi64ELi8ELi128ELNS_18Fp8KVCacheDataTypeE1ELb0ELi512EEEvPfS2_PT_PKS3_PKT0_S9_ifPKiSB_iPKfiiiSD_SD_iiiii
                                        ; -- End function
	.section	.AMDGPU.csdata,"",@progbits
; Kernel info:
; codeLenInByte = 5976
; NumSgprs: 54
; NumVgprs: 36
; NumAgprs: 0
; TotalNumVgprs: 36
; ScratchSize: 0
; MemoryBound: 0
; FloatMode: 240
; IeeeMode: 1
; LDSByteSize: 144 bytes/workgroup (compile time only)
; SGPRBlocks: 6
; VGPRBlocks: 4
; NumSGPRsForWavesPerEU: 54
; NumVGPRsForWavesPerEU: 36
; AccumOffset: 36
; Occupancy: 8
; WaveLimiterHint : 1
; COMPUTE_PGM_RSRC2:SCRATCH_EN: 0
; COMPUTE_PGM_RSRC2:USER_SGPR: 2
; COMPUTE_PGM_RSRC2:TRAP_HANDLER: 0
; COMPUTE_PGM_RSRC2:TGID_X_EN: 1
; COMPUTE_PGM_RSRC2:TGID_Y_EN: 1
; COMPUTE_PGM_RSRC2:TGID_Z_EN: 1
; COMPUTE_PGM_RSRC2:TIDIG_COMP_CNT: 0
; COMPUTE_PGM_RSRC3_GFX90A:ACCUM_OFFSET: 8
; COMPUTE_PGM_RSRC3_GFX90A:TG_SPLIT: 0
	.section	.text._ZN4vllm25paged_attention_v2_kernelIthLi80ELi8ELi128ELNS_18Fp8KVCacheDataTypeE1ELb0ELi512EEEvPfS2_PT_PKS3_PKT0_S9_ifPKiSB_iPKfiiiSD_SD_iiiii,"axG",@progbits,_ZN4vllm25paged_attention_v2_kernelIthLi80ELi8ELi128ELNS_18Fp8KVCacheDataTypeE1ELb0ELi512EEEvPfS2_PT_PKS3_PKT0_S9_ifPKiSB_iPKfiiiSD_SD_iiiii,comdat
	.protected	_ZN4vllm25paged_attention_v2_kernelIthLi80ELi8ELi128ELNS_18Fp8KVCacheDataTypeE1ELb0ELi512EEEvPfS2_PT_PKS3_PKT0_S9_ifPKiSB_iPKfiiiSD_SD_iiiii ; -- Begin function _ZN4vllm25paged_attention_v2_kernelIthLi80ELi8ELi128ELNS_18Fp8KVCacheDataTypeE1ELb0ELi512EEEvPfS2_PT_PKS3_PKT0_S9_ifPKiSB_iPKfiiiSD_SD_iiiii
	.globl	_ZN4vllm25paged_attention_v2_kernelIthLi80ELi8ELi128ELNS_18Fp8KVCacheDataTypeE1ELb0ELi512EEEvPfS2_PT_PKS3_PKT0_S9_ifPKiSB_iPKfiiiSD_SD_iiiii
	.p2align	8
	.type	_ZN4vllm25paged_attention_v2_kernelIthLi80ELi8ELi128ELNS_18Fp8KVCacheDataTypeE1ELb0ELi512EEEvPfS2_PT_PKS3_PKT0_S9_ifPKiSB_iPKfiiiSD_SD_iiiii,@function
_ZN4vllm25paged_attention_v2_kernelIthLi80ELi8ELi128ELNS_18Fp8KVCacheDataTypeE1ELb0ELi512EEEvPfS2_PT_PKS3_PKT0_S9_ifPKiSB_iPKfiiiSD_SD_iiiii: ; @_ZN4vllm25paged_attention_v2_kernelIthLi80ELi8ELi128ELNS_18Fp8KVCacheDataTypeE1ELb0ELi512EEEvPfS2_PT_PKS3_PKT0_S9_ifPKiSB_iPKfiiiSD_SD_iiiii
; %bb.0:
	s_load_dwordx2 s[6:7], s[0:1], 0x40
	s_mov_b32 s28, s3
	s_ashr_i32 s29, s3, 31
	s_lshl_b64 s[8:9], s[28:29], 2
	s_waitcnt lgkmcnt(0)
	s_add_u32 s6, s6, s8
	s_addc_u32 s7, s7, s9
	s_load_dword s29, s[6:7], 0x0
	s_lshl_b32 s44, s4, 9
	s_waitcnt lgkmcnt(0)
	s_cmp_ge_i32 s44, s29
	s_cbranch_scc1 .LBB256_188
; %bb.1:
	s_load_dword s5, s[0:1], 0x90
	s_load_dwordx2 s[38:39], s[0:1], 0x30
	s_mov_b32 s45, 0
	s_waitcnt lgkmcnt(0)
	s_abs_i32 s7, s5
	s_abs_i32 s3, s38
	v_cvt_f32_u32_e32 v1, s3
	s_sub_i32 s8, 0, s3
	s_xor_b32 s6, s5, s38
	s_ashr_i32 s6, s6, 31
	v_rcp_iflag_f32_e32 v1, v1
	s_nop 0
	v_mul_f32_e32 v1, 0x4f7ffffe, v1
	v_cvt_u32_f32_e32 v1, v1
	s_nop 0
	v_readfirstlane_b32 s9, v1
	s_mul_i32 s8, s8, s9
	s_mul_hi_u32 s8, s9, s8
	s_add_i32 s9, s9, s8
	s_mul_hi_u32 s8, s7, s9
	s_mul_i32 s9, s8, s3
	s_sub_i32 s7, s7, s9
	s_add_i32 s10, s8, 1
	s_sub_i32 s9, s7, s3
	s_cmp_ge_u32 s7, s3
	s_cselect_b32 s8, s10, s8
	s_cselect_b32 s7, s9, s7
	s_add_i32 s9, s8, 1
	s_cmp_ge_u32 s7, s3
	s_cselect_b32 s3, s9, s8
	s_xor_b32 s3, s3, s6
	s_sub_i32 s10, s3, s6
	s_abs_i32 s8, s10
	v_cvt_f32_u32_e32 v1, s8
	s_load_dwordx2 s[6:7], s[0:1], 0x50
	s_sub_i32 s3, 0, s8
	s_abs_i32 s9, s2
	v_rcp_iflag_f32_e32 v1, v1
	s_nop 0
	v_mul_f32_e32 v1, 0x4f7ffffe, v1
	v_cvt_u32_f32_e32 v1, v1
	s_nop 0
	v_readfirstlane_b32 s11, v1
	s_mul_i32 s3, s3, s11
	s_mul_hi_u32 s3, s11, s3
	s_add_i32 s11, s11, s3
	s_waitcnt lgkmcnt(0)
	s_cmp_eq_u64 s[6:7], 0
	s_mul_hi_u32 s12, s9, s11
	s_cbranch_scc1 .LBB256_3
; %bb.2:
	s_ashr_i32 s3, s2, 31
	s_lshl_b64 s[14:15], s[2:3], 2
	s_add_u32 s6, s6, s14
	s_addc_u32 s7, s7, s15
	s_load_dword s45, s[6:7], 0x0
.LBB256_3:
	s_load_dwordx4 s[16:19], s[0:1], 0x58
	s_movk_i32 s3, 0x50
	s_ashr_i32 s13, s2, 31
	s_ashr_i32 s14, s10, 31
	v_and_b32_e32 v6, 7, v0
	s_mul_i32 s24, s2, 0x50
	v_cmp_gt_u32_e64 s[10:11], s3, v0
	v_lshlrev_b32_e32 v2, 1, v0
	s_and_saveexec_b64 s[6:7], s[10:11]
	s_cbranch_execz .LBB256_5
; %bb.4:
	s_load_dwordx2 s[20:21], s[0:1], 0x18
	s_waitcnt lgkmcnt(0)
	s_mul_i32 s22, s28, s16
	s_ashr_i32 s23, s22, 31
	s_lshl_b64 s[22:23], s[22:23], 1
	v_lshrrev_b32_e32 v3, 2, v0
	s_add_u32 s3, s20, s22
	s_addc_u32 s15, s21, s23
	s_ashr_i32 s25, s24, 31
	s_lshl_b64 s[20:21], s[24:25], 1
	s_add_u32 s20, s3, s20
	s_addc_u32 s21, s15, s21
	global_load_ushort v1, v2, s[20:21]
	v_and_b32_e32 v3, 0xfe, v3
	v_mad_u32_u24 v3, v6, 20, v3
	s_waitcnt vmcnt(0)
	ds_write_b16 v3, v1
.LBB256_5:
	s_or_b64 exec, exec, s[6:7]
	s_add_i32 s3, s29, 7
	s_ashr_i32 s6, s3, 31
	s_lshr_b32 s6, s6, 29
	s_add_i32 s3, s3, s6
	s_lshl_b32 s38, s4, 6
	s_mul_i32 s7, s12, s8
	s_ashr_i32 s3, s3, 3
	s_add_i32 s6, s38, 64
	s_sub_i32 s7, s9, s7
	s_min_i32 s33, s6, s3
	s_xor_b32 s6, s13, s14
	s_add_i32 s9, s12, 1
	s_sub_i32 s13, s7, s8
	s_cmp_ge_u32 s7, s8
	s_cselect_b32 s9, s9, s12
	s_cselect_b32 s7, s13, s7
	s_add_i32 s12, s9, 1
	s_cmp_ge_u32 s7, s8
	s_load_dwordx2 s[30:31], s[0:1], 0x38
	s_load_dword s8, s[0:1], 0x48
	v_lshrrev_b32_e32 v14, 6, v0
	s_cselect_b32 s7, s12, s9
	s_xor_b32 s7, s7, s6
	v_or_b32_e32 v4, s38, v14
	s_waitcnt lgkmcnt(0)
	s_mul_i32 s34, s28, s8
	s_sub_i32 s16, s7, s6
	s_ashr_i32 s35, s34, 31
	v_cmp_gt_i32_e64 s[6:7], s33, v4
	v_cmp_le_i32_e32 vcc, s33, v4
	v_mbcnt_lo_u32_b32 v17, -1, 0
	s_barrier
	s_waitcnt lgkmcnt(0)
                                        ; implicit-def: $sgpr19
                                        ; implicit-def: $vgpr3
                                        ; implicit-def: $vgpr12
	s_and_saveexec_b64 s[8:9], vcc
	s_xor_b64 s[8:9], exec, s[8:9]
; %bb.6:
	v_mbcnt_hi_u32_b32 v3, -1, v17
	v_and_b32_e32 v1, 64, v3
	v_add_u32_e32 v12, 64, v1
	s_mov_b32 s19, 0xff7fffff
                                        ; implicit-def: $vgpr6
                                        ; implicit-def: $vgpr17
; %bb.7:
	s_or_saveexec_b64 s[40:41], s[8:9]
	s_load_dwordx4 s[20:23], s[0:1], 0x0
	s_load_dwordx2 s[26:27], s[0:1], 0x10
	s_load_dword s25, s[0:1], 0x98
	s_load_dwordx2 s[36:37], s[0:1], 0x28
	s_load_dwordx4 s[12:15], s[0:1], 0x68
	v_mov_b32_e32 v1, s19
	s_mul_i32 s16, s16, s18
	v_ashrrev_i32_e32 v5, 31, v4
	s_xor_b64 exec, exec, s[40:41]
	s_cbranch_execz .LBB256_13
; %bb.8:
	s_load_dwordx2 s[0:1], s[0:1], 0x20
	s_ashr_i32 s8, s16, 31
	v_bfe_u32 v1, v0, 3, 3
	v_mov_b32_e32 v7, 0
	v_lshlrev_b32_e32 v8, 4, v1
	s_waitcnt lgkmcnt(0)
	s_add_u32 s0, s0, s16
	s_addc_u32 s1, s1, s8
	v_mov_b32_e32 v9, v7
	v_lshl_add_u64 v[8:9], s[0:1], 0, v[8:9]
	s_sub_i32 s47, 1, s29
	v_lshlrev_b32_e32 v3, 3, v14
	s_lshl_b64 s[0:1], s[34:35], 2
	v_add3_u32 v15, s44, v3, v1
	v_lshlrev_b32_e32 v1, 2, v1
	s_add_u32 s0, s30, s0
	v_mbcnt_hi_u32_b32 v3, -1, v17
	v_lshl_or_b32 v1, v14, 5, v1
	s_addc_u32 s1, s31, s1
	v_and_b32_e32 v12, 64, v3
	s_mov_b32 s46, s17
	v_mul_u32_u24_e32 v13, 20, v6
	v_cmp_eq_u32_e32 vcc, 0, v6
	v_cmp_neq_f32_e64 s[8:9], s45, 0
	v_add_u32_e32 v16, 0xb0, v1
	v_lshl_add_u64 v[10:11], v[4:5], 2, s[0:1]
	s_mov_b64 s[18:19], 0
	v_mov_b32_e32 v1, 0xff7fffff
	v_add_u32_e32 v12, 64, v12
	v_xor_b32_e32 v17, 4, v3
	v_xor_b32_e32 v18, 2, v3
	;; [unrolled: 1-line block ×3, first 2 shown]
	v_mov_b32_e32 v20, v4
	s_branch .LBB256_10
.LBB256_9:                              ;   in Loop: Header=BB256_10 Depth=1
	s_or_b64 exec, exec, s[42:43]
	v_add_u32_e32 v20, 2, v20
	v_cmp_le_i32_e64 s[0:1], s33, v20
	v_add_u32_e32 v15, 16, v15
	v_add_u32_e32 v16, 64, v16
	s_or_b64 s[18:19], s[0:1], s[18:19]
	v_lshl_add_u64 v[10:11], v[10:11], 0, 8
	s_andn2_b64 exec, exec, s[18:19]
	s_cbranch_execz .LBB256_12
.LBB256_10:                             ; =>This Inner Loop Header: Depth=1
	global_load_dword v21, v[10:11], off
	s_waitcnt vmcnt(0) lgkmcnt(0)
	v_mad_i64_i32 v[22:23], s[0:1], v21, s46, v[8:9]
	v_lshl_add_u64 v[22:23], v[22:23], 0, v[6:7]
	global_load_ubyte v21, v[22:23], off
	global_load_ubyte v24, v[22:23], off offset:8
	global_load_dword v25, v7, s[12:13]
	global_load_ubyte v26, v[22:23], off offset:128
	global_load_ubyte v27, v[22:23], off offset:136
	;; [unrolled: 1-line block ×8, first 2 shown]
	ds_read_u16 v22, v13
	s_waitcnt lgkmcnt(0)
	;;#ASMSTART
	v_cvt_f32_f16 v22, v22;
	;;#ASMEND
	v_cmp_lt_i32_e64 s[0:1], v17, v12
	s_waitcnt vmcnt(10)
	v_cvt_f32_fp8_sdwa v21, v21 src0_sel:BYTE_0
	s_waitcnt vmcnt(9)
	v_cvt_f32_fp8_sdwa v24, v24 src0_sel:BYTE_0
	v_cndmask_b32_e64 v23, v3, v17, s[0:1]
	s_waitcnt vmcnt(7)
	v_cvt_f32_fp8_sdwa v26, v26 src0_sel:BYTE_0
	v_fma_mixlo_f16 v21, v25, v21, 0
	v_and_b32_e32 v21, 0xffff, v21
	v_fma_mixlo_f16 v24, v25, v24, 0
	s_waitcnt vmcnt(6)
	v_cvt_f32_fp8_sdwa v27, v27 src0_sel:BYTE_0
	;;#ASMSTART
	v_cvt_f32_f16 v21, v21;
	;;#ASMEND
	ds_read_u16 v34, v13 offset:2
	v_and_b32_e32 v24, 0xffff, v24
	s_waitcnt vmcnt(5)
	v_cvt_f32_fp8_sdwa v28, v28 src0_sel:BYTE_0
	s_waitcnt lgkmcnt(0)
	;;#ASMSTART
	v_cvt_f32_f16 v34, v34;
	;;#ASMEND
	;;#ASMSTART
	v_cvt_f32_f16 v24, v24;
	;;#ASMEND
	s_waitcnt vmcnt(4)
	v_cvt_f32_fp8_sdwa v29, v29 src0_sel:BYTE_0
	v_fma_mixlo_f16 v26, v25, v26, 0
	s_waitcnt vmcnt(3)
	v_cvt_f32_fp8_sdwa v30, v30 src0_sel:BYTE_0
	v_mul_f32_e32 v24, v34, v24
	ds_read_u16 v35, v13 offset:4
	v_and_b32_e32 v26, 0xffff, v26
	v_fma_mixlo_f16 v27, v25, v27, 0
	s_waitcnt vmcnt(2)
	v_cvt_f32_fp8_sdwa v31, v31 src0_sel:BYTE_0
	v_fmac_f32_e32 v24, v22, v21
	s_waitcnt lgkmcnt(0)
	;;#ASMSTART
	v_cvt_f32_f16 v35, v35;
	;;#ASMEND
	;;#ASMSTART
	v_cvt_f32_f16 v26, v26;
	;;#ASMEND
	ds_read_u16 v36, v13 offset:6
	v_and_b32_e32 v27, 0xffff, v27
	s_waitcnt vmcnt(1)
	v_cvt_f32_fp8_sdwa v32, v32 src0_sel:BYTE_0
	v_fma_mixlo_f16 v28, v25, v28, 0
	s_waitcnt vmcnt(0)
	v_cvt_f32_fp8_sdwa v33, v33 src0_sel:BYTE_0
	v_fmac_f32_e32 v24, v35, v26
	s_waitcnt lgkmcnt(0)
	;;#ASMSTART
	v_cvt_f32_f16 v36, v36;
	;;#ASMEND
	;;#ASMSTART
	v_cvt_f32_f16 v27, v27;
	;;#ASMEND
	ds_read_u16 v37, v13 offset:8
	v_and_b32_e32 v28, 0xffff, v28
	v_fma_mixlo_f16 v29, v25, v29, 0
	v_fmac_f32_e32 v24, v36, v27
	s_waitcnt lgkmcnt(0)
	;;#ASMSTART
	v_cvt_f32_f16 v37, v37;
	;;#ASMEND
	;;#ASMSTART
	v_cvt_f32_f16 v28, v28;
	;;#ASMEND
	ds_read_u16 v38, v13 offset:10
	v_fma_mixlo_f16 v30, v25, v30, 0
	v_and_b32_e32 v29, 0xffff, v29
	v_fmac_f32_e32 v24, v37, v28
	s_waitcnt lgkmcnt(0)
	;;#ASMSTART
	v_cvt_f32_f16 v38, v38;
	;;#ASMEND
	;;#ASMSTART
	v_cvt_f32_f16 v29, v29;
	;;#ASMEND
	v_fma_mixlo_f16 v31, v25, v31, 0
	v_and_b32_e32 v30, 0xffff, v30
	v_fmac_f32_e32 v24, v38, v29
	ds_read_u16 v39, v13 offset:12
	v_fma_mixlo_f16 v32, v25, v32, 0
	v_fma_mixlo_f16 v25, v25, v33, 0
	s_waitcnt lgkmcnt(0)
	;;#ASMSTART
	v_cvt_f32_f16 v33, v39;
	;;#ASMEND
	;;#ASMSTART
	v_cvt_f32_f16 v30, v30;
	;;#ASMEND
	v_and_b32_e32 v31, 0xffff, v31
	v_fmac_f32_e32 v24, v33, v30
	ds_read_u16 v39, v13 offset:14
	s_waitcnt lgkmcnt(0)
	;;#ASMSTART
	v_cvt_f32_f16 v34, v39;
	;;#ASMEND
	;;#ASMSTART
	v_cvt_f32_f16 v31, v31;
	;;#ASMEND
	v_and_b32_e32 v32, 0xffff, v32
	v_fmac_f32_e32 v24, v34, v31
	ds_read_u16 v39, v13 offset:16
	s_waitcnt lgkmcnt(0)
	;;#ASMSTART
	v_cvt_f32_f16 v21, v39;
	;;#ASMEND
	;;#ASMSTART
	v_cvt_f32_f16 v22, v32;
	;;#ASMEND
	v_lshlrev_b32_e32 v23, 2, v23
	v_fmac_f32_e32 v24, v21, v22
	v_and_b32_e32 v25, 0xffff, v25
	ds_read_u16 v26, v13 offset:18
	s_waitcnt lgkmcnt(0)
	;;#ASMSTART
	v_cvt_f32_f16 v21, v26;
	;;#ASMEND
	;;#ASMSTART
	v_cvt_f32_f16 v22, v25;
	;;#ASMEND
	v_cmp_lt_i32_e64 s[0:1], v18, v12
	v_fmac_f32_e32 v24, v21, v22
	ds_bpermute_b32 v21, v23, v24
	v_cndmask_b32_e64 v22, v3, v18, s[0:1]
	v_lshlrev_b32_e32 v22, 2, v22
	v_cmp_lt_i32_e64 s[0:1], v19, v12
	s_waitcnt lgkmcnt(0)
	v_add_f32_e32 v21, v24, v21
	ds_bpermute_b32 v22, v22, v21
	v_cndmask_b32_e64 v23, v3, v19, s[0:1]
	s_waitcnt lgkmcnt(0)
	v_add_f32_e32 v21, v21, v22
	v_lshlrev_b32_e32 v22, 2, v23
	ds_bpermute_b32 v22, v22, v21
	s_and_saveexec_b64 s[42:43], vcc
	s_cbranch_execz .LBB256_9
; %bb.11:                               ;   in Loop: Header=BB256_10 Depth=1
	v_add_u32_e32 v23, s47, v15
	v_cvt_f32_i32_e32 v23, v23
	s_waitcnt lgkmcnt(0)
	v_add_f32_e32 v21, v21, v22
	v_cmp_gt_i32_e64 s[0:1], s29, v15
	v_max_f32_e32 v22, v1, v1
	v_mul_f32_e32 v23, s45, v23
	v_cndmask_b32_e64 v23, 0, v23, s[8:9]
	v_fmac_f32_e32 v23, s39, v21
	v_cndmask_b32_e64 v21, 0, v23, s[0:1]
	ds_write_b32 v16, v21
	v_max_f32_e32 v21, v22, v23
	v_cndmask_b32_e64 v1, v1, v21, s[0:1]
	s_branch .LBB256_9
.LBB256_12:
	s_or_b64 exec, exec, s[18:19]
.LBB256_13:
	s_or_b64 exec, exec, s[40:41]
	v_xor_b32_e32 v6, 32, v3
	v_cmp_lt_i32_e32 vcc, v6, v12
	v_xor_b32_e32 v8, 16, v3
	v_xor_b32_e32 v9, 8, v3
	v_cndmask_b32_e32 v6, v3, v6, vcc
	v_lshlrev_b32_e32 v7, 2, v6
	ds_bpermute_b32 v6, v7, v1
	v_max_f32_e32 v1, v1, v1
	v_cmp_lt_i32_e32 vcc, v8, v12
	s_waitcnt lgkmcnt(0)
	v_max_f32_e32 v6, v6, v6
	v_max_f32_e32 v1, v1, v6
	v_cndmask_b32_e32 v6, v3, v8, vcc
	v_lshlrev_b32_e32 v10, 2, v6
	ds_bpermute_b32 v6, v10, v1
	v_cmp_lt_i32_e32 vcc, v9, v12
	s_waitcnt lgkmcnt(0)
	v_max_f32_e32 v6, v6, v6
	v_max_f32_e32 v8, v1, v6
	v_cndmask_b32_e32 v1, v3, v9, vcc
	v_lshlrev_b32_e32 v11, 2, v1
	ds_bpermute_b32 v9, v11, v8
	v_and_b32_e32 v1, 63, v0
	v_cmp_eq_u32_e32 vcc, 0, v1
	v_lshlrev_b32_e32 v6, 2, v14
	s_and_saveexec_b64 s[0:1], vcc
	s_cbranch_execz .LBB256_15
; %bb.14:
	s_waitcnt lgkmcnt(0)
	v_max_f32_e32 v9, v9, v9
	v_max_f32_e32 v8, v8, v8
	;; [unrolled: 1-line block ×3, first 2 shown]
	ds_write_b32 v6, v8 offset:160
.LBB256_15:
	s_or_b64 exec, exec, s[0:1]
	v_cmp_gt_u32_e64 s[0:1], 2, v1
	v_mov_b32_e32 v8, 0xff7fffff
	s_waitcnt lgkmcnt(0)
	v_lshlrev_b32_e32 v9, 2, v1
	s_barrier
	s_and_saveexec_b64 s[8:9], s[0:1]
	s_cbranch_execz .LBB256_17
; %bb.16:
	ds_read_b32 v8, v9 offset:160
.LBB256_17:
	s_or_b64 exec, exec, s[8:9]
	v_xor_b32_e32 v13, 1, v3
	v_cmp_lt_i32_e64 s[8:9], v13, v12
	v_mov_b32_e32 v16, 0
	s_nop 0
	v_cndmask_b32_e64 v13, v3, v13, s[8:9]
	v_lshlrev_b32_e32 v13, 2, v13
	s_waitcnt lgkmcnt(0)
	ds_bpermute_b32 v15, v13, v8
	v_max_f32_e32 v8, v8, v8
	s_sub_i32 s8, s33, s38
	s_lshl_b32 s8, s8, 3
	s_add_i32 s8, s8, s44
	s_waitcnt lgkmcnt(0)
	v_max_f32_e32 v15, v15, v15
	v_max_f32_e32 v8, v8, v15
	v_lshlrev_b32_e32 v15, 2, v3
	v_and_b32_e32 v15, 0xffffff00, v15
	ds_bpermute_b32 v8, v15, v8
	s_min_i32 s41, s8, s29
	s_sub_i32 s40, s41, s44
	v_cmp_gt_i32_e64 s[8:9], s40, v0
	s_and_saveexec_b64 s[18:19], s[8:9]
	s_cbranch_execz .LBB256_21
; %bb.18:
	v_mov_b32_e32 v16, 0xb0
	v_lshl_add_u32 v17, v0, 2, v16
	s_mov_b64 s[38:39], 0
	v_mov_b32_e32 v16, 0
	v_mov_b32_e32 v18, v0
.LBB256_19:                             ; =>This Inner Loop Header: Depth=1
	ds_read_b32 v19, v17
	v_add_u32_e32 v18, 0x80, v18
	v_cmp_le_i32_e64 s[12:13], s40, v18
	s_or_b64 s[38:39], s[12:13], s[38:39]
	s_waitcnt lgkmcnt(0)
	v_sub_f32_e32 v19, v19, v8
	v_mul_f32_e32 v19, 0x3fb8aa3b, v19
	v_exp_f32_e32 v19, v19
	ds_write_b32 v17, v19
	v_add_f32_e32 v16, v16, v19
	v_add_u32_e32 v17, 0x200, v17
	s_andn2_b64 exec, exec, s[38:39]
	s_cbranch_execnz .LBB256_19
; %bb.20:
	s_or_b64 exec, exec, s[38:39]
.LBB256_21:
	s_or_b64 exec, exec, s[18:19]
	ds_bpermute_b32 v7, v7, v16
	s_waitcnt lgkmcnt(0)
	v_add_f32_e32 v7, v16, v7
	ds_bpermute_b32 v10, v10, v7
	s_waitcnt lgkmcnt(0)
	v_add_f32_e32 v7, v7, v10
	ds_bpermute_b32 v10, v11, v7
	v_xor_b32_e32 v11, 4, v3
	v_cmp_lt_i32_e64 s[12:13], v11, v12
	s_waitcnt lgkmcnt(0)
	v_add_f32_e32 v7, v7, v10
	v_cndmask_b32_e64 v11, v3, v11, s[12:13]
	v_lshlrev_b32_e32 v11, 2, v11
	ds_bpermute_b32 v10, v11, v7
	v_xor_b32_e32 v11, 2, v3
	v_cmp_lt_i32_e64 s[12:13], v11, v12
	s_waitcnt lgkmcnt(0)
	v_add_f32_e32 v7, v7, v10
	v_cndmask_b32_e64 v3, v3, v11, s[12:13]
	v_lshlrev_b32_e32 v3, 2, v3
	ds_bpermute_b32 v3, v3, v7
	s_waitcnt lgkmcnt(0)
	v_add_f32_e32 v3, v7, v3
	ds_bpermute_b32 v7, v13, v3
	s_waitcnt lgkmcnt(0)
	v_add_f32_e32 v3, v3, v7
	s_and_saveexec_b64 s[12:13], vcc
	s_cbranch_execz .LBB256_23
; %bb.22:
	ds_write_b32 v6, v3 offset:168
.LBB256_23:
	s_or_b64 exec, exec, s[12:13]
	s_waitcnt lgkmcnt(0)
	s_barrier
	s_and_saveexec_b64 s[12:13], s[0:1]
	s_cbranch_execz .LBB256_25
; %bb.24:
	ds_read_b32 v3, v9 offset:168
.LBB256_25:
	s_or_b64 exec, exec, s[12:13]
	s_waitcnt lgkmcnt(0)
	ds_bpermute_b32 v6, v13, v3
	s_waitcnt lgkmcnt(0)
	v_add_f32_e32 v3, v3, v6
	ds_bpermute_b32 v3, v15, v3
	s_and_saveexec_b64 s[0:1], s[8:9]
	s_cbranch_execz .LBB256_38
; %bb.26:
	s_waitcnt lgkmcnt(0)
	v_add_f32_e32 v6, 0x358637bd, v3
	v_div_scale_f32 v7, s[8:9], v6, v6, 1.0
	v_rcp_f32_e32 v9, v7
	v_div_scale_f32 v10, vcc, 1.0, v6, 1.0
	s_movk_i32 s8, 0x7f
	v_fma_f32 v11, -v7, v9, 1.0
	v_fmac_f32_e32 v9, v11, v9
	v_mul_f32_e32 v11, v10, v9
	v_fma_f32 v12, -v7, v11, v10
	v_fmac_f32_e32 v11, v12, v9
	v_fma_f32 v7, -v7, v11, v10
	v_div_fmas_f32 v7, v7, v9, v11
	v_div_fixup_f32 v6, v7, v6, 1.0
	v_xad_u32 v7, v0, -1, s41
	v_subrev_u32_e32 v9, s44, v7
	v_cmp_lt_u32_e32 vcc, s8, v9
	s_mov_b64 s[12:13], -1
	v_mov_b32_e32 v7, v0
	s_and_saveexec_b64 s[8:9], vcc
	s_cbranch_execz .LBB256_35
; %bb.27:
	v_lshrrev_b32_e32 v9, 7, v9
	v_add_u32_e32 v11, -1, v9
	v_lshrrev_b32_e32 v10, 1, v11
	v_mov_b32_e32 v7, v6
	v_add_u32_e32 v10, 1, v10
	v_cmp_lt_u32_e32 vcc, 13, v11
	v_mov_b32_e32 v13, 0
	s_and_saveexec_b64 s[12:13], vcc
	s_cbranch_execz .LBB256_31
; %bb.28:
	v_mov_b32_e32 v12, 0xb0
	v_and_b32_e32 v11, -8, v10
	v_lshl_add_u32 v12, v0, 2, v12
	s_mov_b32 s38, 0
	s_mov_b64 s[18:19], 0
.LBB256_29:                             ; =>This Inner Loop Header: Depth=1
	ds_read2st64_b32 v[16:17], v12 offset1:2
	ds_read2st64_b32 v[18:19], v12 offset0:4 offset1:6
	ds_read2st64_b32 v[20:21], v12 offset0:8 offset1:10
	;; [unrolled: 1-line block ×3, first 2 shown]
	v_add_u32_e32 v11, -8, v11
	s_waitcnt lgkmcnt(3)
	v_pk_mul_f32 v[16:17], v[6:7], v[16:17]
	s_waitcnt lgkmcnt(2)
	v_pk_mul_f32 v[18:19], v[6:7], v[18:19]
	ds_write2st64_b32 v12, v16, v17 offset1:2
	ds_write2st64_b32 v12, v18, v19 offset0:4 offset1:6
	ds_read2st64_b32 v[18:19], v12 offset0:16 offset1:18
	s_waitcnt lgkmcnt(4)
	v_pk_mul_f32 v[16:17], v[6:7], v[20:21]
	ds_write2st64_b32 v12, v16, v17 offset0:8 offset1:10
	s_waitcnt lgkmcnt(4)
	v_pk_mul_f32 v[16:17], v[6:7], v[22:23]
	ds_write2st64_b32 v12, v16, v17 offset0:12 offset1:14
	ds_read2st64_b32 v[16:17], v12 offset0:20 offset1:22
	s_waitcnt lgkmcnt(3)
	v_pk_mul_f32 v[18:19], v[6:7], v[18:19]
	ds_read2st64_b32 v[20:21], v12 offset0:24 offset1:26
	ds_write2st64_b32 v12, v18, v19 offset0:16 offset1:18
	ds_read2st64_b32 v[18:19], v12 offset0:28 offset1:30
	s_waitcnt lgkmcnt(3)
	v_pk_mul_f32 v[16:17], v[6:7], v[16:17]
	ds_write2st64_b32 v12, v16, v17 offset0:20 offset1:22
	s_waitcnt lgkmcnt(3)
	v_pk_mul_f32 v[16:17], v[6:7], v[20:21]
	ds_write2st64_b32 v12, v16, v17 offset0:24 offset1:26
	s_waitcnt lgkmcnt(2)
	v_pk_mul_f32 v[16:17], v[6:7], v[18:19]
	s_add_i32 s38, s38, 16
	v_cmp_eq_u32_e32 vcc, 0, v11
	ds_write2st64_b32 v12, v16, v17 offset0:28 offset1:30
	v_add_u32_e32 v12, 0x2000, v12
	s_or_b64 s[18:19], vcc, s[18:19]
	v_mov_b32_e32 v13, s38
	s_andn2_b64 exec, exec, s[18:19]
	s_cbranch_execnz .LBB256_29
; %bb.30:
	s_or_b64 exec, exec, s[18:19]
.LBB256_31:
	s_or_b64 exec, exec, s[12:13]
	v_and_b32_e32 v10, 7, v10
	v_cmp_ne_u32_e32 vcc, 0, v10
	s_and_saveexec_b64 s[12:13], vcc
	s_cbranch_execz .LBB256_34
; %bb.32:
	v_lshlrev_b32_e32 v11, 9, v13
	v_lshlrev_b32_e32 v12, 2, v0
	s_movk_i32 s18, 0xb0
	v_add3_u32 v11, v11, v12, s18
	s_mov_b64 s[18:19], 0
.LBB256_33:                             ; =>This Inner Loop Header: Depth=1
	ds_read2st64_b32 v[12:13], v11 offset1:2
	v_add_u32_e32 v10, -1, v10
	v_cmp_eq_u32_e32 vcc, 0, v10
	s_or_b64 s[18:19], vcc, s[18:19]
	s_waitcnt lgkmcnt(0)
	v_pk_mul_f32 v[12:13], v[6:7], v[12:13]
	ds_write2st64_b32 v11, v12, v13 offset1:2
	v_add_u32_e32 v11, 0x400, v11
	s_andn2_b64 exec, exec, s[18:19]
	s_cbranch_execnz .LBB256_33
.LBB256_34:
	s_or_b64 exec, exec, s[12:13]
	v_add_u32_e32 v9, 1, v9
	v_and_b32_e32 v10, 0x3fffffe, v9
	v_cmp_ne_u32_e32 vcc, v9, v10
	v_lshl_add_u32 v7, v10, 7, v0
	s_orn2_b64 s[12:13], vcc, exec
.LBB256_35:
	s_or_b64 exec, exec, s[8:9]
	s_and_b64 exec, exec, s[12:13]
	s_cbranch_execz .LBB256_38
; %bb.36:
	v_mov_b32_e32 v9, 0xb0
	v_lshl_add_u32 v9, v7, 2, v9
	s_mov_b64 s[8:9], 0
.LBB256_37:                             ; =>This Inner Loop Header: Depth=1
	ds_read_b32 v10, v9
	v_add_u32_e32 v7, 0x80, v7
	v_cmp_le_i32_e32 vcc, s40, v7
	s_or_b64 s[8:9], vcc, s[8:9]
	s_waitcnt lgkmcnt(0)
	v_mul_f32_e32 v10, v6, v10
	ds_write_b32 v9, v10
	v_add_u32_e32 v9, 0x200, v9
	s_andn2_b64 exec, exec, s[8:9]
	s_cbranch_execnz .LBB256_37
.LBB256_38:
	s_or_b64 exec, exec, s[0:1]
	s_mul_i32 s1, s25, s28
	s_mov_b32 s0, 0
	v_cmp_eq_u32_e32 vcc, 0, v0
	s_mul_i32 s8, s1, s5
	s_waitcnt lgkmcnt(0)
	s_barrier
	s_and_saveexec_b64 s[12:13], vcc
	s_cbranch_execz .LBB256_40
; %bb.39:
	s_ashr_i32 s9, s8, 31
	s_lshl_b64 s[18:19], s[8:9], 2
	s_add_u32 s1, s22, s18
	s_mul_i32 s22, s25, s2
	s_addc_u32 s5, s23, s19
	s_ashr_i32 s23, s22, 31
	s_lshl_b64 s[22:23], s[22:23], 2
	s_add_u32 s1, s1, s22
	s_addc_u32 s2, s5, s23
	s_ashr_i32 s5, s4, 31
	s_lshl_b64 s[38:39], s[4:5], 2
	s_add_u32 s40, s1, s38
	s_addc_u32 s41, s2, s39
	s_add_u32 s1, s20, s18
	s_addc_u32 s2, s21, s19
	;; [unrolled: 2-line block ×3, first 2 shown]
	s_add_u32 s18, s1, s38
	v_mov_b32_e32 v6, 0
	s_addc_u32 s19, s2, s39
	global_store_dword v6, v8, s[40:41]
	global_store_dword v6, v3, s[18:19]
.LBB256_40:
	s_or_b64 exec, exec, s[12:13]
	s_mov_b32 s1, s0
	v_mov_b64_e32 v[6:7], s[0:1]
	s_and_saveexec_b64 s[12:13], s[6:7]
	s_cbranch_execz .LBB256_178
; %bb.41:
	s_ashr_i32 s1, s16, 31
	s_add_u32 s0, s36, s16
	s_addc_u32 s1, s37, s1
	s_add_i32 s9, s3, -1
	s_lshl_b64 s[6:7], s[34:35], 2
	s_mov_b32 s2, 0
	v_or_b32_e32 v3, 64, v1
	s_movk_i32 s3, 0x50
	s_add_u32 s6, s30, s6
	v_mov_b32_e32 v11, 0
	v_cmp_gt_u32_e32 vcc, s3, v3
	v_mov_b32_e32 v6, 0xb0
	s_addc_u32 s7, s31, s7
	s_mov_b32 s3, s2
	s_mov_b32 s5, s17
	v_lshlrev_b32_e32 v8, 3, v1
	v_mov_b32_e32 v9, v11
	v_lshlrev_b32_e32 v12, 3, v3
	v_mov_b32_e32 v13, v11
	s_mov_b32 s28, s29
	v_lshl_add_u32 v3, v14, 3, s44
	v_lshl_add_u32 v28, v14, 5, v6
	v_lshl_add_u64 v[14:15], v[4:5], 2, s[6:7]
	s_mov_b64 s[6:7], 0
	v_mov_b64_e32 v[6:7], s[2:3]
	v_mov_b64_e32 v[16:17], s[0:1]
	s_movk_i32 s30, 0x7f
	s_movk_i32 s31, 0x80
	s_mov_b32 s34, 0x8000
	s_movk_i32 s35, 0x380
	s_mov_b32 s36, 0x3020706
	s_mov_b32 s37, 0x1000504
	;; [unrolled: 1-line block ×3, first 2 shown]
	v_mov_b32_e32 v5, 0x1c00
	s_branch .LBB256_44
.LBB256_42:                             ;   in Loop: Header=BB256_44 Depth=1
	s_or_b64 exec, exec, s[18:19]
	;;#ASMSTART
	v_pk_mul_f16 v20, v30, v21;

	;;#ASMEND
	;;#ASMSTART
	v_pk_mul_f16 v10, v29, v10;

	;;#ASMEND
	;; [unrolled: 4-line block ×4, first 2 shown]
	s_nop 0
	;;#ASMSTART
	v_pk_add_f16 v10, v20, v10;

	;;#ASMEND
	s_nop 0
	;;#ASMSTART
	v_pk_add_f16 v10, v10, v19;

	;;#ASMEND
	;; [unrolled: 5-line block ×3, first 2 shown]
	s_nop 0
	v_lshrrev_b32_e32 v18, 16, v10
	v_and_b32_e32 v10, 0xffff, v10
	;;#ASMSTART
	v_cvt_f32_f16 v10, v10;
	;;#ASMEND
	;;#ASMSTART
	v_cvt_f32_f16 v18, v18;
	;;#ASMEND
	s_nop 0
	v_add_f32_e32 v10, v10, v18
	v_add_f32_e32 v7, v7, v10
.LBB256_43:                             ;   in Loop: Header=BB256_44 Depth=1
	s_or_b64 exec, exec, s[16:17]
	v_add_u32_e32 v4, 2, v4
	v_cmp_le_i32_e64 s[0:1], s33, v4
	v_add_u32_e32 v3, 16, v3
	v_add_u32_e32 v28, 64, v28
	s_or_b64 s[6:7], s[0:1], s[6:7]
	v_lshl_add_u64 v[14:15], v[14:15], 0, 8
	s_andn2_b64 exec, exec, s[6:7]
	s_cbranch_execz .LBB256_177
.LBB256_44:                             ; =>This Inner Loop Header: Depth=1
	ds_read2_b64 v[22:25], v28 offset1:1
	ds_read2_b64 v[34:37], v28 offset0:2 offset1:3
                                        ; implicit-def: $sgpr18
	s_waitcnt lgkmcnt(1)
	;;#ASMSTART
	v_cvt_f16_f32 v21, v22;

	;;#ASMEND
	;;#ASMSTART
	v_cvt_f16_f32 v29, v23;

	;;#ASMEND
	;; [unrolled: 4-line block ×4, first 2 shown]
	s_waitcnt lgkmcnt(0)
	;;#ASMSTART
	v_cvt_f16_f32 v33, v34;

	;;#ASMEND
	;;#ASMSTART
	v_cvt_f16_f32 v34, v35;

	;;#ASMEND
	;; [unrolled: 4-line block ×4, first 2 shown]
	global_load_dword v10, v[14:15], off
	s_waitcnt vmcnt(0)
	v_mad_i64_i32 v[18:19], s[0:1], v10, s5, v[16:17]
	v_lshl_add_u64 v[24:25], v[18:19], 0, v[8:9]
	global_load_dwordx2 v[22:23], v[24:25], off
	global_load_dword v20, v11, s[14:15]
	s_mov_b64 s[0:1], 0
	s_waitcnt vmcnt(1)
	v_cmp_gt_i16_sdwa s[2:3], v22, s30 src0_sel:BYTE_0 src1_sel:DWORD
	s_and_saveexec_b64 s[16:17], s[2:3]
	s_xor_b64 s[2:3], exec, s[16:17]
	s_cbranch_execnz .LBB256_113
; %bb.45:                               ;   in Loop: Header=BB256_44 Depth=1
	s_or_saveexec_b64 s[2:3], s[2:3]
	v_mov_b32_e32 v24, s18
	s_xor_b64 exec, exec, s[2:3]
	s_cbranch_execnz .LBB256_116
.LBB256_46:                             ;   in Loop: Header=BB256_44 Depth=1
	s_or_b64 exec, exec, s[2:3]
	s_and_saveexec_b64 s[2:3], s[0:1]
	s_cbranch_execz .LBB256_48
.LBB256_47:                             ;   in Loop: Header=BB256_44 Depth=1
	v_and_b32_e32 v10, 7, v22
	v_ffbh_u32_e32 v10, v10
	v_bfe_u32 v24, v22, 3, 4
	v_min_u32_e32 v10, 32, v10
	v_subrev_u32_e32 v25, 28, v10
	v_sub_u32_e32 v10, 29, v10
	v_cmp_eq_u32_e64 s[0:1], 0, v24
	s_nop 1
	v_cndmask_b32_e64 v10, v24, v10, s[0:1]
	v_cndmask_b32_e64 v24, 0, v25, s[0:1]
	v_lshlrev_b64 v[24:25], v24, v[22:23]
	v_lshlrev_b32_e32 v25, 8, v22
	v_lshl_add_u32 v10, v10, 10, v5
	v_lshlrev_b32_e32 v24, 7, v24
	v_and_or_b32 v10, v25, s34, v10
	v_and_or_b32 v10, v24, s35, v10
	v_cvt_f32_f16_e32 v24, v10
.LBB256_48:                             ;   in Loop: Header=BB256_44 Depth=1
	s_or_b64 exec, exec, s[2:3]
	v_lshrrev_b16_e32 v10, 8, v22
	v_cmp_lt_i16_e64 s[0:1], s30, v10
	s_mov_b64 s[2:3], 0
                                        ; implicit-def: $sgpr20
	s_and_saveexec_b64 s[16:17], s[0:1]
	s_xor_b64 s[16:17], exec, s[16:17]
	s_cbranch_execnz .LBB256_117
; %bb.49:                               ;   in Loop: Header=BB256_44 Depth=1
	s_or_saveexec_b64 s[16:17], s[16:17]
	v_mov_b32_e32 v26, s20
	s_xor_b64 exec, exec, s[16:17]
	s_cbranch_execnz .LBB256_120
.LBB256_50:                             ;   in Loop: Header=BB256_44 Depth=1
	s_or_b64 exec, exec, s[16:17]
	s_and_saveexec_b64 s[16:17], s[2:3]
	s_cbranch_execz .LBB256_52
.LBB256_51:                             ;   in Loop: Header=BB256_44 Depth=1
	v_and_b32_e32 v25, 7, v10
	v_ffbh_u32_e32 v26, v25
	v_min_u32_e32 v37, 32, v26
	v_subrev_u32_e32 v26, 28, v37
	v_bfe_u32 v30, v10, 3, 4
	v_lshlrev_b64 v[26:27], v26, v[10:11]
	v_sub_u32_e32 v27, 29, v37
	v_cmp_eq_u32_e64 s[0:1], 0, v30
	v_and_b32_e32 v26, 7, v26
	v_lshlrev_b32_e32 v10, 8, v10
	v_cndmask_b32_e64 v27, v30, v27, s[0:1]
	v_cndmask_b32_e64 v25, v25, v26, s[0:1]
	v_lshl_add_u32 v26, v27, 10, v5
	v_and_or_b32 v10, v10, s34, v26
	v_lshl_or_b32 v10, v25, 7, v10
	v_cvt_f32_f16_e32 v26, v10
.LBB256_52:                             ;   in Loop: Header=BB256_44 Depth=1
	s_or_b64 exec, exec, s[16:17]
	v_lshrrev_b32_e32 v10, 16, v22
	v_cmp_gt_i16_sdwa s[2:3], v10, s30 src0_sel:BYTE_0 src1_sel:DWORD
	s_mov_b64 s[0:1], 0
                                        ; implicit-def: $sgpr18
	s_and_saveexec_b64 s[16:17], s[2:3]
	s_xor_b64 s[2:3], exec, s[16:17]
	s_cbranch_execnz .LBB256_121
; %bb.53:                               ;   in Loop: Header=BB256_44 Depth=1
	s_or_saveexec_b64 s[2:3], s[2:3]
	v_mov_b32_e32 v25, s18
	s_xor_b64 exec, exec, s[2:3]
	s_cbranch_execnz .LBB256_124
.LBB256_54:                             ;   in Loop: Header=BB256_44 Depth=1
	s_or_b64 exec, exec, s[2:3]
	s_and_saveexec_b64 s[2:3], s[0:1]
	s_cbranch_execz .LBB256_56
.LBB256_55:                             ;   in Loop: Header=BB256_44 Depth=1
	v_bfe_u32 v25, v22, 16, 3
	v_ffbh_u32_e32 v30, v25
	v_bfe_u32 v27, v22, 19, 4
	v_min_u32_e32 v30, 32, v30
	v_subrev_u32_e32 v37, 28, v30
	v_sub_u32_e32 v30, 29, v30
	v_cmp_eq_u32_e64 s[0:1], 0, v27
	v_lshlrev_b64 v[38:39], v37, v[10:11]
	v_and_b32_e32 v37, 7, v38
	v_cndmask_b32_e64 v27, v27, v30, s[0:1]
	v_lshlrev_b32_e32 v10, 8, v10
	v_lshl_add_u32 v27, v27, 10, v5
	v_cndmask_b32_e64 v25, v25, v37, s[0:1]
	v_and_or_b32 v10, v10, s34, v27
	v_lshl_or_b32 v10, v25, 7, v10
	v_cvt_f32_f16_e32 v25, v10
.LBB256_56:                             ;   in Loop: Header=BB256_44 Depth=1
	s_or_b64 exec, exec, s[2:3]
	v_lshrrev_b32_e32 v10, 24, v22
	v_cmp_lt_i16_e64 s[0:1], s30, v10
	s_mov_b64 s[2:3], 0
                                        ; implicit-def: $sgpr20
	s_and_saveexec_b64 s[16:17], s[0:1]
	s_xor_b64 s[16:17], exec, s[16:17]
	s_cbranch_execnz .LBB256_125
; %bb.57:                               ;   in Loop: Header=BB256_44 Depth=1
	s_or_saveexec_b64 s[16:17], s[16:17]
	v_mov_b32_e32 v27, s20
	s_xor_b64 exec, exec, s[16:17]
	s_cbranch_execnz .LBB256_128
.LBB256_58:                             ;   in Loop: Header=BB256_44 Depth=1
	s_or_b64 exec, exec, s[16:17]
	s_and_saveexec_b64 s[16:17], s[2:3]
	s_cbranch_execz .LBB256_60
.LBB256_59:                             ;   in Loop: Header=BB256_44 Depth=1
	v_bfe_u32 v27, v22, 24, 3
	v_ffbh_u32_e32 v30, v27
	v_bfe_u32 v22, v22, 27, 4
	v_min_u32_e32 v30, 32, v30
	v_subrev_u32_e32 v37, 28, v30
	v_sub_u32_e32 v30, 29, v30
	v_cmp_eq_u32_e64 s[0:1], 0, v22
	v_lshlrev_b64 v[38:39], v37, v[10:11]
	v_and_b32_e32 v37, 7, v38
	v_cndmask_b32_e64 v22, v22, v30, s[0:1]
	v_lshlrev_b32_e32 v10, 8, v10
	v_lshl_add_u32 v22, v22, 10, v5
	v_cndmask_b32_e64 v27, v27, v37, s[0:1]
	v_and_or_b32 v10, v10, s34, v22
	v_lshl_or_b32 v10, v27, 7, v10
	v_cvt_f32_f16_e32 v27, v10
.LBB256_60:                             ;   in Loop: Header=BB256_44 Depth=1
	s_or_b64 exec, exec, s[16:17]
	v_cmp_gt_i16_sdwa s[2:3], v23, s30 src0_sel:BYTE_0 src1_sel:DWORD
	s_mov_b64 s[0:1], 0
                                        ; implicit-def: $sgpr18
	s_and_saveexec_b64 s[16:17], s[2:3]
	s_xor_b64 s[2:3], exec, s[16:17]
	s_cbranch_execnz .LBB256_129
; %bb.61:                               ;   in Loop: Header=BB256_44 Depth=1
	s_or_saveexec_b64 s[2:3], s[2:3]
	v_mov_b32_e32 v22, s18
	s_xor_b64 exec, exec, s[2:3]
	s_cbranch_execnz .LBB256_132
.LBB256_62:                             ;   in Loop: Header=BB256_44 Depth=1
	s_or_b64 exec, exec, s[2:3]
	v_mov_b32_e32 v10, v23
	s_and_saveexec_b64 s[2:3], s[0:1]
	s_cbranch_execz .LBB256_64
.LBB256_63:                             ;   in Loop: Header=BB256_44 Depth=1
	v_and_b32_e32 v22, 7, v23
	v_ffbh_u32_e32 v22, v22
	v_bfe_u32 v30, v23, 3, 4
	v_min_u32_e32 v22, 32, v22
	v_subrev_u32_e32 v37, 28, v22
	v_sub_u32_e32 v22, 29, v22
	v_cmp_eq_u32_e64 s[0:1], 0, v30
	s_nop 1
	v_cndmask_b32_e64 v22, v30, v22, s[0:1]
	v_cndmask_b32_e64 v30, 0, v37, s[0:1]
	v_lshlrev_b64 v[38:39], v30, v[10:11]
	v_lshlrev_b32_e32 v37, 8, v23
	v_lshl_add_u32 v22, v22, 10, v5
	v_lshlrev_b32_e32 v30, 7, v38
	v_and_or_b32 v22, v37, s34, v22
	v_and_or_b32 v22, v30, s35, v22
	v_cvt_f32_f16_e32 v22, v22
.LBB256_64:                             ;   in Loop: Header=BB256_44 Depth=1
	s_or_b64 exec, exec, s[2:3]
	v_lshrrev_b16_e32 v10, 8, v10
	v_cmp_lt_i16_e64 s[0:1], s30, v10
	s_mov_b64 s[2:3], 0
                                        ; implicit-def: $sgpr20
	s_and_saveexec_b64 s[16:17], s[0:1]
	s_xor_b64 s[16:17], exec, s[16:17]
	s_cbranch_execnz .LBB256_133
; %bb.65:                               ;   in Loop: Header=BB256_44 Depth=1
	s_or_saveexec_b64 s[16:17], s[16:17]
	v_mov_b32_e32 v30, s20
	s_xor_b64 exec, exec, s[16:17]
	s_cbranch_execnz .LBB256_136
.LBB256_66:                             ;   in Loop: Header=BB256_44 Depth=1
	s_or_b64 exec, exec, s[16:17]
	s_and_saveexec_b64 s[16:17], s[2:3]
	s_cbranch_execz .LBB256_68
.LBB256_67:                             ;   in Loop: Header=BB256_44 Depth=1
	v_and_b32_e32 v30, 7, v10
	v_ffbh_u32_e32 v38, v30
	v_min_u32_e32 v40, 32, v38
	v_subrev_u32_e32 v38, 28, v40
	v_bfe_u32 v37, v10, 3, 4
	v_lshlrev_b64 v[38:39], v38, v[10:11]
	v_sub_u32_e32 v39, 29, v40
	v_cmp_eq_u32_e64 s[0:1], 0, v37
	v_and_b32_e32 v38, 7, v38
	v_lshlrev_b32_e32 v10, 8, v10
	v_cndmask_b32_e64 v37, v37, v39, s[0:1]
	v_lshl_add_u32 v37, v37, 10, v5
	v_cndmask_b32_e64 v30, v30, v38, s[0:1]
	v_and_or_b32 v10, v10, s34, v37
	v_lshl_or_b32 v10, v30, 7, v10
	v_cvt_f32_f16_e32 v30, v10
.LBB256_68:                             ;   in Loop: Header=BB256_44 Depth=1
	s_or_b64 exec, exec, s[16:17]
	v_lshrrev_b32_e32 v10, 16, v23
	v_cmp_gt_i16_sdwa s[2:3], v10, s30 src0_sel:BYTE_0 src1_sel:DWORD
	s_mov_b64 s[0:1], 0
                                        ; implicit-def: $sgpr18
	s_and_saveexec_b64 s[16:17], s[2:3]
	s_xor_b64 s[2:3], exec, s[16:17]
	s_cbranch_execnz .LBB256_137
; %bb.69:                               ;   in Loop: Header=BB256_44 Depth=1
	s_or_saveexec_b64 s[2:3], s[2:3]
	v_mov_b32_e32 v37, s18
	s_xor_b64 exec, exec, s[2:3]
	s_cbranch_execnz .LBB256_140
.LBB256_70:                             ;   in Loop: Header=BB256_44 Depth=1
	s_or_b64 exec, exec, s[2:3]
	s_and_saveexec_b64 s[2:3], s[0:1]
	s_cbranch_execz .LBB256_72
.LBB256_71:                             ;   in Loop: Header=BB256_44 Depth=1
	v_bfe_u32 v37, v23, 16, 3
	v_ffbh_u32_e32 v38, v37
	v_min_u32_e32 v41, 32, v38
	v_subrev_u32_e32 v38, 28, v41
	v_bfe_u32 v40, v23, 19, 4
	v_lshlrev_b64 v[38:39], v38, v[10:11]
	v_sub_u32_e32 v39, 29, v41
	v_cmp_eq_u32_e64 s[0:1], 0, v40
	v_and_b32_e32 v38, 7, v38
	v_lshlrev_b32_e32 v10, 8, v10
	v_cndmask_b32_e64 v39, v40, v39, s[0:1]
	v_cndmask_b32_e64 v37, v37, v38, s[0:1]
	v_lshl_add_u32 v38, v39, 10, v5
	v_and_or_b32 v10, v10, s34, v38
	v_lshl_or_b32 v10, v37, 7, v10
	v_cvt_f32_f16_e32 v37, v10
.LBB256_72:                             ;   in Loop: Header=BB256_44 Depth=1
	s_or_b64 exec, exec, s[2:3]
	v_lshrrev_b32_e32 v10, 24, v23
	v_cmp_lt_i16_e64 s[0:1], s30, v10
	s_mov_b64 s[2:3], 0
                                        ; implicit-def: $sgpr20
	s_and_saveexec_b64 s[16:17], s[0:1]
	s_xor_b64 s[16:17], exec, s[16:17]
	s_cbranch_execnz .LBB256_141
; %bb.73:                               ;   in Loop: Header=BB256_44 Depth=1
	s_or_saveexec_b64 s[16:17], s[16:17]
	v_mov_b32_e32 v38, s20
	s_xor_b64 exec, exec, s[16:17]
	s_cbranch_execnz .LBB256_144
.LBB256_74:                             ;   in Loop: Header=BB256_44 Depth=1
	s_or_b64 exec, exec, s[16:17]
	s_and_saveexec_b64 s[16:17], s[2:3]
	s_cbranch_execz .LBB256_76
.LBB256_75:                             ;   in Loop: Header=BB256_44 Depth=1
	v_bfe_u32 v40, v23, 24, 3
	v_ffbh_u32_e32 v38, v40
	v_min_u32_e32 v41, 32, v38
	v_subrev_u32_e32 v38, 28, v41
	v_bfe_u32 v23, v23, 27, 4
	v_lshlrev_b64 v[38:39], v38, v[10:11]
	v_sub_u32_e32 v39, 29, v41
	v_cmp_eq_u32_e64 s[0:1], 0, v23
	v_and_b32_e32 v38, 7, v38
	v_lshlrev_b32_e32 v10, 8, v10
	v_cndmask_b32_e64 v23, v23, v39, s[0:1]
	v_lshl_add_u32 v23, v23, 10, v5
	v_cndmask_b32_e64 v38, v40, v38, s[0:1]
	v_and_or_b32 v10, v10, s34, v23
	v_lshl_or_b32 v10, v38, 7, v10
	v_cvt_f32_f16_e32 v38, v10
.LBB256_76:                             ;   in Loop: Header=BB256_44 Depth=1
	s_or_b64 exec, exec, s[16:17]
	s_waitcnt vmcnt(0)
	v_pk_mul_f32 v[26:27], v[20:21], v[26:27] op_sel_hi:[0,1]
	v_pk_mul_f32 v[24:25], v[20:21], v[24:25] op_sel_hi:[0,1]
	v_cvt_f16_f32_e32 v10, v27
	v_cvt_f16_f32_e32 v23, v26
	;; [unrolled: 1-line block ×4, first 2 shown]
	v_fma_mixlo_f16 v22, v20, v22, 0
	v_pack_b32_f16 v23, v23, v10
	v_cmp_eq_u32_e64 s[2:3], s9, v4
	v_pack_b32_f16 v24, v24, v25
	v_perm_b32 v10, v24, v23, s36
	v_perm_b32 v23, v24, v23, s37
	v_fma_mixlo_f16 v24, v20, v30, 0
	v_lshlrev_b32_e32 v24, 16, v24
	v_or_b32_sdwa v22, v24, v22 dst_sel:DWORD dst_unused:UNUSED_PAD src0_sel:DWORD src1_sel:WORD_0
	v_fma_mixlo_f16 v24, v20, v37, 0
	v_fma_mixlo_f16 v20, v20, v38, 0
	v_lshlrev_b32_e32 v20, 16, v20
	v_or_b32_sdwa v20, v20, v24 dst_sel:DWORD dst_unused:UNUSED_PAD src0_sel:DWORD src1_sel:WORD_0
	s_and_saveexec_b64 s[16:17], s[2:3]
	s_cbranch_execz .LBB256_78
; %bb.77:                               ;   in Loop: Header=BB256_44 Depth=1
	v_add_u32_e32 v25, 1, v3
	v_lshrrev_b32_e32 v26, 16, v23
	v_cmp_gt_i32_e64 s[0:1], s28, v25
	v_lshrrev_b32_e32 v27, 16, v10
	v_lshrrev_b32_e32 v20, 16, v20
	v_cndmask_b32_e64 v25, 0, v26, s[0:1]
	v_cmp_gt_i32_e64 s[0:1], s29, v3
	v_or_b32_e32 v26, 2, v3
	s_nop 0
	v_cndmask_b32_e64 v23, 0, v23, s[0:1]
	v_perm_b32 v23, v25, v23, s38
	v_or_b32_e32 v25, 3, v3
	v_cmp_gt_i32_e64 s[0:1], s28, v25
	s_nop 1
	v_cndmask_b32_e64 v25, 0, v27, s[0:1]
	v_cmp_gt_i32_e64 s[0:1], s29, v26
	v_or_b32_e32 v26, 4, v3
	v_lshrrev_b32_e32 v27, 16, v22
	v_cndmask_b32_e64 v10, 0, v10, s[0:1]
	v_perm_b32 v10, v25, v10, s38
	v_or_b32_e32 v25, 5, v3
	v_cmp_gt_i32_e64 s[0:1], s28, v25
	s_nop 1
	v_cndmask_b32_e64 v25, 0, v27, s[0:1]
	v_cmp_gt_i32_e64 s[0:1], s29, v26
	v_or_b32_e32 v26, 6, v3
	s_nop 0
	v_cndmask_b32_e64 v22, 0, v22, s[0:1]
	v_perm_b32 v22, v25, v22, s38
	v_or_b32_e32 v25, 7, v3
	v_cmp_gt_i32_e64 s[0:1], s28, v25
	s_nop 1
	v_cndmask_b32_e64 v20, 0, v20, s[0:1]
	v_cmp_gt_i32_e64 s[0:1], s29, v26
	s_nop 1
	v_cndmask_b32_e64 v24, 0, v24, s[0:1]
	v_perm_b32 v20, v20, v24, s38
.LBB256_78:                             ;   in Loop: Header=BB256_44 Depth=1
	s_or_b64 exec, exec, s[16:17]
	v_and_b32_e32 v21, 0xffff, v21
	v_lshl_or_b32 v30, v29, 16, v21
	v_and_b32_e32 v21, 0xffff, v31
	v_lshl_or_b32 v29, v32, 16, v21
	v_and_b32_e32 v21, 0xffff, v33
	v_lshl_or_b32 v27, v34, 16, v21
	v_and_b32_e32 v21, 0xffff, v35
	v_lshl_or_b32 v26, v36, 16, v21
	;;#ASMSTART
	v_pk_mul_f16 v21, v30, v23;

	;;#ASMEND
	;;#ASMSTART
	v_pk_mul_f16 v10, v29, v10;

	;;#ASMEND
	;;#ASMSTART
	v_pk_mul_f16 v22, v27, v22;

	;;#ASMEND
	;;#ASMSTART
	v_pk_mul_f16 v20, v26, v20;

	;;#ASMEND
	s_nop 0
	;;#ASMSTART
	v_pk_add_f16 v10, v21, v10;

	;;#ASMEND
	s_nop 0
	;;#ASMSTART
	v_pk_add_f16 v10, v10, v22;

	;;#ASMEND
	;; [unrolled: 5-line block ×3, first 2 shown]
	s_nop 0
	v_lshrrev_b32_e32 v20, 16, v10
	v_and_b32_e32 v10, 0xffff, v10
	;;#ASMSTART
	v_cvt_f32_f16 v10, v10;
	;;#ASMEND
	;;#ASMSTART
	v_cvt_f32_f16 v20, v20;
	;;#ASMEND
	s_nop 0
	v_add_f32_e32 v10, v10, v20
	v_add_f32_e32 v6, v6, v10
	s_and_saveexec_b64 s[16:17], vcc
	s_cbranch_execz .LBB256_43
; %bb.79:                               ;   in Loop: Header=BB256_44 Depth=1
	v_lshl_add_u64 v[22:23], v[18:19], 0, v[12:13]
	global_load_dwordx2 v[20:21], v[22:23], off
	global_load_dword v18, v11, s[14:15]
	s_mov_b64 s[0:1], 0
                                        ; implicit-def: $sgpr22
	s_waitcnt vmcnt(1)
	v_cmp_gt_i16_sdwa s[18:19], v20, s30 src0_sel:BYTE_0 src1_sel:DWORD
	s_and_saveexec_b64 s[20:21], s[18:19]
	s_xor_b64 s[18:19], exec, s[20:21]
	s_cbranch_execnz .LBB256_145
; %bb.80:                               ;   in Loop: Header=BB256_44 Depth=1
	s_or_saveexec_b64 s[18:19], s[18:19]
	v_mov_b32_e32 v22, s22
	s_xor_b64 exec, exec, s[18:19]
	s_cbranch_execnz .LBB256_148
.LBB256_81:                             ;   in Loop: Header=BB256_44 Depth=1
	s_or_b64 exec, exec, s[18:19]
	s_and_saveexec_b64 s[18:19], s[0:1]
	s_cbranch_execz .LBB256_83
.LBB256_82:                             ;   in Loop: Header=BB256_44 Depth=1
	v_and_b32_e32 v10, 7, v20
	v_ffbh_u32_e32 v10, v10
	v_bfe_u32 v19, v20, 3, 4
	v_min_u32_e32 v10, 32, v10
	v_subrev_u32_e32 v22, 28, v10
	v_sub_u32_e32 v10, 29, v10
	v_cmp_eq_u32_e64 s[0:1], 0, v19
	s_nop 1
	v_cndmask_b32_e64 v10, v19, v10, s[0:1]
	v_cndmask_b32_e64 v19, 0, v22, s[0:1]
	v_lshlrev_b64 v[22:23], v19, v[20:21]
	v_lshlrev_b32_e32 v19, 7, v22
	v_lshlrev_b32_e32 v22, 8, v20
	v_lshl_add_u32 v10, v10, 10, v5
	v_and_or_b32 v10, v22, s34, v10
	v_and_or_b32 v10, v19, s35, v10
	v_cvt_f32_f16_e32 v22, v10
.LBB256_83:                             ;   in Loop: Header=BB256_44 Depth=1
	s_or_b64 exec, exec, s[18:19]
	v_lshrrev_b16_e32 v10, 8, v20
	v_cmp_lt_i16_e64 s[0:1], s30, v10
	s_mov_b64 s[18:19], 0
                                        ; implicit-def: $sgpr39
	s_and_saveexec_b64 s[20:21], s[0:1]
	s_xor_b64 s[20:21], exec, s[20:21]
	s_cbranch_execnz .LBB256_149
; %bb.84:                               ;   in Loop: Header=BB256_44 Depth=1
	s_or_saveexec_b64 s[20:21], s[20:21]
	v_mov_b32_e32 v24, s39
	s_xor_b64 exec, exec, s[20:21]
	s_cbranch_execnz .LBB256_152
.LBB256_85:                             ;   in Loop: Header=BB256_44 Depth=1
	s_or_b64 exec, exec, s[20:21]
	s_and_saveexec_b64 s[20:21], s[18:19]
	s_cbranch_execz .LBB256_87
.LBB256_86:                             ;   in Loop: Header=BB256_44 Depth=1
	v_and_b32_e32 v19, 7, v10
	v_ffbh_u32_e32 v24, v19
	v_min_u32_e32 v31, 32, v24
	v_subrev_u32_e32 v24, 28, v31
	v_bfe_u32 v23, v10, 3, 4
	v_lshlrev_b64 v[24:25], v24, v[10:11]
	v_sub_u32_e32 v25, 29, v31
	v_cmp_eq_u32_e64 s[0:1], 0, v23
	v_and_b32_e32 v24, 7, v24
	v_lshlrev_b32_e32 v10, 8, v10
	v_cndmask_b32_e64 v23, v23, v25, s[0:1]
	v_lshl_add_u32 v23, v23, 10, v5
	v_cndmask_b32_e64 v19, v19, v24, s[0:1]
	v_and_or_b32 v10, v10, s34, v23
	v_lshl_or_b32 v10, v19, 7, v10
	v_cvt_f32_f16_e32 v24, v10
.LBB256_87:                             ;   in Loop: Header=BB256_44 Depth=1
	s_or_b64 exec, exec, s[20:21]
	v_lshrrev_b32_e32 v10, 16, v20
	v_cmp_gt_i16_sdwa s[18:19], v10, s30 src0_sel:BYTE_0 src1_sel:DWORD
	s_mov_b64 s[0:1], 0
                                        ; implicit-def: $sgpr22
	s_and_saveexec_b64 s[20:21], s[18:19]
	s_xor_b64 s[18:19], exec, s[20:21]
	s_cbranch_execnz .LBB256_153
; %bb.88:                               ;   in Loop: Header=BB256_44 Depth=1
	s_or_saveexec_b64 s[18:19], s[18:19]
	v_mov_b32_e32 v23, s22
	s_xor_b64 exec, exec, s[18:19]
	s_cbranch_execnz .LBB256_156
.LBB256_89:                             ;   in Loop: Header=BB256_44 Depth=1
	s_or_b64 exec, exec, s[18:19]
	s_and_saveexec_b64 s[18:19], s[0:1]
	s_cbranch_execz .LBB256_91
.LBB256_90:                             ;   in Loop: Header=BB256_44 Depth=1
	v_bfe_u32 v19, v20, 16, 3
	v_ffbh_u32_e32 v25, v19
	v_bfe_u32 v23, v20, 19, 4
	v_min_u32_e32 v25, 32, v25
	v_subrev_u32_e32 v31, 28, v25
	v_sub_u32_e32 v25, 29, v25
	v_cmp_eq_u32_e64 s[0:1], 0, v23
	v_lshlrev_b64 v[32:33], v31, v[10:11]
	v_and_b32_e32 v31, 7, v32
	v_cndmask_b32_e64 v23, v23, v25, s[0:1]
	v_lshlrev_b32_e32 v10, 8, v10
	v_lshl_add_u32 v23, v23, 10, v5
	v_cndmask_b32_e64 v19, v19, v31, s[0:1]
	v_and_or_b32 v10, v10, s34, v23
	v_lshl_or_b32 v10, v19, 7, v10
	v_cvt_f32_f16_e32 v23, v10
.LBB256_91:                             ;   in Loop: Header=BB256_44 Depth=1
	s_or_b64 exec, exec, s[18:19]
	v_lshrrev_b32_e32 v10, 24, v20
	v_cmp_lt_i16_e64 s[0:1], s30, v10
	s_mov_b64 s[18:19], 0
                                        ; implicit-def: $sgpr39
	s_and_saveexec_b64 s[20:21], s[0:1]
	s_xor_b64 s[20:21], exec, s[20:21]
	s_cbranch_execnz .LBB256_157
; %bb.92:                               ;   in Loop: Header=BB256_44 Depth=1
	s_or_saveexec_b64 s[20:21], s[20:21]
	v_mov_b32_e32 v25, s39
	s_xor_b64 exec, exec, s[20:21]
	s_cbranch_execnz .LBB256_160
.LBB256_93:                             ;   in Loop: Header=BB256_44 Depth=1
	s_or_b64 exec, exec, s[20:21]
	s_and_saveexec_b64 s[20:21], s[18:19]
	s_cbranch_execz .LBB256_95
.LBB256_94:                             ;   in Loop: Header=BB256_44 Depth=1
	v_bfe_u32 v19, v20, 24, 3
	v_ffbh_u32_e32 v25, v19
	v_bfe_u32 v20, v20, 27, 4
	v_min_u32_e32 v25, 32, v25
	v_subrev_u32_e32 v31, 28, v25
	v_sub_u32_e32 v25, 29, v25
	v_cmp_eq_u32_e64 s[0:1], 0, v20
	v_lshlrev_b64 v[32:33], v31, v[10:11]
	v_and_b32_e32 v31, 7, v32
	v_cndmask_b32_e64 v20, v20, v25, s[0:1]
	v_lshlrev_b32_e32 v10, 8, v10
	v_lshl_add_u32 v20, v20, 10, v5
	v_cndmask_b32_e64 v19, v19, v31, s[0:1]
	v_and_or_b32 v10, v10, s34, v20
	v_lshl_or_b32 v10, v19, 7, v10
	v_cvt_f32_f16_e32 v25, v10
.LBB256_95:                             ;   in Loop: Header=BB256_44 Depth=1
	s_or_b64 exec, exec, s[20:21]
	v_cmp_gt_i16_sdwa s[18:19], v21, s30 src0_sel:BYTE_0 src1_sel:DWORD
	s_mov_b64 s[0:1], 0
                                        ; implicit-def: $sgpr22
	s_and_saveexec_b64 s[20:21], s[18:19]
	s_xor_b64 s[18:19], exec, s[20:21]
	s_cbranch_execnz .LBB256_161
; %bb.96:                               ;   in Loop: Header=BB256_44 Depth=1
	s_or_saveexec_b64 s[18:19], s[18:19]
	v_mov_b32_e32 v19, s22
	s_xor_b64 exec, exec, s[18:19]
	s_cbranch_execnz .LBB256_164
.LBB256_97:                             ;   in Loop: Header=BB256_44 Depth=1
	s_or_b64 exec, exec, s[18:19]
	v_mov_b32_e32 v10, v21
	s_and_saveexec_b64 s[18:19], s[0:1]
	s_cbranch_execz .LBB256_99
.LBB256_98:                             ;   in Loop: Header=BB256_44 Depth=1
	v_and_b32_e32 v19, 7, v21
	v_ffbh_u32_e32 v19, v19
	v_bfe_u32 v20, v21, 3, 4
	v_min_u32_e32 v19, 32, v19
	v_subrev_u32_e32 v31, 28, v19
	v_sub_u32_e32 v19, 29, v19
	v_cmp_eq_u32_e64 s[0:1], 0, v20
	s_nop 1
	v_cndmask_b32_e64 v19, v20, v19, s[0:1]
	v_cndmask_b32_e64 v20, 0, v31, s[0:1]
	v_lshlrev_b64 v[32:33], v20, v[10:11]
	v_lshlrev_b32_e32 v31, 8, v21
	v_lshl_add_u32 v19, v19, 10, v5
	v_lshlrev_b32_e32 v20, 7, v32
	v_and_or_b32 v19, v31, s34, v19
	v_and_or_b32 v19, v20, s35, v19
	v_cvt_f32_f16_e32 v19, v19
.LBB256_99:                             ;   in Loop: Header=BB256_44 Depth=1
	s_or_b64 exec, exec, s[18:19]
	v_lshrrev_b16_e32 v10, 8, v10
	v_cmp_lt_i16_e64 s[0:1], s30, v10
	s_mov_b64 s[18:19], 0
                                        ; implicit-def: $sgpr39
	s_and_saveexec_b64 s[20:21], s[0:1]
	s_xor_b64 s[20:21], exec, s[20:21]
	s_cbranch_execnz .LBB256_165
; %bb.100:                              ;   in Loop: Header=BB256_44 Depth=1
	s_or_saveexec_b64 s[20:21], s[20:21]
	v_mov_b32_e32 v20, s39
	s_xor_b64 exec, exec, s[20:21]
	s_cbranch_execnz .LBB256_168
.LBB256_101:                            ;   in Loop: Header=BB256_44 Depth=1
	s_or_b64 exec, exec, s[20:21]
	s_and_saveexec_b64 s[20:21], s[18:19]
	s_cbranch_execz .LBB256_103
.LBB256_102:                            ;   in Loop: Header=BB256_44 Depth=1
	v_and_b32_e32 v20, 7, v10
	v_ffbh_u32_e32 v32, v20
	v_min_u32_e32 v34, 32, v32
	v_subrev_u32_e32 v32, 28, v34
	v_bfe_u32 v31, v10, 3, 4
	v_lshlrev_b64 v[32:33], v32, v[10:11]
	v_sub_u32_e32 v33, 29, v34
	v_cmp_eq_u32_e64 s[0:1], 0, v31
	v_and_b32_e32 v32, 7, v32
	v_lshlrev_b32_e32 v10, 8, v10
	v_cndmask_b32_e64 v31, v31, v33, s[0:1]
	v_lshl_add_u32 v31, v31, 10, v5
	v_cndmask_b32_e64 v20, v20, v32, s[0:1]
	v_and_or_b32 v10, v10, s34, v31
	v_lshl_or_b32 v10, v20, 7, v10
	v_cvt_f32_f16_e32 v20, v10
.LBB256_103:                            ;   in Loop: Header=BB256_44 Depth=1
	s_or_b64 exec, exec, s[20:21]
	v_lshrrev_b32_e32 v10, 16, v21
	v_cmp_gt_i16_sdwa s[18:19], v10, s30 src0_sel:BYTE_0 src1_sel:DWORD
	s_mov_b64 s[0:1], 0
                                        ; implicit-def: $sgpr22
	s_and_saveexec_b64 s[20:21], s[18:19]
	s_xor_b64 s[18:19], exec, s[20:21]
	s_cbranch_execnz .LBB256_169
; %bb.104:                              ;   in Loop: Header=BB256_44 Depth=1
	s_or_saveexec_b64 s[18:19], s[18:19]
	v_mov_b32_e32 v31, s22
	s_xor_b64 exec, exec, s[18:19]
	s_cbranch_execnz .LBB256_172
.LBB256_105:                            ;   in Loop: Header=BB256_44 Depth=1
	s_or_b64 exec, exec, s[18:19]
	s_and_saveexec_b64 s[18:19], s[0:1]
	s_cbranch_execz .LBB256_107
.LBB256_106:                            ;   in Loop: Header=BB256_44 Depth=1
	v_bfe_u32 v31, v21, 16, 3
	v_ffbh_u32_e32 v32, v31
	v_min_u32_e32 v35, 32, v32
	v_subrev_u32_e32 v32, 28, v35
	v_bfe_u32 v34, v21, 19, 4
	v_lshlrev_b64 v[32:33], v32, v[10:11]
	v_sub_u32_e32 v33, 29, v35
	v_cmp_eq_u32_e64 s[0:1], 0, v34
	v_and_b32_e32 v32, 7, v32
	v_lshlrev_b32_e32 v10, 8, v10
	v_cndmask_b32_e64 v33, v34, v33, s[0:1]
	v_cndmask_b32_e64 v31, v31, v32, s[0:1]
	v_lshl_add_u32 v32, v33, 10, v5
	v_and_or_b32 v10, v10, s34, v32
	v_lshl_or_b32 v10, v31, 7, v10
	v_cvt_f32_f16_e32 v31, v10
.LBB256_107:                            ;   in Loop: Header=BB256_44 Depth=1
	s_or_b64 exec, exec, s[18:19]
	v_lshrrev_b32_e32 v10, 24, v21
	v_cmp_lt_i16_e64 s[0:1], s30, v10
	s_mov_b64 s[18:19], 0
                                        ; implicit-def: $sgpr39
	s_and_saveexec_b64 s[20:21], s[0:1]
	s_xor_b64 s[20:21], exec, s[20:21]
	s_cbranch_execnz .LBB256_173
; %bb.108:                              ;   in Loop: Header=BB256_44 Depth=1
	s_or_saveexec_b64 s[20:21], s[20:21]
	v_mov_b32_e32 v32, s39
	s_xor_b64 exec, exec, s[20:21]
	s_cbranch_execnz .LBB256_176
.LBB256_109:                            ;   in Loop: Header=BB256_44 Depth=1
	s_or_b64 exec, exec, s[20:21]
	s_and_saveexec_b64 s[20:21], s[18:19]
	s_cbranch_execz .LBB256_111
.LBB256_110:                            ;   in Loop: Header=BB256_44 Depth=1
	v_bfe_u32 v34, v21, 24, 3
	v_ffbh_u32_e32 v32, v34
	v_min_u32_e32 v35, 32, v32
	v_subrev_u32_e32 v32, 28, v35
	v_bfe_u32 v21, v21, 27, 4
	v_lshlrev_b64 v[32:33], v32, v[10:11]
	v_sub_u32_e32 v33, 29, v35
	v_cmp_eq_u32_e64 s[0:1], 0, v21
	v_and_b32_e32 v32, 7, v32
	v_lshlrev_b32_e32 v10, 8, v10
	v_cndmask_b32_e64 v21, v21, v33, s[0:1]
	v_lshl_add_u32 v21, v21, 10, v5
	v_cndmask_b32_e64 v32, v34, v32, s[0:1]
	v_and_or_b32 v10, v10, s34, v21
	v_lshl_or_b32 v10, v32, 7, v10
	v_cvt_f32_f16_e32 v32, v10
.LBB256_111:                            ;   in Loop: Header=BB256_44 Depth=1
	s_or_b64 exec, exec, s[20:21]
	s_waitcnt vmcnt(0)
	v_pk_mul_f32 v[24:25], v[18:19], v[24:25] op_sel_hi:[0,1]
	v_pk_mul_f32 v[22:23], v[18:19], v[22:23] op_sel_hi:[0,1]
	v_cvt_f16_f32_e32 v10, v25
	v_cvt_f16_f32_e32 v21, v24
	;; [unrolled: 1-line block ×4, first 2 shown]
	v_fma_mixlo_f16 v20, v18, v20, 0
	v_lshlrev_b32_e32 v20, 16, v20
	v_fma_mixlo_f16 v19, v18, v19, 0
	v_or_b32_sdwa v19, v20, v19 dst_sel:DWORD dst_unused:UNUSED_PAD src0_sel:DWORD src1_sel:WORD_0
	v_fma_mixlo_f16 v20, v18, v31, 0
	v_fma_mixlo_f16 v18, v18, v32, 0
	v_pack_b32_f16 v21, v21, v10
	v_pack_b32_f16 v22, v22, v23
	v_lshlrev_b32_e32 v18, 16, v18
	v_perm_b32 v10, v22, v21, s36
	v_perm_b32 v21, v22, v21, s37
	v_or_b32_sdwa v18, v18, v20 dst_sel:DWORD dst_unused:UNUSED_PAD src0_sel:DWORD src1_sel:WORD_0
	s_and_saveexec_b64 s[18:19], s[2:3]
	s_cbranch_execz .LBB256_42
; %bb.112:                              ;   in Loop: Header=BB256_44 Depth=1
	v_add_u32_e32 v22, 1, v3
	v_lshrrev_b32_e32 v23, 16, v21
	v_cmp_gt_i32_e64 s[0:1], s28, v22
	v_lshrrev_b32_e32 v24, 16, v10
	v_lshrrev_b32_e32 v18, 16, v18
	v_cndmask_b32_e64 v22, 0, v23, s[0:1]
	v_cmp_gt_i32_e64 s[0:1], s29, v3
	v_or_b32_e32 v23, 2, v3
	s_nop 0
	v_cndmask_b32_e64 v21, 0, v21, s[0:1]
	v_perm_b32 v21, v22, v21, s38
	v_or_b32_e32 v22, 3, v3
	v_cmp_gt_i32_e64 s[0:1], s28, v22
	s_nop 1
	v_cndmask_b32_e64 v22, 0, v24, s[0:1]
	v_cmp_gt_i32_e64 s[0:1], s29, v23
	v_or_b32_e32 v23, 4, v3
	v_lshrrev_b32_e32 v24, 16, v19
	v_cndmask_b32_e64 v10, 0, v10, s[0:1]
	v_perm_b32 v10, v22, v10, s38
	v_or_b32_e32 v22, 5, v3
	v_cmp_gt_i32_e64 s[0:1], s28, v22
	s_nop 1
	v_cndmask_b32_e64 v22, 0, v24, s[0:1]
	v_cmp_gt_i32_e64 s[0:1], s29, v23
	v_or_b32_e32 v23, 6, v3
	s_nop 0
	v_cndmask_b32_e64 v19, 0, v19, s[0:1]
	v_perm_b32 v19, v22, v19, s38
	v_or_b32_e32 v22, 7, v3
	v_cmp_gt_i32_e64 s[0:1], s28, v22
	s_nop 1
	v_cndmask_b32_e64 v18, 0, v18, s[0:1]
	v_cmp_gt_i32_e64 s[0:1], s29, v23
	s_nop 1
	v_cndmask_b32_e64 v20, 0, v20, s[0:1]
	v_perm_b32 v18, v18, v20, s38
	s_branch .LBB256_42
.LBB256_113:                            ;   in Loop: Header=BB256_44 Depth=1
	v_cmp_eq_u16_sdwa s[20:21], v22, s31 src0_sel:BYTE_0 src1_sel:DWORD
	s_mov_b64 s[0:1], -1
                                        ; implicit-def: $sgpr18
	s_and_saveexec_b64 s[16:17], s[20:21]
; %bb.114:                              ;   in Loop: Header=BB256_44 Depth=1
	s_mov_b32 s18, 0x7fc02000
	s_xor_b64 s[0:1], exec, -1
; %bb.115:                              ;   in Loop: Header=BB256_44 Depth=1
	s_or_b64 exec, exec, s[16:17]
	s_and_b64 s[0:1], s[0:1], exec
	s_or_saveexec_b64 s[2:3], s[2:3]
	v_mov_b32_e32 v24, s18
	s_xor_b64 exec, exec, s[2:3]
	s_cbranch_execz .LBB256_46
.LBB256_116:                            ;   in Loop: Header=BB256_44 Depth=1
	v_cmp_ne_u16_sdwa s[16:17], v22, v11 src0_sel:BYTE_0 src1_sel:DWORD
	s_andn2_b64 s[0:1], s[0:1], exec
	s_and_b64 s[16:17], s[16:17], exec
	v_mov_b32_e32 v24, 0
	s_or_b64 s[0:1], s[0:1], s[16:17]
	s_or_b64 exec, exec, s[2:3]
	s_and_saveexec_b64 s[2:3], s[0:1]
	s_cbranch_execnz .LBB256_47
	s_branch .LBB256_48
.LBB256_117:                            ;   in Loop: Header=BB256_44 Depth=1
	v_cmp_eq_u16_e64 s[0:1], s31, v10
	s_mov_b64 s[2:3], -1
                                        ; implicit-def: $sgpr20
	s_and_saveexec_b64 s[18:19], s[0:1]
; %bb.118:                              ;   in Loop: Header=BB256_44 Depth=1
	s_mov_b32 s20, 0x7fc02000
	s_xor_b64 s[2:3], exec, -1
; %bb.119:                              ;   in Loop: Header=BB256_44 Depth=1
	s_or_b64 exec, exec, s[18:19]
	s_and_b64 s[2:3], s[2:3], exec
	s_or_saveexec_b64 s[16:17], s[16:17]
	v_mov_b32_e32 v26, s20
	s_xor_b64 exec, exec, s[16:17]
	s_cbranch_execz .LBB256_50
.LBB256_120:                            ;   in Loop: Header=BB256_44 Depth=1
	v_cmp_ne_u16_e64 s[0:1], 0, v10
	s_andn2_b64 s[2:3], s[2:3], exec
	s_and_b64 s[0:1], s[0:1], exec
	v_mov_b32_e32 v26, 0
	s_or_b64 s[2:3], s[2:3], s[0:1]
	s_or_b64 exec, exec, s[16:17]
	s_and_saveexec_b64 s[16:17], s[2:3]
	s_cbranch_execnz .LBB256_51
	s_branch .LBB256_52
.LBB256_121:                            ;   in Loop: Header=BB256_44 Depth=1
	v_cmp_eq_u16_sdwa s[20:21], v10, s31 src0_sel:BYTE_0 src1_sel:DWORD
	s_mov_b64 s[0:1], -1
                                        ; implicit-def: $sgpr18
	s_and_saveexec_b64 s[16:17], s[20:21]
; %bb.122:                              ;   in Loop: Header=BB256_44 Depth=1
	s_mov_b32 s18, 0x7fc02000
	s_xor_b64 s[0:1], exec, -1
; %bb.123:                              ;   in Loop: Header=BB256_44 Depth=1
	s_or_b64 exec, exec, s[16:17]
	s_and_b64 s[0:1], s[0:1], exec
	s_or_saveexec_b64 s[2:3], s[2:3]
	v_mov_b32_e32 v25, s18
	s_xor_b64 exec, exec, s[2:3]
	s_cbranch_execz .LBB256_54
.LBB256_124:                            ;   in Loop: Header=BB256_44 Depth=1
	v_cmp_ne_u16_sdwa s[16:17], v10, v11 src0_sel:BYTE_0 src1_sel:DWORD
	s_andn2_b64 s[0:1], s[0:1], exec
	s_and_b64 s[16:17], s[16:17], exec
	v_mov_b32_e32 v25, 0
	s_or_b64 s[0:1], s[0:1], s[16:17]
	s_or_b64 exec, exec, s[2:3]
	s_and_saveexec_b64 s[2:3], s[0:1]
	s_cbranch_execnz .LBB256_55
	s_branch .LBB256_56
.LBB256_125:                            ;   in Loop: Header=BB256_44 Depth=1
	v_cmp_eq_u16_e64 s[0:1], s31, v10
	s_mov_b64 s[2:3], -1
                                        ; implicit-def: $sgpr20
	s_and_saveexec_b64 s[18:19], s[0:1]
; %bb.126:                              ;   in Loop: Header=BB256_44 Depth=1
	s_mov_b32 s20, 0x7fc02000
	s_xor_b64 s[2:3], exec, -1
; %bb.127:                              ;   in Loop: Header=BB256_44 Depth=1
	s_or_b64 exec, exec, s[18:19]
	s_and_b64 s[2:3], s[2:3], exec
	s_or_saveexec_b64 s[16:17], s[16:17]
	v_mov_b32_e32 v27, s20
	s_xor_b64 exec, exec, s[16:17]
	s_cbranch_execz .LBB256_58
.LBB256_128:                            ;   in Loop: Header=BB256_44 Depth=1
	v_cmp_ne_u16_e64 s[0:1], 0, v10
	s_andn2_b64 s[2:3], s[2:3], exec
	s_and_b64 s[0:1], s[0:1], exec
	v_mov_b32_e32 v27, 0
	s_or_b64 s[2:3], s[2:3], s[0:1]
	s_or_b64 exec, exec, s[16:17]
	s_and_saveexec_b64 s[16:17], s[2:3]
	s_cbranch_execnz .LBB256_59
	s_branch .LBB256_60
.LBB256_129:                            ;   in Loop: Header=BB256_44 Depth=1
	v_cmp_eq_u16_sdwa s[20:21], v23, s31 src0_sel:BYTE_0 src1_sel:DWORD
	s_mov_b64 s[0:1], -1
                                        ; implicit-def: $sgpr18
	s_and_saveexec_b64 s[16:17], s[20:21]
; %bb.130:                              ;   in Loop: Header=BB256_44 Depth=1
	s_mov_b32 s18, 0x7fc02000
	s_xor_b64 s[0:1], exec, -1
; %bb.131:                              ;   in Loop: Header=BB256_44 Depth=1
	s_or_b64 exec, exec, s[16:17]
	s_and_b64 s[0:1], s[0:1], exec
	s_or_saveexec_b64 s[2:3], s[2:3]
	v_mov_b32_e32 v22, s18
	s_xor_b64 exec, exec, s[2:3]
	s_cbranch_execz .LBB256_62
.LBB256_132:                            ;   in Loop: Header=BB256_44 Depth=1
	v_cmp_ne_u16_sdwa s[16:17], v23, v11 src0_sel:BYTE_0 src1_sel:DWORD
	s_andn2_b64 s[0:1], s[0:1], exec
	s_and_b64 s[16:17], s[16:17], exec
	v_mov_b32_e32 v22, 0
	s_or_b64 s[0:1], s[0:1], s[16:17]
	s_or_b64 exec, exec, s[2:3]
	v_mov_b32_e32 v10, v23
	s_and_saveexec_b64 s[2:3], s[0:1]
	s_cbranch_execnz .LBB256_63
	s_branch .LBB256_64
.LBB256_133:                            ;   in Loop: Header=BB256_44 Depth=1
	v_cmp_eq_u16_e64 s[0:1], s31, v10
	s_mov_b64 s[2:3], -1
                                        ; implicit-def: $sgpr20
	s_and_saveexec_b64 s[18:19], s[0:1]
; %bb.134:                              ;   in Loop: Header=BB256_44 Depth=1
	s_mov_b32 s20, 0x7fc02000
	s_xor_b64 s[2:3], exec, -1
; %bb.135:                              ;   in Loop: Header=BB256_44 Depth=1
	s_or_b64 exec, exec, s[18:19]
	s_and_b64 s[2:3], s[2:3], exec
	s_or_saveexec_b64 s[16:17], s[16:17]
	v_mov_b32_e32 v30, s20
	s_xor_b64 exec, exec, s[16:17]
	s_cbranch_execz .LBB256_66
.LBB256_136:                            ;   in Loop: Header=BB256_44 Depth=1
	v_cmp_ne_u16_e64 s[0:1], 0, v10
	s_andn2_b64 s[2:3], s[2:3], exec
	s_and_b64 s[0:1], s[0:1], exec
	v_mov_b32_e32 v30, 0
	s_or_b64 s[2:3], s[2:3], s[0:1]
	s_or_b64 exec, exec, s[16:17]
	s_and_saveexec_b64 s[16:17], s[2:3]
	s_cbranch_execnz .LBB256_67
	s_branch .LBB256_68
.LBB256_137:                            ;   in Loop: Header=BB256_44 Depth=1
	v_cmp_eq_u16_sdwa s[20:21], v10, s31 src0_sel:BYTE_0 src1_sel:DWORD
	s_mov_b64 s[0:1], -1
                                        ; implicit-def: $sgpr18
	s_and_saveexec_b64 s[16:17], s[20:21]
; %bb.138:                              ;   in Loop: Header=BB256_44 Depth=1
	s_mov_b32 s18, 0x7fc02000
	s_xor_b64 s[0:1], exec, -1
; %bb.139:                              ;   in Loop: Header=BB256_44 Depth=1
	s_or_b64 exec, exec, s[16:17]
	s_and_b64 s[0:1], s[0:1], exec
	s_or_saveexec_b64 s[2:3], s[2:3]
	v_mov_b32_e32 v37, s18
	s_xor_b64 exec, exec, s[2:3]
	s_cbranch_execz .LBB256_70
.LBB256_140:                            ;   in Loop: Header=BB256_44 Depth=1
	v_cmp_ne_u16_sdwa s[16:17], v10, v11 src0_sel:BYTE_0 src1_sel:DWORD
	s_andn2_b64 s[0:1], s[0:1], exec
	s_and_b64 s[16:17], s[16:17], exec
	v_mov_b32_e32 v37, 0
	s_or_b64 s[0:1], s[0:1], s[16:17]
	s_or_b64 exec, exec, s[2:3]
	s_and_saveexec_b64 s[2:3], s[0:1]
	s_cbranch_execnz .LBB256_71
	s_branch .LBB256_72
.LBB256_141:                            ;   in Loop: Header=BB256_44 Depth=1
	v_cmp_eq_u16_e64 s[0:1], s31, v10
	s_mov_b64 s[2:3], -1
                                        ; implicit-def: $sgpr20
	s_and_saveexec_b64 s[18:19], s[0:1]
; %bb.142:                              ;   in Loop: Header=BB256_44 Depth=1
	s_mov_b32 s20, 0x7fc02000
	s_xor_b64 s[2:3], exec, -1
; %bb.143:                              ;   in Loop: Header=BB256_44 Depth=1
	s_or_b64 exec, exec, s[18:19]
	s_and_b64 s[2:3], s[2:3], exec
	s_or_saveexec_b64 s[16:17], s[16:17]
	v_mov_b32_e32 v38, s20
	s_xor_b64 exec, exec, s[16:17]
	s_cbranch_execz .LBB256_74
.LBB256_144:                            ;   in Loop: Header=BB256_44 Depth=1
	v_cmp_ne_u16_e64 s[0:1], 0, v10
	s_andn2_b64 s[2:3], s[2:3], exec
	s_and_b64 s[0:1], s[0:1], exec
	v_mov_b32_e32 v38, 0
	s_or_b64 s[2:3], s[2:3], s[0:1]
	s_or_b64 exec, exec, s[16:17]
	s_and_saveexec_b64 s[16:17], s[2:3]
	s_cbranch_execnz .LBB256_75
	s_branch .LBB256_76
.LBB256_145:                            ;   in Loop: Header=BB256_44 Depth=1
	v_cmp_eq_u16_sdwa s[40:41], v20, s31 src0_sel:BYTE_0 src1_sel:DWORD
	s_mov_b64 s[0:1], -1
                                        ; implicit-def: $sgpr22
	s_and_saveexec_b64 s[20:21], s[40:41]
; %bb.146:                              ;   in Loop: Header=BB256_44 Depth=1
	s_mov_b32 s22, 0x7fc02000
	s_xor_b64 s[0:1], exec, -1
; %bb.147:                              ;   in Loop: Header=BB256_44 Depth=1
	s_or_b64 exec, exec, s[20:21]
	s_and_b64 s[0:1], s[0:1], exec
	s_or_saveexec_b64 s[18:19], s[18:19]
	v_mov_b32_e32 v22, s22
	s_xor_b64 exec, exec, s[18:19]
	s_cbranch_execz .LBB256_81
.LBB256_148:                            ;   in Loop: Header=BB256_44 Depth=1
	v_cmp_ne_u16_sdwa s[20:21], v20, v11 src0_sel:BYTE_0 src1_sel:DWORD
	s_andn2_b64 s[0:1], s[0:1], exec
	s_and_b64 s[20:21], s[20:21], exec
	v_mov_b32_e32 v22, 0
	s_or_b64 s[0:1], s[0:1], s[20:21]
	s_or_b64 exec, exec, s[18:19]
	s_and_saveexec_b64 s[18:19], s[0:1]
	s_cbranch_execnz .LBB256_82
	s_branch .LBB256_83
.LBB256_149:                            ;   in Loop: Header=BB256_44 Depth=1
	v_cmp_eq_u16_e64 s[0:1], s31, v10
	s_mov_b64 s[18:19], -1
                                        ; implicit-def: $sgpr39
	s_and_saveexec_b64 s[22:23], s[0:1]
; %bb.150:                              ;   in Loop: Header=BB256_44 Depth=1
	s_mov_b32 s39, 0x7fc02000
	s_xor_b64 s[18:19], exec, -1
; %bb.151:                              ;   in Loop: Header=BB256_44 Depth=1
	s_or_b64 exec, exec, s[22:23]
	s_and_b64 s[18:19], s[18:19], exec
	s_or_saveexec_b64 s[20:21], s[20:21]
	v_mov_b32_e32 v24, s39
	s_xor_b64 exec, exec, s[20:21]
	s_cbranch_execz .LBB256_85
.LBB256_152:                            ;   in Loop: Header=BB256_44 Depth=1
	v_cmp_ne_u16_e64 s[0:1], 0, v10
	s_andn2_b64 s[18:19], s[18:19], exec
	s_and_b64 s[0:1], s[0:1], exec
	v_mov_b32_e32 v24, 0
	s_or_b64 s[18:19], s[18:19], s[0:1]
	s_or_b64 exec, exec, s[20:21]
	s_and_saveexec_b64 s[20:21], s[18:19]
	s_cbranch_execnz .LBB256_86
	s_branch .LBB256_87
.LBB256_153:                            ;   in Loop: Header=BB256_44 Depth=1
	v_cmp_eq_u16_sdwa s[40:41], v10, s31 src0_sel:BYTE_0 src1_sel:DWORD
	s_mov_b64 s[0:1], -1
                                        ; implicit-def: $sgpr22
	s_and_saveexec_b64 s[20:21], s[40:41]
; %bb.154:                              ;   in Loop: Header=BB256_44 Depth=1
	s_mov_b32 s22, 0x7fc02000
	s_xor_b64 s[0:1], exec, -1
; %bb.155:                              ;   in Loop: Header=BB256_44 Depth=1
	s_or_b64 exec, exec, s[20:21]
	s_and_b64 s[0:1], s[0:1], exec
	s_or_saveexec_b64 s[18:19], s[18:19]
	v_mov_b32_e32 v23, s22
	s_xor_b64 exec, exec, s[18:19]
	s_cbranch_execz .LBB256_89
.LBB256_156:                            ;   in Loop: Header=BB256_44 Depth=1
	v_cmp_ne_u16_sdwa s[20:21], v10, v11 src0_sel:BYTE_0 src1_sel:DWORD
	s_andn2_b64 s[0:1], s[0:1], exec
	s_and_b64 s[20:21], s[20:21], exec
	v_mov_b32_e32 v23, 0
	s_or_b64 s[0:1], s[0:1], s[20:21]
	s_or_b64 exec, exec, s[18:19]
	s_and_saveexec_b64 s[18:19], s[0:1]
	s_cbranch_execnz .LBB256_90
	s_branch .LBB256_91
.LBB256_157:                            ;   in Loop: Header=BB256_44 Depth=1
	v_cmp_eq_u16_e64 s[0:1], s31, v10
	s_mov_b64 s[18:19], -1
                                        ; implicit-def: $sgpr39
	s_and_saveexec_b64 s[22:23], s[0:1]
; %bb.158:                              ;   in Loop: Header=BB256_44 Depth=1
	s_mov_b32 s39, 0x7fc02000
	s_xor_b64 s[18:19], exec, -1
; %bb.159:                              ;   in Loop: Header=BB256_44 Depth=1
	s_or_b64 exec, exec, s[22:23]
	s_and_b64 s[18:19], s[18:19], exec
	s_or_saveexec_b64 s[20:21], s[20:21]
	v_mov_b32_e32 v25, s39
	s_xor_b64 exec, exec, s[20:21]
	s_cbranch_execz .LBB256_93
.LBB256_160:                            ;   in Loop: Header=BB256_44 Depth=1
	v_cmp_ne_u16_e64 s[0:1], 0, v10
	s_andn2_b64 s[18:19], s[18:19], exec
	s_and_b64 s[0:1], s[0:1], exec
	v_mov_b32_e32 v25, 0
	s_or_b64 s[18:19], s[18:19], s[0:1]
	s_or_b64 exec, exec, s[20:21]
	s_and_saveexec_b64 s[20:21], s[18:19]
	s_cbranch_execnz .LBB256_94
	s_branch .LBB256_95
.LBB256_161:                            ;   in Loop: Header=BB256_44 Depth=1
	v_cmp_eq_u16_sdwa s[40:41], v21, s31 src0_sel:BYTE_0 src1_sel:DWORD
	s_mov_b64 s[0:1], -1
                                        ; implicit-def: $sgpr22
	s_and_saveexec_b64 s[20:21], s[40:41]
; %bb.162:                              ;   in Loop: Header=BB256_44 Depth=1
	s_mov_b32 s22, 0x7fc02000
	s_xor_b64 s[0:1], exec, -1
; %bb.163:                              ;   in Loop: Header=BB256_44 Depth=1
	s_or_b64 exec, exec, s[20:21]
	s_and_b64 s[0:1], s[0:1], exec
	s_or_saveexec_b64 s[18:19], s[18:19]
	v_mov_b32_e32 v19, s22
	s_xor_b64 exec, exec, s[18:19]
	s_cbranch_execz .LBB256_97
.LBB256_164:                            ;   in Loop: Header=BB256_44 Depth=1
	v_cmp_ne_u16_sdwa s[20:21], v21, v11 src0_sel:BYTE_0 src1_sel:DWORD
	s_andn2_b64 s[0:1], s[0:1], exec
	s_and_b64 s[20:21], s[20:21], exec
	v_mov_b32_e32 v19, 0
	s_or_b64 s[0:1], s[0:1], s[20:21]
	s_or_b64 exec, exec, s[18:19]
	v_mov_b32_e32 v10, v21
	s_and_saveexec_b64 s[18:19], s[0:1]
	s_cbranch_execnz .LBB256_98
	s_branch .LBB256_99
.LBB256_165:                            ;   in Loop: Header=BB256_44 Depth=1
	v_cmp_eq_u16_e64 s[0:1], s31, v10
	s_mov_b64 s[18:19], -1
                                        ; implicit-def: $sgpr39
	s_and_saveexec_b64 s[22:23], s[0:1]
; %bb.166:                              ;   in Loop: Header=BB256_44 Depth=1
	s_mov_b32 s39, 0x7fc02000
	s_xor_b64 s[18:19], exec, -1
; %bb.167:                              ;   in Loop: Header=BB256_44 Depth=1
	s_or_b64 exec, exec, s[22:23]
	s_and_b64 s[18:19], s[18:19], exec
	s_or_saveexec_b64 s[20:21], s[20:21]
	v_mov_b32_e32 v20, s39
	s_xor_b64 exec, exec, s[20:21]
	s_cbranch_execz .LBB256_101
.LBB256_168:                            ;   in Loop: Header=BB256_44 Depth=1
	v_cmp_ne_u16_e64 s[0:1], 0, v10
	s_andn2_b64 s[18:19], s[18:19], exec
	s_and_b64 s[0:1], s[0:1], exec
	v_mov_b32_e32 v20, 0
	s_or_b64 s[18:19], s[18:19], s[0:1]
	s_or_b64 exec, exec, s[20:21]
	s_and_saveexec_b64 s[20:21], s[18:19]
	s_cbranch_execnz .LBB256_102
	s_branch .LBB256_103
.LBB256_169:                            ;   in Loop: Header=BB256_44 Depth=1
	v_cmp_eq_u16_sdwa s[40:41], v10, s31 src0_sel:BYTE_0 src1_sel:DWORD
	s_mov_b64 s[0:1], -1
                                        ; implicit-def: $sgpr22
	s_and_saveexec_b64 s[20:21], s[40:41]
; %bb.170:                              ;   in Loop: Header=BB256_44 Depth=1
	s_mov_b32 s22, 0x7fc02000
	s_xor_b64 s[0:1], exec, -1
; %bb.171:                              ;   in Loop: Header=BB256_44 Depth=1
	s_or_b64 exec, exec, s[20:21]
	s_and_b64 s[0:1], s[0:1], exec
	s_or_saveexec_b64 s[18:19], s[18:19]
	v_mov_b32_e32 v31, s22
	s_xor_b64 exec, exec, s[18:19]
	s_cbranch_execz .LBB256_105
.LBB256_172:                            ;   in Loop: Header=BB256_44 Depth=1
	v_cmp_ne_u16_sdwa s[20:21], v10, v11 src0_sel:BYTE_0 src1_sel:DWORD
	s_andn2_b64 s[0:1], s[0:1], exec
	s_and_b64 s[20:21], s[20:21], exec
	v_mov_b32_e32 v31, 0
	s_or_b64 s[0:1], s[0:1], s[20:21]
	s_or_b64 exec, exec, s[18:19]
	s_and_saveexec_b64 s[18:19], s[0:1]
	s_cbranch_execnz .LBB256_106
	s_branch .LBB256_107
.LBB256_173:                            ;   in Loop: Header=BB256_44 Depth=1
	v_cmp_eq_u16_e64 s[0:1], s31, v10
	s_mov_b64 s[18:19], -1
                                        ; implicit-def: $sgpr39
	s_and_saveexec_b64 s[22:23], s[0:1]
; %bb.174:                              ;   in Loop: Header=BB256_44 Depth=1
	s_mov_b32 s39, 0x7fc02000
	s_xor_b64 s[18:19], exec, -1
; %bb.175:                              ;   in Loop: Header=BB256_44 Depth=1
	s_or_b64 exec, exec, s[22:23]
	s_and_b64 s[18:19], s[18:19], exec
	s_or_saveexec_b64 s[20:21], s[20:21]
	v_mov_b32_e32 v32, s39
	s_xor_b64 exec, exec, s[20:21]
	s_cbranch_execz .LBB256_109
.LBB256_176:                            ;   in Loop: Header=BB256_44 Depth=1
	v_cmp_ne_u16_e64 s[0:1], 0, v10
	s_andn2_b64 s[18:19], s[18:19], exec
	s_and_b64 s[0:1], s[0:1], exec
	v_mov_b32_e32 v32, 0
	s_or_b64 s[18:19], s[18:19], s[0:1]
	s_or_b64 exec, exec, s[20:21]
	s_and_saveexec_b64 s[20:21], s[18:19]
	s_cbranch_execnz .LBB256_110
	s_branch .LBB256_111
.LBB256_177:
	s_or_b64 exec, exec, s[6:7]
.LBB256_178:
	s_or_b64 exec, exec, s[12:13]
	v_and_b32_e32 v3, 0x3c0, v0
	v_cmp_eq_u32_e32 vcc, 64, v3
	s_barrier
	s_and_saveexec_b64 s[0:1], vcc
	s_cbranch_execz .LBB256_181
; %bb.179:
	v_mov_b32_e32 v3, 0xb0
	v_lshl_add_u32 v1, v1, 2, v3
	ds_write_b32 v1, v6
	s_and_b64 exec, exec, s[10:11]
	s_cbranch_execz .LBB256_181
; %bb.180:
	v_lshl_add_u32 v1, v0, 2, v3
	ds_write_b32 v1, v7
.LBB256_181:
	s_or_b64 exec, exec, s[0:1]
	v_cmp_gt_u32_e32 vcc, 64, v0
	v_or_b32_e32 v1, 64, v0
	s_waitcnt lgkmcnt(0)
	s_barrier
	s_and_saveexec_b64 s[2:3], vcc
	s_cbranch_execz .LBB256_185
; %bb.182:
	v_mov_b32_e32 v3, 0xb0
	v_lshl_add_u32 v0, v0, 2, v3
	ds_read_b32 v3, v0
	s_movk_i32 s0, 0x50
	v_cmp_gt_u32_e64 s[0:1], s0, v1
	s_waitcnt lgkmcnt(0)
	v_add_f32_e32 v6, v6, v3
	s_and_saveexec_b64 s[6:7], s[0:1]
	s_cbranch_execz .LBB256_184
; %bb.183:
	ds_read_b32 v0, v0 offset:256
	s_waitcnt lgkmcnt(0)
	v_add_f32_e32 v7, v7, v0
.LBB256_184:
	s_or_b64 exec, exec, s[6:7]
.LBB256_185:
	s_or_b64 exec, exec, s[2:3]
	s_barrier
	s_and_saveexec_b64 s[0:1], vcc
	s_cbranch_execz .LBB256_188
; %bb.186:
	s_mul_i32 s0, s8, 0x50
	s_ashr_i32 s1, s0, 31
	s_lshl_b64 s[0:1], s[0:1], 1
	s_add_u32 s3, s26, s0
	s_mul_i32 s0, s25, s24
	s_addc_u32 s5, s27, s1
	s_ashr_i32 s1, s0, 31
	s_lshl_b64 s[0:1], s[0:1], 1
	s_add_u32 s3, s3, s0
	s_mul_i32 s0, s4, 0x50
	s_addc_u32 s5, s5, s1
	s_ashr_i32 s1, s0, 31
	s_lshl_b64 s[0:1], s[0:1], 1
	s_movk_i32 s2, 0x50
	s_add_u32 s0, s3, s0
	s_addc_u32 s1, s5, s1
	v_cmp_gt_u32_e32 vcc, s2, v1
	;;#ASMSTART
	v_cvt_f16_f32 v0, v6;

	;;#ASMEND
	global_store_short v2, v0, s[0:1]
	s_and_b64 exec, exec, vcc
	s_cbranch_execz .LBB256_188
; %bb.187:
	v_mov_b32_e32 v3, 0
	v_lshl_add_u64 v[0:1], s[0:1], 0, v[2:3]
	;;#ASMSTART
	v_cvt_f16_f32 v2, v7;

	;;#ASMEND
	global_store_short v[0:1], v2, off offset:128
.LBB256_188:
	s_endpgm
	.section	.rodata,"a",@progbits
	.p2align	6, 0x0
	.amdhsa_kernel _ZN4vllm25paged_attention_v2_kernelIthLi80ELi8ELi128ELNS_18Fp8KVCacheDataTypeE1ELb0ELi512EEEvPfS2_PT_PKS3_PKT0_S9_ifPKiSB_iPKfiiiSD_SD_iiiii
		.amdhsa_group_segment_fixed_size 176
		.amdhsa_private_segment_fixed_size 0
		.amdhsa_kernarg_size 400
		.amdhsa_user_sgpr_count 2
		.amdhsa_user_sgpr_dispatch_ptr 0
		.amdhsa_user_sgpr_queue_ptr 0
		.amdhsa_user_sgpr_kernarg_segment_ptr 1
		.amdhsa_user_sgpr_dispatch_id 0
		.amdhsa_user_sgpr_kernarg_preload_length 0
		.amdhsa_user_sgpr_kernarg_preload_offset 0
		.amdhsa_user_sgpr_private_segment_size 0
		.amdhsa_uses_dynamic_stack 0
		.amdhsa_enable_private_segment 0
		.amdhsa_system_sgpr_workgroup_id_x 1
		.amdhsa_system_sgpr_workgroup_id_y 1
		.amdhsa_system_sgpr_workgroup_id_z 1
		.amdhsa_system_sgpr_workgroup_info 0
		.amdhsa_system_vgpr_workitem_id 0
		.amdhsa_next_free_vgpr 42
		.amdhsa_next_free_sgpr 48
		.amdhsa_accum_offset 44
		.amdhsa_reserve_vcc 1
		.amdhsa_float_round_mode_32 0
		.amdhsa_float_round_mode_16_64 0
		.amdhsa_float_denorm_mode_32 3
		.amdhsa_float_denorm_mode_16_64 3
		.amdhsa_dx10_clamp 1
		.amdhsa_ieee_mode 1
		.amdhsa_fp16_overflow 0
		.amdhsa_tg_split 0
		.amdhsa_exception_fp_ieee_invalid_op 0
		.amdhsa_exception_fp_denorm_src 0
		.amdhsa_exception_fp_ieee_div_zero 0
		.amdhsa_exception_fp_ieee_overflow 0
		.amdhsa_exception_fp_ieee_underflow 0
		.amdhsa_exception_fp_ieee_inexact 0
		.amdhsa_exception_int_div_zero 0
	.end_amdhsa_kernel
	.section	.text._ZN4vllm25paged_attention_v2_kernelIthLi80ELi8ELi128ELNS_18Fp8KVCacheDataTypeE1ELb0ELi512EEEvPfS2_PT_PKS3_PKT0_S9_ifPKiSB_iPKfiiiSD_SD_iiiii,"axG",@progbits,_ZN4vllm25paged_attention_v2_kernelIthLi80ELi8ELi128ELNS_18Fp8KVCacheDataTypeE1ELb0ELi512EEEvPfS2_PT_PKS3_PKT0_S9_ifPKiSB_iPKfiiiSD_SD_iiiii,comdat
.Lfunc_end256:
	.size	_ZN4vllm25paged_attention_v2_kernelIthLi80ELi8ELi128ELNS_18Fp8KVCacheDataTypeE1ELb0ELi512EEEvPfS2_PT_PKS3_PKT0_S9_ifPKiSB_iPKfiiiSD_SD_iiiii, .Lfunc_end256-_ZN4vllm25paged_attention_v2_kernelIthLi80ELi8ELi128ELNS_18Fp8KVCacheDataTypeE1ELb0ELi512EEEvPfS2_PT_PKS3_PKT0_S9_ifPKiSB_iPKfiiiSD_SD_iiiii
                                        ; -- End function
	.section	.AMDGPU.csdata,"",@progbits
; Kernel info:
; codeLenInByte = 9052
; NumSgprs: 54
; NumVgprs: 42
; NumAgprs: 0
; TotalNumVgprs: 42
; ScratchSize: 0
; MemoryBound: 0
; FloatMode: 240
; IeeeMode: 1
; LDSByteSize: 176 bytes/workgroup (compile time only)
; SGPRBlocks: 6
; VGPRBlocks: 5
; NumSGPRsForWavesPerEU: 54
; NumVGPRsForWavesPerEU: 42
; AccumOffset: 44
; Occupancy: 8
; WaveLimiterHint : 1
; COMPUTE_PGM_RSRC2:SCRATCH_EN: 0
; COMPUTE_PGM_RSRC2:USER_SGPR: 2
; COMPUTE_PGM_RSRC2:TRAP_HANDLER: 0
; COMPUTE_PGM_RSRC2:TGID_X_EN: 1
; COMPUTE_PGM_RSRC2:TGID_Y_EN: 1
; COMPUTE_PGM_RSRC2:TGID_Z_EN: 1
; COMPUTE_PGM_RSRC2:TIDIG_COMP_CNT: 0
; COMPUTE_PGM_RSRC3_GFX90A:ACCUM_OFFSET: 10
; COMPUTE_PGM_RSRC3_GFX90A:TG_SPLIT: 0
	.section	.text._ZN4vllm25paged_attention_v2_kernelIthLi96ELi8ELi128ELNS_18Fp8KVCacheDataTypeE1ELb0ELi512EEEvPfS2_PT_PKS3_PKT0_S9_ifPKiSB_iPKfiiiSD_SD_iiiii,"axG",@progbits,_ZN4vllm25paged_attention_v2_kernelIthLi96ELi8ELi128ELNS_18Fp8KVCacheDataTypeE1ELb0ELi512EEEvPfS2_PT_PKS3_PKT0_S9_ifPKiSB_iPKfiiiSD_SD_iiiii,comdat
	.protected	_ZN4vllm25paged_attention_v2_kernelIthLi96ELi8ELi128ELNS_18Fp8KVCacheDataTypeE1ELb0ELi512EEEvPfS2_PT_PKS3_PKT0_S9_ifPKiSB_iPKfiiiSD_SD_iiiii ; -- Begin function _ZN4vllm25paged_attention_v2_kernelIthLi96ELi8ELi128ELNS_18Fp8KVCacheDataTypeE1ELb0ELi512EEEvPfS2_PT_PKS3_PKT0_S9_ifPKiSB_iPKfiiiSD_SD_iiiii
	.globl	_ZN4vllm25paged_attention_v2_kernelIthLi96ELi8ELi128ELNS_18Fp8KVCacheDataTypeE1ELb0ELi512EEEvPfS2_PT_PKS3_PKT0_S9_ifPKiSB_iPKfiiiSD_SD_iiiii
	.p2align	8
	.type	_ZN4vllm25paged_attention_v2_kernelIthLi96ELi8ELi128ELNS_18Fp8KVCacheDataTypeE1ELb0ELi512EEEvPfS2_PT_PKS3_PKT0_S9_ifPKiSB_iPKfiiiSD_SD_iiiii,@function
_ZN4vllm25paged_attention_v2_kernelIthLi96ELi8ELi128ELNS_18Fp8KVCacheDataTypeE1ELb0ELi512EEEvPfS2_PT_PKS3_PKT0_S9_ifPKiSB_iPKfiiiSD_SD_iiiii: ; @_ZN4vllm25paged_attention_v2_kernelIthLi96ELi8ELi128ELNS_18Fp8KVCacheDataTypeE1ELb0ELi512EEEvPfS2_PT_PKS3_PKT0_S9_ifPKiSB_iPKfiiiSD_SD_iiiii
; %bb.0:
	s_load_dwordx2 s[6:7], s[0:1], 0x40
	s_mov_b32 s28, s3
	s_ashr_i32 s29, s3, 31
	s_lshl_b64 s[8:9], s[28:29], 2
	s_waitcnt lgkmcnt(0)
	s_add_u32 s6, s6, s8
	s_addc_u32 s7, s7, s9
	s_load_dword s29, s[6:7], 0x0
	s_lshl_b32 s44, s4, 9
	s_waitcnt lgkmcnt(0)
	s_cmp_ge_i32 s44, s29
	s_cbranch_scc1 .LBB257_188
; %bb.1:
	s_load_dword s5, s[0:1], 0x90
	s_load_dwordx2 s[38:39], s[0:1], 0x30
	s_mov_b32 s45, 0
	s_waitcnt lgkmcnt(0)
	s_abs_i32 s7, s5
	s_abs_i32 s3, s38
	v_cvt_f32_u32_e32 v1, s3
	s_sub_i32 s8, 0, s3
	s_xor_b32 s6, s5, s38
	s_ashr_i32 s6, s6, 31
	v_rcp_iflag_f32_e32 v1, v1
	s_nop 0
	v_mul_f32_e32 v1, 0x4f7ffffe, v1
	v_cvt_u32_f32_e32 v1, v1
	s_nop 0
	v_readfirstlane_b32 s9, v1
	s_mul_i32 s8, s8, s9
	s_mul_hi_u32 s8, s9, s8
	s_add_i32 s9, s9, s8
	s_mul_hi_u32 s8, s7, s9
	s_mul_i32 s9, s8, s3
	s_sub_i32 s7, s7, s9
	s_add_i32 s10, s8, 1
	s_sub_i32 s9, s7, s3
	s_cmp_ge_u32 s7, s3
	s_cselect_b32 s8, s10, s8
	s_cselect_b32 s7, s9, s7
	s_add_i32 s9, s8, 1
	s_cmp_ge_u32 s7, s3
	s_cselect_b32 s3, s9, s8
	s_xor_b32 s3, s3, s6
	s_sub_i32 s10, s3, s6
	s_abs_i32 s8, s10
	v_cvt_f32_u32_e32 v1, s8
	s_load_dwordx2 s[6:7], s[0:1], 0x50
	s_sub_i32 s3, 0, s8
	s_abs_i32 s9, s2
	v_rcp_iflag_f32_e32 v1, v1
	s_nop 0
	v_mul_f32_e32 v1, 0x4f7ffffe, v1
	v_cvt_u32_f32_e32 v1, v1
	s_nop 0
	v_readfirstlane_b32 s11, v1
	s_mul_i32 s3, s3, s11
	s_mul_hi_u32 s3, s11, s3
	s_add_i32 s11, s11, s3
	s_waitcnt lgkmcnt(0)
	s_cmp_eq_u64 s[6:7], 0
	s_mul_hi_u32 s12, s9, s11
	s_cbranch_scc1 .LBB257_3
; %bb.2:
	s_ashr_i32 s3, s2, 31
	s_lshl_b64 s[14:15], s[2:3], 2
	s_add_u32 s6, s6, s14
	s_addc_u32 s7, s7, s15
	s_load_dword s45, s[6:7], 0x0
.LBB257_3:
	s_load_dwordx4 s[16:19], s[0:1], 0x58
	s_movk_i32 s3, 0x60
	s_ashr_i32 s13, s2, 31
	s_ashr_i32 s14, s10, 31
	v_and_b32_e32 v6, 7, v0
	s_mul_i32 s24, s2, 0x60
	v_cmp_gt_u32_e64 s[10:11], s3, v0
	v_lshlrev_b32_e32 v2, 1, v0
	s_and_saveexec_b64 s[6:7], s[10:11]
	s_cbranch_execz .LBB257_5
; %bb.4:
	s_load_dwordx2 s[20:21], s[0:1], 0x18
	s_waitcnt lgkmcnt(0)
	s_mul_i32 s22, s28, s16
	s_ashr_i32 s23, s22, 31
	s_lshl_b64 s[22:23], s[22:23], 1
	v_lshrrev_b32_e32 v3, 2, v0
	s_add_u32 s3, s20, s22
	s_addc_u32 s15, s21, s23
	s_ashr_i32 s25, s24, 31
	s_lshl_b64 s[20:21], s[24:25], 1
	s_add_u32 s20, s3, s20
	s_addc_u32 s21, s15, s21
	global_load_ushort v1, v2, s[20:21]
	v_and_b32_e32 v3, 0xfe, v3
	v_mad_u32_u24 v3, v6, 24, v3
	s_waitcnt vmcnt(0)
	ds_write_b16 v3, v1
.LBB257_5:
	s_or_b64 exec, exec, s[6:7]
	s_add_i32 s3, s29, 7
	s_ashr_i32 s6, s3, 31
	s_lshr_b32 s6, s6, 29
	s_add_i32 s3, s3, s6
	s_lshl_b32 s38, s4, 6
	s_mul_i32 s7, s12, s8
	s_ashr_i32 s3, s3, 3
	s_add_i32 s6, s38, 64
	s_sub_i32 s7, s9, s7
	s_min_i32 s33, s6, s3
	s_xor_b32 s6, s13, s14
	s_add_i32 s9, s12, 1
	s_sub_i32 s13, s7, s8
	s_cmp_ge_u32 s7, s8
	s_cselect_b32 s9, s9, s12
	s_cselect_b32 s7, s13, s7
	s_add_i32 s12, s9, 1
	s_cmp_ge_u32 s7, s8
	s_load_dwordx2 s[30:31], s[0:1], 0x38
	s_load_dword s8, s[0:1], 0x48
	v_lshrrev_b32_e32 v14, 6, v0
	s_cselect_b32 s7, s12, s9
	s_xor_b32 s7, s7, s6
	v_or_b32_e32 v4, s38, v14
	s_waitcnt lgkmcnt(0)
	s_mul_i32 s34, s28, s8
	s_sub_i32 s16, s7, s6
	s_ashr_i32 s35, s34, 31
	v_cmp_gt_i32_e64 s[6:7], s33, v4
	v_cmp_le_i32_e32 vcc, s33, v4
	v_mbcnt_lo_u32_b32 v17, -1, 0
	s_barrier
	s_waitcnt lgkmcnt(0)
                                        ; implicit-def: $sgpr19
                                        ; implicit-def: $vgpr3
                                        ; implicit-def: $vgpr12
	s_and_saveexec_b64 s[8:9], vcc
	s_xor_b64 s[8:9], exec, s[8:9]
; %bb.6:
	v_mbcnt_hi_u32_b32 v3, -1, v17
	v_and_b32_e32 v1, 64, v3
	v_add_u32_e32 v12, 64, v1
	s_mov_b32 s19, 0xff7fffff
                                        ; implicit-def: $vgpr6
                                        ; implicit-def: $vgpr17
; %bb.7:
	s_or_saveexec_b64 s[40:41], s[8:9]
	s_load_dwordx4 s[20:23], s[0:1], 0x0
	s_load_dwordx2 s[26:27], s[0:1], 0x10
	s_load_dword s25, s[0:1], 0x98
	s_load_dwordx2 s[36:37], s[0:1], 0x28
	s_load_dwordx4 s[12:15], s[0:1], 0x68
	v_mov_b32_e32 v1, s19
	s_mul_i32 s16, s16, s18
	v_ashrrev_i32_e32 v5, 31, v4
	s_xor_b64 exec, exec, s[40:41]
	s_cbranch_execz .LBB257_13
; %bb.8:
	s_load_dwordx2 s[0:1], s[0:1], 0x20
	s_ashr_i32 s8, s16, 31
	v_bfe_u32 v1, v0, 3, 3
	v_mov_b32_e32 v7, 0
	v_lshlrev_b32_e32 v8, 4, v1
	s_waitcnt lgkmcnt(0)
	s_add_u32 s0, s0, s16
	s_addc_u32 s1, s1, s8
	v_mov_b32_e32 v9, v7
	v_lshl_add_u64 v[8:9], s[0:1], 0, v[8:9]
	s_sub_i32 s47, 1, s29
	v_lshlrev_b32_e32 v3, 3, v14
	s_lshl_b64 s[0:1], s[34:35], 2
	v_add3_u32 v15, s44, v3, v1
	v_lshlrev_b32_e32 v1, 2, v1
	s_add_u32 s0, s30, s0
	v_mbcnt_hi_u32_b32 v3, -1, v17
	v_lshl_or_b32 v1, v14, 5, v1
	s_addc_u32 s1, s31, s1
	v_and_b32_e32 v12, 64, v3
	s_mov_b32 s46, s17
	v_mul_u32_u24_e32 v13, 24, v6
	v_cmp_eq_u32_e32 vcc, 0, v6
	v_cmp_neq_f32_e64 s[8:9], s45, 0
	v_add_u32_e32 v16, 0xd0, v1
	v_lshl_add_u64 v[10:11], v[4:5], 2, s[0:1]
	s_mov_b64 s[18:19], 0
	v_mov_b32_e32 v1, 0xff7fffff
	v_add_u32_e32 v12, 64, v12
	v_xor_b32_e32 v17, 4, v3
	v_xor_b32_e32 v18, 2, v3
	;; [unrolled: 1-line block ×3, first 2 shown]
	v_mov_b32_e32 v20, v4
	s_branch .LBB257_10
.LBB257_9:                              ;   in Loop: Header=BB257_10 Depth=1
	s_or_b64 exec, exec, s[42:43]
	v_add_u32_e32 v20, 2, v20
	v_cmp_le_i32_e64 s[0:1], s33, v20
	v_add_u32_e32 v15, 16, v15
	v_add_u32_e32 v16, 64, v16
	s_or_b64 s[18:19], s[0:1], s[18:19]
	v_lshl_add_u64 v[10:11], v[10:11], 0, 8
	s_andn2_b64 exec, exec, s[18:19]
	s_cbranch_execz .LBB257_12
.LBB257_10:                             ; =>This Inner Loop Header: Depth=1
	global_load_dword v21, v[10:11], off
	s_waitcnt vmcnt(0) lgkmcnt(0)
	v_mad_i64_i32 v[22:23], s[0:1], v21, s46, v[8:9]
	v_lshl_add_u64 v[22:23], v[22:23], 0, v[6:7]
	global_load_ubyte v21, v[22:23], off
	global_load_ubyte v24, v[22:23], off offset:8
	global_load_dword v25, v7, s[12:13]
	global_load_ubyte v26, v[22:23], off offset:128
	global_load_ubyte v27, v[22:23], off offset:136
	;; [unrolled: 1-line block ×10, first 2 shown]
	ds_read_u16 v22, v13
	s_waitcnt lgkmcnt(0)
	;;#ASMSTART
	v_cvt_f32_f16 v22, v22;
	;;#ASMEND
	v_cmp_lt_i32_e64 s[0:1], v17, v12
	s_waitcnt vmcnt(12)
	v_cvt_f32_fp8_sdwa v21, v21 src0_sel:BYTE_0
	s_waitcnt vmcnt(11)
	v_cvt_f32_fp8_sdwa v24, v24 src0_sel:BYTE_0
	v_cndmask_b32_e64 v23, v3, v17, s[0:1]
	s_waitcnt vmcnt(9)
	v_cvt_f32_fp8_sdwa v26, v26 src0_sel:BYTE_0
	v_fma_mixlo_f16 v21, v25, v21, 0
	v_and_b32_e32 v21, 0xffff, v21
	v_fma_mixlo_f16 v24, v25, v24, 0
	s_waitcnt vmcnt(8)
	v_cvt_f32_fp8_sdwa v27, v27 src0_sel:BYTE_0
	;;#ASMSTART
	v_cvt_f32_f16 v21, v21;
	;;#ASMEND
	ds_read_u16 v36, v13 offset:2
	v_and_b32_e32 v24, 0xffff, v24
	s_waitcnt vmcnt(7)
	v_cvt_f32_fp8_sdwa v28, v28 src0_sel:BYTE_0
	s_waitcnt lgkmcnt(0)
	;;#ASMSTART
	v_cvt_f32_f16 v36, v36;
	;;#ASMEND
	;;#ASMSTART
	v_cvt_f32_f16 v24, v24;
	;;#ASMEND
	s_waitcnt vmcnt(6)
	v_cvt_f32_fp8_sdwa v29, v29 src0_sel:BYTE_0
	v_fma_mixlo_f16 v26, v25, v26, 0
	s_waitcnt vmcnt(5)
	v_cvt_f32_fp8_sdwa v30, v30 src0_sel:BYTE_0
	v_mul_f32_e32 v24, v36, v24
	ds_read_u16 v37, v13 offset:4
	v_and_b32_e32 v26, 0xffff, v26
	v_fma_mixlo_f16 v27, v25, v27, 0
	s_waitcnt vmcnt(4)
	v_cvt_f32_fp8_sdwa v31, v31 src0_sel:BYTE_0
	v_fmac_f32_e32 v24, v22, v21
	s_waitcnt lgkmcnt(0)
	;;#ASMSTART
	v_cvt_f32_f16 v37, v37;
	;;#ASMEND
	;;#ASMSTART
	v_cvt_f32_f16 v26, v26;
	;;#ASMEND
	ds_read_u16 v38, v13 offset:6
	v_and_b32_e32 v27, 0xffff, v27
	s_waitcnt vmcnt(3)
	v_cvt_f32_fp8_sdwa v32, v32 src0_sel:BYTE_0
	v_fma_mixlo_f16 v28, v25, v28, 0
	v_fmac_f32_e32 v24, v37, v26
	s_waitcnt lgkmcnt(0)
	;;#ASMSTART
	v_cvt_f32_f16 v38, v38;
	;;#ASMEND
	;;#ASMSTART
	v_cvt_f32_f16 v27, v27;
	;;#ASMEND
	ds_read_u16 v39, v13 offset:8
	v_and_b32_e32 v28, 0xffff, v28
	v_fma_mixlo_f16 v29, v25, v29, 0
	v_fmac_f32_e32 v24, v38, v27
	s_waitcnt lgkmcnt(0)
	;;#ASMSTART
	v_cvt_f32_f16 v39, v39;
	;;#ASMEND
	;;#ASMSTART
	v_cvt_f32_f16 v28, v28;
	;;#ASMEND
	ds_read_u16 v40, v13 offset:10
	s_waitcnt vmcnt(2)
	v_cvt_f32_fp8_sdwa v33, v33 src0_sel:BYTE_0
	s_waitcnt vmcnt(1)
	v_cvt_f32_fp8_sdwa v34, v34 src0_sel:BYTE_0
	v_and_b32_e32 v29, 0xffff, v29
	s_waitcnt vmcnt(0)
	v_cvt_f32_fp8_sdwa v35, v35 src0_sel:BYTE_0
	v_fma_mixlo_f16 v30, v25, v30, 0
	v_fmac_f32_e32 v24, v39, v28
	s_waitcnt lgkmcnt(0)
	;;#ASMSTART
	v_cvt_f32_f16 v40, v40;
	;;#ASMEND
	;;#ASMSTART
	v_cvt_f32_f16 v29, v29;
	;;#ASMEND
	ds_read_u16 v41, v13 offset:12
	v_fma_mixlo_f16 v31, v25, v31, 0
	v_and_b32_e32 v30, 0xffff, v30
	v_fmac_f32_e32 v24, v40, v29
	s_waitcnt lgkmcnt(0)
	;;#ASMSTART
	v_cvt_f32_f16 v41, v41;
	;;#ASMEND
	;;#ASMSTART
	v_cvt_f32_f16 v30, v30;
	;;#ASMEND
	ds_read_u16 v42, v13 offset:14
	v_fma_mixlo_f16 v32, v25, v32, 0
	v_and_b32_e32 v31, 0xffff, v31
	v_fmac_f32_e32 v24, v41, v30
	s_waitcnt lgkmcnt(0)
	;;#ASMSTART
	v_cvt_f32_f16 v42, v42;
	;;#ASMEND
	;;#ASMSTART
	v_cvt_f32_f16 v31, v31;
	;;#ASMEND
	v_and_b32_e32 v32, 0xffff, v32
	v_fmac_f32_e32 v24, v42, v31
	v_fma_mixlo_f16 v33, v25, v33, 0
	v_fma_mixlo_f16 v34, v25, v34, 0
	ds_read_u16 v43, v13 offset:16
	v_fma_mixlo_f16 v25, v25, v35, 0
	s_waitcnt lgkmcnt(0)
	;;#ASMSTART
	v_cvt_f32_f16 v35, v43;
	;;#ASMEND
	;;#ASMSTART
	v_cvt_f32_f16 v32, v32;
	;;#ASMEND
	v_and_b32_e32 v33, 0xffff, v33
	v_fmac_f32_e32 v24, v35, v32
	ds_read_u16 v43, v13 offset:18
	s_waitcnt lgkmcnt(0)
	;;#ASMSTART
	v_cvt_f32_f16 v21, v43;
	;;#ASMEND
	;;#ASMSTART
	v_cvt_f32_f16 v22, v33;
	;;#ASMEND
	ds_read_u16 v26, v13 offset:20
	v_fmac_f32_e32 v24, v21, v22
	v_and_b32_e32 v34, 0xffff, v34
	s_waitcnt lgkmcnt(0)
	;;#ASMSTART
	v_cvt_f32_f16 v26, v26;
	;;#ASMEND
	;;#ASMSTART
	v_cvt_f32_f16 v27, v34;
	;;#ASMEND
	v_lshlrev_b32_e32 v23, 2, v23
	v_fmac_f32_e32 v24, v26, v27
	v_and_b32_e32 v25, 0xffff, v25
	ds_read_u16 v28, v13 offset:22
	s_waitcnt lgkmcnt(0)
	;;#ASMSTART
	v_cvt_f32_f16 v21, v28;
	;;#ASMEND
	;;#ASMSTART
	v_cvt_f32_f16 v22, v25;
	;;#ASMEND
	v_cmp_lt_i32_e64 s[0:1], v18, v12
	v_fmac_f32_e32 v24, v21, v22
	ds_bpermute_b32 v21, v23, v24
	v_cndmask_b32_e64 v22, v3, v18, s[0:1]
	v_lshlrev_b32_e32 v22, 2, v22
	v_cmp_lt_i32_e64 s[0:1], v19, v12
	s_waitcnt lgkmcnt(0)
	v_add_f32_e32 v21, v24, v21
	ds_bpermute_b32 v22, v22, v21
	v_cndmask_b32_e64 v23, v3, v19, s[0:1]
	s_waitcnt lgkmcnt(0)
	v_add_f32_e32 v21, v21, v22
	v_lshlrev_b32_e32 v22, 2, v23
	ds_bpermute_b32 v22, v22, v21
	s_and_saveexec_b64 s[42:43], vcc
	s_cbranch_execz .LBB257_9
; %bb.11:                               ;   in Loop: Header=BB257_10 Depth=1
	v_add_u32_e32 v23, s47, v15
	v_cvt_f32_i32_e32 v23, v23
	s_waitcnt lgkmcnt(0)
	v_add_f32_e32 v21, v21, v22
	v_cmp_gt_i32_e64 s[0:1], s29, v15
	v_max_f32_e32 v22, v1, v1
	v_mul_f32_e32 v23, s45, v23
	v_cndmask_b32_e64 v23, 0, v23, s[8:9]
	v_fmac_f32_e32 v23, s39, v21
	v_cndmask_b32_e64 v21, 0, v23, s[0:1]
	ds_write_b32 v16, v21
	v_max_f32_e32 v21, v22, v23
	v_cndmask_b32_e64 v1, v1, v21, s[0:1]
	s_branch .LBB257_9
.LBB257_12:
	s_or_b64 exec, exec, s[18:19]
.LBB257_13:
	s_or_b64 exec, exec, s[40:41]
	v_xor_b32_e32 v6, 32, v3
	v_cmp_lt_i32_e32 vcc, v6, v12
	v_xor_b32_e32 v8, 16, v3
	v_xor_b32_e32 v9, 8, v3
	v_cndmask_b32_e32 v6, v3, v6, vcc
	v_lshlrev_b32_e32 v7, 2, v6
	ds_bpermute_b32 v6, v7, v1
	v_max_f32_e32 v1, v1, v1
	v_cmp_lt_i32_e32 vcc, v8, v12
	s_waitcnt lgkmcnt(0)
	v_max_f32_e32 v6, v6, v6
	v_max_f32_e32 v1, v1, v6
	v_cndmask_b32_e32 v6, v3, v8, vcc
	v_lshlrev_b32_e32 v10, 2, v6
	ds_bpermute_b32 v6, v10, v1
	v_cmp_lt_i32_e32 vcc, v9, v12
	s_waitcnt lgkmcnt(0)
	v_max_f32_e32 v6, v6, v6
	v_max_f32_e32 v8, v1, v6
	v_cndmask_b32_e32 v1, v3, v9, vcc
	v_lshlrev_b32_e32 v11, 2, v1
	ds_bpermute_b32 v9, v11, v8
	v_and_b32_e32 v1, 63, v0
	v_cmp_eq_u32_e32 vcc, 0, v1
	v_lshlrev_b32_e32 v6, 2, v14
	s_and_saveexec_b64 s[0:1], vcc
	s_cbranch_execz .LBB257_15
; %bb.14:
	s_waitcnt lgkmcnt(0)
	v_max_f32_e32 v9, v9, v9
	v_max_f32_e32 v8, v8, v8
	;; [unrolled: 1-line block ×3, first 2 shown]
	ds_write_b32 v6, v8 offset:192
.LBB257_15:
	s_or_b64 exec, exec, s[0:1]
	v_cmp_gt_u32_e64 s[0:1], 2, v1
	v_mov_b32_e32 v8, 0xff7fffff
	s_waitcnt lgkmcnt(0)
	v_lshlrev_b32_e32 v9, 2, v1
	s_barrier
	s_and_saveexec_b64 s[8:9], s[0:1]
	s_cbranch_execz .LBB257_17
; %bb.16:
	ds_read_b32 v8, v9 offset:192
.LBB257_17:
	s_or_b64 exec, exec, s[8:9]
	v_xor_b32_e32 v13, 1, v3
	v_cmp_lt_i32_e64 s[8:9], v13, v12
	v_mov_b32_e32 v16, 0
	s_nop 0
	v_cndmask_b32_e64 v13, v3, v13, s[8:9]
	v_lshlrev_b32_e32 v13, 2, v13
	s_waitcnt lgkmcnt(0)
	ds_bpermute_b32 v15, v13, v8
	v_max_f32_e32 v8, v8, v8
	s_sub_i32 s8, s33, s38
	s_lshl_b32 s8, s8, 3
	s_add_i32 s8, s8, s44
	s_waitcnt lgkmcnt(0)
	v_max_f32_e32 v15, v15, v15
	v_max_f32_e32 v8, v8, v15
	v_lshlrev_b32_e32 v15, 2, v3
	v_and_b32_e32 v15, 0xffffff00, v15
	ds_bpermute_b32 v8, v15, v8
	s_min_i32 s41, s8, s29
	s_sub_i32 s40, s41, s44
	v_cmp_gt_i32_e64 s[8:9], s40, v0
	s_and_saveexec_b64 s[18:19], s[8:9]
	s_cbranch_execz .LBB257_21
; %bb.18:
	v_mov_b32_e32 v16, 0xd0
	v_lshl_add_u32 v17, v0, 2, v16
	s_mov_b64 s[38:39], 0
	v_mov_b32_e32 v16, 0
	v_mov_b32_e32 v18, v0
.LBB257_19:                             ; =>This Inner Loop Header: Depth=1
	ds_read_b32 v19, v17
	v_add_u32_e32 v18, 0x80, v18
	v_cmp_le_i32_e64 s[12:13], s40, v18
	s_or_b64 s[38:39], s[12:13], s[38:39]
	s_waitcnt lgkmcnt(0)
	v_sub_f32_e32 v19, v19, v8
	v_mul_f32_e32 v19, 0x3fb8aa3b, v19
	v_exp_f32_e32 v19, v19
	ds_write_b32 v17, v19
	v_add_f32_e32 v16, v16, v19
	v_add_u32_e32 v17, 0x200, v17
	s_andn2_b64 exec, exec, s[38:39]
	s_cbranch_execnz .LBB257_19
; %bb.20:
	s_or_b64 exec, exec, s[38:39]
.LBB257_21:
	s_or_b64 exec, exec, s[18:19]
	ds_bpermute_b32 v7, v7, v16
	s_waitcnt lgkmcnt(0)
	v_add_f32_e32 v7, v16, v7
	ds_bpermute_b32 v10, v10, v7
	s_waitcnt lgkmcnt(0)
	v_add_f32_e32 v7, v7, v10
	ds_bpermute_b32 v10, v11, v7
	v_xor_b32_e32 v11, 4, v3
	v_cmp_lt_i32_e64 s[12:13], v11, v12
	s_waitcnt lgkmcnt(0)
	v_add_f32_e32 v7, v7, v10
	v_cndmask_b32_e64 v11, v3, v11, s[12:13]
	v_lshlrev_b32_e32 v11, 2, v11
	ds_bpermute_b32 v10, v11, v7
	v_xor_b32_e32 v11, 2, v3
	v_cmp_lt_i32_e64 s[12:13], v11, v12
	s_waitcnt lgkmcnt(0)
	v_add_f32_e32 v7, v7, v10
	v_cndmask_b32_e64 v3, v3, v11, s[12:13]
	v_lshlrev_b32_e32 v3, 2, v3
	ds_bpermute_b32 v3, v3, v7
	s_waitcnt lgkmcnt(0)
	v_add_f32_e32 v3, v7, v3
	ds_bpermute_b32 v7, v13, v3
	s_waitcnt lgkmcnt(0)
	v_add_f32_e32 v3, v3, v7
	s_and_saveexec_b64 s[12:13], vcc
	s_cbranch_execz .LBB257_23
; %bb.22:
	ds_write_b32 v6, v3 offset:200
.LBB257_23:
	s_or_b64 exec, exec, s[12:13]
	s_waitcnt lgkmcnt(0)
	s_barrier
	s_and_saveexec_b64 s[12:13], s[0:1]
	s_cbranch_execz .LBB257_25
; %bb.24:
	ds_read_b32 v3, v9 offset:200
.LBB257_25:
	s_or_b64 exec, exec, s[12:13]
	s_waitcnt lgkmcnt(0)
	ds_bpermute_b32 v6, v13, v3
	s_waitcnt lgkmcnt(0)
	v_add_f32_e32 v3, v3, v6
	ds_bpermute_b32 v3, v15, v3
	s_and_saveexec_b64 s[0:1], s[8:9]
	s_cbranch_execz .LBB257_38
; %bb.26:
	s_waitcnt lgkmcnt(0)
	v_add_f32_e32 v6, 0x358637bd, v3
	v_div_scale_f32 v7, s[8:9], v6, v6, 1.0
	v_rcp_f32_e32 v9, v7
	v_div_scale_f32 v10, vcc, 1.0, v6, 1.0
	s_movk_i32 s8, 0x7f
	v_fma_f32 v11, -v7, v9, 1.0
	v_fmac_f32_e32 v9, v11, v9
	v_mul_f32_e32 v11, v10, v9
	v_fma_f32 v12, -v7, v11, v10
	v_fmac_f32_e32 v11, v12, v9
	v_fma_f32 v7, -v7, v11, v10
	v_div_fmas_f32 v7, v7, v9, v11
	v_div_fixup_f32 v6, v7, v6, 1.0
	v_xad_u32 v7, v0, -1, s41
	v_subrev_u32_e32 v9, s44, v7
	v_cmp_lt_u32_e32 vcc, s8, v9
	s_mov_b64 s[12:13], -1
	v_mov_b32_e32 v7, v0
	s_and_saveexec_b64 s[8:9], vcc
	s_cbranch_execz .LBB257_35
; %bb.27:
	v_lshrrev_b32_e32 v9, 7, v9
	v_add_u32_e32 v11, -1, v9
	v_lshrrev_b32_e32 v10, 1, v11
	v_mov_b32_e32 v7, v6
	v_add_u32_e32 v10, 1, v10
	v_cmp_lt_u32_e32 vcc, 13, v11
	v_mov_b32_e32 v13, 0
	s_and_saveexec_b64 s[12:13], vcc
	s_cbranch_execz .LBB257_31
; %bb.28:
	v_mov_b32_e32 v12, 0xd0
	v_and_b32_e32 v11, -8, v10
	v_lshl_add_u32 v12, v0, 2, v12
	s_mov_b32 s38, 0
	s_mov_b64 s[18:19], 0
.LBB257_29:                             ; =>This Inner Loop Header: Depth=1
	ds_read2st64_b32 v[16:17], v12 offset1:2
	ds_read2st64_b32 v[18:19], v12 offset0:4 offset1:6
	ds_read2st64_b32 v[20:21], v12 offset0:8 offset1:10
	;; [unrolled: 1-line block ×3, first 2 shown]
	v_add_u32_e32 v11, -8, v11
	s_waitcnt lgkmcnt(3)
	v_pk_mul_f32 v[16:17], v[6:7], v[16:17]
	s_waitcnt lgkmcnt(2)
	v_pk_mul_f32 v[18:19], v[6:7], v[18:19]
	ds_write2st64_b32 v12, v16, v17 offset1:2
	ds_write2st64_b32 v12, v18, v19 offset0:4 offset1:6
	ds_read2st64_b32 v[18:19], v12 offset0:16 offset1:18
	s_waitcnt lgkmcnt(4)
	v_pk_mul_f32 v[16:17], v[6:7], v[20:21]
	ds_write2st64_b32 v12, v16, v17 offset0:8 offset1:10
	s_waitcnt lgkmcnt(4)
	v_pk_mul_f32 v[16:17], v[6:7], v[22:23]
	ds_write2st64_b32 v12, v16, v17 offset0:12 offset1:14
	ds_read2st64_b32 v[16:17], v12 offset0:20 offset1:22
	s_waitcnt lgkmcnt(3)
	v_pk_mul_f32 v[18:19], v[6:7], v[18:19]
	ds_read2st64_b32 v[20:21], v12 offset0:24 offset1:26
	ds_write2st64_b32 v12, v18, v19 offset0:16 offset1:18
	ds_read2st64_b32 v[18:19], v12 offset0:28 offset1:30
	s_waitcnt lgkmcnt(3)
	v_pk_mul_f32 v[16:17], v[6:7], v[16:17]
	ds_write2st64_b32 v12, v16, v17 offset0:20 offset1:22
	s_waitcnt lgkmcnt(3)
	v_pk_mul_f32 v[16:17], v[6:7], v[20:21]
	ds_write2st64_b32 v12, v16, v17 offset0:24 offset1:26
	s_waitcnt lgkmcnt(2)
	v_pk_mul_f32 v[16:17], v[6:7], v[18:19]
	s_add_i32 s38, s38, 16
	v_cmp_eq_u32_e32 vcc, 0, v11
	ds_write2st64_b32 v12, v16, v17 offset0:28 offset1:30
	v_add_u32_e32 v12, 0x2000, v12
	s_or_b64 s[18:19], vcc, s[18:19]
	v_mov_b32_e32 v13, s38
	s_andn2_b64 exec, exec, s[18:19]
	s_cbranch_execnz .LBB257_29
; %bb.30:
	s_or_b64 exec, exec, s[18:19]
.LBB257_31:
	s_or_b64 exec, exec, s[12:13]
	v_and_b32_e32 v10, 7, v10
	v_cmp_ne_u32_e32 vcc, 0, v10
	s_and_saveexec_b64 s[12:13], vcc
	s_cbranch_execz .LBB257_34
; %bb.32:
	v_lshlrev_b32_e32 v11, 9, v13
	v_lshlrev_b32_e32 v12, 2, v0
	s_movk_i32 s18, 0xd0
	v_add3_u32 v11, v11, v12, s18
	s_mov_b64 s[18:19], 0
.LBB257_33:                             ; =>This Inner Loop Header: Depth=1
	ds_read2st64_b32 v[12:13], v11 offset1:2
	v_add_u32_e32 v10, -1, v10
	v_cmp_eq_u32_e32 vcc, 0, v10
	s_or_b64 s[18:19], vcc, s[18:19]
	s_waitcnt lgkmcnt(0)
	v_pk_mul_f32 v[12:13], v[6:7], v[12:13]
	ds_write2st64_b32 v11, v12, v13 offset1:2
	v_add_u32_e32 v11, 0x400, v11
	s_andn2_b64 exec, exec, s[18:19]
	s_cbranch_execnz .LBB257_33
.LBB257_34:
	s_or_b64 exec, exec, s[12:13]
	v_add_u32_e32 v9, 1, v9
	v_and_b32_e32 v10, 0x3fffffe, v9
	v_cmp_ne_u32_e32 vcc, v9, v10
	v_lshl_add_u32 v7, v10, 7, v0
	s_orn2_b64 s[12:13], vcc, exec
.LBB257_35:
	s_or_b64 exec, exec, s[8:9]
	s_and_b64 exec, exec, s[12:13]
	s_cbranch_execz .LBB257_38
; %bb.36:
	v_mov_b32_e32 v9, 0xd0
	v_lshl_add_u32 v9, v7, 2, v9
	s_mov_b64 s[8:9], 0
.LBB257_37:                             ; =>This Inner Loop Header: Depth=1
	ds_read_b32 v10, v9
	v_add_u32_e32 v7, 0x80, v7
	v_cmp_le_i32_e32 vcc, s40, v7
	s_or_b64 s[8:9], vcc, s[8:9]
	s_waitcnt lgkmcnt(0)
	v_mul_f32_e32 v10, v6, v10
	ds_write_b32 v9, v10
	v_add_u32_e32 v9, 0x200, v9
	s_andn2_b64 exec, exec, s[8:9]
	s_cbranch_execnz .LBB257_37
.LBB257_38:
	s_or_b64 exec, exec, s[0:1]
	s_mul_i32 s1, s25, s28
	s_mov_b32 s0, 0
	v_cmp_eq_u32_e32 vcc, 0, v0
	s_mul_i32 s8, s1, s5
	s_waitcnt lgkmcnt(0)
	s_barrier
	s_and_saveexec_b64 s[12:13], vcc
	s_cbranch_execz .LBB257_40
; %bb.39:
	s_ashr_i32 s9, s8, 31
	s_lshl_b64 s[18:19], s[8:9], 2
	s_add_u32 s1, s22, s18
	s_mul_i32 s22, s25, s2
	s_addc_u32 s5, s23, s19
	s_ashr_i32 s23, s22, 31
	s_lshl_b64 s[22:23], s[22:23], 2
	s_add_u32 s1, s1, s22
	s_addc_u32 s2, s5, s23
	s_ashr_i32 s5, s4, 31
	s_lshl_b64 s[38:39], s[4:5], 2
	s_add_u32 s40, s1, s38
	s_addc_u32 s41, s2, s39
	s_add_u32 s1, s20, s18
	s_addc_u32 s2, s21, s19
	;; [unrolled: 2-line block ×3, first 2 shown]
	s_add_u32 s18, s1, s38
	v_mov_b32_e32 v6, 0
	s_addc_u32 s19, s2, s39
	global_store_dword v6, v8, s[40:41]
	global_store_dword v6, v3, s[18:19]
.LBB257_40:
	s_or_b64 exec, exec, s[12:13]
	s_mov_b32 s1, s0
	v_mov_b64_e32 v[6:7], s[0:1]
	s_and_saveexec_b64 s[12:13], s[6:7]
	s_cbranch_execz .LBB257_178
; %bb.41:
	s_ashr_i32 s1, s16, 31
	s_add_u32 s0, s36, s16
	s_addc_u32 s1, s37, s1
	s_add_i32 s9, s3, -1
	s_lshl_b64 s[6:7], s[34:35], 2
	s_mov_b32 s2, 0
	v_or_b32_e32 v3, 64, v1
	s_movk_i32 s3, 0x60
	s_add_u32 s6, s30, s6
	v_mov_b32_e32 v11, 0
	v_cmp_gt_u32_e32 vcc, s3, v3
	v_mov_b32_e32 v6, 0xd0
	s_addc_u32 s7, s31, s7
	s_mov_b32 s3, s2
	s_mov_b32 s5, s17
	v_lshlrev_b32_e32 v8, 3, v1
	v_mov_b32_e32 v9, v11
	v_lshlrev_b32_e32 v12, 3, v3
	v_mov_b32_e32 v13, v11
	s_mov_b32 s28, s29
	v_lshl_add_u32 v3, v14, 3, s44
	v_lshl_add_u32 v28, v14, 5, v6
	v_lshl_add_u64 v[14:15], v[4:5], 2, s[6:7]
	s_mov_b64 s[6:7], 0
	v_mov_b64_e32 v[6:7], s[2:3]
	v_mov_b64_e32 v[16:17], s[0:1]
	s_movk_i32 s30, 0x7f
	s_movk_i32 s31, 0x80
	s_mov_b32 s34, 0x8000
	s_movk_i32 s35, 0x380
	s_mov_b32 s36, 0x3020706
	s_mov_b32 s37, 0x1000504
	;; [unrolled: 1-line block ×3, first 2 shown]
	v_mov_b32_e32 v5, 0x1c00
	s_branch .LBB257_44
.LBB257_42:                             ;   in Loop: Header=BB257_44 Depth=1
	s_or_b64 exec, exec, s[18:19]
	;;#ASMSTART
	v_pk_mul_f16 v20, v30, v21;

	;;#ASMEND
	;;#ASMSTART
	v_pk_mul_f16 v10, v29, v10;

	;;#ASMEND
	;; [unrolled: 4-line block ×4, first 2 shown]
	s_nop 0
	;;#ASMSTART
	v_pk_add_f16 v10, v20, v10;

	;;#ASMEND
	s_nop 0
	;;#ASMSTART
	v_pk_add_f16 v10, v10, v19;

	;;#ASMEND
	;; [unrolled: 5-line block ×3, first 2 shown]
	s_nop 0
	v_lshrrev_b32_e32 v18, 16, v10
	v_and_b32_e32 v10, 0xffff, v10
	;;#ASMSTART
	v_cvt_f32_f16 v10, v10;
	;;#ASMEND
	;;#ASMSTART
	v_cvt_f32_f16 v18, v18;
	;;#ASMEND
	s_nop 0
	v_add_f32_e32 v10, v10, v18
	v_add_f32_e32 v7, v7, v10
.LBB257_43:                             ;   in Loop: Header=BB257_44 Depth=1
	s_or_b64 exec, exec, s[16:17]
	v_add_u32_e32 v4, 2, v4
	v_cmp_le_i32_e64 s[0:1], s33, v4
	v_add_u32_e32 v3, 16, v3
	v_add_u32_e32 v28, 64, v28
	s_or_b64 s[6:7], s[0:1], s[6:7]
	v_lshl_add_u64 v[14:15], v[14:15], 0, 8
	s_andn2_b64 exec, exec, s[6:7]
	s_cbranch_execz .LBB257_177
.LBB257_44:                             ; =>This Inner Loop Header: Depth=1
	ds_read2_b64 v[22:25], v28 offset1:1
	ds_read2_b64 v[34:37], v28 offset0:2 offset1:3
                                        ; implicit-def: $sgpr18
	s_waitcnt lgkmcnt(1)
	;;#ASMSTART
	v_cvt_f16_f32 v21, v22;

	;;#ASMEND
	;;#ASMSTART
	v_cvt_f16_f32 v29, v23;

	;;#ASMEND
	;; [unrolled: 4-line block ×4, first 2 shown]
	s_waitcnt lgkmcnt(0)
	;;#ASMSTART
	v_cvt_f16_f32 v33, v34;

	;;#ASMEND
	;;#ASMSTART
	v_cvt_f16_f32 v34, v35;

	;;#ASMEND
	;; [unrolled: 4-line block ×4, first 2 shown]
	global_load_dword v10, v[14:15], off
	s_waitcnt vmcnt(0)
	v_mad_i64_i32 v[18:19], s[0:1], v10, s5, v[16:17]
	v_lshl_add_u64 v[24:25], v[18:19], 0, v[8:9]
	global_load_dwordx2 v[22:23], v[24:25], off
	global_load_dword v20, v11, s[14:15]
	s_mov_b64 s[0:1], 0
	s_waitcnt vmcnt(1)
	v_cmp_gt_i16_sdwa s[2:3], v22, s30 src0_sel:BYTE_0 src1_sel:DWORD
	s_and_saveexec_b64 s[16:17], s[2:3]
	s_xor_b64 s[2:3], exec, s[16:17]
	s_cbranch_execnz .LBB257_113
; %bb.45:                               ;   in Loop: Header=BB257_44 Depth=1
	s_or_saveexec_b64 s[2:3], s[2:3]
	v_mov_b32_e32 v24, s18
	s_xor_b64 exec, exec, s[2:3]
	s_cbranch_execnz .LBB257_116
.LBB257_46:                             ;   in Loop: Header=BB257_44 Depth=1
	s_or_b64 exec, exec, s[2:3]
	s_and_saveexec_b64 s[2:3], s[0:1]
	s_cbranch_execz .LBB257_48
.LBB257_47:                             ;   in Loop: Header=BB257_44 Depth=1
	v_and_b32_e32 v10, 7, v22
	v_ffbh_u32_e32 v10, v10
	v_bfe_u32 v24, v22, 3, 4
	v_min_u32_e32 v10, 32, v10
	v_subrev_u32_e32 v25, 28, v10
	v_sub_u32_e32 v10, 29, v10
	v_cmp_eq_u32_e64 s[0:1], 0, v24
	s_nop 1
	v_cndmask_b32_e64 v10, v24, v10, s[0:1]
	v_cndmask_b32_e64 v24, 0, v25, s[0:1]
	v_lshlrev_b64 v[24:25], v24, v[22:23]
	v_lshlrev_b32_e32 v25, 8, v22
	v_lshl_add_u32 v10, v10, 10, v5
	v_lshlrev_b32_e32 v24, 7, v24
	v_and_or_b32 v10, v25, s34, v10
	v_and_or_b32 v10, v24, s35, v10
	v_cvt_f32_f16_e32 v24, v10
.LBB257_48:                             ;   in Loop: Header=BB257_44 Depth=1
	s_or_b64 exec, exec, s[2:3]
	v_lshrrev_b16_e32 v10, 8, v22
	v_cmp_lt_i16_e64 s[0:1], s30, v10
	s_mov_b64 s[2:3], 0
                                        ; implicit-def: $sgpr20
	s_and_saveexec_b64 s[16:17], s[0:1]
	s_xor_b64 s[16:17], exec, s[16:17]
	s_cbranch_execnz .LBB257_117
; %bb.49:                               ;   in Loop: Header=BB257_44 Depth=1
	s_or_saveexec_b64 s[16:17], s[16:17]
	v_mov_b32_e32 v26, s20
	s_xor_b64 exec, exec, s[16:17]
	s_cbranch_execnz .LBB257_120
.LBB257_50:                             ;   in Loop: Header=BB257_44 Depth=1
	s_or_b64 exec, exec, s[16:17]
	s_and_saveexec_b64 s[16:17], s[2:3]
	s_cbranch_execz .LBB257_52
.LBB257_51:                             ;   in Loop: Header=BB257_44 Depth=1
	v_and_b32_e32 v25, 7, v10
	v_ffbh_u32_e32 v26, v25
	v_min_u32_e32 v37, 32, v26
	v_subrev_u32_e32 v26, 28, v37
	v_bfe_u32 v30, v10, 3, 4
	v_lshlrev_b64 v[26:27], v26, v[10:11]
	v_sub_u32_e32 v27, 29, v37
	v_cmp_eq_u32_e64 s[0:1], 0, v30
	v_and_b32_e32 v26, 7, v26
	v_lshlrev_b32_e32 v10, 8, v10
	v_cndmask_b32_e64 v27, v30, v27, s[0:1]
	v_cndmask_b32_e64 v25, v25, v26, s[0:1]
	v_lshl_add_u32 v26, v27, 10, v5
	v_and_or_b32 v10, v10, s34, v26
	v_lshl_or_b32 v10, v25, 7, v10
	v_cvt_f32_f16_e32 v26, v10
.LBB257_52:                             ;   in Loop: Header=BB257_44 Depth=1
	s_or_b64 exec, exec, s[16:17]
	v_lshrrev_b32_e32 v10, 16, v22
	v_cmp_gt_i16_sdwa s[2:3], v10, s30 src0_sel:BYTE_0 src1_sel:DWORD
	s_mov_b64 s[0:1], 0
                                        ; implicit-def: $sgpr18
	s_and_saveexec_b64 s[16:17], s[2:3]
	s_xor_b64 s[2:3], exec, s[16:17]
	s_cbranch_execnz .LBB257_121
; %bb.53:                               ;   in Loop: Header=BB257_44 Depth=1
	s_or_saveexec_b64 s[2:3], s[2:3]
	v_mov_b32_e32 v25, s18
	s_xor_b64 exec, exec, s[2:3]
	s_cbranch_execnz .LBB257_124
.LBB257_54:                             ;   in Loop: Header=BB257_44 Depth=1
	s_or_b64 exec, exec, s[2:3]
	s_and_saveexec_b64 s[2:3], s[0:1]
	s_cbranch_execz .LBB257_56
.LBB257_55:                             ;   in Loop: Header=BB257_44 Depth=1
	v_bfe_u32 v25, v22, 16, 3
	v_ffbh_u32_e32 v30, v25
	v_bfe_u32 v27, v22, 19, 4
	v_min_u32_e32 v30, 32, v30
	v_subrev_u32_e32 v37, 28, v30
	v_sub_u32_e32 v30, 29, v30
	v_cmp_eq_u32_e64 s[0:1], 0, v27
	v_lshlrev_b64 v[38:39], v37, v[10:11]
	v_and_b32_e32 v37, 7, v38
	v_cndmask_b32_e64 v27, v27, v30, s[0:1]
	v_lshlrev_b32_e32 v10, 8, v10
	v_lshl_add_u32 v27, v27, 10, v5
	v_cndmask_b32_e64 v25, v25, v37, s[0:1]
	v_and_or_b32 v10, v10, s34, v27
	v_lshl_or_b32 v10, v25, 7, v10
	v_cvt_f32_f16_e32 v25, v10
.LBB257_56:                             ;   in Loop: Header=BB257_44 Depth=1
	s_or_b64 exec, exec, s[2:3]
	v_lshrrev_b32_e32 v10, 24, v22
	v_cmp_lt_i16_e64 s[0:1], s30, v10
	s_mov_b64 s[2:3], 0
                                        ; implicit-def: $sgpr20
	s_and_saveexec_b64 s[16:17], s[0:1]
	s_xor_b64 s[16:17], exec, s[16:17]
	s_cbranch_execnz .LBB257_125
; %bb.57:                               ;   in Loop: Header=BB257_44 Depth=1
	s_or_saveexec_b64 s[16:17], s[16:17]
	v_mov_b32_e32 v27, s20
	s_xor_b64 exec, exec, s[16:17]
	s_cbranch_execnz .LBB257_128
.LBB257_58:                             ;   in Loop: Header=BB257_44 Depth=1
	s_or_b64 exec, exec, s[16:17]
	s_and_saveexec_b64 s[16:17], s[2:3]
	s_cbranch_execz .LBB257_60
.LBB257_59:                             ;   in Loop: Header=BB257_44 Depth=1
	v_bfe_u32 v27, v22, 24, 3
	v_ffbh_u32_e32 v30, v27
	v_bfe_u32 v22, v22, 27, 4
	v_min_u32_e32 v30, 32, v30
	v_subrev_u32_e32 v37, 28, v30
	v_sub_u32_e32 v30, 29, v30
	v_cmp_eq_u32_e64 s[0:1], 0, v22
	v_lshlrev_b64 v[38:39], v37, v[10:11]
	v_and_b32_e32 v37, 7, v38
	v_cndmask_b32_e64 v22, v22, v30, s[0:1]
	v_lshlrev_b32_e32 v10, 8, v10
	v_lshl_add_u32 v22, v22, 10, v5
	v_cndmask_b32_e64 v27, v27, v37, s[0:1]
	v_and_or_b32 v10, v10, s34, v22
	v_lshl_or_b32 v10, v27, 7, v10
	v_cvt_f32_f16_e32 v27, v10
.LBB257_60:                             ;   in Loop: Header=BB257_44 Depth=1
	s_or_b64 exec, exec, s[16:17]
	v_cmp_gt_i16_sdwa s[2:3], v23, s30 src0_sel:BYTE_0 src1_sel:DWORD
	s_mov_b64 s[0:1], 0
                                        ; implicit-def: $sgpr18
	s_and_saveexec_b64 s[16:17], s[2:3]
	s_xor_b64 s[2:3], exec, s[16:17]
	s_cbranch_execnz .LBB257_129
; %bb.61:                               ;   in Loop: Header=BB257_44 Depth=1
	s_or_saveexec_b64 s[2:3], s[2:3]
	v_mov_b32_e32 v22, s18
	s_xor_b64 exec, exec, s[2:3]
	s_cbranch_execnz .LBB257_132
.LBB257_62:                             ;   in Loop: Header=BB257_44 Depth=1
	s_or_b64 exec, exec, s[2:3]
	v_mov_b32_e32 v10, v23
	s_and_saveexec_b64 s[2:3], s[0:1]
	s_cbranch_execz .LBB257_64
.LBB257_63:                             ;   in Loop: Header=BB257_44 Depth=1
	v_and_b32_e32 v22, 7, v23
	v_ffbh_u32_e32 v22, v22
	v_bfe_u32 v30, v23, 3, 4
	v_min_u32_e32 v22, 32, v22
	v_subrev_u32_e32 v37, 28, v22
	v_sub_u32_e32 v22, 29, v22
	v_cmp_eq_u32_e64 s[0:1], 0, v30
	s_nop 1
	v_cndmask_b32_e64 v22, v30, v22, s[0:1]
	v_cndmask_b32_e64 v30, 0, v37, s[0:1]
	v_lshlrev_b64 v[38:39], v30, v[10:11]
	v_lshlrev_b32_e32 v37, 8, v23
	v_lshl_add_u32 v22, v22, 10, v5
	v_lshlrev_b32_e32 v30, 7, v38
	v_and_or_b32 v22, v37, s34, v22
	v_and_or_b32 v22, v30, s35, v22
	v_cvt_f32_f16_e32 v22, v22
.LBB257_64:                             ;   in Loop: Header=BB257_44 Depth=1
	s_or_b64 exec, exec, s[2:3]
	v_lshrrev_b16_e32 v10, 8, v10
	v_cmp_lt_i16_e64 s[0:1], s30, v10
	s_mov_b64 s[2:3], 0
                                        ; implicit-def: $sgpr20
	s_and_saveexec_b64 s[16:17], s[0:1]
	s_xor_b64 s[16:17], exec, s[16:17]
	s_cbranch_execnz .LBB257_133
; %bb.65:                               ;   in Loop: Header=BB257_44 Depth=1
	s_or_saveexec_b64 s[16:17], s[16:17]
	v_mov_b32_e32 v30, s20
	s_xor_b64 exec, exec, s[16:17]
	s_cbranch_execnz .LBB257_136
.LBB257_66:                             ;   in Loop: Header=BB257_44 Depth=1
	s_or_b64 exec, exec, s[16:17]
	s_and_saveexec_b64 s[16:17], s[2:3]
	s_cbranch_execz .LBB257_68
.LBB257_67:                             ;   in Loop: Header=BB257_44 Depth=1
	v_and_b32_e32 v30, 7, v10
	v_ffbh_u32_e32 v38, v30
	v_min_u32_e32 v40, 32, v38
	v_subrev_u32_e32 v38, 28, v40
	v_bfe_u32 v37, v10, 3, 4
	v_lshlrev_b64 v[38:39], v38, v[10:11]
	v_sub_u32_e32 v39, 29, v40
	v_cmp_eq_u32_e64 s[0:1], 0, v37
	v_and_b32_e32 v38, 7, v38
	v_lshlrev_b32_e32 v10, 8, v10
	v_cndmask_b32_e64 v37, v37, v39, s[0:1]
	v_lshl_add_u32 v37, v37, 10, v5
	v_cndmask_b32_e64 v30, v30, v38, s[0:1]
	v_and_or_b32 v10, v10, s34, v37
	v_lshl_or_b32 v10, v30, 7, v10
	v_cvt_f32_f16_e32 v30, v10
.LBB257_68:                             ;   in Loop: Header=BB257_44 Depth=1
	s_or_b64 exec, exec, s[16:17]
	v_lshrrev_b32_e32 v10, 16, v23
	v_cmp_gt_i16_sdwa s[2:3], v10, s30 src0_sel:BYTE_0 src1_sel:DWORD
	s_mov_b64 s[0:1], 0
                                        ; implicit-def: $sgpr18
	s_and_saveexec_b64 s[16:17], s[2:3]
	s_xor_b64 s[2:3], exec, s[16:17]
	s_cbranch_execnz .LBB257_137
; %bb.69:                               ;   in Loop: Header=BB257_44 Depth=1
	s_or_saveexec_b64 s[2:3], s[2:3]
	v_mov_b32_e32 v37, s18
	s_xor_b64 exec, exec, s[2:3]
	s_cbranch_execnz .LBB257_140
.LBB257_70:                             ;   in Loop: Header=BB257_44 Depth=1
	s_or_b64 exec, exec, s[2:3]
	s_and_saveexec_b64 s[2:3], s[0:1]
	s_cbranch_execz .LBB257_72
.LBB257_71:                             ;   in Loop: Header=BB257_44 Depth=1
	v_bfe_u32 v37, v23, 16, 3
	v_ffbh_u32_e32 v38, v37
	v_min_u32_e32 v41, 32, v38
	v_subrev_u32_e32 v38, 28, v41
	v_bfe_u32 v40, v23, 19, 4
	v_lshlrev_b64 v[38:39], v38, v[10:11]
	v_sub_u32_e32 v39, 29, v41
	v_cmp_eq_u32_e64 s[0:1], 0, v40
	v_and_b32_e32 v38, 7, v38
	v_lshlrev_b32_e32 v10, 8, v10
	v_cndmask_b32_e64 v39, v40, v39, s[0:1]
	v_cndmask_b32_e64 v37, v37, v38, s[0:1]
	v_lshl_add_u32 v38, v39, 10, v5
	v_and_or_b32 v10, v10, s34, v38
	v_lshl_or_b32 v10, v37, 7, v10
	v_cvt_f32_f16_e32 v37, v10
.LBB257_72:                             ;   in Loop: Header=BB257_44 Depth=1
	s_or_b64 exec, exec, s[2:3]
	v_lshrrev_b32_e32 v10, 24, v23
	v_cmp_lt_i16_e64 s[0:1], s30, v10
	s_mov_b64 s[2:3], 0
                                        ; implicit-def: $sgpr20
	s_and_saveexec_b64 s[16:17], s[0:1]
	s_xor_b64 s[16:17], exec, s[16:17]
	s_cbranch_execnz .LBB257_141
; %bb.73:                               ;   in Loop: Header=BB257_44 Depth=1
	s_or_saveexec_b64 s[16:17], s[16:17]
	v_mov_b32_e32 v38, s20
	s_xor_b64 exec, exec, s[16:17]
	s_cbranch_execnz .LBB257_144
.LBB257_74:                             ;   in Loop: Header=BB257_44 Depth=1
	s_or_b64 exec, exec, s[16:17]
	s_and_saveexec_b64 s[16:17], s[2:3]
	s_cbranch_execz .LBB257_76
.LBB257_75:                             ;   in Loop: Header=BB257_44 Depth=1
	v_bfe_u32 v40, v23, 24, 3
	v_ffbh_u32_e32 v38, v40
	v_min_u32_e32 v41, 32, v38
	v_subrev_u32_e32 v38, 28, v41
	v_bfe_u32 v23, v23, 27, 4
	v_lshlrev_b64 v[38:39], v38, v[10:11]
	v_sub_u32_e32 v39, 29, v41
	v_cmp_eq_u32_e64 s[0:1], 0, v23
	v_and_b32_e32 v38, 7, v38
	v_lshlrev_b32_e32 v10, 8, v10
	v_cndmask_b32_e64 v23, v23, v39, s[0:1]
	v_lshl_add_u32 v23, v23, 10, v5
	v_cndmask_b32_e64 v38, v40, v38, s[0:1]
	v_and_or_b32 v10, v10, s34, v23
	v_lshl_or_b32 v10, v38, 7, v10
	v_cvt_f32_f16_e32 v38, v10
.LBB257_76:                             ;   in Loop: Header=BB257_44 Depth=1
	s_or_b64 exec, exec, s[16:17]
	s_waitcnt vmcnt(0)
	v_pk_mul_f32 v[26:27], v[20:21], v[26:27] op_sel_hi:[0,1]
	v_pk_mul_f32 v[24:25], v[20:21], v[24:25] op_sel_hi:[0,1]
	v_cvt_f16_f32_e32 v10, v27
	v_cvt_f16_f32_e32 v23, v26
	;; [unrolled: 1-line block ×4, first 2 shown]
	v_fma_mixlo_f16 v22, v20, v22, 0
	v_pack_b32_f16 v23, v23, v10
	v_cmp_eq_u32_e64 s[2:3], s9, v4
	v_pack_b32_f16 v24, v24, v25
	v_perm_b32 v10, v24, v23, s36
	v_perm_b32 v23, v24, v23, s37
	v_fma_mixlo_f16 v24, v20, v30, 0
	v_lshlrev_b32_e32 v24, 16, v24
	v_or_b32_sdwa v22, v24, v22 dst_sel:DWORD dst_unused:UNUSED_PAD src0_sel:DWORD src1_sel:WORD_0
	v_fma_mixlo_f16 v24, v20, v37, 0
	v_fma_mixlo_f16 v20, v20, v38, 0
	v_lshlrev_b32_e32 v20, 16, v20
	v_or_b32_sdwa v20, v20, v24 dst_sel:DWORD dst_unused:UNUSED_PAD src0_sel:DWORD src1_sel:WORD_0
	s_and_saveexec_b64 s[16:17], s[2:3]
	s_cbranch_execz .LBB257_78
; %bb.77:                               ;   in Loop: Header=BB257_44 Depth=1
	v_add_u32_e32 v25, 1, v3
	v_lshrrev_b32_e32 v26, 16, v23
	v_cmp_gt_i32_e64 s[0:1], s28, v25
	v_lshrrev_b32_e32 v27, 16, v10
	v_lshrrev_b32_e32 v20, 16, v20
	v_cndmask_b32_e64 v25, 0, v26, s[0:1]
	v_cmp_gt_i32_e64 s[0:1], s29, v3
	v_or_b32_e32 v26, 2, v3
	s_nop 0
	v_cndmask_b32_e64 v23, 0, v23, s[0:1]
	v_perm_b32 v23, v25, v23, s38
	v_or_b32_e32 v25, 3, v3
	v_cmp_gt_i32_e64 s[0:1], s28, v25
	s_nop 1
	v_cndmask_b32_e64 v25, 0, v27, s[0:1]
	v_cmp_gt_i32_e64 s[0:1], s29, v26
	v_or_b32_e32 v26, 4, v3
	v_lshrrev_b32_e32 v27, 16, v22
	v_cndmask_b32_e64 v10, 0, v10, s[0:1]
	v_perm_b32 v10, v25, v10, s38
	v_or_b32_e32 v25, 5, v3
	v_cmp_gt_i32_e64 s[0:1], s28, v25
	s_nop 1
	v_cndmask_b32_e64 v25, 0, v27, s[0:1]
	v_cmp_gt_i32_e64 s[0:1], s29, v26
	v_or_b32_e32 v26, 6, v3
	s_nop 0
	v_cndmask_b32_e64 v22, 0, v22, s[0:1]
	v_perm_b32 v22, v25, v22, s38
	v_or_b32_e32 v25, 7, v3
	v_cmp_gt_i32_e64 s[0:1], s28, v25
	s_nop 1
	v_cndmask_b32_e64 v20, 0, v20, s[0:1]
	v_cmp_gt_i32_e64 s[0:1], s29, v26
	s_nop 1
	v_cndmask_b32_e64 v24, 0, v24, s[0:1]
	v_perm_b32 v20, v20, v24, s38
.LBB257_78:                             ;   in Loop: Header=BB257_44 Depth=1
	s_or_b64 exec, exec, s[16:17]
	v_and_b32_e32 v21, 0xffff, v21
	v_lshl_or_b32 v30, v29, 16, v21
	v_and_b32_e32 v21, 0xffff, v31
	v_lshl_or_b32 v29, v32, 16, v21
	;; [unrolled: 2-line block ×4, first 2 shown]
	;;#ASMSTART
	v_pk_mul_f16 v21, v30, v23;

	;;#ASMEND
	;;#ASMSTART
	v_pk_mul_f16 v10, v29, v10;

	;;#ASMEND
	;; [unrolled: 4-line block ×4, first 2 shown]
	s_nop 0
	;;#ASMSTART
	v_pk_add_f16 v10, v21, v10;

	;;#ASMEND
	s_nop 0
	;;#ASMSTART
	v_pk_add_f16 v10, v10, v22;

	;;#ASMEND
	s_nop 0
	;;#ASMSTART
	v_pk_add_f16 v10, v10, v20;

	;;#ASMEND
	s_nop 0
	v_lshrrev_b32_e32 v20, 16, v10
	v_and_b32_e32 v10, 0xffff, v10
	;;#ASMSTART
	v_cvt_f32_f16 v10, v10;
	;;#ASMEND
	;;#ASMSTART
	v_cvt_f32_f16 v20, v20;
	;;#ASMEND
	s_nop 0
	v_add_f32_e32 v10, v10, v20
	v_add_f32_e32 v6, v6, v10
	s_and_saveexec_b64 s[16:17], vcc
	s_cbranch_execz .LBB257_43
; %bb.79:                               ;   in Loop: Header=BB257_44 Depth=1
	v_lshl_add_u64 v[22:23], v[18:19], 0, v[12:13]
	global_load_dwordx2 v[20:21], v[22:23], off
	global_load_dword v18, v11, s[14:15]
	s_mov_b64 s[0:1], 0
                                        ; implicit-def: $sgpr22
	s_waitcnt vmcnt(1)
	v_cmp_gt_i16_sdwa s[18:19], v20, s30 src0_sel:BYTE_0 src1_sel:DWORD
	s_and_saveexec_b64 s[20:21], s[18:19]
	s_xor_b64 s[18:19], exec, s[20:21]
	s_cbranch_execnz .LBB257_145
; %bb.80:                               ;   in Loop: Header=BB257_44 Depth=1
	s_or_saveexec_b64 s[18:19], s[18:19]
	v_mov_b32_e32 v22, s22
	s_xor_b64 exec, exec, s[18:19]
	s_cbranch_execnz .LBB257_148
.LBB257_81:                             ;   in Loop: Header=BB257_44 Depth=1
	s_or_b64 exec, exec, s[18:19]
	s_and_saveexec_b64 s[18:19], s[0:1]
	s_cbranch_execz .LBB257_83
.LBB257_82:                             ;   in Loop: Header=BB257_44 Depth=1
	v_and_b32_e32 v10, 7, v20
	v_ffbh_u32_e32 v10, v10
	v_bfe_u32 v19, v20, 3, 4
	v_min_u32_e32 v10, 32, v10
	v_subrev_u32_e32 v22, 28, v10
	v_sub_u32_e32 v10, 29, v10
	v_cmp_eq_u32_e64 s[0:1], 0, v19
	s_nop 1
	v_cndmask_b32_e64 v10, v19, v10, s[0:1]
	v_cndmask_b32_e64 v19, 0, v22, s[0:1]
	v_lshlrev_b64 v[22:23], v19, v[20:21]
	v_lshlrev_b32_e32 v19, 7, v22
	v_lshlrev_b32_e32 v22, 8, v20
	v_lshl_add_u32 v10, v10, 10, v5
	v_and_or_b32 v10, v22, s34, v10
	v_and_or_b32 v10, v19, s35, v10
	v_cvt_f32_f16_e32 v22, v10
.LBB257_83:                             ;   in Loop: Header=BB257_44 Depth=1
	s_or_b64 exec, exec, s[18:19]
	v_lshrrev_b16_e32 v10, 8, v20
	v_cmp_lt_i16_e64 s[0:1], s30, v10
	s_mov_b64 s[18:19], 0
                                        ; implicit-def: $sgpr39
	s_and_saveexec_b64 s[20:21], s[0:1]
	s_xor_b64 s[20:21], exec, s[20:21]
	s_cbranch_execnz .LBB257_149
; %bb.84:                               ;   in Loop: Header=BB257_44 Depth=1
	s_or_saveexec_b64 s[20:21], s[20:21]
	v_mov_b32_e32 v24, s39
	s_xor_b64 exec, exec, s[20:21]
	s_cbranch_execnz .LBB257_152
.LBB257_85:                             ;   in Loop: Header=BB257_44 Depth=1
	s_or_b64 exec, exec, s[20:21]
	s_and_saveexec_b64 s[20:21], s[18:19]
	s_cbranch_execz .LBB257_87
.LBB257_86:                             ;   in Loop: Header=BB257_44 Depth=1
	v_and_b32_e32 v19, 7, v10
	v_ffbh_u32_e32 v24, v19
	v_min_u32_e32 v31, 32, v24
	v_subrev_u32_e32 v24, 28, v31
	v_bfe_u32 v23, v10, 3, 4
	v_lshlrev_b64 v[24:25], v24, v[10:11]
	v_sub_u32_e32 v25, 29, v31
	v_cmp_eq_u32_e64 s[0:1], 0, v23
	v_and_b32_e32 v24, 7, v24
	v_lshlrev_b32_e32 v10, 8, v10
	v_cndmask_b32_e64 v23, v23, v25, s[0:1]
	v_lshl_add_u32 v23, v23, 10, v5
	v_cndmask_b32_e64 v19, v19, v24, s[0:1]
	v_and_or_b32 v10, v10, s34, v23
	v_lshl_or_b32 v10, v19, 7, v10
	v_cvt_f32_f16_e32 v24, v10
.LBB257_87:                             ;   in Loop: Header=BB257_44 Depth=1
	s_or_b64 exec, exec, s[20:21]
	v_lshrrev_b32_e32 v10, 16, v20
	v_cmp_gt_i16_sdwa s[18:19], v10, s30 src0_sel:BYTE_0 src1_sel:DWORD
	s_mov_b64 s[0:1], 0
                                        ; implicit-def: $sgpr22
	s_and_saveexec_b64 s[20:21], s[18:19]
	s_xor_b64 s[18:19], exec, s[20:21]
	s_cbranch_execnz .LBB257_153
; %bb.88:                               ;   in Loop: Header=BB257_44 Depth=1
	s_or_saveexec_b64 s[18:19], s[18:19]
	v_mov_b32_e32 v23, s22
	s_xor_b64 exec, exec, s[18:19]
	s_cbranch_execnz .LBB257_156
.LBB257_89:                             ;   in Loop: Header=BB257_44 Depth=1
	s_or_b64 exec, exec, s[18:19]
	s_and_saveexec_b64 s[18:19], s[0:1]
	s_cbranch_execz .LBB257_91
.LBB257_90:                             ;   in Loop: Header=BB257_44 Depth=1
	v_bfe_u32 v19, v20, 16, 3
	v_ffbh_u32_e32 v25, v19
	v_bfe_u32 v23, v20, 19, 4
	v_min_u32_e32 v25, 32, v25
	v_subrev_u32_e32 v31, 28, v25
	v_sub_u32_e32 v25, 29, v25
	v_cmp_eq_u32_e64 s[0:1], 0, v23
	v_lshlrev_b64 v[32:33], v31, v[10:11]
	v_and_b32_e32 v31, 7, v32
	v_cndmask_b32_e64 v23, v23, v25, s[0:1]
	v_lshlrev_b32_e32 v10, 8, v10
	v_lshl_add_u32 v23, v23, 10, v5
	v_cndmask_b32_e64 v19, v19, v31, s[0:1]
	v_and_or_b32 v10, v10, s34, v23
	v_lshl_or_b32 v10, v19, 7, v10
	v_cvt_f32_f16_e32 v23, v10
.LBB257_91:                             ;   in Loop: Header=BB257_44 Depth=1
	s_or_b64 exec, exec, s[18:19]
	v_lshrrev_b32_e32 v10, 24, v20
	v_cmp_lt_i16_e64 s[0:1], s30, v10
	s_mov_b64 s[18:19], 0
                                        ; implicit-def: $sgpr39
	s_and_saveexec_b64 s[20:21], s[0:1]
	s_xor_b64 s[20:21], exec, s[20:21]
	s_cbranch_execnz .LBB257_157
; %bb.92:                               ;   in Loop: Header=BB257_44 Depth=1
	s_or_saveexec_b64 s[20:21], s[20:21]
	v_mov_b32_e32 v25, s39
	s_xor_b64 exec, exec, s[20:21]
	s_cbranch_execnz .LBB257_160
.LBB257_93:                             ;   in Loop: Header=BB257_44 Depth=1
	s_or_b64 exec, exec, s[20:21]
	s_and_saveexec_b64 s[20:21], s[18:19]
	s_cbranch_execz .LBB257_95
.LBB257_94:                             ;   in Loop: Header=BB257_44 Depth=1
	v_bfe_u32 v19, v20, 24, 3
	v_ffbh_u32_e32 v25, v19
	v_bfe_u32 v20, v20, 27, 4
	v_min_u32_e32 v25, 32, v25
	v_subrev_u32_e32 v31, 28, v25
	v_sub_u32_e32 v25, 29, v25
	v_cmp_eq_u32_e64 s[0:1], 0, v20
	v_lshlrev_b64 v[32:33], v31, v[10:11]
	v_and_b32_e32 v31, 7, v32
	v_cndmask_b32_e64 v20, v20, v25, s[0:1]
	v_lshlrev_b32_e32 v10, 8, v10
	v_lshl_add_u32 v20, v20, 10, v5
	v_cndmask_b32_e64 v19, v19, v31, s[0:1]
	v_and_or_b32 v10, v10, s34, v20
	v_lshl_or_b32 v10, v19, 7, v10
	v_cvt_f32_f16_e32 v25, v10
.LBB257_95:                             ;   in Loop: Header=BB257_44 Depth=1
	s_or_b64 exec, exec, s[20:21]
	v_cmp_gt_i16_sdwa s[18:19], v21, s30 src0_sel:BYTE_0 src1_sel:DWORD
	s_mov_b64 s[0:1], 0
                                        ; implicit-def: $sgpr22
	s_and_saveexec_b64 s[20:21], s[18:19]
	s_xor_b64 s[18:19], exec, s[20:21]
	s_cbranch_execnz .LBB257_161
; %bb.96:                               ;   in Loop: Header=BB257_44 Depth=1
	s_or_saveexec_b64 s[18:19], s[18:19]
	v_mov_b32_e32 v19, s22
	s_xor_b64 exec, exec, s[18:19]
	s_cbranch_execnz .LBB257_164
.LBB257_97:                             ;   in Loop: Header=BB257_44 Depth=1
	s_or_b64 exec, exec, s[18:19]
	v_mov_b32_e32 v10, v21
	s_and_saveexec_b64 s[18:19], s[0:1]
	s_cbranch_execz .LBB257_99
.LBB257_98:                             ;   in Loop: Header=BB257_44 Depth=1
	v_and_b32_e32 v19, 7, v21
	v_ffbh_u32_e32 v19, v19
	v_bfe_u32 v20, v21, 3, 4
	v_min_u32_e32 v19, 32, v19
	v_subrev_u32_e32 v31, 28, v19
	v_sub_u32_e32 v19, 29, v19
	v_cmp_eq_u32_e64 s[0:1], 0, v20
	s_nop 1
	v_cndmask_b32_e64 v19, v20, v19, s[0:1]
	v_cndmask_b32_e64 v20, 0, v31, s[0:1]
	v_lshlrev_b64 v[32:33], v20, v[10:11]
	v_lshlrev_b32_e32 v31, 8, v21
	v_lshl_add_u32 v19, v19, 10, v5
	v_lshlrev_b32_e32 v20, 7, v32
	v_and_or_b32 v19, v31, s34, v19
	v_and_or_b32 v19, v20, s35, v19
	v_cvt_f32_f16_e32 v19, v19
.LBB257_99:                             ;   in Loop: Header=BB257_44 Depth=1
	s_or_b64 exec, exec, s[18:19]
	v_lshrrev_b16_e32 v10, 8, v10
	v_cmp_lt_i16_e64 s[0:1], s30, v10
	s_mov_b64 s[18:19], 0
                                        ; implicit-def: $sgpr39
	s_and_saveexec_b64 s[20:21], s[0:1]
	s_xor_b64 s[20:21], exec, s[20:21]
	s_cbranch_execnz .LBB257_165
; %bb.100:                              ;   in Loop: Header=BB257_44 Depth=1
	s_or_saveexec_b64 s[20:21], s[20:21]
	v_mov_b32_e32 v20, s39
	s_xor_b64 exec, exec, s[20:21]
	s_cbranch_execnz .LBB257_168
.LBB257_101:                            ;   in Loop: Header=BB257_44 Depth=1
	s_or_b64 exec, exec, s[20:21]
	s_and_saveexec_b64 s[20:21], s[18:19]
	s_cbranch_execz .LBB257_103
.LBB257_102:                            ;   in Loop: Header=BB257_44 Depth=1
	v_and_b32_e32 v20, 7, v10
	v_ffbh_u32_e32 v32, v20
	v_min_u32_e32 v34, 32, v32
	v_subrev_u32_e32 v32, 28, v34
	v_bfe_u32 v31, v10, 3, 4
	v_lshlrev_b64 v[32:33], v32, v[10:11]
	v_sub_u32_e32 v33, 29, v34
	v_cmp_eq_u32_e64 s[0:1], 0, v31
	v_and_b32_e32 v32, 7, v32
	v_lshlrev_b32_e32 v10, 8, v10
	v_cndmask_b32_e64 v31, v31, v33, s[0:1]
	v_lshl_add_u32 v31, v31, 10, v5
	v_cndmask_b32_e64 v20, v20, v32, s[0:1]
	v_and_or_b32 v10, v10, s34, v31
	v_lshl_or_b32 v10, v20, 7, v10
	v_cvt_f32_f16_e32 v20, v10
.LBB257_103:                            ;   in Loop: Header=BB257_44 Depth=1
	s_or_b64 exec, exec, s[20:21]
	v_lshrrev_b32_e32 v10, 16, v21
	v_cmp_gt_i16_sdwa s[18:19], v10, s30 src0_sel:BYTE_0 src1_sel:DWORD
	s_mov_b64 s[0:1], 0
                                        ; implicit-def: $sgpr22
	s_and_saveexec_b64 s[20:21], s[18:19]
	s_xor_b64 s[18:19], exec, s[20:21]
	s_cbranch_execnz .LBB257_169
; %bb.104:                              ;   in Loop: Header=BB257_44 Depth=1
	s_or_saveexec_b64 s[18:19], s[18:19]
	v_mov_b32_e32 v31, s22
	s_xor_b64 exec, exec, s[18:19]
	s_cbranch_execnz .LBB257_172
.LBB257_105:                            ;   in Loop: Header=BB257_44 Depth=1
	s_or_b64 exec, exec, s[18:19]
	s_and_saveexec_b64 s[18:19], s[0:1]
	s_cbranch_execz .LBB257_107
.LBB257_106:                            ;   in Loop: Header=BB257_44 Depth=1
	v_bfe_u32 v31, v21, 16, 3
	v_ffbh_u32_e32 v32, v31
	v_min_u32_e32 v35, 32, v32
	v_subrev_u32_e32 v32, 28, v35
	v_bfe_u32 v34, v21, 19, 4
	v_lshlrev_b64 v[32:33], v32, v[10:11]
	v_sub_u32_e32 v33, 29, v35
	v_cmp_eq_u32_e64 s[0:1], 0, v34
	v_and_b32_e32 v32, 7, v32
	v_lshlrev_b32_e32 v10, 8, v10
	v_cndmask_b32_e64 v33, v34, v33, s[0:1]
	v_cndmask_b32_e64 v31, v31, v32, s[0:1]
	v_lshl_add_u32 v32, v33, 10, v5
	v_and_or_b32 v10, v10, s34, v32
	v_lshl_or_b32 v10, v31, 7, v10
	v_cvt_f32_f16_e32 v31, v10
.LBB257_107:                            ;   in Loop: Header=BB257_44 Depth=1
	s_or_b64 exec, exec, s[18:19]
	v_lshrrev_b32_e32 v10, 24, v21
	v_cmp_lt_i16_e64 s[0:1], s30, v10
	s_mov_b64 s[18:19], 0
                                        ; implicit-def: $sgpr39
	s_and_saveexec_b64 s[20:21], s[0:1]
	s_xor_b64 s[20:21], exec, s[20:21]
	s_cbranch_execnz .LBB257_173
; %bb.108:                              ;   in Loop: Header=BB257_44 Depth=1
	s_or_saveexec_b64 s[20:21], s[20:21]
	v_mov_b32_e32 v32, s39
	s_xor_b64 exec, exec, s[20:21]
	s_cbranch_execnz .LBB257_176
.LBB257_109:                            ;   in Loop: Header=BB257_44 Depth=1
	s_or_b64 exec, exec, s[20:21]
	s_and_saveexec_b64 s[20:21], s[18:19]
	s_cbranch_execz .LBB257_111
.LBB257_110:                            ;   in Loop: Header=BB257_44 Depth=1
	v_bfe_u32 v34, v21, 24, 3
	v_ffbh_u32_e32 v32, v34
	v_min_u32_e32 v35, 32, v32
	v_subrev_u32_e32 v32, 28, v35
	v_bfe_u32 v21, v21, 27, 4
	v_lshlrev_b64 v[32:33], v32, v[10:11]
	v_sub_u32_e32 v33, 29, v35
	v_cmp_eq_u32_e64 s[0:1], 0, v21
	v_and_b32_e32 v32, 7, v32
	v_lshlrev_b32_e32 v10, 8, v10
	v_cndmask_b32_e64 v21, v21, v33, s[0:1]
	v_lshl_add_u32 v21, v21, 10, v5
	v_cndmask_b32_e64 v32, v34, v32, s[0:1]
	v_and_or_b32 v10, v10, s34, v21
	v_lshl_or_b32 v10, v32, 7, v10
	v_cvt_f32_f16_e32 v32, v10
.LBB257_111:                            ;   in Loop: Header=BB257_44 Depth=1
	s_or_b64 exec, exec, s[20:21]
	s_waitcnt vmcnt(0)
	v_pk_mul_f32 v[24:25], v[18:19], v[24:25] op_sel_hi:[0,1]
	v_pk_mul_f32 v[22:23], v[18:19], v[22:23] op_sel_hi:[0,1]
	v_cvt_f16_f32_e32 v10, v25
	v_cvt_f16_f32_e32 v21, v24
	;; [unrolled: 1-line block ×4, first 2 shown]
	v_fma_mixlo_f16 v20, v18, v20, 0
	v_lshlrev_b32_e32 v20, 16, v20
	v_fma_mixlo_f16 v19, v18, v19, 0
	v_or_b32_sdwa v19, v20, v19 dst_sel:DWORD dst_unused:UNUSED_PAD src0_sel:DWORD src1_sel:WORD_0
	v_fma_mixlo_f16 v20, v18, v31, 0
	v_fma_mixlo_f16 v18, v18, v32, 0
	v_pack_b32_f16 v21, v21, v10
	v_pack_b32_f16 v22, v22, v23
	v_lshlrev_b32_e32 v18, 16, v18
	v_perm_b32 v10, v22, v21, s36
	v_perm_b32 v21, v22, v21, s37
	v_or_b32_sdwa v18, v18, v20 dst_sel:DWORD dst_unused:UNUSED_PAD src0_sel:DWORD src1_sel:WORD_0
	s_and_saveexec_b64 s[18:19], s[2:3]
	s_cbranch_execz .LBB257_42
; %bb.112:                              ;   in Loop: Header=BB257_44 Depth=1
	v_add_u32_e32 v22, 1, v3
	v_lshrrev_b32_e32 v23, 16, v21
	v_cmp_gt_i32_e64 s[0:1], s28, v22
	v_lshrrev_b32_e32 v24, 16, v10
	v_lshrrev_b32_e32 v18, 16, v18
	v_cndmask_b32_e64 v22, 0, v23, s[0:1]
	v_cmp_gt_i32_e64 s[0:1], s29, v3
	v_or_b32_e32 v23, 2, v3
	s_nop 0
	v_cndmask_b32_e64 v21, 0, v21, s[0:1]
	v_perm_b32 v21, v22, v21, s38
	v_or_b32_e32 v22, 3, v3
	v_cmp_gt_i32_e64 s[0:1], s28, v22
	s_nop 1
	v_cndmask_b32_e64 v22, 0, v24, s[0:1]
	v_cmp_gt_i32_e64 s[0:1], s29, v23
	v_or_b32_e32 v23, 4, v3
	v_lshrrev_b32_e32 v24, 16, v19
	v_cndmask_b32_e64 v10, 0, v10, s[0:1]
	v_perm_b32 v10, v22, v10, s38
	v_or_b32_e32 v22, 5, v3
	v_cmp_gt_i32_e64 s[0:1], s28, v22
	s_nop 1
	v_cndmask_b32_e64 v22, 0, v24, s[0:1]
	v_cmp_gt_i32_e64 s[0:1], s29, v23
	v_or_b32_e32 v23, 6, v3
	s_nop 0
	v_cndmask_b32_e64 v19, 0, v19, s[0:1]
	v_perm_b32 v19, v22, v19, s38
	v_or_b32_e32 v22, 7, v3
	v_cmp_gt_i32_e64 s[0:1], s28, v22
	s_nop 1
	v_cndmask_b32_e64 v18, 0, v18, s[0:1]
	v_cmp_gt_i32_e64 s[0:1], s29, v23
	s_nop 1
	v_cndmask_b32_e64 v20, 0, v20, s[0:1]
	v_perm_b32 v18, v18, v20, s38
	s_branch .LBB257_42
.LBB257_113:                            ;   in Loop: Header=BB257_44 Depth=1
	v_cmp_eq_u16_sdwa s[20:21], v22, s31 src0_sel:BYTE_0 src1_sel:DWORD
	s_mov_b64 s[0:1], -1
                                        ; implicit-def: $sgpr18
	s_and_saveexec_b64 s[16:17], s[20:21]
; %bb.114:                              ;   in Loop: Header=BB257_44 Depth=1
	s_mov_b32 s18, 0x7fc02000
	s_xor_b64 s[0:1], exec, -1
; %bb.115:                              ;   in Loop: Header=BB257_44 Depth=1
	s_or_b64 exec, exec, s[16:17]
	s_and_b64 s[0:1], s[0:1], exec
	s_or_saveexec_b64 s[2:3], s[2:3]
	v_mov_b32_e32 v24, s18
	s_xor_b64 exec, exec, s[2:3]
	s_cbranch_execz .LBB257_46
.LBB257_116:                            ;   in Loop: Header=BB257_44 Depth=1
	v_cmp_ne_u16_sdwa s[16:17], v22, v11 src0_sel:BYTE_0 src1_sel:DWORD
	s_andn2_b64 s[0:1], s[0:1], exec
	s_and_b64 s[16:17], s[16:17], exec
	v_mov_b32_e32 v24, 0
	s_or_b64 s[0:1], s[0:1], s[16:17]
	s_or_b64 exec, exec, s[2:3]
	s_and_saveexec_b64 s[2:3], s[0:1]
	s_cbranch_execnz .LBB257_47
	s_branch .LBB257_48
.LBB257_117:                            ;   in Loop: Header=BB257_44 Depth=1
	v_cmp_eq_u16_e64 s[0:1], s31, v10
	s_mov_b64 s[2:3], -1
                                        ; implicit-def: $sgpr20
	s_and_saveexec_b64 s[18:19], s[0:1]
; %bb.118:                              ;   in Loop: Header=BB257_44 Depth=1
	s_mov_b32 s20, 0x7fc02000
	s_xor_b64 s[2:3], exec, -1
; %bb.119:                              ;   in Loop: Header=BB257_44 Depth=1
	s_or_b64 exec, exec, s[18:19]
	s_and_b64 s[2:3], s[2:3], exec
	s_or_saveexec_b64 s[16:17], s[16:17]
	v_mov_b32_e32 v26, s20
	s_xor_b64 exec, exec, s[16:17]
	s_cbranch_execz .LBB257_50
.LBB257_120:                            ;   in Loop: Header=BB257_44 Depth=1
	v_cmp_ne_u16_e64 s[0:1], 0, v10
	s_andn2_b64 s[2:3], s[2:3], exec
	s_and_b64 s[0:1], s[0:1], exec
	v_mov_b32_e32 v26, 0
	s_or_b64 s[2:3], s[2:3], s[0:1]
	s_or_b64 exec, exec, s[16:17]
	s_and_saveexec_b64 s[16:17], s[2:3]
	s_cbranch_execnz .LBB257_51
	s_branch .LBB257_52
.LBB257_121:                            ;   in Loop: Header=BB257_44 Depth=1
	v_cmp_eq_u16_sdwa s[20:21], v10, s31 src0_sel:BYTE_0 src1_sel:DWORD
	s_mov_b64 s[0:1], -1
                                        ; implicit-def: $sgpr18
	s_and_saveexec_b64 s[16:17], s[20:21]
; %bb.122:                              ;   in Loop: Header=BB257_44 Depth=1
	s_mov_b32 s18, 0x7fc02000
	s_xor_b64 s[0:1], exec, -1
; %bb.123:                              ;   in Loop: Header=BB257_44 Depth=1
	s_or_b64 exec, exec, s[16:17]
	s_and_b64 s[0:1], s[0:1], exec
	s_or_saveexec_b64 s[2:3], s[2:3]
	v_mov_b32_e32 v25, s18
	s_xor_b64 exec, exec, s[2:3]
	s_cbranch_execz .LBB257_54
.LBB257_124:                            ;   in Loop: Header=BB257_44 Depth=1
	v_cmp_ne_u16_sdwa s[16:17], v10, v11 src0_sel:BYTE_0 src1_sel:DWORD
	s_andn2_b64 s[0:1], s[0:1], exec
	s_and_b64 s[16:17], s[16:17], exec
	v_mov_b32_e32 v25, 0
	s_or_b64 s[0:1], s[0:1], s[16:17]
	s_or_b64 exec, exec, s[2:3]
	s_and_saveexec_b64 s[2:3], s[0:1]
	s_cbranch_execnz .LBB257_55
	s_branch .LBB257_56
.LBB257_125:                            ;   in Loop: Header=BB257_44 Depth=1
	v_cmp_eq_u16_e64 s[0:1], s31, v10
	s_mov_b64 s[2:3], -1
                                        ; implicit-def: $sgpr20
	s_and_saveexec_b64 s[18:19], s[0:1]
; %bb.126:                              ;   in Loop: Header=BB257_44 Depth=1
	s_mov_b32 s20, 0x7fc02000
	s_xor_b64 s[2:3], exec, -1
; %bb.127:                              ;   in Loop: Header=BB257_44 Depth=1
	s_or_b64 exec, exec, s[18:19]
	s_and_b64 s[2:3], s[2:3], exec
	s_or_saveexec_b64 s[16:17], s[16:17]
	v_mov_b32_e32 v27, s20
	s_xor_b64 exec, exec, s[16:17]
	s_cbranch_execz .LBB257_58
.LBB257_128:                            ;   in Loop: Header=BB257_44 Depth=1
	v_cmp_ne_u16_e64 s[0:1], 0, v10
	s_andn2_b64 s[2:3], s[2:3], exec
	s_and_b64 s[0:1], s[0:1], exec
	v_mov_b32_e32 v27, 0
	s_or_b64 s[2:3], s[2:3], s[0:1]
	s_or_b64 exec, exec, s[16:17]
	s_and_saveexec_b64 s[16:17], s[2:3]
	s_cbranch_execnz .LBB257_59
	s_branch .LBB257_60
.LBB257_129:                            ;   in Loop: Header=BB257_44 Depth=1
	v_cmp_eq_u16_sdwa s[20:21], v23, s31 src0_sel:BYTE_0 src1_sel:DWORD
	s_mov_b64 s[0:1], -1
                                        ; implicit-def: $sgpr18
	s_and_saveexec_b64 s[16:17], s[20:21]
; %bb.130:                              ;   in Loop: Header=BB257_44 Depth=1
	s_mov_b32 s18, 0x7fc02000
	s_xor_b64 s[0:1], exec, -1
; %bb.131:                              ;   in Loop: Header=BB257_44 Depth=1
	s_or_b64 exec, exec, s[16:17]
	s_and_b64 s[0:1], s[0:1], exec
	s_or_saveexec_b64 s[2:3], s[2:3]
	v_mov_b32_e32 v22, s18
	s_xor_b64 exec, exec, s[2:3]
	s_cbranch_execz .LBB257_62
.LBB257_132:                            ;   in Loop: Header=BB257_44 Depth=1
	v_cmp_ne_u16_sdwa s[16:17], v23, v11 src0_sel:BYTE_0 src1_sel:DWORD
	s_andn2_b64 s[0:1], s[0:1], exec
	s_and_b64 s[16:17], s[16:17], exec
	v_mov_b32_e32 v22, 0
	s_or_b64 s[0:1], s[0:1], s[16:17]
	s_or_b64 exec, exec, s[2:3]
	v_mov_b32_e32 v10, v23
	s_and_saveexec_b64 s[2:3], s[0:1]
	s_cbranch_execnz .LBB257_63
	s_branch .LBB257_64
.LBB257_133:                            ;   in Loop: Header=BB257_44 Depth=1
	v_cmp_eq_u16_e64 s[0:1], s31, v10
	s_mov_b64 s[2:3], -1
                                        ; implicit-def: $sgpr20
	s_and_saveexec_b64 s[18:19], s[0:1]
; %bb.134:                              ;   in Loop: Header=BB257_44 Depth=1
	s_mov_b32 s20, 0x7fc02000
	s_xor_b64 s[2:3], exec, -1
; %bb.135:                              ;   in Loop: Header=BB257_44 Depth=1
	s_or_b64 exec, exec, s[18:19]
	s_and_b64 s[2:3], s[2:3], exec
	s_or_saveexec_b64 s[16:17], s[16:17]
	v_mov_b32_e32 v30, s20
	s_xor_b64 exec, exec, s[16:17]
	s_cbranch_execz .LBB257_66
.LBB257_136:                            ;   in Loop: Header=BB257_44 Depth=1
	v_cmp_ne_u16_e64 s[0:1], 0, v10
	s_andn2_b64 s[2:3], s[2:3], exec
	s_and_b64 s[0:1], s[0:1], exec
	v_mov_b32_e32 v30, 0
	s_or_b64 s[2:3], s[2:3], s[0:1]
	s_or_b64 exec, exec, s[16:17]
	s_and_saveexec_b64 s[16:17], s[2:3]
	s_cbranch_execnz .LBB257_67
	s_branch .LBB257_68
.LBB257_137:                            ;   in Loop: Header=BB257_44 Depth=1
	v_cmp_eq_u16_sdwa s[20:21], v10, s31 src0_sel:BYTE_0 src1_sel:DWORD
	s_mov_b64 s[0:1], -1
                                        ; implicit-def: $sgpr18
	s_and_saveexec_b64 s[16:17], s[20:21]
; %bb.138:                              ;   in Loop: Header=BB257_44 Depth=1
	s_mov_b32 s18, 0x7fc02000
	s_xor_b64 s[0:1], exec, -1
; %bb.139:                              ;   in Loop: Header=BB257_44 Depth=1
	s_or_b64 exec, exec, s[16:17]
	s_and_b64 s[0:1], s[0:1], exec
	s_or_saveexec_b64 s[2:3], s[2:3]
	v_mov_b32_e32 v37, s18
	s_xor_b64 exec, exec, s[2:3]
	s_cbranch_execz .LBB257_70
.LBB257_140:                            ;   in Loop: Header=BB257_44 Depth=1
	v_cmp_ne_u16_sdwa s[16:17], v10, v11 src0_sel:BYTE_0 src1_sel:DWORD
	s_andn2_b64 s[0:1], s[0:1], exec
	s_and_b64 s[16:17], s[16:17], exec
	v_mov_b32_e32 v37, 0
	s_or_b64 s[0:1], s[0:1], s[16:17]
	s_or_b64 exec, exec, s[2:3]
	s_and_saveexec_b64 s[2:3], s[0:1]
	s_cbranch_execnz .LBB257_71
	s_branch .LBB257_72
.LBB257_141:                            ;   in Loop: Header=BB257_44 Depth=1
	v_cmp_eq_u16_e64 s[0:1], s31, v10
	s_mov_b64 s[2:3], -1
                                        ; implicit-def: $sgpr20
	s_and_saveexec_b64 s[18:19], s[0:1]
; %bb.142:                              ;   in Loop: Header=BB257_44 Depth=1
	s_mov_b32 s20, 0x7fc02000
	s_xor_b64 s[2:3], exec, -1
; %bb.143:                              ;   in Loop: Header=BB257_44 Depth=1
	s_or_b64 exec, exec, s[18:19]
	s_and_b64 s[2:3], s[2:3], exec
	s_or_saveexec_b64 s[16:17], s[16:17]
	v_mov_b32_e32 v38, s20
	s_xor_b64 exec, exec, s[16:17]
	s_cbranch_execz .LBB257_74
.LBB257_144:                            ;   in Loop: Header=BB257_44 Depth=1
	v_cmp_ne_u16_e64 s[0:1], 0, v10
	s_andn2_b64 s[2:3], s[2:3], exec
	s_and_b64 s[0:1], s[0:1], exec
	v_mov_b32_e32 v38, 0
	s_or_b64 s[2:3], s[2:3], s[0:1]
	s_or_b64 exec, exec, s[16:17]
	s_and_saveexec_b64 s[16:17], s[2:3]
	s_cbranch_execnz .LBB257_75
	s_branch .LBB257_76
.LBB257_145:                            ;   in Loop: Header=BB257_44 Depth=1
	v_cmp_eq_u16_sdwa s[40:41], v20, s31 src0_sel:BYTE_0 src1_sel:DWORD
	s_mov_b64 s[0:1], -1
                                        ; implicit-def: $sgpr22
	s_and_saveexec_b64 s[20:21], s[40:41]
; %bb.146:                              ;   in Loop: Header=BB257_44 Depth=1
	s_mov_b32 s22, 0x7fc02000
	s_xor_b64 s[0:1], exec, -1
; %bb.147:                              ;   in Loop: Header=BB257_44 Depth=1
	s_or_b64 exec, exec, s[20:21]
	s_and_b64 s[0:1], s[0:1], exec
	s_or_saveexec_b64 s[18:19], s[18:19]
	v_mov_b32_e32 v22, s22
	s_xor_b64 exec, exec, s[18:19]
	s_cbranch_execz .LBB257_81
.LBB257_148:                            ;   in Loop: Header=BB257_44 Depth=1
	v_cmp_ne_u16_sdwa s[20:21], v20, v11 src0_sel:BYTE_0 src1_sel:DWORD
	s_andn2_b64 s[0:1], s[0:1], exec
	s_and_b64 s[20:21], s[20:21], exec
	v_mov_b32_e32 v22, 0
	s_or_b64 s[0:1], s[0:1], s[20:21]
	s_or_b64 exec, exec, s[18:19]
	s_and_saveexec_b64 s[18:19], s[0:1]
	s_cbranch_execnz .LBB257_82
	s_branch .LBB257_83
.LBB257_149:                            ;   in Loop: Header=BB257_44 Depth=1
	v_cmp_eq_u16_e64 s[0:1], s31, v10
	s_mov_b64 s[18:19], -1
                                        ; implicit-def: $sgpr39
	s_and_saveexec_b64 s[22:23], s[0:1]
; %bb.150:                              ;   in Loop: Header=BB257_44 Depth=1
	s_mov_b32 s39, 0x7fc02000
	s_xor_b64 s[18:19], exec, -1
; %bb.151:                              ;   in Loop: Header=BB257_44 Depth=1
	s_or_b64 exec, exec, s[22:23]
	s_and_b64 s[18:19], s[18:19], exec
	s_or_saveexec_b64 s[20:21], s[20:21]
	v_mov_b32_e32 v24, s39
	s_xor_b64 exec, exec, s[20:21]
	s_cbranch_execz .LBB257_85
.LBB257_152:                            ;   in Loop: Header=BB257_44 Depth=1
	v_cmp_ne_u16_e64 s[0:1], 0, v10
	s_andn2_b64 s[18:19], s[18:19], exec
	s_and_b64 s[0:1], s[0:1], exec
	v_mov_b32_e32 v24, 0
	s_or_b64 s[18:19], s[18:19], s[0:1]
	s_or_b64 exec, exec, s[20:21]
	s_and_saveexec_b64 s[20:21], s[18:19]
	s_cbranch_execnz .LBB257_86
	s_branch .LBB257_87
.LBB257_153:                            ;   in Loop: Header=BB257_44 Depth=1
	v_cmp_eq_u16_sdwa s[40:41], v10, s31 src0_sel:BYTE_0 src1_sel:DWORD
	s_mov_b64 s[0:1], -1
                                        ; implicit-def: $sgpr22
	s_and_saveexec_b64 s[20:21], s[40:41]
; %bb.154:                              ;   in Loop: Header=BB257_44 Depth=1
	s_mov_b32 s22, 0x7fc02000
	s_xor_b64 s[0:1], exec, -1
; %bb.155:                              ;   in Loop: Header=BB257_44 Depth=1
	s_or_b64 exec, exec, s[20:21]
	s_and_b64 s[0:1], s[0:1], exec
	s_or_saveexec_b64 s[18:19], s[18:19]
	v_mov_b32_e32 v23, s22
	s_xor_b64 exec, exec, s[18:19]
	s_cbranch_execz .LBB257_89
.LBB257_156:                            ;   in Loop: Header=BB257_44 Depth=1
	v_cmp_ne_u16_sdwa s[20:21], v10, v11 src0_sel:BYTE_0 src1_sel:DWORD
	s_andn2_b64 s[0:1], s[0:1], exec
	s_and_b64 s[20:21], s[20:21], exec
	v_mov_b32_e32 v23, 0
	s_or_b64 s[0:1], s[0:1], s[20:21]
	s_or_b64 exec, exec, s[18:19]
	s_and_saveexec_b64 s[18:19], s[0:1]
	s_cbranch_execnz .LBB257_90
	s_branch .LBB257_91
.LBB257_157:                            ;   in Loop: Header=BB257_44 Depth=1
	v_cmp_eq_u16_e64 s[0:1], s31, v10
	s_mov_b64 s[18:19], -1
                                        ; implicit-def: $sgpr39
	s_and_saveexec_b64 s[22:23], s[0:1]
; %bb.158:                              ;   in Loop: Header=BB257_44 Depth=1
	s_mov_b32 s39, 0x7fc02000
	s_xor_b64 s[18:19], exec, -1
; %bb.159:                              ;   in Loop: Header=BB257_44 Depth=1
	s_or_b64 exec, exec, s[22:23]
	s_and_b64 s[18:19], s[18:19], exec
	s_or_saveexec_b64 s[20:21], s[20:21]
	v_mov_b32_e32 v25, s39
	s_xor_b64 exec, exec, s[20:21]
	s_cbranch_execz .LBB257_93
.LBB257_160:                            ;   in Loop: Header=BB257_44 Depth=1
	v_cmp_ne_u16_e64 s[0:1], 0, v10
	s_andn2_b64 s[18:19], s[18:19], exec
	s_and_b64 s[0:1], s[0:1], exec
	v_mov_b32_e32 v25, 0
	s_or_b64 s[18:19], s[18:19], s[0:1]
	s_or_b64 exec, exec, s[20:21]
	s_and_saveexec_b64 s[20:21], s[18:19]
	s_cbranch_execnz .LBB257_94
	s_branch .LBB257_95
.LBB257_161:                            ;   in Loop: Header=BB257_44 Depth=1
	v_cmp_eq_u16_sdwa s[40:41], v21, s31 src0_sel:BYTE_0 src1_sel:DWORD
	s_mov_b64 s[0:1], -1
                                        ; implicit-def: $sgpr22
	s_and_saveexec_b64 s[20:21], s[40:41]
; %bb.162:                              ;   in Loop: Header=BB257_44 Depth=1
	s_mov_b32 s22, 0x7fc02000
	s_xor_b64 s[0:1], exec, -1
; %bb.163:                              ;   in Loop: Header=BB257_44 Depth=1
	s_or_b64 exec, exec, s[20:21]
	s_and_b64 s[0:1], s[0:1], exec
	s_or_saveexec_b64 s[18:19], s[18:19]
	v_mov_b32_e32 v19, s22
	s_xor_b64 exec, exec, s[18:19]
	s_cbranch_execz .LBB257_97
.LBB257_164:                            ;   in Loop: Header=BB257_44 Depth=1
	v_cmp_ne_u16_sdwa s[20:21], v21, v11 src0_sel:BYTE_0 src1_sel:DWORD
	s_andn2_b64 s[0:1], s[0:1], exec
	s_and_b64 s[20:21], s[20:21], exec
	v_mov_b32_e32 v19, 0
	s_or_b64 s[0:1], s[0:1], s[20:21]
	s_or_b64 exec, exec, s[18:19]
	v_mov_b32_e32 v10, v21
	s_and_saveexec_b64 s[18:19], s[0:1]
	s_cbranch_execnz .LBB257_98
	s_branch .LBB257_99
.LBB257_165:                            ;   in Loop: Header=BB257_44 Depth=1
	v_cmp_eq_u16_e64 s[0:1], s31, v10
	s_mov_b64 s[18:19], -1
                                        ; implicit-def: $sgpr39
	s_and_saveexec_b64 s[22:23], s[0:1]
; %bb.166:                              ;   in Loop: Header=BB257_44 Depth=1
	s_mov_b32 s39, 0x7fc02000
	s_xor_b64 s[18:19], exec, -1
; %bb.167:                              ;   in Loop: Header=BB257_44 Depth=1
	s_or_b64 exec, exec, s[22:23]
	s_and_b64 s[18:19], s[18:19], exec
	s_or_saveexec_b64 s[20:21], s[20:21]
	v_mov_b32_e32 v20, s39
	s_xor_b64 exec, exec, s[20:21]
	s_cbranch_execz .LBB257_101
.LBB257_168:                            ;   in Loop: Header=BB257_44 Depth=1
	v_cmp_ne_u16_e64 s[0:1], 0, v10
	s_andn2_b64 s[18:19], s[18:19], exec
	s_and_b64 s[0:1], s[0:1], exec
	v_mov_b32_e32 v20, 0
	s_or_b64 s[18:19], s[18:19], s[0:1]
	s_or_b64 exec, exec, s[20:21]
	s_and_saveexec_b64 s[20:21], s[18:19]
	s_cbranch_execnz .LBB257_102
	s_branch .LBB257_103
.LBB257_169:                            ;   in Loop: Header=BB257_44 Depth=1
	v_cmp_eq_u16_sdwa s[40:41], v10, s31 src0_sel:BYTE_0 src1_sel:DWORD
	s_mov_b64 s[0:1], -1
                                        ; implicit-def: $sgpr22
	s_and_saveexec_b64 s[20:21], s[40:41]
; %bb.170:                              ;   in Loop: Header=BB257_44 Depth=1
	s_mov_b32 s22, 0x7fc02000
	s_xor_b64 s[0:1], exec, -1
; %bb.171:                              ;   in Loop: Header=BB257_44 Depth=1
	s_or_b64 exec, exec, s[20:21]
	s_and_b64 s[0:1], s[0:1], exec
	s_or_saveexec_b64 s[18:19], s[18:19]
	v_mov_b32_e32 v31, s22
	s_xor_b64 exec, exec, s[18:19]
	s_cbranch_execz .LBB257_105
.LBB257_172:                            ;   in Loop: Header=BB257_44 Depth=1
	v_cmp_ne_u16_sdwa s[20:21], v10, v11 src0_sel:BYTE_0 src1_sel:DWORD
	s_andn2_b64 s[0:1], s[0:1], exec
	s_and_b64 s[20:21], s[20:21], exec
	v_mov_b32_e32 v31, 0
	s_or_b64 s[0:1], s[0:1], s[20:21]
	s_or_b64 exec, exec, s[18:19]
	s_and_saveexec_b64 s[18:19], s[0:1]
	s_cbranch_execnz .LBB257_106
	s_branch .LBB257_107
.LBB257_173:                            ;   in Loop: Header=BB257_44 Depth=1
	v_cmp_eq_u16_e64 s[0:1], s31, v10
	s_mov_b64 s[18:19], -1
                                        ; implicit-def: $sgpr39
	s_and_saveexec_b64 s[22:23], s[0:1]
; %bb.174:                              ;   in Loop: Header=BB257_44 Depth=1
	s_mov_b32 s39, 0x7fc02000
	s_xor_b64 s[18:19], exec, -1
; %bb.175:                              ;   in Loop: Header=BB257_44 Depth=1
	s_or_b64 exec, exec, s[22:23]
	s_and_b64 s[18:19], s[18:19], exec
	s_or_saveexec_b64 s[20:21], s[20:21]
	v_mov_b32_e32 v32, s39
	s_xor_b64 exec, exec, s[20:21]
	s_cbranch_execz .LBB257_109
.LBB257_176:                            ;   in Loop: Header=BB257_44 Depth=1
	v_cmp_ne_u16_e64 s[0:1], 0, v10
	s_andn2_b64 s[18:19], s[18:19], exec
	s_and_b64 s[0:1], s[0:1], exec
	v_mov_b32_e32 v32, 0
	s_or_b64 s[18:19], s[18:19], s[0:1]
	s_or_b64 exec, exec, s[20:21]
	s_and_saveexec_b64 s[20:21], s[18:19]
	s_cbranch_execnz .LBB257_110
	s_branch .LBB257_111
.LBB257_177:
	s_or_b64 exec, exec, s[6:7]
.LBB257_178:
	s_or_b64 exec, exec, s[12:13]
	v_and_b32_e32 v3, 0x3c0, v0
	v_cmp_eq_u32_e32 vcc, 64, v3
	s_barrier
	s_and_saveexec_b64 s[0:1], vcc
	s_cbranch_execz .LBB257_181
; %bb.179:
	v_mov_b32_e32 v3, 0xd0
	v_lshl_add_u32 v1, v1, 2, v3
	ds_write_b32 v1, v6
	s_and_b64 exec, exec, s[10:11]
	s_cbranch_execz .LBB257_181
; %bb.180:
	v_lshl_add_u32 v1, v0, 2, v3
	ds_write_b32 v1, v7
.LBB257_181:
	s_or_b64 exec, exec, s[0:1]
	v_cmp_gt_u32_e32 vcc, 64, v0
	v_or_b32_e32 v1, 64, v0
	s_waitcnt lgkmcnt(0)
	s_barrier
	s_and_saveexec_b64 s[2:3], vcc
	s_cbranch_execz .LBB257_185
; %bb.182:
	v_mov_b32_e32 v3, 0xd0
	v_lshl_add_u32 v0, v0, 2, v3
	ds_read_b32 v3, v0
	s_movk_i32 s0, 0x60
	v_cmp_gt_u32_e64 s[0:1], s0, v1
	s_waitcnt lgkmcnt(0)
	v_add_f32_e32 v6, v6, v3
	s_and_saveexec_b64 s[6:7], s[0:1]
	s_cbranch_execz .LBB257_184
; %bb.183:
	ds_read_b32 v0, v0 offset:256
	s_waitcnt lgkmcnt(0)
	v_add_f32_e32 v7, v7, v0
.LBB257_184:
	s_or_b64 exec, exec, s[6:7]
.LBB257_185:
	s_or_b64 exec, exec, s[2:3]
	s_barrier
	s_and_saveexec_b64 s[0:1], vcc
	s_cbranch_execz .LBB257_188
; %bb.186:
	s_mul_i32 s0, s8, 0x60
	s_ashr_i32 s1, s0, 31
	s_lshl_b64 s[0:1], s[0:1], 1
	s_add_u32 s3, s26, s0
	s_mul_i32 s0, s25, s24
	s_addc_u32 s5, s27, s1
	s_ashr_i32 s1, s0, 31
	s_lshl_b64 s[0:1], s[0:1], 1
	s_add_u32 s3, s3, s0
	s_mul_i32 s0, s4, 0x60
	s_addc_u32 s5, s5, s1
	s_ashr_i32 s1, s0, 31
	s_lshl_b64 s[0:1], s[0:1], 1
	s_movk_i32 s2, 0x60
	s_add_u32 s0, s3, s0
	s_addc_u32 s1, s5, s1
	v_cmp_gt_u32_e32 vcc, s2, v1
	;;#ASMSTART
	v_cvt_f16_f32 v0, v6;

	;;#ASMEND
	global_store_short v2, v0, s[0:1]
	s_and_b64 exec, exec, vcc
	s_cbranch_execz .LBB257_188
; %bb.187:
	v_mov_b32_e32 v3, 0
	v_lshl_add_u64 v[0:1], s[0:1], 0, v[2:3]
	;;#ASMSTART
	v_cvt_f16_f32 v2, v7;

	;;#ASMEND
	global_store_short v[0:1], v2, off offset:128
.LBB257_188:
	s_endpgm
	.section	.rodata,"a",@progbits
	.p2align	6, 0x0
	.amdhsa_kernel _ZN4vllm25paged_attention_v2_kernelIthLi96ELi8ELi128ELNS_18Fp8KVCacheDataTypeE1ELb0ELi512EEEvPfS2_PT_PKS3_PKT0_S9_ifPKiSB_iPKfiiiSD_SD_iiiii
		.amdhsa_group_segment_fixed_size 208
		.amdhsa_private_segment_fixed_size 0
		.amdhsa_kernarg_size 400
		.amdhsa_user_sgpr_count 2
		.amdhsa_user_sgpr_dispatch_ptr 0
		.amdhsa_user_sgpr_queue_ptr 0
		.amdhsa_user_sgpr_kernarg_segment_ptr 1
		.amdhsa_user_sgpr_dispatch_id 0
		.amdhsa_user_sgpr_kernarg_preload_length 0
		.amdhsa_user_sgpr_kernarg_preload_offset 0
		.amdhsa_user_sgpr_private_segment_size 0
		.amdhsa_uses_dynamic_stack 0
		.amdhsa_enable_private_segment 0
		.amdhsa_system_sgpr_workgroup_id_x 1
		.amdhsa_system_sgpr_workgroup_id_y 1
		.amdhsa_system_sgpr_workgroup_id_z 1
		.amdhsa_system_sgpr_workgroup_info 0
		.amdhsa_system_vgpr_workitem_id 0
		.amdhsa_next_free_vgpr 44
		.amdhsa_next_free_sgpr 48
		.amdhsa_accum_offset 44
		.amdhsa_reserve_vcc 1
		.amdhsa_float_round_mode_32 0
		.amdhsa_float_round_mode_16_64 0
		.amdhsa_float_denorm_mode_32 3
		.amdhsa_float_denorm_mode_16_64 3
		.amdhsa_dx10_clamp 1
		.amdhsa_ieee_mode 1
		.amdhsa_fp16_overflow 0
		.amdhsa_tg_split 0
		.amdhsa_exception_fp_ieee_invalid_op 0
		.amdhsa_exception_fp_denorm_src 0
		.amdhsa_exception_fp_ieee_div_zero 0
		.amdhsa_exception_fp_ieee_overflow 0
		.amdhsa_exception_fp_ieee_underflow 0
		.amdhsa_exception_fp_ieee_inexact 0
		.amdhsa_exception_int_div_zero 0
	.end_amdhsa_kernel
	.section	.text._ZN4vllm25paged_attention_v2_kernelIthLi96ELi8ELi128ELNS_18Fp8KVCacheDataTypeE1ELb0ELi512EEEvPfS2_PT_PKS3_PKT0_S9_ifPKiSB_iPKfiiiSD_SD_iiiii,"axG",@progbits,_ZN4vllm25paged_attention_v2_kernelIthLi96ELi8ELi128ELNS_18Fp8KVCacheDataTypeE1ELb0ELi512EEEvPfS2_PT_PKS3_PKT0_S9_ifPKiSB_iPKfiiiSD_SD_iiiii,comdat
.Lfunc_end257:
	.size	_ZN4vllm25paged_attention_v2_kernelIthLi96ELi8ELi128ELNS_18Fp8KVCacheDataTypeE1ELb0ELi512EEEvPfS2_PT_PKS3_PKT0_S9_ifPKiSB_iPKfiiiSD_SD_iiiii, .Lfunc_end257-_ZN4vllm25paged_attention_v2_kernelIthLi96ELi8ELi128ELNS_18Fp8KVCacheDataTypeE1ELb0ELi512EEEvPfS2_PT_PKS3_PKT0_S9_ifPKiSB_iPKfiiiSD_SD_iiiii
                                        ; -- End function
	.section	.AMDGPU.csdata,"",@progbits
; Kernel info:
; codeLenInByte = 9188
; NumSgprs: 54
; NumVgprs: 44
; NumAgprs: 0
; TotalNumVgprs: 44
; ScratchSize: 0
; MemoryBound: 0
; FloatMode: 240
; IeeeMode: 1
; LDSByteSize: 208 bytes/workgroup (compile time only)
; SGPRBlocks: 6
; VGPRBlocks: 5
; NumSGPRsForWavesPerEU: 54
; NumVGPRsForWavesPerEU: 44
; AccumOffset: 44
; Occupancy: 8
; WaveLimiterHint : 1
; COMPUTE_PGM_RSRC2:SCRATCH_EN: 0
; COMPUTE_PGM_RSRC2:USER_SGPR: 2
; COMPUTE_PGM_RSRC2:TRAP_HANDLER: 0
; COMPUTE_PGM_RSRC2:TGID_X_EN: 1
; COMPUTE_PGM_RSRC2:TGID_Y_EN: 1
; COMPUTE_PGM_RSRC2:TGID_Z_EN: 1
; COMPUTE_PGM_RSRC2:TIDIG_COMP_CNT: 0
; COMPUTE_PGM_RSRC3_GFX90A:ACCUM_OFFSET: 10
; COMPUTE_PGM_RSRC3_GFX90A:TG_SPLIT: 0
	.section	.text._ZN4vllm25paged_attention_v2_kernelIthLi112ELi8ELi128ELNS_18Fp8KVCacheDataTypeE1ELb0ELi512EEEvPfS2_PT_PKS3_PKT0_S9_ifPKiSB_iPKfiiiSD_SD_iiiii,"axG",@progbits,_ZN4vllm25paged_attention_v2_kernelIthLi112ELi8ELi128ELNS_18Fp8KVCacheDataTypeE1ELb0ELi512EEEvPfS2_PT_PKS3_PKT0_S9_ifPKiSB_iPKfiiiSD_SD_iiiii,comdat
	.protected	_ZN4vllm25paged_attention_v2_kernelIthLi112ELi8ELi128ELNS_18Fp8KVCacheDataTypeE1ELb0ELi512EEEvPfS2_PT_PKS3_PKT0_S9_ifPKiSB_iPKfiiiSD_SD_iiiii ; -- Begin function _ZN4vllm25paged_attention_v2_kernelIthLi112ELi8ELi128ELNS_18Fp8KVCacheDataTypeE1ELb0ELi512EEEvPfS2_PT_PKS3_PKT0_S9_ifPKiSB_iPKfiiiSD_SD_iiiii
	.globl	_ZN4vllm25paged_attention_v2_kernelIthLi112ELi8ELi128ELNS_18Fp8KVCacheDataTypeE1ELb0ELi512EEEvPfS2_PT_PKS3_PKT0_S9_ifPKiSB_iPKfiiiSD_SD_iiiii
	.p2align	8
	.type	_ZN4vllm25paged_attention_v2_kernelIthLi112ELi8ELi128ELNS_18Fp8KVCacheDataTypeE1ELb0ELi512EEEvPfS2_PT_PKS3_PKT0_S9_ifPKiSB_iPKfiiiSD_SD_iiiii,@function
_ZN4vllm25paged_attention_v2_kernelIthLi112ELi8ELi128ELNS_18Fp8KVCacheDataTypeE1ELb0ELi512EEEvPfS2_PT_PKS3_PKT0_S9_ifPKiSB_iPKfiiiSD_SD_iiiii: ; @_ZN4vllm25paged_attention_v2_kernelIthLi112ELi8ELi128ELNS_18Fp8KVCacheDataTypeE1ELb0ELi512EEEvPfS2_PT_PKS3_PKT0_S9_ifPKiSB_iPKfiiiSD_SD_iiiii
; %bb.0:
	s_load_dwordx2 s[6:7], s[0:1], 0x40
	s_mov_b32 s28, s3
	s_ashr_i32 s29, s3, 31
	s_lshl_b64 s[8:9], s[28:29], 2
	s_waitcnt lgkmcnt(0)
	s_add_u32 s6, s6, s8
	s_addc_u32 s7, s7, s9
	s_load_dword s29, s[6:7], 0x0
	s_lshl_b32 s44, s4, 9
	s_waitcnt lgkmcnt(0)
	s_cmp_ge_i32 s44, s29
	s_cbranch_scc1 .LBB258_188
; %bb.1:
	s_load_dword s5, s[0:1], 0x90
	s_load_dwordx2 s[38:39], s[0:1], 0x30
	s_mov_b32 s45, 0
	s_waitcnt lgkmcnt(0)
	s_abs_i32 s7, s5
	s_abs_i32 s3, s38
	v_cvt_f32_u32_e32 v1, s3
	s_sub_i32 s8, 0, s3
	s_xor_b32 s6, s5, s38
	s_ashr_i32 s6, s6, 31
	v_rcp_iflag_f32_e32 v1, v1
	s_nop 0
	v_mul_f32_e32 v1, 0x4f7ffffe, v1
	v_cvt_u32_f32_e32 v1, v1
	s_nop 0
	v_readfirstlane_b32 s9, v1
	s_mul_i32 s8, s8, s9
	s_mul_hi_u32 s8, s9, s8
	s_add_i32 s9, s9, s8
	s_mul_hi_u32 s8, s7, s9
	s_mul_i32 s9, s8, s3
	s_sub_i32 s7, s7, s9
	s_add_i32 s10, s8, 1
	s_sub_i32 s9, s7, s3
	s_cmp_ge_u32 s7, s3
	s_cselect_b32 s8, s10, s8
	s_cselect_b32 s7, s9, s7
	s_add_i32 s9, s8, 1
	s_cmp_ge_u32 s7, s3
	s_cselect_b32 s3, s9, s8
	s_xor_b32 s3, s3, s6
	s_sub_i32 s10, s3, s6
	s_abs_i32 s8, s10
	v_cvt_f32_u32_e32 v1, s8
	s_load_dwordx2 s[6:7], s[0:1], 0x50
	s_sub_i32 s3, 0, s8
	s_abs_i32 s9, s2
	v_rcp_iflag_f32_e32 v1, v1
	s_nop 0
	v_mul_f32_e32 v1, 0x4f7ffffe, v1
	v_cvt_u32_f32_e32 v1, v1
	s_nop 0
	v_readfirstlane_b32 s11, v1
	s_mul_i32 s3, s3, s11
	s_mul_hi_u32 s3, s11, s3
	s_add_i32 s11, s11, s3
	s_waitcnt lgkmcnt(0)
	s_cmp_eq_u64 s[6:7], 0
	s_mul_hi_u32 s12, s9, s11
	s_cbranch_scc1 .LBB258_3
; %bb.2:
	s_ashr_i32 s3, s2, 31
	s_lshl_b64 s[14:15], s[2:3], 2
	s_add_u32 s6, s6, s14
	s_addc_u32 s7, s7, s15
	s_load_dword s45, s[6:7], 0x0
.LBB258_3:
	s_load_dwordx4 s[16:19], s[0:1], 0x58
	s_movk_i32 s3, 0x70
	s_ashr_i32 s13, s2, 31
	s_ashr_i32 s14, s10, 31
	v_and_b32_e32 v6, 7, v0
	s_mul_i32 s24, s2, 0x70
	v_cmp_gt_u32_e64 s[10:11], s3, v0
	v_lshlrev_b32_e32 v2, 1, v0
	s_and_saveexec_b64 s[6:7], s[10:11]
	s_cbranch_execz .LBB258_5
; %bb.4:
	s_load_dwordx2 s[20:21], s[0:1], 0x18
	s_waitcnt lgkmcnt(0)
	s_mul_i32 s22, s28, s16
	s_ashr_i32 s23, s22, 31
	s_lshl_b64 s[22:23], s[22:23], 1
	v_lshrrev_b32_e32 v3, 2, v0
	s_add_u32 s3, s20, s22
	s_addc_u32 s15, s21, s23
	s_ashr_i32 s25, s24, 31
	s_lshl_b64 s[20:21], s[24:25], 1
	s_add_u32 s20, s3, s20
	s_addc_u32 s21, s15, s21
	global_load_ushort v1, v2, s[20:21]
	v_and_b32_e32 v3, 0xfe, v3
	v_mad_u32_u24 v3, v6, 28, v3
	s_waitcnt vmcnt(0)
	ds_write_b16 v3, v1
.LBB258_5:
	s_or_b64 exec, exec, s[6:7]
	s_add_i32 s3, s29, 7
	s_ashr_i32 s6, s3, 31
	s_lshr_b32 s6, s6, 29
	s_add_i32 s3, s3, s6
	s_lshl_b32 s38, s4, 6
	s_mul_i32 s7, s12, s8
	s_ashr_i32 s3, s3, 3
	s_add_i32 s6, s38, 64
	s_sub_i32 s7, s9, s7
	s_min_i32 s33, s6, s3
	s_xor_b32 s6, s13, s14
	s_add_i32 s9, s12, 1
	s_sub_i32 s13, s7, s8
	s_cmp_ge_u32 s7, s8
	s_cselect_b32 s9, s9, s12
	s_cselect_b32 s7, s13, s7
	s_add_i32 s12, s9, 1
	s_cmp_ge_u32 s7, s8
	s_load_dwordx2 s[30:31], s[0:1], 0x38
	s_load_dword s8, s[0:1], 0x48
	v_lshrrev_b32_e32 v12, 6, v0
	s_cselect_b32 s7, s12, s9
	s_xor_b32 s7, s7, s6
	v_or_b32_e32 v4, s38, v12
	s_waitcnt lgkmcnt(0)
	s_mul_i32 s34, s28, s8
	s_sub_i32 s16, s7, s6
	s_ashr_i32 s35, s34, 31
	v_cmp_gt_i32_e64 s[6:7], s33, v4
	v_cmp_le_i32_e32 vcc, s33, v4
	v_mbcnt_lo_u32_b32 v17, -1, 0
	s_barrier
	s_waitcnt lgkmcnt(0)
                                        ; implicit-def: $sgpr19
                                        ; implicit-def: $vgpr3
                                        ; implicit-def: $vgpr13
	s_and_saveexec_b64 s[8:9], vcc
	s_xor_b64 s[8:9], exec, s[8:9]
; %bb.6:
	v_mbcnt_hi_u32_b32 v3, -1, v17
	v_and_b32_e32 v1, 64, v3
	v_add_u32_e32 v13, 64, v1
	s_mov_b32 s19, 0xff7fffff
                                        ; implicit-def: $vgpr6
                                        ; implicit-def: $vgpr17
; %bb.7:
	s_or_saveexec_b64 s[40:41], s[8:9]
	s_load_dwordx4 s[20:23], s[0:1], 0x0
	s_load_dwordx2 s[26:27], s[0:1], 0x10
	s_load_dword s25, s[0:1], 0x98
	s_load_dwordx2 s[36:37], s[0:1], 0x28
	s_load_dwordx4 s[12:15], s[0:1], 0x68
	v_mov_b32_e32 v1, s19
	s_mul_i32 s16, s16, s18
	v_ashrrev_i32_e32 v5, 31, v4
	s_xor_b64 exec, exec, s[40:41]
	s_cbranch_execz .LBB258_13
; %bb.8:
	s_load_dwordx2 s[0:1], s[0:1], 0x20
	s_ashr_i32 s8, s16, 31
	v_bfe_u32 v1, v0, 3, 3
	v_mov_b32_e32 v7, 0
	v_lshlrev_b32_e32 v8, 4, v1
	s_waitcnt lgkmcnt(0)
	s_add_u32 s0, s0, s16
	s_addc_u32 s1, s1, s8
	v_mov_b32_e32 v9, v7
	v_lshl_add_u64 v[8:9], s[0:1], 0, v[8:9]
	s_sub_i32 s47, 1, s29
	v_lshlrev_b32_e32 v3, 3, v12
	s_lshl_b64 s[0:1], s[34:35], 2
	v_add3_u32 v15, s44, v3, v1
	v_lshlrev_b32_e32 v1, 2, v1
	s_add_u32 s0, s30, s0
	v_mbcnt_hi_u32_b32 v3, -1, v17
	v_lshl_or_b32 v1, v12, 5, v1
	s_addc_u32 s1, s31, s1
	v_and_b32_e32 v13, 64, v3
	s_mov_b32 s46, s17
	v_mul_u32_u24_e32 v14, 28, v6
	v_cmp_eq_u32_e32 vcc, 0, v6
	v_cmp_neq_f32_e64 s[8:9], s45, 0
	v_add_u32_e32 v16, 0xf0, v1
	v_lshl_add_u64 v[10:11], v[4:5], 2, s[0:1]
	s_mov_b64 s[18:19], 0
	v_mov_b32_e32 v1, 0xff7fffff
	v_add_u32_e32 v13, 64, v13
	v_xor_b32_e32 v17, 4, v3
	v_xor_b32_e32 v18, 2, v3
	v_xor_b32_e32 v19, 1, v3
	v_mov_b32_e32 v20, v4
	s_branch .LBB258_10
.LBB258_9:                              ;   in Loop: Header=BB258_10 Depth=1
	s_or_b64 exec, exec, s[42:43]
	v_add_u32_e32 v20, 2, v20
	v_cmp_le_i32_e64 s[0:1], s33, v20
	v_add_u32_e32 v15, 16, v15
	v_add_u32_e32 v16, 64, v16
	s_or_b64 s[18:19], s[0:1], s[18:19]
	v_lshl_add_u64 v[10:11], v[10:11], 0, 8
	s_andn2_b64 exec, exec, s[18:19]
	s_cbranch_execz .LBB258_12
.LBB258_10:                             ; =>This Inner Loop Header: Depth=1
	global_load_dword v21, v[10:11], off
	s_waitcnt vmcnt(0) lgkmcnt(0)
	v_mad_i64_i32 v[22:23], s[0:1], v21, s46, v[8:9]
	v_lshl_add_u64 v[22:23], v[22:23], 0, v[6:7]
	global_load_ubyte v21, v[22:23], off
	global_load_ubyte v24, v[22:23], off offset:8
	global_load_dword v25, v7, s[12:13]
	global_load_ubyte v26, v[22:23], off offset:128
	global_load_ubyte v27, v[22:23], off offset:136
	global_load_ubyte v28, v[22:23], off offset:256
	global_load_ubyte v29, v[22:23], off offset:264
	global_load_ubyte v30, v[22:23], off offset:384
	global_load_ubyte v31, v[22:23], off offset:392
	global_load_ubyte v32, v[22:23], off offset:512
	global_load_ubyte v33, v[22:23], off offset:520
	global_load_ubyte v34, v[22:23], off offset:640
	global_load_ubyte v35, v[22:23], off offset:648
	global_load_ubyte v36, v[22:23], off offset:768
	global_load_ubyte v37, v[22:23], off offset:776
	ds_read_u16 v22, v14
	s_waitcnt lgkmcnt(0)
	;;#ASMSTART
	v_cvt_f32_f16 v22, v22;
	;;#ASMEND
	v_cmp_lt_i32_e64 s[0:1], v17, v13
	s_waitcnt vmcnt(14)
	v_cvt_f32_fp8_sdwa v21, v21 src0_sel:BYTE_0
	s_waitcnt vmcnt(13)
	v_cvt_f32_fp8_sdwa v24, v24 src0_sel:BYTE_0
	v_cndmask_b32_e64 v23, v3, v17, s[0:1]
	s_waitcnt vmcnt(11)
	v_cvt_f32_fp8_sdwa v26, v26 src0_sel:BYTE_0
	v_fma_mixlo_f16 v21, v25, v21, 0
	v_and_b32_e32 v21, 0xffff, v21
	v_fma_mixlo_f16 v24, v25, v24, 0
	s_waitcnt vmcnt(10)
	v_cvt_f32_fp8_sdwa v27, v27 src0_sel:BYTE_0
	;;#ASMSTART
	v_cvt_f32_f16 v21, v21;
	;;#ASMEND
	ds_read_u16 v38, v14 offset:2
	v_and_b32_e32 v24, 0xffff, v24
	s_waitcnt vmcnt(9)
	v_cvt_f32_fp8_sdwa v28, v28 src0_sel:BYTE_0
	s_waitcnt lgkmcnt(0)
	;;#ASMSTART
	v_cvt_f32_f16 v38, v38;
	;;#ASMEND
	;;#ASMSTART
	v_cvt_f32_f16 v24, v24;
	;;#ASMEND
	s_waitcnt vmcnt(8)
	v_cvt_f32_fp8_sdwa v29, v29 src0_sel:BYTE_0
	v_fma_mixlo_f16 v26, v25, v26, 0
	s_waitcnt vmcnt(7)
	v_cvt_f32_fp8_sdwa v30, v30 src0_sel:BYTE_0
	v_mul_f32_e32 v24, v38, v24
	ds_read_u16 v39, v14 offset:4
	v_and_b32_e32 v26, 0xffff, v26
	v_fma_mixlo_f16 v27, v25, v27, 0
	s_waitcnt vmcnt(6)
	v_cvt_f32_fp8_sdwa v31, v31 src0_sel:BYTE_0
	v_fmac_f32_e32 v24, v22, v21
	s_waitcnt lgkmcnt(0)
	;;#ASMSTART
	v_cvt_f32_f16 v39, v39;
	;;#ASMEND
	;;#ASMSTART
	v_cvt_f32_f16 v26, v26;
	;;#ASMEND
	ds_read_u16 v40, v14 offset:6
	v_and_b32_e32 v27, 0xffff, v27
	s_waitcnt vmcnt(5)
	v_cvt_f32_fp8_sdwa v32, v32 src0_sel:BYTE_0
	v_fma_mixlo_f16 v28, v25, v28, 0
	v_fmac_f32_e32 v24, v39, v26
	s_waitcnt lgkmcnt(0)
	;;#ASMSTART
	v_cvt_f32_f16 v40, v40;
	;;#ASMEND
	;;#ASMSTART
	v_cvt_f32_f16 v27, v27;
	;;#ASMEND
	ds_read_u16 v41, v14 offset:8
	v_and_b32_e32 v28, 0xffff, v28
	s_waitcnt vmcnt(4)
	v_cvt_f32_fp8_sdwa v33, v33 src0_sel:BYTE_0
	v_fma_mixlo_f16 v29, v25, v29, 0
	v_fmac_f32_e32 v24, v40, v27
	s_waitcnt lgkmcnt(0)
	;;#ASMSTART
	v_cvt_f32_f16 v41, v41;
	;;#ASMEND
	;;#ASMSTART
	v_cvt_f32_f16 v28, v28;
	;;#ASMEND
	ds_read_u16 v42, v14 offset:10
	s_waitcnt vmcnt(3)
	v_cvt_f32_fp8_sdwa v34, v34 src0_sel:BYTE_0
	v_and_b32_e32 v29, 0xffff, v29
	v_fma_mixlo_f16 v30, v25, v30, 0
	v_fmac_f32_e32 v24, v41, v28
	s_waitcnt lgkmcnt(0)
	;;#ASMSTART
	v_cvt_f32_f16 v42, v42;
	;;#ASMEND
	;;#ASMSTART
	v_cvt_f32_f16 v29, v29;
	;;#ASMEND
	ds_read_u16 v43, v14 offset:12
	s_waitcnt vmcnt(2)
	v_cvt_f32_fp8_sdwa v35, v35 src0_sel:BYTE_0
	s_waitcnt vmcnt(1)
	v_cvt_f32_fp8_sdwa v36, v36 src0_sel:BYTE_0
	v_and_b32_e32 v30, 0xffff, v30
	s_waitcnt vmcnt(0)
	v_cvt_f32_fp8_sdwa v37, v37 src0_sel:BYTE_0
	v_fma_mixlo_f16 v31, v25, v31, 0
	v_fmac_f32_e32 v24, v42, v29
	s_waitcnt lgkmcnt(0)
	;;#ASMSTART
	v_cvt_f32_f16 v43, v43;
	;;#ASMEND
	;;#ASMSTART
	v_cvt_f32_f16 v30, v30;
	;;#ASMEND
	ds_read_u16 v44, v14 offset:14
	v_fma_mixlo_f16 v32, v25, v32, 0
	v_and_b32_e32 v31, 0xffff, v31
	v_fmac_f32_e32 v24, v43, v30
	s_waitcnt lgkmcnt(0)
	;;#ASMSTART
	v_cvt_f32_f16 v44, v44;
	;;#ASMEND
	;;#ASMSTART
	v_cvt_f32_f16 v31, v31;
	;;#ASMEND
	ds_read_u16 v45, v14 offset:16
	v_fma_mixlo_f16 v33, v25, v33, 0
	v_and_b32_e32 v32, 0xffff, v32
	v_fmac_f32_e32 v24, v44, v31
	v_fma_mixlo_f16 v34, v25, v34, 0
	s_waitcnt lgkmcnt(0)
	;;#ASMSTART
	v_cvt_f32_f16 v45, v45;
	;;#ASMEND
	;;#ASMSTART
	v_cvt_f32_f16 v32, v32;
	;;#ASMEND
	v_and_b32_e32 v33, 0xffff, v33
	v_fmac_f32_e32 v24, v45, v32
	v_fma_mixlo_f16 v35, v25, v35, 0
	ds_read_u16 v46, v14 offset:18
	v_fma_mixlo_f16 v36, v25, v36, 0
	v_fma_mixlo_f16 v25, v25, v37, 0
	v_and_b32_e32 v34, 0xffff, v34
	s_waitcnt lgkmcnt(0)
	;;#ASMSTART
	v_cvt_f32_f16 v37, v46;
	;;#ASMEND
	;;#ASMSTART
	v_cvt_f32_f16 v33, v33;
	;;#ASMEND
	ds_read_u16 v46, v14 offset:20
	v_fmac_f32_e32 v24, v37, v33
	s_waitcnt lgkmcnt(0)
	;;#ASMSTART
	v_cvt_f32_f16 v38, v46;
	;;#ASMEND
	;;#ASMSTART
	v_cvt_f32_f16 v34, v34;
	;;#ASMEND
	v_and_b32_e32 v35, 0xffff, v35
	v_fmac_f32_e32 v24, v38, v34
	ds_read_u16 v46, v14 offset:22
	s_waitcnt lgkmcnt(0)
	;;#ASMSTART
	v_cvt_f32_f16 v21, v46;
	;;#ASMEND
	;;#ASMSTART
	v_cvt_f32_f16 v22, v35;
	;;#ASMEND
	ds_read_u16 v26, v14 offset:24
	v_fmac_f32_e32 v24, v21, v22
	v_and_b32_e32 v36, 0xffff, v36
	s_waitcnt lgkmcnt(0)
	;;#ASMSTART
	v_cvt_f32_f16 v26, v26;
	;;#ASMEND
	;;#ASMSTART
	v_cvt_f32_f16 v27, v36;
	;;#ASMEND
	v_lshlrev_b32_e32 v23, 2, v23
	v_fmac_f32_e32 v24, v26, v27
	v_and_b32_e32 v25, 0xffff, v25
	ds_read_u16 v28, v14 offset:26
	s_waitcnt lgkmcnt(0)
	;;#ASMSTART
	v_cvt_f32_f16 v21, v28;
	;;#ASMEND
	;;#ASMSTART
	v_cvt_f32_f16 v22, v25;
	;;#ASMEND
	v_cmp_lt_i32_e64 s[0:1], v18, v13
	v_fmac_f32_e32 v24, v21, v22
	ds_bpermute_b32 v21, v23, v24
	v_cndmask_b32_e64 v22, v3, v18, s[0:1]
	v_lshlrev_b32_e32 v22, 2, v22
	v_cmp_lt_i32_e64 s[0:1], v19, v13
	s_waitcnt lgkmcnt(0)
	v_add_f32_e32 v21, v24, v21
	ds_bpermute_b32 v22, v22, v21
	v_cndmask_b32_e64 v23, v3, v19, s[0:1]
	s_waitcnt lgkmcnt(0)
	v_add_f32_e32 v21, v21, v22
	v_lshlrev_b32_e32 v22, 2, v23
	ds_bpermute_b32 v22, v22, v21
	s_and_saveexec_b64 s[42:43], vcc
	s_cbranch_execz .LBB258_9
; %bb.11:                               ;   in Loop: Header=BB258_10 Depth=1
	v_add_u32_e32 v23, s47, v15
	v_cvt_f32_i32_e32 v23, v23
	s_waitcnt lgkmcnt(0)
	v_add_f32_e32 v21, v21, v22
	v_cmp_gt_i32_e64 s[0:1], s29, v15
	v_max_f32_e32 v22, v1, v1
	v_mul_f32_e32 v23, s45, v23
	v_cndmask_b32_e64 v23, 0, v23, s[8:9]
	v_fmac_f32_e32 v23, s39, v21
	v_cndmask_b32_e64 v21, 0, v23, s[0:1]
	ds_write_b32 v16, v21
	v_max_f32_e32 v21, v22, v23
	v_cndmask_b32_e64 v1, v1, v21, s[0:1]
	s_branch .LBB258_9
.LBB258_12:
	s_or_b64 exec, exec, s[18:19]
.LBB258_13:
	s_or_b64 exec, exec, s[40:41]
	v_xor_b32_e32 v6, 32, v3
	v_cmp_lt_i32_e32 vcc, v6, v13
	v_xor_b32_e32 v8, 16, v3
	v_xor_b32_e32 v9, 8, v3
	v_cndmask_b32_e32 v6, v3, v6, vcc
	v_lshlrev_b32_e32 v7, 2, v6
	ds_bpermute_b32 v6, v7, v1
	v_max_f32_e32 v1, v1, v1
	v_cmp_lt_i32_e32 vcc, v8, v13
	s_waitcnt lgkmcnt(0)
	v_max_f32_e32 v6, v6, v6
	v_max_f32_e32 v1, v1, v6
	v_cndmask_b32_e32 v6, v3, v8, vcc
	v_lshlrev_b32_e32 v10, 2, v6
	ds_bpermute_b32 v6, v10, v1
	v_cmp_lt_i32_e32 vcc, v9, v13
	s_waitcnt lgkmcnt(0)
	v_max_f32_e32 v6, v6, v6
	v_max_f32_e32 v8, v1, v6
	v_cndmask_b32_e32 v1, v3, v9, vcc
	v_lshlrev_b32_e32 v11, 2, v1
	ds_bpermute_b32 v9, v11, v8
	v_and_b32_e32 v1, 63, v0
	v_cmp_eq_u32_e32 vcc, 0, v1
	v_lshlrev_b32_e32 v6, 2, v12
	s_and_saveexec_b64 s[0:1], vcc
	s_cbranch_execz .LBB258_15
; %bb.14:
	s_waitcnt lgkmcnt(0)
	v_max_f32_e32 v9, v9, v9
	v_max_f32_e32 v8, v8, v8
	;; [unrolled: 1-line block ×3, first 2 shown]
	ds_write_b32 v6, v8 offset:224
.LBB258_15:
	s_or_b64 exec, exec, s[0:1]
	v_cmp_gt_u32_e64 s[0:1], 2, v1
	v_mov_b32_e32 v8, 0xff7fffff
	s_waitcnt lgkmcnt(0)
	v_lshlrev_b32_e32 v9, 2, v1
	s_barrier
	s_and_saveexec_b64 s[8:9], s[0:1]
	s_cbranch_execz .LBB258_17
; %bb.16:
	ds_read_b32 v8, v9 offset:224
.LBB258_17:
	s_or_b64 exec, exec, s[8:9]
	v_xor_b32_e32 v14, 1, v3
	v_cmp_lt_i32_e64 s[8:9], v14, v13
	v_mov_b32_e32 v16, 0
	s_nop 0
	v_cndmask_b32_e64 v14, v3, v14, s[8:9]
	v_lshlrev_b32_e32 v14, 2, v14
	s_waitcnt lgkmcnt(0)
	ds_bpermute_b32 v15, v14, v8
	v_max_f32_e32 v8, v8, v8
	s_sub_i32 s8, s33, s38
	s_lshl_b32 s8, s8, 3
	s_add_i32 s8, s8, s44
	s_waitcnt lgkmcnt(0)
	v_max_f32_e32 v15, v15, v15
	v_max_f32_e32 v8, v8, v15
	v_lshlrev_b32_e32 v15, 2, v3
	v_and_b32_e32 v15, 0xffffff00, v15
	ds_bpermute_b32 v8, v15, v8
	s_min_i32 s41, s8, s29
	s_sub_i32 s40, s41, s44
	v_cmp_gt_i32_e64 s[8:9], s40, v0
	s_and_saveexec_b64 s[18:19], s[8:9]
	s_cbranch_execz .LBB258_21
; %bb.18:
	v_mov_b32_e32 v16, 0xf0
	v_lshl_add_u32 v17, v0, 2, v16
	s_mov_b64 s[38:39], 0
	v_mov_b32_e32 v16, 0
	v_mov_b32_e32 v18, v0
.LBB258_19:                             ; =>This Inner Loop Header: Depth=1
	ds_read_b32 v19, v17
	v_add_u32_e32 v18, 0x80, v18
	v_cmp_le_i32_e64 s[12:13], s40, v18
	s_or_b64 s[38:39], s[12:13], s[38:39]
	s_waitcnt lgkmcnt(0)
	v_sub_f32_e32 v19, v19, v8
	v_mul_f32_e32 v19, 0x3fb8aa3b, v19
	v_exp_f32_e32 v19, v19
	ds_write_b32 v17, v19
	v_add_f32_e32 v16, v16, v19
	v_add_u32_e32 v17, 0x200, v17
	s_andn2_b64 exec, exec, s[38:39]
	s_cbranch_execnz .LBB258_19
; %bb.20:
	s_or_b64 exec, exec, s[38:39]
.LBB258_21:
	s_or_b64 exec, exec, s[18:19]
	ds_bpermute_b32 v7, v7, v16
	s_waitcnt lgkmcnt(0)
	v_add_f32_e32 v7, v16, v7
	ds_bpermute_b32 v10, v10, v7
	s_waitcnt lgkmcnt(0)
	v_add_f32_e32 v7, v7, v10
	ds_bpermute_b32 v10, v11, v7
	v_xor_b32_e32 v11, 4, v3
	v_cmp_lt_i32_e64 s[12:13], v11, v13
	s_waitcnt lgkmcnt(0)
	v_add_f32_e32 v7, v7, v10
	v_cndmask_b32_e64 v11, v3, v11, s[12:13]
	v_lshlrev_b32_e32 v11, 2, v11
	ds_bpermute_b32 v10, v11, v7
	v_xor_b32_e32 v11, 2, v3
	v_cmp_lt_i32_e64 s[12:13], v11, v13
	s_waitcnt lgkmcnt(0)
	v_add_f32_e32 v7, v7, v10
	v_cndmask_b32_e64 v3, v3, v11, s[12:13]
	v_lshlrev_b32_e32 v3, 2, v3
	ds_bpermute_b32 v3, v3, v7
	s_waitcnt lgkmcnt(0)
	v_add_f32_e32 v3, v7, v3
	ds_bpermute_b32 v7, v14, v3
	s_waitcnt lgkmcnt(0)
	v_add_f32_e32 v3, v3, v7
	s_and_saveexec_b64 s[12:13], vcc
	s_cbranch_execz .LBB258_23
; %bb.22:
	ds_write_b32 v6, v3 offset:232
.LBB258_23:
	s_or_b64 exec, exec, s[12:13]
	s_waitcnt lgkmcnt(0)
	s_barrier
	s_and_saveexec_b64 s[12:13], s[0:1]
	s_cbranch_execz .LBB258_25
; %bb.24:
	ds_read_b32 v3, v9 offset:232
.LBB258_25:
	s_or_b64 exec, exec, s[12:13]
	s_waitcnt lgkmcnt(0)
	ds_bpermute_b32 v6, v14, v3
	s_waitcnt lgkmcnt(0)
	v_add_f32_e32 v3, v3, v6
	ds_bpermute_b32 v3, v15, v3
	s_and_saveexec_b64 s[0:1], s[8:9]
	s_cbranch_execz .LBB258_38
; %bb.26:
	s_waitcnt lgkmcnt(0)
	v_add_f32_e32 v6, 0x358637bd, v3
	v_div_scale_f32 v7, s[8:9], v6, v6, 1.0
	v_rcp_f32_e32 v9, v7
	v_div_scale_f32 v10, vcc, 1.0, v6, 1.0
	s_movk_i32 s8, 0x7f
	v_fma_f32 v11, -v7, v9, 1.0
	v_fmac_f32_e32 v9, v11, v9
	v_mul_f32_e32 v11, v10, v9
	v_fma_f32 v13, -v7, v11, v10
	v_fmac_f32_e32 v11, v13, v9
	v_fma_f32 v7, -v7, v11, v10
	v_div_fmas_f32 v7, v7, v9, v11
	v_div_fixup_f32 v6, v7, v6, 1.0
	v_xad_u32 v7, v0, -1, s41
	v_subrev_u32_e32 v9, s44, v7
	v_cmp_lt_u32_e32 vcc, s8, v9
	s_mov_b64 s[12:13], -1
	v_mov_b32_e32 v7, v0
	s_and_saveexec_b64 s[8:9], vcc
	s_cbranch_execz .LBB258_35
; %bb.27:
	v_lshrrev_b32_e32 v9, 7, v9
	v_add_u32_e32 v11, -1, v9
	v_lshrrev_b32_e32 v10, 1, v11
	v_mov_b32_e32 v7, v6
	v_add_u32_e32 v10, 1, v10
	v_cmp_lt_u32_e32 vcc, 13, v11
	v_mov_b32_e32 v14, 0
	s_and_saveexec_b64 s[12:13], vcc
	s_cbranch_execz .LBB258_31
; %bb.28:
	v_mov_b32_e32 v13, 0xf0
	v_and_b32_e32 v11, -8, v10
	v_lshl_add_u32 v13, v0, 2, v13
	s_mov_b32 s38, 0
	s_mov_b64 s[18:19], 0
.LBB258_29:                             ; =>This Inner Loop Header: Depth=1
	ds_read2st64_b32 v[14:15], v13 offset1:2
	ds_read2st64_b32 v[16:17], v13 offset0:4 offset1:6
	ds_read2st64_b32 v[18:19], v13 offset0:8 offset1:10
	;; [unrolled: 1-line block ×3, first 2 shown]
	v_add_u32_e32 v11, -8, v11
	s_waitcnt lgkmcnt(3)
	v_pk_mul_f32 v[14:15], v[6:7], v[14:15]
	s_waitcnt lgkmcnt(2)
	v_pk_mul_f32 v[16:17], v[6:7], v[16:17]
	ds_write2st64_b32 v13, v14, v15 offset1:2
	ds_write2st64_b32 v13, v16, v17 offset0:4 offset1:6
	ds_read2st64_b32 v[16:17], v13 offset0:16 offset1:18
	s_waitcnt lgkmcnt(4)
	v_pk_mul_f32 v[14:15], v[6:7], v[18:19]
	ds_write2st64_b32 v13, v14, v15 offset0:8 offset1:10
	s_waitcnt lgkmcnt(4)
	v_pk_mul_f32 v[14:15], v[6:7], v[20:21]
	ds_write2st64_b32 v13, v14, v15 offset0:12 offset1:14
	ds_read2st64_b32 v[14:15], v13 offset0:20 offset1:22
	s_waitcnt lgkmcnt(3)
	v_pk_mul_f32 v[16:17], v[6:7], v[16:17]
	ds_read2st64_b32 v[18:19], v13 offset0:24 offset1:26
	ds_write2st64_b32 v13, v16, v17 offset0:16 offset1:18
	ds_read2st64_b32 v[16:17], v13 offset0:28 offset1:30
	s_waitcnt lgkmcnt(3)
	v_pk_mul_f32 v[14:15], v[6:7], v[14:15]
	ds_write2st64_b32 v13, v14, v15 offset0:20 offset1:22
	s_waitcnt lgkmcnt(3)
	v_pk_mul_f32 v[14:15], v[6:7], v[18:19]
	ds_write2st64_b32 v13, v14, v15 offset0:24 offset1:26
	s_waitcnt lgkmcnt(2)
	v_pk_mul_f32 v[14:15], v[6:7], v[16:17]
	s_add_i32 s38, s38, 16
	v_cmp_eq_u32_e32 vcc, 0, v11
	ds_write2st64_b32 v13, v14, v15 offset0:28 offset1:30
	v_add_u32_e32 v13, 0x2000, v13
	s_or_b64 s[18:19], vcc, s[18:19]
	v_mov_b32_e32 v14, s38
	s_andn2_b64 exec, exec, s[18:19]
	s_cbranch_execnz .LBB258_29
; %bb.30:
	s_or_b64 exec, exec, s[18:19]
.LBB258_31:
	s_or_b64 exec, exec, s[12:13]
	v_and_b32_e32 v10, 7, v10
	v_cmp_ne_u32_e32 vcc, 0, v10
	s_and_saveexec_b64 s[12:13], vcc
	s_cbranch_execz .LBB258_34
; %bb.32:
	v_lshlrev_b32_e32 v11, 9, v14
	v_lshlrev_b32_e32 v13, 2, v0
	s_movk_i32 s18, 0xf0
	v_add3_u32 v11, v11, v13, s18
	s_mov_b64 s[18:19], 0
.LBB258_33:                             ; =>This Inner Loop Header: Depth=1
	ds_read2st64_b32 v[14:15], v11 offset1:2
	v_add_u32_e32 v10, -1, v10
	v_cmp_eq_u32_e32 vcc, 0, v10
	s_or_b64 s[18:19], vcc, s[18:19]
	s_waitcnt lgkmcnt(0)
	v_pk_mul_f32 v[14:15], v[6:7], v[14:15]
	ds_write2st64_b32 v11, v14, v15 offset1:2
	v_add_u32_e32 v11, 0x400, v11
	s_andn2_b64 exec, exec, s[18:19]
	s_cbranch_execnz .LBB258_33
.LBB258_34:
	s_or_b64 exec, exec, s[12:13]
	v_add_u32_e32 v9, 1, v9
	v_and_b32_e32 v10, 0x3fffffe, v9
	v_cmp_ne_u32_e32 vcc, v9, v10
	v_lshl_add_u32 v7, v10, 7, v0
	s_orn2_b64 s[12:13], vcc, exec
.LBB258_35:
	s_or_b64 exec, exec, s[8:9]
	s_and_b64 exec, exec, s[12:13]
	s_cbranch_execz .LBB258_38
; %bb.36:
	v_mov_b32_e32 v9, 0xf0
	v_lshl_add_u32 v9, v7, 2, v9
	s_mov_b64 s[8:9], 0
.LBB258_37:                             ; =>This Inner Loop Header: Depth=1
	ds_read_b32 v10, v9
	v_add_u32_e32 v7, 0x80, v7
	v_cmp_le_i32_e32 vcc, s40, v7
	s_or_b64 s[8:9], vcc, s[8:9]
	s_waitcnt lgkmcnt(0)
	v_mul_f32_e32 v10, v6, v10
	ds_write_b32 v9, v10
	v_add_u32_e32 v9, 0x200, v9
	s_andn2_b64 exec, exec, s[8:9]
	s_cbranch_execnz .LBB258_37
.LBB258_38:
	s_or_b64 exec, exec, s[0:1]
	s_mul_i32 s0, s25, s28
	v_cmp_eq_u32_e32 vcc, 0, v0
	s_mul_i32 s8, s0, s5
	s_waitcnt lgkmcnt(0)
	s_barrier
	s_and_saveexec_b64 s[0:1], vcc
	s_cbranch_execz .LBB258_40
; %bb.39:
	s_ashr_i32 s9, s8, 31
	s_lshl_b64 s[12:13], s[8:9], 2
	s_add_u32 s5, s22, s12
	s_mul_i32 s18, s25, s2
	s_addc_u32 s9, s23, s13
	s_ashr_i32 s19, s18, 31
	s_lshl_b64 s[18:19], s[18:19], 2
	s_add_u32 s2, s5, s18
	s_addc_u32 s9, s9, s19
	s_ashr_i32 s5, s4, 31
	s_lshl_b64 s[22:23], s[4:5], 2
	s_add_u32 s38, s2, s22
	s_addc_u32 s39, s9, s23
	s_add_u32 s2, s20, s12
	s_addc_u32 s5, s21, s13
	;; [unrolled: 2-line block ×3, first 2 shown]
	s_add_u32 s12, s2, s22
	v_mov_b32_e32 v6, 0
	s_addc_u32 s13, s5, s23
	global_store_dword v6, v8, s[38:39]
	global_store_dword v6, v3, s[12:13]
.LBB258_40:
	s_or_b64 exec, exec, s[0:1]
	v_mov_b32_e32 v3, 0
	v_mov_b32_e32 v26, 0
	s_and_saveexec_b64 s[12:13], s[6:7]
	s_cbranch_execz .LBB258_178
; %bb.41:
	s_ashr_i32 s1, s16, 31
	s_add_u32 s0, s36, s16
	v_or_b32_e32 v3, 64, v1
	s_movk_i32 s2, 0x70
	s_addc_u32 s1, s37, s1
	s_add_i32 s9, s3, -1
	v_cmp_gt_u32_e32 vcc, s2, v3
	s_lshl_b64 s[2:3], s[34:35], 2
	s_add_u32 s2, s30, s2
	v_mov_b32_e32 v9, 0
	v_lshlrev_b32_e32 v10, 3, v3
	v_mov_b32_e32 v3, 0xf0
	s_addc_u32 s3, s31, s3
	s_mov_b32 s5, s17
	v_lshlrev_b32_e32 v6, 3, v1
	v_mov_b32_e32 v7, v9
	v_mov_b32_e32 v11, v9
	s_mov_b32 s28, s29
	v_lshl_add_u32 v27, v12, 3, s44
	v_lshl_add_u32 v28, v12, 5, v3
	v_lshl_add_u64 v[12:13], v[4:5], 2, s[2:3]
	s_mov_b64 s[6:7], 0
	v_mov_b64_e32 v[14:15], s[0:1]
	s_movk_i32 s30, 0x7f
	s_movk_i32 s31, 0x80
	s_mov_b32 s34, 0x8000
	s_movk_i32 s35, 0x380
	s_mov_b32 s36, 0x3020706
	s_mov_b32 s37, 0x1000504
	;; [unrolled: 1-line block ×3, first 2 shown]
	v_mov_b32_e32 v5, 0x1c00
	v_mov_b32_e32 v26, 0
	;; [unrolled: 1-line block ×3, first 2 shown]
	s_branch .LBB258_44
.LBB258_42:                             ;   in Loop: Header=BB258_44 Depth=1
	s_or_b64 exec, exec, s[18:19]
	;;#ASMSTART
	v_pk_mul_f16 v18, v32, v19;

	;;#ASMEND
	;;#ASMSTART
	v_pk_mul_f16 v8, v31, v8;

	;;#ASMEND
	;; [unrolled: 4-line block ×4, first 2 shown]
	s_nop 0
	;;#ASMSTART
	v_pk_add_f16 v8, v18, v8;

	;;#ASMEND
	s_nop 0
	;;#ASMSTART
	v_pk_add_f16 v8, v8, v17;

	;;#ASMEND
	s_nop 0
	;;#ASMSTART
	v_pk_add_f16 v8, v8, v16;

	;;#ASMEND
	s_nop 0
	v_lshrrev_b32_e32 v16, 16, v8
	v_and_b32_e32 v8, 0xffff, v8
	;;#ASMSTART
	v_cvt_f32_f16 v8, v8;
	;;#ASMEND
	;;#ASMSTART
	v_cvt_f32_f16 v16, v16;
	;;#ASMEND
	s_nop 0
	v_add_f32_e32 v8, v8, v16
	v_add_f32_e32 v26, v26, v8
.LBB258_43:                             ;   in Loop: Header=BB258_44 Depth=1
	s_or_b64 exec, exec, s[16:17]
	v_add_u32_e32 v4, 2, v4
	v_add_f32_e32 v8, v24, v25
	v_cmp_le_i32_e64 s[0:1], s33, v4
	v_add_f32_e32 v3, v3, v8
	v_add_u32_e32 v27, 16, v27
	v_add_u32_e32 v28, 64, v28
	s_or_b64 s[6:7], s[0:1], s[6:7]
	v_lshl_add_u64 v[12:13], v[12:13], 0, 8
	s_andn2_b64 exec, exec, s[6:7]
	s_cbranch_execz .LBB258_177
.LBB258_44:                             ; =>This Inner Loop Header: Depth=1
	ds_read2_b64 v[20:23], v28 offset1:1
	ds_read2_b64 v[34:37], v28 offset0:2 offset1:3
                                        ; implicit-def: $sgpr18
	s_waitcnt lgkmcnt(1)
	;;#ASMSTART
	v_cvt_f16_f32 v19, v20;

	;;#ASMEND
	;;#ASMSTART
	v_cvt_f16_f32 v29, v21;

	;;#ASMEND
	;; [unrolled: 4-line block ×4, first 2 shown]
	s_waitcnt lgkmcnt(0)
	;;#ASMSTART
	v_cvt_f16_f32 v33, v34;

	;;#ASMEND
	;;#ASMSTART
	v_cvt_f16_f32 v34, v35;

	;;#ASMEND
	;; [unrolled: 4-line block ×4, first 2 shown]
	global_load_dword v8, v[12:13], off
	s_waitcnt vmcnt(0)
	v_mad_i64_i32 v[16:17], s[0:1], v8, s5, v[14:15]
	v_lshl_add_u64 v[22:23], v[16:17], 0, v[6:7]
	global_load_dwordx2 v[20:21], v[22:23], off
	global_load_dword v18, v9, s[14:15]
	s_mov_b64 s[0:1], 0
	s_waitcnt vmcnt(1)
	v_cmp_gt_i16_sdwa s[2:3], v20, s30 src0_sel:BYTE_0 src1_sel:DWORD
	s_and_saveexec_b64 s[16:17], s[2:3]
	s_xor_b64 s[2:3], exec, s[16:17]
	s_cbranch_execnz .LBB258_113
; %bb.45:                               ;   in Loop: Header=BB258_44 Depth=1
	s_or_saveexec_b64 s[2:3], s[2:3]
	v_mov_b32_e32 v22, s18
	s_xor_b64 exec, exec, s[2:3]
	s_cbranch_execnz .LBB258_116
.LBB258_46:                             ;   in Loop: Header=BB258_44 Depth=1
	s_or_b64 exec, exec, s[2:3]
	s_and_saveexec_b64 s[2:3], s[0:1]
	s_cbranch_execz .LBB258_48
.LBB258_47:                             ;   in Loop: Header=BB258_44 Depth=1
	v_and_b32_e32 v8, 7, v20
	v_ffbh_u32_e32 v8, v8
	v_bfe_u32 v22, v20, 3, 4
	v_min_u32_e32 v8, 32, v8
	v_subrev_u32_e32 v23, 28, v8
	v_sub_u32_e32 v8, 29, v8
	v_cmp_eq_u32_e64 s[0:1], 0, v22
	s_nop 1
	v_cndmask_b32_e64 v8, v22, v8, s[0:1]
	v_cndmask_b32_e64 v22, 0, v23, s[0:1]
	v_lshlrev_b64 v[22:23], v22, v[20:21]
	v_lshlrev_b32_e32 v23, 8, v20
	v_lshl_add_u32 v8, v8, 10, v5
	v_lshlrev_b32_e32 v22, 7, v22
	v_and_or_b32 v8, v23, s34, v8
	v_and_or_b32 v8, v22, s35, v8
	v_cvt_f32_f16_e32 v22, v8
.LBB258_48:                             ;   in Loop: Header=BB258_44 Depth=1
	s_or_b64 exec, exec, s[2:3]
	v_lshrrev_b16_e32 v8, 8, v20
	v_cmp_lt_i16_e64 s[0:1], s30, v8
	s_mov_b64 s[2:3], 0
                                        ; implicit-def: $sgpr20
	s_and_saveexec_b64 s[16:17], s[0:1]
	s_xor_b64 s[16:17], exec, s[16:17]
	s_cbranch_execnz .LBB258_117
; %bb.49:                               ;   in Loop: Header=BB258_44 Depth=1
	s_or_saveexec_b64 s[16:17], s[16:17]
	v_mov_b32_e32 v24, s20
	s_xor_b64 exec, exec, s[16:17]
	s_cbranch_execnz .LBB258_120
.LBB258_50:                             ;   in Loop: Header=BB258_44 Depth=1
	s_or_b64 exec, exec, s[16:17]
	s_and_saveexec_b64 s[16:17], s[2:3]
	s_cbranch_execz .LBB258_52
.LBB258_51:                             ;   in Loop: Header=BB258_44 Depth=1
	v_and_b32_e32 v23, 7, v8
	v_ffbh_u32_e32 v24, v23
	v_min_u32_e32 v37, 32, v24
	v_subrev_u32_e32 v24, 28, v37
	v_bfe_u32 v32, v8, 3, 4
	v_lshlrev_b64 v[24:25], v24, v[8:9]
	v_sub_u32_e32 v25, 29, v37
	v_cmp_eq_u32_e64 s[0:1], 0, v32
	v_and_b32_e32 v24, 7, v24
	v_lshlrev_b32_e32 v8, 8, v8
	v_cndmask_b32_e64 v25, v32, v25, s[0:1]
	v_cndmask_b32_e64 v23, v23, v24, s[0:1]
	v_lshl_add_u32 v24, v25, 10, v5
	v_and_or_b32 v8, v8, s34, v24
	v_lshl_or_b32 v8, v23, 7, v8
	v_cvt_f32_f16_e32 v24, v8
.LBB258_52:                             ;   in Loop: Header=BB258_44 Depth=1
	s_or_b64 exec, exec, s[16:17]
	v_lshrrev_b32_e32 v8, 16, v20
	v_cmp_gt_i16_sdwa s[2:3], v8, s30 src0_sel:BYTE_0 src1_sel:DWORD
	s_mov_b64 s[0:1], 0
                                        ; implicit-def: $sgpr18
	s_and_saveexec_b64 s[16:17], s[2:3]
	s_xor_b64 s[2:3], exec, s[16:17]
	s_cbranch_execnz .LBB258_121
; %bb.53:                               ;   in Loop: Header=BB258_44 Depth=1
	s_or_saveexec_b64 s[2:3], s[2:3]
	v_mov_b32_e32 v23, s18
	s_xor_b64 exec, exec, s[2:3]
	s_cbranch_execnz .LBB258_124
.LBB258_54:                             ;   in Loop: Header=BB258_44 Depth=1
	s_or_b64 exec, exec, s[2:3]
	s_and_saveexec_b64 s[2:3], s[0:1]
	s_cbranch_execz .LBB258_56
.LBB258_55:                             ;   in Loop: Header=BB258_44 Depth=1
	v_bfe_u32 v23, v20, 16, 3
	v_ffbh_u32_e32 v32, v23
	v_bfe_u32 v25, v20, 19, 4
	v_min_u32_e32 v32, 32, v32
	v_subrev_u32_e32 v37, 28, v32
	v_sub_u32_e32 v32, 29, v32
	v_cmp_eq_u32_e64 s[0:1], 0, v25
	v_lshlrev_b64 v[38:39], v37, v[8:9]
	v_and_b32_e32 v37, 7, v38
	v_cndmask_b32_e64 v25, v25, v32, s[0:1]
	v_lshlrev_b32_e32 v8, 8, v8
	v_lshl_add_u32 v25, v25, 10, v5
	v_cndmask_b32_e64 v23, v23, v37, s[0:1]
	v_and_or_b32 v8, v8, s34, v25
	v_lshl_or_b32 v8, v23, 7, v8
	v_cvt_f32_f16_e32 v23, v8
.LBB258_56:                             ;   in Loop: Header=BB258_44 Depth=1
	s_or_b64 exec, exec, s[2:3]
	v_lshrrev_b32_e32 v8, 24, v20
	v_cmp_lt_i16_e64 s[0:1], s30, v8
	s_mov_b64 s[2:3], 0
                                        ; implicit-def: $sgpr20
	s_and_saveexec_b64 s[16:17], s[0:1]
	s_xor_b64 s[16:17], exec, s[16:17]
	s_cbranch_execnz .LBB258_125
; %bb.57:                               ;   in Loop: Header=BB258_44 Depth=1
	s_or_saveexec_b64 s[16:17], s[16:17]
	v_mov_b32_e32 v25, s20
	s_xor_b64 exec, exec, s[16:17]
	s_cbranch_execnz .LBB258_128
.LBB258_58:                             ;   in Loop: Header=BB258_44 Depth=1
	s_or_b64 exec, exec, s[16:17]
	s_and_saveexec_b64 s[16:17], s[2:3]
	s_cbranch_execz .LBB258_60
.LBB258_59:                             ;   in Loop: Header=BB258_44 Depth=1
	v_bfe_u32 v25, v20, 24, 3
	v_ffbh_u32_e32 v32, v25
	v_bfe_u32 v20, v20, 27, 4
	v_min_u32_e32 v32, 32, v32
	v_subrev_u32_e32 v37, 28, v32
	v_sub_u32_e32 v32, 29, v32
	v_cmp_eq_u32_e64 s[0:1], 0, v20
	v_lshlrev_b64 v[38:39], v37, v[8:9]
	v_and_b32_e32 v37, 7, v38
	v_cndmask_b32_e64 v20, v20, v32, s[0:1]
	v_lshlrev_b32_e32 v8, 8, v8
	v_lshl_add_u32 v20, v20, 10, v5
	v_cndmask_b32_e64 v25, v25, v37, s[0:1]
	v_and_or_b32 v8, v8, s34, v20
	v_lshl_or_b32 v8, v25, 7, v8
	v_cvt_f32_f16_e32 v25, v8
.LBB258_60:                             ;   in Loop: Header=BB258_44 Depth=1
	s_or_b64 exec, exec, s[16:17]
	v_cmp_gt_i16_sdwa s[2:3], v21, s30 src0_sel:BYTE_0 src1_sel:DWORD
	s_mov_b64 s[0:1], 0
                                        ; implicit-def: $sgpr18
	s_and_saveexec_b64 s[16:17], s[2:3]
	s_xor_b64 s[2:3], exec, s[16:17]
	s_cbranch_execnz .LBB258_129
; %bb.61:                               ;   in Loop: Header=BB258_44 Depth=1
	s_or_saveexec_b64 s[2:3], s[2:3]
	v_mov_b32_e32 v20, s18
	s_xor_b64 exec, exec, s[2:3]
	s_cbranch_execnz .LBB258_132
.LBB258_62:                             ;   in Loop: Header=BB258_44 Depth=1
	s_or_b64 exec, exec, s[2:3]
	v_mov_b32_e32 v8, v21
	s_and_saveexec_b64 s[2:3], s[0:1]
	s_cbranch_execz .LBB258_64
.LBB258_63:                             ;   in Loop: Header=BB258_44 Depth=1
	v_and_b32_e32 v20, 7, v21
	v_ffbh_u32_e32 v20, v20
	v_bfe_u32 v32, v21, 3, 4
	v_min_u32_e32 v20, 32, v20
	v_subrev_u32_e32 v37, 28, v20
	v_sub_u32_e32 v20, 29, v20
	v_cmp_eq_u32_e64 s[0:1], 0, v32
	s_nop 1
	v_cndmask_b32_e64 v20, v32, v20, s[0:1]
	v_cndmask_b32_e64 v32, 0, v37, s[0:1]
	v_lshlrev_b64 v[38:39], v32, v[8:9]
	v_lshlrev_b32_e32 v37, 8, v21
	v_lshl_add_u32 v20, v20, 10, v5
	v_lshlrev_b32_e32 v32, 7, v38
	v_and_or_b32 v20, v37, s34, v20
	v_and_or_b32 v20, v32, s35, v20
	v_cvt_f32_f16_e32 v20, v20
.LBB258_64:                             ;   in Loop: Header=BB258_44 Depth=1
	s_or_b64 exec, exec, s[2:3]
	v_lshrrev_b16_e32 v8, 8, v8
	v_cmp_lt_i16_e64 s[0:1], s30, v8
	s_mov_b64 s[2:3], 0
                                        ; implicit-def: $sgpr20
	s_and_saveexec_b64 s[16:17], s[0:1]
	s_xor_b64 s[16:17], exec, s[16:17]
	s_cbranch_execnz .LBB258_133
; %bb.65:                               ;   in Loop: Header=BB258_44 Depth=1
	s_or_saveexec_b64 s[16:17], s[16:17]
	v_mov_b32_e32 v32, s20
	s_xor_b64 exec, exec, s[16:17]
	s_cbranch_execnz .LBB258_136
.LBB258_66:                             ;   in Loop: Header=BB258_44 Depth=1
	s_or_b64 exec, exec, s[16:17]
	s_and_saveexec_b64 s[16:17], s[2:3]
	s_cbranch_execz .LBB258_68
.LBB258_67:                             ;   in Loop: Header=BB258_44 Depth=1
	v_and_b32_e32 v32, 7, v8
	v_ffbh_u32_e32 v38, v32
	v_min_u32_e32 v40, 32, v38
	v_subrev_u32_e32 v38, 28, v40
	v_bfe_u32 v37, v8, 3, 4
	v_lshlrev_b64 v[38:39], v38, v[8:9]
	v_sub_u32_e32 v39, 29, v40
	v_cmp_eq_u32_e64 s[0:1], 0, v37
	v_and_b32_e32 v38, 7, v38
	v_lshlrev_b32_e32 v8, 8, v8
	v_cndmask_b32_e64 v37, v37, v39, s[0:1]
	v_lshl_add_u32 v37, v37, 10, v5
	v_cndmask_b32_e64 v32, v32, v38, s[0:1]
	v_and_or_b32 v8, v8, s34, v37
	v_lshl_or_b32 v8, v32, 7, v8
	v_cvt_f32_f16_e32 v32, v8
.LBB258_68:                             ;   in Loop: Header=BB258_44 Depth=1
	s_or_b64 exec, exec, s[16:17]
	v_lshrrev_b32_e32 v8, 16, v21
	v_cmp_gt_i16_sdwa s[2:3], v8, s30 src0_sel:BYTE_0 src1_sel:DWORD
	s_mov_b64 s[0:1], 0
                                        ; implicit-def: $sgpr18
	s_and_saveexec_b64 s[16:17], s[2:3]
	s_xor_b64 s[2:3], exec, s[16:17]
	s_cbranch_execnz .LBB258_137
; %bb.69:                               ;   in Loop: Header=BB258_44 Depth=1
	s_or_saveexec_b64 s[2:3], s[2:3]
	v_mov_b32_e32 v37, s18
	s_xor_b64 exec, exec, s[2:3]
	s_cbranch_execnz .LBB258_140
.LBB258_70:                             ;   in Loop: Header=BB258_44 Depth=1
	s_or_b64 exec, exec, s[2:3]
	s_and_saveexec_b64 s[2:3], s[0:1]
	s_cbranch_execz .LBB258_72
.LBB258_71:                             ;   in Loop: Header=BB258_44 Depth=1
	v_bfe_u32 v37, v21, 16, 3
	v_ffbh_u32_e32 v38, v37
	v_min_u32_e32 v41, 32, v38
	v_subrev_u32_e32 v38, 28, v41
	v_bfe_u32 v40, v21, 19, 4
	v_lshlrev_b64 v[38:39], v38, v[8:9]
	v_sub_u32_e32 v39, 29, v41
	v_cmp_eq_u32_e64 s[0:1], 0, v40
	v_and_b32_e32 v38, 7, v38
	v_lshlrev_b32_e32 v8, 8, v8
	v_cndmask_b32_e64 v39, v40, v39, s[0:1]
	v_cndmask_b32_e64 v37, v37, v38, s[0:1]
	v_lshl_add_u32 v38, v39, 10, v5
	v_and_or_b32 v8, v8, s34, v38
	v_lshl_or_b32 v8, v37, 7, v8
	v_cvt_f32_f16_e32 v37, v8
.LBB258_72:                             ;   in Loop: Header=BB258_44 Depth=1
	s_or_b64 exec, exec, s[2:3]
	v_lshrrev_b32_e32 v8, 24, v21
	v_cmp_lt_i16_e64 s[0:1], s30, v8
	s_mov_b64 s[2:3], 0
                                        ; implicit-def: $sgpr20
	s_and_saveexec_b64 s[16:17], s[0:1]
	s_xor_b64 s[16:17], exec, s[16:17]
	s_cbranch_execnz .LBB258_141
; %bb.73:                               ;   in Loop: Header=BB258_44 Depth=1
	s_or_saveexec_b64 s[16:17], s[16:17]
	v_mov_b32_e32 v38, s20
	s_xor_b64 exec, exec, s[16:17]
	s_cbranch_execnz .LBB258_144
.LBB258_74:                             ;   in Loop: Header=BB258_44 Depth=1
	s_or_b64 exec, exec, s[16:17]
	s_and_saveexec_b64 s[16:17], s[2:3]
	s_cbranch_execz .LBB258_76
.LBB258_75:                             ;   in Loop: Header=BB258_44 Depth=1
	v_bfe_u32 v40, v21, 24, 3
	v_ffbh_u32_e32 v38, v40
	v_min_u32_e32 v41, 32, v38
	v_subrev_u32_e32 v38, 28, v41
	v_bfe_u32 v21, v21, 27, 4
	v_lshlrev_b64 v[38:39], v38, v[8:9]
	v_sub_u32_e32 v39, 29, v41
	v_cmp_eq_u32_e64 s[0:1], 0, v21
	v_and_b32_e32 v38, 7, v38
	v_lshlrev_b32_e32 v8, 8, v8
	v_cndmask_b32_e64 v21, v21, v39, s[0:1]
	v_lshl_add_u32 v21, v21, 10, v5
	v_cndmask_b32_e64 v38, v40, v38, s[0:1]
	v_and_or_b32 v8, v8, s34, v21
	v_lshl_or_b32 v8, v38, 7, v8
	v_cvt_f32_f16_e32 v38, v8
.LBB258_76:                             ;   in Loop: Header=BB258_44 Depth=1
	s_or_b64 exec, exec, s[16:17]
	s_waitcnt vmcnt(0)
	v_pk_mul_f32 v[24:25], v[18:19], v[24:25] op_sel_hi:[0,1]
	v_pk_mul_f32 v[22:23], v[18:19], v[22:23] op_sel_hi:[0,1]
	v_cvt_f16_f32_e32 v8, v25
	v_cvt_f16_f32_e32 v21, v24
	;; [unrolled: 1-line block ×4, first 2 shown]
	v_fma_mixlo_f16 v20, v18, v20, 0
	v_pack_b32_f16 v21, v21, v8
	v_cmp_eq_u32_e64 s[2:3], s9, v4
	v_pack_b32_f16 v22, v22, v23
	v_perm_b32 v8, v22, v21, s36
	v_perm_b32 v21, v22, v21, s37
	v_fma_mixlo_f16 v22, v18, v32, 0
	v_lshlrev_b32_e32 v22, 16, v22
	v_or_b32_sdwa v20, v22, v20 dst_sel:DWORD dst_unused:UNUSED_PAD src0_sel:DWORD src1_sel:WORD_0
	v_fma_mixlo_f16 v22, v18, v37, 0
	v_fma_mixlo_f16 v18, v18, v38, 0
	v_lshlrev_b32_e32 v18, 16, v18
	v_or_b32_sdwa v18, v18, v22 dst_sel:DWORD dst_unused:UNUSED_PAD src0_sel:DWORD src1_sel:WORD_0
	s_and_saveexec_b64 s[16:17], s[2:3]
	s_cbranch_execz .LBB258_78
; %bb.77:                               ;   in Loop: Header=BB258_44 Depth=1
	v_add_u32_e32 v23, 1, v27
	v_lshrrev_b32_e32 v24, 16, v21
	v_cmp_gt_i32_e64 s[0:1], s28, v23
	v_lshrrev_b32_e32 v25, 16, v8
	v_lshrrev_b32_e32 v18, 16, v18
	v_cndmask_b32_e64 v23, 0, v24, s[0:1]
	v_cmp_gt_i32_e64 s[0:1], s29, v27
	v_or_b32_e32 v24, 2, v27
	s_nop 0
	v_cndmask_b32_e64 v21, 0, v21, s[0:1]
	v_perm_b32 v21, v23, v21, s38
	v_or_b32_e32 v23, 3, v27
	v_cmp_gt_i32_e64 s[0:1], s28, v23
	s_nop 1
	v_cndmask_b32_e64 v23, 0, v25, s[0:1]
	v_cmp_gt_i32_e64 s[0:1], s29, v24
	v_or_b32_e32 v24, 4, v27
	v_lshrrev_b32_e32 v25, 16, v20
	v_cndmask_b32_e64 v8, 0, v8, s[0:1]
	v_perm_b32 v8, v23, v8, s38
	v_or_b32_e32 v23, 5, v27
	v_cmp_gt_i32_e64 s[0:1], s28, v23
	s_nop 1
	v_cndmask_b32_e64 v23, 0, v25, s[0:1]
	v_cmp_gt_i32_e64 s[0:1], s29, v24
	v_or_b32_e32 v24, 6, v27
	s_nop 0
	v_cndmask_b32_e64 v20, 0, v20, s[0:1]
	v_perm_b32 v20, v23, v20, s38
	v_or_b32_e32 v23, 7, v27
	v_cmp_gt_i32_e64 s[0:1], s28, v23
	s_nop 1
	v_cndmask_b32_e64 v18, 0, v18, s[0:1]
	v_cmp_gt_i32_e64 s[0:1], s29, v24
	s_nop 1
	v_cndmask_b32_e64 v22, 0, v22, s[0:1]
	v_perm_b32 v18, v18, v22, s38
.LBB258_78:                             ;   in Loop: Header=BB258_44 Depth=1
	s_or_b64 exec, exec, s[16:17]
	v_and_b32_e32 v19, 0xffff, v19
	v_lshl_or_b32 v32, v29, 16, v19
	v_and_b32_e32 v19, 0xffff, v30
	v_lshl_or_b32 v31, v31, 16, v19
	;; [unrolled: 2-line block ×4, first 2 shown]
	;;#ASMSTART
	v_pk_mul_f16 v19, v32, v21;

	;;#ASMEND
	;;#ASMSTART
	v_pk_mul_f16 v8, v31, v8;

	;;#ASMEND
	;; [unrolled: 4-line block ×4, first 2 shown]
	s_nop 0
	;;#ASMSTART
	v_pk_add_f16 v8, v19, v8;

	;;#ASMEND
	s_nop 0
	;;#ASMSTART
	v_pk_add_f16 v8, v8, v20;

	;;#ASMEND
	;; [unrolled: 5-line block ×3, first 2 shown]
	s_nop 0
	v_lshrrev_b32_e32 v18, 16, v8
	v_and_b32_e32 v8, 0xffff, v8
	;;#ASMSTART
	v_cvt_f32_f16 v24, v8;
	;;#ASMEND
	;;#ASMSTART
	v_cvt_f32_f16 v25, v18;
	;;#ASMEND
	s_and_saveexec_b64 s[16:17], vcc
	s_cbranch_execz .LBB258_43
; %bb.79:                               ;   in Loop: Header=BB258_44 Depth=1
	v_lshl_add_u64 v[20:21], v[16:17], 0, v[10:11]
	global_load_dwordx2 v[18:19], v[20:21], off
	global_load_dword v16, v9, s[14:15]
	s_mov_b64 s[0:1], 0
                                        ; implicit-def: $sgpr22
	s_waitcnt vmcnt(1)
	v_cmp_gt_i16_sdwa s[18:19], v18, s30 src0_sel:BYTE_0 src1_sel:DWORD
	s_and_saveexec_b64 s[20:21], s[18:19]
	s_xor_b64 s[18:19], exec, s[20:21]
	s_cbranch_execnz .LBB258_145
; %bb.80:                               ;   in Loop: Header=BB258_44 Depth=1
	s_or_saveexec_b64 s[18:19], s[18:19]
	v_mov_b32_e32 v20, s22
	s_xor_b64 exec, exec, s[18:19]
	s_cbranch_execnz .LBB258_148
.LBB258_81:                             ;   in Loop: Header=BB258_44 Depth=1
	s_or_b64 exec, exec, s[18:19]
	s_and_saveexec_b64 s[18:19], s[0:1]
	s_cbranch_execz .LBB258_83
.LBB258_82:                             ;   in Loop: Header=BB258_44 Depth=1
	v_and_b32_e32 v8, 7, v18
	v_ffbh_u32_e32 v8, v8
	v_bfe_u32 v17, v18, 3, 4
	v_min_u32_e32 v8, 32, v8
	v_subrev_u32_e32 v20, 28, v8
	v_sub_u32_e32 v8, 29, v8
	v_cmp_eq_u32_e64 s[0:1], 0, v17
	s_nop 1
	v_cndmask_b32_e64 v8, v17, v8, s[0:1]
	v_cndmask_b32_e64 v17, 0, v20, s[0:1]
	v_lshlrev_b64 v[20:21], v17, v[18:19]
	v_lshlrev_b32_e32 v17, 7, v20
	v_lshlrev_b32_e32 v20, 8, v18
	v_lshl_add_u32 v8, v8, 10, v5
	v_and_or_b32 v8, v20, s34, v8
	v_and_or_b32 v8, v17, s35, v8
	v_cvt_f32_f16_e32 v20, v8
.LBB258_83:                             ;   in Loop: Header=BB258_44 Depth=1
	s_or_b64 exec, exec, s[18:19]
	v_lshrrev_b16_e32 v8, 8, v18
	v_cmp_lt_i16_e64 s[0:1], s30, v8
	s_mov_b64 s[18:19], 0
                                        ; implicit-def: $sgpr39
	s_and_saveexec_b64 s[20:21], s[0:1]
	s_xor_b64 s[20:21], exec, s[20:21]
	s_cbranch_execnz .LBB258_149
; %bb.84:                               ;   in Loop: Header=BB258_44 Depth=1
	s_or_saveexec_b64 s[20:21], s[20:21]
	v_mov_b32_e32 v22, s39
	s_xor_b64 exec, exec, s[20:21]
	s_cbranch_execnz .LBB258_152
.LBB258_85:                             ;   in Loop: Header=BB258_44 Depth=1
	s_or_b64 exec, exec, s[20:21]
	s_and_saveexec_b64 s[20:21], s[18:19]
	s_cbranch_execz .LBB258_87
.LBB258_86:                             ;   in Loop: Header=BB258_44 Depth=1
	v_and_b32_e32 v17, 7, v8
	v_ffbh_u32_e32 v22, v17
	v_min_u32_e32 v33, 32, v22
	v_subrev_u32_e32 v22, 28, v33
	v_bfe_u32 v21, v8, 3, 4
	v_lshlrev_b64 v[22:23], v22, v[8:9]
	v_sub_u32_e32 v23, 29, v33
	v_cmp_eq_u32_e64 s[0:1], 0, v21
	v_and_b32_e32 v22, 7, v22
	v_lshlrev_b32_e32 v8, 8, v8
	v_cndmask_b32_e64 v21, v21, v23, s[0:1]
	v_lshl_add_u32 v21, v21, 10, v5
	v_cndmask_b32_e64 v17, v17, v22, s[0:1]
	v_and_or_b32 v8, v8, s34, v21
	v_lshl_or_b32 v8, v17, 7, v8
	v_cvt_f32_f16_e32 v22, v8
.LBB258_87:                             ;   in Loop: Header=BB258_44 Depth=1
	s_or_b64 exec, exec, s[20:21]
	v_lshrrev_b32_e32 v8, 16, v18
	v_cmp_gt_i16_sdwa s[18:19], v8, s30 src0_sel:BYTE_0 src1_sel:DWORD
	s_mov_b64 s[0:1], 0
                                        ; implicit-def: $sgpr22
	s_and_saveexec_b64 s[20:21], s[18:19]
	s_xor_b64 s[18:19], exec, s[20:21]
	s_cbranch_execnz .LBB258_153
; %bb.88:                               ;   in Loop: Header=BB258_44 Depth=1
	s_or_saveexec_b64 s[18:19], s[18:19]
	v_mov_b32_e32 v21, s22
	s_xor_b64 exec, exec, s[18:19]
	s_cbranch_execnz .LBB258_156
.LBB258_89:                             ;   in Loop: Header=BB258_44 Depth=1
	s_or_b64 exec, exec, s[18:19]
	s_and_saveexec_b64 s[18:19], s[0:1]
	s_cbranch_execz .LBB258_91
.LBB258_90:                             ;   in Loop: Header=BB258_44 Depth=1
	v_bfe_u32 v17, v18, 16, 3
	v_ffbh_u32_e32 v23, v17
	v_bfe_u32 v21, v18, 19, 4
	v_min_u32_e32 v23, 32, v23
	v_subrev_u32_e32 v33, 28, v23
	v_sub_u32_e32 v23, 29, v23
	v_cmp_eq_u32_e64 s[0:1], 0, v21
	v_lshlrev_b64 v[34:35], v33, v[8:9]
	v_and_b32_e32 v33, 7, v34
	v_cndmask_b32_e64 v21, v21, v23, s[0:1]
	v_lshlrev_b32_e32 v8, 8, v8
	v_lshl_add_u32 v21, v21, 10, v5
	v_cndmask_b32_e64 v17, v17, v33, s[0:1]
	v_and_or_b32 v8, v8, s34, v21
	v_lshl_or_b32 v8, v17, 7, v8
	v_cvt_f32_f16_e32 v21, v8
.LBB258_91:                             ;   in Loop: Header=BB258_44 Depth=1
	s_or_b64 exec, exec, s[18:19]
	v_lshrrev_b32_e32 v8, 24, v18
	v_cmp_lt_i16_e64 s[0:1], s30, v8
	s_mov_b64 s[18:19], 0
                                        ; implicit-def: $sgpr39
	s_and_saveexec_b64 s[20:21], s[0:1]
	s_xor_b64 s[20:21], exec, s[20:21]
	s_cbranch_execnz .LBB258_157
; %bb.92:                               ;   in Loop: Header=BB258_44 Depth=1
	s_or_saveexec_b64 s[20:21], s[20:21]
	v_mov_b32_e32 v23, s39
	s_xor_b64 exec, exec, s[20:21]
	s_cbranch_execnz .LBB258_160
.LBB258_93:                             ;   in Loop: Header=BB258_44 Depth=1
	s_or_b64 exec, exec, s[20:21]
	s_and_saveexec_b64 s[20:21], s[18:19]
	s_cbranch_execz .LBB258_95
.LBB258_94:                             ;   in Loop: Header=BB258_44 Depth=1
	v_bfe_u32 v17, v18, 24, 3
	v_ffbh_u32_e32 v23, v17
	v_bfe_u32 v18, v18, 27, 4
	v_min_u32_e32 v23, 32, v23
	v_subrev_u32_e32 v33, 28, v23
	v_sub_u32_e32 v23, 29, v23
	v_cmp_eq_u32_e64 s[0:1], 0, v18
	v_lshlrev_b64 v[34:35], v33, v[8:9]
	v_and_b32_e32 v33, 7, v34
	v_cndmask_b32_e64 v18, v18, v23, s[0:1]
	v_lshlrev_b32_e32 v8, 8, v8
	v_lshl_add_u32 v18, v18, 10, v5
	v_cndmask_b32_e64 v17, v17, v33, s[0:1]
	v_and_or_b32 v8, v8, s34, v18
	v_lshl_or_b32 v8, v17, 7, v8
	v_cvt_f32_f16_e32 v23, v8
.LBB258_95:                             ;   in Loop: Header=BB258_44 Depth=1
	s_or_b64 exec, exec, s[20:21]
	v_cmp_gt_i16_sdwa s[18:19], v19, s30 src0_sel:BYTE_0 src1_sel:DWORD
	s_mov_b64 s[0:1], 0
                                        ; implicit-def: $sgpr22
	s_and_saveexec_b64 s[20:21], s[18:19]
	s_xor_b64 s[18:19], exec, s[20:21]
	s_cbranch_execnz .LBB258_161
; %bb.96:                               ;   in Loop: Header=BB258_44 Depth=1
	s_or_saveexec_b64 s[18:19], s[18:19]
	v_mov_b32_e32 v17, s22
	s_xor_b64 exec, exec, s[18:19]
	s_cbranch_execnz .LBB258_164
.LBB258_97:                             ;   in Loop: Header=BB258_44 Depth=1
	s_or_b64 exec, exec, s[18:19]
	v_mov_b32_e32 v8, v19
	s_and_saveexec_b64 s[18:19], s[0:1]
	s_cbranch_execz .LBB258_99
.LBB258_98:                             ;   in Loop: Header=BB258_44 Depth=1
	v_and_b32_e32 v17, 7, v19
	v_ffbh_u32_e32 v17, v17
	v_bfe_u32 v18, v19, 3, 4
	v_min_u32_e32 v17, 32, v17
	v_subrev_u32_e32 v33, 28, v17
	v_sub_u32_e32 v17, 29, v17
	v_cmp_eq_u32_e64 s[0:1], 0, v18
	s_nop 1
	v_cndmask_b32_e64 v17, v18, v17, s[0:1]
	v_cndmask_b32_e64 v18, 0, v33, s[0:1]
	v_lshlrev_b64 v[34:35], v18, v[8:9]
	v_lshlrev_b32_e32 v33, 8, v19
	v_lshl_add_u32 v17, v17, 10, v5
	v_lshlrev_b32_e32 v18, 7, v34
	v_and_or_b32 v17, v33, s34, v17
	v_and_or_b32 v17, v18, s35, v17
	v_cvt_f32_f16_e32 v17, v17
.LBB258_99:                             ;   in Loop: Header=BB258_44 Depth=1
	s_or_b64 exec, exec, s[18:19]
	v_lshrrev_b16_e32 v8, 8, v8
	v_cmp_lt_i16_e64 s[0:1], s30, v8
	s_mov_b64 s[18:19], 0
                                        ; implicit-def: $sgpr39
	s_and_saveexec_b64 s[20:21], s[0:1]
	s_xor_b64 s[20:21], exec, s[20:21]
	s_cbranch_execnz .LBB258_165
; %bb.100:                              ;   in Loop: Header=BB258_44 Depth=1
	s_or_saveexec_b64 s[20:21], s[20:21]
	v_mov_b32_e32 v18, s39
	s_xor_b64 exec, exec, s[20:21]
	s_cbranch_execnz .LBB258_168
.LBB258_101:                            ;   in Loop: Header=BB258_44 Depth=1
	s_or_b64 exec, exec, s[20:21]
	s_and_saveexec_b64 s[20:21], s[18:19]
	s_cbranch_execz .LBB258_103
.LBB258_102:                            ;   in Loop: Header=BB258_44 Depth=1
	v_and_b32_e32 v18, 7, v8
	v_ffbh_u32_e32 v34, v18
	v_min_u32_e32 v36, 32, v34
	v_subrev_u32_e32 v34, 28, v36
	v_bfe_u32 v33, v8, 3, 4
	v_lshlrev_b64 v[34:35], v34, v[8:9]
	v_sub_u32_e32 v35, 29, v36
	v_cmp_eq_u32_e64 s[0:1], 0, v33
	v_and_b32_e32 v34, 7, v34
	v_lshlrev_b32_e32 v8, 8, v8
	v_cndmask_b32_e64 v33, v33, v35, s[0:1]
	v_lshl_add_u32 v33, v33, 10, v5
	v_cndmask_b32_e64 v18, v18, v34, s[0:1]
	v_and_or_b32 v8, v8, s34, v33
	v_lshl_or_b32 v8, v18, 7, v8
	v_cvt_f32_f16_e32 v18, v8
.LBB258_103:                            ;   in Loop: Header=BB258_44 Depth=1
	s_or_b64 exec, exec, s[20:21]
	v_lshrrev_b32_e32 v8, 16, v19
	v_cmp_gt_i16_sdwa s[18:19], v8, s30 src0_sel:BYTE_0 src1_sel:DWORD
	s_mov_b64 s[0:1], 0
                                        ; implicit-def: $sgpr22
	s_and_saveexec_b64 s[20:21], s[18:19]
	s_xor_b64 s[18:19], exec, s[20:21]
	s_cbranch_execnz .LBB258_169
; %bb.104:                              ;   in Loop: Header=BB258_44 Depth=1
	s_or_saveexec_b64 s[18:19], s[18:19]
	v_mov_b32_e32 v33, s22
	s_xor_b64 exec, exec, s[18:19]
	s_cbranch_execnz .LBB258_172
.LBB258_105:                            ;   in Loop: Header=BB258_44 Depth=1
	s_or_b64 exec, exec, s[18:19]
	s_and_saveexec_b64 s[18:19], s[0:1]
	s_cbranch_execz .LBB258_107
.LBB258_106:                            ;   in Loop: Header=BB258_44 Depth=1
	v_bfe_u32 v33, v19, 16, 3
	v_ffbh_u32_e32 v34, v33
	v_min_u32_e32 v37, 32, v34
	v_subrev_u32_e32 v34, 28, v37
	v_bfe_u32 v36, v19, 19, 4
	v_lshlrev_b64 v[34:35], v34, v[8:9]
	v_sub_u32_e32 v35, 29, v37
	v_cmp_eq_u32_e64 s[0:1], 0, v36
	v_and_b32_e32 v34, 7, v34
	v_lshlrev_b32_e32 v8, 8, v8
	v_cndmask_b32_e64 v35, v36, v35, s[0:1]
	v_cndmask_b32_e64 v33, v33, v34, s[0:1]
	v_lshl_add_u32 v34, v35, 10, v5
	v_and_or_b32 v8, v8, s34, v34
	v_lshl_or_b32 v8, v33, 7, v8
	v_cvt_f32_f16_e32 v33, v8
.LBB258_107:                            ;   in Loop: Header=BB258_44 Depth=1
	s_or_b64 exec, exec, s[18:19]
	v_lshrrev_b32_e32 v8, 24, v19
	v_cmp_lt_i16_e64 s[0:1], s30, v8
	s_mov_b64 s[18:19], 0
                                        ; implicit-def: $sgpr39
	s_and_saveexec_b64 s[20:21], s[0:1]
	s_xor_b64 s[20:21], exec, s[20:21]
	s_cbranch_execnz .LBB258_173
; %bb.108:                              ;   in Loop: Header=BB258_44 Depth=1
	s_or_saveexec_b64 s[20:21], s[20:21]
	v_mov_b32_e32 v34, s39
	s_xor_b64 exec, exec, s[20:21]
	s_cbranch_execnz .LBB258_176
.LBB258_109:                            ;   in Loop: Header=BB258_44 Depth=1
	s_or_b64 exec, exec, s[20:21]
	s_and_saveexec_b64 s[20:21], s[18:19]
	s_cbranch_execz .LBB258_111
.LBB258_110:                            ;   in Loop: Header=BB258_44 Depth=1
	v_bfe_u32 v36, v19, 24, 3
	v_ffbh_u32_e32 v34, v36
	v_min_u32_e32 v37, 32, v34
	v_subrev_u32_e32 v34, 28, v37
	v_bfe_u32 v19, v19, 27, 4
	v_lshlrev_b64 v[34:35], v34, v[8:9]
	v_sub_u32_e32 v35, 29, v37
	v_cmp_eq_u32_e64 s[0:1], 0, v19
	v_and_b32_e32 v34, 7, v34
	v_lshlrev_b32_e32 v8, 8, v8
	v_cndmask_b32_e64 v19, v19, v35, s[0:1]
	v_lshl_add_u32 v19, v19, 10, v5
	v_cndmask_b32_e64 v34, v36, v34, s[0:1]
	v_and_or_b32 v8, v8, s34, v19
	v_lshl_or_b32 v8, v34, 7, v8
	v_cvt_f32_f16_e32 v34, v8
.LBB258_111:                            ;   in Loop: Header=BB258_44 Depth=1
	s_or_b64 exec, exec, s[20:21]
	s_waitcnt vmcnt(0)
	v_pk_mul_f32 v[22:23], v[16:17], v[22:23] op_sel_hi:[0,1]
	v_pk_mul_f32 v[20:21], v[16:17], v[20:21] op_sel_hi:[0,1]
	v_cvt_f16_f32_e32 v8, v23
	v_cvt_f16_f32_e32 v19, v22
	v_cvt_f16_f32_e32 v21, v21
	v_cvt_f16_f32_e32 v20, v20
	v_fma_mixlo_f16 v18, v16, v18, 0
	v_lshlrev_b32_e32 v18, 16, v18
	v_fma_mixlo_f16 v17, v16, v17, 0
	v_or_b32_sdwa v17, v18, v17 dst_sel:DWORD dst_unused:UNUSED_PAD src0_sel:DWORD src1_sel:WORD_0
	v_fma_mixlo_f16 v18, v16, v33, 0
	v_fma_mixlo_f16 v16, v16, v34, 0
	v_pack_b32_f16 v19, v19, v8
	v_pack_b32_f16 v20, v20, v21
	v_lshlrev_b32_e32 v16, 16, v16
	v_perm_b32 v8, v20, v19, s36
	v_perm_b32 v19, v20, v19, s37
	v_or_b32_sdwa v16, v16, v18 dst_sel:DWORD dst_unused:UNUSED_PAD src0_sel:DWORD src1_sel:WORD_0
	s_and_saveexec_b64 s[18:19], s[2:3]
	s_cbranch_execz .LBB258_42
; %bb.112:                              ;   in Loop: Header=BB258_44 Depth=1
	v_add_u32_e32 v20, 1, v27
	v_lshrrev_b32_e32 v21, 16, v19
	v_cmp_gt_i32_e64 s[0:1], s28, v20
	v_lshrrev_b32_e32 v22, 16, v8
	v_lshrrev_b32_e32 v16, 16, v16
	v_cndmask_b32_e64 v20, 0, v21, s[0:1]
	v_cmp_gt_i32_e64 s[0:1], s29, v27
	v_or_b32_e32 v21, 2, v27
	s_nop 0
	v_cndmask_b32_e64 v19, 0, v19, s[0:1]
	v_perm_b32 v19, v20, v19, s38
	v_or_b32_e32 v20, 3, v27
	v_cmp_gt_i32_e64 s[0:1], s28, v20
	s_nop 1
	v_cndmask_b32_e64 v20, 0, v22, s[0:1]
	v_cmp_gt_i32_e64 s[0:1], s29, v21
	v_or_b32_e32 v21, 4, v27
	v_lshrrev_b32_e32 v22, 16, v17
	v_cndmask_b32_e64 v8, 0, v8, s[0:1]
	v_perm_b32 v8, v20, v8, s38
	v_or_b32_e32 v20, 5, v27
	v_cmp_gt_i32_e64 s[0:1], s28, v20
	s_nop 1
	v_cndmask_b32_e64 v20, 0, v22, s[0:1]
	v_cmp_gt_i32_e64 s[0:1], s29, v21
	v_or_b32_e32 v21, 6, v27
	s_nop 0
	v_cndmask_b32_e64 v17, 0, v17, s[0:1]
	v_perm_b32 v17, v20, v17, s38
	v_or_b32_e32 v20, 7, v27
	v_cmp_gt_i32_e64 s[0:1], s28, v20
	s_nop 1
	v_cndmask_b32_e64 v16, 0, v16, s[0:1]
	v_cmp_gt_i32_e64 s[0:1], s29, v21
	s_nop 1
	v_cndmask_b32_e64 v18, 0, v18, s[0:1]
	v_perm_b32 v16, v16, v18, s38
	s_branch .LBB258_42
.LBB258_113:                            ;   in Loop: Header=BB258_44 Depth=1
	v_cmp_eq_u16_sdwa s[20:21], v20, s31 src0_sel:BYTE_0 src1_sel:DWORD
	s_mov_b64 s[0:1], -1
                                        ; implicit-def: $sgpr18
	s_and_saveexec_b64 s[16:17], s[20:21]
; %bb.114:                              ;   in Loop: Header=BB258_44 Depth=1
	s_mov_b32 s18, 0x7fc02000
	s_xor_b64 s[0:1], exec, -1
; %bb.115:                              ;   in Loop: Header=BB258_44 Depth=1
	s_or_b64 exec, exec, s[16:17]
	s_and_b64 s[0:1], s[0:1], exec
	s_or_saveexec_b64 s[2:3], s[2:3]
	v_mov_b32_e32 v22, s18
	s_xor_b64 exec, exec, s[2:3]
	s_cbranch_execz .LBB258_46
.LBB258_116:                            ;   in Loop: Header=BB258_44 Depth=1
	v_cmp_ne_u16_sdwa s[16:17], v20, v9 src0_sel:BYTE_0 src1_sel:DWORD
	s_andn2_b64 s[0:1], s[0:1], exec
	s_and_b64 s[16:17], s[16:17], exec
	v_mov_b32_e32 v22, 0
	s_or_b64 s[0:1], s[0:1], s[16:17]
	s_or_b64 exec, exec, s[2:3]
	s_and_saveexec_b64 s[2:3], s[0:1]
	s_cbranch_execnz .LBB258_47
	s_branch .LBB258_48
.LBB258_117:                            ;   in Loop: Header=BB258_44 Depth=1
	v_cmp_eq_u16_e64 s[0:1], s31, v8
	s_mov_b64 s[2:3], -1
                                        ; implicit-def: $sgpr20
	s_and_saveexec_b64 s[18:19], s[0:1]
; %bb.118:                              ;   in Loop: Header=BB258_44 Depth=1
	s_mov_b32 s20, 0x7fc02000
	s_xor_b64 s[2:3], exec, -1
; %bb.119:                              ;   in Loop: Header=BB258_44 Depth=1
	s_or_b64 exec, exec, s[18:19]
	s_and_b64 s[2:3], s[2:3], exec
	s_or_saveexec_b64 s[16:17], s[16:17]
	v_mov_b32_e32 v24, s20
	s_xor_b64 exec, exec, s[16:17]
	s_cbranch_execz .LBB258_50
.LBB258_120:                            ;   in Loop: Header=BB258_44 Depth=1
	v_cmp_ne_u16_e64 s[0:1], 0, v8
	s_andn2_b64 s[2:3], s[2:3], exec
	s_and_b64 s[0:1], s[0:1], exec
	v_mov_b32_e32 v24, 0
	s_or_b64 s[2:3], s[2:3], s[0:1]
	s_or_b64 exec, exec, s[16:17]
	s_and_saveexec_b64 s[16:17], s[2:3]
	s_cbranch_execnz .LBB258_51
	s_branch .LBB258_52
.LBB258_121:                            ;   in Loop: Header=BB258_44 Depth=1
	v_cmp_eq_u16_sdwa s[20:21], v8, s31 src0_sel:BYTE_0 src1_sel:DWORD
	s_mov_b64 s[0:1], -1
                                        ; implicit-def: $sgpr18
	s_and_saveexec_b64 s[16:17], s[20:21]
; %bb.122:                              ;   in Loop: Header=BB258_44 Depth=1
	s_mov_b32 s18, 0x7fc02000
	s_xor_b64 s[0:1], exec, -1
; %bb.123:                              ;   in Loop: Header=BB258_44 Depth=1
	s_or_b64 exec, exec, s[16:17]
	s_and_b64 s[0:1], s[0:1], exec
	s_or_saveexec_b64 s[2:3], s[2:3]
	v_mov_b32_e32 v23, s18
	s_xor_b64 exec, exec, s[2:3]
	s_cbranch_execz .LBB258_54
.LBB258_124:                            ;   in Loop: Header=BB258_44 Depth=1
	v_cmp_ne_u16_sdwa s[16:17], v8, v9 src0_sel:BYTE_0 src1_sel:DWORD
	s_andn2_b64 s[0:1], s[0:1], exec
	s_and_b64 s[16:17], s[16:17], exec
	v_mov_b32_e32 v23, 0
	s_or_b64 s[0:1], s[0:1], s[16:17]
	s_or_b64 exec, exec, s[2:3]
	s_and_saveexec_b64 s[2:3], s[0:1]
	s_cbranch_execnz .LBB258_55
	s_branch .LBB258_56
.LBB258_125:                            ;   in Loop: Header=BB258_44 Depth=1
	v_cmp_eq_u16_e64 s[0:1], s31, v8
	s_mov_b64 s[2:3], -1
                                        ; implicit-def: $sgpr20
	s_and_saveexec_b64 s[18:19], s[0:1]
; %bb.126:                              ;   in Loop: Header=BB258_44 Depth=1
	s_mov_b32 s20, 0x7fc02000
	s_xor_b64 s[2:3], exec, -1
; %bb.127:                              ;   in Loop: Header=BB258_44 Depth=1
	s_or_b64 exec, exec, s[18:19]
	s_and_b64 s[2:3], s[2:3], exec
	s_or_saveexec_b64 s[16:17], s[16:17]
	v_mov_b32_e32 v25, s20
	s_xor_b64 exec, exec, s[16:17]
	s_cbranch_execz .LBB258_58
.LBB258_128:                            ;   in Loop: Header=BB258_44 Depth=1
	v_cmp_ne_u16_e64 s[0:1], 0, v8
	s_andn2_b64 s[2:3], s[2:3], exec
	s_and_b64 s[0:1], s[0:1], exec
	v_mov_b32_e32 v25, 0
	s_or_b64 s[2:3], s[2:3], s[0:1]
	s_or_b64 exec, exec, s[16:17]
	s_and_saveexec_b64 s[16:17], s[2:3]
	s_cbranch_execnz .LBB258_59
	s_branch .LBB258_60
.LBB258_129:                            ;   in Loop: Header=BB258_44 Depth=1
	v_cmp_eq_u16_sdwa s[20:21], v21, s31 src0_sel:BYTE_0 src1_sel:DWORD
	s_mov_b64 s[0:1], -1
                                        ; implicit-def: $sgpr18
	s_and_saveexec_b64 s[16:17], s[20:21]
; %bb.130:                              ;   in Loop: Header=BB258_44 Depth=1
	s_mov_b32 s18, 0x7fc02000
	s_xor_b64 s[0:1], exec, -1
; %bb.131:                              ;   in Loop: Header=BB258_44 Depth=1
	s_or_b64 exec, exec, s[16:17]
	s_and_b64 s[0:1], s[0:1], exec
	s_or_saveexec_b64 s[2:3], s[2:3]
	v_mov_b32_e32 v20, s18
	s_xor_b64 exec, exec, s[2:3]
	s_cbranch_execz .LBB258_62
.LBB258_132:                            ;   in Loop: Header=BB258_44 Depth=1
	v_cmp_ne_u16_sdwa s[16:17], v21, v9 src0_sel:BYTE_0 src1_sel:DWORD
	s_andn2_b64 s[0:1], s[0:1], exec
	s_and_b64 s[16:17], s[16:17], exec
	v_mov_b32_e32 v20, 0
	s_or_b64 s[0:1], s[0:1], s[16:17]
	s_or_b64 exec, exec, s[2:3]
	v_mov_b32_e32 v8, v21
	s_and_saveexec_b64 s[2:3], s[0:1]
	s_cbranch_execnz .LBB258_63
	s_branch .LBB258_64
.LBB258_133:                            ;   in Loop: Header=BB258_44 Depth=1
	v_cmp_eq_u16_e64 s[0:1], s31, v8
	s_mov_b64 s[2:3], -1
                                        ; implicit-def: $sgpr20
	s_and_saveexec_b64 s[18:19], s[0:1]
; %bb.134:                              ;   in Loop: Header=BB258_44 Depth=1
	s_mov_b32 s20, 0x7fc02000
	s_xor_b64 s[2:3], exec, -1
; %bb.135:                              ;   in Loop: Header=BB258_44 Depth=1
	s_or_b64 exec, exec, s[18:19]
	s_and_b64 s[2:3], s[2:3], exec
	s_or_saveexec_b64 s[16:17], s[16:17]
	v_mov_b32_e32 v32, s20
	s_xor_b64 exec, exec, s[16:17]
	s_cbranch_execz .LBB258_66
.LBB258_136:                            ;   in Loop: Header=BB258_44 Depth=1
	v_cmp_ne_u16_e64 s[0:1], 0, v8
	s_andn2_b64 s[2:3], s[2:3], exec
	s_and_b64 s[0:1], s[0:1], exec
	v_mov_b32_e32 v32, 0
	s_or_b64 s[2:3], s[2:3], s[0:1]
	s_or_b64 exec, exec, s[16:17]
	s_and_saveexec_b64 s[16:17], s[2:3]
	s_cbranch_execnz .LBB258_67
	s_branch .LBB258_68
.LBB258_137:                            ;   in Loop: Header=BB258_44 Depth=1
	v_cmp_eq_u16_sdwa s[20:21], v8, s31 src0_sel:BYTE_0 src1_sel:DWORD
	s_mov_b64 s[0:1], -1
                                        ; implicit-def: $sgpr18
	s_and_saveexec_b64 s[16:17], s[20:21]
; %bb.138:                              ;   in Loop: Header=BB258_44 Depth=1
	s_mov_b32 s18, 0x7fc02000
	s_xor_b64 s[0:1], exec, -1
; %bb.139:                              ;   in Loop: Header=BB258_44 Depth=1
	s_or_b64 exec, exec, s[16:17]
	s_and_b64 s[0:1], s[0:1], exec
	s_or_saveexec_b64 s[2:3], s[2:3]
	v_mov_b32_e32 v37, s18
	s_xor_b64 exec, exec, s[2:3]
	s_cbranch_execz .LBB258_70
.LBB258_140:                            ;   in Loop: Header=BB258_44 Depth=1
	v_cmp_ne_u16_sdwa s[16:17], v8, v9 src0_sel:BYTE_0 src1_sel:DWORD
	s_andn2_b64 s[0:1], s[0:1], exec
	s_and_b64 s[16:17], s[16:17], exec
	v_mov_b32_e32 v37, 0
	s_or_b64 s[0:1], s[0:1], s[16:17]
	s_or_b64 exec, exec, s[2:3]
	s_and_saveexec_b64 s[2:3], s[0:1]
	s_cbranch_execnz .LBB258_71
	s_branch .LBB258_72
.LBB258_141:                            ;   in Loop: Header=BB258_44 Depth=1
	v_cmp_eq_u16_e64 s[0:1], s31, v8
	s_mov_b64 s[2:3], -1
                                        ; implicit-def: $sgpr20
	s_and_saveexec_b64 s[18:19], s[0:1]
; %bb.142:                              ;   in Loop: Header=BB258_44 Depth=1
	s_mov_b32 s20, 0x7fc02000
	s_xor_b64 s[2:3], exec, -1
; %bb.143:                              ;   in Loop: Header=BB258_44 Depth=1
	s_or_b64 exec, exec, s[18:19]
	s_and_b64 s[2:3], s[2:3], exec
	s_or_saveexec_b64 s[16:17], s[16:17]
	v_mov_b32_e32 v38, s20
	s_xor_b64 exec, exec, s[16:17]
	s_cbranch_execz .LBB258_74
.LBB258_144:                            ;   in Loop: Header=BB258_44 Depth=1
	v_cmp_ne_u16_e64 s[0:1], 0, v8
	s_andn2_b64 s[2:3], s[2:3], exec
	s_and_b64 s[0:1], s[0:1], exec
	v_mov_b32_e32 v38, 0
	s_or_b64 s[2:3], s[2:3], s[0:1]
	s_or_b64 exec, exec, s[16:17]
	s_and_saveexec_b64 s[16:17], s[2:3]
	s_cbranch_execnz .LBB258_75
	s_branch .LBB258_76
.LBB258_145:                            ;   in Loop: Header=BB258_44 Depth=1
	v_cmp_eq_u16_sdwa s[40:41], v18, s31 src0_sel:BYTE_0 src1_sel:DWORD
	s_mov_b64 s[0:1], -1
                                        ; implicit-def: $sgpr22
	s_and_saveexec_b64 s[20:21], s[40:41]
; %bb.146:                              ;   in Loop: Header=BB258_44 Depth=1
	s_mov_b32 s22, 0x7fc02000
	s_xor_b64 s[0:1], exec, -1
; %bb.147:                              ;   in Loop: Header=BB258_44 Depth=1
	s_or_b64 exec, exec, s[20:21]
	s_and_b64 s[0:1], s[0:1], exec
	s_or_saveexec_b64 s[18:19], s[18:19]
	v_mov_b32_e32 v20, s22
	s_xor_b64 exec, exec, s[18:19]
	s_cbranch_execz .LBB258_81
.LBB258_148:                            ;   in Loop: Header=BB258_44 Depth=1
	v_cmp_ne_u16_sdwa s[20:21], v18, v9 src0_sel:BYTE_0 src1_sel:DWORD
	s_andn2_b64 s[0:1], s[0:1], exec
	s_and_b64 s[20:21], s[20:21], exec
	v_mov_b32_e32 v20, 0
	s_or_b64 s[0:1], s[0:1], s[20:21]
	s_or_b64 exec, exec, s[18:19]
	s_and_saveexec_b64 s[18:19], s[0:1]
	s_cbranch_execnz .LBB258_82
	s_branch .LBB258_83
.LBB258_149:                            ;   in Loop: Header=BB258_44 Depth=1
	v_cmp_eq_u16_e64 s[0:1], s31, v8
	s_mov_b64 s[18:19], -1
                                        ; implicit-def: $sgpr39
	s_and_saveexec_b64 s[22:23], s[0:1]
; %bb.150:                              ;   in Loop: Header=BB258_44 Depth=1
	s_mov_b32 s39, 0x7fc02000
	s_xor_b64 s[18:19], exec, -1
; %bb.151:                              ;   in Loop: Header=BB258_44 Depth=1
	s_or_b64 exec, exec, s[22:23]
	s_and_b64 s[18:19], s[18:19], exec
	s_or_saveexec_b64 s[20:21], s[20:21]
	v_mov_b32_e32 v22, s39
	s_xor_b64 exec, exec, s[20:21]
	s_cbranch_execz .LBB258_85
.LBB258_152:                            ;   in Loop: Header=BB258_44 Depth=1
	v_cmp_ne_u16_e64 s[0:1], 0, v8
	s_andn2_b64 s[18:19], s[18:19], exec
	s_and_b64 s[0:1], s[0:1], exec
	v_mov_b32_e32 v22, 0
	s_or_b64 s[18:19], s[18:19], s[0:1]
	s_or_b64 exec, exec, s[20:21]
	s_and_saveexec_b64 s[20:21], s[18:19]
	s_cbranch_execnz .LBB258_86
	s_branch .LBB258_87
.LBB258_153:                            ;   in Loop: Header=BB258_44 Depth=1
	v_cmp_eq_u16_sdwa s[40:41], v8, s31 src0_sel:BYTE_0 src1_sel:DWORD
	s_mov_b64 s[0:1], -1
                                        ; implicit-def: $sgpr22
	s_and_saveexec_b64 s[20:21], s[40:41]
; %bb.154:                              ;   in Loop: Header=BB258_44 Depth=1
	s_mov_b32 s22, 0x7fc02000
	s_xor_b64 s[0:1], exec, -1
; %bb.155:                              ;   in Loop: Header=BB258_44 Depth=1
	s_or_b64 exec, exec, s[20:21]
	s_and_b64 s[0:1], s[0:1], exec
	s_or_saveexec_b64 s[18:19], s[18:19]
	v_mov_b32_e32 v21, s22
	s_xor_b64 exec, exec, s[18:19]
	s_cbranch_execz .LBB258_89
.LBB258_156:                            ;   in Loop: Header=BB258_44 Depth=1
	v_cmp_ne_u16_sdwa s[20:21], v8, v9 src0_sel:BYTE_0 src1_sel:DWORD
	s_andn2_b64 s[0:1], s[0:1], exec
	s_and_b64 s[20:21], s[20:21], exec
	v_mov_b32_e32 v21, 0
	s_or_b64 s[0:1], s[0:1], s[20:21]
	s_or_b64 exec, exec, s[18:19]
	s_and_saveexec_b64 s[18:19], s[0:1]
	s_cbranch_execnz .LBB258_90
	s_branch .LBB258_91
.LBB258_157:                            ;   in Loop: Header=BB258_44 Depth=1
	v_cmp_eq_u16_e64 s[0:1], s31, v8
	s_mov_b64 s[18:19], -1
                                        ; implicit-def: $sgpr39
	s_and_saveexec_b64 s[22:23], s[0:1]
; %bb.158:                              ;   in Loop: Header=BB258_44 Depth=1
	s_mov_b32 s39, 0x7fc02000
	s_xor_b64 s[18:19], exec, -1
; %bb.159:                              ;   in Loop: Header=BB258_44 Depth=1
	s_or_b64 exec, exec, s[22:23]
	s_and_b64 s[18:19], s[18:19], exec
	s_or_saveexec_b64 s[20:21], s[20:21]
	v_mov_b32_e32 v23, s39
	s_xor_b64 exec, exec, s[20:21]
	s_cbranch_execz .LBB258_93
.LBB258_160:                            ;   in Loop: Header=BB258_44 Depth=1
	v_cmp_ne_u16_e64 s[0:1], 0, v8
	s_andn2_b64 s[18:19], s[18:19], exec
	s_and_b64 s[0:1], s[0:1], exec
	v_mov_b32_e32 v23, 0
	s_or_b64 s[18:19], s[18:19], s[0:1]
	s_or_b64 exec, exec, s[20:21]
	s_and_saveexec_b64 s[20:21], s[18:19]
	s_cbranch_execnz .LBB258_94
	s_branch .LBB258_95
.LBB258_161:                            ;   in Loop: Header=BB258_44 Depth=1
	v_cmp_eq_u16_sdwa s[40:41], v19, s31 src0_sel:BYTE_0 src1_sel:DWORD
	s_mov_b64 s[0:1], -1
                                        ; implicit-def: $sgpr22
	s_and_saveexec_b64 s[20:21], s[40:41]
; %bb.162:                              ;   in Loop: Header=BB258_44 Depth=1
	s_mov_b32 s22, 0x7fc02000
	s_xor_b64 s[0:1], exec, -1
; %bb.163:                              ;   in Loop: Header=BB258_44 Depth=1
	s_or_b64 exec, exec, s[20:21]
	s_and_b64 s[0:1], s[0:1], exec
	s_or_saveexec_b64 s[18:19], s[18:19]
	v_mov_b32_e32 v17, s22
	s_xor_b64 exec, exec, s[18:19]
	s_cbranch_execz .LBB258_97
.LBB258_164:                            ;   in Loop: Header=BB258_44 Depth=1
	v_cmp_ne_u16_sdwa s[20:21], v19, v9 src0_sel:BYTE_0 src1_sel:DWORD
	s_andn2_b64 s[0:1], s[0:1], exec
	s_and_b64 s[20:21], s[20:21], exec
	v_mov_b32_e32 v17, 0
	s_or_b64 s[0:1], s[0:1], s[20:21]
	s_or_b64 exec, exec, s[18:19]
	v_mov_b32_e32 v8, v19
	s_and_saveexec_b64 s[18:19], s[0:1]
	s_cbranch_execnz .LBB258_98
	s_branch .LBB258_99
.LBB258_165:                            ;   in Loop: Header=BB258_44 Depth=1
	v_cmp_eq_u16_e64 s[0:1], s31, v8
	s_mov_b64 s[18:19], -1
                                        ; implicit-def: $sgpr39
	s_and_saveexec_b64 s[22:23], s[0:1]
; %bb.166:                              ;   in Loop: Header=BB258_44 Depth=1
	s_mov_b32 s39, 0x7fc02000
	s_xor_b64 s[18:19], exec, -1
; %bb.167:                              ;   in Loop: Header=BB258_44 Depth=1
	s_or_b64 exec, exec, s[22:23]
	s_and_b64 s[18:19], s[18:19], exec
	s_or_saveexec_b64 s[20:21], s[20:21]
	v_mov_b32_e32 v18, s39
	s_xor_b64 exec, exec, s[20:21]
	s_cbranch_execz .LBB258_101
.LBB258_168:                            ;   in Loop: Header=BB258_44 Depth=1
	v_cmp_ne_u16_e64 s[0:1], 0, v8
	s_andn2_b64 s[18:19], s[18:19], exec
	s_and_b64 s[0:1], s[0:1], exec
	v_mov_b32_e32 v18, 0
	s_or_b64 s[18:19], s[18:19], s[0:1]
	s_or_b64 exec, exec, s[20:21]
	s_and_saveexec_b64 s[20:21], s[18:19]
	s_cbranch_execnz .LBB258_102
	s_branch .LBB258_103
.LBB258_169:                            ;   in Loop: Header=BB258_44 Depth=1
	v_cmp_eq_u16_sdwa s[40:41], v8, s31 src0_sel:BYTE_0 src1_sel:DWORD
	s_mov_b64 s[0:1], -1
                                        ; implicit-def: $sgpr22
	s_and_saveexec_b64 s[20:21], s[40:41]
; %bb.170:                              ;   in Loop: Header=BB258_44 Depth=1
	s_mov_b32 s22, 0x7fc02000
	s_xor_b64 s[0:1], exec, -1
; %bb.171:                              ;   in Loop: Header=BB258_44 Depth=1
	s_or_b64 exec, exec, s[20:21]
	s_and_b64 s[0:1], s[0:1], exec
	s_or_saveexec_b64 s[18:19], s[18:19]
	v_mov_b32_e32 v33, s22
	s_xor_b64 exec, exec, s[18:19]
	s_cbranch_execz .LBB258_105
.LBB258_172:                            ;   in Loop: Header=BB258_44 Depth=1
	v_cmp_ne_u16_sdwa s[20:21], v8, v9 src0_sel:BYTE_0 src1_sel:DWORD
	s_andn2_b64 s[0:1], s[0:1], exec
	s_and_b64 s[20:21], s[20:21], exec
	v_mov_b32_e32 v33, 0
	s_or_b64 s[0:1], s[0:1], s[20:21]
	s_or_b64 exec, exec, s[18:19]
	s_and_saveexec_b64 s[18:19], s[0:1]
	s_cbranch_execnz .LBB258_106
	s_branch .LBB258_107
.LBB258_173:                            ;   in Loop: Header=BB258_44 Depth=1
	v_cmp_eq_u16_e64 s[0:1], s31, v8
	s_mov_b64 s[18:19], -1
                                        ; implicit-def: $sgpr39
	s_and_saveexec_b64 s[22:23], s[0:1]
; %bb.174:                              ;   in Loop: Header=BB258_44 Depth=1
	s_mov_b32 s39, 0x7fc02000
	s_xor_b64 s[18:19], exec, -1
; %bb.175:                              ;   in Loop: Header=BB258_44 Depth=1
	s_or_b64 exec, exec, s[22:23]
	s_and_b64 s[18:19], s[18:19], exec
	s_or_saveexec_b64 s[20:21], s[20:21]
	v_mov_b32_e32 v34, s39
	s_xor_b64 exec, exec, s[20:21]
	s_cbranch_execz .LBB258_109
.LBB258_176:                            ;   in Loop: Header=BB258_44 Depth=1
	v_cmp_ne_u16_e64 s[0:1], 0, v8
	s_andn2_b64 s[18:19], s[18:19], exec
	s_and_b64 s[0:1], s[0:1], exec
	v_mov_b32_e32 v34, 0
	s_or_b64 s[18:19], s[18:19], s[0:1]
	s_or_b64 exec, exec, s[20:21]
	s_and_saveexec_b64 s[20:21], s[18:19]
	s_cbranch_execnz .LBB258_110
	s_branch .LBB258_111
.LBB258_177:
	s_or_b64 exec, exec, s[6:7]
.LBB258_178:
	s_or_b64 exec, exec, s[12:13]
	v_and_b32_e32 v4, 0x3c0, v0
	v_cmp_eq_u32_e32 vcc, 64, v4
	s_barrier
	s_and_saveexec_b64 s[0:1], vcc
	s_cbranch_execz .LBB258_181
; %bb.179:
	v_mov_b32_e32 v4, 0xf0
	v_lshl_add_u32 v1, v1, 2, v4
	ds_write_b32 v1, v3
	s_and_b64 exec, exec, s[10:11]
	s_cbranch_execz .LBB258_181
; %bb.180:
	v_lshl_add_u32 v1, v0, 2, v4
	ds_write_b32 v1, v26
.LBB258_181:
	s_or_b64 exec, exec, s[0:1]
	v_cmp_gt_u32_e32 vcc, 64, v0
	v_or_b32_e32 v1, 64, v0
	s_waitcnt lgkmcnt(0)
	s_barrier
	s_and_saveexec_b64 s[2:3], vcc
	s_cbranch_execz .LBB258_185
; %bb.182:
	v_mov_b32_e32 v4, 0xf0
	v_lshl_add_u32 v4, v0, 2, v4
	ds_read_b32 v0, v4
	s_movk_i32 s0, 0x70
	v_cmp_gt_u32_e64 s[0:1], s0, v1
	s_and_saveexec_b64 s[6:7], s[0:1]
	s_cbranch_execz .LBB258_184
; %bb.183:
	ds_read_b32 v4, v4 offset:256
	s_waitcnt lgkmcnt(0)
	v_add_f32_e32 v26, v26, v4
.LBB258_184:
	s_or_b64 exec, exec, s[6:7]
	s_waitcnt lgkmcnt(0)
	v_add_f32_e32 v3, v3, v0
.LBB258_185:
	s_or_b64 exec, exec, s[2:3]
	s_barrier
	s_and_saveexec_b64 s[0:1], vcc
	s_cbranch_execz .LBB258_188
; %bb.186:
	s_mul_i32 s0, s8, 0x70
	s_ashr_i32 s1, s0, 31
	s_lshl_b64 s[0:1], s[0:1], 1
	s_add_u32 s3, s26, s0
	s_mul_i32 s0, s25, s24
	s_addc_u32 s5, s27, s1
	s_ashr_i32 s1, s0, 31
	s_lshl_b64 s[0:1], s[0:1], 1
	s_add_u32 s3, s3, s0
	s_mul_i32 s0, s4, 0x70
	s_addc_u32 s5, s5, s1
	s_ashr_i32 s1, s0, 31
	s_lshl_b64 s[0:1], s[0:1], 1
	s_movk_i32 s2, 0x70
	s_add_u32 s0, s3, s0
	s_addc_u32 s1, s5, s1
	v_cmp_gt_u32_e32 vcc, s2, v1
	;;#ASMSTART
	v_cvt_f16_f32 v0, v3;

	;;#ASMEND
	global_store_short v2, v0, s[0:1]
	s_and_b64 exec, exec, vcc
	s_cbranch_execz .LBB258_188
; %bb.187:
	v_mov_b32_e32 v3, 0
	v_lshl_add_u64 v[0:1], s[0:1], 0, v[2:3]
	;;#ASMSTART
	v_cvt_f16_f32 v2, v26;

	;;#ASMEND
	global_store_short v[0:1], v2, off offset:128
.LBB258_188:
	s_endpgm
	.section	.rodata,"a",@progbits
	.p2align	6, 0x0
	.amdhsa_kernel _ZN4vllm25paged_attention_v2_kernelIthLi112ELi8ELi128ELNS_18Fp8KVCacheDataTypeE1ELb0ELi512EEEvPfS2_PT_PKS3_PKT0_S9_ifPKiSB_iPKfiiiSD_SD_iiiii
		.amdhsa_group_segment_fixed_size 240
		.amdhsa_private_segment_fixed_size 0
		.amdhsa_kernarg_size 400
		.amdhsa_user_sgpr_count 2
		.amdhsa_user_sgpr_dispatch_ptr 0
		.amdhsa_user_sgpr_queue_ptr 0
		.amdhsa_user_sgpr_kernarg_segment_ptr 1
		.amdhsa_user_sgpr_dispatch_id 0
		.amdhsa_user_sgpr_kernarg_preload_length 0
		.amdhsa_user_sgpr_kernarg_preload_offset 0
		.amdhsa_user_sgpr_private_segment_size 0
		.amdhsa_uses_dynamic_stack 0
		.amdhsa_enable_private_segment 0
		.amdhsa_system_sgpr_workgroup_id_x 1
		.amdhsa_system_sgpr_workgroup_id_y 1
		.amdhsa_system_sgpr_workgroup_id_z 1
		.amdhsa_system_sgpr_workgroup_info 0
		.amdhsa_system_vgpr_workitem_id 0
		.amdhsa_next_free_vgpr 47
		.amdhsa_next_free_sgpr 48
		.amdhsa_accum_offset 48
		.amdhsa_reserve_vcc 1
		.amdhsa_float_round_mode_32 0
		.amdhsa_float_round_mode_16_64 0
		.amdhsa_float_denorm_mode_32 3
		.amdhsa_float_denorm_mode_16_64 3
		.amdhsa_dx10_clamp 1
		.amdhsa_ieee_mode 1
		.amdhsa_fp16_overflow 0
		.amdhsa_tg_split 0
		.amdhsa_exception_fp_ieee_invalid_op 0
		.amdhsa_exception_fp_denorm_src 0
		.amdhsa_exception_fp_ieee_div_zero 0
		.amdhsa_exception_fp_ieee_overflow 0
		.amdhsa_exception_fp_ieee_underflow 0
		.amdhsa_exception_fp_ieee_inexact 0
		.amdhsa_exception_int_div_zero 0
	.end_amdhsa_kernel
	.section	.text._ZN4vllm25paged_attention_v2_kernelIthLi112ELi8ELi128ELNS_18Fp8KVCacheDataTypeE1ELb0ELi512EEEvPfS2_PT_PKS3_PKT0_S9_ifPKiSB_iPKfiiiSD_SD_iiiii,"axG",@progbits,_ZN4vllm25paged_attention_v2_kernelIthLi112ELi8ELi128ELNS_18Fp8KVCacheDataTypeE1ELb0ELi512EEEvPfS2_PT_PKS3_PKT0_S9_ifPKiSB_iPKfiiiSD_SD_iiiii,comdat
.Lfunc_end258:
	.size	_ZN4vllm25paged_attention_v2_kernelIthLi112ELi8ELi128ELNS_18Fp8KVCacheDataTypeE1ELb0ELi512EEEvPfS2_PT_PKS3_PKT0_S9_ifPKiSB_iPKfiiiSD_SD_iiiii, .Lfunc_end258-_ZN4vllm25paged_attention_v2_kernelIthLi112ELi8ELi128ELNS_18Fp8KVCacheDataTypeE1ELb0ELi512EEEvPfS2_PT_PKS3_PKT0_S9_ifPKiSB_iPKfiiiSD_SD_iiiii
                                        ; -- End function
	.section	.AMDGPU.csdata,"",@progbits
; Kernel info:
; codeLenInByte = 9312
; NumSgprs: 54
; NumVgprs: 47
; NumAgprs: 0
; TotalNumVgprs: 47
; ScratchSize: 0
; MemoryBound: 0
; FloatMode: 240
; IeeeMode: 1
; LDSByteSize: 240 bytes/workgroup (compile time only)
; SGPRBlocks: 6
; VGPRBlocks: 5
; NumSGPRsForWavesPerEU: 54
; NumVGPRsForWavesPerEU: 47
; AccumOffset: 48
; Occupancy: 8
; WaveLimiterHint : 1
; COMPUTE_PGM_RSRC2:SCRATCH_EN: 0
; COMPUTE_PGM_RSRC2:USER_SGPR: 2
; COMPUTE_PGM_RSRC2:TRAP_HANDLER: 0
; COMPUTE_PGM_RSRC2:TGID_X_EN: 1
; COMPUTE_PGM_RSRC2:TGID_Y_EN: 1
; COMPUTE_PGM_RSRC2:TGID_Z_EN: 1
; COMPUTE_PGM_RSRC2:TIDIG_COMP_CNT: 0
; COMPUTE_PGM_RSRC3_GFX90A:ACCUM_OFFSET: 11
; COMPUTE_PGM_RSRC3_GFX90A:TG_SPLIT: 0
	.section	.text._ZN4vllm25paged_attention_v2_kernelIthLi120ELi8ELi128ELNS_18Fp8KVCacheDataTypeE1ELb0ELi512EEEvPfS2_PT_PKS3_PKT0_S9_ifPKiSB_iPKfiiiSD_SD_iiiii,"axG",@progbits,_ZN4vllm25paged_attention_v2_kernelIthLi120ELi8ELi128ELNS_18Fp8KVCacheDataTypeE1ELb0ELi512EEEvPfS2_PT_PKS3_PKT0_S9_ifPKiSB_iPKfiiiSD_SD_iiiii,comdat
	.protected	_ZN4vllm25paged_attention_v2_kernelIthLi120ELi8ELi128ELNS_18Fp8KVCacheDataTypeE1ELb0ELi512EEEvPfS2_PT_PKS3_PKT0_S9_ifPKiSB_iPKfiiiSD_SD_iiiii ; -- Begin function _ZN4vllm25paged_attention_v2_kernelIthLi120ELi8ELi128ELNS_18Fp8KVCacheDataTypeE1ELb0ELi512EEEvPfS2_PT_PKS3_PKT0_S9_ifPKiSB_iPKfiiiSD_SD_iiiii
	.globl	_ZN4vllm25paged_attention_v2_kernelIthLi120ELi8ELi128ELNS_18Fp8KVCacheDataTypeE1ELb0ELi512EEEvPfS2_PT_PKS3_PKT0_S9_ifPKiSB_iPKfiiiSD_SD_iiiii
	.p2align	8
	.type	_ZN4vllm25paged_attention_v2_kernelIthLi120ELi8ELi128ELNS_18Fp8KVCacheDataTypeE1ELb0ELi512EEEvPfS2_PT_PKS3_PKT0_S9_ifPKiSB_iPKfiiiSD_SD_iiiii,@function
_ZN4vllm25paged_attention_v2_kernelIthLi120ELi8ELi128ELNS_18Fp8KVCacheDataTypeE1ELb0ELi512EEEvPfS2_PT_PKS3_PKT0_S9_ifPKiSB_iPKfiiiSD_SD_iiiii: ; @_ZN4vllm25paged_attention_v2_kernelIthLi120ELi8ELi128ELNS_18Fp8KVCacheDataTypeE1ELb0ELi512EEEvPfS2_PT_PKS3_PKT0_S9_ifPKiSB_iPKfiiiSD_SD_iiiii
; %bb.0:
	s_load_dwordx2 s[6:7], s[0:1], 0x40
	s_mov_b32 s28, s3
	s_ashr_i32 s29, s3, 31
	s_lshl_b64 s[8:9], s[28:29], 2
	s_waitcnt lgkmcnt(0)
	s_add_u32 s6, s6, s8
	s_addc_u32 s7, s7, s9
	s_load_dword s29, s[6:7], 0x0
	s_lshl_b32 s44, s4, 9
	s_waitcnt lgkmcnt(0)
	s_cmp_ge_i32 s44, s29
	s_cbranch_scc1 .LBB259_188
; %bb.1:
	s_load_dword s5, s[0:1], 0x90
	s_load_dwordx2 s[38:39], s[0:1], 0x30
	s_mov_b32 s45, 0
	s_waitcnt lgkmcnt(0)
	s_abs_i32 s7, s5
	s_abs_i32 s3, s38
	v_cvt_f32_u32_e32 v1, s3
	s_sub_i32 s8, 0, s3
	s_xor_b32 s6, s5, s38
	s_ashr_i32 s6, s6, 31
	v_rcp_iflag_f32_e32 v1, v1
	s_nop 0
	v_mul_f32_e32 v1, 0x4f7ffffe, v1
	v_cvt_u32_f32_e32 v1, v1
	s_nop 0
	v_readfirstlane_b32 s9, v1
	s_mul_i32 s8, s8, s9
	s_mul_hi_u32 s8, s9, s8
	s_add_i32 s9, s9, s8
	s_mul_hi_u32 s8, s7, s9
	s_mul_i32 s9, s8, s3
	s_sub_i32 s7, s7, s9
	s_add_i32 s10, s8, 1
	s_sub_i32 s9, s7, s3
	s_cmp_ge_u32 s7, s3
	s_cselect_b32 s8, s10, s8
	s_cselect_b32 s7, s9, s7
	s_add_i32 s9, s8, 1
	s_cmp_ge_u32 s7, s3
	s_cselect_b32 s3, s9, s8
	s_xor_b32 s3, s3, s6
	s_sub_i32 s10, s3, s6
	s_abs_i32 s8, s10
	v_cvt_f32_u32_e32 v1, s8
	s_load_dwordx2 s[6:7], s[0:1], 0x50
	s_sub_i32 s3, 0, s8
	s_abs_i32 s9, s2
	v_rcp_iflag_f32_e32 v1, v1
	s_nop 0
	v_mul_f32_e32 v1, 0x4f7ffffe, v1
	v_cvt_u32_f32_e32 v1, v1
	s_nop 0
	v_readfirstlane_b32 s11, v1
	s_mul_i32 s3, s3, s11
	s_mul_hi_u32 s3, s11, s3
	s_add_i32 s11, s11, s3
	s_waitcnt lgkmcnt(0)
	s_cmp_eq_u64 s[6:7], 0
	s_mul_hi_u32 s12, s9, s11
	s_cbranch_scc1 .LBB259_3
; %bb.2:
	s_ashr_i32 s3, s2, 31
	s_lshl_b64 s[14:15], s[2:3], 2
	s_add_u32 s6, s6, s14
	s_addc_u32 s7, s7, s15
	s_load_dword s45, s[6:7], 0x0
.LBB259_3:
	s_load_dwordx4 s[16:19], s[0:1], 0x58
	s_movk_i32 s3, 0x78
	s_ashr_i32 s13, s2, 31
	s_ashr_i32 s14, s10, 31
	v_and_b32_e32 v6, 7, v0
	s_mul_i32 s24, s2, 0x78
	v_cmp_gt_u32_e64 s[10:11], s3, v0
	v_lshlrev_b32_e32 v2, 1, v0
	s_and_saveexec_b64 s[6:7], s[10:11]
	s_cbranch_execz .LBB259_5
; %bb.4:
	s_load_dwordx2 s[20:21], s[0:1], 0x18
	s_waitcnt lgkmcnt(0)
	s_mul_i32 s22, s28, s16
	s_ashr_i32 s23, s22, 31
	s_lshl_b64 s[22:23], s[22:23], 1
	v_lshrrev_b32_e32 v3, 2, v0
	s_add_u32 s3, s20, s22
	s_addc_u32 s15, s21, s23
	s_ashr_i32 s25, s24, 31
	s_lshl_b64 s[20:21], s[24:25], 1
	s_add_u32 s20, s3, s20
	s_addc_u32 s21, s15, s21
	global_load_ushort v1, v2, s[20:21]
	v_and_b32_e32 v3, 0xfe, v3
	v_mad_u32_u24 v3, v6, 30, v3
	s_waitcnt vmcnt(0)
	ds_write_b16 v3, v1
.LBB259_5:
	s_or_b64 exec, exec, s[6:7]
	s_add_i32 s3, s29, 7
	s_ashr_i32 s6, s3, 31
	s_lshr_b32 s6, s6, 29
	s_add_i32 s3, s3, s6
	s_lshl_b32 s38, s4, 6
	s_mul_i32 s7, s12, s8
	s_ashr_i32 s3, s3, 3
	s_add_i32 s6, s38, 64
	s_sub_i32 s7, s9, s7
	s_min_i32 s33, s6, s3
	s_xor_b32 s6, s13, s14
	s_add_i32 s9, s12, 1
	s_sub_i32 s13, s7, s8
	s_cmp_ge_u32 s7, s8
	s_cselect_b32 s9, s9, s12
	s_cselect_b32 s7, s13, s7
	s_add_i32 s12, s9, 1
	s_cmp_ge_u32 s7, s8
	s_load_dwordx2 s[30:31], s[0:1], 0x38
	s_load_dword s8, s[0:1], 0x48
	v_lshrrev_b32_e32 v12, 6, v0
	s_cselect_b32 s7, s12, s9
	s_xor_b32 s7, s7, s6
	v_or_b32_e32 v4, s38, v12
	s_waitcnt lgkmcnt(0)
	s_mul_i32 s34, s28, s8
	s_sub_i32 s16, s7, s6
	s_ashr_i32 s35, s34, 31
	v_cmp_gt_i32_e64 s[6:7], s33, v4
	v_cmp_le_i32_e32 vcc, s33, v4
	v_mbcnt_lo_u32_b32 v17, -1, 0
	s_barrier
	s_waitcnt lgkmcnt(0)
                                        ; implicit-def: $sgpr19
                                        ; implicit-def: $vgpr3
                                        ; implicit-def: $vgpr13
	s_and_saveexec_b64 s[8:9], vcc
	s_xor_b64 s[8:9], exec, s[8:9]
; %bb.6:
	v_mbcnt_hi_u32_b32 v3, -1, v17
	v_and_b32_e32 v1, 64, v3
	v_add_u32_e32 v13, 64, v1
	s_mov_b32 s19, 0xff7fffff
                                        ; implicit-def: $vgpr6
                                        ; implicit-def: $vgpr17
; %bb.7:
	s_or_saveexec_b64 s[40:41], s[8:9]
	s_load_dwordx4 s[20:23], s[0:1], 0x0
	s_load_dwordx2 s[26:27], s[0:1], 0x10
	s_load_dword s25, s[0:1], 0x98
	s_load_dwordx2 s[36:37], s[0:1], 0x28
	s_load_dwordx4 s[12:15], s[0:1], 0x68
	v_mov_b32_e32 v1, s19
	s_mul_i32 s16, s16, s18
	v_ashrrev_i32_e32 v5, 31, v4
	s_xor_b64 exec, exec, s[40:41]
	s_cbranch_execz .LBB259_13
; %bb.8:
	s_load_dwordx2 s[0:1], s[0:1], 0x20
	s_ashr_i32 s8, s16, 31
	v_bfe_u32 v1, v0, 3, 3
	v_mov_b32_e32 v7, 0
	v_lshlrev_b32_e32 v8, 4, v1
	s_waitcnt lgkmcnt(0)
	s_add_u32 s0, s0, s16
	s_addc_u32 s1, s1, s8
	v_mov_b32_e32 v9, v7
	v_lshl_add_u64 v[8:9], s[0:1], 0, v[8:9]
	s_sub_i32 s47, 1, s29
	v_lshlrev_b32_e32 v3, 3, v12
	s_lshl_b64 s[0:1], s[34:35], 2
	v_add3_u32 v15, s44, v3, v1
	v_lshlrev_b32_e32 v1, 2, v1
	s_add_u32 s0, s30, s0
	v_mbcnt_hi_u32_b32 v3, -1, v17
	v_lshl_or_b32 v1, v12, 5, v1
	s_addc_u32 s1, s31, s1
	v_and_b32_e32 v13, 64, v3
	s_mov_b32 s46, s17
	v_mul_u32_u24_e32 v14, 30, v6
	v_cmp_eq_u32_e32 vcc, 0, v6
	v_cmp_neq_f32_e64 s[8:9], s45, 0
	v_add_u32_e32 v16, 0x100, v1
	v_lshl_add_u64 v[10:11], v[4:5], 2, s[0:1]
	s_mov_b64 s[18:19], 0
	v_mov_b32_e32 v1, 0xff7fffff
	v_add_u32_e32 v13, 64, v13
	v_xor_b32_e32 v17, 4, v3
	v_xor_b32_e32 v18, 2, v3
	;; [unrolled: 1-line block ×3, first 2 shown]
	v_mov_b32_e32 v20, v4
	s_branch .LBB259_10
.LBB259_9:                              ;   in Loop: Header=BB259_10 Depth=1
	s_or_b64 exec, exec, s[42:43]
	v_add_u32_e32 v20, 2, v20
	v_cmp_le_i32_e64 s[0:1], s33, v20
	v_add_u32_e32 v15, 16, v15
	v_add_u32_e32 v16, 64, v16
	s_or_b64 s[18:19], s[0:1], s[18:19]
	v_lshl_add_u64 v[10:11], v[10:11], 0, 8
	s_andn2_b64 exec, exec, s[18:19]
	s_cbranch_execz .LBB259_12
.LBB259_10:                             ; =>This Inner Loop Header: Depth=1
	global_load_dword v21, v[10:11], off
	s_waitcnt vmcnt(0) lgkmcnt(0)
	v_mad_i64_i32 v[22:23], s[0:1], v21, s46, v[8:9]
	v_lshl_add_u64 v[22:23], v[22:23], 0, v[6:7]
	global_load_ubyte v21, v[22:23], off
	global_load_ubyte v24, v[22:23], off offset:8
	global_load_dword v25, v7, s[12:13]
	global_load_ubyte v26, v[22:23], off offset:128
	global_load_ubyte v27, v[22:23], off offset:136
	;; [unrolled: 1-line block ×12, first 2 shown]
	s_nop 0
	global_load_ubyte v22, v[22:23], off offset:896
	ds_read_u16 v23, v14
	s_waitcnt lgkmcnt(0)
	;;#ASMSTART
	v_cvt_f32_f16 v23, v23;
	;;#ASMEND
	v_cmp_lt_i32_e64 s[0:1], v17, v13
	s_waitcnt vmcnt(15)
	v_cvt_f32_fp8_sdwa v21, v21 src0_sel:BYTE_0
	s_waitcnt vmcnt(14)
	v_cvt_f32_fp8_sdwa v24, v24 src0_sel:BYTE_0
	v_cndmask_b32_e64 v38, v3, v17, s[0:1]
	s_waitcnt vmcnt(12)
	v_cvt_f32_fp8_sdwa v26, v26 src0_sel:BYTE_0
	v_fma_mixlo_f16 v21, v25, v21, 0
	v_and_b32_e32 v21, 0xffff, v21
	v_fma_mixlo_f16 v24, v25, v24, 0
	s_waitcnt vmcnt(11)
	v_cvt_f32_fp8_sdwa v27, v27 src0_sel:BYTE_0
	;;#ASMSTART
	v_cvt_f32_f16 v21, v21;
	;;#ASMEND
	ds_read_u16 v39, v14 offset:2
	v_and_b32_e32 v24, 0xffff, v24
	s_waitcnt vmcnt(10)
	v_cvt_f32_fp8_sdwa v28, v28 src0_sel:BYTE_0
	s_waitcnt lgkmcnt(0)
	;;#ASMSTART
	v_cvt_f32_f16 v39, v39;
	;;#ASMEND
	;;#ASMSTART
	v_cvt_f32_f16 v24, v24;
	;;#ASMEND
	s_waitcnt vmcnt(9)
	v_cvt_f32_fp8_sdwa v29, v29 src0_sel:BYTE_0
	v_fma_mixlo_f16 v26, v25, v26, 0
	s_waitcnt vmcnt(8)
	v_cvt_f32_fp8_sdwa v30, v30 src0_sel:BYTE_0
	v_mul_f32_e32 v24, v39, v24
	ds_read_u16 v40, v14 offset:4
	v_and_b32_e32 v26, 0xffff, v26
	v_fma_mixlo_f16 v27, v25, v27, 0
	s_waitcnt vmcnt(7)
	v_cvt_f32_fp8_sdwa v31, v31 src0_sel:BYTE_0
	v_fmac_f32_e32 v24, v23, v21
	s_waitcnt lgkmcnt(0)
	;;#ASMSTART
	v_cvt_f32_f16 v40, v40;
	;;#ASMEND
	;;#ASMSTART
	v_cvt_f32_f16 v26, v26;
	;;#ASMEND
	ds_read_u16 v41, v14 offset:6
	v_and_b32_e32 v27, 0xffff, v27
	s_waitcnt vmcnt(6)
	v_cvt_f32_fp8_sdwa v32, v32 src0_sel:BYTE_0
	v_fma_mixlo_f16 v28, v25, v28, 0
	v_fmac_f32_e32 v24, v40, v26
	s_waitcnt lgkmcnt(0)
	;;#ASMSTART
	v_cvt_f32_f16 v41, v41;
	;;#ASMEND
	;;#ASMSTART
	v_cvt_f32_f16 v27, v27;
	;;#ASMEND
	ds_read_u16 v42, v14 offset:8
	v_and_b32_e32 v28, 0xffff, v28
	s_waitcnt vmcnt(5)
	v_cvt_f32_fp8_sdwa v33, v33 src0_sel:BYTE_0
	v_fma_mixlo_f16 v29, v25, v29, 0
	v_fmac_f32_e32 v24, v41, v27
	s_waitcnt lgkmcnt(0)
	;;#ASMSTART
	v_cvt_f32_f16 v42, v42;
	;;#ASMEND
	;;#ASMSTART
	v_cvt_f32_f16 v28, v28;
	;;#ASMEND
	ds_read_u16 v43, v14 offset:10
	s_waitcnt vmcnt(4)
	v_cvt_f32_fp8_sdwa v34, v34 src0_sel:BYTE_0
	v_and_b32_e32 v29, 0xffff, v29
	v_fma_mixlo_f16 v30, v25, v30, 0
	v_fmac_f32_e32 v24, v42, v28
	s_waitcnt lgkmcnt(0)
	;;#ASMSTART
	v_cvt_f32_f16 v43, v43;
	;;#ASMEND
	;;#ASMSTART
	v_cvt_f32_f16 v29, v29;
	;;#ASMEND
	ds_read_u16 v44, v14 offset:12
	s_waitcnt vmcnt(3)
	v_cvt_f32_fp8_sdwa v35, v35 src0_sel:BYTE_0
	s_waitcnt vmcnt(2)
	v_cvt_f32_fp8_sdwa v36, v36 src0_sel:BYTE_0
	v_and_b32_e32 v30, 0xffff, v30
	s_waitcnt vmcnt(1)
	v_cvt_f32_fp8_sdwa v37, v37 src0_sel:BYTE_0
	s_waitcnt vmcnt(0)
	v_cvt_f32_fp8_sdwa v22, v22 src0_sel:BYTE_0
	v_fma_mixlo_f16 v31, v25, v31, 0
	v_fmac_f32_e32 v24, v43, v29
	s_waitcnt lgkmcnt(0)
	;;#ASMSTART
	v_cvt_f32_f16 v44, v44;
	;;#ASMEND
	;;#ASMSTART
	v_cvt_f32_f16 v30, v30;
	;;#ASMEND
	ds_read_u16 v45, v14 offset:14
	v_and_b32_e32 v31, 0xffff, v31
	v_fma_mixlo_f16 v32, v25, v32, 0
	v_fmac_f32_e32 v24, v44, v30
	s_waitcnt lgkmcnt(0)
	;;#ASMSTART
	v_cvt_f32_f16 v45, v45;
	;;#ASMEND
	;;#ASMSTART
	v_cvt_f32_f16 v31, v31;
	;;#ASMEND
	ds_read_u16 v46, v14 offset:16
	v_fma_mixlo_f16 v33, v25, v33, 0
	v_and_b32_e32 v32, 0xffff, v32
	v_fmac_f32_e32 v24, v45, v31
	v_fma_mixlo_f16 v34, v25, v34, 0
	s_waitcnt lgkmcnt(0)
	;;#ASMSTART
	v_cvt_f32_f16 v46, v46;
	;;#ASMEND
	;;#ASMSTART
	v_cvt_f32_f16 v32, v32;
	;;#ASMEND
	ds_read_u16 v47, v14 offset:18
	v_and_b32_e32 v33, 0xffff, v33
	v_fmac_f32_e32 v24, v46, v32
	v_fma_mixlo_f16 v35, v25, v35, 0
	v_fma_mixlo_f16 v36, v25, v36, 0
	;; [unrolled: 1-line block ×3, first 2 shown]
	s_waitcnt lgkmcnt(0)
	;;#ASMSTART
	v_cvt_f32_f16 v47, v47;
	;;#ASMEND
	;;#ASMSTART
	v_cvt_f32_f16 v33, v33;
	;;#ASMEND
	v_fma_mixlo_f16 v22, v25, v22, 0
	v_and_b32_e32 v25, 0xffff, v34
	v_fmac_f32_e32 v24, v47, v33
	ds_read_u16 v48, v14 offset:20
	v_and_b32_e32 v34, 0xffff, v35
	v_and_b32_e32 v35, 0xffff, v36
	s_waitcnt lgkmcnt(0)
	;;#ASMSTART
	v_cvt_f32_f16 v36, v48;
	;;#ASMEND
	;;#ASMSTART
	v_cvt_f32_f16 v25, v25;
	;;#ASMEND
	ds_read_u16 v48, v14 offset:22
	v_fmac_f32_e32 v24, v36, v25
	s_waitcnt lgkmcnt(0)
	;;#ASMSTART
	v_cvt_f32_f16 v21, v48;
	;;#ASMEND
	;;#ASMSTART
	v_cvt_f32_f16 v23, v34;
	;;#ASMEND
	ds_read_u16 v34, v14 offset:24
	v_fmac_f32_e32 v24, v21, v23
	;; [unrolled: 9-line block ×3, first 2 shown]
	v_and_b32_e32 v37, 0xffff, v37
	v_and_b32_e32 v22, 0xffff, v22
	s_waitcnt lgkmcnt(0)
	;;#ASMSTART
	v_cvt_f32_f16 v28, v28;
	;;#ASMEND
	;;#ASMSTART
	v_cvt_f32_f16 v29, v37;
	;;#ASMEND
	v_lshlrev_b32_e32 v38, 2, v38
	v_fmac_f32_e32 v24, v28, v29
	ds_read_u16 v30, v14 offset:28
	s_waitcnt lgkmcnt(0)
	;;#ASMSTART
	v_cvt_f32_f16 v21, v30;
	;;#ASMEND
	;;#ASMSTART
	v_cvt_f32_f16 v22, v22;
	;;#ASMEND
	v_cmp_lt_i32_e64 s[0:1], v18, v13
	v_fmac_f32_e32 v24, v21, v22
	ds_bpermute_b32 v21, v38, v24
	v_cndmask_b32_e64 v22, v3, v18, s[0:1]
	v_lshlrev_b32_e32 v22, 2, v22
	v_cmp_lt_i32_e64 s[0:1], v19, v13
	s_waitcnt lgkmcnt(0)
	v_add_f32_e32 v21, v24, v21
	ds_bpermute_b32 v22, v22, v21
	v_cndmask_b32_e64 v23, v3, v19, s[0:1]
	s_waitcnt lgkmcnt(0)
	v_add_f32_e32 v21, v21, v22
	v_lshlrev_b32_e32 v22, 2, v23
	ds_bpermute_b32 v22, v22, v21
	s_and_saveexec_b64 s[42:43], vcc
	s_cbranch_execz .LBB259_9
; %bb.11:                               ;   in Loop: Header=BB259_10 Depth=1
	v_add_u32_e32 v23, s47, v15
	v_cvt_f32_i32_e32 v23, v23
	s_waitcnt lgkmcnt(0)
	v_add_f32_e32 v21, v21, v22
	v_cmp_gt_i32_e64 s[0:1], s29, v15
	v_max_f32_e32 v22, v1, v1
	v_mul_f32_e32 v23, s45, v23
	v_cndmask_b32_e64 v23, 0, v23, s[8:9]
	v_fmac_f32_e32 v23, s39, v21
	v_cndmask_b32_e64 v21, 0, v23, s[0:1]
	ds_write_b32 v16, v21
	v_max_f32_e32 v21, v22, v23
	v_cndmask_b32_e64 v1, v1, v21, s[0:1]
	s_branch .LBB259_9
.LBB259_12:
	s_or_b64 exec, exec, s[18:19]
.LBB259_13:
	s_or_b64 exec, exec, s[40:41]
	v_xor_b32_e32 v6, 32, v3
	v_cmp_lt_i32_e32 vcc, v6, v13
	v_xor_b32_e32 v8, 16, v3
	v_xor_b32_e32 v9, 8, v3
	v_cndmask_b32_e32 v6, v3, v6, vcc
	v_lshlrev_b32_e32 v7, 2, v6
	ds_bpermute_b32 v6, v7, v1
	v_max_f32_e32 v1, v1, v1
	v_cmp_lt_i32_e32 vcc, v8, v13
	s_waitcnt lgkmcnt(0)
	v_max_f32_e32 v6, v6, v6
	v_max_f32_e32 v1, v1, v6
	v_cndmask_b32_e32 v6, v3, v8, vcc
	v_lshlrev_b32_e32 v10, 2, v6
	ds_bpermute_b32 v6, v10, v1
	v_cmp_lt_i32_e32 vcc, v9, v13
	s_waitcnt lgkmcnt(0)
	v_max_f32_e32 v6, v6, v6
	v_max_f32_e32 v8, v1, v6
	v_cndmask_b32_e32 v1, v3, v9, vcc
	v_lshlrev_b32_e32 v11, 2, v1
	ds_bpermute_b32 v9, v11, v8
	v_and_b32_e32 v1, 63, v0
	v_cmp_eq_u32_e32 vcc, 0, v1
	v_lshlrev_b32_e32 v6, 2, v12
	s_and_saveexec_b64 s[0:1], vcc
	s_cbranch_execz .LBB259_15
; %bb.14:
	s_waitcnt lgkmcnt(0)
	v_max_f32_e32 v9, v9, v9
	v_max_f32_e32 v8, v8, v8
	;; [unrolled: 1-line block ×3, first 2 shown]
	ds_write_b32 v6, v8 offset:240
.LBB259_15:
	s_or_b64 exec, exec, s[0:1]
	v_cmp_gt_u32_e64 s[0:1], 2, v1
	v_mov_b32_e32 v8, 0xff7fffff
	s_waitcnt lgkmcnt(0)
	v_lshlrev_b32_e32 v9, 2, v1
	s_barrier
	s_and_saveexec_b64 s[8:9], s[0:1]
	s_cbranch_execz .LBB259_17
; %bb.16:
	ds_read_b32 v8, v9 offset:240
.LBB259_17:
	s_or_b64 exec, exec, s[8:9]
	v_xor_b32_e32 v14, 1, v3
	v_cmp_lt_i32_e64 s[8:9], v14, v13
	v_mov_b32_e32 v16, 0
	s_nop 0
	v_cndmask_b32_e64 v14, v3, v14, s[8:9]
	v_lshlrev_b32_e32 v14, 2, v14
	s_waitcnt lgkmcnt(0)
	ds_bpermute_b32 v15, v14, v8
	v_max_f32_e32 v8, v8, v8
	s_sub_i32 s8, s33, s38
	s_lshl_b32 s8, s8, 3
	s_add_i32 s8, s8, s44
	s_waitcnt lgkmcnt(0)
	v_max_f32_e32 v15, v15, v15
	v_max_f32_e32 v8, v8, v15
	v_lshlrev_b32_e32 v15, 2, v3
	v_and_b32_e32 v15, 0xffffff00, v15
	ds_bpermute_b32 v8, v15, v8
	s_min_i32 s41, s8, s29
	s_sub_i32 s40, s41, s44
	v_cmp_gt_i32_e64 s[8:9], s40, v0
	s_and_saveexec_b64 s[18:19], s[8:9]
	s_cbranch_execz .LBB259_21
; %bb.18:
	v_mov_b32_e32 v16, 0x100
	v_lshl_add_u32 v17, v0, 2, v16
	s_mov_b64 s[38:39], 0
	v_mov_b32_e32 v16, 0
	v_mov_b32_e32 v18, v0
.LBB259_19:                             ; =>This Inner Loop Header: Depth=1
	ds_read_b32 v19, v17
	v_add_u32_e32 v18, 0x80, v18
	v_cmp_le_i32_e64 s[12:13], s40, v18
	s_or_b64 s[38:39], s[12:13], s[38:39]
	s_waitcnt lgkmcnt(0)
	v_sub_f32_e32 v19, v19, v8
	v_mul_f32_e32 v19, 0x3fb8aa3b, v19
	v_exp_f32_e32 v19, v19
	ds_write_b32 v17, v19
	v_add_f32_e32 v16, v16, v19
	v_add_u32_e32 v17, 0x200, v17
	s_andn2_b64 exec, exec, s[38:39]
	s_cbranch_execnz .LBB259_19
; %bb.20:
	s_or_b64 exec, exec, s[38:39]
.LBB259_21:
	s_or_b64 exec, exec, s[18:19]
	ds_bpermute_b32 v7, v7, v16
	s_waitcnt lgkmcnt(0)
	v_add_f32_e32 v7, v16, v7
	ds_bpermute_b32 v10, v10, v7
	s_waitcnt lgkmcnt(0)
	v_add_f32_e32 v7, v7, v10
	ds_bpermute_b32 v10, v11, v7
	v_xor_b32_e32 v11, 4, v3
	v_cmp_lt_i32_e64 s[12:13], v11, v13
	s_waitcnt lgkmcnt(0)
	v_add_f32_e32 v7, v7, v10
	v_cndmask_b32_e64 v11, v3, v11, s[12:13]
	v_lshlrev_b32_e32 v11, 2, v11
	ds_bpermute_b32 v10, v11, v7
	v_xor_b32_e32 v11, 2, v3
	v_cmp_lt_i32_e64 s[12:13], v11, v13
	s_waitcnt lgkmcnt(0)
	v_add_f32_e32 v7, v7, v10
	v_cndmask_b32_e64 v3, v3, v11, s[12:13]
	v_lshlrev_b32_e32 v3, 2, v3
	ds_bpermute_b32 v3, v3, v7
	s_waitcnt lgkmcnt(0)
	v_add_f32_e32 v3, v7, v3
	ds_bpermute_b32 v7, v14, v3
	s_waitcnt lgkmcnt(0)
	v_add_f32_e32 v3, v3, v7
	s_and_saveexec_b64 s[12:13], vcc
	s_cbranch_execz .LBB259_23
; %bb.22:
	ds_write_b32 v6, v3 offset:248
.LBB259_23:
	s_or_b64 exec, exec, s[12:13]
	s_waitcnt lgkmcnt(0)
	s_barrier
	s_and_saveexec_b64 s[12:13], s[0:1]
	s_cbranch_execz .LBB259_25
; %bb.24:
	ds_read_b32 v3, v9 offset:248
.LBB259_25:
	s_or_b64 exec, exec, s[12:13]
	s_waitcnt lgkmcnt(0)
	ds_bpermute_b32 v6, v14, v3
	s_waitcnt lgkmcnt(0)
	v_add_f32_e32 v3, v3, v6
	ds_bpermute_b32 v3, v15, v3
	s_and_saveexec_b64 s[0:1], s[8:9]
	s_cbranch_execz .LBB259_38
; %bb.26:
	s_waitcnt lgkmcnt(0)
	v_add_f32_e32 v6, 0x358637bd, v3
	v_div_scale_f32 v7, s[8:9], v6, v6, 1.0
	v_rcp_f32_e32 v9, v7
	v_div_scale_f32 v10, vcc, 1.0, v6, 1.0
	s_movk_i32 s8, 0x7f
	v_fma_f32 v11, -v7, v9, 1.0
	v_fmac_f32_e32 v9, v11, v9
	v_mul_f32_e32 v11, v10, v9
	v_fma_f32 v13, -v7, v11, v10
	v_fmac_f32_e32 v11, v13, v9
	v_fma_f32 v7, -v7, v11, v10
	v_div_fmas_f32 v7, v7, v9, v11
	v_div_fixup_f32 v6, v7, v6, 1.0
	v_xad_u32 v7, v0, -1, s41
	v_subrev_u32_e32 v9, s44, v7
	v_cmp_lt_u32_e32 vcc, s8, v9
	s_mov_b64 s[12:13], -1
	v_mov_b32_e32 v7, v0
	s_and_saveexec_b64 s[8:9], vcc
	s_cbranch_execz .LBB259_35
; %bb.27:
	v_lshrrev_b32_e32 v9, 7, v9
	v_add_u32_e32 v11, -1, v9
	v_lshrrev_b32_e32 v10, 1, v11
	v_mov_b32_e32 v7, v6
	v_add_u32_e32 v10, 1, v10
	v_cmp_lt_u32_e32 vcc, 13, v11
	v_mov_b32_e32 v14, 0
	s_and_saveexec_b64 s[12:13], vcc
	s_cbranch_execz .LBB259_31
; %bb.28:
	v_mov_b32_e32 v13, 0x100
	v_and_b32_e32 v11, -8, v10
	v_lshl_add_u32 v13, v0, 2, v13
	s_mov_b32 s38, 0
	s_mov_b64 s[18:19], 0
.LBB259_29:                             ; =>This Inner Loop Header: Depth=1
	ds_read2st64_b32 v[14:15], v13 offset1:2
	ds_read2st64_b32 v[16:17], v13 offset0:4 offset1:6
	ds_read2st64_b32 v[18:19], v13 offset0:8 offset1:10
	;; [unrolled: 1-line block ×3, first 2 shown]
	v_add_u32_e32 v11, -8, v11
	s_waitcnt lgkmcnt(3)
	v_pk_mul_f32 v[14:15], v[6:7], v[14:15]
	s_waitcnt lgkmcnt(2)
	v_pk_mul_f32 v[16:17], v[6:7], v[16:17]
	ds_write2st64_b32 v13, v14, v15 offset1:2
	ds_write2st64_b32 v13, v16, v17 offset0:4 offset1:6
	ds_read2st64_b32 v[16:17], v13 offset0:16 offset1:18
	s_waitcnt lgkmcnt(4)
	v_pk_mul_f32 v[14:15], v[6:7], v[18:19]
	ds_write2st64_b32 v13, v14, v15 offset0:8 offset1:10
	s_waitcnt lgkmcnt(4)
	v_pk_mul_f32 v[14:15], v[6:7], v[20:21]
	ds_write2st64_b32 v13, v14, v15 offset0:12 offset1:14
	ds_read2st64_b32 v[14:15], v13 offset0:20 offset1:22
	s_waitcnt lgkmcnt(3)
	v_pk_mul_f32 v[16:17], v[6:7], v[16:17]
	ds_read2st64_b32 v[18:19], v13 offset0:24 offset1:26
	ds_write2st64_b32 v13, v16, v17 offset0:16 offset1:18
	ds_read2st64_b32 v[16:17], v13 offset0:28 offset1:30
	s_waitcnt lgkmcnt(3)
	v_pk_mul_f32 v[14:15], v[6:7], v[14:15]
	ds_write2st64_b32 v13, v14, v15 offset0:20 offset1:22
	s_waitcnt lgkmcnt(3)
	v_pk_mul_f32 v[14:15], v[6:7], v[18:19]
	ds_write2st64_b32 v13, v14, v15 offset0:24 offset1:26
	s_waitcnt lgkmcnt(2)
	v_pk_mul_f32 v[14:15], v[6:7], v[16:17]
	s_add_i32 s38, s38, 16
	v_cmp_eq_u32_e32 vcc, 0, v11
	ds_write2st64_b32 v13, v14, v15 offset0:28 offset1:30
	v_add_u32_e32 v13, 0x2000, v13
	s_or_b64 s[18:19], vcc, s[18:19]
	v_mov_b32_e32 v14, s38
	s_andn2_b64 exec, exec, s[18:19]
	s_cbranch_execnz .LBB259_29
; %bb.30:
	s_or_b64 exec, exec, s[18:19]
.LBB259_31:
	s_or_b64 exec, exec, s[12:13]
	v_and_b32_e32 v10, 7, v10
	v_cmp_ne_u32_e32 vcc, 0, v10
	s_and_saveexec_b64 s[12:13], vcc
	s_cbranch_execz .LBB259_34
; %bb.32:
	v_lshlrev_b32_e32 v11, 9, v14
	v_lshlrev_b32_e32 v13, 2, v0
	s_movk_i32 s18, 0x100
	v_add3_u32 v11, v11, v13, s18
	s_mov_b64 s[18:19], 0
.LBB259_33:                             ; =>This Inner Loop Header: Depth=1
	ds_read2st64_b32 v[14:15], v11 offset1:2
	v_add_u32_e32 v10, -1, v10
	v_cmp_eq_u32_e32 vcc, 0, v10
	s_or_b64 s[18:19], vcc, s[18:19]
	s_waitcnt lgkmcnt(0)
	v_pk_mul_f32 v[14:15], v[6:7], v[14:15]
	ds_write2st64_b32 v11, v14, v15 offset1:2
	v_add_u32_e32 v11, 0x400, v11
	s_andn2_b64 exec, exec, s[18:19]
	s_cbranch_execnz .LBB259_33
.LBB259_34:
	s_or_b64 exec, exec, s[12:13]
	v_add_u32_e32 v9, 1, v9
	v_and_b32_e32 v10, 0x3fffffe, v9
	v_cmp_ne_u32_e32 vcc, v9, v10
	v_lshl_add_u32 v7, v10, 7, v0
	s_orn2_b64 s[12:13], vcc, exec
.LBB259_35:
	s_or_b64 exec, exec, s[8:9]
	s_and_b64 exec, exec, s[12:13]
	s_cbranch_execz .LBB259_38
; %bb.36:
	v_mov_b32_e32 v9, 0x100
	v_lshl_add_u32 v9, v7, 2, v9
	s_mov_b64 s[8:9], 0
.LBB259_37:                             ; =>This Inner Loop Header: Depth=1
	ds_read_b32 v10, v9
	v_add_u32_e32 v7, 0x80, v7
	v_cmp_le_i32_e32 vcc, s40, v7
	s_or_b64 s[8:9], vcc, s[8:9]
	s_waitcnt lgkmcnt(0)
	v_mul_f32_e32 v10, v6, v10
	ds_write_b32 v9, v10
	v_add_u32_e32 v9, 0x200, v9
	s_andn2_b64 exec, exec, s[8:9]
	s_cbranch_execnz .LBB259_37
.LBB259_38:
	s_or_b64 exec, exec, s[0:1]
	s_mul_i32 s0, s25, s28
	v_cmp_eq_u32_e32 vcc, 0, v0
	s_mul_i32 s8, s0, s5
	s_waitcnt lgkmcnt(0)
	s_barrier
	s_and_saveexec_b64 s[0:1], vcc
	s_cbranch_execz .LBB259_40
; %bb.39:
	s_ashr_i32 s9, s8, 31
	s_lshl_b64 s[12:13], s[8:9], 2
	s_add_u32 s5, s22, s12
	s_mul_i32 s18, s25, s2
	s_addc_u32 s9, s23, s13
	s_ashr_i32 s19, s18, 31
	s_lshl_b64 s[18:19], s[18:19], 2
	s_add_u32 s2, s5, s18
	s_addc_u32 s9, s9, s19
	s_ashr_i32 s5, s4, 31
	s_lshl_b64 s[22:23], s[4:5], 2
	s_add_u32 s38, s2, s22
	s_addc_u32 s39, s9, s23
	s_add_u32 s2, s20, s12
	s_addc_u32 s5, s21, s13
	;; [unrolled: 2-line block ×3, first 2 shown]
	s_add_u32 s12, s2, s22
	v_mov_b32_e32 v6, 0
	s_addc_u32 s13, s5, s23
	global_store_dword v6, v8, s[38:39]
	global_store_dword v6, v3, s[12:13]
.LBB259_40:
	s_or_b64 exec, exec, s[0:1]
	v_mov_b32_e32 v3, 0
	v_mov_b32_e32 v26, 0
	s_and_saveexec_b64 s[12:13], s[6:7]
	s_cbranch_execz .LBB259_178
; %bb.41:
	s_ashr_i32 s1, s16, 31
	s_add_u32 s0, s36, s16
	v_or_b32_e32 v3, 64, v1
	s_movk_i32 s2, 0x78
	s_addc_u32 s1, s37, s1
	s_add_i32 s9, s3, -1
	v_cmp_gt_u32_e32 vcc, s2, v3
	s_lshl_b64 s[2:3], s[34:35], 2
	s_add_u32 s2, s30, s2
	v_mov_b32_e32 v9, 0
	v_lshlrev_b32_e32 v10, 3, v3
	v_mov_b32_e32 v3, 0x100
	s_addc_u32 s3, s31, s3
	s_mov_b32 s5, s17
	v_lshlrev_b32_e32 v6, 3, v1
	v_mov_b32_e32 v7, v9
	v_mov_b32_e32 v11, v9
	s_mov_b32 s28, s29
	v_lshl_add_u32 v27, v12, 3, s44
	v_lshl_add_u32 v28, v12, 5, v3
	v_lshl_add_u64 v[12:13], v[4:5], 2, s[2:3]
	s_mov_b64 s[6:7], 0
	v_mov_b64_e32 v[14:15], s[0:1]
	s_movk_i32 s30, 0x7f
	s_movk_i32 s31, 0x80
	s_mov_b32 s34, 0x8000
	s_movk_i32 s35, 0x380
	s_mov_b32 s36, 0x3020706
	s_mov_b32 s37, 0x1000504
	;; [unrolled: 1-line block ×3, first 2 shown]
	v_mov_b32_e32 v5, 0x1c00
	v_mov_b32_e32 v26, 0
	;; [unrolled: 1-line block ×3, first 2 shown]
	s_branch .LBB259_44
.LBB259_42:                             ;   in Loop: Header=BB259_44 Depth=1
	s_or_b64 exec, exec, s[18:19]
	;;#ASMSTART
	v_pk_mul_f16 v18, v32, v19;

	;;#ASMEND
	;;#ASMSTART
	v_pk_mul_f16 v8, v31, v8;

	;;#ASMEND
	;; [unrolled: 4-line block ×4, first 2 shown]
	s_nop 0
	;;#ASMSTART
	v_pk_add_f16 v8, v18, v8;

	;;#ASMEND
	s_nop 0
	;;#ASMSTART
	v_pk_add_f16 v8, v8, v17;

	;;#ASMEND
	;; [unrolled: 5-line block ×3, first 2 shown]
	s_nop 0
	v_lshrrev_b32_e32 v16, 16, v8
	v_and_b32_e32 v8, 0xffff, v8
	;;#ASMSTART
	v_cvt_f32_f16 v8, v8;
	;;#ASMEND
	;;#ASMSTART
	v_cvt_f32_f16 v16, v16;
	;;#ASMEND
	s_nop 0
	v_add_f32_e32 v8, v8, v16
	v_add_f32_e32 v26, v26, v8
.LBB259_43:                             ;   in Loop: Header=BB259_44 Depth=1
	s_or_b64 exec, exec, s[16:17]
	v_add_u32_e32 v4, 2, v4
	v_add_f32_e32 v8, v24, v25
	v_cmp_le_i32_e64 s[0:1], s33, v4
	v_add_f32_e32 v3, v3, v8
	v_add_u32_e32 v27, 16, v27
	v_add_u32_e32 v28, 64, v28
	s_or_b64 s[6:7], s[0:1], s[6:7]
	v_lshl_add_u64 v[12:13], v[12:13], 0, 8
	s_andn2_b64 exec, exec, s[6:7]
	s_cbranch_execz .LBB259_177
.LBB259_44:                             ; =>This Inner Loop Header: Depth=1
	ds_read2_b64 v[20:23], v28 offset1:1
	ds_read2_b64 v[34:37], v28 offset0:2 offset1:3
                                        ; implicit-def: $sgpr18
	s_waitcnt lgkmcnt(1)
	;;#ASMSTART
	v_cvt_f16_f32 v19, v20;

	;;#ASMEND
	;;#ASMSTART
	v_cvt_f16_f32 v29, v21;

	;;#ASMEND
	;; [unrolled: 4-line block ×4, first 2 shown]
	s_waitcnt lgkmcnt(0)
	;;#ASMSTART
	v_cvt_f16_f32 v33, v34;

	;;#ASMEND
	;;#ASMSTART
	v_cvt_f16_f32 v34, v35;

	;;#ASMEND
	;; [unrolled: 4-line block ×4, first 2 shown]
	global_load_dword v8, v[12:13], off
	s_waitcnt vmcnt(0)
	v_mad_i64_i32 v[16:17], s[0:1], v8, s5, v[14:15]
	v_lshl_add_u64 v[22:23], v[16:17], 0, v[6:7]
	global_load_dwordx2 v[20:21], v[22:23], off
	global_load_dword v18, v9, s[14:15]
	s_mov_b64 s[0:1], 0
	s_waitcnt vmcnt(1)
	v_cmp_gt_i16_sdwa s[2:3], v20, s30 src0_sel:BYTE_0 src1_sel:DWORD
	s_and_saveexec_b64 s[16:17], s[2:3]
	s_xor_b64 s[2:3], exec, s[16:17]
	s_cbranch_execnz .LBB259_113
; %bb.45:                               ;   in Loop: Header=BB259_44 Depth=1
	s_or_saveexec_b64 s[2:3], s[2:3]
	v_mov_b32_e32 v22, s18
	s_xor_b64 exec, exec, s[2:3]
	s_cbranch_execnz .LBB259_116
.LBB259_46:                             ;   in Loop: Header=BB259_44 Depth=1
	s_or_b64 exec, exec, s[2:3]
	s_and_saveexec_b64 s[2:3], s[0:1]
	s_cbranch_execz .LBB259_48
.LBB259_47:                             ;   in Loop: Header=BB259_44 Depth=1
	v_and_b32_e32 v8, 7, v20
	v_ffbh_u32_e32 v8, v8
	v_bfe_u32 v22, v20, 3, 4
	v_min_u32_e32 v8, 32, v8
	v_subrev_u32_e32 v23, 28, v8
	v_sub_u32_e32 v8, 29, v8
	v_cmp_eq_u32_e64 s[0:1], 0, v22
	s_nop 1
	v_cndmask_b32_e64 v8, v22, v8, s[0:1]
	v_cndmask_b32_e64 v22, 0, v23, s[0:1]
	v_lshlrev_b64 v[22:23], v22, v[20:21]
	v_lshlrev_b32_e32 v23, 8, v20
	v_lshl_add_u32 v8, v8, 10, v5
	v_lshlrev_b32_e32 v22, 7, v22
	v_and_or_b32 v8, v23, s34, v8
	v_and_or_b32 v8, v22, s35, v8
	v_cvt_f32_f16_e32 v22, v8
.LBB259_48:                             ;   in Loop: Header=BB259_44 Depth=1
	s_or_b64 exec, exec, s[2:3]
	v_lshrrev_b16_e32 v8, 8, v20
	v_cmp_lt_i16_e64 s[0:1], s30, v8
	s_mov_b64 s[2:3], 0
                                        ; implicit-def: $sgpr20
	s_and_saveexec_b64 s[16:17], s[0:1]
	s_xor_b64 s[16:17], exec, s[16:17]
	s_cbranch_execnz .LBB259_117
; %bb.49:                               ;   in Loop: Header=BB259_44 Depth=1
	s_or_saveexec_b64 s[16:17], s[16:17]
	v_mov_b32_e32 v24, s20
	s_xor_b64 exec, exec, s[16:17]
	s_cbranch_execnz .LBB259_120
.LBB259_50:                             ;   in Loop: Header=BB259_44 Depth=1
	s_or_b64 exec, exec, s[16:17]
	s_and_saveexec_b64 s[16:17], s[2:3]
	s_cbranch_execz .LBB259_52
.LBB259_51:                             ;   in Loop: Header=BB259_44 Depth=1
	v_and_b32_e32 v23, 7, v8
	v_ffbh_u32_e32 v24, v23
	v_min_u32_e32 v37, 32, v24
	v_subrev_u32_e32 v24, 28, v37
	v_bfe_u32 v32, v8, 3, 4
	v_lshlrev_b64 v[24:25], v24, v[8:9]
	v_sub_u32_e32 v25, 29, v37
	v_cmp_eq_u32_e64 s[0:1], 0, v32
	v_and_b32_e32 v24, 7, v24
	v_lshlrev_b32_e32 v8, 8, v8
	v_cndmask_b32_e64 v25, v32, v25, s[0:1]
	v_cndmask_b32_e64 v23, v23, v24, s[0:1]
	v_lshl_add_u32 v24, v25, 10, v5
	v_and_or_b32 v8, v8, s34, v24
	v_lshl_or_b32 v8, v23, 7, v8
	v_cvt_f32_f16_e32 v24, v8
.LBB259_52:                             ;   in Loop: Header=BB259_44 Depth=1
	s_or_b64 exec, exec, s[16:17]
	v_lshrrev_b32_e32 v8, 16, v20
	v_cmp_gt_i16_sdwa s[2:3], v8, s30 src0_sel:BYTE_0 src1_sel:DWORD
	s_mov_b64 s[0:1], 0
                                        ; implicit-def: $sgpr18
	s_and_saveexec_b64 s[16:17], s[2:3]
	s_xor_b64 s[2:3], exec, s[16:17]
	s_cbranch_execnz .LBB259_121
; %bb.53:                               ;   in Loop: Header=BB259_44 Depth=1
	s_or_saveexec_b64 s[2:3], s[2:3]
	v_mov_b32_e32 v23, s18
	s_xor_b64 exec, exec, s[2:3]
	s_cbranch_execnz .LBB259_124
.LBB259_54:                             ;   in Loop: Header=BB259_44 Depth=1
	s_or_b64 exec, exec, s[2:3]
	s_and_saveexec_b64 s[2:3], s[0:1]
	s_cbranch_execz .LBB259_56
.LBB259_55:                             ;   in Loop: Header=BB259_44 Depth=1
	v_bfe_u32 v23, v20, 16, 3
	v_ffbh_u32_e32 v32, v23
	v_bfe_u32 v25, v20, 19, 4
	v_min_u32_e32 v32, 32, v32
	v_subrev_u32_e32 v37, 28, v32
	v_sub_u32_e32 v32, 29, v32
	v_cmp_eq_u32_e64 s[0:1], 0, v25
	v_lshlrev_b64 v[38:39], v37, v[8:9]
	v_and_b32_e32 v37, 7, v38
	v_cndmask_b32_e64 v25, v25, v32, s[0:1]
	v_lshlrev_b32_e32 v8, 8, v8
	v_lshl_add_u32 v25, v25, 10, v5
	v_cndmask_b32_e64 v23, v23, v37, s[0:1]
	v_and_or_b32 v8, v8, s34, v25
	v_lshl_or_b32 v8, v23, 7, v8
	v_cvt_f32_f16_e32 v23, v8
.LBB259_56:                             ;   in Loop: Header=BB259_44 Depth=1
	s_or_b64 exec, exec, s[2:3]
	v_lshrrev_b32_e32 v8, 24, v20
	v_cmp_lt_i16_e64 s[0:1], s30, v8
	s_mov_b64 s[2:3], 0
                                        ; implicit-def: $sgpr20
	s_and_saveexec_b64 s[16:17], s[0:1]
	s_xor_b64 s[16:17], exec, s[16:17]
	s_cbranch_execnz .LBB259_125
; %bb.57:                               ;   in Loop: Header=BB259_44 Depth=1
	s_or_saveexec_b64 s[16:17], s[16:17]
	v_mov_b32_e32 v25, s20
	s_xor_b64 exec, exec, s[16:17]
	s_cbranch_execnz .LBB259_128
.LBB259_58:                             ;   in Loop: Header=BB259_44 Depth=1
	s_or_b64 exec, exec, s[16:17]
	s_and_saveexec_b64 s[16:17], s[2:3]
	s_cbranch_execz .LBB259_60
.LBB259_59:                             ;   in Loop: Header=BB259_44 Depth=1
	v_bfe_u32 v25, v20, 24, 3
	v_ffbh_u32_e32 v32, v25
	v_bfe_u32 v20, v20, 27, 4
	v_min_u32_e32 v32, 32, v32
	v_subrev_u32_e32 v37, 28, v32
	v_sub_u32_e32 v32, 29, v32
	v_cmp_eq_u32_e64 s[0:1], 0, v20
	v_lshlrev_b64 v[38:39], v37, v[8:9]
	v_and_b32_e32 v37, 7, v38
	v_cndmask_b32_e64 v20, v20, v32, s[0:1]
	v_lshlrev_b32_e32 v8, 8, v8
	v_lshl_add_u32 v20, v20, 10, v5
	v_cndmask_b32_e64 v25, v25, v37, s[0:1]
	v_and_or_b32 v8, v8, s34, v20
	v_lshl_or_b32 v8, v25, 7, v8
	v_cvt_f32_f16_e32 v25, v8
.LBB259_60:                             ;   in Loop: Header=BB259_44 Depth=1
	s_or_b64 exec, exec, s[16:17]
	v_cmp_gt_i16_sdwa s[2:3], v21, s30 src0_sel:BYTE_0 src1_sel:DWORD
	s_mov_b64 s[0:1], 0
                                        ; implicit-def: $sgpr18
	s_and_saveexec_b64 s[16:17], s[2:3]
	s_xor_b64 s[2:3], exec, s[16:17]
	s_cbranch_execnz .LBB259_129
; %bb.61:                               ;   in Loop: Header=BB259_44 Depth=1
	s_or_saveexec_b64 s[2:3], s[2:3]
	v_mov_b32_e32 v20, s18
	s_xor_b64 exec, exec, s[2:3]
	s_cbranch_execnz .LBB259_132
.LBB259_62:                             ;   in Loop: Header=BB259_44 Depth=1
	s_or_b64 exec, exec, s[2:3]
	v_mov_b32_e32 v8, v21
	s_and_saveexec_b64 s[2:3], s[0:1]
	s_cbranch_execz .LBB259_64
.LBB259_63:                             ;   in Loop: Header=BB259_44 Depth=1
	v_and_b32_e32 v20, 7, v21
	v_ffbh_u32_e32 v20, v20
	v_bfe_u32 v32, v21, 3, 4
	v_min_u32_e32 v20, 32, v20
	v_subrev_u32_e32 v37, 28, v20
	v_sub_u32_e32 v20, 29, v20
	v_cmp_eq_u32_e64 s[0:1], 0, v32
	s_nop 1
	v_cndmask_b32_e64 v20, v32, v20, s[0:1]
	v_cndmask_b32_e64 v32, 0, v37, s[0:1]
	v_lshlrev_b64 v[38:39], v32, v[8:9]
	v_lshlrev_b32_e32 v37, 8, v21
	v_lshl_add_u32 v20, v20, 10, v5
	v_lshlrev_b32_e32 v32, 7, v38
	v_and_or_b32 v20, v37, s34, v20
	v_and_or_b32 v20, v32, s35, v20
	v_cvt_f32_f16_e32 v20, v20
.LBB259_64:                             ;   in Loop: Header=BB259_44 Depth=1
	s_or_b64 exec, exec, s[2:3]
	v_lshrrev_b16_e32 v8, 8, v8
	v_cmp_lt_i16_e64 s[0:1], s30, v8
	s_mov_b64 s[2:3], 0
                                        ; implicit-def: $sgpr20
	s_and_saveexec_b64 s[16:17], s[0:1]
	s_xor_b64 s[16:17], exec, s[16:17]
	s_cbranch_execnz .LBB259_133
; %bb.65:                               ;   in Loop: Header=BB259_44 Depth=1
	s_or_saveexec_b64 s[16:17], s[16:17]
	v_mov_b32_e32 v32, s20
	s_xor_b64 exec, exec, s[16:17]
	s_cbranch_execnz .LBB259_136
.LBB259_66:                             ;   in Loop: Header=BB259_44 Depth=1
	s_or_b64 exec, exec, s[16:17]
	s_and_saveexec_b64 s[16:17], s[2:3]
	s_cbranch_execz .LBB259_68
.LBB259_67:                             ;   in Loop: Header=BB259_44 Depth=1
	v_and_b32_e32 v32, 7, v8
	v_ffbh_u32_e32 v38, v32
	v_min_u32_e32 v40, 32, v38
	v_subrev_u32_e32 v38, 28, v40
	v_bfe_u32 v37, v8, 3, 4
	v_lshlrev_b64 v[38:39], v38, v[8:9]
	v_sub_u32_e32 v39, 29, v40
	v_cmp_eq_u32_e64 s[0:1], 0, v37
	v_and_b32_e32 v38, 7, v38
	v_lshlrev_b32_e32 v8, 8, v8
	v_cndmask_b32_e64 v37, v37, v39, s[0:1]
	v_lshl_add_u32 v37, v37, 10, v5
	v_cndmask_b32_e64 v32, v32, v38, s[0:1]
	v_and_or_b32 v8, v8, s34, v37
	v_lshl_or_b32 v8, v32, 7, v8
	v_cvt_f32_f16_e32 v32, v8
.LBB259_68:                             ;   in Loop: Header=BB259_44 Depth=1
	s_or_b64 exec, exec, s[16:17]
	v_lshrrev_b32_e32 v8, 16, v21
	v_cmp_gt_i16_sdwa s[2:3], v8, s30 src0_sel:BYTE_0 src1_sel:DWORD
	s_mov_b64 s[0:1], 0
                                        ; implicit-def: $sgpr18
	s_and_saveexec_b64 s[16:17], s[2:3]
	s_xor_b64 s[2:3], exec, s[16:17]
	s_cbranch_execnz .LBB259_137
; %bb.69:                               ;   in Loop: Header=BB259_44 Depth=1
	s_or_saveexec_b64 s[2:3], s[2:3]
	v_mov_b32_e32 v37, s18
	s_xor_b64 exec, exec, s[2:3]
	s_cbranch_execnz .LBB259_140
.LBB259_70:                             ;   in Loop: Header=BB259_44 Depth=1
	s_or_b64 exec, exec, s[2:3]
	s_and_saveexec_b64 s[2:3], s[0:1]
	s_cbranch_execz .LBB259_72
.LBB259_71:                             ;   in Loop: Header=BB259_44 Depth=1
	v_bfe_u32 v37, v21, 16, 3
	v_ffbh_u32_e32 v38, v37
	v_min_u32_e32 v41, 32, v38
	v_subrev_u32_e32 v38, 28, v41
	v_bfe_u32 v40, v21, 19, 4
	v_lshlrev_b64 v[38:39], v38, v[8:9]
	v_sub_u32_e32 v39, 29, v41
	v_cmp_eq_u32_e64 s[0:1], 0, v40
	v_and_b32_e32 v38, 7, v38
	v_lshlrev_b32_e32 v8, 8, v8
	v_cndmask_b32_e64 v39, v40, v39, s[0:1]
	v_cndmask_b32_e64 v37, v37, v38, s[0:1]
	v_lshl_add_u32 v38, v39, 10, v5
	v_and_or_b32 v8, v8, s34, v38
	v_lshl_or_b32 v8, v37, 7, v8
	v_cvt_f32_f16_e32 v37, v8
.LBB259_72:                             ;   in Loop: Header=BB259_44 Depth=1
	s_or_b64 exec, exec, s[2:3]
	v_lshrrev_b32_e32 v8, 24, v21
	v_cmp_lt_i16_e64 s[0:1], s30, v8
	s_mov_b64 s[2:3], 0
                                        ; implicit-def: $sgpr20
	s_and_saveexec_b64 s[16:17], s[0:1]
	s_xor_b64 s[16:17], exec, s[16:17]
	s_cbranch_execnz .LBB259_141
; %bb.73:                               ;   in Loop: Header=BB259_44 Depth=1
	s_or_saveexec_b64 s[16:17], s[16:17]
	v_mov_b32_e32 v38, s20
	s_xor_b64 exec, exec, s[16:17]
	s_cbranch_execnz .LBB259_144
.LBB259_74:                             ;   in Loop: Header=BB259_44 Depth=1
	s_or_b64 exec, exec, s[16:17]
	s_and_saveexec_b64 s[16:17], s[2:3]
	s_cbranch_execz .LBB259_76
.LBB259_75:                             ;   in Loop: Header=BB259_44 Depth=1
	v_bfe_u32 v40, v21, 24, 3
	v_ffbh_u32_e32 v38, v40
	v_min_u32_e32 v41, 32, v38
	v_subrev_u32_e32 v38, 28, v41
	v_bfe_u32 v21, v21, 27, 4
	v_lshlrev_b64 v[38:39], v38, v[8:9]
	v_sub_u32_e32 v39, 29, v41
	v_cmp_eq_u32_e64 s[0:1], 0, v21
	v_and_b32_e32 v38, 7, v38
	v_lshlrev_b32_e32 v8, 8, v8
	v_cndmask_b32_e64 v21, v21, v39, s[0:1]
	v_lshl_add_u32 v21, v21, 10, v5
	v_cndmask_b32_e64 v38, v40, v38, s[0:1]
	v_and_or_b32 v8, v8, s34, v21
	v_lshl_or_b32 v8, v38, 7, v8
	v_cvt_f32_f16_e32 v38, v8
.LBB259_76:                             ;   in Loop: Header=BB259_44 Depth=1
	s_or_b64 exec, exec, s[16:17]
	s_waitcnt vmcnt(0)
	v_pk_mul_f32 v[24:25], v[18:19], v[24:25] op_sel_hi:[0,1]
	v_pk_mul_f32 v[22:23], v[18:19], v[22:23] op_sel_hi:[0,1]
	v_cvt_f16_f32_e32 v8, v25
	v_cvt_f16_f32_e32 v21, v24
	;; [unrolled: 1-line block ×4, first 2 shown]
	v_fma_mixlo_f16 v20, v18, v20, 0
	v_pack_b32_f16 v21, v21, v8
	v_cmp_eq_u32_e64 s[2:3], s9, v4
	v_pack_b32_f16 v22, v22, v23
	v_perm_b32 v8, v22, v21, s36
	v_perm_b32 v21, v22, v21, s37
	v_fma_mixlo_f16 v22, v18, v32, 0
	v_lshlrev_b32_e32 v22, 16, v22
	v_or_b32_sdwa v20, v22, v20 dst_sel:DWORD dst_unused:UNUSED_PAD src0_sel:DWORD src1_sel:WORD_0
	v_fma_mixlo_f16 v22, v18, v37, 0
	v_fma_mixlo_f16 v18, v18, v38, 0
	v_lshlrev_b32_e32 v18, 16, v18
	v_or_b32_sdwa v18, v18, v22 dst_sel:DWORD dst_unused:UNUSED_PAD src0_sel:DWORD src1_sel:WORD_0
	s_and_saveexec_b64 s[16:17], s[2:3]
	s_cbranch_execz .LBB259_78
; %bb.77:                               ;   in Loop: Header=BB259_44 Depth=1
	v_add_u32_e32 v23, 1, v27
	v_lshrrev_b32_e32 v24, 16, v21
	v_cmp_gt_i32_e64 s[0:1], s28, v23
	v_lshrrev_b32_e32 v25, 16, v8
	v_lshrrev_b32_e32 v18, 16, v18
	v_cndmask_b32_e64 v23, 0, v24, s[0:1]
	v_cmp_gt_i32_e64 s[0:1], s29, v27
	v_or_b32_e32 v24, 2, v27
	s_nop 0
	v_cndmask_b32_e64 v21, 0, v21, s[0:1]
	v_perm_b32 v21, v23, v21, s38
	v_or_b32_e32 v23, 3, v27
	v_cmp_gt_i32_e64 s[0:1], s28, v23
	s_nop 1
	v_cndmask_b32_e64 v23, 0, v25, s[0:1]
	v_cmp_gt_i32_e64 s[0:1], s29, v24
	v_or_b32_e32 v24, 4, v27
	v_lshrrev_b32_e32 v25, 16, v20
	v_cndmask_b32_e64 v8, 0, v8, s[0:1]
	v_perm_b32 v8, v23, v8, s38
	v_or_b32_e32 v23, 5, v27
	v_cmp_gt_i32_e64 s[0:1], s28, v23
	s_nop 1
	v_cndmask_b32_e64 v23, 0, v25, s[0:1]
	v_cmp_gt_i32_e64 s[0:1], s29, v24
	v_or_b32_e32 v24, 6, v27
	s_nop 0
	v_cndmask_b32_e64 v20, 0, v20, s[0:1]
	v_perm_b32 v20, v23, v20, s38
	v_or_b32_e32 v23, 7, v27
	v_cmp_gt_i32_e64 s[0:1], s28, v23
	s_nop 1
	v_cndmask_b32_e64 v18, 0, v18, s[0:1]
	v_cmp_gt_i32_e64 s[0:1], s29, v24
	s_nop 1
	v_cndmask_b32_e64 v22, 0, v22, s[0:1]
	v_perm_b32 v18, v18, v22, s38
.LBB259_78:                             ;   in Loop: Header=BB259_44 Depth=1
	s_or_b64 exec, exec, s[16:17]
	v_and_b32_e32 v19, 0xffff, v19
	v_lshl_or_b32 v32, v29, 16, v19
	v_and_b32_e32 v19, 0xffff, v30
	v_lshl_or_b32 v31, v31, 16, v19
	;; [unrolled: 2-line block ×4, first 2 shown]
	;;#ASMSTART
	v_pk_mul_f16 v19, v32, v21;

	;;#ASMEND
	;;#ASMSTART
	v_pk_mul_f16 v8, v31, v8;

	;;#ASMEND
	;; [unrolled: 4-line block ×4, first 2 shown]
	s_nop 0
	;;#ASMSTART
	v_pk_add_f16 v8, v19, v8;

	;;#ASMEND
	s_nop 0
	;;#ASMSTART
	v_pk_add_f16 v8, v8, v20;

	;;#ASMEND
	;; [unrolled: 5-line block ×3, first 2 shown]
	s_nop 0
	v_lshrrev_b32_e32 v18, 16, v8
	v_and_b32_e32 v8, 0xffff, v8
	;;#ASMSTART
	v_cvt_f32_f16 v24, v8;
	;;#ASMEND
	;;#ASMSTART
	v_cvt_f32_f16 v25, v18;
	;;#ASMEND
	s_and_saveexec_b64 s[16:17], vcc
	s_cbranch_execz .LBB259_43
; %bb.79:                               ;   in Loop: Header=BB259_44 Depth=1
	v_lshl_add_u64 v[20:21], v[16:17], 0, v[10:11]
	global_load_dwordx2 v[18:19], v[20:21], off
	global_load_dword v16, v9, s[14:15]
	s_mov_b64 s[0:1], 0
                                        ; implicit-def: $sgpr22
	s_waitcnt vmcnt(1)
	v_cmp_gt_i16_sdwa s[18:19], v18, s30 src0_sel:BYTE_0 src1_sel:DWORD
	s_and_saveexec_b64 s[20:21], s[18:19]
	s_xor_b64 s[18:19], exec, s[20:21]
	s_cbranch_execnz .LBB259_145
; %bb.80:                               ;   in Loop: Header=BB259_44 Depth=1
	s_or_saveexec_b64 s[18:19], s[18:19]
	v_mov_b32_e32 v20, s22
	s_xor_b64 exec, exec, s[18:19]
	s_cbranch_execnz .LBB259_148
.LBB259_81:                             ;   in Loop: Header=BB259_44 Depth=1
	s_or_b64 exec, exec, s[18:19]
	s_and_saveexec_b64 s[18:19], s[0:1]
	s_cbranch_execz .LBB259_83
.LBB259_82:                             ;   in Loop: Header=BB259_44 Depth=1
	v_and_b32_e32 v8, 7, v18
	v_ffbh_u32_e32 v8, v8
	v_bfe_u32 v17, v18, 3, 4
	v_min_u32_e32 v8, 32, v8
	v_subrev_u32_e32 v20, 28, v8
	v_sub_u32_e32 v8, 29, v8
	v_cmp_eq_u32_e64 s[0:1], 0, v17
	s_nop 1
	v_cndmask_b32_e64 v8, v17, v8, s[0:1]
	v_cndmask_b32_e64 v17, 0, v20, s[0:1]
	v_lshlrev_b64 v[20:21], v17, v[18:19]
	v_lshlrev_b32_e32 v17, 7, v20
	v_lshlrev_b32_e32 v20, 8, v18
	v_lshl_add_u32 v8, v8, 10, v5
	v_and_or_b32 v8, v20, s34, v8
	v_and_or_b32 v8, v17, s35, v8
	v_cvt_f32_f16_e32 v20, v8
.LBB259_83:                             ;   in Loop: Header=BB259_44 Depth=1
	s_or_b64 exec, exec, s[18:19]
	v_lshrrev_b16_e32 v8, 8, v18
	v_cmp_lt_i16_e64 s[0:1], s30, v8
	s_mov_b64 s[18:19], 0
                                        ; implicit-def: $sgpr39
	s_and_saveexec_b64 s[20:21], s[0:1]
	s_xor_b64 s[20:21], exec, s[20:21]
	s_cbranch_execnz .LBB259_149
; %bb.84:                               ;   in Loop: Header=BB259_44 Depth=1
	s_or_saveexec_b64 s[20:21], s[20:21]
	v_mov_b32_e32 v22, s39
	s_xor_b64 exec, exec, s[20:21]
	s_cbranch_execnz .LBB259_152
.LBB259_85:                             ;   in Loop: Header=BB259_44 Depth=1
	s_or_b64 exec, exec, s[20:21]
	s_and_saveexec_b64 s[20:21], s[18:19]
	s_cbranch_execz .LBB259_87
.LBB259_86:                             ;   in Loop: Header=BB259_44 Depth=1
	v_and_b32_e32 v17, 7, v8
	v_ffbh_u32_e32 v22, v17
	v_min_u32_e32 v33, 32, v22
	v_subrev_u32_e32 v22, 28, v33
	v_bfe_u32 v21, v8, 3, 4
	v_lshlrev_b64 v[22:23], v22, v[8:9]
	v_sub_u32_e32 v23, 29, v33
	v_cmp_eq_u32_e64 s[0:1], 0, v21
	v_and_b32_e32 v22, 7, v22
	v_lshlrev_b32_e32 v8, 8, v8
	v_cndmask_b32_e64 v21, v21, v23, s[0:1]
	v_lshl_add_u32 v21, v21, 10, v5
	v_cndmask_b32_e64 v17, v17, v22, s[0:1]
	v_and_or_b32 v8, v8, s34, v21
	v_lshl_or_b32 v8, v17, 7, v8
	v_cvt_f32_f16_e32 v22, v8
.LBB259_87:                             ;   in Loop: Header=BB259_44 Depth=1
	s_or_b64 exec, exec, s[20:21]
	v_lshrrev_b32_e32 v8, 16, v18
	v_cmp_gt_i16_sdwa s[18:19], v8, s30 src0_sel:BYTE_0 src1_sel:DWORD
	s_mov_b64 s[0:1], 0
                                        ; implicit-def: $sgpr22
	s_and_saveexec_b64 s[20:21], s[18:19]
	s_xor_b64 s[18:19], exec, s[20:21]
	s_cbranch_execnz .LBB259_153
; %bb.88:                               ;   in Loop: Header=BB259_44 Depth=1
	s_or_saveexec_b64 s[18:19], s[18:19]
	v_mov_b32_e32 v21, s22
	s_xor_b64 exec, exec, s[18:19]
	s_cbranch_execnz .LBB259_156
.LBB259_89:                             ;   in Loop: Header=BB259_44 Depth=1
	s_or_b64 exec, exec, s[18:19]
	s_and_saveexec_b64 s[18:19], s[0:1]
	s_cbranch_execz .LBB259_91
.LBB259_90:                             ;   in Loop: Header=BB259_44 Depth=1
	v_bfe_u32 v17, v18, 16, 3
	v_ffbh_u32_e32 v23, v17
	v_bfe_u32 v21, v18, 19, 4
	v_min_u32_e32 v23, 32, v23
	v_subrev_u32_e32 v33, 28, v23
	v_sub_u32_e32 v23, 29, v23
	v_cmp_eq_u32_e64 s[0:1], 0, v21
	v_lshlrev_b64 v[34:35], v33, v[8:9]
	v_and_b32_e32 v33, 7, v34
	v_cndmask_b32_e64 v21, v21, v23, s[0:1]
	v_lshlrev_b32_e32 v8, 8, v8
	v_lshl_add_u32 v21, v21, 10, v5
	v_cndmask_b32_e64 v17, v17, v33, s[0:1]
	v_and_or_b32 v8, v8, s34, v21
	v_lshl_or_b32 v8, v17, 7, v8
	v_cvt_f32_f16_e32 v21, v8
.LBB259_91:                             ;   in Loop: Header=BB259_44 Depth=1
	s_or_b64 exec, exec, s[18:19]
	v_lshrrev_b32_e32 v8, 24, v18
	v_cmp_lt_i16_e64 s[0:1], s30, v8
	s_mov_b64 s[18:19], 0
                                        ; implicit-def: $sgpr39
	s_and_saveexec_b64 s[20:21], s[0:1]
	s_xor_b64 s[20:21], exec, s[20:21]
	s_cbranch_execnz .LBB259_157
; %bb.92:                               ;   in Loop: Header=BB259_44 Depth=1
	s_or_saveexec_b64 s[20:21], s[20:21]
	v_mov_b32_e32 v23, s39
	s_xor_b64 exec, exec, s[20:21]
	s_cbranch_execnz .LBB259_160
.LBB259_93:                             ;   in Loop: Header=BB259_44 Depth=1
	s_or_b64 exec, exec, s[20:21]
	s_and_saveexec_b64 s[20:21], s[18:19]
	s_cbranch_execz .LBB259_95
.LBB259_94:                             ;   in Loop: Header=BB259_44 Depth=1
	v_bfe_u32 v17, v18, 24, 3
	v_ffbh_u32_e32 v23, v17
	v_bfe_u32 v18, v18, 27, 4
	v_min_u32_e32 v23, 32, v23
	v_subrev_u32_e32 v33, 28, v23
	v_sub_u32_e32 v23, 29, v23
	v_cmp_eq_u32_e64 s[0:1], 0, v18
	v_lshlrev_b64 v[34:35], v33, v[8:9]
	v_and_b32_e32 v33, 7, v34
	v_cndmask_b32_e64 v18, v18, v23, s[0:1]
	v_lshlrev_b32_e32 v8, 8, v8
	v_lshl_add_u32 v18, v18, 10, v5
	v_cndmask_b32_e64 v17, v17, v33, s[0:1]
	v_and_or_b32 v8, v8, s34, v18
	v_lshl_or_b32 v8, v17, 7, v8
	v_cvt_f32_f16_e32 v23, v8
.LBB259_95:                             ;   in Loop: Header=BB259_44 Depth=1
	s_or_b64 exec, exec, s[20:21]
	v_cmp_gt_i16_sdwa s[18:19], v19, s30 src0_sel:BYTE_0 src1_sel:DWORD
	s_mov_b64 s[0:1], 0
                                        ; implicit-def: $sgpr22
	s_and_saveexec_b64 s[20:21], s[18:19]
	s_xor_b64 s[18:19], exec, s[20:21]
	s_cbranch_execnz .LBB259_161
; %bb.96:                               ;   in Loop: Header=BB259_44 Depth=1
	s_or_saveexec_b64 s[18:19], s[18:19]
	v_mov_b32_e32 v17, s22
	s_xor_b64 exec, exec, s[18:19]
	s_cbranch_execnz .LBB259_164
.LBB259_97:                             ;   in Loop: Header=BB259_44 Depth=1
	s_or_b64 exec, exec, s[18:19]
	v_mov_b32_e32 v8, v19
	s_and_saveexec_b64 s[18:19], s[0:1]
	s_cbranch_execz .LBB259_99
.LBB259_98:                             ;   in Loop: Header=BB259_44 Depth=1
	v_and_b32_e32 v17, 7, v19
	v_ffbh_u32_e32 v17, v17
	v_bfe_u32 v18, v19, 3, 4
	v_min_u32_e32 v17, 32, v17
	v_subrev_u32_e32 v33, 28, v17
	v_sub_u32_e32 v17, 29, v17
	v_cmp_eq_u32_e64 s[0:1], 0, v18
	s_nop 1
	v_cndmask_b32_e64 v17, v18, v17, s[0:1]
	v_cndmask_b32_e64 v18, 0, v33, s[0:1]
	v_lshlrev_b64 v[34:35], v18, v[8:9]
	v_lshlrev_b32_e32 v33, 8, v19
	v_lshl_add_u32 v17, v17, 10, v5
	v_lshlrev_b32_e32 v18, 7, v34
	v_and_or_b32 v17, v33, s34, v17
	v_and_or_b32 v17, v18, s35, v17
	v_cvt_f32_f16_e32 v17, v17
.LBB259_99:                             ;   in Loop: Header=BB259_44 Depth=1
	s_or_b64 exec, exec, s[18:19]
	v_lshrrev_b16_e32 v8, 8, v8
	v_cmp_lt_i16_e64 s[0:1], s30, v8
	s_mov_b64 s[18:19], 0
                                        ; implicit-def: $sgpr39
	s_and_saveexec_b64 s[20:21], s[0:1]
	s_xor_b64 s[20:21], exec, s[20:21]
	s_cbranch_execnz .LBB259_165
; %bb.100:                              ;   in Loop: Header=BB259_44 Depth=1
	s_or_saveexec_b64 s[20:21], s[20:21]
	v_mov_b32_e32 v18, s39
	s_xor_b64 exec, exec, s[20:21]
	s_cbranch_execnz .LBB259_168
.LBB259_101:                            ;   in Loop: Header=BB259_44 Depth=1
	s_or_b64 exec, exec, s[20:21]
	s_and_saveexec_b64 s[20:21], s[18:19]
	s_cbranch_execz .LBB259_103
.LBB259_102:                            ;   in Loop: Header=BB259_44 Depth=1
	v_and_b32_e32 v18, 7, v8
	v_ffbh_u32_e32 v34, v18
	v_min_u32_e32 v36, 32, v34
	v_subrev_u32_e32 v34, 28, v36
	v_bfe_u32 v33, v8, 3, 4
	v_lshlrev_b64 v[34:35], v34, v[8:9]
	v_sub_u32_e32 v35, 29, v36
	v_cmp_eq_u32_e64 s[0:1], 0, v33
	v_and_b32_e32 v34, 7, v34
	v_lshlrev_b32_e32 v8, 8, v8
	v_cndmask_b32_e64 v33, v33, v35, s[0:1]
	v_lshl_add_u32 v33, v33, 10, v5
	v_cndmask_b32_e64 v18, v18, v34, s[0:1]
	v_and_or_b32 v8, v8, s34, v33
	v_lshl_or_b32 v8, v18, 7, v8
	v_cvt_f32_f16_e32 v18, v8
.LBB259_103:                            ;   in Loop: Header=BB259_44 Depth=1
	s_or_b64 exec, exec, s[20:21]
	v_lshrrev_b32_e32 v8, 16, v19
	v_cmp_gt_i16_sdwa s[18:19], v8, s30 src0_sel:BYTE_0 src1_sel:DWORD
	s_mov_b64 s[0:1], 0
                                        ; implicit-def: $sgpr22
	s_and_saveexec_b64 s[20:21], s[18:19]
	s_xor_b64 s[18:19], exec, s[20:21]
	s_cbranch_execnz .LBB259_169
; %bb.104:                              ;   in Loop: Header=BB259_44 Depth=1
	s_or_saveexec_b64 s[18:19], s[18:19]
	v_mov_b32_e32 v33, s22
	s_xor_b64 exec, exec, s[18:19]
	s_cbranch_execnz .LBB259_172
.LBB259_105:                            ;   in Loop: Header=BB259_44 Depth=1
	s_or_b64 exec, exec, s[18:19]
	s_and_saveexec_b64 s[18:19], s[0:1]
	s_cbranch_execz .LBB259_107
.LBB259_106:                            ;   in Loop: Header=BB259_44 Depth=1
	v_bfe_u32 v33, v19, 16, 3
	v_ffbh_u32_e32 v34, v33
	v_min_u32_e32 v37, 32, v34
	v_subrev_u32_e32 v34, 28, v37
	v_bfe_u32 v36, v19, 19, 4
	v_lshlrev_b64 v[34:35], v34, v[8:9]
	v_sub_u32_e32 v35, 29, v37
	v_cmp_eq_u32_e64 s[0:1], 0, v36
	v_and_b32_e32 v34, 7, v34
	v_lshlrev_b32_e32 v8, 8, v8
	v_cndmask_b32_e64 v35, v36, v35, s[0:1]
	v_cndmask_b32_e64 v33, v33, v34, s[0:1]
	v_lshl_add_u32 v34, v35, 10, v5
	v_and_or_b32 v8, v8, s34, v34
	v_lshl_or_b32 v8, v33, 7, v8
	v_cvt_f32_f16_e32 v33, v8
.LBB259_107:                            ;   in Loop: Header=BB259_44 Depth=1
	s_or_b64 exec, exec, s[18:19]
	v_lshrrev_b32_e32 v8, 24, v19
	v_cmp_lt_i16_e64 s[0:1], s30, v8
	s_mov_b64 s[18:19], 0
                                        ; implicit-def: $sgpr39
	s_and_saveexec_b64 s[20:21], s[0:1]
	s_xor_b64 s[20:21], exec, s[20:21]
	s_cbranch_execnz .LBB259_173
; %bb.108:                              ;   in Loop: Header=BB259_44 Depth=1
	s_or_saveexec_b64 s[20:21], s[20:21]
	v_mov_b32_e32 v34, s39
	s_xor_b64 exec, exec, s[20:21]
	s_cbranch_execnz .LBB259_176
.LBB259_109:                            ;   in Loop: Header=BB259_44 Depth=1
	s_or_b64 exec, exec, s[20:21]
	s_and_saveexec_b64 s[20:21], s[18:19]
	s_cbranch_execz .LBB259_111
.LBB259_110:                            ;   in Loop: Header=BB259_44 Depth=1
	v_bfe_u32 v36, v19, 24, 3
	v_ffbh_u32_e32 v34, v36
	v_min_u32_e32 v37, 32, v34
	v_subrev_u32_e32 v34, 28, v37
	v_bfe_u32 v19, v19, 27, 4
	v_lshlrev_b64 v[34:35], v34, v[8:9]
	v_sub_u32_e32 v35, 29, v37
	v_cmp_eq_u32_e64 s[0:1], 0, v19
	v_and_b32_e32 v34, 7, v34
	v_lshlrev_b32_e32 v8, 8, v8
	v_cndmask_b32_e64 v19, v19, v35, s[0:1]
	v_lshl_add_u32 v19, v19, 10, v5
	v_cndmask_b32_e64 v34, v36, v34, s[0:1]
	v_and_or_b32 v8, v8, s34, v19
	v_lshl_or_b32 v8, v34, 7, v8
	v_cvt_f32_f16_e32 v34, v8
.LBB259_111:                            ;   in Loop: Header=BB259_44 Depth=1
	s_or_b64 exec, exec, s[20:21]
	s_waitcnt vmcnt(0)
	v_pk_mul_f32 v[22:23], v[16:17], v[22:23] op_sel_hi:[0,1]
	v_pk_mul_f32 v[20:21], v[16:17], v[20:21] op_sel_hi:[0,1]
	v_cvt_f16_f32_e32 v8, v23
	v_cvt_f16_f32_e32 v19, v22
	;; [unrolled: 1-line block ×4, first 2 shown]
	v_fma_mixlo_f16 v18, v16, v18, 0
	v_lshlrev_b32_e32 v18, 16, v18
	v_fma_mixlo_f16 v17, v16, v17, 0
	v_or_b32_sdwa v17, v18, v17 dst_sel:DWORD dst_unused:UNUSED_PAD src0_sel:DWORD src1_sel:WORD_0
	v_fma_mixlo_f16 v18, v16, v33, 0
	v_fma_mixlo_f16 v16, v16, v34, 0
	v_pack_b32_f16 v19, v19, v8
	v_pack_b32_f16 v20, v20, v21
	v_lshlrev_b32_e32 v16, 16, v16
	v_perm_b32 v8, v20, v19, s36
	v_perm_b32 v19, v20, v19, s37
	v_or_b32_sdwa v16, v16, v18 dst_sel:DWORD dst_unused:UNUSED_PAD src0_sel:DWORD src1_sel:WORD_0
	s_and_saveexec_b64 s[18:19], s[2:3]
	s_cbranch_execz .LBB259_42
; %bb.112:                              ;   in Loop: Header=BB259_44 Depth=1
	v_add_u32_e32 v20, 1, v27
	v_lshrrev_b32_e32 v21, 16, v19
	v_cmp_gt_i32_e64 s[0:1], s28, v20
	v_lshrrev_b32_e32 v22, 16, v8
	v_lshrrev_b32_e32 v16, 16, v16
	v_cndmask_b32_e64 v20, 0, v21, s[0:1]
	v_cmp_gt_i32_e64 s[0:1], s29, v27
	v_or_b32_e32 v21, 2, v27
	s_nop 0
	v_cndmask_b32_e64 v19, 0, v19, s[0:1]
	v_perm_b32 v19, v20, v19, s38
	v_or_b32_e32 v20, 3, v27
	v_cmp_gt_i32_e64 s[0:1], s28, v20
	s_nop 1
	v_cndmask_b32_e64 v20, 0, v22, s[0:1]
	v_cmp_gt_i32_e64 s[0:1], s29, v21
	v_or_b32_e32 v21, 4, v27
	v_lshrrev_b32_e32 v22, 16, v17
	v_cndmask_b32_e64 v8, 0, v8, s[0:1]
	v_perm_b32 v8, v20, v8, s38
	v_or_b32_e32 v20, 5, v27
	v_cmp_gt_i32_e64 s[0:1], s28, v20
	s_nop 1
	v_cndmask_b32_e64 v20, 0, v22, s[0:1]
	v_cmp_gt_i32_e64 s[0:1], s29, v21
	v_or_b32_e32 v21, 6, v27
	s_nop 0
	v_cndmask_b32_e64 v17, 0, v17, s[0:1]
	v_perm_b32 v17, v20, v17, s38
	v_or_b32_e32 v20, 7, v27
	v_cmp_gt_i32_e64 s[0:1], s28, v20
	s_nop 1
	v_cndmask_b32_e64 v16, 0, v16, s[0:1]
	v_cmp_gt_i32_e64 s[0:1], s29, v21
	s_nop 1
	v_cndmask_b32_e64 v18, 0, v18, s[0:1]
	v_perm_b32 v16, v16, v18, s38
	s_branch .LBB259_42
.LBB259_113:                            ;   in Loop: Header=BB259_44 Depth=1
	v_cmp_eq_u16_sdwa s[20:21], v20, s31 src0_sel:BYTE_0 src1_sel:DWORD
	s_mov_b64 s[0:1], -1
                                        ; implicit-def: $sgpr18
	s_and_saveexec_b64 s[16:17], s[20:21]
; %bb.114:                              ;   in Loop: Header=BB259_44 Depth=1
	s_mov_b32 s18, 0x7fc02000
	s_xor_b64 s[0:1], exec, -1
; %bb.115:                              ;   in Loop: Header=BB259_44 Depth=1
	s_or_b64 exec, exec, s[16:17]
	s_and_b64 s[0:1], s[0:1], exec
	s_or_saveexec_b64 s[2:3], s[2:3]
	v_mov_b32_e32 v22, s18
	s_xor_b64 exec, exec, s[2:3]
	s_cbranch_execz .LBB259_46
.LBB259_116:                            ;   in Loop: Header=BB259_44 Depth=1
	v_cmp_ne_u16_sdwa s[16:17], v20, v9 src0_sel:BYTE_0 src1_sel:DWORD
	s_andn2_b64 s[0:1], s[0:1], exec
	s_and_b64 s[16:17], s[16:17], exec
	v_mov_b32_e32 v22, 0
	s_or_b64 s[0:1], s[0:1], s[16:17]
	s_or_b64 exec, exec, s[2:3]
	s_and_saveexec_b64 s[2:3], s[0:1]
	s_cbranch_execnz .LBB259_47
	s_branch .LBB259_48
.LBB259_117:                            ;   in Loop: Header=BB259_44 Depth=1
	v_cmp_eq_u16_e64 s[0:1], s31, v8
	s_mov_b64 s[2:3], -1
                                        ; implicit-def: $sgpr20
	s_and_saveexec_b64 s[18:19], s[0:1]
; %bb.118:                              ;   in Loop: Header=BB259_44 Depth=1
	s_mov_b32 s20, 0x7fc02000
	s_xor_b64 s[2:3], exec, -1
; %bb.119:                              ;   in Loop: Header=BB259_44 Depth=1
	s_or_b64 exec, exec, s[18:19]
	s_and_b64 s[2:3], s[2:3], exec
	s_or_saveexec_b64 s[16:17], s[16:17]
	v_mov_b32_e32 v24, s20
	s_xor_b64 exec, exec, s[16:17]
	s_cbranch_execz .LBB259_50
.LBB259_120:                            ;   in Loop: Header=BB259_44 Depth=1
	v_cmp_ne_u16_e64 s[0:1], 0, v8
	s_andn2_b64 s[2:3], s[2:3], exec
	s_and_b64 s[0:1], s[0:1], exec
	v_mov_b32_e32 v24, 0
	s_or_b64 s[2:3], s[2:3], s[0:1]
	s_or_b64 exec, exec, s[16:17]
	s_and_saveexec_b64 s[16:17], s[2:3]
	s_cbranch_execnz .LBB259_51
	s_branch .LBB259_52
.LBB259_121:                            ;   in Loop: Header=BB259_44 Depth=1
	v_cmp_eq_u16_sdwa s[20:21], v8, s31 src0_sel:BYTE_0 src1_sel:DWORD
	s_mov_b64 s[0:1], -1
                                        ; implicit-def: $sgpr18
	s_and_saveexec_b64 s[16:17], s[20:21]
; %bb.122:                              ;   in Loop: Header=BB259_44 Depth=1
	s_mov_b32 s18, 0x7fc02000
	s_xor_b64 s[0:1], exec, -1
; %bb.123:                              ;   in Loop: Header=BB259_44 Depth=1
	s_or_b64 exec, exec, s[16:17]
	s_and_b64 s[0:1], s[0:1], exec
	s_or_saveexec_b64 s[2:3], s[2:3]
	v_mov_b32_e32 v23, s18
	s_xor_b64 exec, exec, s[2:3]
	s_cbranch_execz .LBB259_54
.LBB259_124:                            ;   in Loop: Header=BB259_44 Depth=1
	v_cmp_ne_u16_sdwa s[16:17], v8, v9 src0_sel:BYTE_0 src1_sel:DWORD
	s_andn2_b64 s[0:1], s[0:1], exec
	s_and_b64 s[16:17], s[16:17], exec
	v_mov_b32_e32 v23, 0
	s_or_b64 s[0:1], s[0:1], s[16:17]
	s_or_b64 exec, exec, s[2:3]
	s_and_saveexec_b64 s[2:3], s[0:1]
	s_cbranch_execnz .LBB259_55
	s_branch .LBB259_56
.LBB259_125:                            ;   in Loop: Header=BB259_44 Depth=1
	v_cmp_eq_u16_e64 s[0:1], s31, v8
	s_mov_b64 s[2:3], -1
                                        ; implicit-def: $sgpr20
	s_and_saveexec_b64 s[18:19], s[0:1]
; %bb.126:                              ;   in Loop: Header=BB259_44 Depth=1
	s_mov_b32 s20, 0x7fc02000
	s_xor_b64 s[2:3], exec, -1
; %bb.127:                              ;   in Loop: Header=BB259_44 Depth=1
	s_or_b64 exec, exec, s[18:19]
	s_and_b64 s[2:3], s[2:3], exec
	s_or_saveexec_b64 s[16:17], s[16:17]
	v_mov_b32_e32 v25, s20
	s_xor_b64 exec, exec, s[16:17]
	s_cbranch_execz .LBB259_58
.LBB259_128:                            ;   in Loop: Header=BB259_44 Depth=1
	v_cmp_ne_u16_e64 s[0:1], 0, v8
	s_andn2_b64 s[2:3], s[2:3], exec
	s_and_b64 s[0:1], s[0:1], exec
	v_mov_b32_e32 v25, 0
	s_or_b64 s[2:3], s[2:3], s[0:1]
	s_or_b64 exec, exec, s[16:17]
	s_and_saveexec_b64 s[16:17], s[2:3]
	s_cbranch_execnz .LBB259_59
	s_branch .LBB259_60
.LBB259_129:                            ;   in Loop: Header=BB259_44 Depth=1
	v_cmp_eq_u16_sdwa s[20:21], v21, s31 src0_sel:BYTE_0 src1_sel:DWORD
	s_mov_b64 s[0:1], -1
                                        ; implicit-def: $sgpr18
	s_and_saveexec_b64 s[16:17], s[20:21]
; %bb.130:                              ;   in Loop: Header=BB259_44 Depth=1
	s_mov_b32 s18, 0x7fc02000
	s_xor_b64 s[0:1], exec, -1
; %bb.131:                              ;   in Loop: Header=BB259_44 Depth=1
	s_or_b64 exec, exec, s[16:17]
	s_and_b64 s[0:1], s[0:1], exec
	s_or_saveexec_b64 s[2:3], s[2:3]
	v_mov_b32_e32 v20, s18
	s_xor_b64 exec, exec, s[2:3]
	s_cbranch_execz .LBB259_62
.LBB259_132:                            ;   in Loop: Header=BB259_44 Depth=1
	v_cmp_ne_u16_sdwa s[16:17], v21, v9 src0_sel:BYTE_0 src1_sel:DWORD
	s_andn2_b64 s[0:1], s[0:1], exec
	s_and_b64 s[16:17], s[16:17], exec
	v_mov_b32_e32 v20, 0
	s_or_b64 s[0:1], s[0:1], s[16:17]
	s_or_b64 exec, exec, s[2:3]
	v_mov_b32_e32 v8, v21
	s_and_saveexec_b64 s[2:3], s[0:1]
	s_cbranch_execnz .LBB259_63
	s_branch .LBB259_64
.LBB259_133:                            ;   in Loop: Header=BB259_44 Depth=1
	v_cmp_eq_u16_e64 s[0:1], s31, v8
	s_mov_b64 s[2:3], -1
                                        ; implicit-def: $sgpr20
	s_and_saveexec_b64 s[18:19], s[0:1]
; %bb.134:                              ;   in Loop: Header=BB259_44 Depth=1
	s_mov_b32 s20, 0x7fc02000
	s_xor_b64 s[2:3], exec, -1
; %bb.135:                              ;   in Loop: Header=BB259_44 Depth=1
	s_or_b64 exec, exec, s[18:19]
	s_and_b64 s[2:3], s[2:3], exec
	s_or_saveexec_b64 s[16:17], s[16:17]
	v_mov_b32_e32 v32, s20
	s_xor_b64 exec, exec, s[16:17]
	s_cbranch_execz .LBB259_66
.LBB259_136:                            ;   in Loop: Header=BB259_44 Depth=1
	v_cmp_ne_u16_e64 s[0:1], 0, v8
	s_andn2_b64 s[2:3], s[2:3], exec
	s_and_b64 s[0:1], s[0:1], exec
	v_mov_b32_e32 v32, 0
	s_or_b64 s[2:3], s[2:3], s[0:1]
	s_or_b64 exec, exec, s[16:17]
	s_and_saveexec_b64 s[16:17], s[2:3]
	s_cbranch_execnz .LBB259_67
	s_branch .LBB259_68
.LBB259_137:                            ;   in Loop: Header=BB259_44 Depth=1
	v_cmp_eq_u16_sdwa s[20:21], v8, s31 src0_sel:BYTE_0 src1_sel:DWORD
	s_mov_b64 s[0:1], -1
                                        ; implicit-def: $sgpr18
	s_and_saveexec_b64 s[16:17], s[20:21]
; %bb.138:                              ;   in Loop: Header=BB259_44 Depth=1
	s_mov_b32 s18, 0x7fc02000
	s_xor_b64 s[0:1], exec, -1
; %bb.139:                              ;   in Loop: Header=BB259_44 Depth=1
	s_or_b64 exec, exec, s[16:17]
	s_and_b64 s[0:1], s[0:1], exec
	s_or_saveexec_b64 s[2:3], s[2:3]
	v_mov_b32_e32 v37, s18
	s_xor_b64 exec, exec, s[2:3]
	s_cbranch_execz .LBB259_70
.LBB259_140:                            ;   in Loop: Header=BB259_44 Depth=1
	v_cmp_ne_u16_sdwa s[16:17], v8, v9 src0_sel:BYTE_0 src1_sel:DWORD
	s_andn2_b64 s[0:1], s[0:1], exec
	s_and_b64 s[16:17], s[16:17], exec
	v_mov_b32_e32 v37, 0
	s_or_b64 s[0:1], s[0:1], s[16:17]
	s_or_b64 exec, exec, s[2:3]
	s_and_saveexec_b64 s[2:3], s[0:1]
	s_cbranch_execnz .LBB259_71
	s_branch .LBB259_72
.LBB259_141:                            ;   in Loop: Header=BB259_44 Depth=1
	v_cmp_eq_u16_e64 s[0:1], s31, v8
	s_mov_b64 s[2:3], -1
                                        ; implicit-def: $sgpr20
	s_and_saveexec_b64 s[18:19], s[0:1]
; %bb.142:                              ;   in Loop: Header=BB259_44 Depth=1
	s_mov_b32 s20, 0x7fc02000
	s_xor_b64 s[2:3], exec, -1
; %bb.143:                              ;   in Loop: Header=BB259_44 Depth=1
	s_or_b64 exec, exec, s[18:19]
	s_and_b64 s[2:3], s[2:3], exec
	s_or_saveexec_b64 s[16:17], s[16:17]
	v_mov_b32_e32 v38, s20
	s_xor_b64 exec, exec, s[16:17]
	s_cbranch_execz .LBB259_74
.LBB259_144:                            ;   in Loop: Header=BB259_44 Depth=1
	v_cmp_ne_u16_e64 s[0:1], 0, v8
	s_andn2_b64 s[2:3], s[2:3], exec
	s_and_b64 s[0:1], s[0:1], exec
	v_mov_b32_e32 v38, 0
	s_or_b64 s[2:3], s[2:3], s[0:1]
	s_or_b64 exec, exec, s[16:17]
	s_and_saveexec_b64 s[16:17], s[2:3]
	s_cbranch_execnz .LBB259_75
	s_branch .LBB259_76
.LBB259_145:                            ;   in Loop: Header=BB259_44 Depth=1
	v_cmp_eq_u16_sdwa s[40:41], v18, s31 src0_sel:BYTE_0 src1_sel:DWORD
	s_mov_b64 s[0:1], -1
                                        ; implicit-def: $sgpr22
	s_and_saveexec_b64 s[20:21], s[40:41]
; %bb.146:                              ;   in Loop: Header=BB259_44 Depth=1
	s_mov_b32 s22, 0x7fc02000
	s_xor_b64 s[0:1], exec, -1
; %bb.147:                              ;   in Loop: Header=BB259_44 Depth=1
	s_or_b64 exec, exec, s[20:21]
	s_and_b64 s[0:1], s[0:1], exec
	s_or_saveexec_b64 s[18:19], s[18:19]
	v_mov_b32_e32 v20, s22
	s_xor_b64 exec, exec, s[18:19]
	s_cbranch_execz .LBB259_81
.LBB259_148:                            ;   in Loop: Header=BB259_44 Depth=1
	v_cmp_ne_u16_sdwa s[20:21], v18, v9 src0_sel:BYTE_0 src1_sel:DWORD
	s_andn2_b64 s[0:1], s[0:1], exec
	s_and_b64 s[20:21], s[20:21], exec
	v_mov_b32_e32 v20, 0
	s_or_b64 s[0:1], s[0:1], s[20:21]
	s_or_b64 exec, exec, s[18:19]
	s_and_saveexec_b64 s[18:19], s[0:1]
	s_cbranch_execnz .LBB259_82
	s_branch .LBB259_83
.LBB259_149:                            ;   in Loop: Header=BB259_44 Depth=1
	v_cmp_eq_u16_e64 s[0:1], s31, v8
	s_mov_b64 s[18:19], -1
                                        ; implicit-def: $sgpr39
	s_and_saveexec_b64 s[22:23], s[0:1]
; %bb.150:                              ;   in Loop: Header=BB259_44 Depth=1
	s_mov_b32 s39, 0x7fc02000
	s_xor_b64 s[18:19], exec, -1
; %bb.151:                              ;   in Loop: Header=BB259_44 Depth=1
	s_or_b64 exec, exec, s[22:23]
	s_and_b64 s[18:19], s[18:19], exec
	s_or_saveexec_b64 s[20:21], s[20:21]
	v_mov_b32_e32 v22, s39
	s_xor_b64 exec, exec, s[20:21]
	s_cbranch_execz .LBB259_85
.LBB259_152:                            ;   in Loop: Header=BB259_44 Depth=1
	v_cmp_ne_u16_e64 s[0:1], 0, v8
	s_andn2_b64 s[18:19], s[18:19], exec
	s_and_b64 s[0:1], s[0:1], exec
	v_mov_b32_e32 v22, 0
	s_or_b64 s[18:19], s[18:19], s[0:1]
	s_or_b64 exec, exec, s[20:21]
	s_and_saveexec_b64 s[20:21], s[18:19]
	s_cbranch_execnz .LBB259_86
	s_branch .LBB259_87
.LBB259_153:                            ;   in Loop: Header=BB259_44 Depth=1
	v_cmp_eq_u16_sdwa s[40:41], v8, s31 src0_sel:BYTE_0 src1_sel:DWORD
	s_mov_b64 s[0:1], -1
                                        ; implicit-def: $sgpr22
	s_and_saveexec_b64 s[20:21], s[40:41]
; %bb.154:                              ;   in Loop: Header=BB259_44 Depth=1
	s_mov_b32 s22, 0x7fc02000
	s_xor_b64 s[0:1], exec, -1
; %bb.155:                              ;   in Loop: Header=BB259_44 Depth=1
	s_or_b64 exec, exec, s[20:21]
	s_and_b64 s[0:1], s[0:1], exec
	s_or_saveexec_b64 s[18:19], s[18:19]
	v_mov_b32_e32 v21, s22
	s_xor_b64 exec, exec, s[18:19]
	s_cbranch_execz .LBB259_89
.LBB259_156:                            ;   in Loop: Header=BB259_44 Depth=1
	v_cmp_ne_u16_sdwa s[20:21], v8, v9 src0_sel:BYTE_0 src1_sel:DWORD
	s_andn2_b64 s[0:1], s[0:1], exec
	s_and_b64 s[20:21], s[20:21], exec
	v_mov_b32_e32 v21, 0
	s_or_b64 s[0:1], s[0:1], s[20:21]
	s_or_b64 exec, exec, s[18:19]
	s_and_saveexec_b64 s[18:19], s[0:1]
	s_cbranch_execnz .LBB259_90
	s_branch .LBB259_91
.LBB259_157:                            ;   in Loop: Header=BB259_44 Depth=1
	v_cmp_eq_u16_e64 s[0:1], s31, v8
	s_mov_b64 s[18:19], -1
                                        ; implicit-def: $sgpr39
	s_and_saveexec_b64 s[22:23], s[0:1]
; %bb.158:                              ;   in Loop: Header=BB259_44 Depth=1
	s_mov_b32 s39, 0x7fc02000
	s_xor_b64 s[18:19], exec, -1
; %bb.159:                              ;   in Loop: Header=BB259_44 Depth=1
	s_or_b64 exec, exec, s[22:23]
	s_and_b64 s[18:19], s[18:19], exec
	s_or_saveexec_b64 s[20:21], s[20:21]
	v_mov_b32_e32 v23, s39
	s_xor_b64 exec, exec, s[20:21]
	s_cbranch_execz .LBB259_93
.LBB259_160:                            ;   in Loop: Header=BB259_44 Depth=1
	v_cmp_ne_u16_e64 s[0:1], 0, v8
	s_andn2_b64 s[18:19], s[18:19], exec
	s_and_b64 s[0:1], s[0:1], exec
	v_mov_b32_e32 v23, 0
	s_or_b64 s[18:19], s[18:19], s[0:1]
	s_or_b64 exec, exec, s[20:21]
	s_and_saveexec_b64 s[20:21], s[18:19]
	s_cbranch_execnz .LBB259_94
	s_branch .LBB259_95
.LBB259_161:                            ;   in Loop: Header=BB259_44 Depth=1
	v_cmp_eq_u16_sdwa s[40:41], v19, s31 src0_sel:BYTE_0 src1_sel:DWORD
	s_mov_b64 s[0:1], -1
                                        ; implicit-def: $sgpr22
	s_and_saveexec_b64 s[20:21], s[40:41]
; %bb.162:                              ;   in Loop: Header=BB259_44 Depth=1
	s_mov_b32 s22, 0x7fc02000
	s_xor_b64 s[0:1], exec, -1
; %bb.163:                              ;   in Loop: Header=BB259_44 Depth=1
	s_or_b64 exec, exec, s[20:21]
	s_and_b64 s[0:1], s[0:1], exec
	s_or_saveexec_b64 s[18:19], s[18:19]
	v_mov_b32_e32 v17, s22
	s_xor_b64 exec, exec, s[18:19]
	s_cbranch_execz .LBB259_97
.LBB259_164:                            ;   in Loop: Header=BB259_44 Depth=1
	v_cmp_ne_u16_sdwa s[20:21], v19, v9 src0_sel:BYTE_0 src1_sel:DWORD
	s_andn2_b64 s[0:1], s[0:1], exec
	s_and_b64 s[20:21], s[20:21], exec
	v_mov_b32_e32 v17, 0
	s_or_b64 s[0:1], s[0:1], s[20:21]
	s_or_b64 exec, exec, s[18:19]
	v_mov_b32_e32 v8, v19
	s_and_saveexec_b64 s[18:19], s[0:1]
	s_cbranch_execnz .LBB259_98
	s_branch .LBB259_99
.LBB259_165:                            ;   in Loop: Header=BB259_44 Depth=1
	v_cmp_eq_u16_e64 s[0:1], s31, v8
	s_mov_b64 s[18:19], -1
                                        ; implicit-def: $sgpr39
	s_and_saveexec_b64 s[22:23], s[0:1]
; %bb.166:                              ;   in Loop: Header=BB259_44 Depth=1
	s_mov_b32 s39, 0x7fc02000
	s_xor_b64 s[18:19], exec, -1
; %bb.167:                              ;   in Loop: Header=BB259_44 Depth=1
	s_or_b64 exec, exec, s[22:23]
	s_and_b64 s[18:19], s[18:19], exec
	s_or_saveexec_b64 s[20:21], s[20:21]
	v_mov_b32_e32 v18, s39
	s_xor_b64 exec, exec, s[20:21]
	s_cbranch_execz .LBB259_101
.LBB259_168:                            ;   in Loop: Header=BB259_44 Depth=1
	v_cmp_ne_u16_e64 s[0:1], 0, v8
	s_andn2_b64 s[18:19], s[18:19], exec
	s_and_b64 s[0:1], s[0:1], exec
	v_mov_b32_e32 v18, 0
	s_or_b64 s[18:19], s[18:19], s[0:1]
	s_or_b64 exec, exec, s[20:21]
	s_and_saveexec_b64 s[20:21], s[18:19]
	s_cbranch_execnz .LBB259_102
	s_branch .LBB259_103
.LBB259_169:                            ;   in Loop: Header=BB259_44 Depth=1
	v_cmp_eq_u16_sdwa s[40:41], v8, s31 src0_sel:BYTE_0 src1_sel:DWORD
	s_mov_b64 s[0:1], -1
                                        ; implicit-def: $sgpr22
	s_and_saveexec_b64 s[20:21], s[40:41]
; %bb.170:                              ;   in Loop: Header=BB259_44 Depth=1
	s_mov_b32 s22, 0x7fc02000
	s_xor_b64 s[0:1], exec, -1
; %bb.171:                              ;   in Loop: Header=BB259_44 Depth=1
	s_or_b64 exec, exec, s[20:21]
	s_and_b64 s[0:1], s[0:1], exec
	s_or_saveexec_b64 s[18:19], s[18:19]
	v_mov_b32_e32 v33, s22
	s_xor_b64 exec, exec, s[18:19]
	s_cbranch_execz .LBB259_105
.LBB259_172:                            ;   in Loop: Header=BB259_44 Depth=1
	v_cmp_ne_u16_sdwa s[20:21], v8, v9 src0_sel:BYTE_0 src1_sel:DWORD
	s_andn2_b64 s[0:1], s[0:1], exec
	s_and_b64 s[20:21], s[20:21], exec
	v_mov_b32_e32 v33, 0
	s_or_b64 s[0:1], s[0:1], s[20:21]
	s_or_b64 exec, exec, s[18:19]
	s_and_saveexec_b64 s[18:19], s[0:1]
	s_cbranch_execnz .LBB259_106
	s_branch .LBB259_107
.LBB259_173:                            ;   in Loop: Header=BB259_44 Depth=1
	v_cmp_eq_u16_e64 s[0:1], s31, v8
	s_mov_b64 s[18:19], -1
                                        ; implicit-def: $sgpr39
	s_and_saveexec_b64 s[22:23], s[0:1]
; %bb.174:                              ;   in Loop: Header=BB259_44 Depth=1
	s_mov_b32 s39, 0x7fc02000
	s_xor_b64 s[18:19], exec, -1
; %bb.175:                              ;   in Loop: Header=BB259_44 Depth=1
	s_or_b64 exec, exec, s[22:23]
	s_and_b64 s[18:19], s[18:19], exec
	s_or_saveexec_b64 s[20:21], s[20:21]
	v_mov_b32_e32 v34, s39
	s_xor_b64 exec, exec, s[20:21]
	s_cbranch_execz .LBB259_109
.LBB259_176:                            ;   in Loop: Header=BB259_44 Depth=1
	v_cmp_ne_u16_e64 s[0:1], 0, v8
	s_andn2_b64 s[18:19], s[18:19], exec
	s_and_b64 s[0:1], s[0:1], exec
	v_mov_b32_e32 v34, 0
	s_or_b64 s[18:19], s[18:19], s[0:1]
	s_or_b64 exec, exec, s[20:21]
	s_and_saveexec_b64 s[20:21], s[18:19]
	s_cbranch_execnz .LBB259_110
	s_branch .LBB259_111
.LBB259_177:
	s_or_b64 exec, exec, s[6:7]
.LBB259_178:
	s_or_b64 exec, exec, s[12:13]
	v_and_b32_e32 v4, 0x3c0, v0
	v_cmp_eq_u32_e32 vcc, 64, v4
	s_barrier
	s_and_saveexec_b64 s[0:1], vcc
	s_cbranch_execz .LBB259_181
; %bb.179:
	v_mov_b32_e32 v4, 0x100
	v_lshl_add_u32 v1, v1, 2, v4
	ds_write_b32 v1, v3
	s_and_b64 exec, exec, s[10:11]
	s_cbranch_execz .LBB259_181
; %bb.180:
	v_lshl_add_u32 v1, v0, 2, v4
	ds_write_b32 v1, v26
.LBB259_181:
	s_or_b64 exec, exec, s[0:1]
	v_cmp_gt_u32_e32 vcc, 64, v0
	v_or_b32_e32 v1, 64, v0
	s_waitcnt lgkmcnt(0)
	s_barrier
	s_and_saveexec_b64 s[2:3], vcc
	s_cbranch_execz .LBB259_185
; %bb.182:
	v_mov_b32_e32 v4, 0x100
	v_lshl_add_u32 v4, v0, 2, v4
	ds_read_b32 v0, v4
	s_movk_i32 s0, 0x78
	v_cmp_gt_u32_e64 s[0:1], s0, v1
	s_and_saveexec_b64 s[6:7], s[0:1]
	s_cbranch_execz .LBB259_184
; %bb.183:
	ds_read_b32 v4, v4 offset:256
	s_waitcnt lgkmcnt(0)
	v_add_f32_e32 v26, v26, v4
.LBB259_184:
	s_or_b64 exec, exec, s[6:7]
	s_waitcnt lgkmcnt(0)
	v_add_f32_e32 v3, v3, v0
.LBB259_185:
	s_or_b64 exec, exec, s[2:3]
	s_barrier
	s_and_saveexec_b64 s[0:1], vcc
	s_cbranch_execz .LBB259_188
; %bb.186:
	s_mul_i32 s0, s8, 0x78
	s_ashr_i32 s1, s0, 31
	s_lshl_b64 s[0:1], s[0:1], 1
	s_add_u32 s3, s26, s0
	s_mul_i32 s0, s25, s24
	s_addc_u32 s5, s27, s1
	s_ashr_i32 s1, s0, 31
	s_lshl_b64 s[0:1], s[0:1], 1
	s_add_u32 s3, s3, s0
	s_mul_i32 s0, s4, 0x78
	s_addc_u32 s5, s5, s1
	s_ashr_i32 s1, s0, 31
	s_lshl_b64 s[0:1], s[0:1], 1
	s_movk_i32 s2, 0x78
	s_add_u32 s0, s3, s0
	s_addc_u32 s1, s5, s1
	v_cmp_gt_u32_e32 vcc, s2, v1
	;;#ASMSTART
	v_cvt_f16_f32 v0, v3;

	;;#ASMEND
	global_store_short v2, v0, s[0:1]
	s_and_b64 exec, exec, vcc
	s_cbranch_execz .LBB259_188
; %bb.187:
	v_mov_b32_e32 v3, 0
	v_lshl_add_u64 v[0:1], s[0:1], 0, v[2:3]
	;;#ASMSTART
	v_cvt_f16_f32 v2, v26;

	;;#ASMEND
	global_store_short v[0:1], v2, off offset:128
.LBB259_188:
	s_endpgm
	.section	.rodata,"a",@progbits
	.p2align	6, 0x0
	.amdhsa_kernel _ZN4vllm25paged_attention_v2_kernelIthLi120ELi8ELi128ELNS_18Fp8KVCacheDataTypeE1ELb0ELi512EEEvPfS2_PT_PKS3_PKT0_S9_ifPKiSB_iPKfiiiSD_SD_iiiii
		.amdhsa_group_segment_fixed_size 256
		.amdhsa_private_segment_fixed_size 0
		.amdhsa_kernarg_size 400
		.amdhsa_user_sgpr_count 2
		.amdhsa_user_sgpr_dispatch_ptr 0
		.amdhsa_user_sgpr_queue_ptr 0
		.amdhsa_user_sgpr_kernarg_segment_ptr 1
		.amdhsa_user_sgpr_dispatch_id 0
		.amdhsa_user_sgpr_kernarg_preload_length 0
		.amdhsa_user_sgpr_kernarg_preload_offset 0
		.amdhsa_user_sgpr_private_segment_size 0
		.amdhsa_uses_dynamic_stack 0
		.amdhsa_enable_private_segment 0
		.amdhsa_system_sgpr_workgroup_id_x 1
		.amdhsa_system_sgpr_workgroup_id_y 1
		.amdhsa_system_sgpr_workgroup_id_z 1
		.amdhsa_system_sgpr_workgroup_info 0
		.amdhsa_system_vgpr_workitem_id 0
		.amdhsa_next_free_vgpr 49
		.amdhsa_next_free_sgpr 48
		.amdhsa_accum_offset 52
		.amdhsa_reserve_vcc 1
		.amdhsa_float_round_mode_32 0
		.amdhsa_float_round_mode_16_64 0
		.amdhsa_float_denorm_mode_32 3
		.amdhsa_float_denorm_mode_16_64 3
		.amdhsa_dx10_clamp 1
		.amdhsa_ieee_mode 1
		.amdhsa_fp16_overflow 0
		.amdhsa_tg_split 0
		.amdhsa_exception_fp_ieee_invalid_op 0
		.amdhsa_exception_fp_denorm_src 0
		.amdhsa_exception_fp_ieee_div_zero 0
		.amdhsa_exception_fp_ieee_overflow 0
		.amdhsa_exception_fp_ieee_underflow 0
		.amdhsa_exception_fp_ieee_inexact 0
		.amdhsa_exception_int_div_zero 0
	.end_amdhsa_kernel
	.section	.text._ZN4vllm25paged_attention_v2_kernelIthLi120ELi8ELi128ELNS_18Fp8KVCacheDataTypeE1ELb0ELi512EEEvPfS2_PT_PKS3_PKT0_S9_ifPKiSB_iPKfiiiSD_SD_iiiii,"axG",@progbits,_ZN4vllm25paged_attention_v2_kernelIthLi120ELi8ELi128ELNS_18Fp8KVCacheDataTypeE1ELb0ELi512EEEvPfS2_PT_PKS3_PKT0_S9_ifPKiSB_iPKfiiiSD_SD_iiiii,comdat
.Lfunc_end259:
	.size	_ZN4vllm25paged_attention_v2_kernelIthLi120ELi8ELi128ELNS_18Fp8KVCacheDataTypeE1ELb0ELi512EEEvPfS2_PT_PKS3_PKT0_S9_ifPKiSB_iPKfiiiSD_SD_iiiii, .Lfunc_end259-_ZN4vllm25paged_attention_v2_kernelIthLi120ELi8ELi128ELNS_18Fp8KVCacheDataTypeE1ELb0ELi512EEEvPfS2_PT_PKS3_PKT0_S9_ifPKiSB_iPKfiiiSD_SD_iiiii
                                        ; -- End function
	.section	.AMDGPU.csdata,"",@progbits
; Kernel info:
; codeLenInByte = 9384
; NumSgprs: 54
; NumVgprs: 49
; NumAgprs: 0
; TotalNumVgprs: 49
; ScratchSize: 0
; MemoryBound: 0
; FloatMode: 240
; IeeeMode: 1
; LDSByteSize: 256 bytes/workgroup (compile time only)
; SGPRBlocks: 6
; VGPRBlocks: 6
; NumSGPRsForWavesPerEU: 54
; NumVGPRsForWavesPerEU: 49
; AccumOffset: 52
; Occupancy: 8
; WaveLimiterHint : 1
; COMPUTE_PGM_RSRC2:SCRATCH_EN: 0
; COMPUTE_PGM_RSRC2:USER_SGPR: 2
; COMPUTE_PGM_RSRC2:TRAP_HANDLER: 0
; COMPUTE_PGM_RSRC2:TGID_X_EN: 1
; COMPUTE_PGM_RSRC2:TGID_Y_EN: 1
; COMPUTE_PGM_RSRC2:TGID_Z_EN: 1
; COMPUTE_PGM_RSRC2:TIDIG_COMP_CNT: 0
; COMPUTE_PGM_RSRC3_GFX90A:ACCUM_OFFSET: 12
; COMPUTE_PGM_RSRC3_GFX90A:TG_SPLIT: 0
	.section	.text._ZN4vllm25paged_attention_v2_kernelIthLi128ELi8ELi128ELNS_18Fp8KVCacheDataTypeE1ELb0ELi512EEEvPfS2_PT_PKS3_PKT0_S9_ifPKiSB_iPKfiiiSD_SD_iiiii,"axG",@progbits,_ZN4vllm25paged_attention_v2_kernelIthLi128ELi8ELi128ELNS_18Fp8KVCacheDataTypeE1ELb0ELi512EEEvPfS2_PT_PKS3_PKT0_S9_ifPKiSB_iPKfiiiSD_SD_iiiii,comdat
	.protected	_ZN4vllm25paged_attention_v2_kernelIthLi128ELi8ELi128ELNS_18Fp8KVCacheDataTypeE1ELb0ELi512EEEvPfS2_PT_PKS3_PKT0_S9_ifPKiSB_iPKfiiiSD_SD_iiiii ; -- Begin function _ZN4vllm25paged_attention_v2_kernelIthLi128ELi8ELi128ELNS_18Fp8KVCacheDataTypeE1ELb0ELi512EEEvPfS2_PT_PKS3_PKT0_S9_ifPKiSB_iPKfiiiSD_SD_iiiii
	.globl	_ZN4vllm25paged_attention_v2_kernelIthLi128ELi8ELi128ELNS_18Fp8KVCacheDataTypeE1ELb0ELi512EEEvPfS2_PT_PKS3_PKT0_S9_ifPKiSB_iPKfiiiSD_SD_iiiii
	.p2align	8
	.type	_ZN4vllm25paged_attention_v2_kernelIthLi128ELi8ELi128ELNS_18Fp8KVCacheDataTypeE1ELb0ELi512EEEvPfS2_PT_PKS3_PKT0_S9_ifPKiSB_iPKfiiiSD_SD_iiiii,@function
_ZN4vllm25paged_attention_v2_kernelIthLi128ELi8ELi128ELNS_18Fp8KVCacheDataTypeE1ELb0ELi512EEEvPfS2_PT_PKS3_PKT0_S9_ifPKiSB_iPKfiiiSD_SD_iiiii: ; @_ZN4vllm25paged_attention_v2_kernelIthLi128ELi8ELi128ELNS_18Fp8KVCacheDataTypeE1ELb0ELi512EEEvPfS2_PT_PKS3_PKT0_S9_ifPKiSB_iPKfiiiSD_SD_iiiii
; %bb.0:
	s_load_dwordx2 s[6:7], s[0:1], 0x40
	s_mov_b32 s28, s3
	s_ashr_i32 s29, s3, 31
	s_lshl_b64 s[8:9], s[28:29], 2
	s_waitcnt lgkmcnt(0)
	s_add_u32 s6, s6, s8
	s_addc_u32 s7, s7, s9
	s_load_dword s29, s[6:7], 0x0
	s_lshl_b32 s42, s4, 9
	s_waitcnt lgkmcnt(0)
	s_cmp_ge_i32 s42, s29
	s_cbranch_scc1 .LBB260_182
; %bb.1:
	s_load_dword s5, s[0:1], 0x90
	s_load_dwordx2 s[10:11], s[0:1], 0x30
	s_waitcnt lgkmcnt(0)
	s_abs_i32 s7, s5
	s_abs_i32 s3, s10
	v_cvt_f32_u32_e32 v1, s3
	s_sub_i32 s8, 0, s3
	s_xor_b32 s6, s5, s10
	s_ashr_i32 s6, s6, 31
	v_rcp_iflag_f32_e32 v1, v1
	s_nop 0
	v_mul_f32_e32 v1, 0x4f7ffffe, v1
	v_cvt_u32_f32_e32 v1, v1
	s_nop 0
	v_readfirstlane_b32 s9, v1
	s_mul_i32 s8, s8, s9
	s_mul_hi_u32 s8, s9, s8
	s_add_i32 s9, s9, s8
	s_mul_hi_u32 s8, s7, s9
	s_mul_i32 s9, s8, s3
	s_sub_i32 s7, s7, s9
	s_add_i32 s10, s8, 1
	s_sub_i32 s9, s7, s3
	s_cmp_ge_u32 s7, s3
	s_cselect_b32 s8, s10, s8
	s_cselect_b32 s7, s9, s7
	s_add_i32 s9, s8, 1
	s_cmp_ge_u32 s7, s3
	s_cselect_b32 s3, s9, s8
	s_xor_b32 s3, s3, s6
	s_sub_i32 s14, s3, s6
	s_abs_i32 s8, s14
	v_cvt_f32_u32_e32 v1, s8
	s_load_dwordx2 s[6:7], s[0:1], 0x50
	s_sub_i32 s3, 0, s8
	s_abs_i32 s9, s2
	v_rcp_iflag_f32_e32 v1, v1
	s_mov_b32 s10, 0
	v_mul_f32_e32 v1, 0x4f7ffffe, v1
	v_cvt_u32_f32_e32 v1, v1
	s_nop 0
	v_readfirstlane_b32 s12, v1
	s_mul_i32 s3, s3, s12
	s_mul_hi_u32 s3, s12, s3
	s_add_i32 s12, s12, s3
	s_waitcnt lgkmcnt(0)
	s_cmp_eq_u64 s[6:7], 0
	s_mul_hi_u32 s12, s9, s12
	s_cbranch_scc1 .LBB260_3
; %bb.2:
	s_ashr_i32 s3, s2, 31
	s_lshl_b64 s[16:17], s[2:3], 2
	s_add_u32 s6, s6, s16
	s_addc_u32 s7, s7, s17
	s_load_dword s10, s[6:7], 0x0
.LBB260_3:
	s_load_dwordx4 s[16:19], s[0:1], 0x58
	s_movk_i32 s3, 0x80
	s_ashr_i32 s13, s2, 31
	s_ashr_i32 s14, s14, 31
	v_and_b32_e32 v4, 7, v0
	s_lshl_b32 s24, s2, 7
	v_cmp_gt_u32_e32 vcc, s3, v0
	v_lshlrev_b32_e32 v1, 1, v0
	s_and_saveexec_b64 s[6:7], vcc
	s_cbranch_execz .LBB260_5
; %bb.4:
	s_load_dwordx2 s[20:21], s[0:1], 0x18
	s_waitcnt lgkmcnt(0)
	s_mul_i32 s22, s28, s16
	s_ashr_i32 s23, s22, 31
	s_lshl_b64 s[22:23], s[22:23], 1
	v_lshrrev_b32_e32 v3, 2, v0
	s_add_u32 s3, s20, s22
	s_addc_u32 s15, s21, s23
	s_ashr_i32 s25, s24, 31
	s_lshl_b64 s[20:21], s[24:25], 1
	s_add_u32 s20, s3, s20
	s_addc_u32 s21, s15, s21
	global_load_ushort v2, v1, s[20:21]
	v_and_b32_e32 v3, 0xfe, v3
	v_lshl_add_u32 v3, v4, 5, v3
	s_waitcnt vmcnt(0)
	ds_write_b16 v3, v2
.LBB260_5:
	s_or_b64 exec, exec, s[6:7]
	s_add_i32 s3, s29, 7
	s_ashr_i32 s6, s3, 31
	s_lshr_b32 s6, s6, 29
	s_add_i32 s3, s3, s6
	s_waitcnt lgkmcnt(0)
	s_ashr_i32 s16, s3, 3
	s_lshl_b32 s3, s4, 6
	s_mul_i32 s7, s12, s8
	s_add_i32 s6, s3, 64
	s_sub_i32 s7, s9, s7
	s_min_i32 s33, s6, s16
	s_xor_b32 s6, s13, s14
	s_add_i32 s9, s12, 1
	s_sub_i32 s13, s7, s8
	s_cmp_ge_u32 s7, s8
	s_cselect_b32 s9, s9, s12
	s_cselect_b32 s7, s13, s7
	s_add_i32 s12, s9, 1
	s_cmp_ge_u32 s7, s8
	s_load_dwordx2 s[30:31], s[0:1], 0x38
	s_load_dword s8, s[0:1], 0x48
	v_lshrrev_b32_e32 v10, 6, v0
	s_cselect_b32 s7, s12, s9
	s_xor_b32 s7, s7, s6
	v_or_b32_e32 v2, s3, v10
	s_waitcnt lgkmcnt(0)
	s_mul_i32 s34, s28, s8
	s_sub_i32 s43, s7, s6
	s_ashr_i32 s35, s34, 31
	v_cmp_gt_i32_e64 s[8:9], s33, v2
	v_cmp_le_i32_e32 vcc, s33, v2
	v_mbcnt_lo_u32_b32 v17, -1, 0
	s_barrier
	s_waitcnt lgkmcnt(0)
                                        ; implicit-def: $sgpr19
                                        ; implicit-def: $vgpr11
                                        ; implicit-def: $vgpr12
	s_and_saveexec_b64 s[6:7], vcc
	s_xor_b64 s[6:7], exec, s[6:7]
; %bb.6:
	v_mbcnt_hi_u32_b32 v11, -1, v17
	v_and_b32_e32 v3, 64, v11
	v_add_u32_e32 v12, 64, v3
	s_mov_b32 s19, 0xff7fffff
                                        ; implicit-def: $vgpr4
                                        ; implicit-def: $vgpr17
; %bb.7:
	s_or_saveexec_b64 s[38:39], s[6:7]
	s_load_dwordx4 s[20:23], s[0:1], 0x0
	s_load_dwordx2 s[26:27], s[0:1], 0x10
	s_load_dword s25, s[0:1], 0x98
	s_load_dwordx2 s[36:37], s[0:1], 0x28
	s_load_dwordx4 s[12:15], s[0:1], 0x68
	v_mov_b32_e32 v13, s19
	s_mul_i32 s43, s43, s18
	v_ashrrev_i32_e32 v3, 31, v2
	s_xor_b64 exec, exec, s[38:39]
	s_cbranch_execz .LBB260_13
; %bb.8:
	s_load_dwordx2 s[0:1], s[0:1], 0x20
	s_ashr_i32 s6, s43, 31
	v_bfe_u32 v8, v0, 3, 3
	v_mov_b32_e32 v5, 0
	v_lshlrev_b32_e32 v6, 4, v8
	s_waitcnt lgkmcnt(0)
	s_add_u32 s0, s0, s43
	s_addc_u32 s1, s1, s6
	v_mov_b32_e32 v7, v5
	v_lshl_add_u64 v[6:7], s[0:1], 0, v[6:7]
	s_sub_i32 s45, 1, s29
	v_lshlrev_b32_e32 v9, 3, v10
	s_lshl_b64 s[0:1], s[34:35], 2
	v_add3_u32 v15, s42, v9, v8
	v_lshlrev_b32_e32 v8, 2, v8
	s_add_u32 s0, s30, s0
	v_mbcnt_hi_u32_b32 v11, -1, v17
	v_lshl_or_b32 v8, v10, 5, v8
	s_addc_u32 s1, s31, s1
	v_and_b32_e32 v12, 64, v11
	s_mov_b32 s44, s17
	v_lshlrev_b32_e32 v14, 5, v4
	v_cmp_eq_u32_e32 vcc, 0, v4
	v_cmp_neq_f32_e64 s[6:7], s10, 0
	v_add_u32_e32 v16, 0x110, v8
	v_lshl_add_u64 v[8:9], v[2:3], 2, s[0:1]
	s_mov_b64 s[18:19], 0
	v_mov_b32_e32 v13, 0xff7fffff
	v_add_u32_e32 v12, 64, v12
	v_xor_b32_e32 v17, 4, v11
	v_xor_b32_e32 v18, 2, v11
	;; [unrolled: 1-line block ×3, first 2 shown]
	v_mov_b32_e32 v20, v2
	s_branch .LBB260_10
.LBB260_9:                              ;   in Loop: Header=BB260_10 Depth=1
	s_or_b64 exec, exec, s[40:41]
	v_add_u32_e32 v20, 2, v20
	v_cmp_le_i32_e64 s[0:1], s33, v20
	v_add_u32_e32 v15, 16, v15
	v_add_u32_e32 v16, 64, v16
	s_or_b64 s[18:19], s[0:1], s[18:19]
	v_lshl_add_u64 v[8:9], v[8:9], 0, 8
	s_andn2_b64 exec, exec, s[18:19]
	s_cbranch_execz .LBB260_12
.LBB260_10:                             ; =>This Inner Loop Header: Depth=1
	global_load_dword v21, v[8:9], off
	s_waitcnt vmcnt(0) lgkmcnt(0)
	v_mad_i64_i32 v[22:23], s[0:1], v21, s44, v[6:7]
	v_lshl_add_u64 v[22:23], v[22:23], 0, v[4:5]
	global_load_ubyte v21, v[22:23], off
	global_load_ubyte v24, v[22:23], off offset:8
	global_load_dword v25, v5, s[12:13]
	global_load_ubyte v26, v[22:23], off offset:128
	global_load_ubyte v27, v[22:23], off offset:136
	;; [unrolled: 1-line block ×14, first 2 shown]
	ds_read_u16 v22, v14
	s_waitcnt lgkmcnt(0)
	;;#ASMSTART
	v_cvt_f32_f16 v22, v22;
	;;#ASMEND
	v_cmp_lt_i32_e64 s[0:1], v17, v12
	s_waitcnt vmcnt(16)
	v_cvt_f32_fp8_sdwa v21, v21 src0_sel:BYTE_0
	s_waitcnt vmcnt(15)
	v_cvt_f32_fp8_sdwa v24, v24 src0_sel:BYTE_0
	v_cndmask_b32_e64 v23, v11, v17, s[0:1]
	s_waitcnt vmcnt(13)
	v_cvt_f32_fp8_sdwa v26, v26 src0_sel:BYTE_0
	v_fma_mixlo_f16 v21, v25, v21, 0
	v_and_b32_e32 v21, 0xffff, v21
	v_fma_mixlo_f16 v24, v25, v24, 0
	s_waitcnt vmcnt(12)
	v_cvt_f32_fp8_sdwa v27, v27 src0_sel:BYTE_0
	;;#ASMSTART
	v_cvt_f32_f16 v21, v21;
	;;#ASMEND
	ds_read_u16 v40, v14 offset:2
	v_and_b32_e32 v24, 0xffff, v24
	s_waitcnt vmcnt(11)
	v_cvt_f32_fp8_sdwa v28, v28 src0_sel:BYTE_0
	s_waitcnt lgkmcnt(0)
	;;#ASMSTART
	v_cvt_f32_f16 v40, v40;
	;;#ASMEND
	;;#ASMSTART
	v_cvt_f32_f16 v24, v24;
	;;#ASMEND
	s_waitcnt vmcnt(10)
	v_cvt_f32_fp8_sdwa v29, v29 src0_sel:BYTE_0
	v_fma_mixlo_f16 v26, v25, v26, 0
	s_waitcnt vmcnt(9)
	v_cvt_f32_fp8_sdwa v30, v30 src0_sel:BYTE_0
	v_mul_f32_e32 v24, v40, v24
	ds_read_u16 v41, v14 offset:4
	v_and_b32_e32 v26, 0xffff, v26
	v_fma_mixlo_f16 v27, v25, v27, 0
	s_waitcnt vmcnt(8)
	v_cvt_f32_fp8_sdwa v31, v31 src0_sel:BYTE_0
	v_fmac_f32_e32 v24, v22, v21
	s_waitcnt lgkmcnt(0)
	;;#ASMSTART
	v_cvt_f32_f16 v41, v41;
	;;#ASMEND
	;;#ASMSTART
	v_cvt_f32_f16 v26, v26;
	;;#ASMEND
	ds_read_u16 v42, v14 offset:6
	v_and_b32_e32 v27, 0xffff, v27
	s_waitcnt vmcnt(7)
	v_cvt_f32_fp8_sdwa v32, v32 src0_sel:BYTE_0
	v_fma_mixlo_f16 v28, v25, v28, 0
	v_fmac_f32_e32 v24, v41, v26
	s_waitcnt lgkmcnt(0)
	;;#ASMSTART
	v_cvt_f32_f16 v42, v42;
	;;#ASMEND
	;;#ASMSTART
	v_cvt_f32_f16 v27, v27;
	;;#ASMEND
	ds_read_u16 v43, v14 offset:8
	v_and_b32_e32 v28, 0xffff, v28
	s_waitcnt vmcnt(6)
	v_cvt_f32_fp8_sdwa v33, v33 src0_sel:BYTE_0
	v_fma_mixlo_f16 v29, v25, v29, 0
	v_fmac_f32_e32 v24, v42, v27
	s_waitcnt lgkmcnt(0)
	;;#ASMSTART
	v_cvt_f32_f16 v43, v43;
	;;#ASMEND
	;;#ASMSTART
	v_cvt_f32_f16 v28, v28;
	;;#ASMEND
	ds_read_u16 v44, v14 offset:10
	s_waitcnt vmcnt(5)
	v_cvt_f32_fp8_sdwa v34, v34 src0_sel:BYTE_0
	v_and_b32_e32 v29, 0xffff, v29
	v_fma_mixlo_f16 v30, v25, v30, 0
	v_fmac_f32_e32 v24, v43, v28
	s_waitcnt lgkmcnt(0)
	;;#ASMSTART
	v_cvt_f32_f16 v44, v44;
	;;#ASMEND
	;;#ASMSTART
	v_cvt_f32_f16 v29, v29;
	;;#ASMEND
	ds_read_u16 v45, v14 offset:12
	s_waitcnt vmcnt(4)
	v_cvt_f32_fp8_sdwa v35, v35 src0_sel:BYTE_0
	v_and_b32_e32 v30, 0xffff, v30
	v_fma_mixlo_f16 v31, v25, v31, 0
	v_fmac_f32_e32 v24, v44, v29
	s_waitcnt vmcnt(3)
	v_cvt_f32_fp8_sdwa v36, v36 src0_sel:BYTE_0
	s_waitcnt lgkmcnt(0)
	;;#ASMSTART
	v_cvt_f32_f16 v45, v45;
	;;#ASMEND
	;;#ASMSTART
	v_cvt_f32_f16 v30, v30;
	;;#ASMEND
	ds_read_u16 v46, v14 offset:14
	s_waitcnt vmcnt(2)
	v_cvt_f32_fp8_sdwa v37, v37 src0_sel:BYTE_0
	s_waitcnt vmcnt(1)
	v_cvt_f32_fp8_sdwa v38, v38 src0_sel:BYTE_0
	v_and_b32_e32 v31, 0xffff, v31
	s_waitcnt vmcnt(0)
	v_cvt_f32_fp8_sdwa v39, v39 src0_sel:BYTE_0
	v_fma_mixlo_f16 v32, v25, v32, 0
	v_fmac_f32_e32 v24, v45, v30
	s_waitcnt lgkmcnt(0)
	;;#ASMSTART
	v_cvt_f32_f16 v46, v46;
	;;#ASMEND
	;;#ASMSTART
	v_cvt_f32_f16 v31, v31;
	;;#ASMEND
	ds_read_u16 v47, v14 offset:16
	v_fma_mixlo_f16 v33, v25, v33, 0
	v_and_b32_e32 v32, 0xffff, v32
	v_fmac_f32_e32 v24, v46, v31
	s_waitcnt lgkmcnt(0)
	;;#ASMSTART
	v_cvt_f32_f16 v47, v47;
	;;#ASMEND
	;;#ASMSTART
	v_cvt_f32_f16 v32, v32;
	;;#ASMEND
	ds_read_u16 v48, v14 offset:18
	v_fma_mixlo_f16 v34, v25, v34, 0
	v_and_b32_e32 v33, 0xffff, v33
	v_fmac_f32_e32 v24, v47, v32
	v_fma_mixlo_f16 v35, v25, v35, 0
	s_waitcnt lgkmcnt(0)
	;;#ASMSTART
	v_cvt_f32_f16 v48, v48;
	;;#ASMEND
	;;#ASMSTART
	v_cvt_f32_f16 v33, v33;
	;;#ASMEND
	ds_read_u16 v49, v14 offset:20
	v_and_b32_e32 v34, 0xffff, v34
	v_fmac_f32_e32 v24, v48, v33
	v_fma_mixlo_f16 v36, v25, v36, 0
	v_fma_mixlo_f16 v37, v25, v37, 0
	;; [unrolled: 1-line block ×4, first 2 shown]
	s_waitcnt lgkmcnt(0)
	;;#ASMSTART
	v_cvt_f32_f16 v39, v49;
	;;#ASMEND
	;;#ASMSTART
	v_cvt_f32_f16 v34, v34;
	;;#ASMEND
	ds_read_u16 v49, v14 offset:22
	v_and_b32_e32 v35, 0xffff, v35
	v_fmac_f32_e32 v24, v39, v34
	s_waitcnt lgkmcnt(0)
	;;#ASMSTART
	v_cvt_f32_f16 v49, v49;
	;;#ASMEND
	;;#ASMSTART
	v_cvt_f32_f16 v35, v35;
	;;#ASMEND
	v_and_b32_e32 v36, 0xffff, v36
	v_fmac_f32_e32 v24, v49, v35
	ds_read_u16 v50, v14 offset:24
	s_waitcnt lgkmcnt(0)
	;;#ASMSTART
	v_cvt_f32_f16 v21, v50;
	;;#ASMEND
	;;#ASMSTART
	v_cvt_f32_f16 v22, v36;
	;;#ASMEND
	ds_read_u16 v26, v14 offset:26
	v_fmac_f32_e32 v24, v21, v22
	v_and_b32_e32 v37, 0xffff, v37
	s_waitcnt lgkmcnt(0)
	;;#ASMSTART
	v_cvt_f32_f16 v26, v26;
	;;#ASMEND
	;;#ASMSTART
	v_cvt_f32_f16 v27, v37;
	;;#ASMEND
	ds_read_u16 v28, v14 offset:28
	v_fmac_f32_e32 v24, v26, v27
	v_and_b32_e32 v38, 0xffff, v38
	s_waitcnt lgkmcnt(0)
	;;#ASMSTART
	v_cvt_f32_f16 v28, v28;
	;;#ASMEND
	;;#ASMSTART
	v_cvt_f32_f16 v29, v38;
	;;#ASMEND
	v_lshlrev_b32_e32 v23, 2, v23
	v_fmac_f32_e32 v24, v28, v29
	v_and_b32_e32 v25, 0xffff, v25
	ds_read_u16 v30, v14 offset:30
	s_waitcnt lgkmcnt(0)
	;;#ASMSTART
	v_cvt_f32_f16 v21, v30;
	;;#ASMEND
	;;#ASMSTART
	v_cvt_f32_f16 v22, v25;
	;;#ASMEND
	v_cmp_lt_i32_e64 s[0:1], v18, v12
	v_fmac_f32_e32 v24, v21, v22
	ds_bpermute_b32 v21, v23, v24
	v_cndmask_b32_e64 v22, v11, v18, s[0:1]
	v_lshlrev_b32_e32 v22, 2, v22
	v_cmp_lt_i32_e64 s[0:1], v19, v12
	s_waitcnt lgkmcnt(0)
	v_add_f32_e32 v21, v24, v21
	ds_bpermute_b32 v22, v22, v21
	v_cndmask_b32_e64 v23, v11, v19, s[0:1]
	s_waitcnt lgkmcnt(0)
	v_add_f32_e32 v21, v21, v22
	v_lshlrev_b32_e32 v22, 2, v23
	ds_bpermute_b32 v22, v22, v21
	s_and_saveexec_b64 s[40:41], vcc
	s_cbranch_execz .LBB260_9
; %bb.11:                               ;   in Loop: Header=BB260_10 Depth=1
	v_add_u32_e32 v23, s45, v15
	v_cvt_f32_i32_e32 v23, v23
	s_waitcnt lgkmcnt(0)
	v_add_f32_e32 v21, v21, v22
	v_cmp_gt_i32_e64 s[0:1], s29, v15
	v_max_f32_e32 v22, v13, v13
	v_mul_f32_e32 v23, s10, v23
	v_cndmask_b32_e64 v23, 0, v23, s[6:7]
	v_fmac_f32_e32 v23, s11, v21
	v_cndmask_b32_e64 v21, 0, v23, s[0:1]
	ds_write_b32 v16, v21
	v_max_f32_e32 v21, v22, v23
	v_cndmask_b32_e64 v13, v13, v21, s[0:1]
	s_branch .LBB260_9
.LBB260_12:
	s_or_b64 exec, exec, s[18:19]
.LBB260_13:
	s_or_b64 exec, exec, s[38:39]
	v_xor_b32_e32 v4, 32, v11
	v_cmp_lt_i32_e32 vcc, v4, v12
	v_xor_b32_e32 v7, 16, v11
	v_max_f32_e32 v6, v13, v13
	v_cndmask_b32_e32 v4, v11, v4, vcc
	v_lshlrev_b32_e32 v5, 2, v4
	ds_bpermute_b32 v4, v5, v13
	v_cmp_lt_i32_e32 vcc, v7, v12
	v_and_b32_e32 v15, 63, v0
	s_waitcnt lgkmcnt(0)
	v_max_f32_e32 v4, v4, v4
	v_max_f32_e32 v4, v6, v4
	v_cndmask_b32_e32 v6, v11, v7, vcc
	v_lshlrev_b32_e32 v8, 2, v6
	ds_bpermute_b32 v6, v8, v4
	v_xor_b32_e32 v7, 8, v11
	v_cmp_lt_i32_e32 vcc, v7, v12
	s_waitcnt lgkmcnt(0)
	v_max_f32_e32 v6, v6, v6
	v_max_f32_e32 v6, v4, v6
	v_cndmask_b32_e32 v4, v11, v7, vcc
	v_lshlrev_b32_e32 v9, 2, v4
	ds_bpermute_b32 v7, v9, v6
	v_cmp_eq_u32_e32 vcc, 0, v15
	v_lshlrev_b32_e32 v4, 2, v10
	s_and_saveexec_b64 s[0:1], vcc
	s_cbranch_execz .LBB260_15
; %bb.14:
	s_waitcnt lgkmcnt(0)
	v_max_f32_e32 v7, v7, v7
	v_max_f32_e32 v6, v6, v6
	;; [unrolled: 1-line block ×3, first 2 shown]
	ds_write_b32 v4, v6 offset:256
.LBB260_15:
	s_or_b64 exec, exec, s[0:1]
	v_cmp_gt_u32_e64 s[0:1], 2, v15
	v_mov_b32_e32 v6, 0xff7fffff
	s_waitcnt lgkmcnt(0)
	v_lshlrev_b32_e32 v7, 2, v15
	s_barrier
	s_and_saveexec_b64 s[6:7], s[0:1]
	s_cbranch_execz .LBB260_17
; %bb.16:
	ds_read_b32 v6, v7 offset:256
.LBB260_17:
	s_or_b64 exec, exec, s[6:7]
	v_xor_b32_e32 v13, 1, v11
	v_cmp_lt_i32_e64 s[6:7], v13, v12
	s_sub_i32 s3, s33, s3
	s_lshl_b32 s3, s3, 3
	v_cndmask_b32_e64 v13, v11, v13, s[6:7]
	v_lshlrev_b32_e32 v13, 2, v13
	s_waitcnt lgkmcnt(0)
	ds_bpermute_b32 v14, v13, v6
	v_max_f32_e32 v6, v6, v6
	s_add_i32 s3, s3, s42
	s_min_i32 s38, s3, s29
	s_sub_i32 s3, s38, s42
	s_waitcnt lgkmcnt(0)
	v_max_f32_e32 v14, v14, v14
	v_max_f32_e32 v6, v6, v14
	v_lshlrev_b32_e32 v14, 2, v11
	v_and_b32_e32 v14, 0xffffff00, v14
	ds_bpermute_b32 v6, v14, v6
	v_cmp_gt_i32_e64 s[6:7], s3, v0
	v_mov_b32_e32 v16, 0
	s_and_saveexec_b64 s[12:13], s[6:7]
	s_cbranch_execz .LBB260_21
; %bb.18:
	v_mov_b32_e32 v16, 0x110
	v_lshl_add_u32 v17, v0, 2, v16
	s_mov_b64 s[18:19], 0
	v_mov_b32_e32 v16, 0
	v_mov_b32_e32 v18, v0
.LBB260_19:                             ; =>This Inner Loop Header: Depth=1
	ds_read_b32 v19, v17
	v_add_u32_e32 v18, 0x80, v18
	v_cmp_le_i32_e64 s[10:11], s3, v18
	s_or_b64 s[18:19], s[10:11], s[18:19]
	s_waitcnt lgkmcnt(0)
	v_sub_f32_e32 v19, v19, v6
	v_mul_f32_e32 v19, 0x3fb8aa3b, v19
	v_exp_f32_e32 v19, v19
	ds_write_b32 v17, v19
	v_add_f32_e32 v16, v16, v19
	v_add_u32_e32 v17, 0x200, v17
	s_andn2_b64 exec, exec, s[18:19]
	s_cbranch_execnz .LBB260_19
; %bb.20:
	s_or_b64 exec, exec, s[18:19]
.LBB260_21:
	s_or_b64 exec, exec, s[12:13]
	ds_bpermute_b32 v5, v5, v16
	s_waitcnt lgkmcnt(0)
	v_add_f32_e32 v5, v16, v5
	ds_bpermute_b32 v8, v8, v5
	s_waitcnt lgkmcnt(0)
	v_add_f32_e32 v5, v5, v8
	ds_bpermute_b32 v8, v9, v5
	v_xor_b32_e32 v9, 4, v11
	v_cmp_lt_i32_e64 s[10:11], v9, v12
	s_waitcnt lgkmcnt(0)
	v_add_f32_e32 v5, v5, v8
	v_cndmask_b32_e64 v9, v11, v9, s[10:11]
	v_lshlrev_b32_e32 v9, 2, v9
	ds_bpermute_b32 v8, v9, v5
	v_xor_b32_e32 v9, 2, v11
	v_cmp_lt_i32_e64 s[10:11], v9, v12
	s_waitcnt lgkmcnt(0)
	v_add_f32_e32 v5, v5, v8
	v_cndmask_b32_e64 v9, v11, v9, s[10:11]
	v_lshlrev_b32_e32 v8, 2, v9
	ds_bpermute_b32 v8, v8, v5
	s_waitcnt lgkmcnt(0)
	v_add_f32_e32 v5, v5, v8
	ds_bpermute_b32 v8, v13, v5
	s_waitcnt lgkmcnt(0)
	v_add_f32_e32 v5, v5, v8
	s_and_saveexec_b64 s[10:11], vcc
	s_cbranch_execz .LBB260_23
; %bb.22:
	ds_write_b32 v4, v5 offset:264
.LBB260_23:
	s_or_b64 exec, exec, s[10:11]
	s_waitcnt lgkmcnt(0)
	s_barrier
	s_and_saveexec_b64 s[10:11], s[0:1]
	s_cbranch_execz .LBB260_25
; %bb.24:
	ds_read_b32 v5, v7 offset:264
.LBB260_25:
	s_or_b64 exec, exec, s[10:11]
	s_waitcnt lgkmcnt(0)
	ds_bpermute_b32 v4, v13, v5
	s_waitcnt lgkmcnt(0)
	v_add_f32_e32 v4, v5, v4
	ds_bpermute_b32 v7, v14, v4
	s_and_saveexec_b64 s[0:1], s[6:7]
	s_cbranch_execz .LBB260_38
; %bb.26:
	s_waitcnt lgkmcnt(0)
	v_add_f32_e32 v4, 0x358637bd, v7
	v_div_scale_f32 v5, s[6:7], v4, v4, 1.0
	v_rcp_f32_e32 v8, v5
	v_div_scale_f32 v9, vcc, 1.0, v4, 1.0
	s_movk_i32 s6, 0x7f
	v_fma_f32 v11, -v5, v8, 1.0
	v_fmac_f32_e32 v8, v11, v8
	v_mul_f32_e32 v11, v9, v8
	v_fma_f32 v12, -v5, v11, v9
	v_fmac_f32_e32 v11, v12, v8
	v_fma_f32 v5, -v5, v11, v9
	v_div_fmas_f32 v5, v5, v8, v11
	v_div_fixup_f32 v4, v5, v4, 1.0
	v_xad_u32 v5, v0, -1, s38
	v_subrev_u32_e32 v8, s42, v5
	v_cmp_lt_u32_e32 vcc, s6, v8
	s_mov_b64 s[10:11], -1
	v_mov_b32_e32 v5, v0
	s_and_saveexec_b64 s[6:7], vcc
	s_cbranch_execz .LBB260_35
; %bb.27:
	v_lshrrev_b32_e32 v8, 7, v8
	v_add_u32_e32 v11, -1, v8
	v_lshrrev_b32_e32 v9, 1, v11
	v_mov_b32_e32 v5, v4
	v_add_u32_e32 v9, 1, v9
	v_cmp_lt_u32_e32 vcc, 13, v11
	v_mov_b32_e32 v13, 0
	s_and_saveexec_b64 s[10:11], vcc
	s_cbranch_execz .LBB260_31
; %bb.28:
	v_mov_b32_e32 v12, 0x110
	v_and_b32_e32 v11, -8, v9
	v_lshl_add_u32 v12, v0, 2, v12
	s_mov_b32 s18, 0
	s_mov_b64 s[12:13], 0
.LBB260_29:                             ; =>This Inner Loop Header: Depth=1
	ds_read2st64_b32 v[16:17], v12 offset1:2
	ds_read2st64_b32 v[18:19], v12 offset0:4 offset1:6
	ds_read2st64_b32 v[20:21], v12 offset0:8 offset1:10
	;; [unrolled: 1-line block ×3, first 2 shown]
	v_add_u32_e32 v11, -8, v11
	s_waitcnt lgkmcnt(3)
	v_pk_mul_f32 v[16:17], v[4:5], v[16:17]
	s_waitcnt lgkmcnt(2)
	v_pk_mul_f32 v[18:19], v[4:5], v[18:19]
	ds_write2st64_b32 v12, v16, v17 offset1:2
	ds_write2st64_b32 v12, v18, v19 offset0:4 offset1:6
	ds_read2st64_b32 v[18:19], v12 offset0:16 offset1:18
	s_waitcnt lgkmcnt(4)
	v_pk_mul_f32 v[16:17], v[4:5], v[20:21]
	ds_write2st64_b32 v12, v16, v17 offset0:8 offset1:10
	s_waitcnt lgkmcnt(4)
	v_pk_mul_f32 v[16:17], v[4:5], v[22:23]
	ds_write2st64_b32 v12, v16, v17 offset0:12 offset1:14
	ds_read2st64_b32 v[16:17], v12 offset0:20 offset1:22
	s_waitcnt lgkmcnt(3)
	v_pk_mul_f32 v[18:19], v[4:5], v[18:19]
	ds_read2st64_b32 v[20:21], v12 offset0:24 offset1:26
	ds_write2st64_b32 v12, v18, v19 offset0:16 offset1:18
	ds_read2st64_b32 v[18:19], v12 offset0:28 offset1:30
	s_waitcnt lgkmcnt(3)
	v_pk_mul_f32 v[16:17], v[4:5], v[16:17]
	ds_write2st64_b32 v12, v16, v17 offset0:20 offset1:22
	s_waitcnt lgkmcnt(3)
	v_pk_mul_f32 v[16:17], v[4:5], v[20:21]
	ds_write2st64_b32 v12, v16, v17 offset0:24 offset1:26
	s_waitcnt lgkmcnt(2)
	v_pk_mul_f32 v[16:17], v[4:5], v[18:19]
	s_add_i32 s18, s18, 16
	v_cmp_eq_u32_e32 vcc, 0, v11
	ds_write2st64_b32 v12, v16, v17 offset0:28 offset1:30
	v_add_u32_e32 v12, 0x2000, v12
	s_or_b64 s[12:13], vcc, s[12:13]
	v_mov_b32_e32 v13, s18
	s_andn2_b64 exec, exec, s[12:13]
	s_cbranch_execnz .LBB260_29
; %bb.30:
	s_or_b64 exec, exec, s[12:13]
.LBB260_31:
	s_or_b64 exec, exec, s[10:11]
	v_and_b32_e32 v9, 7, v9
	v_cmp_ne_u32_e32 vcc, 0, v9
	s_and_saveexec_b64 s[10:11], vcc
	s_cbranch_execz .LBB260_34
; %bb.32:
	v_lshlrev_b32_e32 v11, 9, v13
	v_lshlrev_b32_e32 v12, 2, v0
	s_movk_i32 s12, 0x110
	v_add3_u32 v11, v11, v12, s12
	s_mov_b64 s[12:13], 0
.LBB260_33:                             ; =>This Inner Loop Header: Depth=1
	ds_read2st64_b32 v[12:13], v11 offset1:2
	v_add_u32_e32 v9, -1, v9
	v_cmp_eq_u32_e32 vcc, 0, v9
	s_or_b64 s[12:13], vcc, s[12:13]
	s_waitcnt lgkmcnt(0)
	v_pk_mul_f32 v[12:13], v[4:5], v[12:13]
	ds_write2st64_b32 v11, v12, v13 offset1:2
	v_add_u32_e32 v11, 0x400, v11
	s_andn2_b64 exec, exec, s[12:13]
	s_cbranch_execnz .LBB260_33
.LBB260_34:
	s_or_b64 exec, exec, s[10:11]
	v_add_u32_e32 v8, 1, v8
	v_and_b32_e32 v9, 0x3fffffe, v8
	v_cmp_ne_u32_e32 vcc, v8, v9
	v_lshl_add_u32 v5, v9, 7, v0
	s_orn2_b64 s[10:11], vcc, exec
.LBB260_35:
	s_or_b64 exec, exec, s[6:7]
	s_and_b64 exec, exec, s[10:11]
	s_cbranch_execz .LBB260_38
; %bb.36:
	v_mov_b32_e32 v8, 0x110
	v_lshl_add_u32 v8, v5, 2, v8
	s_mov_b64 s[6:7], 0
.LBB260_37:                             ; =>This Inner Loop Header: Depth=1
	ds_read_b32 v9, v8
	v_add_u32_e32 v5, 0x80, v5
	v_cmp_le_i32_e32 vcc, s3, v5
	s_or_b64 s[6:7], vcc, s[6:7]
	s_waitcnt lgkmcnt(0)
	v_mul_f32_e32 v9, v4, v9
	ds_write_b32 v8, v9
	v_add_u32_e32 v8, 0x200, v8
	s_andn2_b64 exec, exec, s[6:7]
	s_cbranch_execnz .LBB260_37
.LBB260_38:
	s_or_b64 exec, exec, s[0:1]
	s_mul_i32 s1, s25, s28
	s_mov_b32 s0, 0
	v_cmp_eq_u32_e32 vcc, 0, v0
	s_mul_i32 s6, s1, s5
	s_waitcnt lgkmcnt(0)
	s_barrier
	s_and_saveexec_b64 s[10:11], vcc
	s_cbranch_execz .LBB260_40
; %bb.39:
	s_ashr_i32 s7, s6, 31
	s_lshl_b64 s[12:13], s[6:7], 2
	s_add_u32 s1, s22, s12
	s_mul_i32 s2, s25, s2
	s_addc_u32 s5, s23, s13
	s_ashr_i32 s3, s2, 31
	s_lshl_b64 s[2:3], s[2:3], 2
	s_add_u32 s1, s1, s2
	s_addc_u32 s7, s5, s3
	s_ashr_i32 s5, s4, 31
	s_lshl_b64 s[18:19], s[4:5], 2
	s_add_u32 s22, s1, s18
	s_addc_u32 s23, s7, s19
	s_add_u32 s1, s20, s12
	s_addc_u32 s5, s21, s13
	;; [unrolled: 2-line block ×3, first 2 shown]
	s_add_u32 s2, s1, s18
	v_mov_b32_e32 v4, 0
	s_addc_u32 s3, s3, s19
	global_store_dword v4, v6, s[22:23]
	global_store_dword v4, v7, s[2:3]
.LBB260_40:
	s_or_b64 exec, exec, s[10:11]
	s_mov_b32 s1, s0
	v_mov_b64_e32 v[4:5], s[0:1]
	s_and_saveexec_b64 s[2:3], s[8:9]
	s_cbranch_execz .LBB260_176
; %bb.41:
	s_ashr_i32 s1, s43, 31
	s_add_u32 s0, s36, s43
	s_addc_u32 s1, s37, s1
	v_lshlrev_b32_e32 v6, 3, v15
	v_mov_b32_e32 v7, 0
	s_add_i32 s7, s16, -1
	v_lshl_add_u64 v[8:9], s[0:1], 0, v[6:7]
	s_lshl_b64 s[0:1], s[34:35], 2
	s_add_u32 s0, s30, s0
	v_mov_b32_e32 v4, 0x110
	s_addc_u32 s1, s31, s1
	s_mov_b32 s5, s17
	s_mov_b32 s18, s29
	v_lshl_add_u32 v22, v10, 3, s42
	v_lshl_add_u32 v23, v10, 5, v4
	v_lshl_add_u64 v[10:11], v[2:3], 2, s[0:1]
	s_mov_b64 s[8:9], 0
	s_movk_i32 s19, 0x7f
	s_movk_i32 s20, 0x80
	s_mov_b32 s21, 0x8000
	s_movk_i32 s22, 0x380
	s_mov_b32 s23, 0x3020706
	s_mov_b32 s28, 0x1000504
	;; [unrolled: 1-line block ×3, first 2 shown]
	v_mov_b32_e32 v3, 0x1c00
	v_mov_b32_e32 v5, 0
	;; [unrolled: 1-line block ×3, first 2 shown]
	s_branch .LBB260_43
.LBB260_42:                             ;   in Loop: Header=BB260_43 Depth=1
	s_or_b64 exec, exec, s[0:1]
	;;#ASMSTART
	v_pk_mul_f16 v12, v29, v12;

	;;#ASMEND
	;;#ASMSTART
	v_pk_mul_f16 v6, v30, v6;

	;;#ASMEND
	;; [unrolled: 4-line block ×4, first 2 shown]
	v_add_u32_e32 v2, 2, v2
	;;#ASMSTART
	v_pk_add_f16 v6, v12, v6;

	;;#ASMEND
	v_add_f32_e32 v16, v33, v34
	;;#ASMSTART
	v_pk_add_f16 v6, v6, v13;

	;;#ASMEND
	v_cmp_le_i32_e32 vcc, s33, v2
	;;#ASMSTART
	v_pk_add_f16 v6, v6, v14;

	;;#ASMEND
	v_add_f32_e32 v4, v4, v16
	v_lshrrev_b32_e32 v12, 16, v6
	v_and_b32_e32 v6, 0xffff, v6
	;;#ASMSTART
	v_cvt_f32_f16 v6, v6;
	;;#ASMEND
	;;#ASMSTART
	v_cvt_f32_f16 v12, v12;
	;;#ASMEND
	v_add_u32_e32 v22, 16, v22
	v_add_f32_e32 v6, v6, v12
	v_add_f32_e32 v5, v5, v6
	v_add_u32_e32 v23, 64, v23
	s_or_b64 s[8:9], vcc, s[8:9]
	v_lshl_add_u64 v[10:11], v[10:11], 0, 8
	s_andn2_b64 exec, exec, s[8:9]
	s_cbranch_execz .LBB260_175
.LBB260_43:                             ; =>This Inner Loop Header: Depth=1
	ds_read2_b64 v[16:19], v23 offset1:1
	ds_read2_b64 v[24:27], v23 offset0:2 offset1:3
                                        ; implicit-def: $sgpr16
	s_waitcnt lgkmcnt(1)
	;;#ASMSTART
	v_cvt_f16_f32 v29, v16;

	;;#ASMEND
	;;#ASMSTART
	v_cvt_f16_f32 v30, v17;

	;;#ASMEND
	;; [unrolled: 4-line block ×4, first 2 shown]
	s_waitcnt lgkmcnt(0)
	;;#ASMSTART
	v_cvt_f16_f32 v33, v24;

	;;#ASMEND
	;;#ASMSTART
	v_cvt_f16_f32 v34, v25;

	;;#ASMEND
	;; [unrolled: 4-line block ×4, first 2 shown]
	global_load_dword v6, v[10:11], off
	s_waitcnt vmcnt(0)
	v_mad_i64_i32 v[12:13], s[0:1], v6, s5, v[8:9]
	global_load_dwordx2 v[16:17], v[12:13], off
	global_load_dword v14, v7, s[14:15]
	s_mov_b64 s[0:1], 0
	s_waitcnt vmcnt(1)
	v_cmp_gt_i16_sdwa s[10:11], v16, s19 src0_sel:BYTE_0 src1_sel:DWORD
	s_and_saveexec_b64 s[12:13], s[10:11]
	s_xor_b64 s[10:11], exec, s[12:13]
	s_cbranch_execnz .LBB260_111
; %bb.44:                               ;   in Loop: Header=BB260_43 Depth=1
	s_or_saveexec_b64 s[10:11], s[10:11]
	v_mov_b32_e32 v18, s16
	s_xor_b64 exec, exec, s[10:11]
	s_cbranch_execnz .LBB260_114
.LBB260_45:                             ;   in Loop: Header=BB260_43 Depth=1
	s_or_b64 exec, exec, s[10:11]
	s_and_saveexec_b64 s[10:11], s[0:1]
	s_cbranch_execz .LBB260_47
.LBB260_46:                             ;   in Loop: Header=BB260_43 Depth=1
	v_and_b32_e32 v6, 7, v16
	v_ffbh_u32_e32 v6, v6
	v_bfe_u32 v18, v16, 3, 4
	v_min_u32_e32 v6, 32, v6
	v_subrev_u32_e32 v19, 28, v6
	v_sub_u32_e32 v6, 29, v6
	v_cmp_eq_u32_e32 vcc, 0, v18
	s_nop 1
	v_cndmask_b32_e32 v6, v18, v6, vcc
	v_cndmask_b32_e32 v18, 0, v19, vcc
	v_lshlrev_b64 v[18:19], v18, v[16:17]
	v_lshlrev_b32_e32 v19, 8, v16
	v_lshl_add_u32 v6, v6, 10, v3
	v_lshlrev_b32_e32 v18, 7, v18
	v_and_or_b32 v6, v19, s21, v6
	v_and_or_b32 v6, v18, s22, v6
	v_cvt_f32_f16_e32 v18, v6
.LBB260_47:                             ;   in Loop: Header=BB260_43 Depth=1
	s_or_b64 exec, exec, s[10:11]
	v_lshrrev_b16_e32 v6, 8, v16
	v_cmp_lt_i16_e32 vcc, s19, v6
	s_mov_b64 s[0:1], 0
                                        ; implicit-def: $sgpr16
	s_and_saveexec_b64 s[10:11], vcc
	s_xor_b64 s[10:11], exec, s[10:11]
	s_cbranch_execnz .LBB260_115
; %bb.48:                               ;   in Loop: Header=BB260_43 Depth=1
	s_or_saveexec_b64 s[10:11], s[10:11]
	v_mov_b32_e32 v20, s16
	s_xor_b64 exec, exec, s[10:11]
	s_cbranch_execnz .LBB260_118
.LBB260_49:                             ;   in Loop: Header=BB260_43 Depth=1
	s_or_b64 exec, exec, s[10:11]
	s_and_saveexec_b64 s[10:11], s[0:1]
	s_cbranch_execz .LBB260_51
.LBB260_50:                             ;   in Loop: Header=BB260_43 Depth=1
	v_and_b32_e32 v19, 7, v6
	v_ffbh_u32_e32 v20, v19
	v_min_u32_e32 v25, 32, v20
	v_subrev_u32_e32 v20, 28, v25
	v_bfe_u32 v24, v6, 3, 4
	v_lshlrev_b64 v[20:21], v20, v[6:7]
	v_sub_u32_e32 v21, 29, v25
	v_cmp_eq_u32_e32 vcc, 0, v24
	v_and_b32_e32 v20, 7, v20
	v_lshlrev_b32_e32 v6, 8, v6
	v_cndmask_b32_e32 v21, v24, v21, vcc
	v_cndmask_b32_e32 v19, v19, v20, vcc
	v_lshl_add_u32 v20, v21, 10, v3
	v_and_or_b32 v6, v6, s21, v20
	v_lshl_or_b32 v6, v19, 7, v6
	v_cvt_f32_f16_e32 v20, v6
.LBB260_51:                             ;   in Loop: Header=BB260_43 Depth=1
	s_or_b64 exec, exec, s[10:11]
	v_lshrrev_b32_e32 v6, 16, v16
	v_cmp_gt_i16_sdwa s[10:11], v6, s19 src0_sel:BYTE_0 src1_sel:DWORD
	s_mov_b64 s[0:1], 0
                                        ; implicit-def: $sgpr16
	s_and_saveexec_b64 s[12:13], s[10:11]
	s_xor_b64 s[10:11], exec, s[12:13]
	s_cbranch_execnz .LBB260_119
; %bb.52:                               ;   in Loop: Header=BB260_43 Depth=1
	s_or_saveexec_b64 s[10:11], s[10:11]
	v_mov_b32_e32 v19, s16
	s_xor_b64 exec, exec, s[10:11]
	s_cbranch_execnz .LBB260_122
.LBB260_53:                             ;   in Loop: Header=BB260_43 Depth=1
	s_or_b64 exec, exec, s[10:11]
	s_and_saveexec_b64 s[10:11], s[0:1]
	s_cbranch_execz .LBB260_55
.LBB260_54:                             ;   in Loop: Header=BB260_43 Depth=1
	v_bfe_u32 v19, v16, 16, 3
	v_ffbh_u32_e32 v24, v19
	v_min_u32_e32 v26, 32, v24
	v_subrev_u32_e32 v24, 28, v26
	v_bfe_u32 v21, v16, 19, 4
	v_lshlrev_b64 v[24:25], v24, v[6:7]
	v_sub_u32_e32 v25, 29, v26
	v_cmp_eq_u32_e32 vcc, 0, v21
	v_and_b32_e32 v24, 7, v24
	v_lshlrev_b32_e32 v6, 8, v6
	v_cndmask_b32_e32 v21, v21, v25, vcc
	v_lshl_add_u32 v21, v21, 10, v3
	v_cndmask_b32_e32 v19, v19, v24, vcc
	v_and_or_b32 v6, v6, s21, v21
	v_lshl_or_b32 v6, v19, 7, v6
	v_cvt_f32_f16_e32 v19, v6
.LBB260_55:                             ;   in Loop: Header=BB260_43 Depth=1
	s_or_b64 exec, exec, s[10:11]
	v_lshrrev_b32_e32 v6, 24, v16
	v_cmp_lt_i16_e32 vcc, s19, v6
	s_mov_b64 s[0:1], 0
                                        ; implicit-def: $sgpr16
	s_and_saveexec_b64 s[10:11], vcc
	s_xor_b64 s[10:11], exec, s[10:11]
	s_cbranch_execnz .LBB260_123
; %bb.56:                               ;   in Loop: Header=BB260_43 Depth=1
	s_or_saveexec_b64 s[10:11], s[10:11]
	v_mov_b32_e32 v21, s16
	s_xor_b64 exec, exec, s[10:11]
	s_cbranch_execnz .LBB260_126
.LBB260_57:                             ;   in Loop: Header=BB260_43 Depth=1
	s_or_b64 exec, exec, s[10:11]
	s_and_saveexec_b64 s[10:11], s[0:1]
	s_cbranch_execz .LBB260_59
.LBB260_58:                             ;   in Loop: Header=BB260_43 Depth=1
	v_bfe_u32 v21, v16, 24, 3
	v_ffbh_u32_e32 v24, v21
	v_min_u32_e32 v26, 32, v24
	v_subrev_u32_e32 v24, 28, v26
	v_bfe_u32 v16, v16, 27, 4
	v_lshlrev_b64 v[24:25], v24, v[6:7]
	v_sub_u32_e32 v25, 29, v26
	v_cmp_eq_u32_e32 vcc, 0, v16
	v_and_b32_e32 v24, 7, v24
	v_lshlrev_b32_e32 v6, 8, v6
	v_cndmask_b32_e32 v16, v16, v25, vcc
	v_lshl_add_u32 v16, v16, 10, v3
	v_cndmask_b32_e32 v21, v21, v24, vcc
	v_and_or_b32 v6, v6, s21, v16
	v_lshl_or_b32 v6, v21, 7, v6
	v_cvt_f32_f16_e32 v21, v6
.LBB260_59:                             ;   in Loop: Header=BB260_43 Depth=1
	s_or_b64 exec, exec, s[10:11]
	v_cmp_gt_i16_sdwa s[10:11], v17, s19 src0_sel:BYTE_0 src1_sel:DWORD
	s_mov_b64 s[0:1], 0
                                        ; implicit-def: $sgpr16
	s_and_saveexec_b64 s[12:13], s[10:11]
	s_xor_b64 s[10:11], exec, s[12:13]
	s_cbranch_execnz .LBB260_127
; %bb.60:                               ;   in Loop: Header=BB260_43 Depth=1
	s_or_saveexec_b64 s[10:11], s[10:11]
	v_mov_b32_e32 v16, s16
	s_xor_b64 exec, exec, s[10:11]
	s_cbranch_execnz .LBB260_130
.LBB260_61:                             ;   in Loop: Header=BB260_43 Depth=1
	s_or_b64 exec, exec, s[10:11]
	v_mov_b32_e32 v6, v17
	s_and_saveexec_b64 s[10:11], s[0:1]
	s_cbranch_execz .LBB260_63
.LBB260_62:                             ;   in Loop: Header=BB260_43 Depth=1
	v_and_b32_e32 v16, 7, v17
	v_ffbh_u32_e32 v16, v16
	v_bfe_u32 v24, v17, 3, 4
	v_min_u32_e32 v16, 32, v16
	v_subrev_u32_e32 v25, 28, v16
	v_sub_u32_e32 v16, 29, v16
	v_cmp_eq_u32_e32 vcc, 0, v24
	s_nop 1
	v_cndmask_b32_e32 v16, v24, v16, vcc
	v_cndmask_b32_e32 v24, 0, v25, vcc
	v_lshlrev_b64 v[24:25], v24, v[6:7]
	v_lshlrev_b32_e32 v25, 8, v17
	v_lshl_add_u32 v16, v16, 10, v3
	v_lshlrev_b32_e32 v24, 7, v24
	v_and_or_b32 v16, v25, s21, v16
	v_and_or_b32 v16, v24, s22, v16
	v_cvt_f32_f16_e32 v16, v16
.LBB260_63:                             ;   in Loop: Header=BB260_43 Depth=1
	s_or_b64 exec, exec, s[10:11]
	v_lshrrev_b16_e32 v6, 8, v6
	v_cmp_lt_i16_e32 vcc, s19, v6
	s_mov_b64 s[0:1], 0
                                        ; implicit-def: $sgpr16
	s_and_saveexec_b64 s[10:11], vcc
	s_xor_b64 s[10:11], exec, s[10:11]
	s_cbranch_execnz .LBB260_131
; %bb.64:                               ;   in Loop: Header=BB260_43 Depth=1
	s_or_saveexec_b64 s[10:11], s[10:11]
	v_mov_b32_e32 v24, s16
	s_xor_b64 exec, exec, s[10:11]
	s_cbranch_execnz .LBB260_134
.LBB260_65:                             ;   in Loop: Header=BB260_43 Depth=1
	s_or_b64 exec, exec, s[10:11]
	s_and_saveexec_b64 s[10:11], s[0:1]
	s_cbranch_execz .LBB260_67
.LBB260_66:                             ;   in Loop: Header=BB260_43 Depth=1
	v_and_b32_e32 v26, 7, v6
	v_ffbh_u32_e32 v24, v26
	v_min_u32_e32 v28, 32, v24
	v_subrev_u32_e32 v24, 28, v28
	v_bfe_u32 v27, v6, 3, 4
	v_lshlrev_b64 v[24:25], v24, v[6:7]
	v_sub_u32_e32 v25, 29, v28
	v_cmp_eq_u32_e32 vcc, 0, v27
	v_and_b32_e32 v24, 7, v24
	v_lshlrev_b32_e32 v6, 8, v6
	v_cndmask_b32_e32 v25, v27, v25, vcc
	v_lshl_add_u32 v25, v25, 10, v3
	v_cndmask_b32_e32 v24, v26, v24, vcc
	v_and_or_b32 v6, v6, s21, v25
	v_lshl_or_b32 v6, v24, 7, v6
	v_cvt_f32_f16_e32 v24, v6
.LBB260_67:                             ;   in Loop: Header=BB260_43 Depth=1
	s_or_b64 exec, exec, s[10:11]
	v_lshrrev_b32_e32 v6, 16, v17
	v_cmp_gt_i16_sdwa s[10:11], v6, s19 src0_sel:BYTE_0 src1_sel:DWORD
	s_mov_b64 s[0:1], 0
                                        ; implicit-def: $sgpr16
	s_and_saveexec_b64 s[12:13], s[10:11]
	s_xor_b64 s[10:11], exec, s[12:13]
	s_cbranch_execnz .LBB260_135
; %bb.68:                               ;   in Loop: Header=BB260_43 Depth=1
	s_or_saveexec_b64 s[10:11], s[10:11]
	v_mov_b32_e32 v25, s16
	s_xor_b64 exec, exec, s[10:11]
	s_cbranch_execnz .LBB260_138
.LBB260_69:                             ;   in Loop: Header=BB260_43 Depth=1
	s_or_b64 exec, exec, s[10:11]
	s_and_saveexec_b64 s[10:11], s[0:1]
	s_cbranch_execz .LBB260_71
.LBB260_70:                             ;   in Loop: Header=BB260_43 Depth=1
	v_bfe_u32 v25, v17, 16, 3
	v_ffbh_u32_e32 v26, v25
	v_min_u32_e32 v37, 32, v26
	v_subrev_u32_e32 v26, 28, v37
	v_bfe_u32 v28, v17, 19, 4
	v_lshlrev_b64 v[26:27], v26, v[6:7]
	v_sub_u32_e32 v27, 29, v37
	v_cmp_eq_u32_e32 vcc, 0, v28
	v_and_b32_e32 v26, 7, v26
	v_lshlrev_b32_e32 v6, 8, v6
	v_cndmask_b32_e32 v27, v28, v27, vcc
	v_cndmask_b32_e32 v25, v25, v26, vcc
	v_lshl_add_u32 v26, v27, 10, v3
	v_and_or_b32 v6, v6, s21, v26
	v_lshl_or_b32 v6, v25, 7, v6
	v_cvt_f32_f16_e32 v25, v6
.LBB260_71:                             ;   in Loop: Header=BB260_43 Depth=1
	s_or_b64 exec, exec, s[10:11]
	v_lshrrev_b32_e32 v6, 24, v17
	v_cmp_lt_i16_e32 vcc, s19, v6
	s_mov_b64 s[0:1], 0
                                        ; implicit-def: $sgpr16
	s_and_saveexec_b64 s[10:11], vcc
	s_xor_b64 s[10:11], exec, s[10:11]
	s_cbranch_execnz .LBB260_139
; %bb.72:                               ;   in Loop: Header=BB260_43 Depth=1
	s_or_saveexec_b64 s[10:11], s[10:11]
	v_mov_b32_e32 v26, s16
	s_xor_b64 exec, exec, s[10:11]
	s_cbranch_execnz .LBB260_142
.LBB260_73:                             ;   in Loop: Header=BB260_43 Depth=1
	s_or_b64 exec, exec, s[10:11]
	s_and_saveexec_b64 s[10:11], s[0:1]
	s_cbranch_execz .LBB260_75
.LBB260_74:                             ;   in Loop: Header=BB260_43 Depth=1
	v_bfe_u32 v28, v17, 24, 3
	v_ffbh_u32_e32 v26, v28
	v_min_u32_e32 v37, 32, v26
	v_subrev_u32_e32 v26, 28, v37
	v_bfe_u32 v17, v17, 27, 4
	v_lshlrev_b64 v[26:27], v26, v[6:7]
	v_sub_u32_e32 v27, 29, v37
	v_cmp_eq_u32_e32 vcc, 0, v17
	v_and_b32_e32 v26, 7, v26
	v_lshlrev_b32_e32 v6, 8, v6
	v_cndmask_b32_e32 v17, v17, v27, vcc
	v_lshl_add_u32 v17, v17, 10, v3
	v_cndmask_b32_e32 v26, v28, v26, vcc
	v_and_or_b32 v6, v6, s21, v17
	v_lshl_or_b32 v6, v26, 7, v6
	v_cvt_f32_f16_e32 v26, v6
.LBB260_75:                             ;   in Loop: Header=BB260_43 Depth=1
	s_or_b64 exec, exec, s[10:11]
	s_waitcnt vmcnt(0)
	v_pk_mul_f32 v[20:21], v[14:15], v[20:21] op_sel_hi:[0,1]
	v_pk_mul_f32 v[18:19], v[14:15], v[18:19] op_sel_hi:[0,1]
	v_cvt_f16_f32_e32 v6, v21
	v_cvt_f16_f32_e32 v17, v20
	;; [unrolled: 1-line block ×4, first 2 shown]
	v_fma_mixlo_f16 v16, v14, v16, 0
	v_pack_b32_f16 v17, v17, v6
	v_cmp_eq_u32_e32 vcc, s7, v2
	v_pack_b32_f16 v18, v18, v19
	v_perm_b32 v6, v18, v17, s23
	v_perm_b32 v17, v18, v17, s28
	v_fma_mixlo_f16 v18, v14, v24, 0
	v_lshlrev_b32_e32 v18, 16, v18
	v_or_b32_sdwa v16, v18, v16 dst_sel:DWORD dst_unused:UNUSED_PAD src0_sel:DWORD src1_sel:WORD_0
	v_fma_mixlo_f16 v18, v14, v25, 0
	v_fma_mixlo_f16 v14, v14, v26, 0
	v_lshlrev_b32_e32 v14, 16, v14
	v_or_b32_sdwa v14, v14, v18 dst_sel:DWORD dst_unused:UNUSED_PAD src0_sel:DWORD src1_sel:WORD_0
	v_add_u32_e32 v28, 1, v22
	v_or_b32_e32 v27, 3, v22
	v_or_b32_e32 v26, 2, v22
	;; [unrolled: 1-line block ×6, first 2 shown]
	s_and_saveexec_b64 s[10:11], vcc
	s_cbranch_execz .LBB260_77
; %bb.76:                               ;   in Loop: Header=BB260_43 Depth=1
	v_lshrrev_b32_e32 v19, 16, v17
	v_cmp_gt_i32_e64 s[0:1], s18, v28
	v_lshrrev_b32_e32 v14, 16, v14
	s_nop 0
	v_cndmask_b32_e64 v19, 0, v19, s[0:1]
	v_cmp_gt_i32_e64 s[0:1], s29, v22
	s_nop 1
	v_cndmask_b32_e64 v17, 0, v17, s[0:1]
	v_perm_b32 v17, v19, v17, s30
	v_lshrrev_b32_e32 v19, 16, v6
	v_cmp_gt_i32_e64 s[0:1], s18, v27
	s_nop 1
	v_cndmask_b32_e64 v19, 0, v19, s[0:1]
	v_cmp_gt_i32_e64 s[0:1], s29, v26
	s_nop 1
	v_cndmask_b32_e64 v6, 0, v6, s[0:1]
	v_perm_b32 v6, v19, v6, s30
	v_lshrrev_b32_e32 v19, 16, v16
	v_cmp_gt_i32_e64 s[0:1], s18, v25
	s_nop 1
	v_cndmask_b32_e64 v19, 0, v19, s[0:1]
	v_cmp_gt_i32_e64 s[0:1], s29, v24
	s_nop 1
	v_cndmask_b32_e64 v16, 0, v16, s[0:1]
	v_cmp_gt_i32_e64 s[0:1], s18, v21
	v_perm_b32 v16, v19, v16, s30
	s_nop 0
	v_cndmask_b32_e64 v14, 0, v14, s[0:1]
	v_cmp_gt_i32_e64 s[0:1], s29, v20
	s_nop 1
	v_cndmask_b32_e64 v18, 0, v18, s[0:1]
	v_perm_b32 v14, v14, v18, s30
.LBB260_77:                             ;   in Loop: Header=BB260_43 Depth=1
	s_or_b64 exec, exec, s[10:11]
	v_and_b32_e32 v18, 0xffff, v29
	v_lshl_or_b32 v29, v30, 16, v18
	v_and_b32_e32 v18, 0xffff, v31
	v_lshl_or_b32 v30, v32, 16, v18
	v_and_b32_e32 v18, 0xffff, v33
	v_lshl_or_b32 v31, v34, 16, v18
	v_and_b32_e32 v18, 0xffff, v35
	;;#ASMSTART
	v_pk_mul_f16 v17, v29, v17;

	;;#ASMEND
	;;#ASMSTART
	v_pk_mul_f16 v6, v30, v6;

	;;#ASMEND
	v_lshl_or_b32 v32, v36, 16, v18
	;;#ASMSTART
	v_pk_mul_f16 v16, v31, v16;

	;;#ASMEND
	;;#ASMSTART
	v_pk_mul_f16 v14, v32, v14;

	;;#ASMEND
	;;#ASMSTART
	v_pk_add_f16 v6, v17, v6;

	;;#ASMEND
	s_mov_b64 s[0:1], 0
	;;#ASMSTART
	v_pk_add_f16 v6, v6, v16;

	;;#ASMEND
                                        ; implicit-def: $sgpr16
	s_nop 0
	;;#ASMSTART
	v_pk_add_f16 v6, v6, v14;

	;;#ASMEND
	s_nop 0
	v_lshrrev_b32_e32 v14, 16, v6
	v_and_b32_e32 v6, 0xffff, v6
	;;#ASMSTART
	v_cvt_f32_f16 v33, v6;
	;;#ASMEND
	;;#ASMSTART
	v_cvt_f32_f16 v34, v14;
	;;#ASMEND
	global_load_dwordx2 v[16:17], v[12:13], off offset:512
	global_load_dword v14, v7, s[14:15]
	s_waitcnt vmcnt(1)
	v_cmp_gt_i16_sdwa s[10:11], v16, s19 src0_sel:BYTE_0 src1_sel:DWORD
	s_and_saveexec_b64 s[12:13], s[10:11]
	s_xor_b64 s[10:11], exec, s[12:13]
	s_cbranch_execnz .LBB260_143
; %bb.78:                               ;   in Loop: Header=BB260_43 Depth=1
	s_or_saveexec_b64 s[10:11], s[10:11]
	v_mov_b32_e32 v12, s16
	s_xor_b64 exec, exec, s[10:11]
	s_cbranch_execnz .LBB260_146
.LBB260_79:                             ;   in Loop: Header=BB260_43 Depth=1
	s_or_b64 exec, exec, s[10:11]
	s_and_saveexec_b64 s[10:11], s[0:1]
	s_cbranch_execz .LBB260_81
.LBB260_80:                             ;   in Loop: Header=BB260_43 Depth=1
	v_and_b32_e32 v6, 7, v16
	v_ffbh_u32_e32 v6, v6
	v_bfe_u32 v12, v16, 3, 4
	v_min_u32_e32 v6, 32, v6
	v_subrev_u32_e32 v13, 28, v6
	v_sub_u32_e32 v6, 29, v6
	v_cmp_eq_u32_e64 s[0:1], 0, v12
	s_nop 1
	v_cndmask_b32_e64 v6, v12, v6, s[0:1]
	v_cndmask_b32_e64 v12, 0, v13, s[0:1]
	v_lshlrev_b64 v[12:13], v12, v[16:17]
	v_lshlrev_b32_e32 v13, 8, v16
	v_lshl_add_u32 v6, v6, 10, v3
	v_lshlrev_b32_e32 v12, 7, v12
	v_and_or_b32 v6, v13, s21, v6
	v_and_or_b32 v6, v12, s22, v6
	v_cvt_f32_f16_e32 v12, v6
.LBB260_81:                             ;   in Loop: Header=BB260_43 Depth=1
	s_or_b64 exec, exec, s[10:11]
	v_lshrrev_b16_e32 v6, 8, v16
	v_cmp_lt_i16_e64 s[0:1], s19, v6
	s_mov_b64 s[10:11], 0
                                        ; implicit-def: $sgpr31
	s_and_saveexec_b64 s[12:13], s[0:1]
	s_xor_b64 s[12:13], exec, s[12:13]
	s_cbranch_execnz .LBB260_147
; %bb.82:                               ;   in Loop: Header=BB260_43 Depth=1
	s_or_saveexec_b64 s[12:13], s[12:13]
	v_mov_b32_e32 v18, s31
	s_xor_b64 exec, exec, s[12:13]
	s_cbranch_execnz .LBB260_150
.LBB260_83:                             ;   in Loop: Header=BB260_43 Depth=1
	s_or_b64 exec, exec, s[12:13]
	s_and_saveexec_b64 s[12:13], s[10:11]
	s_cbranch_execz .LBB260_85
.LBB260_84:                             ;   in Loop: Header=BB260_43 Depth=1
	v_and_b32_e32 v13, 7, v6
	v_ffbh_u32_e32 v18, v13
	v_min_u32_e32 v36, 32, v18
	v_subrev_u32_e32 v18, 28, v36
	v_bfe_u32 v35, v6, 3, 4
	v_lshlrev_b64 v[18:19], v18, v[6:7]
	v_sub_u32_e32 v19, 29, v36
	v_cmp_eq_u32_e64 s[0:1], 0, v35
	v_and_b32_e32 v18, 7, v18
	v_lshlrev_b32_e32 v6, 8, v6
	v_cndmask_b32_e64 v19, v35, v19, s[0:1]
	v_cndmask_b32_e64 v13, v13, v18, s[0:1]
	v_lshl_add_u32 v18, v19, 10, v3
	v_and_or_b32 v6, v6, s21, v18
	v_lshl_or_b32 v6, v13, 7, v6
	v_cvt_f32_f16_e32 v18, v6
.LBB260_85:                             ;   in Loop: Header=BB260_43 Depth=1
	s_or_b64 exec, exec, s[12:13]
	v_lshrrev_b32_e32 v6, 16, v16
	v_cmp_gt_i16_sdwa s[10:11], v6, s19 src0_sel:BYTE_0 src1_sel:DWORD
	s_mov_b64 s[0:1], 0
                                        ; implicit-def: $sgpr16
	s_and_saveexec_b64 s[12:13], s[10:11]
	s_xor_b64 s[10:11], exec, s[12:13]
	s_cbranch_execnz .LBB260_151
; %bb.86:                               ;   in Loop: Header=BB260_43 Depth=1
	s_or_saveexec_b64 s[10:11], s[10:11]
	v_mov_b32_e32 v13, s16
	s_xor_b64 exec, exec, s[10:11]
	s_cbranch_execnz .LBB260_154
.LBB260_87:                             ;   in Loop: Header=BB260_43 Depth=1
	s_or_b64 exec, exec, s[10:11]
	s_and_saveexec_b64 s[10:11], s[0:1]
	s_cbranch_execz .LBB260_89
.LBB260_88:                             ;   in Loop: Header=BB260_43 Depth=1
	v_bfe_u32 v13, v16, 16, 3
	v_ffbh_u32_e32 v35, v13
	v_bfe_u32 v19, v16, 19, 4
	v_min_u32_e32 v35, 32, v35
	v_subrev_u32_e32 v36, 28, v35
	v_sub_u32_e32 v35, 29, v35
	v_cmp_eq_u32_e64 s[0:1], 0, v19
	v_lshlrev_b64 v[36:37], v36, v[6:7]
	v_and_b32_e32 v36, 7, v36
	v_cndmask_b32_e64 v19, v19, v35, s[0:1]
	v_lshlrev_b32_e32 v6, 8, v6
	v_lshl_add_u32 v19, v19, 10, v3
	v_cndmask_b32_e64 v13, v13, v36, s[0:1]
	v_and_or_b32 v6, v6, s21, v19
	v_lshl_or_b32 v6, v13, 7, v6
	v_cvt_f32_f16_e32 v13, v6
.LBB260_89:                             ;   in Loop: Header=BB260_43 Depth=1
	s_or_b64 exec, exec, s[10:11]
	v_lshrrev_b32_e32 v6, 24, v16
	v_cmp_lt_i16_e64 s[0:1], s19, v6
	s_mov_b64 s[10:11], 0
                                        ; implicit-def: $sgpr31
	s_and_saveexec_b64 s[12:13], s[0:1]
	s_xor_b64 s[12:13], exec, s[12:13]
	s_cbranch_execnz .LBB260_155
; %bb.90:                               ;   in Loop: Header=BB260_43 Depth=1
	s_or_saveexec_b64 s[12:13], s[12:13]
	v_mov_b32_e32 v19, s31
	s_xor_b64 exec, exec, s[12:13]
	s_cbranch_execnz .LBB260_158
.LBB260_91:                             ;   in Loop: Header=BB260_43 Depth=1
	s_or_b64 exec, exec, s[12:13]
	s_and_saveexec_b64 s[12:13], s[10:11]
	s_cbranch_execz .LBB260_93
.LBB260_92:                             ;   in Loop: Header=BB260_43 Depth=1
	v_bfe_u32 v19, v16, 24, 3
	v_ffbh_u32_e32 v35, v19
	v_bfe_u32 v16, v16, 27, 4
	v_min_u32_e32 v35, 32, v35
	v_subrev_u32_e32 v36, 28, v35
	v_sub_u32_e32 v35, 29, v35
	v_cmp_eq_u32_e64 s[0:1], 0, v16
	v_lshlrev_b64 v[36:37], v36, v[6:7]
	v_and_b32_e32 v36, 7, v36
	v_cndmask_b32_e64 v16, v16, v35, s[0:1]
	v_lshlrev_b32_e32 v6, 8, v6
	v_lshl_add_u32 v16, v16, 10, v3
	v_cndmask_b32_e64 v19, v19, v36, s[0:1]
	v_and_or_b32 v6, v6, s21, v16
	v_lshl_or_b32 v6, v19, 7, v6
	v_cvt_f32_f16_e32 v19, v6
.LBB260_93:                             ;   in Loop: Header=BB260_43 Depth=1
	s_or_b64 exec, exec, s[12:13]
	v_cmp_gt_i16_sdwa s[10:11], v17, s19 src0_sel:BYTE_0 src1_sel:DWORD
	s_mov_b64 s[0:1], 0
                                        ; implicit-def: $sgpr16
	s_and_saveexec_b64 s[12:13], s[10:11]
	s_xor_b64 s[10:11], exec, s[12:13]
	s_cbranch_execnz .LBB260_159
; %bb.94:                               ;   in Loop: Header=BB260_43 Depth=1
	s_or_saveexec_b64 s[10:11], s[10:11]
	v_mov_b32_e32 v16, s16
	s_xor_b64 exec, exec, s[10:11]
	s_cbranch_execnz .LBB260_162
.LBB260_95:                             ;   in Loop: Header=BB260_43 Depth=1
	s_or_b64 exec, exec, s[10:11]
	v_mov_b32_e32 v6, v17
	s_and_saveexec_b64 s[10:11], s[0:1]
	s_cbranch_execz .LBB260_97
.LBB260_96:                             ;   in Loop: Header=BB260_43 Depth=1
	v_and_b32_e32 v16, 7, v17
	v_ffbh_u32_e32 v16, v16
	v_bfe_u32 v35, v17, 3, 4
	v_min_u32_e32 v16, 32, v16
	v_subrev_u32_e32 v36, 28, v16
	v_sub_u32_e32 v16, 29, v16
	v_cmp_eq_u32_e64 s[0:1], 0, v35
	s_nop 1
	v_cndmask_b32_e64 v16, v35, v16, s[0:1]
	v_cndmask_b32_e64 v35, 0, v36, s[0:1]
	v_lshlrev_b64 v[36:37], v35, v[6:7]
	v_lshlrev_b32_e32 v35, 7, v36
	v_lshlrev_b32_e32 v36, 8, v17
	v_lshl_add_u32 v16, v16, 10, v3
	v_and_or_b32 v16, v36, s21, v16
	v_and_or_b32 v16, v35, s22, v16
	v_cvt_f32_f16_e32 v16, v16
.LBB260_97:                             ;   in Loop: Header=BB260_43 Depth=1
	s_or_b64 exec, exec, s[10:11]
	v_lshrrev_b16_e32 v6, 8, v6
	v_cmp_lt_i16_e64 s[0:1], s19, v6
	s_mov_b64 s[10:11], 0
                                        ; implicit-def: $sgpr31
	s_and_saveexec_b64 s[12:13], s[0:1]
	s_xor_b64 s[12:13], exec, s[12:13]
	s_cbranch_execnz .LBB260_163
; %bb.98:                               ;   in Loop: Header=BB260_43 Depth=1
	s_or_saveexec_b64 s[12:13], s[12:13]
	v_mov_b32_e32 v35, s31
	s_xor_b64 exec, exec, s[12:13]
	s_cbranch_execnz .LBB260_166
.LBB260_99:                             ;   in Loop: Header=BB260_43 Depth=1
	s_or_b64 exec, exec, s[12:13]
	s_and_saveexec_b64 s[12:13], s[10:11]
	s_cbranch_execz .LBB260_101
.LBB260_100:                            ;   in Loop: Header=BB260_43 Depth=1
	v_and_b32_e32 v35, 7, v6
	v_ffbh_u32_e32 v36, v35
	v_min_u32_e32 v39, 32, v36
	v_subrev_u32_e32 v36, 28, v39
	v_bfe_u32 v38, v6, 3, 4
	v_lshlrev_b64 v[36:37], v36, v[6:7]
	v_sub_u32_e32 v37, 29, v39
	v_cmp_eq_u32_e64 s[0:1], 0, v38
	v_and_b32_e32 v36, 7, v36
	v_lshlrev_b32_e32 v6, 8, v6
	v_cndmask_b32_e64 v37, v38, v37, s[0:1]
	v_cndmask_b32_e64 v35, v35, v36, s[0:1]
	v_lshl_add_u32 v36, v37, 10, v3
	v_and_or_b32 v6, v6, s21, v36
	v_lshl_or_b32 v6, v35, 7, v6
	v_cvt_f32_f16_e32 v35, v6
.LBB260_101:                            ;   in Loop: Header=BB260_43 Depth=1
	s_or_b64 exec, exec, s[12:13]
	v_lshrrev_b32_e32 v6, 16, v17
	v_cmp_gt_i16_sdwa s[10:11], v6, s19 src0_sel:BYTE_0 src1_sel:DWORD
	s_mov_b64 s[0:1], 0
                                        ; implicit-def: $sgpr16
	s_and_saveexec_b64 s[12:13], s[10:11]
	s_xor_b64 s[10:11], exec, s[12:13]
	s_cbranch_execnz .LBB260_167
; %bb.102:                              ;   in Loop: Header=BB260_43 Depth=1
	s_or_saveexec_b64 s[10:11], s[10:11]
	v_mov_b32_e32 v36, s16
	s_xor_b64 exec, exec, s[10:11]
	s_cbranch_execnz .LBB260_170
.LBB260_103:                            ;   in Loop: Header=BB260_43 Depth=1
	s_or_b64 exec, exec, s[10:11]
	s_and_saveexec_b64 s[10:11], s[0:1]
	s_cbranch_execz .LBB260_105
.LBB260_104:                            ;   in Loop: Header=BB260_43 Depth=1
	v_bfe_u32 v38, v17, 16, 3
	v_ffbh_u32_e32 v36, v38
	v_min_u32_e32 v40, 32, v36
	v_subrev_u32_e32 v36, 28, v40
	v_bfe_u32 v39, v17, 19, 4
	v_lshlrev_b64 v[36:37], v36, v[6:7]
	v_sub_u32_e32 v37, 29, v40
	v_cmp_eq_u32_e64 s[0:1], 0, v39
	v_and_b32_e32 v36, 7, v36
	v_lshlrev_b32_e32 v6, 8, v6
	v_cndmask_b32_e64 v37, v39, v37, s[0:1]
	v_lshl_add_u32 v37, v37, 10, v3
	v_cndmask_b32_e64 v36, v38, v36, s[0:1]
	v_and_or_b32 v6, v6, s21, v37
	v_lshl_or_b32 v6, v36, 7, v6
	v_cvt_f32_f16_e32 v36, v6
.LBB260_105:                            ;   in Loop: Header=BB260_43 Depth=1
	s_or_b64 exec, exec, s[10:11]
	v_lshrrev_b32_e32 v6, 24, v17
	v_cmp_lt_i16_e64 s[0:1], s19, v6
	s_mov_b64 s[10:11], 0
                                        ; implicit-def: $sgpr31
	s_and_saveexec_b64 s[12:13], s[0:1]
	s_xor_b64 s[12:13], exec, s[12:13]
	s_cbranch_execnz .LBB260_171
; %bb.106:                              ;   in Loop: Header=BB260_43 Depth=1
	s_or_saveexec_b64 s[12:13], s[12:13]
	v_mov_b32_e32 v37, s31
	s_xor_b64 exec, exec, s[12:13]
	s_cbranch_execnz .LBB260_174
.LBB260_107:                            ;   in Loop: Header=BB260_43 Depth=1
	s_or_b64 exec, exec, s[12:13]
	s_and_saveexec_b64 s[12:13], s[10:11]
	s_cbranch_execz .LBB260_109
.LBB260_108:                            ;   in Loop: Header=BB260_43 Depth=1
	v_bfe_u32 v37, v17, 24, 3
	v_ffbh_u32_e32 v38, v37
	v_min_u32_e32 v40, 32, v38
	v_subrev_u32_e32 v38, 28, v40
	v_bfe_u32 v17, v17, 27, 4
	v_lshlrev_b64 v[38:39], v38, v[6:7]
	v_sub_u32_e32 v39, 29, v40
	v_cmp_eq_u32_e64 s[0:1], 0, v17
	v_and_b32_e32 v38, 7, v38
	v_lshlrev_b32_e32 v6, 8, v6
	v_cndmask_b32_e64 v17, v17, v39, s[0:1]
	v_lshl_add_u32 v17, v17, 10, v3
	v_cndmask_b32_e64 v37, v37, v38, s[0:1]
	v_and_or_b32 v6, v6, s21, v17
	v_lshl_or_b32 v6, v37, 7, v6
	v_cvt_f32_f16_e32 v37, v6
.LBB260_109:                            ;   in Loop: Header=BB260_43 Depth=1
	s_or_b64 exec, exec, s[12:13]
	s_waitcnt vmcnt(0)
	v_pk_mul_f32 v[12:13], v[14:15], v[12:13] op_sel_hi:[0,1]
	v_cvt_f16_f32_e32 v13, v13
	v_cvt_f16_f32_e32 v12, v12
	v_pk_mul_f32 v[18:19], v[14:15], v[18:19] op_sel_hi:[0,1]
	v_cvt_f16_f32_e32 v6, v19
	v_cvt_f16_f32_e32 v17, v18
	v_pack_b32_f16 v12, v12, v13
	v_fma_mixlo_f16 v13, v14, v35, 0
	v_lshlrev_b32_e32 v13, 16, v13
	v_fma_mixlo_f16 v16, v14, v16, 0
	v_or_b32_sdwa v13, v13, v16 dst_sel:DWORD dst_unused:UNUSED_PAD src0_sel:DWORD src1_sel:WORD_0
	v_fma_mixlo_f16 v16, v14, v36, 0
	v_fma_mixlo_f16 v14, v14, v37, 0
	v_pack_b32_f16 v17, v17, v6
	v_lshlrev_b32_e32 v14, 16, v14
	v_perm_b32 v6, v12, v17, s23
	v_perm_b32 v12, v12, v17, s28
	v_or_b32_sdwa v14, v14, v16 dst_sel:DWORD dst_unused:UNUSED_PAD src0_sel:DWORD src1_sel:WORD_0
	s_and_saveexec_b64 s[0:1], vcc
	s_cbranch_execz .LBB260_42
; %bb.110:                              ;   in Loop: Header=BB260_43 Depth=1
	v_lshrrev_b32_e32 v17, 16, v12
	v_cmp_gt_i32_e32 vcc, s18, v28
	v_lshrrev_b32_e32 v14, 16, v14
	s_nop 0
	v_cndmask_b32_e32 v17, 0, v17, vcc
	v_cmp_gt_i32_e32 vcc, s29, v22
	s_nop 1
	v_cndmask_b32_e32 v12, 0, v12, vcc
	v_perm_b32 v12, v17, v12, s30
	v_lshrrev_b32_e32 v17, 16, v6
	v_cmp_gt_i32_e32 vcc, s18, v27
	s_nop 1
	v_cndmask_b32_e32 v17, 0, v17, vcc
	v_cmp_gt_i32_e32 vcc, s29, v26
	s_nop 1
	v_cndmask_b32_e32 v6, 0, v6, vcc
	v_perm_b32 v6, v17, v6, s30
	v_lshrrev_b32_e32 v17, 16, v13
	v_cmp_gt_i32_e32 vcc, s18, v25
	s_nop 1
	v_cndmask_b32_e32 v17, 0, v17, vcc
	v_cmp_gt_i32_e32 vcc, s29, v24
	s_nop 1
	v_cndmask_b32_e32 v13, 0, v13, vcc
	v_cmp_gt_i32_e32 vcc, s18, v21
	v_perm_b32 v13, v17, v13, s30
	s_nop 0
	v_cndmask_b32_e32 v14, 0, v14, vcc
	v_cmp_gt_i32_e32 vcc, s29, v20
	s_nop 1
	v_cndmask_b32_e32 v16, 0, v16, vcc
	v_perm_b32 v14, v14, v16, s30
	s_branch .LBB260_42
.LBB260_111:                            ;   in Loop: Header=BB260_43 Depth=1
	v_cmp_eq_u16_sdwa s[34:35], v16, s20 src0_sel:BYTE_0 src1_sel:DWORD
	s_mov_b64 s[0:1], -1
                                        ; implicit-def: $sgpr16
	s_and_saveexec_b64 s[12:13], s[34:35]
; %bb.112:                              ;   in Loop: Header=BB260_43 Depth=1
	s_mov_b32 s16, 0x7fc02000
	s_xor_b64 s[0:1], exec, -1
; %bb.113:                              ;   in Loop: Header=BB260_43 Depth=1
	s_or_b64 exec, exec, s[12:13]
	s_and_b64 s[0:1], s[0:1], exec
	s_or_saveexec_b64 s[10:11], s[10:11]
	v_mov_b32_e32 v18, s16
	s_xor_b64 exec, exec, s[10:11]
	s_cbranch_execz .LBB260_45
.LBB260_114:                            ;   in Loop: Header=BB260_43 Depth=1
	v_cmp_ne_u16_sdwa s[12:13], v16, v7 src0_sel:BYTE_0 src1_sel:DWORD
	s_andn2_b64 s[0:1], s[0:1], exec
	s_and_b64 s[12:13], s[12:13], exec
	v_mov_b32_e32 v18, 0
	s_or_b64 s[0:1], s[0:1], s[12:13]
	s_or_b64 exec, exec, s[10:11]
	s_and_saveexec_b64 s[10:11], s[0:1]
	s_cbranch_execnz .LBB260_46
	s_branch .LBB260_47
.LBB260_115:                            ;   in Loop: Header=BB260_43 Depth=1
	v_cmp_eq_u16_e32 vcc, s20, v6
	s_mov_b64 s[0:1], -1
                                        ; implicit-def: $sgpr16
	s_and_saveexec_b64 s[12:13], vcc
; %bb.116:                              ;   in Loop: Header=BB260_43 Depth=1
	s_mov_b32 s16, 0x7fc02000
	s_xor_b64 s[0:1], exec, -1
; %bb.117:                              ;   in Loop: Header=BB260_43 Depth=1
	s_or_b64 exec, exec, s[12:13]
	s_and_b64 s[0:1], s[0:1], exec
	s_or_saveexec_b64 s[10:11], s[10:11]
	v_mov_b32_e32 v20, s16
	s_xor_b64 exec, exec, s[10:11]
	s_cbranch_execz .LBB260_49
.LBB260_118:                            ;   in Loop: Header=BB260_43 Depth=1
	v_cmp_ne_u16_e32 vcc, 0, v6
	s_andn2_b64 s[0:1], s[0:1], exec
	s_and_b64 s[12:13], vcc, exec
	v_mov_b32_e32 v20, 0
	s_or_b64 s[0:1], s[0:1], s[12:13]
	s_or_b64 exec, exec, s[10:11]
	s_and_saveexec_b64 s[10:11], s[0:1]
	s_cbranch_execnz .LBB260_50
	s_branch .LBB260_51
.LBB260_119:                            ;   in Loop: Header=BB260_43 Depth=1
	v_cmp_eq_u16_sdwa s[34:35], v6, s20 src0_sel:BYTE_0 src1_sel:DWORD
	s_mov_b64 s[0:1], -1
                                        ; implicit-def: $sgpr16
	s_and_saveexec_b64 s[12:13], s[34:35]
; %bb.120:                              ;   in Loop: Header=BB260_43 Depth=1
	s_mov_b32 s16, 0x7fc02000
	s_xor_b64 s[0:1], exec, -1
; %bb.121:                              ;   in Loop: Header=BB260_43 Depth=1
	s_or_b64 exec, exec, s[12:13]
	s_and_b64 s[0:1], s[0:1], exec
	s_or_saveexec_b64 s[10:11], s[10:11]
	v_mov_b32_e32 v19, s16
	s_xor_b64 exec, exec, s[10:11]
	s_cbranch_execz .LBB260_53
.LBB260_122:                            ;   in Loop: Header=BB260_43 Depth=1
	v_cmp_ne_u16_sdwa s[12:13], v6, v7 src0_sel:BYTE_0 src1_sel:DWORD
	s_andn2_b64 s[0:1], s[0:1], exec
	s_and_b64 s[12:13], s[12:13], exec
	v_mov_b32_e32 v19, 0
	s_or_b64 s[0:1], s[0:1], s[12:13]
	s_or_b64 exec, exec, s[10:11]
	s_and_saveexec_b64 s[10:11], s[0:1]
	s_cbranch_execnz .LBB260_54
	s_branch .LBB260_55
.LBB260_123:                            ;   in Loop: Header=BB260_43 Depth=1
	v_cmp_eq_u16_e32 vcc, s20, v6
	s_mov_b64 s[0:1], -1
                                        ; implicit-def: $sgpr16
	s_and_saveexec_b64 s[12:13], vcc
; %bb.124:                              ;   in Loop: Header=BB260_43 Depth=1
	s_mov_b32 s16, 0x7fc02000
	s_xor_b64 s[0:1], exec, -1
; %bb.125:                              ;   in Loop: Header=BB260_43 Depth=1
	s_or_b64 exec, exec, s[12:13]
	s_and_b64 s[0:1], s[0:1], exec
	s_or_saveexec_b64 s[10:11], s[10:11]
	v_mov_b32_e32 v21, s16
	s_xor_b64 exec, exec, s[10:11]
	s_cbranch_execz .LBB260_57
.LBB260_126:                            ;   in Loop: Header=BB260_43 Depth=1
	v_cmp_ne_u16_e32 vcc, 0, v6
	s_andn2_b64 s[0:1], s[0:1], exec
	s_and_b64 s[12:13], vcc, exec
	v_mov_b32_e32 v21, 0
	s_or_b64 s[0:1], s[0:1], s[12:13]
	s_or_b64 exec, exec, s[10:11]
	s_and_saveexec_b64 s[10:11], s[0:1]
	s_cbranch_execnz .LBB260_58
	s_branch .LBB260_59
.LBB260_127:                            ;   in Loop: Header=BB260_43 Depth=1
	v_cmp_eq_u16_sdwa s[34:35], v17, s20 src0_sel:BYTE_0 src1_sel:DWORD
	s_mov_b64 s[0:1], -1
                                        ; implicit-def: $sgpr16
	s_and_saveexec_b64 s[12:13], s[34:35]
; %bb.128:                              ;   in Loop: Header=BB260_43 Depth=1
	s_mov_b32 s16, 0x7fc02000
	s_xor_b64 s[0:1], exec, -1
; %bb.129:                              ;   in Loop: Header=BB260_43 Depth=1
	s_or_b64 exec, exec, s[12:13]
	s_and_b64 s[0:1], s[0:1], exec
	s_or_saveexec_b64 s[10:11], s[10:11]
	v_mov_b32_e32 v16, s16
	s_xor_b64 exec, exec, s[10:11]
	s_cbranch_execz .LBB260_61
.LBB260_130:                            ;   in Loop: Header=BB260_43 Depth=1
	v_cmp_ne_u16_sdwa s[12:13], v17, v7 src0_sel:BYTE_0 src1_sel:DWORD
	s_andn2_b64 s[0:1], s[0:1], exec
	s_and_b64 s[12:13], s[12:13], exec
	v_mov_b32_e32 v16, 0
	s_or_b64 s[0:1], s[0:1], s[12:13]
	s_or_b64 exec, exec, s[10:11]
	v_mov_b32_e32 v6, v17
	s_and_saveexec_b64 s[10:11], s[0:1]
	s_cbranch_execnz .LBB260_62
	s_branch .LBB260_63
.LBB260_131:                            ;   in Loop: Header=BB260_43 Depth=1
	v_cmp_eq_u16_e32 vcc, s20, v6
	s_mov_b64 s[0:1], -1
                                        ; implicit-def: $sgpr16
	s_and_saveexec_b64 s[12:13], vcc
; %bb.132:                              ;   in Loop: Header=BB260_43 Depth=1
	s_mov_b32 s16, 0x7fc02000
	s_xor_b64 s[0:1], exec, -1
; %bb.133:                              ;   in Loop: Header=BB260_43 Depth=1
	s_or_b64 exec, exec, s[12:13]
	s_and_b64 s[0:1], s[0:1], exec
	s_or_saveexec_b64 s[10:11], s[10:11]
	v_mov_b32_e32 v24, s16
	s_xor_b64 exec, exec, s[10:11]
	s_cbranch_execz .LBB260_65
.LBB260_134:                            ;   in Loop: Header=BB260_43 Depth=1
	v_cmp_ne_u16_e32 vcc, 0, v6
	s_andn2_b64 s[0:1], s[0:1], exec
	s_and_b64 s[12:13], vcc, exec
	v_mov_b32_e32 v24, 0
	s_or_b64 s[0:1], s[0:1], s[12:13]
	s_or_b64 exec, exec, s[10:11]
	s_and_saveexec_b64 s[10:11], s[0:1]
	s_cbranch_execnz .LBB260_66
	s_branch .LBB260_67
.LBB260_135:                            ;   in Loop: Header=BB260_43 Depth=1
	v_cmp_eq_u16_sdwa s[34:35], v6, s20 src0_sel:BYTE_0 src1_sel:DWORD
	s_mov_b64 s[0:1], -1
                                        ; implicit-def: $sgpr16
	s_and_saveexec_b64 s[12:13], s[34:35]
; %bb.136:                              ;   in Loop: Header=BB260_43 Depth=1
	s_mov_b32 s16, 0x7fc02000
	s_xor_b64 s[0:1], exec, -1
; %bb.137:                              ;   in Loop: Header=BB260_43 Depth=1
	s_or_b64 exec, exec, s[12:13]
	s_and_b64 s[0:1], s[0:1], exec
	s_or_saveexec_b64 s[10:11], s[10:11]
	v_mov_b32_e32 v25, s16
	s_xor_b64 exec, exec, s[10:11]
	s_cbranch_execz .LBB260_69
.LBB260_138:                            ;   in Loop: Header=BB260_43 Depth=1
	v_cmp_ne_u16_sdwa s[12:13], v6, v7 src0_sel:BYTE_0 src1_sel:DWORD
	s_andn2_b64 s[0:1], s[0:1], exec
	s_and_b64 s[12:13], s[12:13], exec
	v_mov_b32_e32 v25, 0
	s_or_b64 s[0:1], s[0:1], s[12:13]
	s_or_b64 exec, exec, s[10:11]
	s_and_saveexec_b64 s[10:11], s[0:1]
	s_cbranch_execnz .LBB260_70
	s_branch .LBB260_71
.LBB260_139:                            ;   in Loop: Header=BB260_43 Depth=1
	v_cmp_eq_u16_e32 vcc, s20, v6
	s_mov_b64 s[0:1], -1
                                        ; implicit-def: $sgpr16
	s_and_saveexec_b64 s[12:13], vcc
; %bb.140:                              ;   in Loop: Header=BB260_43 Depth=1
	s_mov_b32 s16, 0x7fc02000
	s_xor_b64 s[0:1], exec, -1
; %bb.141:                              ;   in Loop: Header=BB260_43 Depth=1
	s_or_b64 exec, exec, s[12:13]
	s_and_b64 s[0:1], s[0:1], exec
	s_or_saveexec_b64 s[10:11], s[10:11]
	v_mov_b32_e32 v26, s16
	s_xor_b64 exec, exec, s[10:11]
	s_cbranch_execz .LBB260_73
.LBB260_142:                            ;   in Loop: Header=BB260_43 Depth=1
	v_cmp_ne_u16_e32 vcc, 0, v6
	s_andn2_b64 s[0:1], s[0:1], exec
	s_and_b64 s[12:13], vcc, exec
	v_mov_b32_e32 v26, 0
	s_or_b64 s[0:1], s[0:1], s[12:13]
	s_or_b64 exec, exec, s[10:11]
	s_and_saveexec_b64 s[10:11], s[0:1]
	s_cbranch_execnz .LBB260_74
	s_branch .LBB260_75
.LBB260_143:                            ;   in Loop: Header=BB260_43 Depth=1
	v_cmp_eq_u16_sdwa s[34:35], v16, s20 src0_sel:BYTE_0 src1_sel:DWORD
	s_mov_b64 s[0:1], -1
                                        ; implicit-def: $sgpr16
	s_and_saveexec_b64 s[12:13], s[34:35]
; %bb.144:                              ;   in Loop: Header=BB260_43 Depth=1
	s_mov_b32 s16, 0x7fc02000
	s_xor_b64 s[0:1], exec, -1
; %bb.145:                              ;   in Loop: Header=BB260_43 Depth=1
	s_or_b64 exec, exec, s[12:13]
	s_and_b64 s[0:1], s[0:1], exec
	s_or_saveexec_b64 s[10:11], s[10:11]
	v_mov_b32_e32 v12, s16
	s_xor_b64 exec, exec, s[10:11]
	s_cbranch_execz .LBB260_79
.LBB260_146:                            ;   in Loop: Header=BB260_43 Depth=1
	v_cmp_ne_u16_sdwa s[12:13], v16, v7 src0_sel:BYTE_0 src1_sel:DWORD
	s_andn2_b64 s[0:1], s[0:1], exec
	s_and_b64 s[12:13], s[12:13], exec
	v_mov_b32_e32 v12, 0
	s_or_b64 s[0:1], s[0:1], s[12:13]
	s_or_b64 exec, exec, s[10:11]
	s_and_saveexec_b64 s[10:11], s[0:1]
	s_cbranch_execnz .LBB260_80
	s_branch .LBB260_81
.LBB260_147:                            ;   in Loop: Header=BB260_43 Depth=1
	v_cmp_eq_u16_e64 s[0:1], s20, v6
	s_mov_b64 s[10:11], -1
                                        ; implicit-def: $sgpr31
	s_and_saveexec_b64 s[16:17], s[0:1]
; %bb.148:                              ;   in Loop: Header=BB260_43 Depth=1
	s_mov_b32 s31, 0x7fc02000
	s_xor_b64 s[10:11], exec, -1
; %bb.149:                              ;   in Loop: Header=BB260_43 Depth=1
	s_or_b64 exec, exec, s[16:17]
	s_and_b64 s[10:11], s[10:11], exec
	s_or_saveexec_b64 s[12:13], s[12:13]
	v_mov_b32_e32 v18, s31
	s_xor_b64 exec, exec, s[12:13]
	s_cbranch_execz .LBB260_83
.LBB260_150:                            ;   in Loop: Header=BB260_43 Depth=1
	v_cmp_ne_u16_e64 s[0:1], 0, v6
	s_andn2_b64 s[10:11], s[10:11], exec
	s_and_b64 s[0:1], s[0:1], exec
	v_mov_b32_e32 v18, 0
	s_or_b64 s[10:11], s[10:11], s[0:1]
	s_or_b64 exec, exec, s[12:13]
	s_and_saveexec_b64 s[12:13], s[10:11]
	s_cbranch_execnz .LBB260_84
	s_branch .LBB260_85
.LBB260_151:                            ;   in Loop: Header=BB260_43 Depth=1
	v_cmp_eq_u16_sdwa s[34:35], v6, s20 src0_sel:BYTE_0 src1_sel:DWORD
	s_mov_b64 s[0:1], -1
                                        ; implicit-def: $sgpr16
	s_and_saveexec_b64 s[12:13], s[34:35]
; %bb.152:                              ;   in Loop: Header=BB260_43 Depth=1
	s_mov_b32 s16, 0x7fc02000
	s_xor_b64 s[0:1], exec, -1
; %bb.153:                              ;   in Loop: Header=BB260_43 Depth=1
	s_or_b64 exec, exec, s[12:13]
	s_and_b64 s[0:1], s[0:1], exec
	s_or_saveexec_b64 s[10:11], s[10:11]
	v_mov_b32_e32 v13, s16
	s_xor_b64 exec, exec, s[10:11]
	s_cbranch_execz .LBB260_87
.LBB260_154:                            ;   in Loop: Header=BB260_43 Depth=1
	v_cmp_ne_u16_sdwa s[12:13], v6, v7 src0_sel:BYTE_0 src1_sel:DWORD
	s_andn2_b64 s[0:1], s[0:1], exec
	s_and_b64 s[12:13], s[12:13], exec
	v_mov_b32_e32 v13, 0
	s_or_b64 s[0:1], s[0:1], s[12:13]
	s_or_b64 exec, exec, s[10:11]
	s_and_saveexec_b64 s[10:11], s[0:1]
	s_cbranch_execnz .LBB260_88
	s_branch .LBB260_89
.LBB260_155:                            ;   in Loop: Header=BB260_43 Depth=1
	v_cmp_eq_u16_e64 s[0:1], s20, v6
	s_mov_b64 s[10:11], -1
                                        ; implicit-def: $sgpr31
	s_and_saveexec_b64 s[16:17], s[0:1]
; %bb.156:                              ;   in Loop: Header=BB260_43 Depth=1
	s_mov_b32 s31, 0x7fc02000
	s_xor_b64 s[10:11], exec, -1
; %bb.157:                              ;   in Loop: Header=BB260_43 Depth=1
	s_or_b64 exec, exec, s[16:17]
	s_and_b64 s[10:11], s[10:11], exec
	s_or_saveexec_b64 s[12:13], s[12:13]
	v_mov_b32_e32 v19, s31
	s_xor_b64 exec, exec, s[12:13]
	s_cbranch_execz .LBB260_91
.LBB260_158:                            ;   in Loop: Header=BB260_43 Depth=1
	v_cmp_ne_u16_e64 s[0:1], 0, v6
	s_andn2_b64 s[10:11], s[10:11], exec
	s_and_b64 s[0:1], s[0:1], exec
	v_mov_b32_e32 v19, 0
	s_or_b64 s[10:11], s[10:11], s[0:1]
	s_or_b64 exec, exec, s[12:13]
	s_and_saveexec_b64 s[12:13], s[10:11]
	s_cbranch_execnz .LBB260_92
	s_branch .LBB260_93
.LBB260_159:                            ;   in Loop: Header=BB260_43 Depth=1
	v_cmp_eq_u16_sdwa s[34:35], v17, s20 src0_sel:BYTE_0 src1_sel:DWORD
	s_mov_b64 s[0:1], -1
                                        ; implicit-def: $sgpr16
	s_and_saveexec_b64 s[12:13], s[34:35]
; %bb.160:                              ;   in Loop: Header=BB260_43 Depth=1
	s_mov_b32 s16, 0x7fc02000
	s_xor_b64 s[0:1], exec, -1
; %bb.161:                              ;   in Loop: Header=BB260_43 Depth=1
	s_or_b64 exec, exec, s[12:13]
	s_and_b64 s[0:1], s[0:1], exec
	s_or_saveexec_b64 s[10:11], s[10:11]
	v_mov_b32_e32 v16, s16
	s_xor_b64 exec, exec, s[10:11]
	s_cbranch_execz .LBB260_95
.LBB260_162:                            ;   in Loop: Header=BB260_43 Depth=1
	v_cmp_ne_u16_sdwa s[12:13], v17, v7 src0_sel:BYTE_0 src1_sel:DWORD
	s_andn2_b64 s[0:1], s[0:1], exec
	s_and_b64 s[12:13], s[12:13], exec
	v_mov_b32_e32 v16, 0
	s_or_b64 s[0:1], s[0:1], s[12:13]
	s_or_b64 exec, exec, s[10:11]
	v_mov_b32_e32 v6, v17
	s_and_saveexec_b64 s[10:11], s[0:1]
	s_cbranch_execnz .LBB260_96
	s_branch .LBB260_97
.LBB260_163:                            ;   in Loop: Header=BB260_43 Depth=1
	v_cmp_eq_u16_e64 s[0:1], s20, v6
	s_mov_b64 s[10:11], -1
                                        ; implicit-def: $sgpr31
	s_and_saveexec_b64 s[16:17], s[0:1]
; %bb.164:                              ;   in Loop: Header=BB260_43 Depth=1
	s_mov_b32 s31, 0x7fc02000
	s_xor_b64 s[10:11], exec, -1
; %bb.165:                              ;   in Loop: Header=BB260_43 Depth=1
	s_or_b64 exec, exec, s[16:17]
	s_and_b64 s[10:11], s[10:11], exec
	s_or_saveexec_b64 s[12:13], s[12:13]
	v_mov_b32_e32 v35, s31
	s_xor_b64 exec, exec, s[12:13]
	s_cbranch_execz .LBB260_99
.LBB260_166:                            ;   in Loop: Header=BB260_43 Depth=1
	v_cmp_ne_u16_e64 s[0:1], 0, v6
	s_andn2_b64 s[10:11], s[10:11], exec
	s_and_b64 s[0:1], s[0:1], exec
	v_mov_b32_e32 v35, 0
	s_or_b64 s[10:11], s[10:11], s[0:1]
	s_or_b64 exec, exec, s[12:13]
	s_and_saveexec_b64 s[12:13], s[10:11]
	s_cbranch_execnz .LBB260_100
	s_branch .LBB260_101
.LBB260_167:                            ;   in Loop: Header=BB260_43 Depth=1
	v_cmp_eq_u16_sdwa s[34:35], v6, s20 src0_sel:BYTE_0 src1_sel:DWORD
	s_mov_b64 s[0:1], -1
                                        ; implicit-def: $sgpr16
	s_and_saveexec_b64 s[12:13], s[34:35]
; %bb.168:                              ;   in Loop: Header=BB260_43 Depth=1
	s_mov_b32 s16, 0x7fc02000
	s_xor_b64 s[0:1], exec, -1
; %bb.169:                              ;   in Loop: Header=BB260_43 Depth=1
	s_or_b64 exec, exec, s[12:13]
	s_and_b64 s[0:1], s[0:1], exec
	s_or_saveexec_b64 s[10:11], s[10:11]
	v_mov_b32_e32 v36, s16
	s_xor_b64 exec, exec, s[10:11]
	s_cbranch_execz .LBB260_103
.LBB260_170:                            ;   in Loop: Header=BB260_43 Depth=1
	v_cmp_ne_u16_sdwa s[12:13], v6, v7 src0_sel:BYTE_0 src1_sel:DWORD
	s_andn2_b64 s[0:1], s[0:1], exec
	s_and_b64 s[12:13], s[12:13], exec
	v_mov_b32_e32 v36, 0
	s_or_b64 s[0:1], s[0:1], s[12:13]
	s_or_b64 exec, exec, s[10:11]
	s_and_saveexec_b64 s[10:11], s[0:1]
	s_cbranch_execnz .LBB260_104
	s_branch .LBB260_105
.LBB260_171:                            ;   in Loop: Header=BB260_43 Depth=1
	v_cmp_eq_u16_e64 s[0:1], s20, v6
	s_mov_b64 s[10:11], -1
                                        ; implicit-def: $sgpr31
	s_and_saveexec_b64 s[16:17], s[0:1]
; %bb.172:                              ;   in Loop: Header=BB260_43 Depth=1
	s_mov_b32 s31, 0x7fc02000
	s_xor_b64 s[10:11], exec, -1
; %bb.173:                              ;   in Loop: Header=BB260_43 Depth=1
	s_or_b64 exec, exec, s[16:17]
	s_and_b64 s[10:11], s[10:11], exec
	s_or_saveexec_b64 s[12:13], s[12:13]
	v_mov_b32_e32 v37, s31
	s_xor_b64 exec, exec, s[12:13]
	s_cbranch_execz .LBB260_107
.LBB260_174:                            ;   in Loop: Header=BB260_43 Depth=1
	v_cmp_ne_u16_e64 s[0:1], 0, v6
	s_andn2_b64 s[10:11], s[10:11], exec
	s_and_b64 s[0:1], s[0:1], exec
	v_mov_b32_e32 v37, 0
	s_or_b64 s[10:11], s[10:11], s[0:1]
	s_or_b64 exec, exec, s[12:13]
	s_and_saveexec_b64 s[12:13], s[10:11]
	s_cbranch_execnz .LBB260_108
	s_branch .LBB260_109
.LBB260_175:
	s_or_b64 exec, exec, s[8:9]
.LBB260_176:
	s_or_b64 exec, exec, s[2:3]
	v_and_b32_e32 v2, 0x3c0, v0
	v_cmp_eq_u32_e32 vcc, 64, v2
	s_barrier
	s_and_saveexec_b64 s[0:1], vcc
	s_cbranch_execz .LBB260_178
; %bb.177:
	v_mov_b32_e32 v2, 0x110
	v_lshl_add_u32 v3, v0, 2, v2
	v_lshl_add_u32 v2, v15, 2, v2
	ds_write_b32 v2, v4
	ds_write_b32 v3, v5
.LBB260_178:
	s_or_b64 exec, exec, s[0:1]
	v_cmp_gt_u32_e32 vcc, 64, v0
	s_waitcnt lgkmcnt(0)
	s_barrier
	s_and_saveexec_b64 s[0:1], vcc
	s_cbranch_execz .LBB260_180
; %bb.179:
	v_mov_b32_e32 v2, 0x110
	v_lshl_add_u32 v0, v0, 2, v2
	ds_read2st64_b32 v[2:3], v0 offset1:1
	s_waitcnt lgkmcnt(0)
	v_pk_add_f32 v[4:5], v[4:5], v[2:3]
.LBB260_180:
	s_or_b64 exec, exec, s[0:1]
	s_barrier
	s_and_saveexec_b64 s[0:1], vcc
	s_cbranch_execz .LBB260_182
; %bb.181:
	s_lshl_b32 s0, s6, 7
	s_ashr_i32 s1, s0, 31
	s_lshl_b64 s[0:1], s[0:1], 1
	s_add_u32 s2, s26, s0
	s_mul_i32 s0, s25, s24
	s_addc_u32 s3, s27, s1
	s_ashr_i32 s1, s0, 31
	s_lshl_b64 s[0:1], s[0:1], 1
	s_add_u32 s2, s2, s0
	s_addc_u32 s3, s3, s1
	s_lshl_b32 s0, s4, 7
	s_ashr_i32 s1, s0, 31
	s_lshl_b64 s[0:1], s[0:1], 1
	s_add_u32 s0, s2, s0
	s_addc_u32 s1, s3, s1
	;;#ASMSTART
	v_cvt_f16_f32 v0, v4;

	;;#ASMEND
	global_store_short v1, v0, s[0:1]
	;;#ASMSTART
	v_cvt_f16_f32 v0, v5;

	;;#ASMEND
	global_store_short v1, v0, s[0:1] offset:128
.LBB260_182:
	s_endpgm
	.section	.rodata,"a",@progbits
	.p2align	6, 0x0
	.amdhsa_kernel _ZN4vllm25paged_attention_v2_kernelIthLi128ELi8ELi128ELNS_18Fp8KVCacheDataTypeE1ELb0ELi512EEEvPfS2_PT_PKS3_PKT0_S9_ifPKiSB_iPKfiiiSD_SD_iiiii
		.amdhsa_group_segment_fixed_size 272
		.amdhsa_private_segment_fixed_size 0
		.amdhsa_kernarg_size 400
		.amdhsa_user_sgpr_count 2
		.amdhsa_user_sgpr_dispatch_ptr 0
		.amdhsa_user_sgpr_queue_ptr 0
		.amdhsa_user_sgpr_kernarg_segment_ptr 1
		.amdhsa_user_sgpr_dispatch_id 0
		.amdhsa_user_sgpr_kernarg_preload_length 0
		.amdhsa_user_sgpr_kernarg_preload_offset 0
		.amdhsa_user_sgpr_private_segment_size 0
		.amdhsa_uses_dynamic_stack 0
		.amdhsa_enable_private_segment 0
		.amdhsa_system_sgpr_workgroup_id_x 1
		.amdhsa_system_sgpr_workgroup_id_y 1
		.amdhsa_system_sgpr_workgroup_id_z 1
		.amdhsa_system_sgpr_workgroup_info 0
		.amdhsa_system_vgpr_workitem_id 0
		.amdhsa_next_free_vgpr 51
		.amdhsa_next_free_sgpr 46
		.amdhsa_accum_offset 52
		.amdhsa_reserve_vcc 1
		.amdhsa_float_round_mode_32 0
		.amdhsa_float_round_mode_16_64 0
		.amdhsa_float_denorm_mode_32 3
		.amdhsa_float_denorm_mode_16_64 3
		.amdhsa_dx10_clamp 1
		.amdhsa_ieee_mode 1
		.amdhsa_fp16_overflow 0
		.amdhsa_tg_split 0
		.amdhsa_exception_fp_ieee_invalid_op 0
		.amdhsa_exception_fp_denorm_src 0
		.amdhsa_exception_fp_ieee_div_zero 0
		.amdhsa_exception_fp_ieee_overflow 0
		.amdhsa_exception_fp_ieee_underflow 0
		.amdhsa_exception_fp_ieee_inexact 0
		.amdhsa_exception_int_div_zero 0
	.end_amdhsa_kernel
	.section	.text._ZN4vllm25paged_attention_v2_kernelIthLi128ELi8ELi128ELNS_18Fp8KVCacheDataTypeE1ELb0ELi512EEEvPfS2_PT_PKS3_PKT0_S9_ifPKiSB_iPKfiiiSD_SD_iiiii,"axG",@progbits,_ZN4vllm25paged_attention_v2_kernelIthLi128ELi8ELi128ELNS_18Fp8KVCacheDataTypeE1ELb0ELi512EEEvPfS2_PT_PKS3_PKT0_S9_ifPKiSB_iPKfiiiSD_SD_iiiii,comdat
.Lfunc_end260:
	.size	_ZN4vllm25paged_attention_v2_kernelIthLi128ELi8ELi128ELNS_18Fp8KVCacheDataTypeE1ELb0ELi512EEEvPfS2_PT_PKS3_PKT0_S9_ifPKiSB_iPKfiiiSD_SD_iiiii, .Lfunc_end260-_ZN4vllm25paged_attention_v2_kernelIthLi128ELi8ELi128ELNS_18Fp8KVCacheDataTypeE1ELb0ELi512EEEvPfS2_PT_PKS3_PKT0_S9_ifPKiSB_iPKfiiiSD_SD_iiiii
                                        ; -- End function
	.section	.AMDGPU.csdata,"",@progbits
; Kernel info:
; codeLenInByte = 9052
; NumSgprs: 52
; NumVgprs: 51
; NumAgprs: 0
; TotalNumVgprs: 51
; ScratchSize: 0
; MemoryBound: 0
; FloatMode: 240
; IeeeMode: 1
; LDSByteSize: 272 bytes/workgroup (compile time only)
; SGPRBlocks: 6
; VGPRBlocks: 6
; NumSGPRsForWavesPerEU: 52
; NumVGPRsForWavesPerEU: 51
; AccumOffset: 52
; Occupancy: 8
; WaveLimiterHint : 1
; COMPUTE_PGM_RSRC2:SCRATCH_EN: 0
; COMPUTE_PGM_RSRC2:USER_SGPR: 2
; COMPUTE_PGM_RSRC2:TRAP_HANDLER: 0
; COMPUTE_PGM_RSRC2:TGID_X_EN: 1
; COMPUTE_PGM_RSRC2:TGID_Y_EN: 1
; COMPUTE_PGM_RSRC2:TGID_Z_EN: 1
; COMPUTE_PGM_RSRC2:TIDIG_COMP_CNT: 0
; COMPUTE_PGM_RSRC3_GFX90A:ACCUM_OFFSET: 12
; COMPUTE_PGM_RSRC3_GFX90A:TG_SPLIT: 0
	.section	.text._ZN4vllm25paged_attention_v2_kernelIthLi192ELi8ELi128ELNS_18Fp8KVCacheDataTypeE1ELb0ELi512EEEvPfS2_PT_PKS3_PKT0_S9_ifPKiSB_iPKfiiiSD_SD_iiiii,"axG",@progbits,_ZN4vllm25paged_attention_v2_kernelIthLi192ELi8ELi128ELNS_18Fp8KVCacheDataTypeE1ELb0ELi512EEEvPfS2_PT_PKS3_PKT0_S9_ifPKiSB_iPKfiiiSD_SD_iiiii,comdat
	.protected	_ZN4vllm25paged_attention_v2_kernelIthLi192ELi8ELi128ELNS_18Fp8KVCacheDataTypeE1ELb0ELi512EEEvPfS2_PT_PKS3_PKT0_S9_ifPKiSB_iPKfiiiSD_SD_iiiii ; -- Begin function _ZN4vllm25paged_attention_v2_kernelIthLi192ELi8ELi128ELNS_18Fp8KVCacheDataTypeE1ELb0ELi512EEEvPfS2_PT_PKS3_PKT0_S9_ifPKiSB_iPKfiiiSD_SD_iiiii
	.globl	_ZN4vllm25paged_attention_v2_kernelIthLi192ELi8ELi128ELNS_18Fp8KVCacheDataTypeE1ELb0ELi512EEEvPfS2_PT_PKS3_PKT0_S9_ifPKiSB_iPKfiiiSD_SD_iiiii
	.p2align	8
	.type	_ZN4vllm25paged_attention_v2_kernelIthLi192ELi8ELi128ELNS_18Fp8KVCacheDataTypeE1ELb0ELi512EEEvPfS2_PT_PKS3_PKT0_S9_ifPKiSB_iPKfiiiSD_SD_iiiii,@function
_ZN4vllm25paged_attention_v2_kernelIthLi192ELi8ELi128ELNS_18Fp8KVCacheDataTypeE1ELb0ELi512EEEvPfS2_PT_PKS3_PKT0_S9_ifPKiSB_iPKfiiiSD_SD_iiiii: ; @_ZN4vllm25paged_attention_v2_kernelIthLi192ELi8ELi128ELNS_18Fp8KVCacheDataTypeE1ELb0ELi512EEEvPfS2_PT_PKS3_PKT0_S9_ifPKiSB_iPKfiiiSD_SD_iiiii
; %bb.0:
	s_load_dwordx2 s[6:7], s[0:1], 0x40
	s_mov_b32 s34, s3
	s_ashr_i32 s35, s3, 31
	s_lshl_b64 s[8:9], s[34:35], 2
	s_waitcnt lgkmcnt(0)
	s_add_u32 s6, s6, s8
	s_addc_u32 s7, s7, s9
	s_load_dword s35, s[6:7], 0x0
	s_lshl_b32 s42, s4, 9
	s_waitcnt lgkmcnt(0)
	s_cmp_ge_i32 s42, s35
	s_cbranch_scc1 .LBB261_249
; %bb.1:
	s_load_dword s5, s[0:1], 0x90
	s_load_dwordx2 s[10:11], s[0:1], 0x30
	s_waitcnt lgkmcnt(0)
	s_abs_i32 s7, s5
	s_abs_i32 s3, s10
	v_cvt_f32_u32_e32 v1, s3
	s_sub_i32 s8, 0, s3
	s_xor_b32 s6, s5, s10
	s_ashr_i32 s6, s6, 31
	v_rcp_iflag_f32_e32 v1, v1
	s_nop 0
	v_mul_f32_e32 v1, 0x4f7ffffe, v1
	v_cvt_u32_f32_e32 v1, v1
	s_nop 0
	v_readfirstlane_b32 s9, v1
	s_mul_i32 s8, s8, s9
	s_mul_hi_u32 s8, s9, s8
	s_add_i32 s9, s9, s8
	s_mul_hi_u32 s8, s7, s9
	s_mul_i32 s9, s8, s3
	s_sub_i32 s7, s7, s9
	s_add_i32 s10, s8, 1
	s_sub_i32 s9, s7, s3
	s_cmp_ge_u32 s7, s3
	s_cselect_b32 s8, s10, s8
	s_cselect_b32 s7, s9, s7
	s_add_i32 s9, s8, 1
	s_cmp_ge_u32 s7, s3
	s_cselect_b32 s3, s9, s8
	s_xor_b32 s3, s3, s6
	s_sub_i32 s10, s3, s6
	s_abs_i32 s14, s10
	v_cvt_f32_u32_e32 v1, s14
	s_load_dwordx2 s[6:7], s[0:1], 0x50
	s_sub_i32 s3, 0, s14
	s_abs_i32 s15, s2
	v_rcp_iflag_f32_e32 v1, v1
	s_nop 0
	v_mul_f32_e32 v1, 0x4f7ffffe, v1
	v_cvt_u32_f32_e32 v1, v1
	s_nop 0
	v_readfirstlane_b32 s8, v1
	s_mul_i32 s3, s3, s8
	s_mul_hi_u32 s3, s8, s3
	s_add_i32 s8, s8, s3
	s_waitcnt lgkmcnt(0)
	s_cmp_eq_u64 s[6:7], 0
	s_mov_b32 s3, 0
	s_cbranch_scc1 .LBB261_3
; %bb.2:
	s_ashr_i32 s3, s2, 31
	s_lshl_b64 s[12:13], s[2:3], 2
	s_add_u32 s6, s6, s12
	s_addc_u32 s7, s7, s13
	s_load_dword s3, s[6:7], 0x0
.LBB261_3:
	s_load_dwordx4 s[24:27], s[0:1], 0x0
	s_load_dwordx2 s[28:29], s[0:1], 0x10
	s_load_dwordx4 s[16:19], s[0:1], 0x20
	s_load_dwordx2 s[36:37], s[0:1], 0x38
	s_load_dword s33, s[0:1], 0x98
	s_load_dwordx4 s[20:23], s[0:1], 0x58
	s_movk_i32 s6, 0xc0
	s_mul_i32 s30, s2, 0xc0
	s_mul_hi_u32 s38, s15, s8
	v_and_b32_e32 v4, 7, v0
	s_ashr_i32 s31, s30, 31
	v_cmp_gt_u32_e32 vcc, s6, v0
	s_and_saveexec_b64 s[6:7], vcc
	s_cbranch_execz .LBB261_6
; %bb.4:
	s_load_dwordx2 s[8:9], s[0:1], 0x18
	s_waitcnt lgkmcnt(0)
	s_mul_i32 s12, s34, s20
	s_ashr_i32 s13, s12, 31
	s_lshl_b64 s[12:13], s[12:13], 1
	s_lshl_b64 s[40:41], s[30:31], 1
	v_lshrrev_b32_e32 v2, 3, v0
	s_add_u32 s12, s12, s40
	v_lshlrev_b32_e32 v3, 1, v2
	s_addc_u32 s13, s13, s41
	v_mad_u32_u24 v5, v4, 48, v3
	v_lshlrev_b32_e32 v3, 1, v4
	s_add_u32 s8, s8, s12
	v_add_u32_e32 v1, -16, v2
	v_lshl_or_b32 v2, v2, 4, v3
	v_mov_b32_e32 v3, 0
	s_addc_u32 s9, s9, s13
	v_lshl_add_u64 v[2:3], s[8:9], 0, v[2:3]
	s_mov_b64 s[8:9], 0
	s_mov_b64 s[12:13], 0x100
.LBB261_5:                              ; =>This Inner Loop Header: Depth=1
	global_load_ushort v6, v[2:3], off
	v_add_u32_e32 v1, 16, v1
	v_cmp_lt_u32_e32 vcc, 7, v1
	v_lshl_add_u64 v[2:3], v[2:3], 0, s[12:13]
	s_or_b64 s[8:9], vcc, s[8:9]
	s_waitcnt vmcnt(0)
	ds_write_b16 v5, v6
	v_add_u32_e32 v5, 32, v5
	s_andn2_b64 exec, exec, s[8:9]
	s_cbranch_execnz .LBB261_5
.LBB261_6:
	s_or_b64 exec, exec, s[6:7]
	s_add_i32 s8, s35, 7
	s_ashr_i32 s9, s8, 31
	s_ashr_i32 s6, s2, 31
	;; [unrolled: 1-line block ×3, first 2 shown]
	s_lshr_b32 s9, s9, 29
	s_add_i32 s8, s8, s9
	s_lshl_b32 s10, s4, 6
	s_xor_b32 s6, s6, s7
	s_mul_i32 s7, s38, s14
	s_ashr_i32 s31, s8, 3
	s_add_i32 s8, s10, 64
	s_sub_i32 s7, s15, s7
	s_waitcnt lgkmcnt(0)
	s_min_i32 s20, s8, s31
	s_add_i32 s8, s38, 1
	s_sub_i32 s9, s7, s14
	s_cmp_ge_u32 s7, s14
	s_cselect_b32 s8, s8, s38
	s_cselect_b32 s7, s9, s7
	s_add_i32 s9, s8, 1
	s_cmp_ge_u32 s7, s14
	s_cselect_b32 s7, s9, s8
	s_load_dword s8, s[0:1], 0x48
	v_lshrrev_b32_e32 v12, 6, v0
	s_xor_b32 s7, s7, s6
	v_or_b32_e32 v2, s10, v12
	s_sub_i32 s43, s7, s6
	s_waitcnt lgkmcnt(0)
	s_mul_i32 s38, s34, s8
	s_ashr_i32 s39, s38, 31
	v_cmp_gt_i32_e64 s[8:9], s20, v2
	v_cmp_le_i32_e32 vcc, s20, v2
	v_mbcnt_lo_u32_b32 v10, -1, 0
	s_barrier
	s_waitcnt lgkmcnt(0)
                                        ; implicit-def: $sgpr23
                                        ; implicit-def: $vgpr13
                                        ; implicit-def: $vgpr14
	s_and_saveexec_b64 s[6:7], vcc
	s_xor_b64 s[6:7], exec, s[6:7]
; %bb.7:
	v_mbcnt_hi_u32_b32 v13, -1, v10
	v_and_b32_e32 v1, 64, v13
	v_add_u32_e32 v14, 64, v1
	s_mov_b32 s23, 0xff7fffff
                                        ; implicit-def: $vgpr4
                                        ; implicit-def: $vgpr10
; %bb.8:
	s_or_saveexec_b64 s[40:41], s[6:7]
	s_load_dwordx4 s[12:15], s[0:1], 0x68
	v_mov_b32_e32 v1, s23
	s_mul_i32 s43, s43, s22
	v_ashrrev_i32_e32 v3, 31, v2
	s_xor_b64 exec, exec, s[40:41]
	s_cbranch_execz .LBB261_14
; %bb.9:
	s_ashr_i32 s1, s43, 31
	v_bfe_u32 v1, v0, 3, 3
	s_add_u32 s0, s16, s43
	v_mov_b32_e32 v5, 0
	s_addc_u32 s1, s17, s1
	v_lshlrev_b32_e32 v6, 4, v1
	v_mov_b32_e32 v7, v5
	v_lshl_add_u64 v[6:7], s[0:1], 0, v[6:7]
	s_sub_i32 s45, 1, s35
	v_lshlrev_b32_e32 v8, 3, v12
	s_lshl_b64 s[0:1], s[38:39], 2
	v_add3_u32 v16, s42, v8, v1
	v_lshlrev_b32_e32 v1, 2, v1
	s_add_u32 s0, s36, s0
	v_mbcnt_hi_u32_b32 v13, -1, v10
	v_lshl_or_b32 v1, v12, 5, v1
	s_addc_u32 s1, s37, s1
	v_and_b32_e32 v10, 64, v13
	s_mov_b32 s44, s21
	v_mul_u32_u24_e32 v15, 48, v4
	v_cmp_eq_u32_e32 vcc, 0, v4
	v_cmp_neq_f32_e64 s[6:7], s3, 0
	v_add_u32_e32 v17, 0x190, v1
	v_lshl_add_u64 v[8:9], v[2:3], 2, s[0:1]
	s_mov_b64 s[16:17], 0
	v_mov_b32_e32 v1, 0xff7fffff
	v_add_u32_e32 v14, 64, v10
	v_xor_b32_e32 v18, 4, v13
	v_xor_b32_e32 v19, 2, v13
	;; [unrolled: 1-line block ×3, first 2 shown]
	v_mov_b32_e32 v21, v2
	s_branch .LBB261_11
.LBB261_10:                             ;   in Loop: Header=BB261_11 Depth=1
	s_or_b64 exec, exec, s[22:23]
	v_add_u32_e32 v21, 2, v21
	v_cmp_le_i32_e64 s[0:1], s20, v21
	v_add_u32_e32 v16, 16, v16
	v_add_u32_e32 v17, 64, v17
	s_or_b64 s[16:17], s[0:1], s[16:17]
	v_lshl_add_u64 v[8:9], v[8:9], 0, 8
	s_andn2_b64 exec, exec, s[16:17]
	s_cbranch_execz .LBB261_13
.LBB261_11:                             ; =>This Inner Loop Header: Depth=1
	global_load_dword v10, v[8:9], off
	s_waitcnt vmcnt(0) lgkmcnt(0)
	v_mad_i64_i32 v[10:11], s[0:1], v10, s44, v[6:7]
	v_lshl_add_u64 v[10:11], v[10:11], 0, v[4:5]
	global_load_ubyte v23, v[10:11], off
	global_load_ubyte v24, v[10:11], off offset:8
	s_waitcnt lgkmcnt(0)
	global_load_dword v22, v5, s[12:13]
	global_load_ubyte v25, v[10:11], off offset:128
	global_load_ubyte v26, v[10:11], off offset:136
	;; [unrolled: 1-line block ×19, first 2 shown]
	ds_read_u16 v44, v15
	global_load_ubyte v46, v[10:11], off offset:1288
	global_load_ubyte v47, v[10:11], off offset:1408
	v_cmp_lt_i32_e64 s[0:1], v18, v14
	global_load_ubyte v10, v[10:11], off offset:1416
	s_waitcnt lgkmcnt(0)
	;;#ASMSTART
	v_cvt_f32_f16 v11, v44;
	;;#ASMEND
	s_waitcnt vmcnt(24)
	v_cvt_f32_fp8_sdwa v23, v23 src0_sel:BYTE_0
	s_waitcnt vmcnt(23)
	v_cvt_f32_fp8_sdwa v24, v24 src0_sel:BYTE_0
	v_cndmask_b32_e64 v45, v13, v18, s[0:1]
	s_waitcnt vmcnt(21)
	v_cvt_f32_fp8_sdwa v25, v25 src0_sel:BYTE_0
	v_fma_mixlo_f16 v23, v22, v23, 0
	v_and_b32_e32 v23, 0xffff, v23
	v_fma_mixlo_f16 v24, v22, v24, 0
	s_waitcnt vmcnt(20)
	v_cvt_f32_fp8_sdwa v26, v26 src0_sel:BYTE_0
	;;#ASMSTART
	v_cvt_f32_f16 v23, v23;
	;;#ASMEND
	ds_read_u16 v44, v15 offset:2
	v_and_b32_e32 v24, 0xffff, v24
	s_waitcnt vmcnt(19)
	v_cvt_f32_fp8_sdwa v27, v27 src0_sel:BYTE_0
	s_waitcnt lgkmcnt(0)
	;;#ASMSTART
	v_cvt_f32_f16 v44, v44;
	;;#ASMEND
	;;#ASMSTART
	v_cvt_f32_f16 v24, v24;
	;;#ASMEND
	s_waitcnt vmcnt(18)
	v_cvt_f32_fp8_sdwa v28, v28 src0_sel:BYTE_0
	v_fma_mixlo_f16 v25, v22, v25, 0
	s_waitcnt vmcnt(17)
	v_cvt_f32_fp8_sdwa v29, v29 src0_sel:BYTE_0
	v_mul_f32_e32 v24, v44, v24
	ds_read_u16 v48, v15 offset:4
	v_and_b32_e32 v25, 0xffff, v25
	v_fma_mixlo_f16 v26, v22, v26, 0
	s_waitcnt vmcnt(16)
	v_cvt_f32_fp8_sdwa v30, v30 src0_sel:BYTE_0
	v_fmac_f32_e32 v24, v11, v23
	s_waitcnt lgkmcnt(0)
	;;#ASMSTART
	v_cvt_f32_f16 v48, v48;
	;;#ASMEND
	;;#ASMSTART
	v_cvt_f32_f16 v25, v25;
	;;#ASMEND
	ds_read_u16 v49, v15 offset:6
	v_and_b32_e32 v26, 0xffff, v26
	s_waitcnt vmcnt(15)
	v_cvt_f32_fp8_sdwa v31, v31 src0_sel:BYTE_0
	v_fma_mixlo_f16 v27, v22, v27, 0
	v_fmac_f32_e32 v24, v48, v25
	s_waitcnt lgkmcnt(0)
	;;#ASMSTART
	v_cvt_f32_f16 v49, v49;
	;;#ASMEND
	;;#ASMSTART
	v_cvt_f32_f16 v26, v26;
	;;#ASMEND
	ds_read_u16 v50, v15 offset:8
	v_and_b32_e32 v27, 0xffff, v27
	s_waitcnt vmcnt(14)
	v_cvt_f32_fp8_sdwa v32, v32 src0_sel:BYTE_0
	v_fma_mixlo_f16 v28, v22, v28, 0
	v_fmac_f32_e32 v24, v49, v26
	s_waitcnt lgkmcnt(0)
	;;#ASMSTART
	v_cvt_f32_f16 v50, v50;
	;;#ASMEND
	;;#ASMSTART
	v_cvt_f32_f16 v27, v27;
	;;#ASMEND
	ds_read_u16 v51, v15 offset:10
	s_waitcnt vmcnt(13)
	v_cvt_f32_fp8_sdwa v33, v33 src0_sel:BYTE_0
	v_and_b32_e32 v28, 0xffff, v28
	v_fma_mixlo_f16 v29, v22, v29, 0
	v_fmac_f32_e32 v24, v50, v27
	s_waitcnt lgkmcnt(0)
	;;#ASMSTART
	v_cvt_f32_f16 v51, v51;
	;;#ASMEND
	;;#ASMSTART
	v_cvt_f32_f16 v28, v28;
	;;#ASMEND
	ds_read_u16 v52, v15 offset:12
	s_waitcnt vmcnt(12)
	v_cvt_f32_fp8_sdwa v34, v34 src0_sel:BYTE_0
	v_and_b32_e32 v29, 0xffff, v29
	v_fma_mixlo_f16 v30, v22, v30, 0
	v_fmac_f32_e32 v24, v51, v28
	s_waitcnt vmcnt(11)
	v_cvt_f32_fp8_sdwa v35, v35 src0_sel:BYTE_0
	s_waitcnt lgkmcnt(0)
	;;#ASMSTART
	v_cvt_f32_f16 v52, v52;
	;;#ASMEND
	;;#ASMSTART
	v_cvt_f32_f16 v29, v29;
	;;#ASMEND
	ds_read_u16 v53, v15 offset:14
	v_and_b32_e32 v30, 0xffff, v30
	v_fma_mixlo_f16 v31, v22, v31, 0
	v_fmac_f32_e32 v24, v52, v29
	s_waitcnt vmcnt(10)
	v_cvt_f32_fp8_sdwa v36, v36 src0_sel:BYTE_0
	s_waitcnt lgkmcnt(0)
	;;#ASMSTART
	v_cvt_f32_f16 v53, v53;
	;;#ASMEND
	;;#ASMSTART
	v_cvt_f32_f16 v30, v30;
	;;#ASMEND
	ds_read_u16 v54, v15 offset:16
	;; [unrolled: 13-line block ×5, first 2 shown]
	v_and_b32_e32 v34, 0xffff, v34
	v_fma_mixlo_f16 v35, v22, v35, 0
	v_fmac_f32_e32 v24, v56, v33
	s_waitcnt vmcnt(6)
	v_cvt_f32_fp8_sdwa v40, v40 src0_sel:BYTE_0
	s_waitcnt vmcnt(5)
	v_cvt_f32_fp8_sdwa v41, v41 src0_sel:BYTE_0
	;; [unrolled: 2-line block ×6, first 2 shown]
	s_waitcnt lgkmcnt(0)
	;;#ASMSTART
	v_cvt_f32_f16 v57, v57;
	;;#ASMEND
	;;#ASMSTART
	v_cvt_f32_f16 v34, v34;
	;;#ASMEND
	ds_read_u16 v58, v15 offset:24
	s_waitcnt vmcnt(0)
	v_cvt_f32_fp8_sdwa v10, v10 src0_sel:BYTE_0
	v_fma_mixlo_f16 v36, v22, v36, 0
	v_and_b32_e32 v35, 0xffff, v35
	v_fmac_f32_e32 v24, v57, v34
	s_waitcnt lgkmcnt(0)
	;;#ASMSTART
	v_cvt_f32_f16 v58, v58;
	;;#ASMEND
	;;#ASMSTART
	v_cvt_f32_f16 v35, v35;
	;;#ASMEND
	ds_read_u16 v59, v15 offset:26
	v_fma_mixlo_f16 v37, v22, v37, 0
	v_and_b32_e32 v36, 0xffff, v36
	v_fmac_f32_e32 v24, v58, v35
	v_fma_mixlo_f16 v38, v22, v38, 0
	s_waitcnt lgkmcnt(0)
	;;#ASMSTART
	v_cvt_f32_f16 v59, v59;
	;;#ASMEND
	;;#ASMSTART
	v_cvt_f32_f16 v36, v36;
	;;#ASMEND
	ds_read_u16 v60, v15 offset:28
	v_and_b32_e32 v37, 0xffff, v37
	v_fmac_f32_e32 v24, v59, v36
	v_fma_mixlo_f16 v39, v22, v39, 0
	s_waitcnt lgkmcnt(0)
	;;#ASMSTART
	v_cvt_f32_f16 v60, v60;
	;;#ASMEND
	;;#ASMSTART
	v_cvt_f32_f16 v37, v37;
	;;#ASMEND
	ds_read_u16 v61, v15 offset:30
	v_and_b32_e32 v38, 0xffff, v38
	v_fmac_f32_e32 v24, v60, v37
	v_fma_mixlo_f16 v40, v22, v40, 0
	v_fma_mixlo_f16 v41, v22, v41, 0
	;; [unrolled: 1-line block ×6, first 2 shown]
	s_waitcnt lgkmcnt(0)
	;;#ASMSTART
	v_cvt_f32_f16 v61, v61;
	;;#ASMEND
	;;#ASMSTART
	v_cvt_f32_f16 v38, v38;
	;;#ASMEND
	ds_read_u16 v62, v15 offset:32
	v_fma_mixlo_f16 v10, v22, v10, 0
	v_and_b32_e32 v22, 0xffff, v39
	v_fmac_f32_e32 v24, v61, v38
	v_and_b32_e32 v39, 0xffff, v40
	v_and_b32_e32 v40, 0xffff, v41
	s_waitcnt lgkmcnt(0)
	;;#ASMSTART
	v_cvt_f32_f16 v41, v62;
	;;#ASMEND
	;;#ASMSTART
	v_cvt_f32_f16 v22, v22;
	;;#ASMEND
	ds_read_u16 v62, v15 offset:34
	v_fmac_f32_e32 v24, v41, v22
	s_waitcnt lgkmcnt(0)
	;;#ASMSTART
	v_cvt_f32_f16 v62, v62;
	;;#ASMEND
	;;#ASMSTART
	v_cvt_f32_f16 v39, v39;
	;;#ASMEND
	ds_read_u16 v63, v15 offset:36
	v_fmac_f32_e32 v24, v62, v39
	;; [unrolled: 9-line block ×3, first 2 shown]
	v_and_b32_e32 v42, 0xffff, v42
	s_waitcnt lgkmcnt(0)
	;;#ASMSTART
	v_cvt_f32_f16 v25, v25;
	;;#ASMEND
	;;#ASMSTART
	v_cvt_f32_f16 v26, v42;
	;;#ASMEND
	ds_read_u16 v27, v15 offset:40
	v_fmac_f32_e32 v24, v25, v26
	v_and_b32_e32 v43, 0xffff, v43
	s_waitcnt lgkmcnt(0)
	;;#ASMSTART
	v_cvt_f32_f16 v27, v27;
	;;#ASMEND
	;;#ASMSTART
	v_cvt_f32_f16 v28, v43;
	;;#ASMEND
	ds_read_u16 v29, v15 offset:42
	v_fmac_f32_e32 v24, v27, v28
	v_and_b32_e32 v46, 0xffff, v46
	s_waitcnt lgkmcnt(0)
	;;#ASMSTART
	v_cvt_f32_f16 v29, v29;
	;;#ASMEND
	;;#ASMSTART
	v_cvt_f32_f16 v30, v46;
	;;#ASMEND
	v_and_b32_e32 v47, 0xffff, v47
	v_fmac_f32_e32 v24, v29, v30
	v_and_b32_e32 v10, 0xffff, v10
	ds_read_u16 v31, v15 offset:44
	s_waitcnt lgkmcnt(0)
	;;#ASMSTART
	v_cvt_f32_f16 v11, v31;
	;;#ASMEND
	;;#ASMSTART
	v_cvt_f32_f16 v22, v47;
	;;#ASMEND
	v_lshlrev_b32_e32 v45, 2, v45
	v_fmac_f32_e32 v24, v11, v22
	ds_read_u16 v23, v15 offset:46
	s_waitcnt lgkmcnt(0)
	;;#ASMSTART
	v_cvt_f32_f16 v11, v23;
	;;#ASMEND
	;;#ASMSTART
	v_cvt_f32_f16 v10, v10;
	;;#ASMEND
	v_cmp_lt_i32_e64 s[0:1], v19, v14
	v_fmac_f32_e32 v24, v11, v10
	ds_bpermute_b32 v10, v45, v24
	v_cndmask_b32_e64 v11, v13, v19, s[0:1]
	v_lshlrev_b32_e32 v11, 2, v11
	v_cmp_lt_i32_e64 s[0:1], v20, v14
	s_waitcnt lgkmcnt(0)
	v_add_f32_e32 v10, v24, v10
	ds_bpermute_b32 v11, v11, v10
	v_cndmask_b32_e64 v22, v13, v20, s[0:1]
	s_waitcnt lgkmcnt(0)
	v_add_f32_e32 v10, v10, v11
	v_lshlrev_b32_e32 v11, 2, v22
	ds_bpermute_b32 v11, v11, v10
	s_and_saveexec_b64 s[22:23], vcc
	s_cbranch_execz .LBB261_10
; %bb.12:                               ;   in Loop: Header=BB261_11 Depth=1
	v_add_u32_e32 v22, s45, v16
	v_cvt_f32_i32_e32 v22, v22
	s_waitcnt lgkmcnt(0)
	v_add_f32_e32 v10, v10, v11
	v_cmp_gt_i32_e64 s[0:1], s35, v16
	v_max_f32_e32 v11, v1, v1
	v_mul_f32_e32 v22, s3, v22
	v_cndmask_b32_e64 v22, 0, v22, s[6:7]
	v_fmac_f32_e32 v22, s11, v10
	v_cndmask_b32_e64 v10, 0, v22, s[0:1]
	ds_write_b32 v17, v10
	v_max_f32_e32 v10, v11, v22
	v_cndmask_b32_e64 v1, v1, v10, s[0:1]
	s_branch .LBB261_10
.LBB261_13:
	s_or_b64 exec, exec, s[16:17]
.LBB261_14:
	s_or_b64 exec, exec, s[40:41]
	v_xor_b32_e32 v4, 32, v13
	v_cmp_lt_i32_e32 vcc, v4, v14
	v_xor_b32_e32 v6, 16, v13
	v_xor_b32_e32 v7, 8, v13
	v_cndmask_b32_e32 v4, v13, v4, vcc
	v_lshlrev_b32_e32 v5, 2, v4
	ds_bpermute_b32 v4, v5, v1
	v_max_f32_e32 v1, v1, v1
	v_cmp_lt_i32_e32 vcc, v6, v14
	s_waitcnt lgkmcnt(0)
	v_max_f32_e32 v4, v4, v4
	v_max_f32_e32 v1, v1, v4
	v_cndmask_b32_e32 v4, v13, v6, vcc
	v_lshlrev_b32_e32 v8, 2, v4
	ds_bpermute_b32 v4, v8, v1
	v_cmp_lt_i32_e32 vcc, v7, v14
	s_waitcnt lgkmcnt(0)
	v_max_f32_e32 v4, v4, v4
	v_max_f32_e32 v6, v1, v4
	v_cndmask_b32_e32 v1, v13, v7, vcc
	v_lshlrev_b32_e32 v9, 2, v1
	ds_bpermute_b32 v7, v9, v6
	v_and_b32_e32 v1, 63, v0
	v_cmp_eq_u32_e32 vcc, 0, v1
	v_lshlrev_b32_e32 v4, 2, v12
	s_and_saveexec_b64 s[0:1], vcc
	s_cbranch_execz .LBB261_16
; %bb.15:
	s_waitcnt lgkmcnt(0)
	v_max_f32_e32 v7, v7, v7
	v_max_f32_e32 v6, v6, v6
	;; [unrolled: 1-line block ×3, first 2 shown]
	ds_write_b32 v4, v6 offset:384
.LBB261_16:
	s_or_b64 exec, exec, s[0:1]
	v_cmp_gt_u32_e64 s[0:1], 2, v1
	v_mov_b32_e32 v6, 0xff7fffff
	s_waitcnt lgkmcnt(0)
	v_lshlrev_b32_e32 v7, 2, v1
	s_barrier
	s_and_saveexec_b64 s[6:7], s[0:1]
	s_cbranch_execz .LBB261_18
; %bb.17:
	ds_read_b32 v6, v7 offset:384
.LBB261_18:
	s_or_b64 exec, exec, s[6:7]
	v_xor_b32_e32 v10, 1, v13
	v_cmp_lt_i32_e64 s[6:7], v10, v14
	s_sub_i32 s3, s20, s10
	s_lshl_b32 s3, s3, 3
	v_cndmask_b32_e64 v10, v13, v10, s[6:7]
	v_lshlrev_b32_e32 v10, 2, v10
	s_waitcnt lgkmcnt(0)
	ds_bpermute_b32 v11, v10, v6
	v_max_f32_e32 v6, v6, v6
	s_add_i32 s3, s3, s42
	s_min_i32 s22, s3, s35
	s_sub_i32 s3, s22, s42
	s_waitcnt lgkmcnt(0)
	v_max_f32_e32 v11, v11, v11
	v_max_f32_e32 v6, v6, v11
	v_lshlrev_b32_e32 v11, 2, v13
	v_and_b32_e32 v11, 0xffffff00, v11
	ds_bpermute_b32 v6, v11, v6
	v_cmp_gt_i32_e64 s[6:7], s3, v0
	v_mov_b32_e32 v15, 0
	s_and_saveexec_b64 s[12:13], s[6:7]
	s_cbranch_execz .LBB261_22
; %bb.19:
	v_mov_b32_e32 v15, 0x190
	v_lshl_add_u32 v16, v0, 2, v15
	s_mov_b64 s[16:17], 0
	v_mov_b32_e32 v15, 0
	v_mov_b32_e32 v17, v0
.LBB261_20:                             ; =>This Inner Loop Header: Depth=1
	ds_read_b32 v18, v16
	v_add_u32_e32 v17, 0x80, v17
	v_cmp_le_i32_e64 s[10:11], s3, v17
	s_or_b64 s[16:17], s[10:11], s[16:17]
	s_waitcnt lgkmcnt(0)
	v_sub_f32_e32 v18, v18, v6
	v_mul_f32_e32 v18, 0x3fb8aa3b, v18
	v_exp_f32_e32 v18, v18
	ds_write_b32 v16, v18
	v_add_f32_e32 v15, v15, v18
	v_add_u32_e32 v16, 0x200, v16
	s_andn2_b64 exec, exec, s[16:17]
	s_cbranch_execnz .LBB261_20
; %bb.21:
	s_or_b64 exec, exec, s[16:17]
.LBB261_22:
	s_or_b64 exec, exec, s[12:13]
	ds_bpermute_b32 v5, v5, v15
	s_waitcnt lgkmcnt(0)
	v_add_f32_e32 v5, v15, v5
	ds_bpermute_b32 v8, v8, v5
	s_waitcnt lgkmcnt(0)
	v_add_f32_e32 v5, v5, v8
	ds_bpermute_b32 v8, v9, v5
	v_xor_b32_e32 v9, 4, v13
	v_cmp_lt_i32_e64 s[10:11], v9, v14
	s_waitcnt lgkmcnt(0)
	v_add_f32_e32 v5, v5, v8
	v_cndmask_b32_e64 v9, v13, v9, s[10:11]
	v_lshlrev_b32_e32 v9, 2, v9
	ds_bpermute_b32 v8, v9, v5
	v_xor_b32_e32 v9, 2, v13
	v_cmp_lt_i32_e64 s[10:11], v9, v14
	s_waitcnt lgkmcnt(0)
	v_add_f32_e32 v5, v5, v8
	v_cndmask_b32_e64 v9, v13, v9, s[10:11]
	v_lshlrev_b32_e32 v8, 2, v9
	ds_bpermute_b32 v8, v8, v5
	s_waitcnt lgkmcnt(0)
	v_add_f32_e32 v5, v5, v8
	ds_bpermute_b32 v8, v10, v5
	s_waitcnt lgkmcnt(0)
	v_add_f32_e32 v5, v5, v8
	s_and_saveexec_b64 s[10:11], vcc
	s_cbranch_execz .LBB261_24
; %bb.23:
	ds_write_b32 v4, v5 offset:392
.LBB261_24:
	s_or_b64 exec, exec, s[10:11]
	s_waitcnt lgkmcnt(0)
	s_barrier
	s_and_saveexec_b64 s[10:11], s[0:1]
	s_cbranch_execz .LBB261_26
; %bb.25:
	ds_read_b32 v5, v7 offset:392
.LBB261_26:
	s_or_b64 exec, exec, s[10:11]
	s_waitcnt lgkmcnt(0)
	ds_bpermute_b32 v4, v10, v5
	s_waitcnt lgkmcnt(0)
	v_add_f32_e32 v4, v5, v4
	ds_bpermute_b32 v7, v11, v4
	s_and_saveexec_b64 s[0:1], s[6:7]
	s_cbranch_execz .LBB261_39
; %bb.27:
	s_waitcnt lgkmcnt(0)
	v_add_f32_e32 v4, 0x358637bd, v7
	v_div_scale_f32 v5, s[6:7], v4, v4, 1.0
	v_rcp_f32_e32 v8, v5
	v_div_scale_f32 v9, vcc, 1.0, v4, 1.0
	s_movk_i32 s6, 0x7f
	v_fma_f32 v10, -v5, v8, 1.0
	v_fmac_f32_e32 v8, v10, v8
	v_mul_f32_e32 v10, v9, v8
	v_fma_f32 v11, -v5, v10, v9
	v_fmac_f32_e32 v10, v11, v8
	v_fma_f32 v5, -v5, v10, v9
	v_div_fmas_f32 v5, v5, v8, v10
	v_div_fixup_f32 v4, v5, v4, 1.0
	v_xad_u32 v5, v0, -1, s22
	v_subrev_u32_e32 v8, s42, v5
	v_cmp_lt_u32_e32 vcc, s6, v8
	s_mov_b64 s[10:11], -1
	v_mov_b32_e32 v5, v0
	s_and_saveexec_b64 s[6:7], vcc
	s_cbranch_execz .LBB261_36
; %bb.28:
	v_lshrrev_b32_e32 v8, 7, v8
	v_add_u32_e32 v10, -1, v8
	v_lshrrev_b32_e32 v9, 1, v10
	v_mov_b32_e32 v5, v4
	v_add_u32_e32 v9, 1, v9
	v_cmp_lt_u32_e32 vcc, 13, v10
	v_mov_b32_e32 v13, 0
	s_and_saveexec_b64 s[10:11], vcc
	s_cbranch_execz .LBB261_32
; %bb.29:
	v_mov_b32_e32 v11, 0x190
	v_and_b32_e32 v10, -8, v9
	v_lshl_add_u32 v11, v0, 2, v11
	s_mov_b32 s16, 0
	s_mov_b64 s[12:13], 0
.LBB261_30:                             ; =>This Inner Loop Header: Depth=1
	ds_read2st64_b32 v[14:15], v11 offset1:2
	ds_read2st64_b32 v[16:17], v11 offset0:4 offset1:6
	ds_read2st64_b32 v[18:19], v11 offset0:8 offset1:10
	;; [unrolled: 1-line block ×3, first 2 shown]
	v_add_u32_e32 v10, -8, v10
	s_waitcnt lgkmcnt(3)
	v_pk_mul_f32 v[14:15], v[4:5], v[14:15]
	s_waitcnt lgkmcnt(2)
	v_pk_mul_f32 v[16:17], v[4:5], v[16:17]
	ds_write2st64_b32 v11, v14, v15 offset1:2
	ds_write2st64_b32 v11, v16, v17 offset0:4 offset1:6
	ds_read2st64_b32 v[16:17], v11 offset0:16 offset1:18
	s_waitcnt lgkmcnt(4)
	v_pk_mul_f32 v[14:15], v[4:5], v[18:19]
	ds_write2st64_b32 v11, v14, v15 offset0:8 offset1:10
	s_waitcnt lgkmcnt(4)
	v_pk_mul_f32 v[14:15], v[4:5], v[20:21]
	ds_write2st64_b32 v11, v14, v15 offset0:12 offset1:14
	ds_read2st64_b32 v[14:15], v11 offset0:20 offset1:22
	s_waitcnt lgkmcnt(3)
	v_pk_mul_f32 v[16:17], v[4:5], v[16:17]
	ds_read2st64_b32 v[18:19], v11 offset0:24 offset1:26
	ds_write2st64_b32 v11, v16, v17 offset0:16 offset1:18
	ds_read2st64_b32 v[16:17], v11 offset0:28 offset1:30
	s_waitcnt lgkmcnt(3)
	v_pk_mul_f32 v[14:15], v[4:5], v[14:15]
	ds_write2st64_b32 v11, v14, v15 offset0:20 offset1:22
	s_waitcnt lgkmcnt(3)
	v_pk_mul_f32 v[14:15], v[4:5], v[18:19]
	ds_write2st64_b32 v11, v14, v15 offset0:24 offset1:26
	s_waitcnt lgkmcnt(2)
	v_pk_mul_f32 v[14:15], v[4:5], v[16:17]
	s_add_i32 s16, s16, 16
	v_cmp_eq_u32_e32 vcc, 0, v10
	ds_write2st64_b32 v11, v14, v15 offset0:28 offset1:30
	v_add_u32_e32 v11, 0x2000, v11
	s_or_b64 s[12:13], vcc, s[12:13]
	v_mov_b32_e32 v13, s16
	s_andn2_b64 exec, exec, s[12:13]
	s_cbranch_execnz .LBB261_30
; %bb.31:
	s_or_b64 exec, exec, s[12:13]
.LBB261_32:
	s_or_b64 exec, exec, s[10:11]
	v_and_b32_e32 v9, 7, v9
	v_cmp_ne_u32_e32 vcc, 0, v9
	s_and_saveexec_b64 s[10:11], vcc
	s_cbranch_execz .LBB261_35
; %bb.33:
	v_lshlrev_b32_e32 v10, 9, v13
	v_lshlrev_b32_e32 v11, 2, v0
	s_movk_i32 s12, 0x190
	v_add3_u32 v10, v10, v11, s12
	s_mov_b64 s[12:13], 0
.LBB261_34:                             ; =>This Inner Loop Header: Depth=1
	ds_read2st64_b32 v[14:15], v10 offset1:2
	v_add_u32_e32 v9, -1, v9
	v_cmp_eq_u32_e32 vcc, 0, v9
	s_or_b64 s[12:13], vcc, s[12:13]
	s_waitcnt lgkmcnt(0)
	v_pk_mul_f32 v[14:15], v[4:5], v[14:15]
	ds_write2st64_b32 v10, v14, v15 offset1:2
	v_add_u32_e32 v10, 0x400, v10
	s_andn2_b64 exec, exec, s[12:13]
	s_cbranch_execnz .LBB261_34
.LBB261_35:
	s_or_b64 exec, exec, s[10:11]
	v_add_u32_e32 v8, 1, v8
	v_and_b32_e32 v9, 0x3fffffe, v8
	v_cmp_ne_u32_e32 vcc, v8, v9
	v_lshl_add_u32 v5, v9, 7, v0
	s_orn2_b64 s[10:11], vcc, exec
.LBB261_36:
	s_or_b64 exec, exec, s[6:7]
	s_and_b64 exec, exec, s[10:11]
	s_cbranch_execz .LBB261_39
; %bb.37:
	v_mov_b32_e32 v8, 0x190
	v_lshl_add_u32 v8, v5, 2, v8
	s_mov_b64 s[6:7], 0
.LBB261_38:                             ; =>This Inner Loop Header: Depth=1
	ds_read_b32 v9, v8
	v_add_u32_e32 v5, 0x80, v5
	v_cmp_le_i32_e32 vcc, s3, v5
	s_or_b64 s[6:7], vcc, s[6:7]
	s_waitcnt lgkmcnt(0)
	v_mul_f32_e32 v9, v4, v9
	ds_write_b32 v8, v9
	v_add_u32_e32 v8, 0x200, v8
	s_andn2_b64 exec, exec, s[6:7]
	s_cbranch_execnz .LBB261_38
.LBB261_39:
	s_or_b64 exec, exec, s[0:1]
	s_mul_i32 s0, s33, s34
	v_cmp_eq_u32_e32 vcc, 0, v0
	s_mul_i32 s6, s0, s5
	s_waitcnt lgkmcnt(0)
	s_barrier
	s_and_saveexec_b64 s[0:1], vcc
	s_cbranch_execz .LBB261_41
; %bb.40:
	s_ashr_i32 s7, s6, 31
	s_lshl_b64 s[10:11], s[6:7], 2
	s_add_u32 s5, s26, s10
	s_mul_i32 s2, s33, s2
	s_addc_u32 s7, s27, s11
	s_ashr_i32 s3, s2, 31
	s_lshl_b64 s[2:3], s[2:3], 2
	s_add_u32 s16, s5, s2
	s_addc_u32 s7, s7, s3
	s_ashr_i32 s5, s4, 31
	s_lshl_b64 s[12:13], s[4:5], 2
	s_add_u32 s16, s16, s12
	s_addc_u32 s17, s7, s13
	s_add_u32 s5, s24, s10
	s_addc_u32 s7, s25, s11
	;; [unrolled: 2-line block ×3, first 2 shown]
	s_add_u32 s2, s2, s12
	v_mov_b32_e32 v4, 0
	s_addc_u32 s3, s3, s13
	global_store_dword v4, v6, s[16:17]
	global_store_dword v4, v7, s[2:3]
.LBB261_41:
	s_or_b64 exec, exec, s[0:1]
	v_mov_b32_e32 v15, 0
	v_mov_b32_e32 v5, 0
	;; [unrolled: 1-line block ×3, first 2 shown]
	s_and_saveexec_b64 s[2:3], s[8:9]
	s_cbranch_execz .LBB261_243
; %bb.42:
	s_ashr_i32 s1, s43, 31
	s_add_u32 s0, s18, s43
	s_addc_u32 s1, s19, s1
	v_lshlrev_b32_e32 v6, 3, v1
	v_mov_b32_e32 v7, 0
	s_add_i32 s7, s31, -1
	v_lshl_add_u64 v[8:9], s[0:1], 0, v[6:7]
	s_lshl_b64 s[0:1], s[38:39], 2
	s_add_u32 s0, s36, s0
	v_mov_b32_e32 v4, 0x190
	s_addc_u32 s1, s37, s1
	s_mov_b32 s5, s21
	s_mov_b32 s18, s35
	v_lshl_add_u32 v22, v12, 3, s42
	v_lshl_add_u32 v23, v12, 5, v4
	v_lshl_add_u64 v[10:11], v[2:3], 2, s[0:1]
	s_mov_b64 s[8:9], 0
	s_movk_i32 s19, 0x7f
	s_movk_i32 s21, 0x80
	s_mov_b32 s22, 0x8000
	s_movk_i32 s23, 0x380
	s_mov_b32 s24, 0x3020706
	s_mov_b32 s25, 0x1000504
	;; [unrolled: 1-line block ×3, first 2 shown]
	v_mov_b32_e32 v3, 0x1c00
	v_mov_b32_e32 v4, 0
	;; [unrolled: 1-line block ×4, first 2 shown]
	s_branch .LBB261_44
.LBB261_43:                             ;   in Loop: Header=BB261_44 Depth=1
	s_or_b64 exec, exec, s[0:1]
	;;#ASMSTART
	v_pk_mul_f16 v12, v31, v12;

	;;#ASMEND
	;;#ASMSTART
	v_pk_mul_f16 v6, v32, v6;

	;;#ASMEND
	;; [unrolled: 4-line block ×4, first 2 shown]
	v_add_f32_e32 v16, v35, v36
	;;#ASMSTART
	v_pk_add_f16 v6, v12, v6;

	;;#ASMEND
	v_add_u32_e32 v2, 2, v2
	;;#ASMSTART
	v_pk_add_f16 v6, v6, v13;

	;;#ASMEND
	v_add_f32_e32 v4, v4, v16
	;;#ASMSTART
	v_pk_add_f16 v6, v6, v14;

	;;#ASMEND
	v_add_f32_e32 v16, v20, v21
	v_lshrrev_b32_e32 v12, 16, v6
	v_and_b32_e32 v6, 0xffff, v6
	;;#ASMSTART
	v_cvt_f32_f16 v6, v6;
	;;#ASMEND
	;;#ASMSTART
	v_cvt_f32_f16 v12, v12;
	;;#ASMEND
	v_cmp_le_i32_e32 vcc, s20, v2
	v_add_f32_e32 v6, v6, v12
	v_add_f32_e32 v5, v5, v16
	;; [unrolled: 1-line block ×3, first 2 shown]
	v_add_u32_e32 v22, 16, v22
	v_add_u32_e32 v23, 64, v23
	s_or_b64 s[8:9], vcc, s[8:9]
	v_lshl_add_u64 v[10:11], v[10:11], 0, 8
	s_andn2_b64 exec, exec, s[8:9]
	s_cbranch_execz .LBB261_242
.LBB261_44:                             ; =>This Inner Loop Header: Depth=1
	ds_read2_b64 v[16:19], v23 offset1:1
	ds_read2_b64 v[24:27], v23 offset0:2 offset1:3
                                        ; implicit-def: $sgpr16
	s_waitcnt lgkmcnt(1)
	;;#ASMSTART
	v_cvt_f16_f32 v31, v16;

	;;#ASMEND
	;;#ASMSTART
	v_cvt_f16_f32 v32, v17;

	;;#ASMEND
	;; [unrolled: 4-line block ×4, first 2 shown]
	s_waitcnt lgkmcnt(0)
	;;#ASMSTART
	v_cvt_f16_f32 v35, v24;

	;;#ASMEND
	;;#ASMSTART
	v_cvt_f16_f32 v36, v25;

	;;#ASMEND
	;;#ASMSTART
	v_cvt_f16_f32 v37, v26;

	;;#ASMEND
	;;#ASMSTART
	v_cvt_f16_f32 v38, v27;

	;;#ASMEND
	global_load_dword v6, v[10:11], off
	s_waitcnt vmcnt(0)
	v_mad_i64_i32 v[12:13], s[0:1], v6, s5, v[8:9]
	global_load_dwordx2 v[16:17], v[12:13], off
	global_load_dword v14, v7, s[14:15]
	s_mov_b64 s[0:1], 0
	s_waitcnt vmcnt(1)
	v_cmp_gt_i16_sdwa s[10:11], v16, s19 src0_sel:BYTE_0 src1_sel:DWORD
	s_and_saveexec_b64 s[12:13], s[10:11]
	s_xor_b64 s[10:11], exec, s[12:13]
	s_cbranch_execnz .LBB261_146
; %bb.45:                               ;   in Loop: Header=BB261_44 Depth=1
	s_or_saveexec_b64 s[10:11], s[10:11]
	v_mov_b32_e32 v18, s16
	s_xor_b64 exec, exec, s[10:11]
	s_cbranch_execnz .LBB261_149
.LBB261_46:                             ;   in Loop: Header=BB261_44 Depth=1
	s_or_b64 exec, exec, s[10:11]
	s_and_saveexec_b64 s[10:11], s[0:1]
	s_cbranch_execz .LBB261_48
.LBB261_47:                             ;   in Loop: Header=BB261_44 Depth=1
	v_and_b32_e32 v6, 7, v16
	v_ffbh_u32_e32 v6, v6
	v_bfe_u32 v18, v16, 3, 4
	v_min_u32_e32 v6, 32, v6
	v_subrev_u32_e32 v19, 28, v6
	v_sub_u32_e32 v6, 29, v6
	v_cmp_eq_u32_e32 vcc, 0, v18
	s_nop 1
	v_cndmask_b32_e32 v6, v18, v6, vcc
	v_cndmask_b32_e32 v18, 0, v19, vcc
	v_lshlrev_b64 v[18:19], v18, v[16:17]
	v_lshlrev_b32_e32 v19, 8, v16
	v_lshl_add_u32 v6, v6, 10, v3
	v_lshlrev_b32_e32 v18, 7, v18
	v_and_or_b32 v6, v19, s22, v6
	v_and_or_b32 v6, v18, s23, v6
	v_cvt_f32_f16_e32 v18, v6
.LBB261_48:                             ;   in Loop: Header=BB261_44 Depth=1
	s_or_b64 exec, exec, s[10:11]
	v_lshrrev_b16_e32 v6, 8, v16
	v_cmp_lt_i16_e32 vcc, s19, v6
	s_mov_b64 s[0:1], 0
                                        ; implicit-def: $sgpr16
	s_and_saveexec_b64 s[10:11], vcc
	s_xor_b64 s[10:11], exec, s[10:11]
	s_cbranch_execnz .LBB261_150
; %bb.49:                               ;   in Loop: Header=BB261_44 Depth=1
	s_or_saveexec_b64 s[10:11], s[10:11]
	v_mov_b32_e32 v20, s16
	s_xor_b64 exec, exec, s[10:11]
	s_cbranch_execnz .LBB261_153
.LBB261_50:                             ;   in Loop: Header=BB261_44 Depth=1
	s_or_b64 exec, exec, s[10:11]
	s_and_saveexec_b64 s[10:11], s[0:1]
	s_cbranch_execz .LBB261_52
.LBB261_51:                             ;   in Loop: Header=BB261_44 Depth=1
	v_and_b32_e32 v19, 7, v6
	v_ffbh_u32_e32 v20, v19
	v_min_u32_e32 v25, 32, v20
	v_subrev_u32_e32 v20, 28, v25
	v_bfe_u32 v24, v6, 3, 4
	v_lshlrev_b64 v[20:21], v20, v[6:7]
	v_sub_u32_e32 v21, 29, v25
	v_cmp_eq_u32_e32 vcc, 0, v24
	v_and_b32_e32 v20, 7, v20
	v_lshlrev_b32_e32 v6, 8, v6
	v_cndmask_b32_e32 v21, v24, v21, vcc
	v_cndmask_b32_e32 v19, v19, v20, vcc
	v_lshl_add_u32 v20, v21, 10, v3
	v_and_or_b32 v6, v6, s22, v20
	v_lshl_or_b32 v6, v19, 7, v6
	v_cvt_f32_f16_e32 v20, v6
.LBB261_52:                             ;   in Loop: Header=BB261_44 Depth=1
	s_or_b64 exec, exec, s[10:11]
	v_lshrrev_b32_e32 v6, 16, v16
	v_cmp_gt_i16_sdwa s[10:11], v6, s19 src0_sel:BYTE_0 src1_sel:DWORD
	s_mov_b64 s[0:1], 0
                                        ; implicit-def: $sgpr16
	s_and_saveexec_b64 s[12:13], s[10:11]
	s_xor_b64 s[10:11], exec, s[12:13]
	s_cbranch_execnz .LBB261_154
; %bb.53:                               ;   in Loop: Header=BB261_44 Depth=1
	s_or_saveexec_b64 s[10:11], s[10:11]
	v_mov_b32_e32 v19, s16
	s_xor_b64 exec, exec, s[10:11]
	s_cbranch_execnz .LBB261_157
.LBB261_54:                             ;   in Loop: Header=BB261_44 Depth=1
	s_or_b64 exec, exec, s[10:11]
	s_and_saveexec_b64 s[10:11], s[0:1]
	s_cbranch_execz .LBB261_56
.LBB261_55:                             ;   in Loop: Header=BB261_44 Depth=1
	v_bfe_u32 v19, v16, 16, 3
	v_ffbh_u32_e32 v24, v19
	v_min_u32_e32 v26, 32, v24
	v_subrev_u32_e32 v24, 28, v26
	v_bfe_u32 v21, v16, 19, 4
	v_lshlrev_b64 v[24:25], v24, v[6:7]
	v_sub_u32_e32 v25, 29, v26
	v_cmp_eq_u32_e32 vcc, 0, v21
	v_and_b32_e32 v24, 7, v24
	v_lshlrev_b32_e32 v6, 8, v6
	v_cndmask_b32_e32 v21, v21, v25, vcc
	v_lshl_add_u32 v21, v21, 10, v3
	v_cndmask_b32_e32 v19, v19, v24, vcc
	v_and_or_b32 v6, v6, s22, v21
	v_lshl_or_b32 v6, v19, 7, v6
	v_cvt_f32_f16_e32 v19, v6
.LBB261_56:                             ;   in Loop: Header=BB261_44 Depth=1
	s_or_b64 exec, exec, s[10:11]
	v_lshrrev_b32_e32 v6, 24, v16
	v_cmp_lt_i16_e32 vcc, s19, v6
	s_mov_b64 s[0:1], 0
                                        ; implicit-def: $sgpr16
	s_and_saveexec_b64 s[10:11], vcc
	s_xor_b64 s[10:11], exec, s[10:11]
	s_cbranch_execnz .LBB261_158
; %bb.57:                               ;   in Loop: Header=BB261_44 Depth=1
	s_or_saveexec_b64 s[10:11], s[10:11]
	v_mov_b32_e32 v21, s16
	s_xor_b64 exec, exec, s[10:11]
	s_cbranch_execnz .LBB261_161
.LBB261_58:                             ;   in Loop: Header=BB261_44 Depth=1
	s_or_b64 exec, exec, s[10:11]
	s_and_saveexec_b64 s[10:11], s[0:1]
	s_cbranch_execz .LBB261_60
.LBB261_59:                             ;   in Loop: Header=BB261_44 Depth=1
	v_bfe_u32 v21, v16, 24, 3
	v_ffbh_u32_e32 v24, v21
	v_min_u32_e32 v26, 32, v24
	v_subrev_u32_e32 v24, 28, v26
	v_bfe_u32 v16, v16, 27, 4
	v_lshlrev_b64 v[24:25], v24, v[6:7]
	v_sub_u32_e32 v25, 29, v26
	v_cmp_eq_u32_e32 vcc, 0, v16
	v_and_b32_e32 v24, 7, v24
	v_lshlrev_b32_e32 v6, 8, v6
	v_cndmask_b32_e32 v16, v16, v25, vcc
	v_lshl_add_u32 v16, v16, 10, v3
	v_cndmask_b32_e32 v21, v21, v24, vcc
	v_and_or_b32 v6, v6, s22, v16
	v_lshl_or_b32 v6, v21, 7, v6
	v_cvt_f32_f16_e32 v21, v6
.LBB261_60:                             ;   in Loop: Header=BB261_44 Depth=1
	s_or_b64 exec, exec, s[10:11]
	v_cmp_gt_i16_sdwa s[10:11], v17, s19 src0_sel:BYTE_0 src1_sel:DWORD
	s_mov_b64 s[0:1], 0
                                        ; implicit-def: $sgpr16
	s_and_saveexec_b64 s[12:13], s[10:11]
	s_xor_b64 s[10:11], exec, s[12:13]
	s_cbranch_execnz .LBB261_162
; %bb.61:                               ;   in Loop: Header=BB261_44 Depth=1
	s_or_saveexec_b64 s[10:11], s[10:11]
	v_mov_b32_e32 v16, s16
	s_xor_b64 exec, exec, s[10:11]
	s_cbranch_execnz .LBB261_165
.LBB261_62:                             ;   in Loop: Header=BB261_44 Depth=1
	s_or_b64 exec, exec, s[10:11]
	v_mov_b32_e32 v6, v17
	s_and_saveexec_b64 s[10:11], s[0:1]
	s_cbranch_execz .LBB261_64
.LBB261_63:                             ;   in Loop: Header=BB261_44 Depth=1
	v_and_b32_e32 v16, 7, v17
	v_ffbh_u32_e32 v16, v16
	v_bfe_u32 v24, v17, 3, 4
	v_min_u32_e32 v16, 32, v16
	v_subrev_u32_e32 v25, 28, v16
	v_sub_u32_e32 v16, 29, v16
	v_cmp_eq_u32_e32 vcc, 0, v24
	s_nop 1
	v_cndmask_b32_e32 v16, v24, v16, vcc
	v_cndmask_b32_e32 v24, 0, v25, vcc
	v_lshlrev_b64 v[24:25], v24, v[6:7]
	v_lshlrev_b32_e32 v25, 8, v17
	v_lshl_add_u32 v16, v16, 10, v3
	v_lshlrev_b32_e32 v24, 7, v24
	v_and_or_b32 v16, v25, s22, v16
	v_and_or_b32 v16, v24, s23, v16
	v_cvt_f32_f16_e32 v16, v16
.LBB261_64:                             ;   in Loop: Header=BB261_44 Depth=1
	s_or_b64 exec, exec, s[10:11]
	v_lshrrev_b16_e32 v6, 8, v6
	v_cmp_lt_i16_e32 vcc, s19, v6
	s_mov_b64 s[0:1], 0
                                        ; implicit-def: $sgpr16
	s_and_saveexec_b64 s[10:11], vcc
	s_xor_b64 s[10:11], exec, s[10:11]
	s_cbranch_execnz .LBB261_166
; %bb.65:                               ;   in Loop: Header=BB261_44 Depth=1
	s_or_saveexec_b64 s[10:11], s[10:11]
	v_mov_b32_e32 v24, s16
	s_xor_b64 exec, exec, s[10:11]
	s_cbranch_execnz .LBB261_169
.LBB261_66:                             ;   in Loop: Header=BB261_44 Depth=1
	s_or_b64 exec, exec, s[10:11]
	s_and_saveexec_b64 s[10:11], s[0:1]
	s_cbranch_execz .LBB261_68
.LBB261_67:                             ;   in Loop: Header=BB261_44 Depth=1
	v_and_b32_e32 v26, 7, v6
	v_ffbh_u32_e32 v24, v26
	v_min_u32_e32 v28, 32, v24
	v_subrev_u32_e32 v24, 28, v28
	v_bfe_u32 v27, v6, 3, 4
	v_lshlrev_b64 v[24:25], v24, v[6:7]
	v_sub_u32_e32 v25, 29, v28
	v_cmp_eq_u32_e32 vcc, 0, v27
	v_and_b32_e32 v24, 7, v24
	v_lshlrev_b32_e32 v6, 8, v6
	v_cndmask_b32_e32 v25, v27, v25, vcc
	v_lshl_add_u32 v25, v25, 10, v3
	v_cndmask_b32_e32 v24, v26, v24, vcc
	v_and_or_b32 v6, v6, s22, v25
	v_lshl_or_b32 v6, v24, 7, v6
	v_cvt_f32_f16_e32 v24, v6
.LBB261_68:                             ;   in Loop: Header=BB261_44 Depth=1
	s_or_b64 exec, exec, s[10:11]
	v_lshrrev_b32_e32 v6, 16, v17
	v_cmp_gt_i16_sdwa s[10:11], v6, s19 src0_sel:BYTE_0 src1_sel:DWORD
	s_mov_b64 s[0:1], 0
                                        ; implicit-def: $sgpr16
	s_and_saveexec_b64 s[12:13], s[10:11]
	s_xor_b64 s[10:11], exec, s[12:13]
	s_cbranch_execnz .LBB261_170
; %bb.69:                               ;   in Loop: Header=BB261_44 Depth=1
	s_or_saveexec_b64 s[10:11], s[10:11]
	v_mov_b32_e32 v25, s16
	s_xor_b64 exec, exec, s[10:11]
	s_cbranch_execnz .LBB261_173
.LBB261_70:                             ;   in Loop: Header=BB261_44 Depth=1
	s_or_b64 exec, exec, s[10:11]
	s_and_saveexec_b64 s[10:11], s[0:1]
	s_cbranch_execz .LBB261_72
.LBB261_71:                             ;   in Loop: Header=BB261_44 Depth=1
	v_bfe_u32 v25, v17, 16, 3
	v_ffbh_u32_e32 v26, v25
	v_min_u32_e32 v29, 32, v26
	v_subrev_u32_e32 v26, 28, v29
	v_bfe_u32 v28, v17, 19, 4
	v_lshlrev_b64 v[26:27], v26, v[6:7]
	v_sub_u32_e32 v27, 29, v29
	v_cmp_eq_u32_e32 vcc, 0, v28
	v_and_b32_e32 v26, 7, v26
	v_lshlrev_b32_e32 v6, 8, v6
	v_cndmask_b32_e32 v27, v28, v27, vcc
	v_cndmask_b32_e32 v25, v25, v26, vcc
	v_lshl_add_u32 v26, v27, 10, v3
	v_and_or_b32 v6, v6, s22, v26
	v_lshl_or_b32 v6, v25, 7, v6
	v_cvt_f32_f16_e32 v25, v6
.LBB261_72:                             ;   in Loop: Header=BB261_44 Depth=1
	s_or_b64 exec, exec, s[10:11]
	v_lshrrev_b32_e32 v6, 24, v17
	v_cmp_lt_i16_e32 vcc, s19, v6
	s_mov_b64 s[0:1], 0
                                        ; implicit-def: $sgpr16
	s_and_saveexec_b64 s[10:11], vcc
	s_xor_b64 s[10:11], exec, s[10:11]
	s_cbranch_execnz .LBB261_174
; %bb.73:                               ;   in Loop: Header=BB261_44 Depth=1
	s_or_saveexec_b64 s[10:11], s[10:11]
	v_mov_b32_e32 v26, s16
	s_xor_b64 exec, exec, s[10:11]
	s_cbranch_execnz .LBB261_177
.LBB261_74:                             ;   in Loop: Header=BB261_44 Depth=1
	s_or_b64 exec, exec, s[10:11]
	s_and_saveexec_b64 s[10:11], s[0:1]
	s_cbranch_execz .LBB261_76
.LBB261_75:                             ;   in Loop: Header=BB261_44 Depth=1
	v_bfe_u32 v28, v17, 24, 3
	v_ffbh_u32_e32 v26, v28
	v_min_u32_e32 v29, 32, v26
	v_subrev_u32_e32 v26, 28, v29
	v_bfe_u32 v17, v17, 27, 4
	v_lshlrev_b64 v[26:27], v26, v[6:7]
	v_sub_u32_e32 v27, 29, v29
	v_cmp_eq_u32_e32 vcc, 0, v17
	v_and_b32_e32 v26, 7, v26
	v_lshlrev_b32_e32 v6, 8, v6
	v_cndmask_b32_e32 v17, v17, v27, vcc
	v_lshl_add_u32 v17, v17, 10, v3
	v_cndmask_b32_e32 v26, v28, v26, vcc
	v_and_or_b32 v6, v6, s22, v17
	v_lshl_or_b32 v6, v26, 7, v6
	v_cvt_f32_f16_e32 v26, v6
.LBB261_76:                             ;   in Loop: Header=BB261_44 Depth=1
	s_or_b64 exec, exec, s[10:11]
	s_waitcnt vmcnt(0)
	v_pk_mul_f32 v[20:21], v[14:15], v[20:21] op_sel_hi:[0,1]
	v_pk_mul_f32 v[18:19], v[14:15], v[18:19] op_sel_hi:[0,1]
	v_cvt_f16_f32_e32 v6, v21
	v_cvt_f16_f32_e32 v17, v20
	;; [unrolled: 1-line block ×4, first 2 shown]
	v_fma_mixlo_f16 v16, v14, v16, 0
	v_pack_b32_f16 v17, v17, v6
	v_cmp_eq_u32_e32 vcc, s7, v2
	v_pack_b32_f16 v18, v18, v19
	v_perm_b32 v6, v18, v17, s24
	v_perm_b32 v17, v18, v17, s25
	v_fma_mixlo_f16 v18, v14, v24, 0
	v_lshlrev_b32_e32 v18, 16, v18
	v_or_b32_sdwa v16, v18, v16 dst_sel:DWORD dst_unused:UNUSED_PAD src0_sel:DWORD src1_sel:WORD_0
	v_fma_mixlo_f16 v18, v14, v25, 0
	v_fma_mixlo_f16 v14, v14, v26, 0
	v_lshlrev_b32_e32 v14, 16, v14
	v_or_b32_sdwa v14, v14, v18 dst_sel:DWORD dst_unused:UNUSED_PAD src0_sel:DWORD src1_sel:WORD_0
	v_add_u32_e32 v30, 1, v22
	v_or_b32_e32 v29, 3, v22
	v_or_b32_e32 v28, 2, v22
	;; [unrolled: 1-line block ×6, first 2 shown]
	s_and_saveexec_b64 s[10:11], vcc
	s_cbranch_execz .LBB261_78
; %bb.77:                               ;   in Loop: Header=BB261_44 Depth=1
	v_lshrrev_b32_e32 v19, 16, v17
	v_cmp_gt_i32_e64 s[0:1], s18, v30
	v_lshrrev_b32_e32 v14, 16, v14
	s_nop 0
	v_cndmask_b32_e64 v19, 0, v19, s[0:1]
	v_cmp_gt_i32_e64 s[0:1], s35, v22
	s_nop 1
	v_cndmask_b32_e64 v17, 0, v17, s[0:1]
	v_perm_b32 v17, v19, v17, s26
	v_lshrrev_b32_e32 v19, 16, v6
	v_cmp_gt_i32_e64 s[0:1], s18, v29
	s_nop 1
	v_cndmask_b32_e64 v19, 0, v19, s[0:1]
	v_cmp_gt_i32_e64 s[0:1], s35, v28
	s_nop 1
	v_cndmask_b32_e64 v6, 0, v6, s[0:1]
	v_perm_b32 v6, v19, v6, s26
	v_lshrrev_b32_e32 v19, 16, v16
	v_cmp_gt_i32_e64 s[0:1], s18, v27
	s_nop 1
	v_cndmask_b32_e64 v19, 0, v19, s[0:1]
	v_cmp_gt_i32_e64 s[0:1], s35, v26
	s_nop 1
	v_cndmask_b32_e64 v16, 0, v16, s[0:1]
	v_cmp_gt_i32_e64 s[0:1], s18, v25
	v_perm_b32 v16, v19, v16, s26
	s_nop 0
	v_cndmask_b32_e64 v14, 0, v14, s[0:1]
	v_cmp_gt_i32_e64 s[0:1], s35, v24
	s_nop 1
	v_cndmask_b32_e64 v18, 0, v18, s[0:1]
	v_perm_b32 v14, v14, v18, s26
.LBB261_78:                             ;   in Loop: Header=BB261_44 Depth=1
	s_or_b64 exec, exec, s[10:11]
	v_and_b32_e32 v18, 0xffff, v31
	v_lshl_or_b32 v31, v32, 16, v18
	v_and_b32_e32 v18, 0xffff, v33
	v_lshl_or_b32 v32, v34, 16, v18
	v_and_b32_e32 v18, 0xffff, v35
	v_lshl_or_b32 v33, v36, 16, v18
	v_and_b32_e32 v18, 0xffff, v37
	;;#ASMSTART
	v_pk_mul_f16 v17, v31, v17;

	;;#ASMEND
	;;#ASMSTART
	v_pk_mul_f16 v6, v32, v6;

	;;#ASMEND
	v_lshl_or_b32 v34, v38, 16, v18
	;;#ASMSTART
	v_pk_mul_f16 v16, v33, v16;

	;;#ASMEND
	;;#ASMSTART
	v_pk_mul_f16 v14, v34, v14;

	;;#ASMEND
	;;#ASMSTART
	v_pk_add_f16 v6, v17, v6;

	;;#ASMEND
	s_mov_b64 s[0:1], 0
	;;#ASMSTART
	v_pk_add_f16 v6, v6, v16;

	;;#ASMEND
                                        ; implicit-def: $sgpr16
	s_nop 0
	;;#ASMSTART
	v_pk_add_f16 v6, v6, v14;

	;;#ASMEND
	s_nop 0
	v_lshrrev_b32_e32 v14, 16, v6
	v_and_b32_e32 v6, 0xffff, v6
	;;#ASMSTART
	v_cvt_f32_f16 v35, v6;
	;;#ASMEND
	;;#ASMSTART
	v_cvt_f32_f16 v36, v14;
	;;#ASMEND
	global_load_dwordx2 v[16:17], v[12:13], off offset:512
	global_load_dword v14, v7, s[14:15]
	s_waitcnt vmcnt(1)
	v_cmp_gt_i16_sdwa s[10:11], v16, s19 src0_sel:BYTE_0 src1_sel:DWORD
	s_and_saveexec_b64 s[12:13], s[10:11]
	s_xor_b64 s[10:11], exec, s[12:13]
	s_cbranch_execnz .LBB261_178
; %bb.79:                               ;   in Loop: Header=BB261_44 Depth=1
	s_or_saveexec_b64 s[10:11], s[10:11]
	v_mov_b32_e32 v18, s16
	s_xor_b64 exec, exec, s[10:11]
	s_cbranch_execnz .LBB261_181
.LBB261_80:                             ;   in Loop: Header=BB261_44 Depth=1
	s_or_b64 exec, exec, s[10:11]
	s_and_saveexec_b64 s[10:11], s[0:1]
	s_cbranch_execz .LBB261_82
.LBB261_81:                             ;   in Loop: Header=BB261_44 Depth=1
	v_and_b32_e32 v6, 7, v16
	v_ffbh_u32_e32 v6, v6
	v_bfe_u32 v18, v16, 3, 4
	v_min_u32_e32 v6, 32, v6
	v_subrev_u32_e32 v19, 28, v6
	v_sub_u32_e32 v6, 29, v6
	v_cmp_eq_u32_e64 s[0:1], 0, v18
	s_nop 1
	v_cndmask_b32_e64 v6, v18, v6, s[0:1]
	v_cndmask_b32_e64 v18, 0, v19, s[0:1]
	v_lshlrev_b64 v[18:19], v18, v[16:17]
	v_lshlrev_b32_e32 v19, 8, v16
	v_lshl_add_u32 v6, v6, 10, v3
	v_lshlrev_b32_e32 v18, 7, v18
	v_and_or_b32 v6, v19, s22, v6
	v_and_or_b32 v6, v18, s23, v6
	v_cvt_f32_f16_e32 v18, v6
.LBB261_82:                             ;   in Loop: Header=BB261_44 Depth=1
	s_or_b64 exec, exec, s[10:11]
	v_lshrrev_b16_e32 v6, 8, v16
	v_cmp_lt_i16_e64 s[0:1], s19, v6
	s_mov_b64 s[10:11], 0
                                        ; implicit-def: $sgpr27
	s_and_saveexec_b64 s[12:13], s[0:1]
	s_xor_b64 s[12:13], exec, s[12:13]
	s_cbranch_execnz .LBB261_182
; %bb.83:                               ;   in Loop: Header=BB261_44 Depth=1
	s_or_saveexec_b64 s[12:13], s[12:13]
	v_mov_b32_e32 v20, s27
	s_xor_b64 exec, exec, s[12:13]
	s_cbranch_execnz .LBB261_185
.LBB261_84:                             ;   in Loop: Header=BB261_44 Depth=1
	s_or_b64 exec, exec, s[12:13]
	s_and_saveexec_b64 s[12:13], s[10:11]
	s_cbranch_execz .LBB261_86
.LBB261_85:                             ;   in Loop: Header=BB261_44 Depth=1
	v_and_b32_e32 v19, 7, v6
	v_ffbh_u32_e32 v20, v19
	v_min_u32_e32 v38, 32, v20
	v_subrev_u32_e32 v20, 28, v38
	v_bfe_u32 v37, v6, 3, 4
	v_lshlrev_b64 v[20:21], v20, v[6:7]
	v_sub_u32_e32 v21, 29, v38
	v_cmp_eq_u32_e64 s[0:1], 0, v37
	v_and_b32_e32 v20, 7, v20
	v_lshlrev_b32_e32 v6, 8, v6
	v_cndmask_b32_e64 v21, v37, v21, s[0:1]
	v_cndmask_b32_e64 v19, v19, v20, s[0:1]
	v_lshl_add_u32 v20, v21, 10, v3
	v_and_or_b32 v6, v6, s22, v20
	v_lshl_or_b32 v6, v19, 7, v6
	v_cvt_f32_f16_e32 v20, v6
.LBB261_86:                             ;   in Loop: Header=BB261_44 Depth=1
	s_or_b64 exec, exec, s[12:13]
	v_lshrrev_b32_e32 v6, 16, v16
	v_cmp_gt_i16_sdwa s[10:11], v6, s19 src0_sel:BYTE_0 src1_sel:DWORD
	s_mov_b64 s[0:1], 0
                                        ; implicit-def: $sgpr16
	s_and_saveexec_b64 s[12:13], s[10:11]
	s_xor_b64 s[10:11], exec, s[12:13]
	s_cbranch_execnz .LBB261_186
; %bb.87:                               ;   in Loop: Header=BB261_44 Depth=1
	s_or_saveexec_b64 s[10:11], s[10:11]
	v_mov_b32_e32 v19, s16
	s_xor_b64 exec, exec, s[10:11]
	s_cbranch_execnz .LBB261_189
.LBB261_88:                             ;   in Loop: Header=BB261_44 Depth=1
	s_or_b64 exec, exec, s[10:11]
	s_and_saveexec_b64 s[10:11], s[0:1]
	s_cbranch_execz .LBB261_90
.LBB261_89:                             ;   in Loop: Header=BB261_44 Depth=1
	v_bfe_u32 v19, v16, 16, 3
	v_ffbh_u32_e32 v37, v19
	v_bfe_u32 v21, v16, 19, 4
	v_min_u32_e32 v37, 32, v37
	v_subrev_u32_e32 v38, 28, v37
	v_sub_u32_e32 v37, 29, v37
	v_cmp_eq_u32_e64 s[0:1], 0, v21
	v_lshlrev_b64 v[38:39], v38, v[6:7]
	v_and_b32_e32 v38, 7, v38
	v_cndmask_b32_e64 v21, v21, v37, s[0:1]
	v_lshlrev_b32_e32 v6, 8, v6
	v_lshl_add_u32 v21, v21, 10, v3
	v_cndmask_b32_e64 v19, v19, v38, s[0:1]
	v_and_or_b32 v6, v6, s22, v21
	v_lshl_or_b32 v6, v19, 7, v6
	v_cvt_f32_f16_e32 v19, v6
.LBB261_90:                             ;   in Loop: Header=BB261_44 Depth=1
	s_or_b64 exec, exec, s[10:11]
	v_lshrrev_b32_e32 v6, 24, v16
	v_cmp_lt_i16_e64 s[0:1], s19, v6
	s_mov_b64 s[10:11], 0
                                        ; implicit-def: $sgpr27
	s_and_saveexec_b64 s[12:13], s[0:1]
	s_xor_b64 s[12:13], exec, s[12:13]
	s_cbranch_execnz .LBB261_190
; %bb.91:                               ;   in Loop: Header=BB261_44 Depth=1
	s_or_saveexec_b64 s[12:13], s[12:13]
	v_mov_b32_e32 v21, s27
	s_xor_b64 exec, exec, s[12:13]
	s_cbranch_execnz .LBB261_193
.LBB261_92:                             ;   in Loop: Header=BB261_44 Depth=1
	s_or_b64 exec, exec, s[12:13]
	s_and_saveexec_b64 s[12:13], s[10:11]
	s_cbranch_execz .LBB261_94
.LBB261_93:                             ;   in Loop: Header=BB261_44 Depth=1
	v_bfe_u32 v21, v16, 24, 3
	v_ffbh_u32_e32 v37, v21
	v_bfe_u32 v16, v16, 27, 4
	v_min_u32_e32 v37, 32, v37
	v_subrev_u32_e32 v38, 28, v37
	v_sub_u32_e32 v37, 29, v37
	v_cmp_eq_u32_e64 s[0:1], 0, v16
	v_lshlrev_b64 v[38:39], v38, v[6:7]
	v_and_b32_e32 v38, 7, v38
	v_cndmask_b32_e64 v16, v16, v37, s[0:1]
	v_lshlrev_b32_e32 v6, 8, v6
	v_lshl_add_u32 v16, v16, 10, v3
	v_cndmask_b32_e64 v21, v21, v38, s[0:1]
	v_and_or_b32 v6, v6, s22, v16
	v_lshl_or_b32 v6, v21, 7, v6
	v_cvt_f32_f16_e32 v21, v6
.LBB261_94:                             ;   in Loop: Header=BB261_44 Depth=1
	s_or_b64 exec, exec, s[12:13]
	v_cmp_gt_i16_sdwa s[10:11], v17, s19 src0_sel:BYTE_0 src1_sel:DWORD
	s_mov_b64 s[0:1], 0
                                        ; implicit-def: $sgpr16
	s_and_saveexec_b64 s[12:13], s[10:11]
	s_xor_b64 s[10:11], exec, s[12:13]
	s_cbranch_execnz .LBB261_194
; %bb.95:                               ;   in Loop: Header=BB261_44 Depth=1
	s_or_saveexec_b64 s[10:11], s[10:11]
	v_mov_b32_e32 v16, s16
	s_xor_b64 exec, exec, s[10:11]
	s_cbranch_execnz .LBB261_197
.LBB261_96:                             ;   in Loop: Header=BB261_44 Depth=1
	s_or_b64 exec, exec, s[10:11]
	v_mov_b32_e32 v6, v17
	s_and_saveexec_b64 s[10:11], s[0:1]
	s_cbranch_execz .LBB261_98
.LBB261_97:                             ;   in Loop: Header=BB261_44 Depth=1
	v_and_b32_e32 v16, 7, v17
	v_ffbh_u32_e32 v16, v16
	v_bfe_u32 v37, v17, 3, 4
	v_min_u32_e32 v16, 32, v16
	v_subrev_u32_e32 v38, 28, v16
	v_sub_u32_e32 v16, 29, v16
	v_cmp_eq_u32_e64 s[0:1], 0, v37
	s_nop 1
	v_cndmask_b32_e64 v16, v37, v16, s[0:1]
	v_cndmask_b32_e64 v37, 0, v38, s[0:1]
	v_lshlrev_b64 v[38:39], v37, v[6:7]
	v_lshlrev_b32_e32 v37, 7, v38
	v_lshlrev_b32_e32 v38, 8, v17
	v_lshl_add_u32 v16, v16, 10, v3
	v_and_or_b32 v16, v38, s22, v16
	v_and_or_b32 v16, v37, s23, v16
	v_cvt_f32_f16_e32 v16, v16
.LBB261_98:                             ;   in Loop: Header=BB261_44 Depth=1
	s_or_b64 exec, exec, s[10:11]
	v_lshrrev_b16_e32 v6, 8, v6
	v_cmp_lt_i16_e64 s[0:1], s19, v6
	s_mov_b64 s[10:11], 0
                                        ; implicit-def: $sgpr27
	s_and_saveexec_b64 s[12:13], s[0:1]
	s_xor_b64 s[12:13], exec, s[12:13]
	s_cbranch_execnz .LBB261_198
; %bb.99:                               ;   in Loop: Header=BB261_44 Depth=1
	s_or_saveexec_b64 s[12:13], s[12:13]
	v_mov_b32_e32 v37, s27
	s_xor_b64 exec, exec, s[12:13]
	s_cbranch_execnz .LBB261_201
.LBB261_100:                            ;   in Loop: Header=BB261_44 Depth=1
	s_or_b64 exec, exec, s[12:13]
	s_and_saveexec_b64 s[12:13], s[10:11]
	s_cbranch_execz .LBB261_102
.LBB261_101:                            ;   in Loop: Header=BB261_44 Depth=1
	v_and_b32_e32 v37, 7, v6
	v_ffbh_u32_e32 v38, v37
	v_min_u32_e32 v41, 32, v38
	v_subrev_u32_e32 v38, 28, v41
	v_bfe_u32 v40, v6, 3, 4
	v_lshlrev_b64 v[38:39], v38, v[6:7]
	v_sub_u32_e32 v39, 29, v41
	v_cmp_eq_u32_e64 s[0:1], 0, v40
	v_and_b32_e32 v38, 7, v38
	v_lshlrev_b32_e32 v6, 8, v6
	v_cndmask_b32_e64 v39, v40, v39, s[0:1]
	v_cndmask_b32_e64 v37, v37, v38, s[0:1]
	v_lshl_add_u32 v38, v39, 10, v3
	v_and_or_b32 v6, v6, s22, v38
	v_lshl_or_b32 v6, v37, 7, v6
	v_cvt_f32_f16_e32 v37, v6
.LBB261_102:                            ;   in Loop: Header=BB261_44 Depth=1
	s_or_b64 exec, exec, s[12:13]
	v_lshrrev_b32_e32 v6, 16, v17
	v_cmp_gt_i16_sdwa s[10:11], v6, s19 src0_sel:BYTE_0 src1_sel:DWORD
	s_mov_b64 s[0:1], 0
                                        ; implicit-def: $sgpr16
	s_and_saveexec_b64 s[12:13], s[10:11]
	s_xor_b64 s[10:11], exec, s[12:13]
	s_cbranch_execnz .LBB261_202
; %bb.103:                              ;   in Loop: Header=BB261_44 Depth=1
	s_or_saveexec_b64 s[10:11], s[10:11]
	v_mov_b32_e32 v38, s16
	s_xor_b64 exec, exec, s[10:11]
	s_cbranch_execnz .LBB261_205
.LBB261_104:                            ;   in Loop: Header=BB261_44 Depth=1
	s_or_b64 exec, exec, s[10:11]
	s_and_saveexec_b64 s[10:11], s[0:1]
	s_cbranch_execz .LBB261_106
.LBB261_105:                            ;   in Loop: Header=BB261_44 Depth=1
	v_bfe_u32 v40, v17, 16, 3
	v_ffbh_u32_e32 v38, v40
	v_min_u32_e32 v42, 32, v38
	v_subrev_u32_e32 v38, 28, v42
	v_bfe_u32 v41, v17, 19, 4
	v_lshlrev_b64 v[38:39], v38, v[6:7]
	v_sub_u32_e32 v39, 29, v42
	v_cmp_eq_u32_e64 s[0:1], 0, v41
	v_and_b32_e32 v38, 7, v38
	v_lshlrev_b32_e32 v6, 8, v6
	v_cndmask_b32_e64 v39, v41, v39, s[0:1]
	v_lshl_add_u32 v39, v39, 10, v3
	v_cndmask_b32_e64 v38, v40, v38, s[0:1]
	v_and_or_b32 v6, v6, s22, v39
	v_lshl_or_b32 v6, v38, 7, v6
	v_cvt_f32_f16_e32 v38, v6
.LBB261_106:                            ;   in Loop: Header=BB261_44 Depth=1
	s_or_b64 exec, exec, s[10:11]
	v_lshrrev_b32_e32 v6, 24, v17
	v_cmp_lt_i16_e64 s[0:1], s19, v6
	s_mov_b64 s[10:11], 0
                                        ; implicit-def: $sgpr27
	s_and_saveexec_b64 s[12:13], s[0:1]
	s_xor_b64 s[12:13], exec, s[12:13]
	s_cbranch_execnz .LBB261_206
; %bb.107:                              ;   in Loop: Header=BB261_44 Depth=1
	s_or_saveexec_b64 s[12:13], s[12:13]
	v_mov_b32_e32 v39, s27
	s_xor_b64 exec, exec, s[12:13]
	s_cbranch_execnz .LBB261_209
.LBB261_108:                            ;   in Loop: Header=BB261_44 Depth=1
	s_or_b64 exec, exec, s[12:13]
	s_and_saveexec_b64 s[12:13], s[10:11]
	s_cbranch_execz .LBB261_110
.LBB261_109:                            ;   in Loop: Header=BB261_44 Depth=1
	v_bfe_u32 v39, v17, 24, 3
	v_ffbh_u32_e32 v40, v39
	v_min_u32_e32 v42, 32, v40
	v_subrev_u32_e32 v40, 28, v42
	v_bfe_u32 v17, v17, 27, 4
	v_lshlrev_b64 v[40:41], v40, v[6:7]
	v_sub_u32_e32 v41, 29, v42
	v_cmp_eq_u32_e64 s[0:1], 0, v17
	v_and_b32_e32 v40, 7, v40
	v_lshlrev_b32_e32 v6, 8, v6
	v_cndmask_b32_e64 v17, v17, v41, s[0:1]
	v_lshl_add_u32 v17, v17, 10, v3
	v_cndmask_b32_e64 v39, v39, v40, s[0:1]
	v_and_or_b32 v6, v6, s22, v17
	v_lshl_or_b32 v6, v39, 7, v6
	v_cvt_f32_f16_e32 v39, v6
.LBB261_110:                            ;   in Loop: Header=BB261_44 Depth=1
	s_or_b64 exec, exec, s[12:13]
	s_waitcnt vmcnt(0)
	v_pk_mul_f32 v[20:21], v[14:15], v[20:21] op_sel_hi:[0,1]
	v_pk_mul_f32 v[18:19], v[14:15], v[18:19] op_sel_hi:[0,1]
	v_cvt_f16_f32_e32 v6, v21
	v_cvt_f16_f32_e32 v17, v20
	;; [unrolled: 1-line block ×4, first 2 shown]
	v_fma_mixlo_f16 v16, v14, v16, 0
	v_pack_b32_f16 v17, v17, v6
	v_pack_b32_f16 v18, v18, v19
	v_perm_b32 v6, v18, v17, s24
	v_perm_b32 v17, v18, v17, s25
	v_fma_mixlo_f16 v18, v14, v37, 0
	v_lshlrev_b32_e32 v18, 16, v18
	v_or_b32_sdwa v16, v18, v16 dst_sel:DWORD dst_unused:UNUSED_PAD src0_sel:DWORD src1_sel:WORD_0
	v_fma_mixlo_f16 v18, v14, v38, 0
	v_fma_mixlo_f16 v14, v14, v39, 0
	v_lshlrev_b32_e32 v14, 16, v14
	v_or_b32_sdwa v14, v14, v18 dst_sel:DWORD dst_unused:UNUSED_PAD src0_sel:DWORD src1_sel:WORD_0
	s_and_saveexec_b64 s[10:11], vcc
	s_cbranch_execz .LBB261_112
; %bb.111:                              ;   in Loop: Header=BB261_44 Depth=1
	v_lshrrev_b32_e32 v19, 16, v17
	v_cmp_gt_i32_e64 s[0:1], s18, v30
	v_lshrrev_b32_e32 v14, 16, v14
	s_nop 0
	v_cndmask_b32_e64 v19, 0, v19, s[0:1]
	v_cmp_gt_i32_e64 s[0:1], s35, v22
	s_nop 1
	v_cndmask_b32_e64 v17, 0, v17, s[0:1]
	v_perm_b32 v17, v19, v17, s26
	v_lshrrev_b32_e32 v19, 16, v6
	v_cmp_gt_i32_e64 s[0:1], s18, v29
	s_nop 1
	v_cndmask_b32_e64 v19, 0, v19, s[0:1]
	v_cmp_gt_i32_e64 s[0:1], s35, v28
	s_nop 1
	v_cndmask_b32_e64 v6, 0, v6, s[0:1]
	v_perm_b32 v6, v19, v6, s26
	v_lshrrev_b32_e32 v19, 16, v16
	v_cmp_gt_i32_e64 s[0:1], s18, v27
	s_nop 1
	v_cndmask_b32_e64 v19, 0, v19, s[0:1]
	v_cmp_gt_i32_e64 s[0:1], s35, v26
	s_nop 1
	v_cndmask_b32_e64 v16, 0, v16, s[0:1]
	v_cmp_gt_i32_e64 s[0:1], s18, v25
	v_perm_b32 v16, v19, v16, s26
	s_nop 0
	v_cndmask_b32_e64 v14, 0, v14, s[0:1]
	v_cmp_gt_i32_e64 s[0:1], s35, v24
	s_nop 1
	v_cndmask_b32_e64 v18, 0, v18, s[0:1]
	v_perm_b32 v14, v14, v18, s26
.LBB261_112:                            ;   in Loop: Header=BB261_44 Depth=1
	s_or_b64 exec, exec, s[10:11]
	;;#ASMSTART
	v_pk_mul_f16 v17, v31, v17;

	;;#ASMEND
	;;#ASMSTART
	v_pk_mul_f16 v6, v32, v6;

	;;#ASMEND
	;; [unrolled: 4-line block ×4, first 2 shown]
	s_mov_b64 s[0:1], 0
	;;#ASMSTART
	v_pk_add_f16 v6, v17, v6;

	;;#ASMEND
                                        ; implicit-def: $sgpr16
	s_nop 0
	;;#ASMSTART
	v_pk_add_f16 v6, v6, v16;

	;;#ASMEND
	s_nop 0
	;;#ASMSTART
	v_pk_add_f16 v6, v6, v14;

	;;#ASMEND
	s_nop 0
	v_lshrrev_b32_e32 v14, 16, v6
	v_and_b32_e32 v6, 0xffff, v6
	;;#ASMSTART
	v_cvt_f32_f16 v20, v6;
	;;#ASMEND
	;;#ASMSTART
	v_cvt_f32_f16 v21, v14;
	;;#ASMEND
	global_load_dwordx2 v[16:17], v[12:13], off offset:1024
	global_load_dword v14, v7, s[14:15]
	s_waitcnt vmcnt(1)
	v_cmp_gt_i16_sdwa s[10:11], v16, s19 src0_sel:BYTE_0 src1_sel:DWORD
	s_and_saveexec_b64 s[12:13], s[10:11]
	s_xor_b64 s[10:11], exec, s[12:13]
	s_cbranch_execnz .LBB261_210
; %bb.113:                              ;   in Loop: Header=BB261_44 Depth=1
	s_or_saveexec_b64 s[10:11], s[10:11]
	v_mov_b32_e32 v12, s16
	s_xor_b64 exec, exec, s[10:11]
	s_cbranch_execnz .LBB261_213
.LBB261_114:                            ;   in Loop: Header=BB261_44 Depth=1
	s_or_b64 exec, exec, s[10:11]
	s_and_saveexec_b64 s[10:11], s[0:1]
	s_cbranch_execz .LBB261_116
.LBB261_115:                            ;   in Loop: Header=BB261_44 Depth=1
	v_and_b32_e32 v6, 7, v16
	v_ffbh_u32_e32 v6, v6
	v_bfe_u32 v12, v16, 3, 4
	v_min_u32_e32 v6, 32, v6
	v_subrev_u32_e32 v13, 28, v6
	v_sub_u32_e32 v6, 29, v6
	v_cmp_eq_u32_e64 s[0:1], 0, v12
	s_nop 1
	v_cndmask_b32_e64 v6, v12, v6, s[0:1]
	v_cndmask_b32_e64 v12, 0, v13, s[0:1]
	v_lshlrev_b64 v[12:13], v12, v[16:17]
	v_lshlrev_b32_e32 v13, 8, v16
	v_lshl_add_u32 v6, v6, 10, v3
	v_lshlrev_b32_e32 v12, 7, v12
	v_and_or_b32 v6, v13, s22, v6
	v_and_or_b32 v6, v12, s23, v6
	v_cvt_f32_f16_e32 v12, v6
.LBB261_116:                            ;   in Loop: Header=BB261_44 Depth=1
	s_or_b64 exec, exec, s[10:11]
	v_lshrrev_b16_e32 v6, 8, v16
	v_cmp_lt_i16_e64 s[0:1], s19, v6
	s_mov_b64 s[10:11], 0
                                        ; implicit-def: $sgpr27
	s_and_saveexec_b64 s[12:13], s[0:1]
	s_xor_b64 s[12:13], exec, s[12:13]
	s_cbranch_execnz .LBB261_214
; %bb.117:                              ;   in Loop: Header=BB261_44 Depth=1
	s_or_saveexec_b64 s[12:13], s[12:13]
	v_mov_b32_e32 v18, s27
	s_xor_b64 exec, exec, s[12:13]
	s_cbranch_execnz .LBB261_217
.LBB261_118:                            ;   in Loop: Header=BB261_44 Depth=1
	s_or_b64 exec, exec, s[12:13]
	s_and_saveexec_b64 s[12:13], s[10:11]
	s_cbranch_execz .LBB261_120
.LBB261_119:                            ;   in Loop: Header=BB261_44 Depth=1
	v_and_b32_e32 v13, 7, v6
	v_ffbh_u32_e32 v18, v13
	v_min_u32_e32 v38, 32, v18
	v_subrev_u32_e32 v18, 28, v38
	v_bfe_u32 v37, v6, 3, 4
	v_lshlrev_b64 v[18:19], v18, v[6:7]
	v_sub_u32_e32 v19, 29, v38
	v_cmp_eq_u32_e64 s[0:1], 0, v37
	v_and_b32_e32 v18, 7, v18
	v_lshlrev_b32_e32 v6, 8, v6
	v_cndmask_b32_e64 v19, v37, v19, s[0:1]
	v_cndmask_b32_e64 v13, v13, v18, s[0:1]
	v_lshl_add_u32 v18, v19, 10, v3
	v_and_or_b32 v6, v6, s22, v18
	v_lshl_or_b32 v6, v13, 7, v6
	v_cvt_f32_f16_e32 v18, v6
.LBB261_120:                            ;   in Loop: Header=BB261_44 Depth=1
	s_or_b64 exec, exec, s[12:13]
	v_lshrrev_b32_e32 v6, 16, v16
	v_cmp_gt_i16_sdwa s[10:11], v6, s19 src0_sel:BYTE_0 src1_sel:DWORD
	s_mov_b64 s[0:1], 0
                                        ; implicit-def: $sgpr16
	s_and_saveexec_b64 s[12:13], s[10:11]
	s_xor_b64 s[10:11], exec, s[12:13]
	s_cbranch_execnz .LBB261_218
; %bb.121:                              ;   in Loop: Header=BB261_44 Depth=1
	s_or_saveexec_b64 s[10:11], s[10:11]
	v_mov_b32_e32 v13, s16
	s_xor_b64 exec, exec, s[10:11]
	s_cbranch_execnz .LBB261_221
.LBB261_122:                            ;   in Loop: Header=BB261_44 Depth=1
	s_or_b64 exec, exec, s[10:11]
	s_and_saveexec_b64 s[10:11], s[0:1]
	s_cbranch_execz .LBB261_124
.LBB261_123:                            ;   in Loop: Header=BB261_44 Depth=1
	v_bfe_u32 v13, v16, 16, 3
	v_ffbh_u32_e32 v37, v13
	v_bfe_u32 v19, v16, 19, 4
	v_min_u32_e32 v37, 32, v37
	v_subrev_u32_e32 v38, 28, v37
	v_sub_u32_e32 v37, 29, v37
	v_cmp_eq_u32_e64 s[0:1], 0, v19
	v_lshlrev_b64 v[38:39], v38, v[6:7]
	v_and_b32_e32 v38, 7, v38
	v_cndmask_b32_e64 v19, v19, v37, s[0:1]
	v_lshlrev_b32_e32 v6, 8, v6
	v_lshl_add_u32 v19, v19, 10, v3
	v_cndmask_b32_e64 v13, v13, v38, s[0:1]
	v_and_or_b32 v6, v6, s22, v19
	v_lshl_or_b32 v6, v13, 7, v6
	v_cvt_f32_f16_e32 v13, v6
.LBB261_124:                            ;   in Loop: Header=BB261_44 Depth=1
	s_or_b64 exec, exec, s[10:11]
	v_lshrrev_b32_e32 v6, 24, v16
	v_cmp_lt_i16_e64 s[0:1], s19, v6
	s_mov_b64 s[10:11], 0
                                        ; implicit-def: $sgpr27
	s_and_saveexec_b64 s[12:13], s[0:1]
	s_xor_b64 s[12:13], exec, s[12:13]
	s_cbranch_execnz .LBB261_222
; %bb.125:                              ;   in Loop: Header=BB261_44 Depth=1
	s_or_saveexec_b64 s[12:13], s[12:13]
	v_mov_b32_e32 v19, s27
	s_xor_b64 exec, exec, s[12:13]
	s_cbranch_execnz .LBB261_225
.LBB261_126:                            ;   in Loop: Header=BB261_44 Depth=1
	s_or_b64 exec, exec, s[12:13]
	s_and_saveexec_b64 s[12:13], s[10:11]
	s_cbranch_execz .LBB261_128
.LBB261_127:                            ;   in Loop: Header=BB261_44 Depth=1
	v_bfe_u32 v19, v16, 24, 3
	v_ffbh_u32_e32 v37, v19
	v_bfe_u32 v16, v16, 27, 4
	v_min_u32_e32 v37, 32, v37
	v_subrev_u32_e32 v38, 28, v37
	v_sub_u32_e32 v37, 29, v37
	v_cmp_eq_u32_e64 s[0:1], 0, v16
	v_lshlrev_b64 v[38:39], v38, v[6:7]
	v_and_b32_e32 v38, 7, v38
	v_cndmask_b32_e64 v16, v16, v37, s[0:1]
	v_lshlrev_b32_e32 v6, 8, v6
	v_lshl_add_u32 v16, v16, 10, v3
	v_cndmask_b32_e64 v19, v19, v38, s[0:1]
	v_and_or_b32 v6, v6, s22, v16
	v_lshl_or_b32 v6, v19, 7, v6
	v_cvt_f32_f16_e32 v19, v6
.LBB261_128:                            ;   in Loop: Header=BB261_44 Depth=1
	s_or_b64 exec, exec, s[12:13]
	v_cmp_gt_i16_sdwa s[10:11], v17, s19 src0_sel:BYTE_0 src1_sel:DWORD
	s_mov_b64 s[0:1], 0
                                        ; implicit-def: $sgpr16
	s_and_saveexec_b64 s[12:13], s[10:11]
	s_xor_b64 s[10:11], exec, s[12:13]
	s_cbranch_execnz .LBB261_226
; %bb.129:                              ;   in Loop: Header=BB261_44 Depth=1
	s_or_saveexec_b64 s[10:11], s[10:11]
	v_mov_b32_e32 v16, s16
	s_xor_b64 exec, exec, s[10:11]
	s_cbranch_execnz .LBB261_229
.LBB261_130:                            ;   in Loop: Header=BB261_44 Depth=1
	s_or_b64 exec, exec, s[10:11]
	v_mov_b32_e32 v6, v17
	s_and_saveexec_b64 s[10:11], s[0:1]
	s_cbranch_execz .LBB261_132
.LBB261_131:                            ;   in Loop: Header=BB261_44 Depth=1
	v_and_b32_e32 v16, 7, v17
	v_ffbh_u32_e32 v16, v16
	v_bfe_u32 v37, v17, 3, 4
	v_min_u32_e32 v16, 32, v16
	v_subrev_u32_e32 v38, 28, v16
	v_sub_u32_e32 v16, 29, v16
	v_cmp_eq_u32_e64 s[0:1], 0, v37
	s_nop 1
	v_cndmask_b32_e64 v16, v37, v16, s[0:1]
	v_cndmask_b32_e64 v37, 0, v38, s[0:1]
	v_lshlrev_b64 v[38:39], v37, v[6:7]
	v_lshlrev_b32_e32 v37, 7, v38
	v_lshlrev_b32_e32 v38, 8, v17
	v_lshl_add_u32 v16, v16, 10, v3
	v_and_or_b32 v16, v38, s22, v16
	v_and_or_b32 v16, v37, s23, v16
	v_cvt_f32_f16_e32 v16, v16
.LBB261_132:                            ;   in Loop: Header=BB261_44 Depth=1
	s_or_b64 exec, exec, s[10:11]
	v_lshrrev_b16_e32 v6, 8, v6
	v_cmp_lt_i16_e64 s[0:1], s19, v6
	s_mov_b64 s[10:11], 0
                                        ; implicit-def: $sgpr27
	s_and_saveexec_b64 s[12:13], s[0:1]
	s_xor_b64 s[12:13], exec, s[12:13]
	s_cbranch_execnz .LBB261_230
; %bb.133:                              ;   in Loop: Header=BB261_44 Depth=1
	s_or_saveexec_b64 s[12:13], s[12:13]
	v_mov_b32_e32 v37, s27
	s_xor_b64 exec, exec, s[12:13]
	s_cbranch_execnz .LBB261_233
.LBB261_134:                            ;   in Loop: Header=BB261_44 Depth=1
	s_or_b64 exec, exec, s[12:13]
	s_and_saveexec_b64 s[12:13], s[10:11]
	s_cbranch_execz .LBB261_136
.LBB261_135:                            ;   in Loop: Header=BB261_44 Depth=1
	v_and_b32_e32 v37, 7, v6
	v_ffbh_u32_e32 v38, v37
	v_min_u32_e32 v41, 32, v38
	v_subrev_u32_e32 v38, 28, v41
	v_bfe_u32 v40, v6, 3, 4
	v_lshlrev_b64 v[38:39], v38, v[6:7]
	v_sub_u32_e32 v39, 29, v41
	v_cmp_eq_u32_e64 s[0:1], 0, v40
	v_and_b32_e32 v38, 7, v38
	v_lshlrev_b32_e32 v6, 8, v6
	v_cndmask_b32_e64 v39, v40, v39, s[0:1]
	v_cndmask_b32_e64 v37, v37, v38, s[0:1]
	v_lshl_add_u32 v38, v39, 10, v3
	v_and_or_b32 v6, v6, s22, v38
	v_lshl_or_b32 v6, v37, 7, v6
	v_cvt_f32_f16_e32 v37, v6
.LBB261_136:                            ;   in Loop: Header=BB261_44 Depth=1
	s_or_b64 exec, exec, s[12:13]
	v_lshrrev_b32_e32 v6, 16, v17
	v_cmp_gt_i16_sdwa s[10:11], v6, s19 src0_sel:BYTE_0 src1_sel:DWORD
	s_mov_b64 s[0:1], 0
                                        ; implicit-def: $sgpr16
	s_and_saveexec_b64 s[12:13], s[10:11]
	s_xor_b64 s[10:11], exec, s[12:13]
	s_cbranch_execnz .LBB261_234
; %bb.137:                              ;   in Loop: Header=BB261_44 Depth=1
	s_or_saveexec_b64 s[10:11], s[10:11]
	v_mov_b32_e32 v38, s16
	s_xor_b64 exec, exec, s[10:11]
	s_cbranch_execnz .LBB261_237
.LBB261_138:                            ;   in Loop: Header=BB261_44 Depth=1
	s_or_b64 exec, exec, s[10:11]
	s_and_saveexec_b64 s[10:11], s[0:1]
	s_cbranch_execz .LBB261_140
.LBB261_139:                            ;   in Loop: Header=BB261_44 Depth=1
	v_bfe_u32 v40, v17, 16, 3
	v_ffbh_u32_e32 v38, v40
	v_min_u32_e32 v42, 32, v38
	v_subrev_u32_e32 v38, 28, v42
	v_bfe_u32 v41, v17, 19, 4
	v_lshlrev_b64 v[38:39], v38, v[6:7]
	v_sub_u32_e32 v39, 29, v42
	v_cmp_eq_u32_e64 s[0:1], 0, v41
	v_and_b32_e32 v38, 7, v38
	v_lshlrev_b32_e32 v6, 8, v6
	v_cndmask_b32_e64 v39, v41, v39, s[0:1]
	v_lshl_add_u32 v39, v39, 10, v3
	v_cndmask_b32_e64 v38, v40, v38, s[0:1]
	v_and_or_b32 v6, v6, s22, v39
	v_lshl_or_b32 v6, v38, 7, v6
	v_cvt_f32_f16_e32 v38, v6
.LBB261_140:                            ;   in Loop: Header=BB261_44 Depth=1
	s_or_b64 exec, exec, s[10:11]
	v_lshrrev_b32_e32 v6, 24, v17
	v_cmp_lt_i16_e64 s[0:1], s19, v6
	s_mov_b64 s[10:11], 0
                                        ; implicit-def: $sgpr27
	s_and_saveexec_b64 s[12:13], s[0:1]
	s_xor_b64 s[12:13], exec, s[12:13]
	s_cbranch_execnz .LBB261_238
; %bb.141:                              ;   in Loop: Header=BB261_44 Depth=1
	s_or_saveexec_b64 s[12:13], s[12:13]
	v_mov_b32_e32 v39, s27
	s_xor_b64 exec, exec, s[12:13]
	s_cbranch_execnz .LBB261_241
.LBB261_142:                            ;   in Loop: Header=BB261_44 Depth=1
	s_or_b64 exec, exec, s[12:13]
	s_and_saveexec_b64 s[12:13], s[10:11]
	s_cbranch_execz .LBB261_144
.LBB261_143:                            ;   in Loop: Header=BB261_44 Depth=1
	v_bfe_u32 v39, v17, 24, 3
	v_ffbh_u32_e32 v40, v39
	v_min_u32_e32 v42, 32, v40
	v_subrev_u32_e32 v40, 28, v42
	v_bfe_u32 v17, v17, 27, 4
	v_lshlrev_b64 v[40:41], v40, v[6:7]
	v_sub_u32_e32 v41, 29, v42
	v_cmp_eq_u32_e64 s[0:1], 0, v17
	v_and_b32_e32 v40, 7, v40
	v_lshlrev_b32_e32 v6, 8, v6
	v_cndmask_b32_e64 v17, v17, v41, s[0:1]
	v_lshl_add_u32 v17, v17, 10, v3
	v_cndmask_b32_e64 v39, v39, v40, s[0:1]
	v_and_or_b32 v6, v6, s22, v17
	v_lshl_or_b32 v6, v39, 7, v6
	v_cvt_f32_f16_e32 v39, v6
.LBB261_144:                            ;   in Loop: Header=BB261_44 Depth=1
	s_or_b64 exec, exec, s[12:13]
	s_waitcnt vmcnt(0)
	v_pk_mul_f32 v[12:13], v[14:15], v[12:13] op_sel_hi:[0,1]
	v_cvt_f16_f32_e32 v13, v13
	v_cvt_f16_f32_e32 v12, v12
	v_pk_mul_f32 v[18:19], v[14:15], v[18:19] op_sel_hi:[0,1]
	v_cvt_f16_f32_e32 v6, v19
	v_cvt_f16_f32_e32 v17, v18
	v_pack_b32_f16 v12, v12, v13
	v_fma_mixlo_f16 v13, v14, v37, 0
	v_lshlrev_b32_e32 v13, 16, v13
	v_fma_mixlo_f16 v16, v14, v16, 0
	v_or_b32_sdwa v13, v13, v16 dst_sel:DWORD dst_unused:UNUSED_PAD src0_sel:DWORD src1_sel:WORD_0
	v_fma_mixlo_f16 v16, v14, v38, 0
	v_fma_mixlo_f16 v14, v14, v39, 0
	v_pack_b32_f16 v17, v17, v6
	v_lshlrev_b32_e32 v14, 16, v14
	v_perm_b32 v6, v12, v17, s24
	v_perm_b32 v12, v12, v17, s25
	v_or_b32_sdwa v14, v14, v16 dst_sel:DWORD dst_unused:UNUSED_PAD src0_sel:DWORD src1_sel:WORD_0
	s_and_saveexec_b64 s[0:1], vcc
	s_cbranch_execz .LBB261_43
; %bb.145:                              ;   in Loop: Header=BB261_44 Depth=1
	v_lshrrev_b32_e32 v17, 16, v12
	v_cmp_gt_i32_e32 vcc, s18, v30
	v_lshrrev_b32_e32 v14, 16, v14
	s_nop 0
	v_cndmask_b32_e32 v17, 0, v17, vcc
	v_cmp_gt_i32_e32 vcc, s35, v22
	s_nop 1
	v_cndmask_b32_e32 v12, 0, v12, vcc
	v_perm_b32 v12, v17, v12, s26
	v_lshrrev_b32_e32 v17, 16, v6
	v_cmp_gt_i32_e32 vcc, s18, v29
	s_nop 1
	v_cndmask_b32_e32 v17, 0, v17, vcc
	v_cmp_gt_i32_e32 vcc, s35, v28
	s_nop 1
	v_cndmask_b32_e32 v6, 0, v6, vcc
	v_perm_b32 v6, v17, v6, s26
	v_lshrrev_b32_e32 v17, 16, v13
	v_cmp_gt_i32_e32 vcc, s18, v27
	s_nop 1
	v_cndmask_b32_e32 v17, 0, v17, vcc
	v_cmp_gt_i32_e32 vcc, s35, v26
	s_nop 1
	v_cndmask_b32_e32 v13, 0, v13, vcc
	v_cmp_gt_i32_e32 vcc, s18, v25
	v_perm_b32 v13, v17, v13, s26
	s_nop 0
	v_cndmask_b32_e32 v14, 0, v14, vcc
	v_cmp_gt_i32_e32 vcc, s35, v24
	s_nop 1
	v_cndmask_b32_e32 v16, 0, v16, vcc
	v_perm_b32 v14, v14, v16, s26
	s_branch .LBB261_43
.LBB261_146:                            ;   in Loop: Header=BB261_44 Depth=1
	v_cmp_eq_u16_sdwa s[36:37], v16, s21 src0_sel:BYTE_0 src1_sel:DWORD
	s_mov_b64 s[0:1], -1
                                        ; implicit-def: $sgpr16
	s_and_saveexec_b64 s[12:13], s[36:37]
; %bb.147:                              ;   in Loop: Header=BB261_44 Depth=1
	s_mov_b32 s16, 0x7fc02000
	s_xor_b64 s[0:1], exec, -1
; %bb.148:                              ;   in Loop: Header=BB261_44 Depth=1
	s_or_b64 exec, exec, s[12:13]
	s_and_b64 s[0:1], s[0:1], exec
	s_or_saveexec_b64 s[10:11], s[10:11]
	v_mov_b32_e32 v18, s16
	s_xor_b64 exec, exec, s[10:11]
	s_cbranch_execz .LBB261_46
.LBB261_149:                            ;   in Loop: Header=BB261_44 Depth=1
	v_cmp_ne_u16_sdwa s[12:13], v16, v7 src0_sel:BYTE_0 src1_sel:DWORD
	s_andn2_b64 s[0:1], s[0:1], exec
	s_and_b64 s[12:13], s[12:13], exec
	v_mov_b32_e32 v18, 0
	s_or_b64 s[0:1], s[0:1], s[12:13]
	s_or_b64 exec, exec, s[10:11]
	s_and_saveexec_b64 s[10:11], s[0:1]
	s_cbranch_execnz .LBB261_47
	s_branch .LBB261_48
.LBB261_150:                            ;   in Loop: Header=BB261_44 Depth=1
	v_cmp_eq_u16_e32 vcc, s21, v6
	s_mov_b64 s[0:1], -1
                                        ; implicit-def: $sgpr16
	s_and_saveexec_b64 s[12:13], vcc
; %bb.151:                              ;   in Loop: Header=BB261_44 Depth=1
	s_mov_b32 s16, 0x7fc02000
	s_xor_b64 s[0:1], exec, -1
; %bb.152:                              ;   in Loop: Header=BB261_44 Depth=1
	s_or_b64 exec, exec, s[12:13]
	s_and_b64 s[0:1], s[0:1], exec
	s_or_saveexec_b64 s[10:11], s[10:11]
	v_mov_b32_e32 v20, s16
	s_xor_b64 exec, exec, s[10:11]
	s_cbranch_execz .LBB261_50
.LBB261_153:                            ;   in Loop: Header=BB261_44 Depth=1
	v_cmp_ne_u16_e32 vcc, 0, v6
	s_andn2_b64 s[0:1], s[0:1], exec
	s_and_b64 s[12:13], vcc, exec
	v_mov_b32_e32 v20, 0
	s_or_b64 s[0:1], s[0:1], s[12:13]
	s_or_b64 exec, exec, s[10:11]
	s_and_saveexec_b64 s[10:11], s[0:1]
	s_cbranch_execnz .LBB261_51
	s_branch .LBB261_52
.LBB261_154:                            ;   in Loop: Header=BB261_44 Depth=1
	v_cmp_eq_u16_sdwa s[36:37], v6, s21 src0_sel:BYTE_0 src1_sel:DWORD
	s_mov_b64 s[0:1], -1
                                        ; implicit-def: $sgpr16
	s_and_saveexec_b64 s[12:13], s[36:37]
; %bb.155:                              ;   in Loop: Header=BB261_44 Depth=1
	s_mov_b32 s16, 0x7fc02000
	s_xor_b64 s[0:1], exec, -1
; %bb.156:                              ;   in Loop: Header=BB261_44 Depth=1
	s_or_b64 exec, exec, s[12:13]
	s_and_b64 s[0:1], s[0:1], exec
	s_or_saveexec_b64 s[10:11], s[10:11]
	v_mov_b32_e32 v19, s16
	s_xor_b64 exec, exec, s[10:11]
	s_cbranch_execz .LBB261_54
.LBB261_157:                            ;   in Loop: Header=BB261_44 Depth=1
	v_cmp_ne_u16_sdwa s[12:13], v6, v7 src0_sel:BYTE_0 src1_sel:DWORD
	s_andn2_b64 s[0:1], s[0:1], exec
	s_and_b64 s[12:13], s[12:13], exec
	v_mov_b32_e32 v19, 0
	s_or_b64 s[0:1], s[0:1], s[12:13]
	s_or_b64 exec, exec, s[10:11]
	s_and_saveexec_b64 s[10:11], s[0:1]
	s_cbranch_execnz .LBB261_55
	s_branch .LBB261_56
.LBB261_158:                            ;   in Loop: Header=BB261_44 Depth=1
	v_cmp_eq_u16_e32 vcc, s21, v6
	s_mov_b64 s[0:1], -1
                                        ; implicit-def: $sgpr16
	s_and_saveexec_b64 s[12:13], vcc
; %bb.159:                              ;   in Loop: Header=BB261_44 Depth=1
	s_mov_b32 s16, 0x7fc02000
	s_xor_b64 s[0:1], exec, -1
; %bb.160:                              ;   in Loop: Header=BB261_44 Depth=1
	s_or_b64 exec, exec, s[12:13]
	s_and_b64 s[0:1], s[0:1], exec
	s_or_saveexec_b64 s[10:11], s[10:11]
	v_mov_b32_e32 v21, s16
	s_xor_b64 exec, exec, s[10:11]
	s_cbranch_execz .LBB261_58
.LBB261_161:                            ;   in Loop: Header=BB261_44 Depth=1
	v_cmp_ne_u16_e32 vcc, 0, v6
	s_andn2_b64 s[0:1], s[0:1], exec
	s_and_b64 s[12:13], vcc, exec
	v_mov_b32_e32 v21, 0
	s_or_b64 s[0:1], s[0:1], s[12:13]
	s_or_b64 exec, exec, s[10:11]
	s_and_saveexec_b64 s[10:11], s[0:1]
	s_cbranch_execnz .LBB261_59
	s_branch .LBB261_60
.LBB261_162:                            ;   in Loop: Header=BB261_44 Depth=1
	v_cmp_eq_u16_sdwa s[36:37], v17, s21 src0_sel:BYTE_0 src1_sel:DWORD
	s_mov_b64 s[0:1], -1
                                        ; implicit-def: $sgpr16
	s_and_saveexec_b64 s[12:13], s[36:37]
; %bb.163:                              ;   in Loop: Header=BB261_44 Depth=1
	s_mov_b32 s16, 0x7fc02000
	s_xor_b64 s[0:1], exec, -1
; %bb.164:                              ;   in Loop: Header=BB261_44 Depth=1
	s_or_b64 exec, exec, s[12:13]
	s_and_b64 s[0:1], s[0:1], exec
	s_or_saveexec_b64 s[10:11], s[10:11]
	v_mov_b32_e32 v16, s16
	s_xor_b64 exec, exec, s[10:11]
	s_cbranch_execz .LBB261_62
.LBB261_165:                            ;   in Loop: Header=BB261_44 Depth=1
	v_cmp_ne_u16_sdwa s[12:13], v17, v7 src0_sel:BYTE_0 src1_sel:DWORD
	s_andn2_b64 s[0:1], s[0:1], exec
	s_and_b64 s[12:13], s[12:13], exec
	v_mov_b32_e32 v16, 0
	s_or_b64 s[0:1], s[0:1], s[12:13]
	s_or_b64 exec, exec, s[10:11]
	v_mov_b32_e32 v6, v17
	s_and_saveexec_b64 s[10:11], s[0:1]
	s_cbranch_execnz .LBB261_63
	s_branch .LBB261_64
.LBB261_166:                            ;   in Loop: Header=BB261_44 Depth=1
	v_cmp_eq_u16_e32 vcc, s21, v6
	s_mov_b64 s[0:1], -1
                                        ; implicit-def: $sgpr16
	s_and_saveexec_b64 s[12:13], vcc
; %bb.167:                              ;   in Loop: Header=BB261_44 Depth=1
	s_mov_b32 s16, 0x7fc02000
	s_xor_b64 s[0:1], exec, -1
; %bb.168:                              ;   in Loop: Header=BB261_44 Depth=1
	s_or_b64 exec, exec, s[12:13]
	s_and_b64 s[0:1], s[0:1], exec
	s_or_saveexec_b64 s[10:11], s[10:11]
	v_mov_b32_e32 v24, s16
	s_xor_b64 exec, exec, s[10:11]
	s_cbranch_execz .LBB261_66
.LBB261_169:                            ;   in Loop: Header=BB261_44 Depth=1
	v_cmp_ne_u16_e32 vcc, 0, v6
	s_andn2_b64 s[0:1], s[0:1], exec
	s_and_b64 s[12:13], vcc, exec
	v_mov_b32_e32 v24, 0
	s_or_b64 s[0:1], s[0:1], s[12:13]
	s_or_b64 exec, exec, s[10:11]
	s_and_saveexec_b64 s[10:11], s[0:1]
	s_cbranch_execnz .LBB261_67
	s_branch .LBB261_68
.LBB261_170:                            ;   in Loop: Header=BB261_44 Depth=1
	v_cmp_eq_u16_sdwa s[36:37], v6, s21 src0_sel:BYTE_0 src1_sel:DWORD
	s_mov_b64 s[0:1], -1
                                        ; implicit-def: $sgpr16
	s_and_saveexec_b64 s[12:13], s[36:37]
; %bb.171:                              ;   in Loop: Header=BB261_44 Depth=1
	s_mov_b32 s16, 0x7fc02000
	s_xor_b64 s[0:1], exec, -1
; %bb.172:                              ;   in Loop: Header=BB261_44 Depth=1
	s_or_b64 exec, exec, s[12:13]
	s_and_b64 s[0:1], s[0:1], exec
	s_or_saveexec_b64 s[10:11], s[10:11]
	v_mov_b32_e32 v25, s16
	s_xor_b64 exec, exec, s[10:11]
	s_cbranch_execz .LBB261_70
.LBB261_173:                            ;   in Loop: Header=BB261_44 Depth=1
	v_cmp_ne_u16_sdwa s[12:13], v6, v7 src0_sel:BYTE_0 src1_sel:DWORD
	s_andn2_b64 s[0:1], s[0:1], exec
	s_and_b64 s[12:13], s[12:13], exec
	v_mov_b32_e32 v25, 0
	s_or_b64 s[0:1], s[0:1], s[12:13]
	s_or_b64 exec, exec, s[10:11]
	s_and_saveexec_b64 s[10:11], s[0:1]
	s_cbranch_execnz .LBB261_71
	s_branch .LBB261_72
.LBB261_174:                            ;   in Loop: Header=BB261_44 Depth=1
	v_cmp_eq_u16_e32 vcc, s21, v6
	s_mov_b64 s[0:1], -1
                                        ; implicit-def: $sgpr16
	s_and_saveexec_b64 s[12:13], vcc
; %bb.175:                              ;   in Loop: Header=BB261_44 Depth=1
	s_mov_b32 s16, 0x7fc02000
	s_xor_b64 s[0:1], exec, -1
; %bb.176:                              ;   in Loop: Header=BB261_44 Depth=1
	s_or_b64 exec, exec, s[12:13]
	s_and_b64 s[0:1], s[0:1], exec
	s_or_saveexec_b64 s[10:11], s[10:11]
	v_mov_b32_e32 v26, s16
	s_xor_b64 exec, exec, s[10:11]
	s_cbranch_execz .LBB261_74
.LBB261_177:                            ;   in Loop: Header=BB261_44 Depth=1
	v_cmp_ne_u16_e32 vcc, 0, v6
	s_andn2_b64 s[0:1], s[0:1], exec
	s_and_b64 s[12:13], vcc, exec
	v_mov_b32_e32 v26, 0
	s_or_b64 s[0:1], s[0:1], s[12:13]
	s_or_b64 exec, exec, s[10:11]
	s_and_saveexec_b64 s[10:11], s[0:1]
	s_cbranch_execnz .LBB261_75
	s_branch .LBB261_76
.LBB261_178:                            ;   in Loop: Header=BB261_44 Depth=1
	v_cmp_eq_u16_sdwa s[36:37], v16, s21 src0_sel:BYTE_0 src1_sel:DWORD
	s_mov_b64 s[0:1], -1
                                        ; implicit-def: $sgpr16
	s_and_saveexec_b64 s[12:13], s[36:37]
; %bb.179:                              ;   in Loop: Header=BB261_44 Depth=1
	s_mov_b32 s16, 0x7fc02000
	s_xor_b64 s[0:1], exec, -1
; %bb.180:                              ;   in Loop: Header=BB261_44 Depth=1
	s_or_b64 exec, exec, s[12:13]
	s_and_b64 s[0:1], s[0:1], exec
	s_or_saveexec_b64 s[10:11], s[10:11]
	v_mov_b32_e32 v18, s16
	s_xor_b64 exec, exec, s[10:11]
	s_cbranch_execz .LBB261_80
.LBB261_181:                            ;   in Loop: Header=BB261_44 Depth=1
	v_cmp_ne_u16_sdwa s[12:13], v16, v7 src0_sel:BYTE_0 src1_sel:DWORD
	s_andn2_b64 s[0:1], s[0:1], exec
	s_and_b64 s[12:13], s[12:13], exec
	v_mov_b32_e32 v18, 0
	s_or_b64 s[0:1], s[0:1], s[12:13]
	s_or_b64 exec, exec, s[10:11]
	s_and_saveexec_b64 s[10:11], s[0:1]
	s_cbranch_execnz .LBB261_81
	s_branch .LBB261_82
.LBB261_182:                            ;   in Loop: Header=BB261_44 Depth=1
	v_cmp_eq_u16_e64 s[0:1], s21, v6
	s_mov_b64 s[10:11], -1
                                        ; implicit-def: $sgpr27
	s_and_saveexec_b64 s[16:17], s[0:1]
; %bb.183:                              ;   in Loop: Header=BB261_44 Depth=1
	s_mov_b32 s27, 0x7fc02000
	s_xor_b64 s[10:11], exec, -1
; %bb.184:                              ;   in Loop: Header=BB261_44 Depth=1
	s_or_b64 exec, exec, s[16:17]
	s_and_b64 s[10:11], s[10:11], exec
	s_or_saveexec_b64 s[12:13], s[12:13]
	v_mov_b32_e32 v20, s27
	s_xor_b64 exec, exec, s[12:13]
	s_cbranch_execz .LBB261_84
.LBB261_185:                            ;   in Loop: Header=BB261_44 Depth=1
	v_cmp_ne_u16_e64 s[0:1], 0, v6
	s_andn2_b64 s[10:11], s[10:11], exec
	s_and_b64 s[0:1], s[0:1], exec
	v_mov_b32_e32 v20, 0
	s_or_b64 s[10:11], s[10:11], s[0:1]
	s_or_b64 exec, exec, s[12:13]
	s_and_saveexec_b64 s[12:13], s[10:11]
	s_cbranch_execnz .LBB261_85
	s_branch .LBB261_86
.LBB261_186:                            ;   in Loop: Header=BB261_44 Depth=1
	v_cmp_eq_u16_sdwa s[36:37], v6, s21 src0_sel:BYTE_0 src1_sel:DWORD
	s_mov_b64 s[0:1], -1
                                        ; implicit-def: $sgpr16
	s_and_saveexec_b64 s[12:13], s[36:37]
; %bb.187:                              ;   in Loop: Header=BB261_44 Depth=1
	s_mov_b32 s16, 0x7fc02000
	s_xor_b64 s[0:1], exec, -1
; %bb.188:                              ;   in Loop: Header=BB261_44 Depth=1
	s_or_b64 exec, exec, s[12:13]
	s_and_b64 s[0:1], s[0:1], exec
	s_or_saveexec_b64 s[10:11], s[10:11]
	v_mov_b32_e32 v19, s16
	s_xor_b64 exec, exec, s[10:11]
	s_cbranch_execz .LBB261_88
.LBB261_189:                            ;   in Loop: Header=BB261_44 Depth=1
	v_cmp_ne_u16_sdwa s[12:13], v6, v7 src0_sel:BYTE_0 src1_sel:DWORD
	s_andn2_b64 s[0:1], s[0:1], exec
	s_and_b64 s[12:13], s[12:13], exec
	v_mov_b32_e32 v19, 0
	s_or_b64 s[0:1], s[0:1], s[12:13]
	s_or_b64 exec, exec, s[10:11]
	s_and_saveexec_b64 s[10:11], s[0:1]
	s_cbranch_execnz .LBB261_89
	s_branch .LBB261_90
.LBB261_190:                            ;   in Loop: Header=BB261_44 Depth=1
	v_cmp_eq_u16_e64 s[0:1], s21, v6
	s_mov_b64 s[10:11], -1
                                        ; implicit-def: $sgpr27
	s_and_saveexec_b64 s[16:17], s[0:1]
; %bb.191:                              ;   in Loop: Header=BB261_44 Depth=1
	s_mov_b32 s27, 0x7fc02000
	s_xor_b64 s[10:11], exec, -1
; %bb.192:                              ;   in Loop: Header=BB261_44 Depth=1
	s_or_b64 exec, exec, s[16:17]
	s_and_b64 s[10:11], s[10:11], exec
	s_or_saveexec_b64 s[12:13], s[12:13]
	v_mov_b32_e32 v21, s27
	s_xor_b64 exec, exec, s[12:13]
	s_cbranch_execz .LBB261_92
.LBB261_193:                            ;   in Loop: Header=BB261_44 Depth=1
	v_cmp_ne_u16_e64 s[0:1], 0, v6
	s_andn2_b64 s[10:11], s[10:11], exec
	s_and_b64 s[0:1], s[0:1], exec
	v_mov_b32_e32 v21, 0
	s_or_b64 s[10:11], s[10:11], s[0:1]
	s_or_b64 exec, exec, s[12:13]
	s_and_saveexec_b64 s[12:13], s[10:11]
	s_cbranch_execnz .LBB261_93
	s_branch .LBB261_94
.LBB261_194:                            ;   in Loop: Header=BB261_44 Depth=1
	v_cmp_eq_u16_sdwa s[36:37], v17, s21 src0_sel:BYTE_0 src1_sel:DWORD
	s_mov_b64 s[0:1], -1
                                        ; implicit-def: $sgpr16
	s_and_saveexec_b64 s[12:13], s[36:37]
; %bb.195:                              ;   in Loop: Header=BB261_44 Depth=1
	s_mov_b32 s16, 0x7fc02000
	s_xor_b64 s[0:1], exec, -1
; %bb.196:                              ;   in Loop: Header=BB261_44 Depth=1
	s_or_b64 exec, exec, s[12:13]
	s_and_b64 s[0:1], s[0:1], exec
	s_or_saveexec_b64 s[10:11], s[10:11]
	v_mov_b32_e32 v16, s16
	s_xor_b64 exec, exec, s[10:11]
	s_cbranch_execz .LBB261_96
.LBB261_197:                            ;   in Loop: Header=BB261_44 Depth=1
	v_cmp_ne_u16_sdwa s[12:13], v17, v7 src0_sel:BYTE_0 src1_sel:DWORD
	s_andn2_b64 s[0:1], s[0:1], exec
	s_and_b64 s[12:13], s[12:13], exec
	v_mov_b32_e32 v16, 0
	s_or_b64 s[0:1], s[0:1], s[12:13]
	s_or_b64 exec, exec, s[10:11]
	v_mov_b32_e32 v6, v17
	s_and_saveexec_b64 s[10:11], s[0:1]
	s_cbranch_execnz .LBB261_97
	s_branch .LBB261_98
.LBB261_198:                            ;   in Loop: Header=BB261_44 Depth=1
	v_cmp_eq_u16_e64 s[0:1], s21, v6
	s_mov_b64 s[10:11], -1
                                        ; implicit-def: $sgpr27
	s_and_saveexec_b64 s[16:17], s[0:1]
; %bb.199:                              ;   in Loop: Header=BB261_44 Depth=1
	s_mov_b32 s27, 0x7fc02000
	s_xor_b64 s[10:11], exec, -1
; %bb.200:                              ;   in Loop: Header=BB261_44 Depth=1
	s_or_b64 exec, exec, s[16:17]
	s_and_b64 s[10:11], s[10:11], exec
	s_or_saveexec_b64 s[12:13], s[12:13]
	v_mov_b32_e32 v37, s27
	s_xor_b64 exec, exec, s[12:13]
	s_cbranch_execz .LBB261_100
.LBB261_201:                            ;   in Loop: Header=BB261_44 Depth=1
	v_cmp_ne_u16_e64 s[0:1], 0, v6
	s_andn2_b64 s[10:11], s[10:11], exec
	s_and_b64 s[0:1], s[0:1], exec
	v_mov_b32_e32 v37, 0
	s_or_b64 s[10:11], s[10:11], s[0:1]
	s_or_b64 exec, exec, s[12:13]
	s_and_saveexec_b64 s[12:13], s[10:11]
	s_cbranch_execnz .LBB261_101
	s_branch .LBB261_102
.LBB261_202:                            ;   in Loop: Header=BB261_44 Depth=1
	v_cmp_eq_u16_sdwa s[36:37], v6, s21 src0_sel:BYTE_0 src1_sel:DWORD
	s_mov_b64 s[0:1], -1
                                        ; implicit-def: $sgpr16
	s_and_saveexec_b64 s[12:13], s[36:37]
; %bb.203:                              ;   in Loop: Header=BB261_44 Depth=1
	s_mov_b32 s16, 0x7fc02000
	s_xor_b64 s[0:1], exec, -1
; %bb.204:                              ;   in Loop: Header=BB261_44 Depth=1
	s_or_b64 exec, exec, s[12:13]
	s_and_b64 s[0:1], s[0:1], exec
	s_or_saveexec_b64 s[10:11], s[10:11]
	v_mov_b32_e32 v38, s16
	s_xor_b64 exec, exec, s[10:11]
	s_cbranch_execz .LBB261_104
.LBB261_205:                            ;   in Loop: Header=BB261_44 Depth=1
	v_cmp_ne_u16_sdwa s[12:13], v6, v7 src0_sel:BYTE_0 src1_sel:DWORD
	s_andn2_b64 s[0:1], s[0:1], exec
	s_and_b64 s[12:13], s[12:13], exec
	v_mov_b32_e32 v38, 0
	s_or_b64 s[0:1], s[0:1], s[12:13]
	s_or_b64 exec, exec, s[10:11]
	s_and_saveexec_b64 s[10:11], s[0:1]
	s_cbranch_execnz .LBB261_105
	s_branch .LBB261_106
.LBB261_206:                            ;   in Loop: Header=BB261_44 Depth=1
	v_cmp_eq_u16_e64 s[0:1], s21, v6
	s_mov_b64 s[10:11], -1
                                        ; implicit-def: $sgpr27
	s_and_saveexec_b64 s[16:17], s[0:1]
; %bb.207:                              ;   in Loop: Header=BB261_44 Depth=1
	s_mov_b32 s27, 0x7fc02000
	s_xor_b64 s[10:11], exec, -1
; %bb.208:                              ;   in Loop: Header=BB261_44 Depth=1
	s_or_b64 exec, exec, s[16:17]
	s_and_b64 s[10:11], s[10:11], exec
	s_or_saveexec_b64 s[12:13], s[12:13]
	v_mov_b32_e32 v39, s27
	s_xor_b64 exec, exec, s[12:13]
	s_cbranch_execz .LBB261_108
.LBB261_209:                            ;   in Loop: Header=BB261_44 Depth=1
	v_cmp_ne_u16_e64 s[0:1], 0, v6
	s_andn2_b64 s[10:11], s[10:11], exec
	s_and_b64 s[0:1], s[0:1], exec
	v_mov_b32_e32 v39, 0
	s_or_b64 s[10:11], s[10:11], s[0:1]
	s_or_b64 exec, exec, s[12:13]
	s_and_saveexec_b64 s[12:13], s[10:11]
	s_cbranch_execnz .LBB261_109
	s_branch .LBB261_110
.LBB261_210:                            ;   in Loop: Header=BB261_44 Depth=1
	v_cmp_eq_u16_sdwa s[36:37], v16, s21 src0_sel:BYTE_0 src1_sel:DWORD
	s_mov_b64 s[0:1], -1
                                        ; implicit-def: $sgpr16
	s_and_saveexec_b64 s[12:13], s[36:37]
; %bb.211:                              ;   in Loop: Header=BB261_44 Depth=1
	s_mov_b32 s16, 0x7fc02000
	s_xor_b64 s[0:1], exec, -1
; %bb.212:                              ;   in Loop: Header=BB261_44 Depth=1
	s_or_b64 exec, exec, s[12:13]
	s_and_b64 s[0:1], s[0:1], exec
	s_or_saveexec_b64 s[10:11], s[10:11]
	v_mov_b32_e32 v12, s16
	s_xor_b64 exec, exec, s[10:11]
	s_cbranch_execz .LBB261_114
.LBB261_213:                            ;   in Loop: Header=BB261_44 Depth=1
	v_cmp_ne_u16_sdwa s[12:13], v16, v7 src0_sel:BYTE_0 src1_sel:DWORD
	s_andn2_b64 s[0:1], s[0:1], exec
	s_and_b64 s[12:13], s[12:13], exec
	v_mov_b32_e32 v12, 0
	s_or_b64 s[0:1], s[0:1], s[12:13]
	s_or_b64 exec, exec, s[10:11]
	s_and_saveexec_b64 s[10:11], s[0:1]
	s_cbranch_execnz .LBB261_115
	s_branch .LBB261_116
.LBB261_214:                            ;   in Loop: Header=BB261_44 Depth=1
	v_cmp_eq_u16_e64 s[0:1], s21, v6
	s_mov_b64 s[10:11], -1
                                        ; implicit-def: $sgpr27
	s_and_saveexec_b64 s[16:17], s[0:1]
; %bb.215:                              ;   in Loop: Header=BB261_44 Depth=1
	s_mov_b32 s27, 0x7fc02000
	s_xor_b64 s[10:11], exec, -1
; %bb.216:                              ;   in Loop: Header=BB261_44 Depth=1
	s_or_b64 exec, exec, s[16:17]
	s_and_b64 s[10:11], s[10:11], exec
	s_or_saveexec_b64 s[12:13], s[12:13]
	v_mov_b32_e32 v18, s27
	s_xor_b64 exec, exec, s[12:13]
	s_cbranch_execz .LBB261_118
.LBB261_217:                            ;   in Loop: Header=BB261_44 Depth=1
	v_cmp_ne_u16_e64 s[0:1], 0, v6
	s_andn2_b64 s[10:11], s[10:11], exec
	s_and_b64 s[0:1], s[0:1], exec
	v_mov_b32_e32 v18, 0
	s_or_b64 s[10:11], s[10:11], s[0:1]
	s_or_b64 exec, exec, s[12:13]
	s_and_saveexec_b64 s[12:13], s[10:11]
	s_cbranch_execnz .LBB261_119
	s_branch .LBB261_120
.LBB261_218:                            ;   in Loop: Header=BB261_44 Depth=1
	v_cmp_eq_u16_sdwa s[36:37], v6, s21 src0_sel:BYTE_0 src1_sel:DWORD
	s_mov_b64 s[0:1], -1
                                        ; implicit-def: $sgpr16
	s_and_saveexec_b64 s[12:13], s[36:37]
; %bb.219:                              ;   in Loop: Header=BB261_44 Depth=1
	s_mov_b32 s16, 0x7fc02000
	s_xor_b64 s[0:1], exec, -1
; %bb.220:                              ;   in Loop: Header=BB261_44 Depth=1
	s_or_b64 exec, exec, s[12:13]
	s_and_b64 s[0:1], s[0:1], exec
	s_or_saveexec_b64 s[10:11], s[10:11]
	v_mov_b32_e32 v13, s16
	s_xor_b64 exec, exec, s[10:11]
	s_cbranch_execz .LBB261_122
.LBB261_221:                            ;   in Loop: Header=BB261_44 Depth=1
	v_cmp_ne_u16_sdwa s[12:13], v6, v7 src0_sel:BYTE_0 src1_sel:DWORD
	s_andn2_b64 s[0:1], s[0:1], exec
	s_and_b64 s[12:13], s[12:13], exec
	v_mov_b32_e32 v13, 0
	s_or_b64 s[0:1], s[0:1], s[12:13]
	s_or_b64 exec, exec, s[10:11]
	s_and_saveexec_b64 s[10:11], s[0:1]
	s_cbranch_execnz .LBB261_123
	s_branch .LBB261_124
.LBB261_222:                            ;   in Loop: Header=BB261_44 Depth=1
	v_cmp_eq_u16_e64 s[0:1], s21, v6
	s_mov_b64 s[10:11], -1
                                        ; implicit-def: $sgpr27
	s_and_saveexec_b64 s[16:17], s[0:1]
; %bb.223:                              ;   in Loop: Header=BB261_44 Depth=1
	s_mov_b32 s27, 0x7fc02000
	s_xor_b64 s[10:11], exec, -1
; %bb.224:                              ;   in Loop: Header=BB261_44 Depth=1
	s_or_b64 exec, exec, s[16:17]
	s_and_b64 s[10:11], s[10:11], exec
	s_or_saveexec_b64 s[12:13], s[12:13]
	v_mov_b32_e32 v19, s27
	s_xor_b64 exec, exec, s[12:13]
	s_cbranch_execz .LBB261_126
.LBB261_225:                            ;   in Loop: Header=BB261_44 Depth=1
	v_cmp_ne_u16_e64 s[0:1], 0, v6
	s_andn2_b64 s[10:11], s[10:11], exec
	s_and_b64 s[0:1], s[0:1], exec
	v_mov_b32_e32 v19, 0
	s_or_b64 s[10:11], s[10:11], s[0:1]
	s_or_b64 exec, exec, s[12:13]
	s_and_saveexec_b64 s[12:13], s[10:11]
	s_cbranch_execnz .LBB261_127
	s_branch .LBB261_128
.LBB261_226:                            ;   in Loop: Header=BB261_44 Depth=1
	v_cmp_eq_u16_sdwa s[36:37], v17, s21 src0_sel:BYTE_0 src1_sel:DWORD
	s_mov_b64 s[0:1], -1
                                        ; implicit-def: $sgpr16
	s_and_saveexec_b64 s[12:13], s[36:37]
; %bb.227:                              ;   in Loop: Header=BB261_44 Depth=1
	s_mov_b32 s16, 0x7fc02000
	s_xor_b64 s[0:1], exec, -1
; %bb.228:                              ;   in Loop: Header=BB261_44 Depth=1
	s_or_b64 exec, exec, s[12:13]
	s_and_b64 s[0:1], s[0:1], exec
	s_or_saveexec_b64 s[10:11], s[10:11]
	v_mov_b32_e32 v16, s16
	s_xor_b64 exec, exec, s[10:11]
	s_cbranch_execz .LBB261_130
.LBB261_229:                            ;   in Loop: Header=BB261_44 Depth=1
	v_cmp_ne_u16_sdwa s[12:13], v17, v7 src0_sel:BYTE_0 src1_sel:DWORD
	s_andn2_b64 s[0:1], s[0:1], exec
	s_and_b64 s[12:13], s[12:13], exec
	v_mov_b32_e32 v16, 0
	s_or_b64 s[0:1], s[0:1], s[12:13]
	s_or_b64 exec, exec, s[10:11]
	v_mov_b32_e32 v6, v17
	s_and_saveexec_b64 s[10:11], s[0:1]
	s_cbranch_execnz .LBB261_131
	s_branch .LBB261_132
.LBB261_230:                            ;   in Loop: Header=BB261_44 Depth=1
	v_cmp_eq_u16_e64 s[0:1], s21, v6
	s_mov_b64 s[10:11], -1
                                        ; implicit-def: $sgpr27
	s_and_saveexec_b64 s[16:17], s[0:1]
; %bb.231:                              ;   in Loop: Header=BB261_44 Depth=1
	s_mov_b32 s27, 0x7fc02000
	s_xor_b64 s[10:11], exec, -1
; %bb.232:                              ;   in Loop: Header=BB261_44 Depth=1
	s_or_b64 exec, exec, s[16:17]
	s_and_b64 s[10:11], s[10:11], exec
	s_or_saveexec_b64 s[12:13], s[12:13]
	v_mov_b32_e32 v37, s27
	s_xor_b64 exec, exec, s[12:13]
	s_cbranch_execz .LBB261_134
.LBB261_233:                            ;   in Loop: Header=BB261_44 Depth=1
	v_cmp_ne_u16_e64 s[0:1], 0, v6
	s_andn2_b64 s[10:11], s[10:11], exec
	s_and_b64 s[0:1], s[0:1], exec
	v_mov_b32_e32 v37, 0
	s_or_b64 s[10:11], s[10:11], s[0:1]
	s_or_b64 exec, exec, s[12:13]
	s_and_saveexec_b64 s[12:13], s[10:11]
	s_cbranch_execnz .LBB261_135
	s_branch .LBB261_136
.LBB261_234:                            ;   in Loop: Header=BB261_44 Depth=1
	v_cmp_eq_u16_sdwa s[36:37], v6, s21 src0_sel:BYTE_0 src1_sel:DWORD
	s_mov_b64 s[0:1], -1
                                        ; implicit-def: $sgpr16
	s_and_saveexec_b64 s[12:13], s[36:37]
; %bb.235:                              ;   in Loop: Header=BB261_44 Depth=1
	s_mov_b32 s16, 0x7fc02000
	s_xor_b64 s[0:1], exec, -1
; %bb.236:                              ;   in Loop: Header=BB261_44 Depth=1
	s_or_b64 exec, exec, s[12:13]
	s_and_b64 s[0:1], s[0:1], exec
	s_or_saveexec_b64 s[10:11], s[10:11]
	v_mov_b32_e32 v38, s16
	s_xor_b64 exec, exec, s[10:11]
	s_cbranch_execz .LBB261_138
.LBB261_237:                            ;   in Loop: Header=BB261_44 Depth=1
	v_cmp_ne_u16_sdwa s[12:13], v6, v7 src0_sel:BYTE_0 src1_sel:DWORD
	s_andn2_b64 s[0:1], s[0:1], exec
	s_and_b64 s[12:13], s[12:13], exec
	v_mov_b32_e32 v38, 0
	s_or_b64 s[0:1], s[0:1], s[12:13]
	s_or_b64 exec, exec, s[10:11]
	s_and_saveexec_b64 s[10:11], s[0:1]
	s_cbranch_execnz .LBB261_139
	s_branch .LBB261_140
.LBB261_238:                            ;   in Loop: Header=BB261_44 Depth=1
	v_cmp_eq_u16_e64 s[0:1], s21, v6
	s_mov_b64 s[10:11], -1
                                        ; implicit-def: $sgpr27
	s_and_saveexec_b64 s[16:17], s[0:1]
; %bb.239:                              ;   in Loop: Header=BB261_44 Depth=1
	s_mov_b32 s27, 0x7fc02000
	s_xor_b64 s[10:11], exec, -1
; %bb.240:                              ;   in Loop: Header=BB261_44 Depth=1
	s_or_b64 exec, exec, s[16:17]
	s_and_b64 s[10:11], s[10:11], exec
	s_or_saveexec_b64 s[12:13], s[12:13]
	v_mov_b32_e32 v39, s27
	s_xor_b64 exec, exec, s[12:13]
	s_cbranch_execz .LBB261_142
.LBB261_241:                            ;   in Loop: Header=BB261_44 Depth=1
	v_cmp_ne_u16_e64 s[0:1], 0, v6
	s_andn2_b64 s[10:11], s[10:11], exec
	s_and_b64 s[0:1], s[0:1], exec
	v_mov_b32_e32 v39, 0
	s_or_b64 s[10:11], s[10:11], s[0:1]
	s_or_b64 exec, exec, s[12:13]
	s_and_saveexec_b64 s[12:13], s[10:11]
	s_cbranch_execnz .LBB261_143
	s_branch .LBB261_144
.LBB261_242:
	s_or_b64 exec, exec, s[8:9]
.LBB261_243:
	s_or_b64 exec, exec, s[2:3]
	v_and_b32_e32 v2, 0x3c0, v0
	v_cmp_eq_u32_e32 vcc, 64, v2
	s_barrier
	s_and_saveexec_b64 s[0:1], vcc
	s_cbranch_execz .LBB261_245
; %bb.244:
	v_mov_b32_e32 v2, 0x190
	v_lshl_add_u32 v1, v1, 2, v2
	v_lshl_add_u32 v2, v0, 2, v2
	ds_write_b32 v1, v4
	ds_write_b32 v2, v5
	ds_write_b32 v1, v15 offset:512
.LBB261_245:
	s_or_b64 exec, exec, s[0:1]
	v_cmp_gt_u32_e32 vcc, 64, v0
	s_waitcnt lgkmcnt(0)
	s_barrier
	s_and_saveexec_b64 s[0:1], vcc
	s_cbranch_execz .LBB261_247
; %bb.246:
	v_mov_b32_e32 v1, 0x190
	v_lshl_add_u32 v1, v0, 2, v1
	ds_read2st64_b32 v[2:3], v1 offset1:1
	ds_read_b32 v1, v1 offset:512
	s_waitcnt lgkmcnt(1)
	v_pk_add_f32 v[4:5], v[4:5], v[2:3]
	s_waitcnt lgkmcnt(0)
	v_add_f32_e32 v15, v15, v1
.LBB261_247:
	s_or_b64 exec, exec, s[0:1]
	s_barrier
	s_and_saveexec_b64 s[0:1], vcc
	s_cbranch_execz .LBB261_249
; %bb.248:
	s_mul_i32 s0, s6, 0xc0
	s_ashr_i32 s1, s0, 31
	s_lshl_b64 s[0:1], s[0:1], 1
	s_add_u32 s2, s28, s0
	s_mul_i32 s0, s33, s30
	s_addc_u32 s3, s29, s1
	s_ashr_i32 s1, s0, 31
	s_lshl_b64 s[0:1], s[0:1], 1
	s_add_u32 s2, s2, s0
	s_mul_i32 s0, s4, 0xc0
	s_addc_u32 s3, s3, s1
	s_ashr_i32 s1, s0, 31
	s_lshl_b64 s[0:1], s[0:1], 1
	s_add_u32 s0, s2, s0
	s_addc_u32 s1, s3, s1
	v_lshlrev_b32_e32 v0, 1, v0
	;;#ASMSTART
	v_cvt_f16_f32 v1, v4;

	;;#ASMEND
	global_store_short v0, v1, s[0:1]
	;;#ASMSTART
	v_cvt_f16_f32 v1, v5;

	;;#ASMEND
	global_store_short v0, v1, s[0:1] offset:128
	;;#ASMSTART
	v_cvt_f16_f32 v1, v15;

	;;#ASMEND
	global_store_short v0, v1, s[0:1] offset:256
.LBB261_249:
	s_endpgm
	.section	.rodata,"a",@progbits
	.p2align	6, 0x0
	.amdhsa_kernel _ZN4vllm25paged_attention_v2_kernelIthLi192ELi8ELi128ELNS_18Fp8KVCacheDataTypeE1ELb0ELi512EEEvPfS2_PT_PKS3_PKT0_S9_ifPKiSB_iPKfiiiSD_SD_iiiii
		.amdhsa_group_segment_fixed_size 400
		.amdhsa_private_segment_fixed_size 0
		.amdhsa_kernarg_size 400
		.amdhsa_user_sgpr_count 2
		.amdhsa_user_sgpr_dispatch_ptr 0
		.amdhsa_user_sgpr_queue_ptr 0
		.amdhsa_user_sgpr_kernarg_segment_ptr 1
		.amdhsa_user_sgpr_dispatch_id 0
		.amdhsa_user_sgpr_kernarg_preload_length 0
		.amdhsa_user_sgpr_kernarg_preload_offset 0
		.amdhsa_user_sgpr_private_segment_size 0
		.amdhsa_uses_dynamic_stack 0
		.amdhsa_enable_private_segment 0
		.amdhsa_system_sgpr_workgroup_id_x 1
		.amdhsa_system_sgpr_workgroup_id_y 1
		.amdhsa_system_sgpr_workgroup_id_z 1
		.amdhsa_system_sgpr_workgroup_info 0
		.amdhsa_system_vgpr_workitem_id 0
		.amdhsa_next_free_vgpr 64
		.amdhsa_next_free_sgpr 46
		.amdhsa_accum_offset 64
		.amdhsa_reserve_vcc 1
		.amdhsa_float_round_mode_32 0
		.amdhsa_float_round_mode_16_64 0
		.amdhsa_float_denorm_mode_32 3
		.amdhsa_float_denorm_mode_16_64 3
		.amdhsa_dx10_clamp 1
		.amdhsa_ieee_mode 1
		.amdhsa_fp16_overflow 0
		.amdhsa_tg_split 0
		.amdhsa_exception_fp_ieee_invalid_op 0
		.amdhsa_exception_fp_denorm_src 0
		.amdhsa_exception_fp_ieee_div_zero 0
		.amdhsa_exception_fp_ieee_overflow 0
		.amdhsa_exception_fp_ieee_underflow 0
		.amdhsa_exception_fp_ieee_inexact 0
		.amdhsa_exception_int_div_zero 0
	.end_amdhsa_kernel
	.section	.text._ZN4vllm25paged_attention_v2_kernelIthLi192ELi8ELi128ELNS_18Fp8KVCacheDataTypeE1ELb0ELi512EEEvPfS2_PT_PKS3_PKT0_S9_ifPKiSB_iPKfiiiSD_SD_iiiii,"axG",@progbits,_ZN4vllm25paged_attention_v2_kernelIthLi192ELi8ELi128ELNS_18Fp8KVCacheDataTypeE1ELb0ELi512EEEvPfS2_PT_PKS3_PKT0_S9_ifPKiSB_iPKfiiiSD_SD_iiiii,comdat
.Lfunc_end261:
	.size	_ZN4vllm25paged_attention_v2_kernelIthLi192ELi8ELi128ELNS_18Fp8KVCacheDataTypeE1ELb0ELi512EEEvPfS2_PT_PKS3_PKT0_S9_ifPKiSB_iPKfiiiSD_SD_iiiii, .Lfunc_end261-_ZN4vllm25paged_attention_v2_kernelIthLi192ELi8ELi128ELNS_18Fp8KVCacheDataTypeE1ELb0ELi512EEEvPfS2_PT_PKS3_PKT0_S9_ifPKiSB_iPKfiiiSD_SD_iiiii
                                        ; -- End function
	.section	.AMDGPU.csdata,"",@progbits
; Kernel info:
; codeLenInByte = 12192
; NumSgprs: 52
; NumVgprs: 64
; NumAgprs: 0
; TotalNumVgprs: 64
; ScratchSize: 0
; MemoryBound: 0
; FloatMode: 240
; IeeeMode: 1
; LDSByteSize: 400 bytes/workgroup (compile time only)
; SGPRBlocks: 6
; VGPRBlocks: 7
; NumSGPRsForWavesPerEU: 52
; NumVGPRsForWavesPerEU: 64
; AccumOffset: 64
; Occupancy: 8
; WaveLimiterHint : 1
; COMPUTE_PGM_RSRC2:SCRATCH_EN: 0
; COMPUTE_PGM_RSRC2:USER_SGPR: 2
; COMPUTE_PGM_RSRC2:TRAP_HANDLER: 0
; COMPUTE_PGM_RSRC2:TGID_X_EN: 1
; COMPUTE_PGM_RSRC2:TGID_Y_EN: 1
; COMPUTE_PGM_RSRC2:TGID_Z_EN: 1
; COMPUTE_PGM_RSRC2:TIDIG_COMP_CNT: 0
; COMPUTE_PGM_RSRC3_GFX90A:ACCUM_OFFSET: 15
; COMPUTE_PGM_RSRC3_GFX90A:TG_SPLIT: 0
	.section	.text._ZN4vllm25paged_attention_v2_kernelIthLi256ELi8ELi128ELNS_18Fp8KVCacheDataTypeE1ELb0ELi512EEEvPfS2_PT_PKS3_PKT0_S9_ifPKiSB_iPKfiiiSD_SD_iiiii,"axG",@progbits,_ZN4vllm25paged_attention_v2_kernelIthLi256ELi8ELi128ELNS_18Fp8KVCacheDataTypeE1ELb0ELi512EEEvPfS2_PT_PKS3_PKT0_S9_ifPKiSB_iPKfiiiSD_SD_iiiii,comdat
	.protected	_ZN4vllm25paged_attention_v2_kernelIthLi256ELi8ELi128ELNS_18Fp8KVCacheDataTypeE1ELb0ELi512EEEvPfS2_PT_PKS3_PKT0_S9_ifPKiSB_iPKfiiiSD_SD_iiiii ; -- Begin function _ZN4vllm25paged_attention_v2_kernelIthLi256ELi8ELi128ELNS_18Fp8KVCacheDataTypeE1ELb0ELi512EEEvPfS2_PT_PKS3_PKT0_S9_ifPKiSB_iPKfiiiSD_SD_iiiii
	.globl	_ZN4vllm25paged_attention_v2_kernelIthLi256ELi8ELi128ELNS_18Fp8KVCacheDataTypeE1ELb0ELi512EEEvPfS2_PT_PKS3_PKT0_S9_ifPKiSB_iPKfiiiSD_SD_iiiii
	.p2align	8
	.type	_ZN4vllm25paged_attention_v2_kernelIthLi256ELi8ELi128ELNS_18Fp8KVCacheDataTypeE1ELb0ELi512EEEvPfS2_PT_PKS3_PKT0_S9_ifPKiSB_iPKfiiiSD_SD_iiiii,@function
_ZN4vllm25paged_attention_v2_kernelIthLi256ELi8ELi128ELNS_18Fp8KVCacheDataTypeE1ELb0ELi512EEEvPfS2_PT_PKS3_PKT0_S9_ifPKiSB_iPKfiiiSD_SD_iiiii: ; @_ZN4vllm25paged_attention_v2_kernelIthLi256ELi8ELi128ELNS_18Fp8KVCacheDataTypeE1ELb0ELi512EEEvPfS2_PT_PKS3_PKT0_S9_ifPKiSB_iPKfiiiSD_SD_iiiii
; %bb.0:
	s_load_dwordx2 s[6:7], s[0:1], 0x40
	s_mov_b32 s34, s3
	s_ashr_i32 s35, s3, 31
	s_lshl_b64 s[8:9], s[34:35], 2
	s_waitcnt lgkmcnt(0)
	s_add_u32 s6, s6, s8
	s_addc_u32 s7, s7, s9
	s_load_dword s35, s[6:7], 0x0
	s_lshl_b32 s42, s4, 9
	s_waitcnt lgkmcnt(0)
	s_cmp_ge_i32 s42, s35
	s_cbranch_scc1 .LBB262_315
; %bb.1:
	s_load_dword s5, s[0:1], 0x90
	s_load_dwordx2 s[10:11], s[0:1], 0x30
	s_waitcnt lgkmcnt(0)
	s_abs_i32 s7, s5
	s_abs_i32 s3, s10
	v_cvt_f32_u32_e32 v1, s3
	s_sub_i32 s8, 0, s3
	s_xor_b32 s6, s5, s10
	s_ashr_i32 s6, s6, 31
	v_rcp_iflag_f32_e32 v1, v1
	s_nop 0
	v_mul_f32_e32 v1, 0x4f7ffffe, v1
	v_cvt_u32_f32_e32 v1, v1
	s_nop 0
	v_readfirstlane_b32 s9, v1
	s_mul_i32 s8, s8, s9
	s_mul_hi_u32 s8, s9, s8
	s_add_i32 s9, s9, s8
	s_mul_hi_u32 s8, s7, s9
	s_mul_i32 s9, s8, s3
	s_sub_i32 s7, s7, s9
	s_add_i32 s10, s8, 1
	s_sub_i32 s9, s7, s3
	s_cmp_ge_u32 s7, s3
	s_cselect_b32 s8, s10, s8
	s_cselect_b32 s7, s9, s7
	s_add_i32 s9, s8, 1
	s_cmp_ge_u32 s7, s3
	s_cselect_b32 s3, s9, s8
	s_xor_b32 s3, s3, s6
	s_sub_i32 s10, s3, s6
	s_abs_i32 s14, s10
	v_cvt_f32_u32_e32 v1, s14
	s_load_dwordx2 s[6:7], s[0:1], 0x50
	s_sub_i32 s3, 0, s14
	s_abs_i32 s15, s2
	v_rcp_iflag_f32_e32 v1, v1
	s_nop 0
	v_mul_f32_e32 v1, 0x4f7ffffe, v1
	v_cvt_u32_f32_e32 v1, v1
	s_nop 0
	v_readfirstlane_b32 s8, v1
	s_mul_i32 s3, s3, s8
	s_mul_hi_u32 s3, s8, s3
	s_add_i32 s8, s8, s3
	s_waitcnt lgkmcnt(0)
	s_cmp_eq_u64 s[6:7], 0
	s_mov_b32 s3, 0
	s_cbranch_scc1 .LBB262_3
; %bb.2:
	s_ashr_i32 s3, s2, 31
	s_lshl_b64 s[12:13], s[2:3], 2
	s_add_u32 s6, s6, s12
	s_addc_u32 s7, s7, s13
	s_load_dword s3, s[6:7], 0x0
.LBB262_3:
	s_load_dwordx4 s[24:27], s[0:1], 0x0
	s_load_dwordx2 s[28:29], s[0:1], 0x10
	s_load_dwordx4 s[16:19], s[0:1], 0x20
	s_load_dwordx2 s[36:37], s[0:1], 0x38
	s_load_dword s33, s[0:1], 0x98
	s_load_dwordx4 s[20:23], s[0:1], 0x58
	s_lshl_b32 s30, s2, 8
	s_movk_i32 s6, 0x100
	s_mul_hi_u32 s38, s15, s8
	v_and_b32_e32 v2, 7, v0
	s_ashr_i32 s31, s30, 31
	v_cmp_gt_u32_e32 vcc, s6, v0
	s_and_saveexec_b64 s[6:7], vcc
	s_cbranch_execz .LBB262_6
; %bb.4:
	s_load_dwordx2 s[8:9], s[0:1], 0x18
	s_waitcnt lgkmcnt(0)
	s_mul_i32 s12, s34, s20
	s_ashr_i32 s13, s12, 31
	s_lshl_b64 s[12:13], s[12:13], 1
	s_lshl_b64 s[40:41], s[30:31], 1
	s_add_u32 s12, s12, s40
	s_addc_u32 s13, s13, s41
	v_lshrrev_b32_e32 v4, 3, v0
	v_lshlrev_b32_e32 v5, 1, v2
	s_add_u32 s8, s8, s12
	v_add_u32_e32 v1, -16, v4
	v_lshlrev_b32_e32 v3, 1, v4
	v_lshl_or_b32 v4, v4, 4, v5
	v_mov_b32_e32 v5, 0
	s_addc_u32 s9, s9, s13
	v_lshl_add_u32 v3, v2, 6, v3
	v_lshl_add_u64 v[4:5], s[8:9], 0, v[4:5]
	s_mov_b64 s[8:9], 0
	s_mov_b64 s[12:13], 0x100
.LBB262_5:                              ; =>This Inner Loop Header: Depth=1
	global_load_ushort v6, v[4:5], off
	v_add_co_u32_e32 v1, vcc, 16, v1
	s_xor_b64 s[40:41], vcc, -1
	s_and_b64 s[40:41], exec, s[40:41]
	v_lshl_add_u64 v[4:5], v[4:5], 0, s[12:13]
	s_or_b64 s[8:9], s[40:41], s[8:9]
	s_waitcnt vmcnt(0)
	ds_write_b16 v3, v6
	v_add_u32_e32 v3, 32, v3
	s_andn2_b64 exec, exec, s[8:9]
	s_cbranch_execnz .LBB262_5
.LBB262_6:
	s_or_b64 exec, exec, s[6:7]
	s_add_i32 s8, s35, 7
	s_ashr_i32 s9, s8, 31
	s_ashr_i32 s6, s2, 31
	;; [unrolled: 1-line block ×3, first 2 shown]
	s_lshr_b32 s9, s9, 29
	s_add_i32 s8, s8, s9
	s_lshl_b32 s10, s4, 6
	s_xor_b32 s6, s6, s7
	s_mul_i32 s7, s38, s14
	s_ashr_i32 s31, s8, 3
	s_add_i32 s8, s10, 64
	s_sub_i32 s7, s15, s7
	s_waitcnt lgkmcnt(0)
	s_min_i32 s20, s8, s31
	s_add_i32 s8, s38, 1
	s_sub_i32 s9, s7, s14
	s_cmp_ge_u32 s7, s14
	s_cselect_b32 s8, s8, s38
	s_cselect_b32 s7, s9, s7
	s_add_i32 s9, s8, 1
	s_cmp_ge_u32 s7, s14
	s_cselect_b32 s7, s9, s8
	s_load_dword s8, s[0:1], 0x48
	v_lshrrev_b32_e32 v12, 6, v0
	s_xor_b32 s7, s7, s6
	v_or_b32_e32 v6, s10, v12
	s_sub_i32 s43, s7, s6
	s_waitcnt lgkmcnt(0)
	s_mul_i32 s38, s34, s8
	s_ashr_i32 s39, s38, 31
	v_cmp_gt_i32_e64 s[8:9], s20, v6
	v_cmp_le_i32_e32 vcc, s20, v6
	v_mbcnt_lo_u32_b32 v10, -1, 0
	s_barrier
	s_waitcnt lgkmcnt(0)
                                        ; implicit-def: $sgpr23
                                        ; implicit-def: $vgpr13
                                        ; implicit-def: $vgpr14
	s_and_saveexec_b64 s[6:7], vcc
	s_xor_b64 s[6:7], exec, s[6:7]
; %bb.7:
	v_mbcnt_hi_u32_b32 v13, -1, v10
	v_and_b32_e32 v1, 64, v13
	v_add_u32_e32 v14, 64, v1
	s_mov_b32 s23, 0xff7fffff
                                        ; implicit-def: $vgpr2
                                        ; implicit-def: $vgpr10
; %bb.8:
	s_or_saveexec_b64 s[40:41], s[6:7]
	s_load_dwordx4 s[12:15], s[0:1], 0x68
	v_mov_b32_e32 v1, s23
	s_mul_i32 s43, s43, s22
	v_ashrrev_i32_e32 v7, 31, v6
	s_xor_b64 exec, exec, s[40:41]
	s_cbranch_execz .LBB262_14
; %bb.9:
	s_ashr_i32 s1, s43, 31
	v_bfe_u32 v1, v0, 3, 3
	s_add_u32 s0, s16, s43
	v_mov_b32_e32 v3, 0
	s_addc_u32 s1, s17, s1
	v_lshlrev_b32_e32 v4, 4, v1
	v_mov_b32_e32 v5, v3
	v_lshl_add_u64 v[4:5], s[0:1], 0, v[4:5]
	s_sub_i32 s45, 1, s35
	v_lshlrev_b32_e32 v8, 3, v12
	s_lshl_b64 s[0:1], s[38:39], 2
	v_add3_u32 v16, s42, v8, v1
	v_lshlrev_b32_e32 v1, 2, v1
	s_add_u32 s0, s36, s0
	v_mbcnt_hi_u32_b32 v13, -1, v10
	v_lshl_or_b32 v1, v12, 5, v1
	s_addc_u32 s1, s37, s1
	v_and_b32_e32 v10, 64, v13
	s_mov_b32 s44, s21
	v_lshlrev_b32_e32 v15, 6, v2
	v_cmp_eq_u32_e32 vcc, 0, v2
	v_cmp_neq_f32_e64 s[6:7], s3, 0
	v_add_u32_e32 v17, 0x210, v1
	v_lshl_add_u64 v[8:9], v[6:7], 2, s[0:1]
	s_mov_b64 s[16:17], 0
	v_mov_b32_e32 v1, 0xff7fffff
	v_add_u32_e32 v14, 64, v10
	v_xor_b32_e32 v18, 4, v13
	v_xor_b32_e32 v19, 2, v13
	;; [unrolled: 1-line block ×3, first 2 shown]
	v_mov_b32_e32 v21, v6
	s_branch .LBB262_11
.LBB262_10:                             ;   in Loop: Header=BB262_11 Depth=1
	s_or_b64 exec, exec, s[22:23]
	v_add_u32_e32 v21, 2, v21
	v_cmp_le_i32_e64 s[0:1], s20, v21
	v_add_u32_e32 v16, 16, v16
	v_add_u32_e32 v17, 64, v17
	s_or_b64 s[16:17], s[0:1], s[16:17]
	v_lshl_add_u64 v[8:9], v[8:9], 0, 8
	s_andn2_b64 exec, exec, s[16:17]
	s_cbranch_execz .LBB262_13
.LBB262_11:                             ; =>This Inner Loop Header: Depth=1
	global_load_dword v10, v[8:9], off
	s_waitcnt vmcnt(0) lgkmcnt(0)
	v_mad_i64_i32 v[10:11], s[0:1], v10, s44, v[4:5]
	v_lshl_add_u64 v[10:11], v[10:11], 0, v[2:3]
	global_load_ubyte v38, v[10:11], off
	global_load_ubyte v41, v[10:11], off offset:8
	global_load_ubyte v40, v[10:11], off offset:128
	;; [unrolled: 1-line block ×4, first 2 shown]
	s_waitcnt lgkmcnt(0)
	global_load_dword v22, v3, s[12:13]
	global_load_ubyte v37, v[10:11], off offset:264
	global_load_ubyte v36, v[10:11], off offset:384
	;; [unrolled: 1-line block ×16, first 2 shown]
	ds_read_u16 v45, v15
	global_load_ubyte v46, v[10:11], off offset:1288
	global_load_ubyte v47, v[10:11], off offset:1408
	;; [unrolled: 1-line block ×11, first 2 shown]
	s_waitcnt lgkmcnt(0)
	;;#ASMSTART
	v_cvt_f32_f16 v11, v45;
	;;#ASMEND
	v_cmp_lt_i32_e64 s[0:1], v18, v14
	s_waitcnt vmcnt(32)
	v_cvt_f32_fp8_sdwa v10, v38 src0_sel:BYTE_0
	s_waitcnt vmcnt(31)
	v_cvt_f32_fp8_sdwa v38, v41 src0_sel:BYTE_0
	;; [unrolled: 2-line block ×5, first 2 shown]
	s_waitcnt vmcnt(27)
	v_fma_mixlo_f16 v10, v22, v10, 0
	v_and_b32_e32 v10, 0xffff, v10
	;;#ASMSTART
	v_cvt_f32_f16 v42, v10;
	;;#ASMEND
	ds_read_u16 v10, v15 offset:2
	v_fma_mixlo_f16 v38, v22, v38, 0
	s_waitcnt vmcnt(26)
	v_cvt_f32_fp8_sdwa v37, v37 src0_sel:BYTE_0
	v_and_b32_e32 v38, 0xffff, v38
	s_waitcnt lgkmcnt(0)
	;;#ASMSTART
	v_cvt_f32_f16 v10, v10;
	;;#ASMEND
	s_waitcnt vmcnt(25)
	v_cvt_f32_fp8_sdwa v36, v36 src0_sel:BYTE_0
	;;#ASMSTART
	v_cvt_f32_f16 v38, v38;
	;;#ASMEND
	v_fma_mixlo_f16 v40, v22, v40, 0
	v_mul_f32_e32 v10, v10, v38
	ds_read_u16 v45, v15 offset:4
	s_waitcnt vmcnt(24)
	v_cvt_f32_fp8_sdwa v35, v35 src0_sel:BYTE_0
	v_and_b32_e32 v40, 0xffff, v40
	v_fma_mixlo_f16 v41, v22, v41, 0
	v_fmac_f32_e32 v10, v11, v42
	s_waitcnt vmcnt(23)
	v_cvt_f32_fp8_sdwa v34, v34 src0_sel:BYTE_0
	s_waitcnt lgkmcnt(0)
	;;#ASMSTART
	v_cvt_f32_f16 v45, v45;
	;;#ASMEND
	;;#ASMSTART
	v_cvt_f32_f16 v40, v40;
	;;#ASMEND
	ds_read_u16 v56, v15 offset:6
	v_and_b32_e32 v41, 0xffff, v41
	v_fma_mixlo_f16 v39, v22, v39, 0
	v_fmac_f32_e32 v10, v45, v40
	s_waitcnt vmcnt(22)
	v_cvt_f32_fp8_sdwa v33, v33 src0_sel:BYTE_0
	s_waitcnt lgkmcnt(0)
	;;#ASMSTART
	v_cvt_f32_f16 v56, v56;
	;;#ASMEND
	;;#ASMSTART
	v_cvt_f32_f16 v41, v41;
	;;#ASMEND
	ds_read_u16 v57, v15 offset:8
	;; [unrolled: 13-line block ×4, first 2 shown]
	v_and_b32_e32 v36, 0xffff, v36
	v_fma_mixlo_f16 v35, v22, v35, 0
	v_fmac_f32_e32 v10, v58, v37
	s_waitcnt vmcnt(19)
	v_cvt_f32_fp8_sdwa v30, v30 src0_sel:BYTE_0
	s_waitcnt lgkmcnt(0)
	;;#ASMSTART
	v_cvt_f32_f16 v59, v59;
	;;#ASMEND
	;;#ASMSTART
	v_cvt_f32_f16 v36, v36;
	;;#ASMEND
	v_and_b32_e32 v35, 0xffff, v35
	v_fma_mixlo_f16 v34, v22, v34, 0
	v_fmac_f32_e32 v10, v59, v36
	s_waitcnt vmcnt(18)
	v_cvt_f32_fp8_sdwa v29, v29 src0_sel:BYTE_0
	ds_read_u16 v60, v15 offset:14
	s_waitcnt lgkmcnt(0)
	;;#ASMSTART
	v_cvt_f32_f16 v38, v60;
	;;#ASMEND
	;;#ASMSTART
	v_cvt_f32_f16 v35, v35;
	;;#ASMEND
	v_and_b32_e32 v34, 0xffff, v34
	v_fma_mixlo_f16 v33, v22, v33, 0
	v_fmac_f32_e32 v10, v38, v35
	s_waitcnt vmcnt(17)
	v_cvt_f32_fp8_sdwa v28, v28 src0_sel:BYTE_0
	ds_read_u16 v60, v15 offset:16
	s_waitcnt lgkmcnt(0)
	;;#ASMSTART
	v_cvt_f32_f16 v11, v60;
	;;#ASMEND
	;;#ASMSTART
	v_cvt_f32_f16 v34, v34;
	;;#ASMEND
	ds_read_u16 v42, v15 offset:18
	v_and_b32_e32 v33, 0xffff, v33
	v_fma_mixlo_f16 v32, v22, v32, 0
	v_fmac_f32_e32 v10, v11, v34
	s_waitcnt vmcnt(16)
	v_cvt_f32_fp8_sdwa v27, v27 src0_sel:BYTE_0
	s_waitcnt lgkmcnt(0)
	;;#ASMSTART
	v_cvt_f32_f16 v42, v42;
	;;#ASMEND
	;;#ASMSTART
	v_cvt_f32_f16 v33, v33;
	;;#ASMEND
	v_and_b32_e32 v32, 0xffff, v32
	v_fma_mixlo_f16 v31, v22, v31, 0
	v_fmac_f32_e32 v10, v42, v33
	s_waitcnt vmcnt(15)
	v_cvt_f32_fp8_sdwa v26, v26 src0_sel:BYTE_0
	ds_read_u16 v60, v15 offset:20
	s_waitcnt lgkmcnt(0)
	;;#ASMSTART
	v_cvt_f32_f16 v40, v60;
	;;#ASMEND
	;;#ASMSTART
	v_cvt_f32_f16 v32, v32;
	;;#ASMEND
	ds_read_u16 v45, v15 offset:22
	v_and_b32_e32 v31, 0xffff, v31
	v_fma_mixlo_f16 v30, v22, v30, 0
	v_fmac_f32_e32 v10, v40, v32
	s_waitcnt vmcnt(14)
	v_cvt_f32_fp8_sdwa v25, v25 src0_sel:BYTE_0
	s_waitcnt lgkmcnt(0)
	;;#ASMSTART
	v_cvt_f32_f16 v45, v45;
	;;#ASMEND
	;;#ASMSTART
	v_cvt_f32_f16 v31, v31;
	;;#ASMEND
	v_and_b32_e32 v30, 0xffff, v30
	v_fma_mixlo_f16 v29, v22, v29, 0
	v_fmac_f32_e32 v10, v45, v31
	s_waitcnt vmcnt(13)
	v_cvt_f32_fp8_sdwa v24, v24 src0_sel:BYTE_0
	ds_read_u16 v60, v15 offset:24
	s_waitcnt lgkmcnt(0)
	;;#ASMSTART
	v_cvt_f32_f16 v41, v60;
	;;#ASMEND
	;;#ASMSTART
	v_cvt_f32_f16 v30, v30;
	;;#ASMEND
	ds_read_u16 v56, v15 offset:26
	v_and_b32_e32 v29, 0xffff, v29
	v_fma_mixlo_f16 v28, v22, v28, 0
	v_fmac_f32_e32 v10, v41, v30
	s_waitcnt vmcnt(12)
	v_cvt_f32_fp8_sdwa v23, v23 src0_sel:BYTE_0
	s_waitcnt lgkmcnt(0)
	;;#ASMSTART
	v_cvt_f32_f16 v56, v56;
	;;#ASMEND
	;;#ASMSTART
	v_cvt_f32_f16 v29, v29;
	;;#ASMEND
	v_and_b32_e32 v28, 0xffff, v28
	v_fma_mixlo_f16 v27, v22, v27, 0
	v_fmac_f32_e32 v10, v56, v29
	s_waitcnt vmcnt(11)
	v_cvt_f32_fp8_sdwa v44, v44 src0_sel:BYTE_0
	ds_read_u16 v60, v15 offset:28
	s_waitcnt lgkmcnt(0)
	;;#ASMSTART
	v_cvt_f32_f16 v39, v60;
	;;#ASMEND
	;;#ASMSTART
	v_cvt_f32_f16 v28, v28;
	;;#ASMEND
	ds_read_u16 v57, v15 offset:30
	v_and_b32_e32 v27, 0xffff, v27
	v_fma_mixlo_f16 v26, v22, v26, 0
	v_fmac_f32_e32 v10, v39, v28
	s_waitcnt vmcnt(10)
	v_cvt_f32_fp8_sdwa v46, v46 src0_sel:BYTE_0
	s_waitcnt lgkmcnt(0)
	;;#ASMSTART
	v_cvt_f32_f16 v57, v57;
	;;#ASMEND
	;;#ASMSTART
	v_cvt_f32_f16 v27, v27;
	;;#ASMEND
	v_and_b32_e32 v26, 0xffff, v26
	v_fma_mixlo_f16 v25, v22, v25, 0
	v_fmac_f32_e32 v10, v57, v27
	s_waitcnt vmcnt(9)
	v_cvt_f32_fp8_sdwa v47, v47 src0_sel:BYTE_0
	ds_read_u16 v60, v15 offset:32
	s_waitcnt lgkmcnt(0)
	;;#ASMSTART
	v_cvt_f32_f16 v37, v60;
	;;#ASMEND
	;;#ASMSTART
	v_cvt_f32_f16 v26, v26;
	;;#ASMEND
	ds_read_u16 v58, v15 offset:34
	v_fma_mixlo_f16 v24, v22, v24, 0
	v_and_b32_e32 v25, 0xffff, v25
	v_fmac_f32_e32 v10, v37, v26
	s_waitcnt vmcnt(8)
	v_cvt_f32_fp8_sdwa v48, v48 src0_sel:BYTE_0
	s_waitcnt vmcnt(7)
	v_cvt_f32_fp8_sdwa v49, v49 src0_sel:BYTE_0
	;; [unrolled: 2-line block ×9, first 2 shown]
	s_waitcnt lgkmcnt(0)
	;;#ASMSTART
	v_cvt_f32_f16 v58, v58;
	;;#ASMEND
	;;#ASMSTART
	v_cvt_f32_f16 v25, v25;
	;;#ASMEND
	v_fma_mixlo_f16 v23, v22, v23, 0
	v_and_b32_e32 v24, 0xffff, v24
	v_fmac_f32_e32 v10, v58, v25
	ds_read_u16 v60, v15 offset:36
	v_fma_mixlo_f16 v44, v22, v44, 0
	s_waitcnt lgkmcnt(0)
	;;#ASMSTART
	v_cvt_f32_f16 v36, v60;
	;;#ASMEND
	;;#ASMSTART
	v_cvt_f32_f16 v24, v24;
	;;#ASMEND
	ds_read_u16 v59, v15 offset:38
	v_and_b32_e32 v23, 0xffff, v23
	v_fmac_f32_e32 v10, v36, v24
	v_fma_mixlo_f16 v46, v22, v46, 0
	s_waitcnt lgkmcnt(0)
	;;#ASMSTART
	v_cvt_f32_f16 v59, v59;
	;;#ASMEND
	;;#ASMSTART
	v_cvt_f32_f16 v23, v23;
	;;#ASMEND
	v_and_b32_e32 v44, 0xffff, v44
	v_fmac_f32_e32 v10, v59, v23
	v_fma_mixlo_f16 v47, v22, v47, 0
	ds_read_u16 v60, v15 offset:40
	s_waitcnt lgkmcnt(0)
	;;#ASMSTART
	v_cvt_f32_f16 v35, v60;
	;;#ASMEND
	;;#ASMSTART
	v_cvt_f32_f16 v38, v44;
	;;#ASMEND
	ds_read_u16 v44, v15 offset:42
	v_and_b32_e32 v46, 0xffff, v46
	v_fmac_f32_e32 v10, v35, v38
	v_fma_mixlo_f16 v48, v22, v48, 0
	v_fma_mixlo_f16 v49, v22, v49, 0
	;; [unrolled: 1-line block ×6, first 2 shown]
	s_waitcnt lgkmcnt(0)
	;;#ASMSTART
	v_cvt_f32_f16 v44, v44;
	;;#ASMEND
	;;#ASMSTART
	v_cvt_f32_f16 v46, v46;
	;;#ASMEND
	v_fma_mixlo_f16 v54, v22, v54, 0
	v_fma_mixlo_f16 v55, v22, v55, 0
	;; [unrolled: 1-line block ×3, first 2 shown]
	v_and_b32_e32 v43, 0xffff, v47
	v_fmac_f32_e32 v10, v44, v46
	ds_read_u16 v60, v15 offset:44
	s_waitcnt lgkmcnt(0)
	;;#ASMSTART
	v_cvt_f32_f16 v47, v60;
	;;#ASMEND
	;;#ASMSTART
	v_cvt_f32_f16 v43, v43;
	;;#ASMEND
	v_and_b32_e32 v48, 0xffff, v48
	v_fmac_f32_e32 v10, v47, v43
	ds_read_u16 v60, v15 offset:46
	s_waitcnt lgkmcnt(0)
	;;#ASMSTART
	v_cvt_f32_f16 v11, v60;
	;;#ASMEND
	;;#ASMSTART
	v_cvt_f32_f16 v34, v48;
	;;#ASMEND
	ds_read_u16 v48, v15 offset:48
	v_and_b32_e32 v49, 0xffff, v49
	v_fmac_f32_e32 v10, v11, v34
	s_waitcnt lgkmcnt(0)
	;;#ASMSTART
	v_cvt_f32_f16 v33, v48;
	;;#ASMEND
	;;#ASMSTART
	v_cvt_f32_f16 v42, v49;
	;;#ASMEND
	ds_read_u16 v48, v15 offset:50
	v_and_b32_e32 v49, 0xffff, v50
	v_fmac_f32_e32 v10, v33, v42
	s_waitcnt lgkmcnt(0)
	;;#ASMSTART
	v_cvt_f32_f16 v48, v48;
	;;#ASMEND
	;;#ASMSTART
	v_cvt_f32_f16 v49, v49;
	;;#ASMEND
	v_and_b32_e32 v50, 0xffff, v51
	v_fmac_f32_e32 v10, v48, v49
	v_and_b32_e32 v51, 0xffff, v52
	v_and_b32_e32 v52, 0xffff, v53
	ds_read_u16 v53, v15 offset:52
	s_waitcnt lgkmcnt(0)
	;;#ASMSTART
	v_cvt_f32_f16 v32, v53;
	;;#ASMEND
	;;#ASMSTART
	v_cvt_f32_f16 v40, v50;
	;;#ASMEND
	ds_read_u16 v50, v15 offset:54
	v_fmac_f32_e32 v10, v32, v40
	s_waitcnt lgkmcnt(0)
	;;#ASMSTART
	v_cvt_f32_f16 v28, v50;
	;;#ASMEND
	;;#ASMSTART
	v_cvt_f32_f16 v29, v51;
	;;#ASMEND
	ds_read_u16 v30, v15 offset:56
	v_fmac_f32_e32 v10, v28, v29
	;; [unrolled: 9-line block ×3, first 2 shown]
	v_and_b32_e32 v54, 0xffff, v54
	s_waitcnt lgkmcnt(0)
	;;#ASMSTART
	v_cvt_f32_f16 v23, v26;
	;;#ASMEND
	;;#ASMSTART
	v_cvt_f32_f16 v26, v54;
	;;#ASMEND
	ds_read_u16 v27, v15 offset:60
	v_fmac_f32_e32 v10, v23, v26
	v_cndmask_b32_e64 v60, v13, v18, s[0:1]
	v_and_b32_e32 v55, 0xffff, v55
	v_and_b32_e32 v22, 0xffff, v22
	s_waitcnt lgkmcnt(0)
	;;#ASMSTART
	v_cvt_f32_f16 v11, v27;
	;;#ASMEND
	;;#ASMSTART
	v_cvt_f32_f16 v27, v55;
	;;#ASMEND
	v_lshlrev_b32_e32 v60, 2, v60
	v_fmac_f32_e32 v10, v11, v27
	ds_read_u16 v30, v15 offset:62
	s_waitcnt lgkmcnt(0)
	;;#ASMSTART
	v_cvt_f32_f16 v11, v30;
	;;#ASMEND
	;;#ASMSTART
	v_cvt_f32_f16 v22, v22;
	;;#ASMEND
	v_cmp_lt_i32_e64 s[0:1], v19, v14
	v_fmac_f32_e32 v10, v11, v22
	ds_bpermute_b32 v11, v60, v10
	v_cndmask_b32_e64 v22, v13, v19, s[0:1]
	v_lshlrev_b32_e32 v22, 2, v22
	v_cmp_lt_i32_e64 s[0:1], v20, v14
	s_waitcnt lgkmcnt(0)
	v_add_f32_e32 v10, v10, v11
	ds_bpermute_b32 v11, v22, v10
	v_cndmask_b32_e64 v22, v13, v20, s[0:1]
	s_waitcnt lgkmcnt(0)
	v_add_f32_e32 v10, v10, v11
	v_lshlrev_b32_e32 v11, 2, v22
	ds_bpermute_b32 v11, v11, v10
	s_and_saveexec_b64 s[22:23], vcc
	s_cbranch_execz .LBB262_10
; %bb.12:                               ;   in Loop: Header=BB262_11 Depth=1
	v_add_u32_e32 v22, s45, v16
	v_cvt_f32_i32_e32 v22, v22
	s_waitcnt lgkmcnt(0)
	v_add_f32_e32 v10, v10, v11
	v_cmp_gt_i32_e64 s[0:1], s35, v16
	v_max_f32_e32 v11, v1, v1
	v_mul_f32_e32 v22, s3, v22
	v_cndmask_b32_e64 v22, 0, v22, s[6:7]
	v_fmac_f32_e32 v22, s11, v10
	v_cndmask_b32_e64 v10, 0, v22, s[0:1]
	ds_write_b32 v17, v10
	v_max_f32_e32 v10, v11, v22
	v_cndmask_b32_e64 v1, v1, v10, s[0:1]
	s_branch .LBB262_10
.LBB262_13:
	s_or_b64 exec, exec, s[16:17]
.LBB262_14:
	s_or_b64 exec, exec, s[40:41]
	v_xor_b32_e32 v2, 32, v13
	v_cmp_lt_i32_e32 vcc, v2, v14
	v_xor_b32_e32 v4, 16, v13
	v_xor_b32_e32 v5, 8, v13
	v_cndmask_b32_e32 v2, v13, v2, vcc
	v_lshlrev_b32_e32 v3, 2, v2
	ds_bpermute_b32 v2, v3, v1
	v_max_f32_e32 v1, v1, v1
	v_cmp_lt_i32_e32 vcc, v4, v14
	s_waitcnt lgkmcnt(0)
	v_max_f32_e32 v2, v2, v2
	v_max_f32_e32 v1, v1, v2
	v_cndmask_b32_e32 v2, v13, v4, vcc
	v_lshlrev_b32_e32 v8, 2, v2
	ds_bpermute_b32 v2, v8, v1
	v_cmp_lt_i32_e32 vcc, v5, v14
	s_waitcnt lgkmcnt(0)
	v_max_f32_e32 v2, v2, v2
	v_max_f32_e32 v4, v1, v2
	v_cndmask_b32_e32 v1, v13, v5, vcc
	v_lshlrev_b32_e32 v9, 2, v1
	ds_bpermute_b32 v5, v9, v4
	v_and_b32_e32 v1, 63, v0
	v_cmp_eq_u32_e32 vcc, 0, v1
	v_lshlrev_b32_e32 v2, 2, v12
	s_and_saveexec_b64 s[0:1], vcc
	s_cbranch_execz .LBB262_16
; %bb.15:
	s_waitcnt lgkmcnt(0)
	v_max_f32_e32 v5, v5, v5
	v_max_f32_e32 v4, v4, v4
	;; [unrolled: 1-line block ×3, first 2 shown]
	ds_write_b32 v2, v4 offset:512
.LBB262_16:
	s_or_b64 exec, exec, s[0:1]
	v_cmp_gt_u32_e64 s[0:1], 2, v1
	v_mov_b32_e32 v4, 0xff7fffff
	s_waitcnt lgkmcnt(0)
	v_lshlrev_b32_e32 v5, 2, v1
	s_barrier
	s_and_saveexec_b64 s[6:7], s[0:1]
	s_cbranch_execz .LBB262_18
; %bb.17:
	ds_read_b32 v4, v5 offset:512
.LBB262_18:
	s_or_b64 exec, exec, s[6:7]
	v_xor_b32_e32 v10, 1, v13
	v_cmp_lt_i32_e64 s[6:7], v10, v14
	s_sub_i32 s3, s20, s10
	s_lshl_b32 s3, s3, 3
	v_cndmask_b32_e64 v10, v13, v10, s[6:7]
	v_lshlrev_b32_e32 v10, 2, v10
	s_waitcnt lgkmcnt(0)
	ds_bpermute_b32 v11, v10, v4
	v_max_f32_e32 v4, v4, v4
	s_add_i32 s3, s3, s42
	s_min_i32 s22, s3, s35
	s_sub_i32 s3, s22, s42
	s_waitcnt lgkmcnt(0)
	v_max_f32_e32 v11, v11, v11
	v_max_f32_e32 v4, v4, v11
	v_lshlrev_b32_e32 v11, 2, v13
	v_and_b32_e32 v11, 0xffffff00, v11
	ds_bpermute_b32 v4, v11, v4
	v_cmp_gt_i32_e64 s[6:7], s3, v0
	v_mov_b32_e32 v15, 0
	s_and_saveexec_b64 s[12:13], s[6:7]
	s_cbranch_execz .LBB262_22
; %bb.19:
	v_mov_b32_e32 v15, 0x210
	v_lshl_add_u32 v16, v0, 2, v15
	s_mov_b64 s[16:17], 0
	v_mov_b32_e32 v15, 0
	v_mov_b32_e32 v17, v0
.LBB262_20:                             ; =>This Inner Loop Header: Depth=1
	ds_read_b32 v18, v16
	v_add_u32_e32 v17, 0x80, v17
	v_cmp_le_i32_e64 s[10:11], s3, v17
	s_or_b64 s[16:17], s[10:11], s[16:17]
	s_waitcnt lgkmcnt(0)
	v_sub_f32_e32 v18, v18, v4
	v_mul_f32_e32 v18, 0x3fb8aa3b, v18
	v_exp_f32_e32 v18, v18
	ds_write_b32 v16, v18
	v_add_f32_e32 v15, v15, v18
	v_add_u32_e32 v16, 0x200, v16
	s_andn2_b64 exec, exec, s[16:17]
	s_cbranch_execnz .LBB262_20
; %bb.21:
	s_or_b64 exec, exec, s[16:17]
.LBB262_22:
	s_or_b64 exec, exec, s[12:13]
	ds_bpermute_b32 v3, v3, v15
	s_waitcnt lgkmcnt(0)
	v_add_f32_e32 v3, v15, v3
	ds_bpermute_b32 v8, v8, v3
	s_waitcnt lgkmcnt(0)
	v_add_f32_e32 v3, v3, v8
	ds_bpermute_b32 v8, v9, v3
	v_xor_b32_e32 v9, 4, v13
	v_cmp_lt_i32_e64 s[10:11], v9, v14
	s_waitcnt lgkmcnt(0)
	v_add_f32_e32 v3, v3, v8
	v_cndmask_b32_e64 v9, v13, v9, s[10:11]
	v_lshlrev_b32_e32 v9, 2, v9
	ds_bpermute_b32 v8, v9, v3
	v_xor_b32_e32 v9, 2, v13
	v_cmp_lt_i32_e64 s[10:11], v9, v14
	s_waitcnt lgkmcnt(0)
	v_add_f32_e32 v3, v3, v8
	v_cndmask_b32_e64 v9, v13, v9, s[10:11]
	v_lshlrev_b32_e32 v8, 2, v9
	ds_bpermute_b32 v8, v8, v3
	s_waitcnt lgkmcnt(0)
	v_add_f32_e32 v3, v3, v8
	ds_bpermute_b32 v8, v10, v3
	s_waitcnt lgkmcnt(0)
	v_add_f32_e32 v3, v3, v8
	s_and_saveexec_b64 s[10:11], vcc
	s_cbranch_execz .LBB262_24
; %bb.23:
	ds_write_b32 v2, v3 offset:520
.LBB262_24:
	s_or_b64 exec, exec, s[10:11]
	s_waitcnt lgkmcnt(0)
	s_barrier
	s_and_saveexec_b64 s[10:11], s[0:1]
	s_cbranch_execz .LBB262_26
; %bb.25:
	ds_read_b32 v3, v5 offset:520
.LBB262_26:
	s_or_b64 exec, exec, s[10:11]
	s_waitcnt lgkmcnt(0)
	ds_bpermute_b32 v2, v10, v3
	s_waitcnt lgkmcnt(0)
	v_add_f32_e32 v2, v3, v2
	ds_bpermute_b32 v5, v11, v2
	s_and_saveexec_b64 s[0:1], s[6:7]
	s_cbranch_execz .LBB262_39
; %bb.27:
	s_waitcnt lgkmcnt(0)
	v_add_f32_e32 v2, 0x358637bd, v5
	v_div_scale_f32 v3, s[6:7], v2, v2, 1.0
	v_rcp_f32_e32 v8, v3
	v_div_scale_f32 v9, vcc, 1.0, v2, 1.0
	s_movk_i32 s6, 0x7f
	v_fma_f32 v10, -v3, v8, 1.0
	v_fmac_f32_e32 v8, v10, v8
	v_mul_f32_e32 v10, v9, v8
	v_fma_f32 v11, -v3, v10, v9
	v_fmac_f32_e32 v10, v11, v8
	v_fma_f32 v3, -v3, v10, v9
	v_div_fmas_f32 v3, v3, v8, v10
	v_div_fixup_f32 v2, v3, v2, 1.0
	v_xad_u32 v3, v0, -1, s22
	v_subrev_u32_e32 v8, s42, v3
	v_cmp_lt_u32_e32 vcc, s6, v8
	s_mov_b64 s[10:11], -1
	v_mov_b32_e32 v3, v0
	s_and_saveexec_b64 s[6:7], vcc
	s_cbranch_execz .LBB262_36
; %bb.28:
	v_lshrrev_b32_e32 v8, 7, v8
	v_add_u32_e32 v10, -1, v8
	v_lshrrev_b32_e32 v9, 1, v10
	v_mov_b32_e32 v3, v2
	v_add_u32_e32 v9, 1, v9
	v_cmp_lt_u32_e32 vcc, 13, v10
	v_mov_b32_e32 v13, 0
	s_and_saveexec_b64 s[10:11], vcc
	s_cbranch_execz .LBB262_32
; %bb.29:
	v_mov_b32_e32 v11, 0x210
	v_and_b32_e32 v10, -8, v9
	v_lshl_add_u32 v11, v0, 2, v11
	s_mov_b32 s16, 0
	s_mov_b64 s[12:13], 0
.LBB262_30:                             ; =>This Inner Loop Header: Depth=1
	ds_read2st64_b32 v[14:15], v11 offset1:2
	ds_read2st64_b32 v[16:17], v11 offset0:4 offset1:6
	ds_read2st64_b32 v[18:19], v11 offset0:8 offset1:10
	;; [unrolled: 1-line block ×3, first 2 shown]
	v_add_u32_e32 v10, -8, v10
	s_waitcnt lgkmcnt(3)
	v_pk_mul_f32 v[14:15], v[2:3], v[14:15]
	s_waitcnt lgkmcnt(2)
	v_pk_mul_f32 v[16:17], v[2:3], v[16:17]
	ds_write2st64_b32 v11, v14, v15 offset1:2
	ds_write2st64_b32 v11, v16, v17 offset0:4 offset1:6
	ds_read2st64_b32 v[16:17], v11 offset0:16 offset1:18
	s_waitcnt lgkmcnt(4)
	v_pk_mul_f32 v[14:15], v[2:3], v[18:19]
	ds_write2st64_b32 v11, v14, v15 offset0:8 offset1:10
	s_waitcnt lgkmcnt(4)
	v_pk_mul_f32 v[14:15], v[2:3], v[20:21]
	ds_write2st64_b32 v11, v14, v15 offset0:12 offset1:14
	ds_read2st64_b32 v[14:15], v11 offset0:20 offset1:22
	s_waitcnt lgkmcnt(3)
	v_pk_mul_f32 v[16:17], v[2:3], v[16:17]
	ds_read2st64_b32 v[18:19], v11 offset0:24 offset1:26
	ds_write2st64_b32 v11, v16, v17 offset0:16 offset1:18
	ds_read2st64_b32 v[16:17], v11 offset0:28 offset1:30
	s_waitcnt lgkmcnt(3)
	v_pk_mul_f32 v[14:15], v[2:3], v[14:15]
	ds_write2st64_b32 v11, v14, v15 offset0:20 offset1:22
	s_waitcnt lgkmcnt(3)
	v_pk_mul_f32 v[14:15], v[2:3], v[18:19]
	ds_write2st64_b32 v11, v14, v15 offset0:24 offset1:26
	s_waitcnt lgkmcnt(2)
	v_pk_mul_f32 v[14:15], v[2:3], v[16:17]
	s_add_i32 s16, s16, 16
	v_cmp_eq_u32_e32 vcc, 0, v10
	ds_write2st64_b32 v11, v14, v15 offset0:28 offset1:30
	v_add_u32_e32 v11, 0x2000, v11
	s_or_b64 s[12:13], vcc, s[12:13]
	v_mov_b32_e32 v13, s16
	s_andn2_b64 exec, exec, s[12:13]
	s_cbranch_execnz .LBB262_30
; %bb.31:
	s_or_b64 exec, exec, s[12:13]
.LBB262_32:
	s_or_b64 exec, exec, s[10:11]
	v_and_b32_e32 v9, 7, v9
	v_cmp_ne_u32_e32 vcc, 0, v9
	s_and_saveexec_b64 s[10:11], vcc
	s_cbranch_execz .LBB262_35
; %bb.33:
	v_lshlrev_b32_e32 v10, 9, v13
	v_lshlrev_b32_e32 v11, 2, v0
	s_movk_i32 s12, 0x210
	v_add3_u32 v10, v10, v11, s12
	s_mov_b64 s[12:13], 0
.LBB262_34:                             ; =>This Inner Loop Header: Depth=1
	ds_read2st64_b32 v[14:15], v10 offset1:2
	v_add_u32_e32 v9, -1, v9
	v_cmp_eq_u32_e32 vcc, 0, v9
	s_or_b64 s[12:13], vcc, s[12:13]
	s_waitcnt lgkmcnt(0)
	v_pk_mul_f32 v[14:15], v[2:3], v[14:15]
	ds_write2st64_b32 v10, v14, v15 offset1:2
	v_add_u32_e32 v10, 0x400, v10
	s_andn2_b64 exec, exec, s[12:13]
	s_cbranch_execnz .LBB262_34
.LBB262_35:
	s_or_b64 exec, exec, s[10:11]
	v_add_u32_e32 v8, 1, v8
	v_and_b32_e32 v9, 0x3fffffe, v8
	v_cmp_ne_u32_e32 vcc, v8, v9
	v_lshl_add_u32 v3, v9, 7, v0
	s_orn2_b64 s[10:11], vcc, exec
.LBB262_36:
	s_or_b64 exec, exec, s[6:7]
	s_and_b64 exec, exec, s[10:11]
	s_cbranch_execz .LBB262_39
; %bb.37:
	v_mov_b32_e32 v8, 0x210
	v_lshl_add_u32 v8, v3, 2, v8
	s_mov_b64 s[6:7], 0
.LBB262_38:                             ; =>This Inner Loop Header: Depth=1
	ds_read_b32 v9, v8
	v_add_u32_e32 v3, 0x80, v3
	v_cmp_le_i32_e32 vcc, s3, v3
	s_or_b64 s[6:7], vcc, s[6:7]
	s_waitcnt lgkmcnt(0)
	v_mul_f32_e32 v9, v2, v9
	ds_write_b32 v8, v9
	v_add_u32_e32 v8, 0x200, v8
	s_andn2_b64 exec, exec, s[6:7]
	s_cbranch_execnz .LBB262_38
.LBB262_39:
	s_or_b64 exec, exec, s[0:1]
	s_mul_i32 s1, s33, s34
	s_mov_b32 s0, 0
	v_cmp_eq_u32_e32 vcc, 0, v0
	s_mul_i32 s6, s1, s5
	s_waitcnt lgkmcnt(0)
	s_barrier
	s_and_saveexec_b64 s[10:11], vcc
	s_cbranch_execz .LBB262_41
; %bb.40:
	s_ashr_i32 s7, s6, 31
	s_lshl_b64 s[12:13], s[6:7], 2
	s_add_u32 s1, s26, s12
	s_mul_i32 s2, s33, s2
	s_addc_u32 s5, s27, s13
	s_ashr_i32 s3, s2, 31
	s_lshl_b64 s[2:3], s[2:3], 2
	s_add_u32 s1, s1, s2
	s_addc_u32 s7, s5, s3
	s_ashr_i32 s5, s4, 31
	s_lshl_b64 s[16:17], s[4:5], 2
	s_add_u32 s22, s1, s16
	s_addc_u32 s23, s7, s17
	s_add_u32 s1, s24, s12
	s_addc_u32 s5, s25, s13
	;; [unrolled: 2-line block ×3, first 2 shown]
	s_add_u32 s2, s1, s16
	v_mov_b32_e32 v2, 0
	s_addc_u32 s3, s3, s17
	global_store_dword v2, v4, s[22:23]
	global_store_dword v2, v5, s[2:3]
.LBB262_41:
	s_or_b64 exec, exec, s[10:11]
	s_mov_b32 s2, s0
	s_mov_b32 s3, s0
	;; [unrolled: 1-line block ×3, first 2 shown]
	v_mov_b64_e32 v[4:5], s[2:3]
	v_mov_b64_e32 v[2:3], s[0:1]
	s_and_saveexec_b64 s[2:3], s[8:9]
	s_cbranch_execz .LBB262_309
; %bb.42:
	s_ashr_i32 s1, s43, 31
	s_add_u32 s0, s18, s43
	s_addc_u32 s1, s19, s1
	v_lshlrev_b32_e32 v8, 3, v1
	v_mov_b32_e32 v9, 0
	s_add_i32 s7, s31, -1
	v_lshl_add_u64 v[10:11], s[0:1], 0, v[8:9]
	s_lshl_b64 s[0:1], s[38:39], 2
	s_add_u32 s0, s36, s0
	v_mov_b32_e32 v2, 0x210
	s_addc_u32 s1, s37, s1
	s_mov_b32 s5, s21
	s_mov_b32 s18, s35
	v_lshl_add_u32 v17, v12, 3, s42
	v_lshl_add_u32 v24, v12, 5, v2
	v_lshl_add_u64 v[12:13], v[6:7], 2, s[0:1]
	s_mov_b64 s[8:9], 0
	s_movk_i32 s19, 0x7f
	s_movk_i32 s21, 0x80
	s_mov_b32 s22, 0x8000
	s_movk_i32 s23, 0x380
	s_mov_b32 s24, 0x3020706
	s_mov_b32 s25, 0x1000504
	;; [unrolled: 1-line block ×3, first 2 shown]
	v_mov_b32_e32 v7, 0x1c00
	v_mov_b32_e32 v2, 0
	;; [unrolled: 1-line block ×5, first 2 shown]
	s_branch .LBB262_44
.LBB262_43:                             ;   in Loop: Header=BB262_44 Depth=1
	s_or_b64 exec, exec, s[0:1]
	;;#ASMSTART
	v_pk_mul_f16 v14, v32, v14;

	;;#ASMEND
	;;#ASMSTART
	v_pk_mul_f16 v8, v33, v8;

	;;#ASMEND
	;; [unrolled: 4-line block ×4, first 2 shown]
	v_add_f32_e32 v18, v36, v37
	;;#ASMSTART
	v_pk_add_f16 v8, v14, v8;

	;;#ASMEND
	v_add_f32_e32 v2, v2, v18
	;;#ASMSTART
	v_pk_add_f16 v8, v8, v15;

	;;#ASMEND
	;; [unrolled: 5-line block ×3, first 2 shown]
	v_add_u32_e32 v6, 2, v6
	v_lshrrev_b32_e32 v14, 16, v8
	v_and_b32_e32 v8, 0xffff, v8
	;;#ASMSTART
	v_cvt_f32_f16 v8, v8;
	;;#ASMEND
	v_add_f32_e32 v3, v3, v18
	v_add_f32_e32 v18, v22, v23
	;;#ASMSTART
	v_cvt_f32_f16 v14, v14;
	;;#ASMEND
	v_cmp_le_i32_e32 vcc, s20, v6
	v_add_f32_e32 v8, v8, v14
	v_add_f32_e32 v4, v4, v18
	;; [unrolled: 1-line block ×3, first 2 shown]
	v_add_u32_e32 v17, 16, v17
	v_add_u32_e32 v24, 64, v24
	s_or_b64 s[8:9], vcc, s[8:9]
	v_lshl_add_u64 v[12:13], v[12:13], 0, 8
	s_andn2_b64 exec, exec, s[8:9]
	s_cbranch_execz .LBB262_308
.LBB262_44:                             ; =>This Inner Loop Header: Depth=1
	ds_read2_b64 v[18:21], v24 offset1:1
	ds_read2_b64 v[26:29], v24 offset0:2 offset1:3
                                        ; implicit-def: $sgpr16
	s_waitcnt lgkmcnt(1)
	;;#ASMSTART
	v_cvt_f16_f32 v32, v18;

	;;#ASMEND
	;;#ASMSTART
	v_cvt_f16_f32 v33, v19;

	;;#ASMEND
	;; [unrolled: 4-line block ×4, first 2 shown]
	s_waitcnt lgkmcnt(0)
	;;#ASMSTART
	v_cvt_f16_f32 v36, v26;

	;;#ASMEND
	;;#ASMSTART
	v_cvt_f16_f32 v37, v27;

	;;#ASMEND
	;; [unrolled: 4-line block ×4, first 2 shown]
	global_load_dword v8, v[12:13], off
	s_waitcnt vmcnt(0)
	v_mad_i64_i32 v[14:15], s[0:1], v8, s5, v[10:11]
	global_load_dwordx2 v[18:19], v[14:15], off
	global_load_dword v16, v9, s[14:15]
	s_mov_b64 s[0:1], 0
	s_waitcnt vmcnt(1)
	v_cmp_gt_i16_sdwa s[10:11], v18, s19 src0_sel:BYTE_0 src1_sel:DWORD
	s_and_saveexec_b64 s[12:13], s[10:11]
	s_xor_b64 s[10:11], exec, s[12:13]
	s_cbranch_execnz .LBB262_180
; %bb.45:                               ;   in Loop: Header=BB262_44 Depth=1
	s_or_saveexec_b64 s[10:11], s[10:11]
	v_mov_b32_e32 v20, s16
	s_xor_b64 exec, exec, s[10:11]
	s_cbranch_execnz .LBB262_183
.LBB262_46:                             ;   in Loop: Header=BB262_44 Depth=1
	s_or_b64 exec, exec, s[10:11]
	s_and_saveexec_b64 s[10:11], s[0:1]
	s_cbranch_execz .LBB262_48
.LBB262_47:                             ;   in Loop: Header=BB262_44 Depth=1
	v_and_b32_e32 v8, 7, v18
	v_ffbh_u32_e32 v8, v8
	v_bfe_u32 v20, v18, 3, 4
	v_min_u32_e32 v8, 32, v8
	v_subrev_u32_e32 v21, 28, v8
	v_sub_u32_e32 v8, 29, v8
	v_cmp_eq_u32_e32 vcc, 0, v20
	s_nop 1
	v_cndmask_b32_e32 v8, v20, v8, vcc
	v_cndmask_b32_e32 v20, 0, v21, vcc
	v_lshlrev_b64 v[20:21], v20, v[18:19]
	v_lshlrev_b32_e32 v21, 8, v18
	v_lshl_add_u32 v8, v8, 10, v7
	v_lshlrev_b32_e32 v20, 7, v20
	v_and_or_b32 v8, v21, s22, v8
	v_and_or_b32 v8, v20, s23, v8
	v_cvt_f32_f16_e32 v20, v8
.LBB262_48:                             ;   in Loop: Header=BB262_44 Depth=1
	s_or_b64 exec, exec, s[10:11]
	v_lshrrev_b16_e32 v8, 8, v18
	v_cmp_lt_i16_e32 vcc, s19, v8
	s_mov_b64 s[0:1], 0
                                        ; implicit-def: $sgpr16
	s_and_saveexec_b64 s[10:11], vcc
	s_xor_b64 s[10:11], exec, s[10:11]
	s_cbranch_execnz .LBB262_184
; %bb.49:                               ;   in Loop: Header=BB262_44 Depth=1
	s_or_saveexec_b64 s[10:11], s[10:11]
	v_mov_b32_e32 v22, s16
	s_xor_b64 exec, exec, s[10:11]
	s_cbranch_execnz .LBB262_187
.LBB262_50:                             ;   in Loop: Header=BB262_44 Depth=1
	s_or_b64 exec, exec, s[10:11]
	s_and_saveexec_b64 s[10:11], s[0:1]
	s_cbranch_execz .LBB262_52
.LBB262_51:                             ;   in Loop: Header=BB262_44 Depth=1
	v_and_b32_e32 v21, 7, v8
	v_ffbh_u32_e32 v22, v21
	v_min_u32_e32 v26, 32, v22
	v_subrev_u32_e32 v22, 28, v26
	v_bfe_u32 v25, v8, 3, 4
	v_lshlrev_b64 v[22:23], v22, v[8:9]
	v_sub_u32_e32 v23, 29, v26
	v_cmp_eq_u32_e32 vcc, 0, v25
	v_and_b32_e32 v22, 7, v22
	v_lshlrev_b32_e32 v8, 8, v8
	v_cndmask_b32_e32 v23, v25, v23, vcc
	v_cndmask_b32_e32 v21, v21, v22, vcc
	v_lshl_add_u32 v22, v23, 10, v7
	v_and_or_b32 v8, v8, s22, v22
	v_lshl_or_b32 v8, v21, 7, v8
	v_cvt_f32_f16_e32 v22, v8
.LBB262_52:                             ;   in Loop: Header=BB262_44 Depth=1
	s_or_b64 exec, exec, s[10:11]
	v_lshrrev_b32_e32 v8, 16, v18
	v_cmp_gt_i16_sdwa s[10:11], v8, s19 src0_sel:BYTE_0 src1_sel:DWORD
	s_mov_b64 s[0:1], 0
                                        ; implicit-def: $sgpr16
	s_and_saveexec_b64 s[12:13], s[10:11]
	s_xor_b64 s[10:11], exec, s[12:13]
	s_cbranch_execnz .LBB262_188
; %bb.53:                               ;   in Loop: Header=BB262_44 Depth=1
	s_or_saveexec_b64 s[10:11], s[10:11]
	v_mov_b32_e32 v21, s16
	s_xor_b64 exec, exec, s[10:11]
	s_cbranch_execnz .LBB262_191
.LBB262_54:                             ;   in Loop: Header=BB262_44 Depth=1
	s_or_b64 exec, exec, s[10:11]
	s_and_saveexec_b64 s[10:11], s[0:1]
	s_cbranch_execz .LBB262_56
.LBB262_55:                             ;   in Loop: Header=BB262_44 Depth=1
	v_bfe_u32 v21, v18, 16, 3
	v_ffbh_u32_e32 v25, v21
	v_bfe_u32 v23, v18, 19, 4
	v_min_u32_e32 v25, 32, v25
	v_subrev_u32_e32 v26, 28, v25
	v_sub_u32_e32 v25, 29, v25
	v_cmp_eq_u32_e32 vcc, 0, v23
	v_lshlrev_b64 v[26:27], v26, v[8:9]
	v_and_b32_e32 v26, 7, v26
	v_cndmask_b32_e32 v23, v23, v25, vcc
	v_lshlrev_b32_e32 v8, 8, v8
	v_lshl_add_u32 v23, v23, 10, v7
	v_cndmask_b32_e32 v21, v21, v26, vcc
	v_and_or_b32 v8, v8, s22, v23
	v_lshl_or_b32 v8, v21, 7, v8
	v_cvt_f32_f16_e32 v21, v8
.LBB262_56:                             ;   in Loop: Header=BB262_44 Depth=1
	s_or_b64 exec, exec, s[10:11]
	v_lshrrev_b32_e32 v8, 24, v18
	v_cmp_lt_i16_e32 vcc, s19, v8
	s_mov_b64 s[0:1], 0
                                        ; implicit-def: $sgpr16
	s_and_saveexec_b64 s[10:11], vcc
	s_xor_b64 s[10:11], exec, s[10:11]
	s_cbranch_execnz .LBB262_192
; %bb.57:                               ;   in Loop: Header=BB262_44 Depth=1
	s_or_saveexec_b64 s[10:11], s[10:11]
	v_mov_b32_e32 v23, s16
	s_xor_b64 exec, exec, s[10:11]
	s_cbranch_execnz .LBB262_195
.LBB262_58:                             ;   in Loop: Header=BB262_44 Depth=1
	s_or_b64 exec, exec, s[10:11]
	s_and_saveexec_b64 s[10:11], s[0:1]
	s_cbranch_execz .LBB262_60
.LBB262_59:                             ;   in Loop: Header=BB262_44 Depth=1
	v_bfe_u32 v23, v18, 24, 3
	v_ffbh_u32_e32 v25, v23
	v_bfe_u32 v18, v18, 27, 4
	v_min_u32_e32 v25, 32, v25
	v_subrev_u32_e32 v26, 28, v25
	v_sub_u32_e32 v25, 29, v25
	v_cmp_eq_u32_e32 vcc, 0, v18
	v_lshlrev_b64 v[26:27], v26, v[8:9]
	v_and_b32_e32 v26, 7, v26
	v_cndmask_b32_e32 v18, v18, v25, vcc
	v_lshlrev_b32_e32 v8, 8, v8
	v_lshl_add_u32 v18, v18, 10, v7
	v_cndmask_b32_e32 v23, v23, v26, vcc
	v_and_or_b32 v8, v8, s22, v18
	v_lshl_or_b32 v8, v23, 7, v8
	v_cvt_f32_f16_e32 v23, v8
.LBB262_60:                             ;   in Loop: Header=BB262_44 Depth=1
	s_or_b64 exec, exec, s[10:11]
	v_cmp_gt_i16_sdwa s[10:11], v19, s19 src0_sel:BYTE_0 src1_sel:DWORD
	s_mov_b64 s[0:1], 0
                                        ; implicit-def: $sgpr16
	s_and_saveexec_b64 s[12:13], s[10:11]
	s_xor_b64 s[10:11], exec, s[12:13]
	s_cbranch_execnz .LBB262_196
; %bb.61:                               ;   in Loop: Header=BB262_44 Depth=1
	s_or_saveexec_b64 s[10:11], s[10:11]
	v_mov_b32_e32 v18, s16
	s_xor_b64 exec, exec, s[10:11]
	s_cbranch_execnz .LBB262_199
.LBB262_62:                             ;   in Loop: Header=BB262_44 Depth=1
	s_or_b64 exec, exec, s[10:11]
	v_mov_b32_e32 v8, v19
	s_and_saveexec_b64 s[10:11], s[0:1]
	s_cbranch_execz .LBB262_64
.LBB262_63:                             ;   in Loop: Header=BB262_44 Depth=1
	v_and_b32_e32 v18, 7, v19
	v_ffbh_u32_e32 v18, v18
	v_bfe_u32 v25, v19, 3, 4
	v_min_u32_e32 v18, 32, v18
	v_subrev_u32_e32 v26, 28, v18
	v_sub_u32_e32 v18, 29, v18
	v_cmp_eq_u32_e32 vcc, 0, v25
	s_nop 1
	v_cndmask_b32_e32 v18, v25, v18, vcc
	v_cndmask_b32_e32 v25, 0, v26, vcc
	v_lshlrev_b64 v[26:27], v25, v[8:9]
	v_lshlrev_b32_e32 v25, 7, v26
	v_lshlrev_b32_e32 v26, 8, v19
	v_lshl_add_u32 v18, v18, 10, v7
	v_and_or_b32 v18, v26, s22, v18
	v_and_or_b32 v18, v25, s23, v18
	v_cvt_f32_f16_e32 v18, v18
.LBB262_64:                             ;   in Loop: Header=BB262_44 Depth=1
	s_or_b64 exec, exec, s[10:11]
	v_lshrrev_b16_e32 v8, 8, v8
	v_cmp_lt_i16_e32 vcc, s19, v8
	s_mov_b64 s[0:1], 0
                                        ; implicit-def: $sgpr16
	s_and_saveexec_b64 s[10:11], vcc
	s_xor_b64 s[10:11], exec, s[10:11]
	s_cbranch_execnz .LBB262_200
; %bb.65:                               ;   in Loop: Header=BB262_44 Depth=1
	s_or_saveexec_b64 s[10:11], s[10:11]
	v_mov_b32_e32 v25, s16
	s_xor_b64 exec, exec, s[10:11]
	s_cbranch_execnz .LBB262_203
.LBB262_66:                             ;   in Loop: Header=BB262_44 Depth=1
	s_or_b64 exec, exec, s[10:11]
	s_and_saveexec_b64 s[10:11], s[0:1]
	s_cbranch_execz .LBB262_68
.LBB262_67:                             ;   in Loop: Header=BB262_44 Depth=1
	v_and_b32_e32 v25, 7, v8
	v_ffbh_u32_e32 v26, v25
	v_min_u32_e32 v29, 32, v26
	v_subrev_u32_e32 v26, 28, v29
	v_bfe_u32 v28, v8, 3, 4
	v_lshlrev_b64 v[26:27], v26, v[8:9]
	v_sub_u32_e32 v27, 29, v29
	v_cmp_eq_u32_e32 vcc, 0, v28
	v_and_b32_e32 v26, 7, v26
	v_lshlrev_b32_e32 v8, 8, v8
	v_cndmask_b32_e32 v27, v28, v27, vcc
	v_cndmask_b32_e32 v25, v25, v26, vcc
	v_lshl_add_u32 v26, v27, 10, v7
	v_and_or_b32 v8, v8, s22, v26
	v_lshl_or_b32 v8, v25, 7, v8
	v_cvt_f32_f16_e32 v25, v8
.LBB262_68:                             ;   in Loop: Header=BB262_44 Depth=1
	s_or_b64 exec, exec, s[10:11]
	v_lshrrev_b32_e32 v8, 16, v19
	v_cmp_gt_i16_sdwa s[10:11], v8, s19 src0_sel:BYTE_0 src1_sel:DWORD
	s_mov_b64 s[0:1], 0
                                        ; implicit-def: $sgpr16
	s_and_saveexec_b64 s[12:13], s[10:11]
	s_xor_b64 s[10:11], exec, s[12:13]
	s_cbranch_execnz .LBB262_204
; %bb.69:                               ;   in Loop: Header=BB262_44 Depth=1
	s_or_saveexec_b64 s[10:11], s[10:11]
	v_mov_b32_e32 v26, s16
	s_xor_b64 exec, exec, s[10:11]
	s_cbranch_execnz .LBB262_207
.LBB262_70:                             ;   in Loop: Header=BB262_44 Depth=1
	s_or_b64 exec, exec, s[10:11]
	s_and_saveexec_b64 s[10:11], s[0:1]
	s_cbranch_execz .LBB262_72
.LBB262_71:                             ;   in Loop: Header=BB262_44 Depth=1
	v_bfe_u32 v28, v19, 16, 3
	v_ffbh_u32_e32 v26, v28
	v_min_u32_e32 v30, 32, v26
	v_subrev_u32_e32 v26, 28, v30
	v_bfe_u32 v29, v19, 19, 4
	v_lshlrev_b64 v[26:27], v26, v[8:9]
	v_sub_u32_e32 v27, 29, v30
	v_cmp_eq_u32_e32 vcc, 0, v29
	v_and_b32_e32 v26, 7, v26
	v_lshlrev_b32_e32 v8, 8, v8
	v_cndmask_b32_e32 v27, v29, v27, vcc
	v_lshl_add_u32 v27, v27, 10, v7
	v_cndmask_b32_e32 v26, v28, v26, vcc
	v_and_or_b32 v8, v8, s22, v27
	v_lshl_or_b32 v8, v26, 7, v8
	v_cvt_f32_f16_e32 v26, v8
.LBB262_72:                             ;   in Loop: Header=BB262_44 Depth=1
	s_or_b64 exec, exec, s[10:11]
	v_lshrrev_b32_e32 v8, 24, v19
	v_cmp_lt_i16_e32 vcc, s19, v8
	s_mov_b64 s[0:1], 0
                                        ; implicit-def: $sgpr16
	s_and_saveexec_b64 s[10:11], vcc
	s_xor_b64 s[10:11], exec, s[10:11]
	s_cbranch_execnz .LBB262_208
; %bb.73:                               ;   in Loop: Header=BB262_44 Depth=1
	s_or_saveexec_b64 s[10:11], s[10:11]
	v_mov_b32_e32 v27, s16
	s_xor_b64 exec, exec, s[10:11]
	s_cbranch_execnz .LBB262_211
.LBB262_74:                             ;   in Loop: Header=BB262_44 Depth=1
	s_or_b64 exec, exec, s[10:11]
	s_and_saveexec_b64 s[10:11], s[0:1]
	s_cbranch_execz .LBB262_76
.LBB262_75:                             ;   in Loop: Header=BB262_44 Depth=1
	v_bfe_u32 v27, v19, 24, 3
	v_ffbh_u32_e32 v28, v27
	v_min_u32_e32 v30, 32, v28
	v_subrev_u32_e32 v28, 28, v30
	v_bfe_u32 v19, v19, 27, 4
	v_lshlrev_b64 v[28:29], v28, v[8:9]
	v_sub_u32_e32 v29, 29, v30
	v_cmp_eq_u32_e32 vcc, 0, v19
	v_and_b32_e32 v28, 7, v28
	v_lshlrev_b32_e32 v8, 8, v8
	v_cndmask_b32_e32 v19, v19, v29, vcc
	v_lshl_add_u32 v19, v19, 10, v7
	v_cndmask_b32_e32 v27, v27, v28, vcc
	v_and_or_b32 v8, v8, s22, v19
	v_lshl_or_b32 v8, v27, 7, v8
	v_cvt_f32_f16_e32 v27, v8
.LBB262_76:                             ;   in Loop: Header=BB262_44 Depth=1
	s_or_b64 exec, exec, s[10:11]
	s_waitcnt vmcnt(0)
	v_pk_mul_f32 v[22:23], v[16:17], v[22:23] op_sel_hi:[0,1]
	v_pk_mul_f32 v[20:21], v[16:17], v[20:21] op_sel_hi:[0,1]
	v_cvt_f16_f32_e32 v8, v23
	v_cvt_f16_f32_e32 v19, v22
	;; [unrolled: 1-line block ×4, first 2 shown]
	v_fma_mixlo_f16 v18, v16, v18, 0
	v_pack_b32_f16 v19, v19, v8
	v_cmp_eq_u32_e32 vcc, s7, v6
	v_pack_b32_f16 v20, v20, v21
	v_perm_b32 v8, v20, v19, s24
	v_perm_b32 v19, v20, v19, s25
	v_fma_mixlo_f16 v20, v16, v25, 0
	v_lshlrev_b32_e32 v20, 16, v20
	v_or_b32_sdwa v18, v20, v18 dst_sel:DWORD dst_unused:UNUSED_PAD src0_sel:DWORD src1_sel:WORD_0
	v_fma_mixlo_f16 v20, v16, v26, 0
	v_fma_mixlo_f16 v16, v16, v27, 0
	v_lshlrev_b32_e32 v16, 16, v16
	v_or_b32_sdwa v16, v16, v20 dst_sel:DWORD dst_unused:UNUSED_PAD src0_sel:DWORD src1_sel:WORD_0
	v_add_u32_e32 v31, 1, v17
	v_or_b32_e32 v30, 3, v17
	v_or_b32_e32 v29, 2, v17
	;; [unrolled: 1-line block ×6, first 2 shown]
	s_and_saveexec_b64 s[10:11], vcc
	s_cbranch_execz .LBB262_78
; %bb.77:                               ;   in Loop: Header=BB262_44 Depth=1
	v_lshrrev_b32_e32 v21, 16, v19
	v_cmp_gt_i32_e64 s[0:1], s18, v31
	v_lshrrev_b32_e32 v16, 16, v16
	s_nop 0
	v_cndmask_b32_e64 v21, 0, v21, s[0:1]
	v_cmp_gt_i32_e64 s[0:1], s35, v17
	s_nop 1
	v_cndmask_b32_e64 v19, 0, v19, s[0:1]
	v_perm_b32 v19, v21, v19, s26
	v_lshrrev_b32_e32 v21, 16, v8
	v_cmp_gt_i32_e64 s[0:1], s18, v30
	s_nop 1
	v_cndmask_b32_e64 v21, 0, v21, s[0:1]
	v_cmp_gt_i32_e64 s[0:1], s35, v29
	s_nop 1
	v_cndmask_b32_e64 v8, 0, v8, s[0:1]
	v_perm_b32 v8, v21, v8, s26
	v_lshrrev_b32_e32 v21, 16, v18
	v_cmp_gt_i32_e64 s[0:1], s18, v28
	s_nop 1
	v_cndmask_b32_e64 v21, 0, v21, s[0:1]
	v_cmp_gt_i32_e64 s[0:1], s35, v27
	s_nop 1
	v_cndmask_b32_e64 v18, 0, v18, s[0:1]
	v_cmp_gt_i32_e64 s[0:1], s18, v26
	v_perm_b32 v18, v21, v18, s26
	s_nop 0
	v_cndmask_b32_e64 v16, 0, v16, s[0:1]
	v_cmp_gt_i32_e64 s[0:1], s35, v25
	s_nop 1
	v_cndmask_b32_e64 v20, 0, v20, s[0:1]
	v_perm_b32 v16, v16, v20, s26
.LBB262_78:                             ;   in Loop: Header=BB262_44 Depth=1
	s_or_b64 exec, exec, s[10:11]
	v_and_b32_e32 v20, 0xffff, v32
	v_lshl_or_b32 v32, v33, 16, v20
	v_and_b32_e32 v20, 0xffff, v34
	v_lshl_or_b32 v33, v35, 16, v20
	;; [unrolled: 2-line block ×3, first 2 shown]
	v_and_b32_e32 v20, 0xffff, v38
	;;#ASMSTART
	v_pk_mul_f16 v19, v32, v19;

	;;#ASMEND
	;;#ASMSTART
	v_pk_mul_f16 v8, v33, v8;

	;;#ASMEND
	v_lshl_or_b32 v35, v39, 16, v20
	;;#ASMSTART
	v_pk_mul_f16 v18, v34, v18;

	;;#ASMEND
	;;#ASMSTART
	v_pk_mul_f16 v16, v35, v16;

	;;#ASMEND
	;;#ASMSTART
	v_pk_add_f16 v8, v19, v8;

	;;#ASMEND
	s_mov_b64 s[0:1], 0
	;;#ASMSTART
	v_pk_add_f16 v8, v8, v18;

	;;#ASMEND
                                        ; implicit-def: $sgpr16
	s_nop 0
	;;#ASMSTART
	v_pk_add_f16 v8, v8, v16;

	;;#ASMEND
	s_nop 0
	v_lshrrev_b32_e32 v16, 16, v8
	v_and_b32_e32 v8, 0xffff, v8
	;;#ASMSTART
	v_cvt_f32_f16 v36, v8;
	;;#ASMEND
	;;#ASMSTART
	v_cvt_f32_f16 v37, v16;
	;;#ASMEND
	global_load_dwordx2 v[18:19], v[14:15], off offset:512
	global_load_dword v16, v9, s[14:15]
	s_waitcnt vmcnt(1)
	v_cmp_gt_i16_sdwa s[10:11], v18, s19 src0_sel:BYTE_0 src1_sel:DWORD
	s_and_saveexec_b64 s[12:13], s[10:11]
	s_xor_b64 s[10:11], exec, s[12:13]
	s_cbranch_execnz .LBB262_212
; %bb.79:                               ;   in Loop: Header=BB262_44 Depth=1
	s_or_saveexec_b64 s[10:11], s[10:11]
	v_mov_b32_e32 v20, s16
	s_xor_b64 exec, exec, s[10:11]
	s_cbranch_execnz .LBB262_215
.LBB262_80:                             ;   in Loop: Header=BB262_44 Depth=1
	s_or_b64 exec, exec, s[10:11]
	s_and_saveexec_b64 s[10:11], s[0:1]
	s_cbranch_execz .LBB262_82
.LBB262_81:                             ;   in Loop: Header=BB262_44 Depth=1
	v_and_b32_e32 v8, 7, v18
	v_ffbh_u32_e32 v8, v8
	v_bfe_u32 v20, v18, 3, 4
	v_min_u32_e32 v8, 32, v8
	v_subrev_u32_e32 v21, 28, v8
	v_sub_u32_e32 v8, 29, v8
	v_cmp_eq_u32_e64 s[0:1], 0, v20
	s_nop 1
	v_cndmask_b32_e64 v8, v20, v8, s[0:1]
	v_cndmask_b32_e64 v20, 0, v21, s[0:1]
	v_lshlrev_b64 v[20:21], v20, v[18:19]
	v_lshlrev_b32_e32 v21, 8, v18
	v_lshl_add_u32 v8, v8, 10, v7
	v_lshlrev_b32_e32 v20, 7, v20
	v_and_or_b32 v8, v21, s22, v8
	v_and_or_b32 v8, v20, s23, v8
	v_cvt_f32_f16_e32 v20, v8
.LBB262_82:                             ;   in Loop: Header=BB262_44 Depth=1
	s_or_b64 exec, exec, s[10:11]
	v_lshrrev_b16_e32 v8, 8, v18
	v_cmp_lt_i16_e64 s[0:1], s19, v8
	s_mov_b64 s[10:11], 0
                                        ; implicit-def: $sgpr27
	s_and_saveexec_b64 s[12:13], s[0:1]
	s_xor_b64 s[12:13], exec, s[12:13]
	s_cbranch_execnz .LBB262_216
; %bb.83:                               ;   in Loop: Header=BB262_44 Depth=1
	s_or_saveexec_b64 s[12:13], s[12:13]
	v_mov_b32_e32 v22, s27
	s_xor_b64 exec, exec, s[12:13]
	s_cbranch_execnz .LBB262_219
.LBB262_84:                             ;   in Loop: Header=BB262_44 Depth=1
	s_or_b64 exec, exec, s[12:13]
	s_and_saveexec_b64 s[12:13], s[10:11]
	s_cbranch_execz .LBB262_86
.LBB262_85:                             ;   in Loop: Header=BB262_44 Depth=1
	v_and_b32_e32 v21, 7, v8
	v_ffbh_u32_e32 v22, v21
	v_min_u32_e32 v39, 32, v22
	v_subrev_u32_e32 v22, 28, v39
	v_bfe_u32 v38, v8, 3, 4
	v_lshlrev_b64 v[22:23], v22, v[8:9]
	v_sub_u32_e32 v23, 29, v39
	v_cmp_eq_u32_e64 s[0:1], 0, v38
	v_and_b32_e32 v22, 7, v22
	v_lshlrev_b32_e32 v8, 8, v8
	v_cndmask_b32_e64 v23, v38, v23, s[0:1]
	v_cndmask_b32_e64 v21, v21, v22, s[0:1]
	v_lshl_add_u32 v22, v23, 10, v7
	v_and_or_b32 v8, v8, s22, v22
	v_lshl_or_b32 v8, v21, 7, v8
	v_cvt_f32_f16_e32 v22, v8
.LBB262_86:                             ;   in Loop: Header=BB262_44 Depth=1
	s_or_b64 exec, exec, s[12:13]
	v_lshrrev_b32_e32 v8, 16, v18
	v_cmp_gt_i16_sdwa s[10:11], v8, s19 src0_sel:BYTE_0 src1_sel:DWORD
	s_mov_b64 s[0:1], 0
                                        ; implicit-def: $sgpr16
	s_and_saveexec_b64 s[12:13], s[10:11]
	s_xor_b64 s[10:11], exec, s[12:13]
	s_cbranch_execnz .LBB262_220
; %bb.87:                               ;   in Loop: Header=BB262_44 Depth=1
	s_or_saveexec_b64 s[10:11], s[10:11]
	v_mov_b32_e32 v21, s16
	s_xor_b64 exec, exec, s[10:11]
	s_cbranch_execnz .LBB262_223
.LBB262_88:                             ;   in Loop: Header=BB262_44 Depth=1
	s_or_b64 exec, exec, s[10:11]
	s_and_saveexec_b64 s[10:11], s[0:1]
	s_cbranch_execz .LBB262_90
.LBB262_89:                             ;   in Loop: Header=BB262_44 Depth=1
	v_bfe_u32 v21, v18, 16, 3
	v_ffbh_u32_e32 v38, v21
	v_min_u32_e32 v40, 32, v38
	v_subrev_u32_e32 v38, 28, v40
	v_bfe_u32 v23, v18, 19, 4
	v_lshlrev_b64 v[38:39], v38, v[8:9]
	v_sub_u32_e32 v39, 29, v40
	v_cmp_eq_u32_e64 s[0:1], 0, v23
	v_and_b32_e32 v38, 7, v38
	v_lshlrev_b32_e32 v8, 8, v8
	v_cndmask_b32_e64 v23, v23, v39, s[0:1]
	v_lshl_add_u32 v23, v23, 10, v7
	v_cndmask_b32_e64 v21, v21, v38, s[0:1]
	v_and_or_b32 v8, v8, s22, v23
	v_lshl_or_b32 v8, v21, 7, v8
	v_cvt_f32_f16_e32 v21, v8
.LBB262_90:                             ;   in Loop: Header=BB262_44 Depth=1
	s_or_b64 exec, exec, s[10:11]
	v_lshrrev_b32_e32 v8, 24, v18
	v_cmp_lt_i16_e64 s[0:1], s19, v8
	s_mov_b64 s[10:11], 0
                                        ; implicit-def: $sgpr27
	s_and_saveexec_b64 s[12:13], s[0:1]
	s_xor_b64 s[12:13], exec, s[12:13]
	s_cbranch_execnz .LBB262_224
; %bb.91:                               ;   in Loop: Header=BB262_44 Depth=1
	s_or_saveexec_b64 s[12:13], s[12:13]
	v_mov_b32_e32 v23, s27
	s_xor_b64 exec, exec, s[12:13]
	s_cbranch_execnz .LBB262_227
.LBB262_92:                             ;   in Loop: Header=BB262_44 Depth=1
	s_or_b64 exec, exec, s[12:13]
	s_and_saveexec_b64 s[12:13], s[10:11]
	s_cbranch_execz .LBB262_94
.LBB262_93:                             ;   in Loop: Header=BB262_44 Depth=1
	v_bfe_u32 v23, v18, 24, 3
	v_ffbh_u32_e32 v38, v23
	v_min_u32_e32 v40, 32, v38
	v_subrev_u32_e32 v38, 28, v40
	v_bfe_u32 v18, v18, 27, 4
	v_lshlrev_b64 v[38:39], v38, v[8:9]
	v_sub_u32_e32 v39, 29, v40
	v_cmp_eq_u32_e64 s[0:1], 0, v18
	v_and_b32_e32 v38, 7, v38
	v_lshlrev_b32_e32 v8, 8, v8
	v_cndmask_b32_e64 v18, v18, v39, s[0:1]
	v_lshl_add_u32 v18, v18, 10, v7
	v_cndmask_b32_e64 v23, v23, v38, s[0:1]
	v_and_or_b32 v8, v8, s22, v18
	v_lshl_or_b32 v8, v23, 7, v8
	v_cvt_f32_f16_e32 v23, v8
.LBB262_94:                             ;   in Loop: Header=BB262_44 Depth=1
	s_or_b64 exec, exec, s[12:13]
	v_cmp_gt_i16_sdwa s[10:11], v19, s19 src0_sel:BYTE_0 src1_sel:DWORD
	s_mov_b64 s[0:1], 0
                                        ; implicit-def: $sgpr16
	s_and_saveexec_b64 s[12:13], s[10:11]
	s_xor_b64 s[10:11], exec, s[12:13]
	s_cbranch_execnz .LBB262_228
; %bb.95:                               ;   in Loop: Header=BB262_44 Depth=1
	s_or_saveexec_b64 s[10:11], s[10:11]
	v_mov_b32_e32 v18, s16
	s_xor_b64 exec, exec, s[10:11]
	s_cbranch_execnz .LBB262_231
.LBB262_96:                             ;   in Loop: Header=BB262_44 Depth=1
	s_or_b64 exec, exec, s[10:11]
	v_mov_b32_e32 v8, v19
	s_and_saveexec_b64 s[10:11], s[0:1]
	s_cbranch_execz .LBB262_98
.LBB262_97:                             ;   in Loop: Header=BB262_44 Depth=1
	v_and_b32_e32 v18, 7, v19
	v_ffbh_u32_e32 v18, v18
	v_bfe_u32 v38, v19, 3, 4
	v_min_u32_e32 v18, 32, v18
	v_subrev_u32_e32 v39, 28, v18
	v_sub_u32_e32 v18, 29, v18
	v_cmp_eq_u32_e64 s[0:1], 0, v38
	s_nop 1
	v_cndmask_b32_e64 v18, v38, v18, s[0:1]
	v_cndmask_b32_e64 v38, 0, v39, s[0:1]
	v_lshlrev_b64 v[38:39], v38, v[8:9]
	v_lshlrev_b32_e32 v39, 8, v19
	v_lshl_add_u32 v18, v18, 10, v7
	v_lshlrev_b32_e32 v38, 7, v38
	v_and_or_b32 v18, v39, s22, v18
	v_and_or_b32 v18, v38, s23, v18
	v_cvt_f32_f16_e32 v18, v18
.LBB262_98:                             ;   in Loop: Header=BB262_44 Depth=1
	s_or_b64 exec, exec, s[10:11]
	v_lshrrev_b16_e32 v8, 8, v8
	v_cmp_lt_i16_e64 s[0:1], s19, v8
	s_mov_b64 s[10:11], 0
                                        ; implicit-def: $sgpr27
	s_and_saveexec_b64 s[12:13], s[0:1]
	s_xor_b64 s[12:13], exec, s[12:13]
	s_cbranch_execnz .LBB262_232
; %bb.99:                               ;   in Loop: Header=BB262_44 Depth=1
	s_or_saveexec_b64 s[12:13], s[12:13]
	v_mov_b32_e32 v38, s27
	s_xor_b64 exec, exec, s[12:13]
	s_cbranch_execnz .LBB262_235
.LBB262_100:                            ;   in Loop: Header=BB262_44 Depth=1
	s_or_b64 exec, exec, s[12:13]
	s_and_saveexec_b64 s[12:13], s[10:11]
	s_cbranch_execz .LBB262_102
.LBB262_101:                            ;   in Loop: Header=BB262_44 Depth=1
	v_and_b32_e32 v40, 7, v8
	v_ffbh_u32_e32 v38, v40
	v_min_u32_e32 v42, 32, v38
	v_subrev_u32_e32 v38, 28, v42
	v_bfe_u32 v41, v8, 3, 4
	v_lshlrev_b64 v[38:39], v38, v[8:9]
	v_sub_u32_e32 v39, 29, v42
	v_cmp_eq_u32_e64 s[0:1], 0, v41
	v_and_b32_e32 v38, 7, v38
	v_lshlrev_b32_e32 v8, 8, v8
	v_cndmask_b32_e64 v39, v41, v39, s[0:1]
	v_lshl_add_u32 v39, v39, 10, v7
	v_cndmask_b32_e64 v38, v40, v38, s[0:1]
	v_and_or_b32 v8, v8, s22, v39
	v_lshl_or_b32 v8, v38, 7, v8
	v_cvt_f32_f16_e32 v38, v8
.LBB262_102:                            ;   in Loop: Header=BB262_44 Depth=1
	s_or_b64 exec, exec, s[12:13]
	v_lshrrev_b32_e32 v8, 16, v19
	v_cmp_gt_i16_sdwa s[10:11], v8, s19 src0_sel:BYTE_0 src1_sel:DWORD
	s_mov_b64 s[0:1], 0
                                        ; implicit-def: $sgpr16
	s_and_saveexec_b64 s[12:13], s[10:11]
	s_xor_b64 s[10:11], exec, s[12:13]
	s_cbranch_execnz .LBB262_236
; %bb.103:                              ;   in Loop: Header=BB262_44 Depth=1
	s_or_saveexec_b64 s[10:11], s[10:11]
	v_mov_b32_e32 v39, s16
	s_xor_b64 exec, exec, s[10:11]
	s_cbranch_execnz .LBB262_239
.LBB262_104:                            ;   in Loop: Header=BB262_44 Depth=1
	s_or_b64 exec, exec, s[10:11]
	s_and_saveexec_b64 s[10:11], s[0:1]
	s_cbranch_execz .LBB262_106
.LBB262_105:                            ;   in Loop: Header=BB262_44 Depth=1
	v_bfe_u32 v39, v19, 16, 3
	v_ffbh_u32_e32 v40, v39
	v_min_u32_e32 v43, 32, v40
	v_subrev_u32_e32 v40, 28, v43
	v_bfe_u32 v42, v19, 19, 4
	v_lshlrev_b64 v[40:41], v40, v[8:9]
	v_sub_u32_e32 v41, 29, v43
	v_cmp_eq_u32_e64 s[0:1], 0, v42
	v_and_b32_e32 v40, 7, v40
	v_lshlrev_b32_e32 v8, 8, v8
	v_cndmask_b32_e64 v41, v42, v41, s[0:1]
	v_cndmask_b32_e64 v39, v39, v40, s[0:1]
	v_lshl_add_u32 v40, v41, 10, v7
	v_and_or_b32 v8, v8, s22, v40
	v_lshl_or_b32 v8, v39, 7, v8
	v_cvt_f32_f16_e32 v39, v8
.LBB262_106:                            ;   in Loop: Header=BB262_44 Depth=1
	s_or_b64 exec, exec, s[10:11]
	v_lshrrev_b32_e32 v8, 24, v19
	v_cmp_lt_i16_e64 s[0:1], s19, v8
	s_mov_b64 s[10:11], 0
                                        ; implicit-def: $sgpr27
	s_and_saveexec_b64 s[12:13], s[0:1]
	s_xor_b64 s[12:13], exec, s[12:13]
	s_cbranch_execnz .LBB262_240
; %bb.107:                              ;   in Loop: Header=BB262_44 Depth=1
	s_or_saveexec_b64 s[12:13], s[12:13]
	v_mov_b32_e32 v40, s27
	s_xor_b64 exec, exec, s[12:13]
	s_cbranch_execnz .LBB262_243
.LBB262_108:                            ;   in Loop: Header=BB262_44 Depth=1
	s_or_b64 exec, exec, s[12:13]
	s_and_saveexec_b64 s[12:13], s[10:11]
	s_cbranch_execz .LBB262_110
.LBB262_109:                            ;   in Loop: Header=BB262_44 Depth=1
	v_bfe_u32 v42, v19, 24, 3
	v_ffbh_u32_e32 v40, v42
	v_min_u32_e32 v43, 32, v40
	v_subrev_u32_e32 v40, 28, v43
	v_bfe_u32 v19, v19, 27, 4
	v_lshlrev_b64 v[40:41], v40, v[8:9]
	v_sub_u32_e32 v41, 29, v43
	v_cmp_eq_u32_e64 s[0:1], 0, v19
	v_and_b32_e32 v40, 7, v40
	v_lshlrev_b32_e32 v8, 8, v8
	v_cndmask_b32_e64 v19, v19, v41, s[0:1]
	v_lshl_add_u32 v19, v19, 10, v7
	v_cndmask_b32_e64 v40, v42, v40, s[0:1]
	v_and_or_b32 v8, v8, s22, v19
	v_lshl_or_b32 v8, v40, 7, v8
	v_cvt_f32_f16_e32 v40, v8
.LBB262_110:                            ;   in Loop: Header=BB262_44 Depth=1
	s_or_b64 exec, exec, s[12:13]
	s_waitcnt vmcnt(0)
	v_pk_mul_f32 v[22:23], v[16:17], v[22:23] op_sel_hi:[0,1]
	v_pk_mul_f32 v[20:21], v[16:17], v[20:21] op_sel_hi:[0,1]
	v_cvt_f16_f32_e32 v8, v23
	v_cvt_f16_f32_e32 v19, v22
	;; [unrolled: 1-line block ×4, first 2 shown]
	v_fma_mixlo_f16 v18, v16, v18, 0
	v_pack_b32_f16 v19, v19, v8
	v_pack_b32_f16 v20, v20, v21
	v_perm_b32 v8, v20, v19, s24
	v_perm_b32 v19, v20, v19, s25
	v_fma_mixlo_f16 v20, v16, v38, 0
	v_lshlrev_b32_e32 v20, 16, v20
	v_or_b32_sdwa v18, v20, v18 dst_sel:DWORD dst_unused:UNUSED_PAD src0_sel:DWORD src1_sel:WORD_0
	v_fma_mixlo_f16 v20, v16, v39, 0
	v_fma_mixlo_f16 v16, v16, v40, 0
	v_lshlrev_b32_e32 v16, 16, v16
	v_or_b32_sdwa v16, v16, v20 dst_sel:DWORD dst_unused:UNUSED_PAD src0_sel:DWORD src1_sel:WORD_0
	s_and_saveexec_b64 s[10:11], vcc
	s_cbranch_execz .LBB262_112
; %bb.111:                              ;   in Loop: Header=BB262_44 Depth=1
	v_lshrrev_b32_e32 v21, 16, v19
	v_cmp_gt_i32_e64 s[0:1], s18, v31
	v_lshrrev_b32_e32 v16, 16, v16
	s_nop 0
	v_cndmask_b32_e64 v21, 0, v21, s[0:1]
	v_cmp_gt_i32_e64 s[0:1], s35, v17
	s_nop 1
	v_cndmask_b32_e64 v19, 0, v19, s[0:1]
	v_perm_b32 v19, v21, v19, s26
	v_lshrrev_b32_e32 v21, 16, v8
	v_cmp_gt_i32_e64 s[0:1], s18, v30
	s_nop 1
	v_cndmask_b32_e64 v21, 0, v21, s[0:1]
	v_cmp_gt_i32_e64 s[0:1], s35, v29
	s_nop 1
	v_cndmask_b32_e64 v8, 0, v8, s[0:1]
	v_perm_b32 v8, v21, v8, s26
	v_lshrrev_b32_e32 v21, 16, v18
	v_cmp_gt_i32_e64 s[0:1], s18, v28
	s_nop 1
	v_cndmask_b32_e64 v21, 0, v21, s[0:1]
	v_cmp_gt_i32_e64 s[0:1], s35, v27
	s_nop 1
	v_cndmask_b32_e64 v18, 0, v18, s[0:1]
	v_cmp_gt_i32_e64 s[0:1], s18, v26
	v_perm_b32 v18, v21, v18, s26
	s_nop 0
	v_cndmask_b32_e64 v16, 0, v16, s[0:1]
	v_cmp_gt_i32_e64 s[0:1], s35, v25
	s_nop 1
	v_cndmask_b32_e64 v20, 0, v20, s[0:1]
	v_perm_b32 v16, v16, v20, s26
.LBB262_112:                            ;   in Loop: Header=BB262_44 Depth=1
	s_or_b64 exec, exec, s[10:11]
	;;#ASMSTART
	v_pk_mul_f16 v19, v32, v19;

	;;#ASMEND
	;;#ASMSTART
	v_pk_mul_f16 v8, v33, v8;

	;;#ASMEND
	;; [unrolled: 4-line block ×4, first 2 shown]
	s_mov_b64 s[0:1], 0
	;;#ASMSTART
	v_pk_add_f16 v8, v19, v8;

	;;#ASMEND
                                        ; implicit-def: $sgpr16
	s_nop 0
	;;#ASMSTART
	v_pk_add_f16 v8, v8, v18;

	;;#ASMEND
	s_nop 0
	;;#ASMSTART
	v_pk_add_f16 v8, v8, v16;

	;;#ASMEND
	s_nop 0
	v_lshrrev_b32_e32 v16, 16, v8
	v_and_b32_e32 v8, 0xffff, v8
	;;#ASMSTART
	v_cvt_f32_f16 v38, v8;
	;;#ASMEND
	;;#ASMSTART
	v_cvt_f32_f16 v39, v16;
	;;#ASMEND
	global_load_dwordx2 v[18:19], v[14:15], off offset:1024
	global_load_dword v16, v9, s[14:15]
	s_waitcnt vmcnt(1)
	v_cmp_gt_i16_sdwa s[10:11], v18, s19 src0_sel:BYTE_0 src1_sel:DWORD
	s_and_saveexec_b64 s[12:13], s[10:11]
	s_xor_b64 s[10:11], exec, s[12:13]
	s_cbranch_execnz .LBB262_244
; %bb.113:                              ;   in Loop: Header=BB262_44 Depth=1
	s_or_saveexec_b64 s[10:11], s[10:11]
	v_mov_b32_e32 v20, s16
	s_xor_b64 exec, exec, s[10:11]
	s_cbranch_execnz .LBB262_247
.LBB262_114:                            ;   in Loop: Header=BB262_44 Depth=1
	s_or_b64 exec, exec, s[10:11]
	s_and_saveexec_b64 s[10:11], s[0:1]
	s_cbranch_execz .LBB262_116
.LBB262_115:                            ;   in Loop: Header=BB262_44 Depth=1
	v_and_b32_e32 v8, 7, v18
	v_ffbh_u32_e32 v8, v8
	v_bfe_u32 v20, v18, 3, 4
	v_min_u32_e32 v8, 32, v8
	v_subrev_u32_e32 v21, 28, v8
	v_sub_u32_e32 v8, 29, v8
	v_cmp_eq_u32_e64 s[0:1], 0, v20
	s_nop 1
	v_cndmask_b32_e64 v8, v20, v8, s[0:1]
	v_cndmask_b32_e64 v20, 0, v21, s[0:1]
	v_lshlrev_b64 v[20:21], v20, v[18:19]
	v_lshlrev_b32_e32 v21, 8, v18
	v_lshl_add_u32 v8, v8, 10, v7
	v_lshlrev_b32_e32 v20, 7, v20
	v_and_or_b32 v8, v21, s22, v8
	v_and_or_b32 v8, v20, s23, v8
	v_cvt_f32_f16_e32 v20, v8
.LBB262_116:                            ;   in Loop: Header=BB262_44 Depth=1
	s_or_b64 exec, exec, s[10:11]
	v_lshrrev_b16_e32 v8, 8, v18
	v_cmp_lt_i16_e64 s[0:1], s19, v8
	s_mov_b64 s[10:11], 0
                                        ; implicit-def: $sgpr27
	s_and_saveexec_b64 s[12:13], s[0:1]
	s_xor_b64 s[12:13], exec, s[12:13]
	s_cbranch_execnz .LBB262_248
; %bb.117:                              ;   in Loop: Header=BB262_44 Depth=1
	s_or_saveexec_b64 s[12:13], s[12:13]
	v_mov_b32_e32 v22, s27
	s_xor_b64 exec, exec, s[12:13]
	s_cbranch_execnz .LBB262_251
.LBB262_118:                            ;   in Loop: Header=BB262_44 Depth=1
	s_or_b64 exec, exec, s[12:13]
	s_and_saveexec_b64 s[12:13], s[10:11]
	s_cbranch_execz .LBB262_120
.LBB262_119:                            ;   in Loop: Header=BB262_44 Depth=1
	v_and_b32_e32 v21, 7, v8
	v_ffbh_u32_e32 v22, v21
	v_min_u32_e32 v41, 32, v22
	v_subrev_u32_e32 v22, 28, v41
	v_bfe_u32 v40, v8, 3, 4
	v_lshlrev_b64 v[22:23], v22, v[8:9]
	v_sub_u32_e32 v23, 29, v41
	v_cmp_eq_u32_e64 s[0:1], 0, v40
	v_and_b32_e32 v22, 7, v22
	v_lshlrev_b32_e32 v8, 8, v8
	v_cndmask_b32_e64 v23, v40, v23, s[0:1]
	v_cndmask_b32_e64 v21, v21, v22, s[0:1]
	v_lshl_add_u32 v22, v23, 10, v7
	v_and_or_b32 v8, v8, s22, v22
	v_lshl_or_b32 v8, v21, 7, v8
	v_cvt_f32_f16_e32 v22, v8
.LBB262_120:                            ;   in Loop: Header=BB262_44 Depth=1
	s_or_b64 exec, exec, s[12:13]
	v_lshrrev_b32_e32 v8, 16, v18
	v_cmp_gt_i16_sdwa s[10:11], v8, s19 src0_sel:BYTE_0 src1_sel:DWORD
	s_mov_b64 s[0:1], 0
                                        ; implicit-def: $sgpr16
	s_and_saveexec_b64 s[12:13], s[10:11]
	s_xor_b64 s[10:11], exec, s[12:13]
	s_cbranch_execnz .LBB262_252
; %bb.121:                              ;   in Loop: Header=BB262_44 Depth=1
	s_or_saveexec_b64 s[10:11], s[10:11]
	v_mov_b32_e32 v21, s16
	s_xor_b64 exec, exec, s[10:11]
	s_cbranch_execnz .LBB262_255
.LBB262_122:                            ;   in Loop: Header=BB262_44 Depth=1
	s_or_b64 exec, exec, s[10:11]
	s_and_saveexec_b64 s[10:11], s[0:1]
	s_cbranch_execz .LBB262_124
.LBB262_123:                            ;   in Loop: Header=BB262_44 Depth=1
	v_bfe_u32 v21, v18, 16, 3
	v_ffbh_u32_e32 v40, v21
	v_min_u32_e32 v42, 32, v40
	v_subrev_u32_e32 v40, 28, v42
	v_bfe_u32 v23, v18, 19, 4
	v_lshlrev_b64 v[40:41], v40, v[8:9]
	v_sub_u32_e32 v41, 29, v42
	v_cmp_eq_u32_e64 s[0:1], 0, v23
	v_and_b32_e32 v40, 7, v40
	v_lshlrev_b32_e32 v8, 8, v8
	v_cndmask_b32_e64 v23, v23, v41, s[0:1]
	v_lshl_add_u32 v23, v23, 10, v7
	v_cndmask_b32_e64 v21, v21, v40, s[0:1]
	v_and_or_b32 v8, v8, s22, v23
	v_lshl_or_b32 v8, v21, 7, v8
	v_cvt_f32_f16_e32 v21, v8
.LBB262_124:                            ;   in Loop: Header=BB262_44 Depth=1
	s_or_b64 exec, exec, s[10:11]
	v_lshrrev_b32_e32 v8, 24, v18
	v_cmp_lt_i16_e64 s[0:1], s19, v8
	s_mov_b64 s[10:11], 0
                                        ; implicit-def: $sgpr27
	s_and_saveexec_b64 s[12:13], s[0:1]
	s_xor_b64 s[12:13], exec, s[12:13]
	s_cbranch_execnz .LBB262_256
; %bb.125:                              ;   in Loop: Header=BB262_44 Depth=1
	s_or_saveexec_b64 s[12:13], s[12:13]
	v_mov_b32_e32 v23, s27
	s_xor_b64 exec, exec, s[12:13]
	s_cbranch_execnz .LBB262_259
.LBB262_126:                            ;   in Loop: Header=BB262_44 Depth=1
	s_or_b64 exec, exec, s[12:13]
	s_and_saveexec_b64 s[12:13], s[10:11]
	s_cbranch_execz .LBB262_128
.LBB262_127:                            ;   in Loop: Header=BB262_44 Depth=1
	v_bfe_u32 v23, v18, 24, 3
	v_ffbh_u32_e32 v40, v23
	v_min_u32_e32 v42, 32, v40
	v_subrev_u32_e32 v40, 28, v42
	v_bfe_u32 v18, v18, 27, 4
	v_lshlrev_b64 v[40:41], v40, v[8:9]
	v_sub_u32_e32 v41, 29, v42
	v_cmp_eq_u32_e64 s[0:1], 0, v18
	v_and_b32_e32 v40, 7, v40
	v_lshlrev_b32_e32 v8, 8, v8
	v_cndmask_b32_e64 v18, v18, v41, s[0:1]
	v_lshl_add_u32 v18, v18, 10, v7
	v_cndmask_b32_e64 v23, v23, v40, s[0:1]
	v_and_or_b32 v8, v8, s22, v18
	v_lshl_or_b32 v8, v23, 7, v8
	v_cvt_f32_f16_e32 v23, v8
.LBB262_128:                            ;   in Loop: Header=BB262_44 Depth=1
	s_or_b64 exec, exec, s[12:13]
	v_cmp_gt_i16_sdwa s[10:11], v19, s19 src0_sel:BYTE_0 src1_sel:DWORD
	s_mov_b64 s[0:1], 0
                                        ; implicit-def: $sgpr16
	s_and_saveexec_b64 s[12:13], s[10:11]
	s_xor_b64 s[10:11], exec, s[12:13]
	s_cbranch_execnz .LBB262_260
; %bb.129:                              ;   in Loop: Header=BB262_44 Depth=1
	s_or_saveexec_b64 s[10:11], s[10:11]
	v_mov_b32_e32 v18, s16
	s_xor_b64 exec, exec, s[10:11]
	s_cbranch_execnz .LBB262_263
.LBB262_130:                            ;   in Loop: Header=BB262_44 Depth=1
	s_or_b64 exec, exec, s[10:11]
	v_mov_b32_e32 v8, v19
	s_and_saveexec_b64 s[10:11], s[0:1]
	s_cbranch_execz .LBB262_132
.LBB262_131:                            ;   in Loop: Header=BB262_44 Depth=1
	v_and_b32_e32 v18, 7, v19
	v_ffbh_u32_e32 v18, v18
	v_bfe_u32 v40, v19, 3, 4
	v_min_u32_e32 v18, 32, v18
	v_subrev_u32_e32 v41, 28, v18
	v_sub_u32_e32 v18, 29, v18
	v_cmp_eq_u32_e64 s[0:1], 0, v40
	s_nop 1
	v_cndmask_b32_e64 v18, v40, v18, s[0:1]
	v_cndmask_b32_e64 v40, 0, v41, s[0:1]
	v_lshlrev_b64 v[40:41], v40, v[8:9]
	v_lshlrev_b32_e32 v41, 8, v19
	v_lshl_add_u32 v18, v18, 10, v7
	v_lshlrev_b32_e32 v40, 7, v40
	v_and_or_b32 v18, v41, s22, v18
	v_and_or_b32 v18, v40, s23, v18
	v_cvt_f32_f16_e32 v18, v18
.LBB262_132:                            ;   in Loop: Header=BB262_44 Depth=1
	s_or_b64 exec, exec, s[10:11]
	v_lshrrev_b16_e32 v8, 8, v8
	v_cmp_lt_i16_e64 s[0:1], s19, v8
	s_mov_b64 s[10:11], 0
                                        ; implicit-def: $sgpr27
	s_and_saveexec_b64 s[12:13], s[0:1]
	s_xor_b64 s[12:13], exec, s[12:13]
	s_cbranch_execnz .LBB262_264
; %bb.133:                              ;   in Loop: Header=BB262_44 Depth=1
	s_or_saveexec_b64 s[12:13], s[12:13]
	v_mov_b32_e32 v40, s27
	s_xor_b64 exec, exec, s[12:13]
	s_cbranch_execnz .LBB262_267
.LBB262_134:                            ;   in Loop: Header=BB262_44 Depth=1
	s_or_b64 exec, exec, s[12:13]
	s_and_saveexec_b64 s[12:13], s[10:11]
	s_cbranch_execz .LBB262_136
.LBB262_135:                            ;   in Loop: Header=BB262_44 Depth=1
	v_and_b32_e32 v42, 7, v8
	v_ffbh_u32_e32 v40, v42
	v_min_u32_e32 v44, 32, v40
	v_subrev_u32_e32 v40, 28, v44
	v_bfe_u32 v43, v8, 3, 4
	v_lshlrev_b64 v[40:41], v40, v[8:9]
	v_sub_u32_e32 v41, 29, v44
	v_cmp_eq_u32_e64 s[0:1], 0, v43
	v_and_b32_e32 v40, 7, v40
	v_lshlrev_b32_e32 v8, 8, v8
	v_cndmask_b32_e64 v41, v43, v41, s[0:1]
	v_lshl_add_u32 v41, v41, 10, v7
	v_cndmask_b32_e64 v40, v42, v40, s[0:1]
	v_and_or_b32 v8, v8, s22, v41
	v_lshl_or_b32 v8, v40, 7, v8
	v_cvt_f32_f16_e32 v40, v8
.LBB262_136:                            ;   in Loop: Header=BB262_44 Depth=1
	s_or_b64 exec, exec, s[12:13]
	v_lshrrev_b32_e32 v8, 16, v19
	v_cmp_gt_i16_sdwa s[10:11], v8, s19 src0_sel:BYTE_0 src1_sel:DWORD
	s_mov_b64 s[0:1], 0
                                        ; implicit-def: $sgpr16
	s_and_saveexec_b64 s[12:13], s[10:11]
	s_xor_b64 s[10:11], exec, s[12:13]
	s_cbranch_execnz .LBB262_268
; %bb.137:                              ;   in Loop: Header=BB262_44 Depth=1
	s_or_saveexec_b64 s[10:11], s[10:11]
	v_mov_b32_e32 v41, s16
	s_xor_b64 exec, exec, s[10:11]
	s_cbranch_execnz .LBB262_271
.LBB262_138:                            ;   in Loop: Header=BB262_44 Depth=1
	s_or_b64 exec, exec, s[10:11]
	s_and_saveexec_b64 s[10:11], s[0:1]
	s_cbranch_execz .LBB262_140
.LBB262_139:                            ;   in Loop: Header=BB262_44 Depth=1
	v_bfe_u32 v41, v19, 16, 3
	v_ffbh_u32_e32 v42, v41
	v_min_u32_e32 v45, 32, v42
	v_subrev_u32_e32 v42, 28, v45
	v_bfe_u32 v44, v19, 19, 4
	v_lshlrev_b64 v[42:43], v42, v[8:9]
	v_sub_u32_e32 v43, 29, v45
	v_cmp_eq_u32_e64 s[0:1], 0, v44
	v_and_b32_e32 v42, 7, v42
	v_lshlrev_b32_e32 v8, 8, v8
	v_cndmask_b32_e64 v43, v44, v43, s[0:1]
	v_cndmask_b32_e64 v41, v41, v42, s[0:1]
	v_lshl_add_u32 v42, v43, 10, v7
	v_and_or_b32 v8, v8, s22, v42
	v_lshl_or_b32 v8, v41, 7, v8
	v_cvt_f32_f16_e32 v41, v8
.LBB262_140:                            ;   in Loop: Header=BB262_44 Depth=1
	s_or_b64 exec, exec, s[10:11]
	v_lshrrev_b32_e32 v8, 24, v19
	v_cmp_lt_i16_e64 s[0:1], s19, v8
	s_mov_b64 s[10:11], 0
                                        ; implicit-def: $sgpr27
	s_and_saveexec_b64 s[12:13], s[0:1]
	s_xor_b64 s[12:13], exec, s[12:13]
	s_cbranch_execnz .LBB262_272
; %bb.141:                              ;   in Loop: Header=BB262_44 Depth=1
	s_or_saveexec_b64 s[12:13], s[12:13]
	v_mov_b32_e32 v42, s27
	s_xor_b64 exec, exec, s[12:13]
	s_cbranch_execnz .LBB262_275
.LBB262_142:                            ;   in Loop: Header=BB262_44 Depth=1
	s_or_b64 exec, exec, s[12:13]
	s_and_saveexec_b64 s[12:13], s[10:11]
	s_cbranch_execz .LBB262_144
.LBB262_143:                            ;   in Loop: Header=BB262_44 Depth=1
	v_bfe_u32 v44, v19, 24, 3
	v_ffbh_u32_e32 v42, v44
	v_min_u32_e32 v45, 32, v42
	v_subrev_u32_e32 v42, 28, v45
	v_bfe_u32 v19, v19, 27, 4
	v_lshlrev_b64 v[42:43], v42, v[8:9]
	v_sub_u32_e32 v43, 29, v45
	v_cmp_eq_u32_e64 s[0:1], 0, v19
	v_and_b32_e32 v42, 7, v42
	v_lshlrev_b32_e32 v8, 8, v8
	v_cndmask_b32_e64 v19, v19, v43, s[0:1]
	v_lshl_add_u32 v19, v19, 10, v7
	v_cndmask_b32_e64 v42, v44, v42, s[0:1]
	v_and_or_b32 v8, v8, s22, v19
	v_lshl_or_b32 v8, v42, 7, v8
	v_cvt_f32_f16_e32 v42, v8
.LBB262_144:                            ;   in Loop: Header=BB262_44 Depth=1
	s_or_b64 exec, exec, s[12:13]
	s_waitcnt vmcnt(0)
	v_pk_mul_f32 v[22:23], v[16:17], v[22:23] op_sel_hi:[0,1]
	v_pk_mul_f32 v[20:21], v[16:17], v[20:21] op_sel_hi:[0,1]
	v_cvt_f16_f32_e32 v8, v23
	v_cvt_f16_f32_e32 v19, v22
	;; [unrolled: 1-line block ×4, first 2 shown]
	v_fma_mixlo_f16 v18, v16, v18, 0
	v_pack_b32_f16 v19, v19, v8
	v_pack_b32_f16 v20, v20, v21
	v_perm_b32 v8, v20, v19, s24
	v_perm_b32 v19, v20, v19, s25
	v_fma_mixlo_f16 v20, v16, v40, 0
	v_lshlrev_b32_e32 v20, 16, v20
	v_or_b32_sdwa v18, v20, v18 dst_sel:DWORD dst_unused:UNUSED_PAD src0_sel:DWORD src1_sel:WORD_0
	v_fma_mixlo_f16 v20, v16, v41, 0
	v_fma_mixlo_f16 v16, v16, v42, 0
	v_lshlrev_b32_e32 v16, 16, v16
	v_or_b32_sdwa v16, v16, v20 dst_sel:DWORD dst_unused:UNUSED_PAD src0_sel:DWORD src1_sel:WORD_0
	s_and_saveexec_b64 s[10:11], vcc
	s_cbranch_execz .LBB262_146
; %bb.145:                              ;   in Loop: Header=BB262_44 Depth=1
	v_lshrrev_b32_e32 v21, 16, v19
	v_cmp_gt_i32_e64 s[0:1], s18, v31
	v_lshrrev_b32_e32 v16, 16, v16
	s_nop 0
	v_cndmask_b32_e64 v21, 0, v21, s[0:1]
	v_cmp_gt_i32_e64 s[0:1], s35, v17
	s_nop 1
	v_cndmask_b32_e64 v19, 0, v19, s[0:1]
	v_perm_b32 v19, v21, v19, s26
	v_lshrrev_b32_e32 v21, 16, v8
	v_cmp_gt_i32_e64 s[0:1], s18, v30
	s_nop 1
	v_cndmask_b32_e64 v21, 0, v21, s[0:1]
	v_cmp_gt_i32_e64 s[0:1], s35, v29
	s_nop 1
	v_cndmask_b32_e64 v8, 0, v8, s[0:1]
	v_perm_b32 v8, v21, v8, s26
	v_lshrrev_b32_e32 v21, 16, v18
	v_cmp_gt_i32_e64 s[0:1], s18, v28
	s_nop 1
	v_cndmask_b32_e64 v21, 0, v21, s[0:1]
	v_cmp_gt_i32_e64 s[0:1], s35, v27
	s_nop 1
	v_cndmask_b32_e64 v18, 0, v18, s[0:1]
	v_cmp_gt_i32_e64 s[0:1], s18, v26
	v_perm_b32 v18, v21, v18, s26
	s_nop 0
	v_cndmask_b32_e64 v16, 0, v16, s[0:1]
	v_cmp_gt_i32_e64 s[0:1], s35, v25
	s_nop 1
	v_cndmask_b32_e64 v20, 0, v20, s[0:1]
	v_perm_b32 v16, v16, v20, s26
.LBB262_146:                            ;   in Loop: Header=BB262_44 Depth=1
	s_or_b64 exec, exec, s[10:11]
	;;#ASMSTART
	v_pk_mul_f16 v19, v32, v19;

	;;#ASMEND
	;;#ASMSTART
	v_pk_mul_f16 v8, v33, v8;

	;;#ASMEND
	;; [unrolled: 4-line block ×4, first 2 shown]
	s_mov_b64 s[0:1], 0
	;;#ASMSTART
	v_pk_add_f16 v8, v19, v8;

	;;#ASMEND
                                        ; implicit-def: $sgpr16
	s_nop 0
	;;#ASMSTART
	v_pk_add_f16 v8, v8, v18;

	;;#ASMEND
	s_nop 0
	;;#ASMSTART
	v_pk_add_f16 v8, v8, v16;

	;;#ASMEND
	s_nop 0
	v_lshrrev_b32_e32 v16, 16, v8
	v_and_b32_e32 v8, 0xffff, v8
	;;#ASMSTART
	v_cvt_f32_f16 v22, v8;
	;;#ASMEND
	;;#ASMSTART
	v_cvt_f32_f16 v23, v16;
	;;#ASMEND
	global_load_dwordx2 v[18:19], v[14:15], off offset:1536
	global_load_dword v16, v9, s[14:15]
	s_waitcnt vmcnt(1)
	v_cmp_gt_i16_sdwa s[10:11], v18, s19 src0_sel:BYTE_0 src1_sel:DWORD
	s_and_saveexec_b64 s[12:13], s[10:11]
	s_xor_b64 s[10:11], exec, s[12:13]
	s_cbranch_execnz .LBB262_276
; %bb.147:                              ;   in Loop: Header=BB262_44 Depth=1
	s_or_saveexec_b64 s[10:11], s[10:11]
	v_mov_b32_e32 v14, s16
	s_xor_b64 exec, exec, s[10:11]
	s_cbranch_execnz .LBB262_279
.LBB262_148:                            ;   in Loop: Header=BB262_44 Depth=1
	s_or_b64 exec, exec, s[10:11]
	s_and_saveexec_b64 s[10:11], s[0:1]
	s_cbranch_execz .LBB262_150
.LBB262_149:                            ;   in Loop: Header=BB262_44 Depth=1
	v_and_b32_e32 v8, 7, v18
	v_ffbh_u32_e32 v8, v8
	v_bfe_u32 v14, v18, 3, 4
	v_min_u32_e32 v8, 32, v8
	v_subrev_u32_e32 v15, 28, v8
	v_sub_u32_e32 v8, 29, v8
	v_cmp_eq_u32_e64 s[0:1], 0, v14
	s_nop 1
	v_cndmask_b32_e64 v8, v14, v8, s[0:1]
	v_cndmask_b32_e64 v14, 0, v15, s[0:1]
	v_lshlrev_b64 v[14:15], v14, v[18:19]
	v_lshlrev_b32_e32 v15, 8, v18
	v_lshl_add_u32 v8, v8, 10, v7
	v_lshlrev_b32_e32 v14, 7, v14
	v_and_or_b32 v8, v15, s22, v8
	v_and_or_b32 v8, v14, s23, v8
	v_cvt_f32_f16_e32 v14, v8
.LBB262_150:                            ;   in Loop: Header=BB262_44 Depth=1
	s_or_b64 exec, exec, s[10:11]
	v_lshrrev_b16_e32 v8, 8, v18
	v_cmp_lt_i16_e64 s[0:1], s19, v8
	s_mov_b64 s[10:11], 0
                                        ; implicit-def: $sgpr27
	s_and_saveexec_b64 s[12:13], s[0:1]
	s_xor_b64 s[12:13], exec, s[12:13]
	s_cbranch_execnz .LBB262_280
; %bb.151:                              ;   in Loop: Header=BB262_44 Depth=1
	s_or_saveexec_b64 s[12:13], s[12:13]
	v_mov_b32_e32 v20, s27
	s_xor_b64 exec, exec, s[12:13]
	s_cbranch_execnz .LBB262_283
.LBB262_152:                            ;   in Loop: Header=BB262_44 Depth=1
	s_or_b64 exec, exec, s[12:13]
	s_and_saveexec_b64 s[12:13], s[10:11]
	s_cbranch_execz .LBB262_154
.LBB262_153:                            ;   in Loop: Header=BB262_44 Depth=1
	v_and_b32_e32 v15, 7, v8
	v_ffbh_u32_e32 v20, v15
	v_min_u32_e32 v41, 32, v20
	v_subrev_u32_e32 v20, 28, v41
	v_bfe_u32 v40, v8, 3, 4
	v_lshlrev_b64 v[20:21], v20, v[8:9]
	v_sub_u32_e32 v21, 29, v41
	v_cmp_eq_u32_e64 s[0:1], 0, v40
	v_and_b32_e32 v20, 7, v20
	v_lshlrev_b32_e32 v8, 8, v8
	v_cndmask_b32_e64 v21, v40, v21, s[0:1]
	v_cndmask_b32_e64 v15, v15, v20, s[0:1]
	v_lshl_add_u32 v20, v21, 10, v7
	v_and_or_b32 v8, v8, s22, v20
	v_lshl_or_b32 v8, v15, 7, v8
	v_cvt_f32_f16_e32 v20, v8
.LBB262_154:                            ;   in Loop: Header=BB262_44 Depth=1
	s_or_b64 exec, exec, s[12:13]
	v_lshrrev_b32_e32 v8, 16, v18
	v_cmp_gt_i16_sdwa s[10:11], v8, s19 src0_sel:BYTE_0 src1_sel:DWORD
	s_mov_b64 s[0:1], 0
                                        ; implicit-def: $sgpr16
	s_and_saveexec_b64 s[12:13], s[10:11]
	s_xor_b64 s[10:11], exec, s[12:13]
	s_cbranch_execnz .LBB262_284
; %bb.155:                              ;   in Loop: Header=BB262_44 Depth=1
	s_or_saveexec_b64 s[10:11], s[10:11]
	v_mov_b32_e32 v15, s16
	s_xor_b64 exec, exec, s[10:11]
	s_cbranch_execnz .LBB262_287
.LBB262_156:                            ;   in Loop: Header=BB262_44 Depth=1
	s_or_b64 exec, exec, s[10:11]
	s_and_saveexec_b64 s[10:11], s[0:1]
	s_cbranch_execz .LBB262_158
.LBB262_157:                            ;   in Loop: Header=BB262_44 Depth=1
	v_bfe_u32 v15, v18, 16, 3
	v_ffbh_u32_e32 v40, v15
	v_min_u32_e32 v42, 32, v40
	v_subrev_u32_e32 v40, 28, v42
	v_bfe_u32 v21, v18, 19, 4
	v_lshlrev_b64 v[40:41], v40, v[8:9]
	v_sub_u32_e32 v41, 29, v42
	v_cmp_eq_u32_e64 s[0:1], 0, v21
	v_and_b32_e32 v40, 7, v40
	v_lshlrev_b32_e32 v8, 8, v8
	v_cndmask_b32_e64 v21, v21, v41, s[0:1]
	v_lshl_add_u32 v21, v21, 10, v7
	v_cndmask_b32_e64 v15, v15, v40, s[0:1]
	v_and_or_b32 v8, v8, s22, v21
	v_lshl_or_b32 v8, v15, 7, v8
	v_cvt_f32_f16_e32 v15, v8
.LBB262_158:                            ;   in Loop: Header=BB262_44 Depth=1
	s_or_b64 exec, exec, s[10:11]
	v_lshrrev_b32_e32 v8, 24, v18
	v_cmp_lt_i16_e64 s[0:1], s19, v8
	s_mov_b64 s[10:11], 0
                                        ; implicit-def: $sgpr27
	s_and_saveexec_b64 s[12:13], s[0:1]
	s_xor_b64 s[12:13], exec, s[12:13]
	s_cbranch_execnz .LBB262_288
; %bb.159:                              ;   in Loop: Header=BB262_44 Depth=1
	s_or_saveexec_b64 s[12:13], s[12:13]
	v_mov_b32_e32 v21, s27
	s_xor_b64 exec, exec, s[12:13]
	s_cbranch_execnz .LBB262_291
.LBB262_160:                            ;   in Loop: Header=BB262_44 Depth=1
	s_or_b64 exec, exec, s[12:13]
	s_and_saveexec_b64 s[12:13], s[10:11]
	s_cbranch_execz .LBB262_162
.LBB262_161:                            ;   in Loop: Header=BB262_44 Depth=1
	v_bfe_u32 v21, v18, 24, 3
	v_ffbh_u32_e32 v40, v21
	v_min_u32_e32 v42, 32, v40
	v_subrev_u32_e32 v40, 28, v42
	v_bfe_u32 v18, v18, 27, 4
	v_lshlrev_b64 v[40:41], v40, v[8:9]
	v_sub_u32_e32 v41, 29, v42
	v_cmp_eq_u32_e64 s[0:1], 0, v18
	v_and_b32_e32 v40, 7, v40
	v_lshlrev_b32_e32 v8, 8, v8
	v_cndmask_b32_e64 v18, v18, v41, s[0:1]
	v_lshl_add_u32 v18, v18, 10, v7
	v_cndmask_b32_e64 v21, v21, v40, s[0:1]
	v_and_or_b32 v8, v8, s22, v18
	v_lshl_or_b32 v8, v21, 7, v8
	v_cvt_f32_f16_e32 v21, v8
.LBB262_162:                            ;   in Loop: Header=BB262_44 Depth=1
	s_or_b64 exec, exec, s[12:13]
	v_cmp_gt_i16_sdwa s[10:11], v19, s19 src0_sel:BYTE_0 src1_sel:DWORD
	s_mov_b64 s[0:1], 0
                                        ; implicit-def: $sgpr16
	s_and_saveexec_b64 s[12:13], s[10:11]
	s_xor_b64 s[10:11], exec, s[12:13]
	s_cbranch_execnz .LBB262_292
; %bb.163:                              ;   in Loop: Header=BB262_44 Depth=1
	s_or_saveexec_b64 s[10:11], s[10:11]
	v_mov_b32_e32 v18, s16
	s_xor_b64 exec, exec, s[10:11]
	s_cbranch_execnz .LBB262_295
.LBB262_164:                            ;   in Loop: Header=BB262_44 Depth=1
	s_or_b64 exec, exec, s[10:11]
	v_mov_b32_e32 v8, v19
	s_and_saveexec_b64 s[10:11], s[0:1]
	s_cbranch_execz .LBB262_166
.LBB262_165:                            ;   in Loop: Header=BB262_44 Depth=1
	v_and_b32_e32 v18, 7, v19
	v_ffbh_u32_e32 v18, v18
	v_bfe_u32 v40, v19, 3, 4
	v_min_u32_e32 v18, 32, v18
	v_subrev_u32_e32 v41, 28, v18
	v_sub_u32_e32 v18, 29, v18
	v_cmp_eq_u32_e64 s[0:1], 0, v40
	s_nop 1
	v_cndmask_b32_e64 v18, v40, v18, s[0:1]
	v_cndmask_b32_e64 v40, 0, v41, s[0:1]
	v_lshlrev_b64 v[40:41], v40, v[8:9]
	v_lshlrev_b32_e32 v41, 8, v19
	v_lshl_add_u32 v18, v18, 10, v7
	v_lshlrev_b32_e32 v40, 7, v40
	v_and_or_b32 v18, v41, s22, v18
	v_and_or_b32 v18, v40, s23, v18
	v_cvt_f32_f16_e32 v18, v18
.LBB262_166:                            ;   in Loop: Header=BB262_44 Depth=1
	s_or_b64 exec, exec, s[10:11]
	v_lshrrev_b16_e32 v8, 8, v8
	v_cmp_lt_i16_e64 s[0:1], s19, v8
	s_mov_b64 s[10:11], 0
                                        ; implicit-def: $sgpr27
	s_and_saveexec_b64 s[12:13], s[0:1]
	s_xor_b64 s[12:13], exec, s[12:13]
	s_cbranch_execnz .LBB262_296
; %bb.167:                              ;   in Loop: Header=BB262_44 Depth=1
	s_or_saveexec_b64 s[12:13], s[12:13]
	v_mov_b32_e32 v40, s27
	s_xor_b64 exec, exec, s[12:13]
	s_cbranch_execnz .LBB262_299
.LBB262_168:                            ;   in Loop: Header=BB262_44 Depth=1
	s_or_b64 exec, exec, s[12:13]
	s_and_saveexec_b64 s[12:13], s[10:11]
	s_cbranch_execz .LBB262_170
.LBB262_169:                            ;   in Loop: Header=BB262_44 Depth=1
	v_and_b32_e32 v42, 7, v8
	v_ffbh_u32_e32 v40, v42
	v_min_u32_e32 v44, 32, v40
	v_subrev_u32_e32 v40, 28, v44
	v_bfe_u32 v43, v8, 3, 4
	v_lshlrev_b64 v[40:41], v40, v[8:9]
	v_sub_u32_e32 v41, 29, v44
	v_cmp_eq_u32_e64 s[0:1], 0, v43
	v_and_b32_e32 v40, 7, v40
	v_lshlrev_b32_e32 v8, 8, v8
	v_cndmask_b32_e64 v41, v43, v41, s[0:1]
	v_lshl_add_u32 v41, v41, 10, v7
	v_cndmask_b32_e64 v40, v42, v40, s[0:1]
	v_and_or_b32 v8, v8, s22, v41
	v_lshl_or_b32 v8, v40, 7, v8
	v_cvt_f32_f16_e32 v40, v8
.LBB262_170:                            ;   in Loop: Header=BB262_44 Depth=1
	s_or_b64 exec, exec, s[12:13]
	v_lshrrev_b32_e32 v8, 16, v19
	v_cmp_gt_i16_sdwa s[10:11], v8, s19 src0_sel:BYTE_0 src1_sel:DWORD
	s_mov_b64 s[0:1], 0
                                        ; implicit-def: $sgpr16
	s_and_saveexec_b64 s[12:13], s[10:11]
	s_xor_b64 s[10:11], exec, s[12:13]
	s_cbranch_execnz .LBB262_300
; %bb.171:                              ;   in Loop: Header=BB262_44 Depth=1
	s_or_saveexec_b64 s[10:11], s[10:11]
	v_mov_b32_e32 v41, s16
	s_xor_b64 exec, exec, s[10:11]
	s_cbranch_execnz .LBB262_303
.LBB262_172:                            ;   in Loop: Header=BB262_44 Depth=1
	s_or_b64 exec, exec, s[10:11]
	s_and_saveexec_b64 s[10:11], s[0:1]
	s_cbranch_execz .LBB262_174
.LBB262_173:                            ;   in Loop: Header=BB262_44 Depth=1
	v_bfe_u32 v41, v19, 16, 3
	v_ffbh_u32_e32 v42, v41
	v_min_u32_e32 v45, 32, v42
	v_subrev_u32_e32 v42, 28, v45
	v_bfe_u32 v44, v19, 19, 4
	v_lshlrev_b64 v[42:43], v42, v[8:9]
	v_sub_u32_e32 v43, 29, v45
	v_cmp_eq_u32_e64 s[0:1], 0, v44
	v_and_b32_e32 v42, 7, v42
	v_lshlrev_b32_e32 v8, 8, v8
	v_cndmask_b32_e64 v43, v44, v43, s[0:1]
	v_cndmask_b32_e64 v41, v41, v42, s[0:1]
	v_lshl_add_u32 v42, v43, 10, v7
	v_and_or_b32 v8, v8, s22, v42
	v_lshl_or_b32 v8, v41, 7, v8
	v_cvt_f32_f16_e32 v41, v8
.LBB262_174:                            ;   in Loop: Header=BB262_44 Depth=1
	s_or_b64 exec, exec, s[10:11]
	v_lshrrev_b32_e32 v8, 24, v19
	v_cmp_lt_i16_e64 s[0:1], s19, v8
	s_mov_b64 s[10:11], 0
                                        ; implicit-def: $sgpr27
	s_and_saveexec_b64 s[12:13], s[0:1]
	s_xor_b64 s[12:13], exec, s[12:13]
	s_cbranch_execnz .LBB262_304
; %bb.175:                              ;   in Loop: Header=BB262_44 Depth=1
	s_or_saveexec_b64 s[12:13], s[12:13]
	v_mov_b32_e32 v42, s27
	s_xor_b64 exec, exec, s[12:13]
	s_cbranch_execnz .LBB262_307
.LBB262_176:                            ;   in Loop: Header=BB262_44 Depth=1
	s_or_b64 exec, exec, s[12:13]
	s_and_saveexec_b64 s[12:13], s[10:11]
	s_cbranch_execz .LBB262_178
.LBB262_177:                            ;   in Loop: Header=BB262_44 Depth=1
	v_bfe_u32 v44, v19, 24, 3
	v_ffbh_u32_e32 v42, v44
	v_min_u32_e32 v45, 32, v42
	v_subrev_u32_e32 v42, 28, v45
	v_bfe_u32 v19, v19, 27, 4
	v_lshlrev_b64 v[42:43], v42, v[8:9]
	v_sub_u32_e32 v43, 29, v45
	v_cmp_eq_u32_e64 s[0:1], 0, v19
	v_and_b32_e32 v42, 7, v42
	v_lshlrev_b32_e32 v8, 8, v8
	v_cndmask_b32_e64 v19, v19, v43, s[0:1]
	v_lshl_add_u32 v19, v19, 10, v7
	v_cndmask_b32_e64 v42, v44, v42, s[0:1]
	v_and_or_b32 v8, v8, s22, v19
	v_lshl_or_b32 v8, v42, 7, v8
	v_cvt_f32_f16_e32 v42, v8
.LBB262_178:                            ;   in Loop: Header=BB262_44 Depth=1
	s_or_b64 exec, exec, s[12:13]
	s_waitcnt vmcnt(0)
	v_pk_mul_f32 v[14:15], v[16:17], v[14:15] op_sel_hi:[0,1]
	v_cvt_f16_f32_e32 v15, v15
	v_cvt_f16_f32_e32 v14, v14
	v_pk_mul_f32 v[20:21], v[16:17], v[20:21] op_sel_hi:[0,1]
	v_cvt_f16_f32_e32 v8, v21
	v_cvt_f16_f32_e32 v19, v20
	v_pack_b32_f16 v14, v14, v15
	v_fma_mixlo_f16 v15, v16, v40, 0
	v_lshlrev_b32_e32 v15, 16, v15
	v_fma_mixlo_f16 v18, v16, v18, 0
	v_or_b32_sdwa v15, v15, v18 dst_sel:DWORD dst_unused:UNUSED_PAD src0_sel:DWORD src1_sel:WORD_0
	v_fma_mixlo_f16 v18, v16, v41, 0
	v_fma_mixlo_f16 v16, v16, v42, 0
	v_pack_b32_f16 v19, v19, v8
	v_lshlrev_b32_e32 v16, 16, v16
	v_perm_b32 v8, v14, v19, s24
	v_perm_b32 v14, v14, v19, s25
	v_or_b32_sdwa v16, v16, v18 dst_sel:DWORD dst_unused:UNUSED_PAD src0_sel:DWORD src1_sel:WORD_0
	s_and_saveexec_b64 s[0:1], vcc
	s_cbranch_execz .LBB262_43
; %bb.179:                              ;   in Loop: Header=BB262_44 Depth=1
	v_lshrrev_b32_e32 v19, 16, v14
	v_cmp_gt_i32_e32 vcc, s18, v31
	v_lshrrev_b32_e32 v16, 16, v16
	s_nop 0
	v_cndmask_b32_e32 v19, 0, v19, vcc
	v_cmp_gt_i32_e32 vcc, s35, v17
	s_nop 1
	v_cndmask_b32_e32 v14, 0, v14, vcc
	v_perm_b32 v14, v19, v14, s26
	v_lshrrev_b32_e32 v19, 16, v8
	v_cmp_gt_i32_e32 vcc, s18, v30
	s_nop 1
	v_cndmask_b32_e32 v19, 0, v19, vcc
	v_cmp_gt_i32_e32 vcc, s35, v29
	s_nop 1
	v_cndmask_b32_e32 v8, 0, v8, vcc
	v_perm_b32 v8, v19, v8, s26
	v_lshrrev_b32_e32 v19, 16, v15
	v_cmp_gt_i32_e32 vcc, s18, v28
	s_nop 1
	v_cndmask_b32_e32 v19, 0, v19, vcc
	v_cmp_gt_i32_e32 vcc, s35, v27
	s_nop 1
	v_cndmask_b32_e32 v15, 0, v15, vcc
	v_cmp_gt_i32_e32 vcc, s18, v26
	v_perm_b32 v15, v19, v15, s26
	s_nop 0
	v_cndmask_b32_e32 v16, 0, v16, vcc
	v_cmp_gt_i32_e32 vcc, s35, v25
	s_nop 1
	v_cndmask_b32_e32 v18, 0, v18, vcc
	v_perm_b32 v16, v16, v18, s26
	s_branch .LBB262_43
.LBB262_180:                            ;   in Loop: Header=BB262_44 Depth=1
	v_cmp_eq_u16_sdwa s[36:37], v18, s21 src0_sel:BYTE_0 src1_sel:DWORD
	s_mov_b64 s[0:1], -1
                                        ; implicit-def: $sgpr16
	s_and_saveexec_b64 s[12:13], s[36:37]
; %bb.181:                              ;   in Loop: Header=BB262_44 Depth=1
	s_mov_b32 s16, 0x7fc02000
	s_xor_b64 s[0:1], exec, -1
; %bb.182:                              ;   in Loop: Header=BB262_44 Depth=1
	s_or_b64 exec, exec, s[12:13]
	s_and_b64 s[0:1], s[0:1], exec
	s_or_saveexec_b64 s[10:11], s[10:11]
	v_mov_b32_e32 v20, s16
	s_xor_b64 exec, exec, s[10:11]
	s_cbranch_execz .LBB262_46
.LBB262_183:                            ;   in Loop: Header=BB262_44 Depth=1
	v_cmp_ne_u16_sdwa s[12:13], v18, v9 src0_sel:BYTE_0 src1_sel:DWORD
	s_andn2_b64 s[0:1], s[0:1], exec
	s_and_b64 s[12:13], s[12:13], exec
	v_mov_b32_e32 v20, 0
	s_or_b64 s[0:1], s[0:1], s[12:13]
	s_or_b64 exec, exec, s[10:11]
	s_and_saveexec_b64 s[10:11], s[0:1]
	s_cbranch_execnz .LBB262_47
	s_branch .LBB262_48
.LBB262_184:                            ;   in Loop: Header=BB262_44 Depth=1
	v_cmp_eq_u16_e32 vcc, s21, v8
	s_mov_b64 s[0:1], -1
                                        ; implicit-def: $sgpr16
	s_and_saveexec_b64 s[12:13], vcc
; %bb.185:                              ;   in Loop: Header=BB262_44 Depth=1
	s_mov_b32 s16, 0x7fc02000
	s_xor_b64 s[0:1], exec, -1
; %bb.186:                              ;   in Loop: Header=BB262_44 Depth=1
	s_or_b64 exec, exec, s[12:13]
	s_and_b64 s[0:1], s[0:1], exec
	s_or_saveexec_b64 s[10:11], s[10:11]
	v_mov_b32_e32 v22, s16
	s_xor_b64 exec, exec, s[10:11]
	s_cbranch_execz .LBB262_50
.LBB262_187:                            ;   in Loop: Header=BB262_44 Depth=1
	v_cmp_ne_u16_e32 vcc, 0, v8
	s_andn2_b64 s[0:1], s[0:1], exec
	s_and_b64 s[12:13], vcc, exec
	v_mov_b32_e32 v22, 0
	s_or_b64 s[0:1], s[0:1], s[12:13]
	s_or_b64 exec, exec, s[10:11]
	s_and_saveexec_b64 s[10:11], s[0:1]
	s_cbranch_execnz .LBB262_51
	s_branch .LBB262_52
.LBB262_188:                            ;   in Loop: Header=BB262_44 Depth=1
	v_cmp_eq_u16_sdwa s[36:37], v8, s21 src0_sel:BYTE_0 src1_sel:DWORD
	s_mov_b64 s[0:1], -1
                                        ; implicit-def: $sgpr16
	s_and_saveexec_b64 s[12:13], s[36:37]
; %bb.189:                              ;   in Loop: Header=BB262_44 Depth=1
	s_mov_b32 s16, 0x7fc02000
	s_xor_b64 s[0:1], exec, -1
; %bb.190:                              ;   in Loop: Header=BB262_44 Depth=1
	s_or_b64 exec, exec, s[12:13]
	s_and_b64 s[0:1], s[0:1], exec
	s_or_saveexec_b64 s[10:11], s[10:11]
	v_mov_b32_e32 v21, s16
	s_xor_b64 exec, exec, s[10:11]
	s_cbranch_execz .LBB262_54
.LBB262_191:                            ;   in Loop: Header=BB262_44 Depth=1
	v_cmp_ne_u16_sdwa s[12:13], v8, v9 src0_sel:BYTE_0 src1_sel:DWORD
	s_andn2_b64 s[0:1], s[0:1], exec
	s_and_b64 s[12:13], s[12:13], exec
	v_mov_b32_e32 v21, 0
	s_or_b64 s[0:1], s[0:1], s[12:13]
	s_or_b64 exec, exec, s[10:11]
	s_and_saveexec_b64 s[10:11], s[0:1]
	s_cbranch_execnz .LBB262_55
	s_branch .LBB262_56
.LBB262_192:                            ;   in Loop: Header=BB262_44 Depth=1
	v_cmp_eq_u16_e32 vcc, s21, v8
	s_mov_b64 s[0:1], -1
                                        ; implicit-def: $sgpr16
	s_and_saveexec_b64 s[12:13], vcc
; %bb.193:                              ;   in Loop: Header=BB262_44 Depth=1
	s_mov_b32 s16, 0x7fc02000
	s_xor_b64 s[0:1], exec, -1
; %bb.194:                              ;   in Loop: Header=BB262_44 Depth=1
	s_or_b64 exec, exec, s[12:13]
	s_and_b64 s[0:1], s[0:1], exec
	s_or_saveexec_b64 s[10:11], s[10:11]
	v_mov_b32_e32 v23, s16
	s_xor_b64 exec, exec, s[10:11]
	s_cbranch_execz .LBB262_58
.LBB262_195:                            ;   in Loop: Header=BB262_44 Depth=1
	v_cmp_ne_u16_e32 vcc, 0, v8
	s_andn2_b64 s[0:1], s[0:1], exec
	s_and_b64 s[12:13], vcc, exec
	v_mov_b32_e32 v23, 0
	s_or_b64 s[0:1], s[0:1], s[12:13]
	s_or_b64 exec, exec, s[10:11]
	s_and_saveexec_b64 s[10:11], s[0:1]
	s_cbranch_execnz .LBB262_59
	s_branch .LBB262_60
.LBB262_196:                            ;   in Loop: Header=BB262_44 Depth=1
	v_cmp_eq_u16_sdwa s[36:37], v19, s21 src0_sel:BYTE_0 src1_sel:DWORD
	s_mov_b64 s[0:1], -1
                                        ; implicit-def: $sgpr16
	s_and_saveexec_b64 s[12:13], s[36:37]
; %bb.197:                              ;   in Loop: Header=BB262_44 Depth=1
	s_mov_b32 s16, 0x7fc02000
	s_xor_b64 s[0:1], exec, -1
; %bb.198:                              ;   in Loop: Header=BB262_44 Depth=1
	s_or_b64 exec, exec, s[12:13]
	s_and_b64 s[0:1], s[0:1], exec
	s_or_saveexec_b64 s[10:11], s[10:11]
	v_mov_b32_e32 v18, s16
	s_xor_b64 exec, exec, s[10:11]
	s_cbranch_execz .LBB262_62
.LBB262_199:                            ;   in Loop: Header=BB262_44 Depth=1
	v_cmp_ne_u16_sdwa s[12:13], v19, v9 src0_sel:BYTE_0 src1_sel:DWORD
	s_andn2_b64 s[0:1], s[0:1], exec
	s_and_b64 s[12:13], s[12:13], exec
	v_mov_b32_e32 v18, 0
	s_or_b64 s[0:1], s[0:1], s[12:13]
	s_or_b64 exec, exec, s[10:11]
	v_mov_b32_e32 v8, v19
	s_and_saveexec_b64 s[10:11], s[0:1]
	s_cbranch_execnz .LBB262_63
	s_branch .LBB262_64
.LBB262_200:                            ;   in Loop: Header=BB262_44 Depth=1
	v_cmp_eq_u16_e32 vcc, s21, v8
	s_mov_b64 s[0:1], -1
                                        ; implicit-def: $sgpr16
	s_and_saveexec_b64 s[12:13], vcc
; %bb.201:                              ;   in Loop: Header=BB262_44 Depth=1
	s_mov_b32 s16, 0x7fc02000
	s_xor_b64 s[0:1], exec, -1
; %bb.202:                              ;   in Loop: Header=BB262_44 Depth=1
	s_or_b64 exec, exec, s[12:13]
	s_and_b64 s[0:1], s[0:1], exec
	s_or_saveexec_b64 s[10:11], s[10:11]
	v_mov_b32_e32 v25, s16
	s_xor_b64 exec, exec, s[10:11]
	s_cbranch_execz .LBB262_66
.LBB262_203:                            ;   in Loop: Header=BB262_44 Depth=1
	v_cmp_ne_u16_e32 vcc, 0, v8
	s_andn2_b64 s[0:1], s[0:1], exec
	s_and_b64 s[12:13], vcc, exec
	v_mov_b32_e32 v25, 0
	s_or_b64 s[0:1], s[0:1], s[12:13]
	s_or_b64 exec, exec, s[10:11]
	s_and_saveexec_b64 s[10:11], s[0:1]
	s_cbranch_execnz .LBB262_67
	s_branch .LBB262_68
.LBB262_204:                            ;   in Loop: Header=BB262_44 Depth=1
	v_cmp_eq_u16_sdwa s[36:37], v8, s21 src0_sel:BYTE_0 src1_sel:DWORD
	s_mov_b64 s[0:1], -1
                                        ; implicit-def: $sgpr16
	s_and_saveexec_b64 s[12:13], s[36:37]
; %bb.205:                              ;   in Loop: Header=BB262_44 Depth=1
	s_mov_b32 s16, 0x7fc02000
	s_xor_b64 s[0:1], exec, -1
; %bb.206:                              ;   in Loop: Header=BB262_44 Depth=1
	s_or_b64 exec, exec, s[12:13]
	s_and_b64 s[0:1], s[0:1], exec
	s_or_saveexec_b64 s[10:11], s[10:11]
	v_mov_b32_e32 v26, s16
	s_xor_b64 exec, exec, s[10:11]
	s_cbranch_execz .LBB262_70
.LBB262_207:                            ;   in Loop: Header=BB262_44 Depth=1
	v_cmp_ne_u16_sdwa s[12:13], v8, v9 src0_sel:BYTE_0 src1_sel:DWORD
	s_andn2_b64 s[0:1], s[0:1], exec
	s_and_b64 s[12:13], s[12:13], exec
	v_mov_b32_e32 v26, 0
	s_or_b64 s[0:1], s[0:1], s[12:13]
	s_or_b64 exec, exec, s[10:11]
	s_and_saveexec_b64 s[10:11], s[0:1]
	s_cbranch_execnz .LBB262_71
	s_branch .LBB262_72
.LBB262_208:                            ;   in Loop: Header=BB262_44 Depth=1
	v_cmp_eq_u16_e32 vcc, s21, v8
	s_mov_b64 s[0:1], -1
                                        ; implicit-def: $sgpr16
	s_and_saveexec_b64 s[12:13], vcc
; %bb.209:                              ;   in Loop: Header=BB262_44 Depth=1
	s_mov_b32 s16, 0x7fc02000
	s_xor_b64 s[0:1], exec, -1
; %bb.210:                              ;   in Loop: Header=BB262_44 Depth=1
	s_or_b64 exec, exec, s[12:13]
	s_and_b64 s[0:1], s[0:1], exec
	s_or_saveexec_b64 s[10:11], s[10:11]
	v_mov_b32_e32 v27, s16
	s_xor_b64 exec, exec, s[10:11]
	s_cbranch_execz .LBB262_74
.LBB262_211:                            ;   in Loop: Header=BB262_44 Depth=1
	v_cmp_ne_u16_e32 vcc, 0, v8
	s_andn2_b64 s[0:1], s[0:1], exec
	s_and_b64 s[12:13], vcc, exec
	v_mov_b32_e32 v27, 0
	s_or_b64 s[0:1], s[0:1], s[12:13]
	s_or_b64 exec, exec, s[10:11]
	s_and_saveexec_b64 s[10:11], s[0:1]
	s_cbranch_execnz .LBB262_75
	s_branch .LBB262_76
.LBB262_212:                            ;   in Loop: Header=BB262_44 Depth=1
	v_cmp_eq_u16_sdwa s[36:37], v18, s21 src0_sel:BYTE_0 src1_sel:DWORD
	s_mov_b64 s[0:1], -1
                                        ; implicit-def: $sgpr16
	s_and_saveexec_b64 s[12:13], s[36:37]
; %bb.213:                              ;   in Loop: Header=BB262_44 Depth=1
	s_mov_b32 s16, 0x7fc02000
	s_xor_b64 s[0:1], exec, -1
; %bb.214:                              ;   in Loop: Header=BB262_44 Depth=1
	s_or_b64 exec, exec, s[12:13]
	s_and_b64 s[0:1], s[0:1], exec
	s_or_saveexec_b64 s[10:11], s[10:11]
	v_mov_b32_e32 v20, s16
	s_xor_b64 exec, exec, s[10:11]
	s_cbranch_execz .LBB262_80
.LBB262_215:                            ;   in Loop: Header=BB262_44 Depth=1
	v_cmp_ne_u16_sdwa s[12:13], v18, v9 src0_sel:BYTE_0 src1_sel:DWORD
	s_andn2_b64 s[0:1], s[0:1], exec
	s_and_b64 s[12:13], s[12:13], exec
	v_mov_b32_e32 v20, 0
	s_or_b64 s[0:1], s[0:1], s[12:13]
	s_or_b64 exec, exec, s[10:11]
	s_and_saveexec_b64 s[10:11], s[0:1]
	s_cbranch_execnz .LBB262_81
	s_branch .LBB262_82
.LBB262_216:                            ;   in Loop: Header=BB262_44 Depth=1
	v_cmp_eq_u16_e64 s[0:1], s21, v8
	s_mov_b64 s[10:11], -1
                                        ; implicit-def: $sgpr27
	s_and_saveexec_b64 s[16:17], s[0:1]
; %bb.217:                              ;   in Loop: Header=BB262_44 Depth=1
	s_mov_b32 s27, 0x7fc02000
	s_xor_b64 s[10:11], exec, -1
; %bb.218:                              ;   in Loop: Header=BB262_44 Depth=1
	s_or_b64 exec, exec, s[16:17]
	s_and_b64 s[10:11], s[10:11], exec
	s_or_saveexec_b64 s[12:13], s[12:13]
	v_mov_b32_e32 v22, s27
	s_xor_b64 exec, exec, s[12:13]
	s_cbranch_execz .LBB262_84
.LBB262_219:                            ;   in Loop: Header=BB262_44 Depth=1
	v_cmp_ne_u16_e64 s[0:1], 0, v8
	s_andn2_b64 s[10:11], s[10:11], exec
	s_and_b64 s[0:1], s[0:1], exec
	v_mov_b32_e32 v22, 0
	s_or_b64 s[10:11], s[10:11], s[0:1]
	s_or_b64 exec, exec, s[12:13]
	s_and_saveexec_b64 s[12:13], s[10:11]
	s_cbranch_execnz .LBB262_85
	s_branch .LBB262_86
.LBB262_220:                            ;   in Loop: Header=BB262_44 Depth=1
	v_cmp_eq_u16_sdwa s[36:37], v8, s21 src0_sel:BYTE_0 src1_sel:DWORD
	s_mov_b64 s[0:1], -1
                                        ; implicit-def: $sgpr16
	s_and_saveexec_b64 s[12:13], s[36:37]
; %bb.221:                              ;   in Loop: Header=BB262_44 Depth=1
	s_mov_b32 s16, 0x7fc02000
	s_xor_b64 s[0:1], exec, -1
; %bb.222:                              ;   in Loop: Header=BB262_44 Depth=1
	s_or_b64 exec, exec, s[12:13]
	s_and_b64 s[0:1], s[0:1], exec
	s_or_saveexec_b64 s[10:11], s[10:11]
	v_mov_b32_e32 v21, s16
	s_xor_b64 exec, exec, s[10:11]
	s_cbranch_execz .LBB262_88
.LBB262_223:                            ;   in Loop: Header=BB262_44 Depth=1
	v_cmp_ne_u16_sdwa s[12:13], v8, v9 src0_sel:BYTE_0 src1_sel:DWORD
	s_andn2_b64 s[0:1], s[0:1], exec
	s_and_b64 s[12:13], s[12:13], exec
	v_mov_b32_e32 v21, 0
	s_or_b64 s[0:1], s[0:1], s[12:13]
	s_or_b64 exec, exec, s[10:11]
	s_and_saveexec_b64 s[10:11], s[0:1]
	s_cbranch_execnz .LBB262_89
	s_branch .LBB262_90
.LBB262_224:                            ;   in Loop: Header=BB262_44 Depth=1
	v_cmp_eq_u16_e64 s[0:1], s21, v8
	s_mov_b64 s[10:11], -1
                                        ; implicit-def: $sgpr27
	s_and_saveexec_b64 s[16:17], s[0:1]
; %bb.225:                              ;   in Loop: Header=BB262_44 Depth=1
	s_mov_b32 s27, 0x7fc02000
	s_xor_b64 s[10:11], exec, -1
; %bb.226:                              ;   in Loop: Header=BB262_44 Depth=1
	s_or_b64 exec, exec, s[16:17]
	s_and_b64 s[10:11], s[10:11], exec
	s_or_saveexec_b64 s[12:13], s[12:13]
	v_mov_b32_e32 v23, s27
	s_xor_b64 exec, exec, s[12:13]
	s_cbranch_execz .LBB262_92
.LBB262_227:                            ;   in Loop: Header=BB262_44 Depth=1
	v_cmp_ne_u16_e64 s[0:1], 0, v8
	s_andn2_b64 s[10:11], s[10:11], exec
	s_and_b64 s[0:1], s[0:1], exec
	v_mov_b32_e32 v23, 0
	s_or_b64 s[10:11], s[10:11], s[0:1]
	s_or_b64 exec, exec, s[12:13]
	s_and_saveexec_b64 s[12:13], s[10:11]
	s_cbranch_execnz .LBB262_93
	s_branch .LBB262_94
.LBB262_228:                            ;   in Loop: Header=BB262_44 Depth=1
	v_cmp_eq_u16_sdwa s[36:37], v19, s21 src0_sel:BYTE_0 src1_sel:DWORD
	s_mov_b64 s[0:1], -1
                                        ; implicit-def: $sgpr16
	s_and_saveexec_b64 s[12:13], s[36:37]
; %bb.229:                              ;   in Loop: Header=BB262_44 Depth=1
	s_mov_b32 s16, 0x7fc02000
	s_xor_b64 s[0:1], exec, -1
; %bb.230:                              ;   in Loop: Header=BB262_44 Depth=1
	s_or_b64 exec, exec, s[12:13]
	s_and_b64 s[0:1], s[0:1], exec
	s_or_saveexec_b64 s[10:11], s[10:11]
	v_mov_b32_e32 v18, s16
	s_xor_b64 exec, exec, s[10:11]
	s_cbranch_execz .LBB262_96
.LBB262_231:                            ;   in Loop: Header=BB262_44 Depth=1
	v_cmp_ne_u16_sdwa s[12:13], v19, v9 src0_sel:BYTE_0 src1_sel:DWORD
	s_andn2_b64 s[0:1], s[0:1], exec
	s_and_b64 s[12:13], s[12:13], exec
	v_mov_b32_e32 v18, 0
	s_or_b64 s[0:1], s[0:1], s[12:13]
	s_or_b64 exec, exec, s[10:11]
	v_mov_b32_e32 v8, v19
	s_and_saveexec_b64 s[10:11], s[0:1]
	s_cbranch_execnz .LBB262_97
	s_branch .LBB262_98
.LBB262_232:                            ;   in Loop: Header=BB262_44 Depth=1
	v_cmp_eq_u16_e64 s[0:1], s21, v8
	s_mov_b64 s[10:11], -1
                                        ; implicit-def: $sgpr27
	s_and_saveexec_b64 s[16:17], s[0:1]
; %bb.233:                              ;   in Loop: Header=BB262_44 Depth=1
	s_mov_b32 s27, 0x7fc02000
	s_xor_b64 s[10:11], exec, -1
; %bb.234:                              ;   in Loop: Header=BB262_44 Depth=1
	s_or_b64 exec, exec, s[16:17]
	s_and_b64 s[10:11], s[10:11], exec
	s_or_saveexec_b64 s[12:13], s[12:13]
	v_mov_b32_e32 v38, s27
	s_xor_b64 exec, exec, s[12:13]
	s_cbranch_execz .LBB262_100
.LBB262_235:                            ;   in Loop: Header=BB262_44 Depth=1
	v_cmp_ne_u16_e64 s[0:1], 0, v8
	s_andn2_b64 s[10:11], s[10:11], exec
	s_and_b64 s[0:1], s[0:1], exec
	v_mov_b32_e32 v38, 0
	s_or_b64 s[10:11], s[10:11], s[0:1]
	s_or_b64 exec, exec, s[12:13]
	s_and_saveexec_b64 s[12:13], s[10:11]
	s_cbranch_execnz .LBB262_101
	s_branch .LBB262_102
.LBB262_236:                            ;   in Loop: Header=BB262_44 Depth=1
	v_cmp_eq_u16_sdwa s[36:37], v8, s21 src0_sel:BYTE_0 src1_sel:DWORD
	s_mov_b64 s[0:1], -1
                                        ; implicit-def: $sgpr16
	s_and_saveexec_b64 s[12:13], s[36:37]
; %bb.237:                              ;   in Loop: Header=BB262_44 Depth=1
	s_mov_b32 s16, 0x7fc02000
	s_xor_b64 s[0:1], exec, -1
; %bb.238:                              ;   in Loop: Header=BB262_44 Depth=1
	s_or_b64 exec, exec, s[12:13]
	s_and_b64 s[0:1], s[0:1], exec
	s_or_saveexec_b64 s[10:11], s[10:11]
	v_mov_b32_e32 v39, s16
	s_xor_b64 exec, exec, s[10:11]
	s_cbranch_execz .LBB262_104
.LBB262_239:                            ;   in Loop: Header=BB262_44 Depth=1
	v_cmp_ne_u16_sdwa s[12:13], v8, v9 src0_sel:BYTE_0 src1_sel:DWORD
	s_andn2_b64 s[0:1], s[0:1], exec
	s_and_b64 s[12:13], s[12:13], exec
	v_mov_b32_e32 v39, 0
	s_or_b64 s[0:1], s[0:1], s[12:13]
	s_or_b64 exec, exec, s[10:11]
	s_and_saveexec_b64 s[10:11], s[0:1]
	s_cbranch_execnz .LBB262_105
	s_branch .LBB262_106
.LBB262_240:                            ;   in Loop: Header=BB262_44 Depth=1
	v_cmp_eq_u16_e64 s[0:1], s21, v8
	s_mov_b64 s[10:11], -1
                                        ; implicit-def: $sgpr27
	s_and_saveexec_b64 s[16:17], s[0:1]
; %bb.241:                              ;   in Loop: Header=BB262_44 Depth=1
	s_mov_b32 s27, 0x7fc02000
	s_xor_b64 s[10:11], exec, -1
; %bb.242:                              ;   in Loop: Header=BB262_44 Depth=1
	s_or_b64 exec, exec, s[16:17]
	s_and_b64 s[10:11], s[10:11], exec
	s_or_saveexec_b64 s[12:13], s[12:13]
	v_mov_b32_e32 v40, s27
	s_xor_b64 exec, exec, s[12:13]
	s_cbranch_execz .LBB262_108
.LBB262_243:                            ;   in Loop: Header=BB262_44 Depth=1
	v_cmp_ne_u16_e64 s[0:1], 0, v8
	s_andn2_b64 s[10:11], s[10:11], exec
	s_and_b64 s[0:1], s[0:1], exec
	v_mov_b32_e32 v40, 0
	s_or_b64 s[10:11], s[10:11], s[0:1]
	s_or_b64 exec, exec, s[12:13]
	s_and_saveexec_b64 s[12:13], s[10:11]
	s_cbranch_execnz .LBB262_109
	s_branch .LBB262_110
.LBB262_244:                            ;   in Loop: Header=BB262_44 Depth=1
	v_cmp_eq_u16_sdwa s[36:37], v18, s21 src0_sel:BYTE_0 src1_sel:DWORD
	s_mov_b64 s[0:1], -1
                                        ; implicit-def: $sgpr16
	s_and_saveexec_b64 s[12:13], s[36:37]
; %bb.245:                              ;   in Loop: Header=BB262_44 Depth=1
	s_mov_b32 s16, 0x7fc02000
	s_xor_b64 s[0:1], exec, -1
; %bb.246:                              ;   in Loop: Header=BB262_44 Depth=1
	s_or_b64 exec, exec, s[12:13]
	s_and_b64 s[0:1], s[0:1], exec
	s_or_saveexec_b64 s[10:11], s[10:11]
	v_mov_b32_e32 v20, s16
	s_xor_b64 exec, exec, s[10:11]
	s_cbranch_execz .LBB262_114
.LBB262_247:                            ;   in Loop: Header=BB262_44 Depth=1
	v_cmp_ne_u16_sdwa s[12:13], v18, v9 src0_sel:BYTE_0 src1_sel:DWORD
	s_andn2_b64 s[0:1], s[0:1], exec
	s_and_b64 s[12:13], s[12:13], exec
	v_mov_b32_e32 v20, 0
	s_or_b64 s[0:1], s[0:1], s[12:13]
	s_or_b64 exec, exec, s[10:11]
	s_and_saveexec_b64 s[10:11], s[0:1]
	s_cbranch_execnz .LBB262_115
	s_branch .LBB262_116
.LBB262_248:                            ;   in Loop: Header=BB262_44 Depth=1
	v_cmp_eq_u16_e64 s[0:1], s21, v8
	s_mov_b64 s[10:11], -1
                                        ; implicit-def: $sgpr27
	s_and_saveexec_b64 s[16:17], s[0:1]
; %bb.249:                              ;   in Loop: Header=BB262_44 Depth=1
	s_mov_b32 s27, 0x7fc02000
	s_xor_b64 s[10:11], exec, -1
; %bb.250:                              ;   in Loop: Header=BB262_44 Depth=1
	s_or_b64 exec, exec, s[16:17]
	s_and_b64 s[10:11], s[10:11], exec
	s_or_saveexec_b64 s[12:13], s[12:13]
	v_mov_b32_e32 v22, s27
	s_xor_b64 exec, exec, s[12:13]
	s_cbranch_execz .LBB262_118
.LBB262_251:                            ;   in Loop: Header=BB262_44 Depth=1
	v_cmp_ne_u16_e64 s[0:1], 0, v8
	s_andn2_b64 s[10:11], s[10:11], exec
	s_and_b64 s[0:1], s[0:1], exec
	v_mov_b32_e32 v22, 0
	s_or_b64 s[10:11], s[10:11], s[0:1]
	s_or_b64 exec, exec, s[12:13]
	s_and_saveexec_b64 s[12:13], s[10:11]
	s_cbranch_execnz .LBB262_119
	s_branch .LBB262_120
.LBB262_252:                            ;   in Loop: Header=BB262_44 Depth=1
	v_cmp_eq_u16_sdwa s[36:37], v8, s21 src0_sel:BYTE_0 src1_sel:DWORD
	s_mov_b64 s[0:1], -1
                                        ; implicit-def: $sgpr16
	s_and_saveexec_b64 s[12:13], s[36:37]
; %bb.253:                              ;   in Loop: Header=BB262_44 Depth=1
	s_mov_b32 s16, 0x7fc02000
	s_xor_b64 s[0:1], exec, -1
; %bb.254:                              ;   in Loop: Header=BB262_44 Depth=1
	s_or_b64 exec, exec, s[12:13]
	s_and_b64 s[0:1], s[0:1], exec
	s_or_saveexec_b64 s[10:11], s[10:11]
	v_mov_b32_e32 v21, s16
	s_xor_b64 exec, exec, s[10:11]
	s_cbranch_execz .LBB262_122
.LBB262_255:                            ;   in Loop: Header=BB262_44 Depth=1
	v_cmp_ne_u16_sdwa s[12:13], v8, v9 src0_sel:BYTE_0 src1_sel:DWORD
	s_andn2_b64 s[0:1], s[0:1], exec
	s_and_b64 s[12:13], s[12:13], exec
	v_mov_b32_e32 v21, 0
	s_or_b64 s[0:1], s[0:1], s[12:13]
	s_or_b64 exec, exec, s[10:11]
	s_and_saveexec_b64 s[10:11], s[0:1]
	s_cbranch_execnz .LBB262_123
	s_branch .LBB262_124
.LBB262_256:                            ;   in Loop: Header=BB262_44 Depth=1
	v_cmp_eq_u16_e64 s[0:1], s21, v8
	s_mov_b64 s[10:11], -1
                                        ; implicit-def: $sgpr27
	s_and_saveexec_b64 s[16:17], s[0:1]
; %bb.257:                              ;   in Loop: Header=BB262_44 Depth=1
	s_mov_b32 s27, 0x7fc02000
	s_xor_b64 s[10:11], exec, -1
; %bb.258:                              ;   in Loop: Header=BB262_44 Depth=1
	s_or_b64 exec, exec, s[16:17]
	s_and_b64 s[10:11], s[10:11], exec
	s_or_saveexec_b64 s[12:13], s[12:13]
	v_mov_b32_e32 v23, s27
	s_xor_b64 exec, exec, s[12:13]
	s_cbranch_execz .LBB262_126
.LBB262_259:                            ;   in Loop: Header=BB262_44 Depth=1
	v_cmp_ne_u16_e64 s[0:1], 0, v8
	s_andn2_b64 s[10:11], s[10:11], exec
	s_and_b64 s[0:1], s[0:1], exec
	v_mov_b32_e32 v23, 0
	s_or_b64 s[10:11], s[10:11], s[0:1]
	s_or_b64 exec, exec, s[12:13]
	s_and_saveexec_b64 s[12:13], s[10:11]
	s_cbranch_execnz .LBB262_127
	s_branch .LBB262_128
.LBB262_260:                            ;   in Loop: Header=BB262_44 Depth=1
	v_cmp_eq_u16_sdwa s[36:37], v19, s21 src0_sel:BYTE_0 src1_sel:DWORD
	s_mov_b64 s[0:1], -1
                                        ; implicit-def: $sgpr16
	s_and_saveexec_b64 s[12:13], s[36:37]
; %bb.261:                              ;   in Loop: Header=BB262_44 Depth=1
	s_mov_b32 s16, 0x7fc02000
	s_xor_b64 s[0:1], exec, -1
; %bb.262:                              ;   in Loop: Header=BB262_44 Depth=1
	s_or_b64 exec, exec, s[12:13]
	s_and_b64 s[0:1], s[0:1], exec
	s_or_saveexec_b64 s[10:11], s[10:11]
	v_mov_b32_e32 v18, s16
	s_xor_b64 exec, exec, s[10:11]
	s_cbranch_execz .LBB262_130
.LBB262_263:                            ;   in Loop: Header=BB262_44 Depth=1
	v_cmp_ne_u16_sdwa s[12:13], v19, v9 src0_sel:BYTE_0 src1_sel:DWORD
	s_andn2_b64 s[0:1], s[0:1], exec
	s_and_b64 s[12:13], s[12:13], exec
	v_mov_b32_e32 v18, 0
	s_or_b64 s[0:1], s[0:1], s[12:13]
	s_or_b64 exec, exec, s[10:11]
	v_mov_b32_e32 v8, v19
	s_and_saveexec_b64 s[10:11], s[0:1]
	s_cbranch_execnz .LBB262_131
	s_branch .LBB262_132
.LBB262_264:                            ;   in Loop: Header=BB262_44 Depth=1
	v_cmp_eq_u16_e64 s[0:1], s21, v8
	s_mov_b64 s[10:11], -1
                                        ; implicit-def: $sgpr27
	s_and_saveexec_b64 s[16:17], s[0:1]
; %bb.265:                              ;   in Loop: Header=BB262_44 Depth=1
	s_mov_b32 s27, 0x7fc02000
	s_xor_b64 s[10:11], exec, -1
; %bb.266:                              ;   in Loop: Header=BB262_44 Depth=1
	s_or_b64 exec, exec, s[16:17]
	s_and_b64 s[10:11], s[10:11], exec
	s_or_saveexec_b64 s[12:13], s[12:13]
	v_mov_b32_e32 v40, s27
	s_xor_b64 exec, exec, s[12:13]
	s_cbranch_execz .LBB262_134
.LBB262_267:                            ;   in Loop: Header=BB262_44 Depth=1
	v_cmp_ne_u16_e64 s[0:1], 0, v8
	s_andn2_b64 s[10:11], s[10:11], exec
	s_and_b64 s[0:1], s[0:1], exec
	v_mov_b32_e32 v40, 0
	s_or_b64 s[10:11], s[10:11], s[0:1]
	s_or_b64 exec, exec, s[12:13]
	s_and_saveexec_b64 s[12:13], s[10:11]
	s_cbranch_execnz .LBB262_135
	s_branch .LBB262_136
.LBB262_268:                            ;   in Loop: Header=BB262_44 Depth=1
	v_cmp_eq_u16_sdwa s[36:37], v8, s21 src0_sel:BYTE_0 src1_sel:DWORD
	s_mov_b64 s[0:1], -1
                                        ; implicit-def: $sgpr16
	s_and_saveexec_b64 s[12:13], s[36:37]
; %bb.269:                              ;   in Loop: Header=BB262_44 Depth=1
	s_mov_b32 s16, 0x7fc02000
	s_xor_b64 s[0:1], exec, -1
; %bb.270:                              ;   in Loop: Header=BB262_44 Depth=1
	s_or_b64 exec, exec, s[12:13]
	s_and_b64 s[0:1], s[0:1], exec
	s_or_saveexec_b64 s[10:11], s[10:11]
	v_mov_b32_e32 v41, s16
	s_xor_b64 exec, exec, s[10:11]
	s_cbranch_execz .LBB262_138
.LBB262_271:                            ;   in Loop: Header=BB262_44 Depth=1
	v_cmp_ne_u16_sdwa s[12:13], v8, v9 src0_sel:BYTE_0 src1_sel:DWORD
	s_andn2_b64 s[0:1], s[0:1], exec
	s_and_b64 s[12:13], s[12:13], exec
	v_mov_b32_e32 v41, 0
	s_or_b64 s[0:1], s[0:1], s[12:13]
	s_or_b64 exec, exec, s[10:11]
	s_and_saveexec_b64 s[10:11], s[0:1]
	s_cbranch_execnz .LBB262_139
	s_branch .LBB262_140
.LBB262_272:                            ;   in Loop: Header=BB262_44 Depth=1
	v_cmp_eq_u16_e64 s[0:1], s21, v8
	s_mov_b64 s[10:11], -1
                                        ; implicit-def: $sgpr27
	s_and_saveexec_b64 s[16:17], s[0:1]
; %bb.273:                              ;   in Loop: Header=BB262_44 Depth=1
	s_mov_b32 s27, 0x7fc02000
	s_xor_b64 s[10:11], exec, -1
; %bb.274:                              ;   in Loop: Header=BB262_44 Depth=1
	s_or_b64 exec, exec, s[16:17]
	s_and_b64 s[10:11], s[10:11], exec
	s_or_saveexec_b64 s[12:13], s[12:13]
	v_mov_b32_e32 v42, s27
	s_xor_b64 exec, exec, s[12:13]
	s_cbranch_execz .LBB262_142
.LBB262_275:                            ;   in Loop: Header=BB262_44 Depth=1
	v_cmp_ne_u16_e64 s[0:1], 0, v8
	s_andn2_b64 s[10:11], s[10:11], exec
	s_and_b64 s[0:1], s[0:1], exec
	v_mov_b32_e32 v42, 0
	s_or_b64 s[10:11], s[10:11], s[0:1]
	s_or_b64 exec, exec, s[12:13]
	s_and_saveexec_b64 s[12:13], s[10:11]
	s_cbranch_execnz .LBB262_143
	s_branch .LBB262_144
.LBB262_276:                            ;   in Loop: Header=BB262_44 Depth=1
	v_cmp_eq_u16_sdwa s[36:37], v18, s21 src0_sel:BYTE_0 src1_sel:DWORD
	s_mov_b64 s[0:1], -1
                                        ; implicit-def: $sgpr16
	s_and_saveexec_b64 s[12:13], s[36:37]
; %bb.277:                              ;   in Loop: Header=BB262_44 Depth=1
	s_mov_b32 s16, 0x7fc02000
	s_xor_b64 s[0:1], exec, -1
; %bb.278:                              ;   in Loop: Header=BB262_44 Depth=1
	s_or_b64 exec, exec, s[12:13]
	s_and_b64 s[0:1], s[0:1], exec
	s_or_saveexec_b64 s[10:11], s[10:11]
	v_mov_b32_e32 v14, s16
	s_xor_b64 exec, exec, s[10:11]
	s_cbranch_execz .LBB262_148
.LBB262_279:                            ;   in Loop: Header=BB262_44 Depth=1
	v_cmp_ne_u16_sdwa s[12:13], v18, v9 src0_sel:BYTE_0 src1_sel:DWORD
	s_andn2_b64 s[0:1], s[0:1], exec
	s_and_b64 s[12:13], s[12:13], exec
	v_mov_b32_e32 v14, 0
	s_or_b64 s[0:1], s[0:1], s[12:13]
	s_or_b64 exec, exec, s[10:11]
	s_and_saveexec_b64 s[10:11], s[0:1]
	s_cbranch_execnz .LBB262_149
	s_branch .LBB262_150
.LBB262_280:                            ;   in Loop: Header=BB262_44 Depth=1
	v_cmp_eq_u16_e64 s[0:1], s21, v8
	s_mov_b64 s[10:11], -1
                                        ; implicit-def: $sgpr27
	s_and_saveexec_b64 s[16:17], s[0:1]
; %bb.281:                              ;   in Loop: Header=BB262_44 Depth=1
	s_mov_b32 s27, 0x7fc02000
	s_xor_b64 s[10:11], exec, -1
; %bb.282:                              ;   in Loop: Header=BB262_44 Depth=1
	s_or_b64 exec, exec, s[16:17]
	s_and_b64 s[10:11], s[10:11], exec
	s_or_saveexec_b64 s[12:13], s[12:13]
	v_mov_b32_e32 v20, s27
	s_xor_b64 exec, exec, s[12:13]
	s_cbranch_execz .LBB262_152
.LBB262_283:                            ;   in Loop: Header=BB262_44 Depth=1
	v_cmp_ne_u16_e64 s[0:1], 0, v8
	s_andn2_b64 s[10:11], s[10:11], exec
	s_and_b64 s[0:1], s[0:1], exec
	v_mov_b32_e32 v20, 0
	s_or_b64 s[10:11], s[10:11], s[0:1]
	s_or_b64 exec, exec, s[12:13]
	s_and_saveexec_b64 s[12:13], s[10:11]
	s_cbranch_execnz .LBB262_153
	s_branch .LBB262_154
.LBB262_284:                            ;   in Loop: Header=BB262_44 Depth=1
	v_cmp_eq_u16_sdwa s[36:37], v8, s21 src0_sel:BYTE_0 src1_sel:DWORD
	s_mov_b64 s[0:1], -1
                                        ; implicit-def: $sgpr16
	s_and_saveexec_b64 s[12:13], s[36:37]
; %bb.285:                              ;   in Loop: Header=BB262_44 Depth=1
	s_mov_b32 s16, 0x7fc02000
	s_xor_b64 s[0:1], exec, -1
; %bb.286:                              ;   in Loop: Header=BB262_44 Depth=1
	s_or_b64 exec, exec, s[12:13]
	s_and_b64 s[0:1], s[0:1], exec
	s_or_saveexec_b64 s[10:11], s[10:11]
	v_mov_b32_e32 v15, s16
	s_xor_b64 exec, exec, s[10:11]
	s_cbranch_execz .LBB262_156
.LBB262_287:                            ;   in Loop: Header=BB262_44 Depth=1
	v_cmp_ne_u16_sdwa s[12:13], v8, v9 src0_sel:BYTE_0 src1_sel:DWORD
	s_andn2_b64 s[0:1], s[0:1], exec
	s_and_b64 s[12:13], s[12:13], exec
	v_mov_b32_e32 v15, 0
	s_or_b64 s[0:1], s[0:1], s[12:13]
	s_or_b64 exec, exec, s[10:11]
	s_and_saveexec_b64 s[10:11], s[0:1]
	s_cbranch_execnz .LBB262_157
	s_branch .LBB262_158
.LBB262_288:                            ;   in Loop: Header=BB262_44 Depth=1
	v_cmp_eq_u16_e64 s[0:1], s21, v8
	s_mov_b64 s[10:11], -1
                                        ; implicit-def: $sgpr27
	s_and_saveexec_b64 s[16:17], s[0:1]
; %bb.289:                              ;   in Loop: Header=BB262_44 Depth=1
	s_mov_b32 s27, 0x7fc02000
	s_xor_b64 s[10:11], exec, -1
; %bb.290:                              ;   in Loop: Header=BB262_44 Depth=1
	s_or_b64 exec, exec, s[16:17]
	s_and_b64 s[10:11], s[10:11], exec
	s_or_saveexec_b64 s[12:13], s[12:13]
	v_mov_b32_e32 v21, s27
	s_xor_b64 exec, exec, s[12:13]
	s_cbranch_execz .LBB262_160
.LBB262_291:                            ;   in Loop: Header=BB262_44 Depth=1
	v_cmp_ne_u16_e64 s[0:1], 0, v8
	s_andn2_b64 s[10:11], s[10:11], exec
	s_and_b64 s[0:1], s[0:1], exec
	v_mov_b32_e32 v21, 0
	s_or_b64 s[10:11], s[10:11], s[0:1]
	s_or_b64 exec, exec, s[12:13]
	s_and_saveexec_b64 s[12:13], s[10:11]
	s_cbranch_execnz .LBB262_161
	s_branch .LBB262_162
.LBB262_292:                            ;   in Loop: Header=BB262_44 Depth=1
	v_cmp_eq_u16_sdwa s[36:37], v19, s21 src0_sel:BYTE_0 src1_sel:DWORD
	s_mov_b64 s[0:1], -1
                                        ; implicit-def: $sgpr16
	s_and_saveexec_b64 s[12:13], s[36:37]
; %bb.293:                              ;   in Loop: Header=BB262_44 Depth=1
	s_mov_b32 s16, 0x7fc02000
	s_xor_b64 s[0:1], exec, -1
; %bb.294:                              ;   in Loop: Header=BB262_44 Depth=1
	s_or_b64 exec, exec, s[12:13]
	s_and_b64 s[0:1], s[0:1], exec
	s_or_saveexec_b64 s[10:11], s[10:11]
	v_mov_b32_e32 v18, s16
	s_xor_b64 exec, exec, s[10:11]
	s_cbranch_execz .LBB262_164
.LBB262_295:                            ;   in Loop: Header=BB262_44 Depth=1
	v_cmp_ne_u16_sdwa s[12:13], v19, v9 src0_sel:BYTE_0 src1_sel:DWORD
	s_andn2_b64 s[0:1], s[0:1], exec
	s_and_b64 s[12:13], s[12:13], exec
	v_mov_b32_e32 v18, 0
	s_or_b64 s[0:1], s[0:1], s[12:13]
	s_or_b64 exec, exec, s[10:11]
	v_mov_b32_e32 v8, v19
	s_and_saveexec_b64 s[10:11], s[0:1]
	s_cbranch_execnz .LBB262_165
	s_branch .LBB262_166
.LBB262_296:                            ;   in Loop: Header=BB262_44 Depth=1
	v_cmp_eq_u16_e64 s[0:1], s21, v8
	s_mov_b64 s[10:11], -1
                                        ; implicit-def: $sgpr27
	s_and_saveexec_b64 s[16:17], s[0:1]
; %bb.297:                              ;   in Loop: Header=BB262_44 Depth=1
	s_mov_b32 s27, 0x7fc02000
	s_xor_b64 s[10:11], exec, -1
; %bb.298:                              ;   in Loop: Header=BB262_44 Depth=1
	s_or_b64 exec, exec, s[16:17]
	s_and_b64 s[10:11], s[10:11], exec
	s_or_saveexec_b64 s[12:13], s[12:13]
	v_mov_b32_e32 v40, s27
	s_xor_b64 exec, exec, s[12:13]
	s_cbranch_execz .LBB262_168
.LBB262_299:                            ;   in Loop: Header=BB262_44 Depth=1
	v_cmp_ne_u16_e64 s[0:1], 0, v8
	s_andn2_b64 s[10:11], s[10:11], exec
	s_and_b64 s[0:1], s[0:1], exec
	v_mov_b32_e32 v40, 0
	s_or_b64 s[10:11], s[10:11], s[0:1]
	s_or_b64 exec, exec, s[12:13]
	s_and_saveexec_b64 s[12:13], s[10:11]
	s_cbranch_execnz .LBB262_169
	s_branch .LBB262_170
.LBB262_300:                            ;   in Loop: Header=BB262_44 Depth=1
	v_cmp_eq_u16_sdwa s[36:37], v8, s21 src0_sel:BYTE_0 src1_sel:DWORD
	s_mov_b64 s[0:1], -1
                                        ; implicit-def: $sgpr16
	s_and_saveexec_b64 s[12:13], s[36:37]
; %bb.301:                              ;   in Loop: Header=BB262_44 Depth=1
	s_mov_b32 s16, 0x7fc02000
	s_xor_b64 s[0:1], exec, -1
; %bb.302:                              ;   in Loop: Header=BB262_44 Depth=1
	s_or_b64 exec, exec, s[12:13]
	s_and_b64 s[0:1], s[0:1], exec
	s_or_saveexec_b64 s[10:11], s[10:11]
	v_mov_b32_e32 v41, s16
	s_xor_b64 exec, exec, s[10:11]
	s_cbranch_execz .LBB262_172
.LBB262_303:                            ;   in Loop: Header=BB262_44 Depth=1
	v_cmp_ne_u16_sdwa s[12:13], v8, v9 src0_sel:BYTE_0 src1_sel:DWORD
	s_andn2_b64 s[0:1], s[0:1], exec
	s_and_b64 s[12:13], s[12:13], exec
	v_mov_b32_e32 v41, 0
	s_or_b64 s[0:1], s[0:1], s[12:13]
	s_or_b64 exec, exec, s[10:11]
	s_and_saveexec_b64 s[10:11], s[0:1]
	s_cbranch_execnz .LBB262_173
	s_branch .LBB262_174
.LBB262_304:                            ;   in Loop: Header=BB262_44 Depth=1
	v_cmp_eq_u16_e64 s[0:1], s21, v8
	s_mov_b64 s[10:11], -1
                                        ; implicit-def: $sgpr27
	s_and_saveexec_b64 s[16:17], s[0:1]
; %bb.305:                              ;   in Loop: Header=BB262_44 Depth=1
	s_mov_b32 s27, 0x7fc02000
	s_xor_b64 s[10:11], exec, -1
; %bb.306:                              ;   in Loop: Header=BB262_44 Depth=1
	s_or_b64 exec, exec, s[16:17]
	s_and_b64 s[10:11], s[10:11], exec
	s_or_saveexec_b64 s[12:13], s[12:13]
	v_mov_b32_e32 v42, s27
	s_xor_b64 exec, exec, s[12:13]
	s_cbranch_execz .LBB262_176
.LBB262_307:                            ;   in Loop: Header=BB262_44 Depth=1
	v_cmp_ne_u16_e64 s[0:1], 0, v8
	s_andn2_b64 s[10:11], s[10:11], exec
	s_and_b64 s[0:1], s[0:1], exec
	v_mov_b32_e32 v42, 0
	s_or_b64 s[10:11], s[10:11], s[0:1]
	s_or_b64 exec, exec, s[12:13]
	s_and_saveexec_b64 s[12:13], s[10:11]
	s_cbranch_execnz .LBB262_177
	s_branch .LBB262_178
.LBB262_308:
	s_or_b64 exec, exec, s[8:9]
.LBB262_309:
	s_or_b64 exec, exec, s[2:3]
	v_and_b32_e32 v6, 0x3c0, v0
	v_cmp_eq_u32_e32 vcc, 64, v6
	s_barrier
	s_and_saveexec_b64 s[0:1], vcc
	s_cbranch_execz .LBB262_311
; %bb.310:
	v_lshlrev_b32_e32 v6, 2, v0
	v_mov_b32_e32 v8, 0x210
	v_or_b32_e32 v7, 0x300, v6
	v_lshl_add_u32 v1, v1, 2, v8
	v_add_u32_e32 v7, 0x210, v7
	v_add_u32_e32 v6, 0x210, v6
	ds_write_b32 v1, v2
	ds_write_b32 v6, v3
	ds_write_b32 v1, v4 offset:512
	ds_write_b32 v7, v5
.LBB262_311:
	s_or_b64 exec, exec, s[0:1]
	v_cmp_gt_u32_e32 vcc, 64, v0
	s_waitcnt lgkmcnt(0)
	s_barrier
	s_and_saveexec_b64 s[0:1], vcc
	s_cbranch_execz .LBB262_313
; %bb.312:
	v_mov_b32_e32 v1, 0x210
	v_lshl_add_u32 v1, v0, 2, v1
	ds_read2st64_b32 v[6:7], v1 offset0:2 offset1:3
	ds_read2st64_b32 v[8:9], v1 offset1:1
	s_waitcnt lgkmcnt(1)
	v_pk_add_f32 v[4:5], v[4:5], v[6:7]
	s_waitcnt lgkmcnt(0)
	v_pk_add_f32 v[2:3], v[2:3], v[8:9]
.LBB262_313:
	s_or_b64 exec, exec, s[0:1]
	s_barrier
	s_and_saveexec_b64 s[0:1], vcc
	s_cbranch_execz .LBB262_315
; %bb.314:
	s_lshl_b32 s0, s6, 8
	s_ashr_i32 s1, s0, 31
	s_lshl_b64 s[0:1], s[0:1], 1
	s_add_u32 s2, s28, s0
	s_mul_i32 s0, s33, s30
	s_addc_u32 s3, s29, s1
	s_ashr_i32 s1, s0, 31
	s_lshl_b64 s[0:1], s[0:1], 1
	s_add_u32 s2, s2, s0
	s_addc_u32 s3, s3, s1
	s_lshl_b32 s0, s4, 8
	s_ashr_i32 s1, s0, 31
	s_lshl_b64 s[0:1], s[0:1], 1
	s_add_u32 s0, s2, s0
	s_addc_u32 s1, s3, s1
	v_lshlrev_b32_e32 v0, 1, v0
	;;#ASMSTART
	v_cvt_f16_f32 v1, v2;

	;;#ASMEND
	global_store_short v0, v1, s[0:1]
	;;#ASMSTART
	v_cvt_f16_f32 v1, v3;

	;;#ASMEND
	global_store_short v0, v1, s[0:1] offset:128
	;;#ASMSTART
	v_cvt_f16_f32 v1, v4;

	;;#ASMEND
	global_store_short v0, v1, s[0:1] offset:256
	;; [unrolled: 5-line block ×3, first 2 shown]
.LBB262_315:
	s_endpgm
	.section	.rodata,"a",@progbits
	.p2align	6, 0x0
	.amdhsa_kernel _ZN4vllm25paged_attention_v2_kernelIthLi256ELi8ELi128ELNS_18Fp8KVCacheDataTypeE1ELb0ELi512EEEvPfS2_PT_PKS3_PKT0_S9_ifPKiSB_iPKfiiiSD_SD_iiiii
		.amdhsa_group_segment_fixed_size 528
		.amdhsa_private_segment_fixed_size 0
		.amdhsa_kernarg_size 400
		.amdhsa_user_sgpr_count 2
		.amdhsa_user_sgpr_dispatch_ptr 0
		.amdhsa_user_sgpr_queue_ptr 0
		.amdhsa_user_sgpr_kernarg_segment_ptr 1
		.amdhsa_user_sgpr_dispatch_id 0
		.amdhsa_user_sgpr_kernarg_preload_length 0
		.amdhsa_user_sgpr_kernarg_preload_offset 0
		.amdhsa_user_sgpr_private_segment_size 0
		.amdhsa_uses_dynamic_stack 0
		.amdhsa_enable_private_segment 0
		.amdhsa_system_sgpr_workgroup_id_x 1
		.amdhsa_system_sgpr_workgroup_id_y 1
		.amdhsa_system_sgpr_workgroup_id_z 1
		.amdhsa_system_sgpr_workgroup_info 0
		.amdhsa_system_vgpr_workitem_id 0
		.amdhsa_next_free_vgpr 61
		.amdhsa_next_free_sgpr 46
		.amdhsa_accum_offset 64
		.amdhsa_reserve_vcc 1
		.amdhsa_float_round_mode_32 0
		.amdhsa_float_round_mode_16_64 0
		.amdhsa_float_denorm_mode_32 3
		.amdhsa_float_denorm_mode_16_64 3
		.amdhsa_dx10_clamp 1
		.amdhsa_ieee_mode 1
		.amdhsa_fp16_overflow 0
		.amdhsa_tg_split 0
		.amdhsa_exception_fp_ieee_invalid_op 0
		.amdhsa_exception_fp_denorm_src 0
		.amdhsa_exception_fp_ieee_div_zero 0
		.amdhsa_exception_fp_ieee_overflow 0
		.amdhsa_exception_fp_ieee_underflow 0
		.amdhsa_exception_fp_ieee_inexact 0
		.amdhsa_exception_int_div_zero 0
	.end_amdhsa_kernel
	.section	.text._ZN4vllm25paged_attention_v2_kernelIthLi256ELi8ELi128ELNS_18Fp8KVCacheDataTypeE1ELb0ELi512EEEvPfS2_PT_PKS3_PKT0_S9_ifPKiSB_iPKfiiiSD_SD_iiiii,"axG",@progbits,_ZN4vllm25paged_attention_v2_kernelIthLi256ELi8ELi128ELNS_18Fp8KVCacheDataTypeE1ELb0ELi512EEEvPfS2_PT_PKS3_PKT0_S9_ifPKiSB_iPKfiiiSD_SD_iiiii,comdat
.Lfunc_end262:
	.size	_ZN4vllm25paged_attention_v2_kernelIthLi256ELi8ELi128ELNS_18Fp8KVCacheDataTypeE1ELb0ELi512EEEvPfS2_PT_PKS3_PKT0_S9_ifPKiSB_iPKfiiiSD_SD_iiiii, .Lfunc_end262-_ZN4vllm25paged_attention_v2_kernelIthLi256ELi8ELi128ELNS_18Fp8KVCacheDataTypeE1ELb0ELi512EEEvPfS2_PT_PKS3_PKT0_S9_ifPKiSB_iPKfiiiSD_SD_iiiii
                                        ; -- End function
	.section	.AMDGPU.csdata,"",@progbits
; Kernel info:
; codeLenInByte = 15272
; NumSgprs: 52
; NumVgprs: 61
; NumAgprs: 0
; TotalNumVgprs: 61
; ScratchSize: 0
; MemoryBound: 0
; FloatMode: 240
; IeeeMode: 1
; LDSByteSize: 528 bytes/workgroup (compile time only)
; SGPRBlocks: 6
; VGPRBlocks: 7
; NumSGPRsForWavesPerEU: 52
; NumVGPRsForWavesPerEU: 61
; AccumOffset: 64
; Occupancy: 8
; WaveLimiterHint : 1
; COMPUTE_PGM_RSRC2:SCRATCH_EN: 0
; COMPUTE_PGM_RSRC2:USER_SGPR: 2
; COMPUTE_PGM_RSRC2:TRAP_HANDLER: 0
; COMPUTE_PGM_RSRC2:TGID_X_EN: 1
; COMPUTE_PGM_RSRC2:TGID_Y_EN: 1
; COMPUTE_PGM_RSRC2:TGID_Z_EN: 1
; COMPUTE_PGM_RSRC2:TIDIG_COMP_CNT: 0
; COMPUTE_PGM_RSRC3_GFX90A:ACCUM_OFFSET: 15
; COMPUTE_PGM_RSRC3_GFX90A:TG_SPLIT: 0
	.section	.text._ZN4vllm25paged_attention_v2_kernelIthLi32ELi16ELi128ELNS_18Fp8KVCacheDataTypeE1ELb1ELi512EEEvPfS2_PT_PKS3_PKT0_S9_ifPKiSB_iPKfiiiSD_SD_iiiii,"axG",@progbits,_ZN4vllm25paged_attention_v2_kernelIthLi32ELi16ELi128ELNS_18Fp8KVCacheDataTypeE1ELb1ELi512EEEvPfS2_PT_PKS3_PKT0_S9_ifPKiSB_iPKfiiiSD_SD_iiiii,comdat
	.protected	_ZN4vllm25paged_attention_v2_kernelIthLi32ELi16ELi128ELNS_18Fp8KVCacheDataTypeE1ELb1ELi512EEEvPfS2_PT_PKS3_PKT0_S9_ifPKiSB_iPKfiiiSD_SD_iiiii ; -- Begin function _ZN4vllm25paged_attention_v2_kernelIthLi32ELi16ELi128ELNS_18Fp8KVCacheDataTypeE1ELb1ELi512EEEvPfS2_PT_PKS3_PKT0_S9_ifPKiSB_iPKfiiiSD_SD_iiiii
	.globl	_ZN4vllm25paged_attention_v2_kernelIthLi32ELi16ELi128ELNS_18Fp8KVCacheDataTypeE1ELb1ELi512EEEvPfS2_PT_PKS3_PKT0_S9_ifPKiSB_iPKfiiiSD_SD_iiiii
	.p2align	8
	.type	_ZN4vllm25paged_attention_v2_kernelIthLi32ELi16ELi128ELNS_18Fp8KVCacheDataTypeE1ELb1ELi512EEEvPfS2_PT_PKS3_PKT0_S9_ifPKiSB_iPKfiiiSD_SD_iiiii,@function
_ZN4vllm25paged_attention_v2_kernelIthLi32ELi16ELi128ELNS_18Fp8KVCacheDataTypeE1ELb1ELi512EEEvPfS2_PT_PKS3_PKT0_S9_ifPKiSB_iPKfiiiSD_SD_iiiii: ; @_ZN4vllm25paged_attention_v2_kernelIthLi32ELi16ELi128ELNS_18Fp8KVCacheDataTypeE1ELb1ELi512EEEvPfS2_PT_PKS3_PKT0_S9_ifPKiSB_iPKfiiiSD_SD_iiiii
; %bb.0:
	s_load_dwordx2 s[6:7], s[0:1], 0x40
	s_mov_b32 s34, s3
	s_ashr_i32 s35, s3, 31
	s_lshl_b64 s[8:9], s[34:35], 2
	s_waitcnt lgkmcnt(0)
	s_add_u32 s6, s6, s8
	s_addc_u32 s7, s7, s9
	s_load_dword s33, s[6:7], 0x0
	s_lshl_b32 s56, s4, 9
	s_waitcnt lgkmcnt(0)
	s_cmp_ge_i32 s56, s33
	s_cbranch_scc1 .LBB263_189
; %bb.1:
	s_load_dword s5, s[0:1], 0x90
	s_load_dwordx2 s[42:43], s[0:1], 0x30
	s_waitcnt lgkmcnt(0)
	s_abs_i32 s7, s5
	s_abs_i32 s3, s42
	v_cvt_f32_u32_e32 v1, s3
	s_sub_i32 s8, 0, s3
	s_xor_b32 s6, s5, s42
	s_ashr_i32 s6, s6, 31
	v_rcp_iflag_f32_e32 v1, v1
	s_nop 0
	v_mul_f32_e32 v1, 0x4f7ffffe, v1
	v_cvt_u32_f32_e32 v1, v1
	s_nop 0
	v_readfirstlane_b32 s9, v1
	s_mul_i32 s8, s8, s9
	s_mul_hi_u32 s8, s9, s8
	s_add_i32 s9, s9, s8
	s_mul_hi_u32 s8, s7, s9
	s_mul_i32 s9, s8, s3
	s_sub_i32 s7, s7, s9
	s_add_i32 s10, s8, 1
	s_sub_i32 s9, s7, s3
	s_cmp_ge_u32 s7, s3
	s_cselect_b32 s8, s10, s8
	s_cselect_b32 s7, s9, s7
	s_add_i32 s9, s8, 1
	s_cmp_ge_u32 s7, s3
	s_cselect_b32 s3, s9, s8
	s_xor_b32 s3, s3, s6
	s_sub_i32 s11, s3, s6
	s_abs_i32 s8, s11
	v_cvt_f32_u32_e32 v1, s8
	s_load_dwordx2 s[6:7], s[0:1], 0x50
	s_sub_i32 s10, 0, s8
	s_abs_i32 s9, s2
	v_rcp_iflag_f32_e32 v1, v1
	s_mov_b32 s3, 0
	v_mul_f32_e32 v1, 0x4f7ffffe, v1
	v_cvt_u32_f32_e32 v1, v1
	s_nop 0
	v_readfirstlane_b32 s12, v1
	s_mul_i32 s10, s10, s12
	s_mul_hi_u32 s10, s12, s10
	s_add_i32 s12, s12, s10
	s_waitcnt lgkmcnt(0)
	s_cmp_eq_u64 s[6:7], 0
	s_mul_hi_u32 s10, s9, s12
	s_cbranch_scc1 .LBB263_3
; %bb.2:
	s_ashr_i32 s3, s2, 31
	s_lshl_b64 s[12:13], s[2:3], 2
	s_add_u32 s6, s6, s12
	s_addc_u32 s7, s7, s13
	s_load_dword s3, s[6:7], 0x0
.LBB263_3:
	s_load_dwordx4 s[16:19], s[0:1], 0x58
	s_ashr_i32 s12, s2, 31
	s_ashr_i32 s11, s11, 31
	v_and_b32_e32 v9, 3, v0
	s_lshl_b32 s28, s2, 5
	v_cmp_gt_u32_e32 vcc, 16, v0
	s_and_saveexec_b64 s[6:7], vcc
	s_cbranch_execz .LBB263_5
; %bb.4:
	s_load_dwordx2 s[14:15], s[0:1], 0x18
	s_waitcnt lgkmcnt(0)
	s_mul_i32 s20, s34, s16
	s_ashr_i32 s21, s20, 31
	s_lshl_b64 s[20:21], s[20:21], 1
	v_lshlrev_b32_e32 v1, 2, v0
	s_add_u32 s13, s14, s20
	s_addc_u32 s16, s15, s21
	s_ashr_i32 s29, s28, 31
	s_lshl_b64 s[14:15], s[28:29], 1
	s_add_u32 s14, s13, s14
	s_addc_u32 s15, s16, s15
	global_load_dword v1, v1, s[14:15]
	v_and_b32_e32 v2, 0x3fc, v0
	v_lshl_add_u32 v2, v9, 4, v2
	s_waitcnt vmcnt(0)
	ds_write_b32 v2, v1
.LBB263_5:
	s_or_b64 exec, exec, s[6:7]
	s_mul_i32 s7, s10, s8
	s_sub_i32 s7, s9, s7
	s_xor_b32 s6, s12, s11
	s_add_i32 s9, s10, 1
	s_sub_i32 s11, s7, s8
	s_load_dwordx4 s[20:23], s[0:1], 0x78
	s_cmp_ge_u32 s7, s8
	s_cselect_b32 s9, s9, s10
	s_cselect_b32 s7, s11, s7
	s_add_i32 s10, s9, 1
	s_cmp_ge_u32 s7, s8
	s_cselect_b32 s7, s10, s9
	s_load_dword s10, s[0:1], 0x88
	s_waitcnt lgkmcnt(0)
	s_abs_i32 s29, s23
	v_cvt_f32_u32_e32 v1, s29
	s_xor_b32 s7, s7, s6
	s_sub_i32 s55, s7, s6
	s_sub_i32 s6, 0, s29
	v_rcp_iflag_f32_e32 v1, v1
	s_add_i32 s11, s33, -1
	s_abs_i32 s8, s11
	v_mul_f32_e32 v1, 0x4f7ffffe, v1
	v_cvt_u32_f32_e32 v1, v1
	s_barrier
	v_readfirstlane_b32 s35, v1
	s_mul_i32 s6, s6, s35
	s_mul_hi_u32 s6, s35, s6
	s_add_i32 s35, s35, s6
	s_cmp_lt_i32 s10, 0
	s_mul_hi_u32 s9, s8, s35
	s_cbranch_scc0 .LBB263_7
; %bb.6:
	s_mul_i32 s6, s20, s42
	s_add_i32 s6, s55, s6
	s_mul_i32 s6, s6, s10
	s_sub_i32 s42, 1, s6
	s_mov_b64 s[6:7], 0
	s_branch .LBB263_8
.LBB263_7:
	s_mov_b64 s[6:7], -1
                                        ; implicit-def: $sgpr42
.LBB263_8:
	s_load_dwordx2 s[36:37], s[0:1], 0x38
	s_ashr_i32 s11, s11, 31
	s_andn2_b64 vcc, exec, s[6:7]
	s_ashr_i32 s23, s23, 31
	s_cbranch_vccnz .LBB263_10
; %bb.9:
	s_mul_i32 s6, s5, s20
	s_add_i32 s6, s6, s2
	s_mul_i32 s6, s6, s10
	s_add_i32 s42, s6, 1
.LBB263_10:
	s_load_dwordx2 s[40:41], s[0:1], 0x28
	s_load_dword s6, s[0:1], 0x48
	s_load_dwordx4 s[24:27], s[0:1], 0x0
	s_load_dwordx2 s[30:31], s[0:1], 0x10
	s_load_dword s20, s[0:1], 0x98
	s_load_dwordx4 s[12:15], s[0:1], 0x68
	s_mul_i32 s7, s9, s29
	s_waitcnt lgkmcnt(0)
	s_mul_i32 s38, s34, s6
	s_sub_i32 s7, s8, s7
	s_ashr_i32 s39, s38, 31
	s_xor_b32 s6, s11, s23
	s_add_i32 s8, s9, 1
	s_sub_i32 s10, s7, s29
	s_cmp_ge_u32 s7, s29
	s_cselect_b32 s8, s8, s9
	s_cselect_b32 s7, s10, s7
	s_add_i32 s9, s8, 1
	s_cmp_ge_u32 s7, s29
	s_cselect_b32 s7, s9, s8
	s_xor_b32 s7, s7, s6
	s_sub_i32 s54, s7, s6
	s_add_i32 s6, s33, 15
	s_ashr_i32 s7, s6, 31
	s_lshr_b32 s7, s7, 28
	s_add_i32 s6, s6, s7
	s_lshl_b32 s16, s4, 5
	s_ashr_i32 s53, s6, 4
	s_add_i32 s6, s16, 32
	v_lshrrev_b32_e32 v14, 6, v0
	s_min_i32 s52, s6, s53
	v_or_b32_e32 v2, s16, v14
	v_cmp_gt_i32_e64 s[8:9], s52, v2
	v_mov_b32_e32 v18, 0xff7fffff
	s_mul_i32 s55, s55, s18
	v_ashrrev_i32_e32 v3, 31, v2
	v_lshl_add_u32 v1, v14, 4, s56
	v_mbcnt_lo_u32_b32 v15, -1, 0
	s_and_saveexec_b64 s[18:19], s[8:9]
	s_cbranch_execz .LBB263_84
; %bb.11:
	s_load_dwordx2 s[0:1], s[0:1], 0x20
	s_sub_i32 s57, s54, s21
	s_ashr_i32 s6, s55, 31
	v_bfe_u32 v16, v0, 2, 4
	v_lshlrev_b32_e32 v4, 4, v16
	s_waitcnt lgkmcnt(0)
	s_add_u32 s0, s0, s55
	s_addc_u32 s1, s1, s6
	s_abs_i32 s58, s22
	v_cvt_f32_u32_e32 v6, s58
	v_mov_b32_e32 v5, 0
	v_cmp_eq_u32_e32 vcc, 0, v9
	s_mov_b32 s59, s17
	v_rcp_iflag_f32_e32 v10, v6
	v_lshl_add_u64 v[6:7], s[0:1], 0, v[4:5]
	s_sub_i32 s0, 0, s58
	v_lshlrev_b32_e32 v8, 1, v9
	v_mul_f32_e32 v4, 0x4f7ffffe, v10
	v_cvt_u32_f32_e32 v4, v4
	v_lshlrev_b32_e32 v17, 4, v9
	v_cmp_neq_f32_e64 s[6:7], s3, 0
	v_mov_b32_e32 v9, v5
	v_mul_lo_u32 v10, s0, v4
	v_mul_hi_u32 v10, v4, v10
	v_add_u32_e32 v19, v4, v10
	s_lshl_b64 s[0:1], s[38:39], 2
	v_lshlrev_b32_e32 v4, 2, v16
	s_add_u32 s0, s36, s0
	v_lshl_or_b32 v4, v14, 6, v4
	s_addc_u32 s1, s37, s1
	v_add_u32_e32 v21, 0x50, v4
	v_subrev_u32_e32 v4, s33, v16
	v_lshl_add_u64 v[10:11], v[2:3], 2, s[0:1]
	v_lshl_add_u32 v20, v14, 4, s56
	v_add_u32_e32 v22, 1, v4
	s_mov_b64 s[44:45], 0
	v_mov_b32_e32 v23, 0xff7fffff
	s_movk_i32 s60, 0x7f
	s_movk_i32 s61, 0x80
	s_mov_b32 s62, 0x8000
	v_mov_b32_e32 v24, 0x1c00
	v_mbcnt_hi_u32_b32 v25, -1, v15
	v_mov_b32_e32 v18, 0xff7fffff
	v_mov_b32_e32 v26, v2
	s_branch .LBB263_14
.LBB263_12:                             ;   in Loop: Header=BB263_14 Depth=1
	s_or_b64 exec, exec, s[46:47]
.LBB263_13:                             ;   in Loop: Header=BB263_14 Depth=1
	s_or_b64 exec, exec, s[10:11]
	v_add_u32_e32 v26, 2, v26
	v_cmp_le_i32_e64 s[0:1], s52, v26
	v_lshl_add_u64 v[10:11], v[10:11], 0, 8
	v_add_u32_e32 v20, 32, v20
	s_or_b64 s[44:45], s[0:1], s[44:45]
	v_add_u32_e32 v21, 0x80, v21
	s_andn2_b64 exec, exec, s[44:45]
	s_cbranch_execz .LBB263_83
.LBB263_14:                             ; =>This Inner Loop Header: Depth=1
	s_waitcnt lgkmcnt(0)
	v_sub_u32_e32 v12, 0, v20
	v_max_i32_e32 v12, v20, v12
	v_mul_hi_u32 v13, v12, s35
	v_mul_lo_u32 v27, v13, s29
	v_sub_u32_e32 v12, v12, v27
	v_add_u32_e32 v27, 1, v13
	v_cmp_le_u32_e64 s[0:1], s29, v12
	v_ashrrev_i32_e32 v4, 31, v20
	v_xor_b32_e32 v4, s23, v4
	v_cndmask_b32_e64 v13, v13, v27, s[0:1]
	v_subrev_u32_e32 v27, s29, v12
	v_cndmask_b32_e64 v12, v12, v27, s[0:1]
	v_add_u32_e32 v27, 1, v13
	v_cmp_le_u32_e64 s[0:1], s29, v12
	s_nop 1
	v_cndmask_b32_e64 v12, v13, v27, s[0:1]
	v_xor_b32_e32 v12, v12, v4
	v_sub_u32_e32 v4, v12, v4
	v_add_u32_e32 v12, s42, v4
	v_sub_u32_e32 v27, 0, v12
	v_ashrrev_i32_e32 v13, 31, v12
	v_max_i32_e32 v12, v12, v27
	v_mul_hi_u32 v27, v12, v19
	v_mul_lo_u32 v27, v27, s58
	v_sub_u32_e32 v12, v12, v27
	v_subrev_u32_e32 v27, s58, v12
	v_cmp_le_u32_e64 s[0:1], s58, v12
	v_cmp_ge_i32_e64 s[10:11], s57, v4
	s_nop 0
	v_cndmask_b32_e64 v12, v12, v27, s[0:1]
	v_subrev_u32_e32 v27, s58, v12
	v_cmp_le_u32_e64 s[0:1], s58, v12
	s_nop 1
	v_cndmask_b32_e64 v12, v12, v27, s[0:1]
	v_xor_b32_e32 v12, v12, v13
	v_sub_u32_e32 v12, v12, v13
	v_cmp_ne_u32_e64 s[0:1], 0, v12
	s_and_b64 s[0:1], s[0:1], s[10:11]
	s_and_b64 s[46:47], vcc, s[0:1]
	s_and_saveexec_b64 s[10:11], s[46:47]
	s_cbranch_execz .LBB263_16
; %bb.15:                               ;   in Loop: Header=BB263_14 Depth=1
	ds_write_b32 v21, v23
.LBB263_16:                             ;   in Loop: Header=BB263_14 Depth=1
	s_or_b64 exec, exec, s[10:11]
	s_xor_b64 s[0:1], s[0:1], -1
	s_and_saveexec_b64 s[10:11], s[0:1]
	s_cbranch_execz .LBB263_13
; %bb.17:                               ;   in Loop: Header=BB263_14 Depth=1
	global_load_dword v4, v[10:11], off
                                        ; implicit-def: $sgpr50
	s_waitcnt vmcnt(0)
	v_mad_i64_i32 v[12:13], s[0:1], v4, s59, v[6:7]
	v_lshl_add_u64 v[12:13], v[12:13], 0, v[8:9]
	global_load_ushort v4, v[12:13], off
	global_load_dword v27, v5, s[12:13]
	s_mov_b64 s[0:1], 0
	s_waitcnt vmcnt(1)
	v_cmp_gt_i16_sdwa s[46:47], v4, s60 src0_sel:BYTE_0 src1_sel:DWORD
	s_and_saveexec_b64 s[48:49], s[46:47]
	s_xor_b64 s[46:47], exec, s[48:49]
	s_cbranch_execnz .LBB263_51
; %bb.18:                               ;   in Loop: Header=BB263_14 Depth=1
	s_or_saveexec_b64 s[46:47], s[46:47]
	v_mov_b32_e32 v28, s50
	s_xor_b64 exec, exec, s[46:47]
	s_cbranch_execnz .LBB263_54
.LBB263_19:                             ;   in Loop: Header=BB263_14 Depth=1
	s_or_b64 exec, exec, s[46:47]
	v_and_b32_e32 v4, 0xffff, v4
	s_and_saveexec_b64 s[46:47], s[0:1]
	s_cbranch_execz .LBB263_21
.LBB263_20:                             ;   in Loop: Header=BB263_14 Depth=1
	v_and_b32_e32 v30, 7, v4
	v_ffbh_u32_e32 v28, v30
	v_min_u32_e32 v32, 32, v28
	v_subrev_u32_e32 v28, 28, v32
	v_bfe_u32 v31, v4, 3, 4
	v_lshlrev_b64 v[28:29], v28, v[4:5]
	v_sub_u32_e32 v29, 29, v32
	v_cmp_eq_u32_e64 s[0:1], 0, v31
	v_and_b32_e32 v28, 7, v28
	s_nop 0
	v_cndmask_b32_e64 v29, v31, v29, s[0:1]
	v_cndmask_b32_e64 v28, v30, v28, s[0:1]
	v_lshlrev_b32_e32 v30, 8, v4
	v_lshl_add_u32 v29, v29, 10, v24
	v_and_or_b32 v29, v30, s62, v29
	v_lshl_or_b32 v28, v28, 7, v29
	v_cvt_f32_f16_e32 v28, v28
.LBB263_21:                             ;   in Loop: Header=BB263_14 Depth=1
	s_or_b64 exec, exec, s[46:47]
	v_lshrrev_b16_e32 v4, 8, v4
	v_cmp_lt_i16_e64 s[0:1], s60, v4
	s_mov_b64 s[46:47], 0
                                        ; implicit-def: $sgpr63
	s_and_saveexec_b64 s[48:49], s[0:1]
	s_xor_b64 s[48:49], exec, s[48:49]
	s_cbranch_execnz .LBB263_55
; %bb.22:                               ;   in Loop: Header=BB263_14 Depth=1
	s_or_saveexec_b64 s[48:49], s[48:49]
	v_mov_b32_e32 v29, s63
	s_xor_b64 exec, exec, s[48:49]
	s_cbranch_execnz .LBB263_58
.LBB263_23:                             ;   in Loop: Header=BB263_14 Depth=1
	s_or_b64 exec, exec, s[48:49]
	s_and_saveexec_b64 s[48:49], s[46:47]
	s_cbranch_execz .LBB263_25
.LBB263_24:                             ;   in Loop: Header=BB263_14 Depth=1
	v_and_b32_e32 v29, 7, v4
	v_ffbh_u32_e32 v30, v29
	v_min_u32_e32 v33, 32, v30
	v_subrev_u32_e32 v30, 28, v33
	v_bfe_u32 v32, v4, 3, 4
	v_lshlrev_b64 v[30:31], v30, v[4:5]
	v_sub_u32_e32 v31, 29, v33
	v_cmp_eq_u32_e64 s[0:1], 0, v32
	v_and_b32_e32 v30, 7, v30
	v_lshlrev_b32_e32 v4, 8, v4
	v_cndmask_b32_e64 v31, v32, v31, s[0:1]
	v_cndmask_b32_e64 v29, v29, v30, s[0:1]
	v_lshl_add_u32 v30, v31, 10, v24
	v_and_or_b32 v4, v4, s62, v30
	v_lshl_or_b32 v4, v29, 7, v4
	v_cvt_f32_f16_e32 v29, v4
.LBB263_25:                             ;   in Loop: Header=BB263_14 Depth=1
	s_or_b64 exec, exec, s[48:49]
	global_load_ushort v4, v[12:13], off offset:8
	s_mov_b64 s[0:1], 0
                                        ; implicit-def: $sgpr50
	s_waitcnt vmcnt(0)
	v_cmp_gt_i16_sdwa s[46:47], v4, s60 src0_sel:BYTE_0 src1_sel:DWORD
	s_and_saveexec_b64 s[48:49], s[46:47]
	s_xor_b64 s[46:47], exec, s[48:49]
	s_cbranch_execnz .LBB263_59
; %bb.26:                               ;   in Loop: Header=BB263_14 Depth=1
	s_or_saveexec_b64 s[46:47], s[46:47]
	v_mov_b32_e32 v30, s50
	s_xor_b64 exec, exec, s[46:47]
	s_cbranch_execnz .LBB263_62
.LBB263_27:                             ;   in Loop: Header=BB263_14 Depth=1
	s_or_b64 exec, exec, s[46:47]
	v_and_b32_e32 v4, 0xffff, v4
	s_and_saveexec_b64 s[46:47], s[0:1]
	s_cbranch_execz .LBB263_29
.LBB263_28:                             ;   in Loop: Header=BB263_14 Depth=1
	v_and_b32_e32 v32, 7, v4
	v_ffbh_u32_e32 v30, v32
	v_min_u32_e32 v34, 32, v30
	v_subrev_u32_e32 v30, 28, v34
	v_bfe_u32 v33, v4, 3, 4
	v_lshlrev_b64 v[30:31], v30, v[4:5]
	v_sub_u32_e32 v31, 29, v34
	v_cmp_eq_u32_e64 s[0:1], 0, v33
	v_and_b32_e32 v30, 7, v30
	s_nop 0
	v_cndmask_b32_e64 v31, v33, v31, s[0:1]
	v_cndmask_b32_e64 v30, v32, v30, s[0:1]
	v_lshlrev_b32_e32 v32, 8, v4
	v_lshl_add_u32 v31, v31, 10, v24
	v_and_or_b32 v31, v32, s62, v31
	v_lshl_or_b32 v30, v30, 7, v31
	v_cvt_f32_f16_e32 v30, v30
.LBB263_29:                             ;   in Loop: Header=BB263_14 Depth=1
	s_or_b64 exec, exec, s[46:47]
	v_lshrrev_b16_e32 v4, 8, v4
	v_cmp_lt_i16_e64 s[0:1], s60, v4
	s_mov_b64 s[46:47], 0
                                        ; implicit-def: $sgpr63
	s_and_saveexec_b64 s[48:49], s[0:1]
	s_xor_b64 s[48:49], exec, s[48:49]
	s_cbranch_execnz .LBB263_63
; %bb.30:                               ;   in Loop: Header=BB263_14 Depth=1
	s_or_saveexec_b64 s[48:49], s[48:49]
	v_mov_b32_e32 v31, s63
	s_xor_b64 exec, exec, s[48:49]
	s_cbranch_execnz .LBB263_66
.LBB263_31:                             ;   in Loop: Header=BB263_14 Depth=1
	s_or_b64 exec, exec, s[48:49]
	s_and_saveexec_b64 s[48:49], s[46:47]
	s_cbranch_execz .LBB263_33
.LBB263_32:                             ;   in Loop: Header=BB263_14 Depth=1
	v_and_b32_e32 v31, 7, v4
	v_ffbh_u32_e32 v32, v31
	v_min_u32_e32 v35, 32, v32
	v_subrev_u32_e32 v32, 28, v35
	v_bfe_u32 v34, v4, 3, 4
	v_lshlrev_b64 v[32:33], v32, v[4:5]
	v_sub_u32_e32 v33, 29, v35
	v_cmp_eq_u32_e64 s[0:1], 0, v34
	v_and_b32_e32 v32, 7, v32
	v_lshlrev_b32_e32 v4, 8, v4
	v_cndmask_b32_e64 v33, v34, v33, s[0:1]
	v_cndmask_b32_e64 v31, v31, v32, s[0:1]
	v_lshl_add_u32 v32, v33, 10, v24
	v_and_or_b32 v4, v4, s62, v32
	v_lshl_or_b32 v4, v31, 7, v4
	v_cvt_f32_f16_e32 v31, v4
.LBB263_33:                             ;   in Loop: Header=BB263_14 Depth=1
	s_or_b64 exec, exec, s[48:49]
	global_load_ushort v4, v[12:13], off offset:256
	s_mov_b64 s[0:1], 0
                                        ; implicit-def: $sgpr50
	s_waitcnt vmcnt(0)
	v_cmp_gt_i16_sdwa s[46:47], v4, s60 src0_sel:BYTE_0 src1_sel:DWORD
	s_and_saveexec_b64 s[48:49], s[46:47]
	s_xor_b64 s[46:47], exec, s[48:49]
	s_cbranch_execnz .LBB263_67
; %bb.34:                               ;   in Loop: Header=BB263_14 Depth=1
	s_or_saveexec_b64 s[46:47], s[46:47]
	v_mov_b32_e32 v32, s50
	s_xor_b64 exec, exec, s[46:47]
	s_cbranch_execnz .LBB263_70
.LBB263_35:                             ;   in Loop: Header=BB263_14 Depth=1
	s_or_b64 exec, exec, s[46:47]
	v_and_b32_e32 v4, 0xffff, v4
	s_and_saveexec_b64 s[46:47], s[0:1]
	s_cbranch_execz .LBB263_37
.LBB263_36:                             ;   in Loop: Header=BB263_14 Depth=1
	v_and_b32_e32 v34, 7, v4
	v_ffbh_u32_e32 v32, v34
	v_min_u32_e32 v36, 32, v32
	v_subrev_u32_e32 v32, 28, v36
	v_bfe_u32 v35, v4, 3, 4
	v_lshlrev_b64 v[32:33], v32, v[4:5]
	v_sub_u32_e32 v33, 29, v36
	v_cmp_eq_u32_e64 s[0:1], 0, v35
	v_and_b32_e32 v32, 7, v32
	s_nop 0
	v_cndmask_b32_e64 v33, v35, v33, s[0:1]
	v_cndmask_b32_e64 v32, v34, v32, s[0:1]
	v_lshlrev_b32_e32 v34, 8, v4
	v_lshl_add_u32 v33, v33, 10, v24
	v_and_or_b32 v33, v34, s62, v33
	v_lshl_or_b32 v32, v32, 7, v33
	v_cvt_f32_f16_e32 v32, v32
.LBB263_37:                             ;   in Loop: Header=BB263_14 Depth=1
	s_or_b64 exec, exec, s[46:47]
	v_lshrrev_b16_e32 v4, 8, v4
	v_cmp_lt_i16_e64 s[0:1], s60, v4
	s_mov_b64 s[46:47], 0
                                        ; implicit-def: $sgpr63
	s_and_saveexec_b64 s[48:49], s[0:1]
	s_xor_b64 s[48:49], exec, s[48:49]
	s_cbranch_execnz .LBB263_71
; %bb.38:                               ;   in Loop: Header=BB263_14 Depth=1
	s_or_saveexec_b64 s[48:49], s[48:49]
	v_mov_b32_e32 v33, s63
	s_xor_b64 exec, exec, s[48:49]
	s_cbranch_execnz .LBB263_74
.LBB263_39:                             ;   in Loop: Header=BB263_14 Depth=1
	s_or_b64 exec, exec, s[48:49]
	s_and_saveexec_b64 s[48:49], s[46:47]
	s_cbranch_execz .LBB263_41
.LBB263_40:                             ;   in Loop: Header=BB263_14 Depth=1
	v_and_b32_e32 v33, 7, v4
	v_ffbh_u32_e32 v34, v33
	v_min_u32_e32 v37, 32, v34
	v_subrev_u32_e32 v34, 28, v37
	v_bfe_u32 v36, v4, 3, 4
	v_lshlrev_b64 v[34:35], v34, v[4:5]
	v_sub_u32_e32 v35, 29, v37
	v_cmp_eq_u32_e64 s[0:1], 0, v36
	v_and_b32_e32 v34, 7, v34
	v_lshlrev_b32_e32 v4, 8, v4
	v_cndmask_b32_e64 v35, v36, v35, s[0:1]
	v_cndmask_b32_e64 v33, v33, v34, s[0:1]
	v_lshl_add_u32 v34, v35, 10, v24
	v_and_or_b32 v4, v4, s62, v34
	v_lshl_or_b32 v4, v33, 7, v4
	v_cvt_f32_f16_e32 v33, v4
.LBB263_41:                             ;   in Loop: Header=BB263_14 Depth=1
	s_or_b64 exec, exec, s[48:49]
	global_load_ushort v4, v[12:13], off offset:264
	s_mov_b64 s[0:1], 0
                                        ; implicit-def: $sgpr50
	s_waitcnt vmcnt(0)
	v_cmp_gt_i16_sdwa s[46:47], v4, s60 src0_sel:BYTE_0 src1_sel:DWORD
	s_and_saveexec_b64 s[48:49], s[46:47]
	s_xor_b64 s[46:47], exec, s[48:49]
	s_cbranch_execnz .LBB263_75
; %bb.42:                               ;   in Loop: Header=BB263_14 Depth=1
	s_or_saveexec_b64 s[46:47], s[46:47]
	v_mov_b32_e32 v12, s50
	s_xor_b64 exec, exec, s[46:47]
	s_cbranch_execnz .LBB263_78
.LBB263_43:                             ;   in Loop: Header=BB263_14 Depth=1
	s_or_b64 exec, exec, s[46:47]
	v_and_b32_e32 v4, 0xffff, v4
	s_and_saveexec_b64 s[46:47], s[0:1]
	s_cbranch_execz .LBB263_45
.LBB263_44:                             ;   in Loop: Header=BB263_14 Depth=1
	v_and_b32_e32 v34, 7, v4
	v_ffbh_u32_e32 v12, v34
	v_min_u32_e32 v36, 32, v12
	v_subrev_u32_e32 v12, 28, v36
	v_bfe_u32 v35, v4, 3, 4
	v_lshlrev_b64 v[12:13], v12, v[4:5]
	v_sub_u32_e32 v13, 29, v36
	v_cmp_eq_u32_e64 s[0:1], 0, v35
	v_and_b32_e32 v12, 7, v12
	s_nop 0
	v_cndmask_b32_e64 v13, v35, v13, s[0:1]
	v_cndmask_b32_e64 v12, v34, v12, s[0:1]
	v_lshlrev_b32_e32 v34, 8, v4
	v_lshl_add_u32 v13, v13, 10, v24
	v_and_or_b32 v13, v34, s62, v13
	v_lshl_or_b32 v12, v12, 7, v13
	v_cvt_f32_f16_e32 v12, v12
.LBB263_45:                             ;   in Loop: Header=BB263_14 Depth=1
	s_or_b64 exec, exec, s[46:47]
	v_lshrrev_b16_e32 v4, 8, v4
	v_cmp_lt_i16_e64 s[0:1], s60, v4
	s_mov_b64 s[46:47], 0
                                        ; implicit-def: $sgpr63
	s_and_saveexec_b64 s[48:49], s[0:1]
	s_xor_b64 s[48:49], exec, s[48:49]
	s_cbranch_execnz .LBB263_79
; %bb.46:                               ;   in Loop: Header=BB263_14 Depth=1
	s_or_saveexec_b64 s[48:49], s[48:49]
	v_mov_b32_e32 v13, s63
	s_xor_b64 exec, exec, s[48:49]
	s_cbranch_execnz .LBB263_82
.LBB263_47:                             ;   in Loop: Header=BB263_14 Depth=1
	s_or_b64 exec, exec, s[48:49]
	s_and_saveexec_b64 s[48:49], s[46:47]
	s_cbranch_execz .LBB263_49
.LBB263_48:                             ;   in Loop: Header=BB263_14 Depth=1
	v_and_b32_e32 v13, 7, v4
	v_ffbh_u32_e32 v34, v13
	v_min_u32_e32 v37, 32, v34
	v_subrev_u32_e32 v34, 28, v37
	v_bfe_u32 v36, v4, 3, 4
	v_lshlrev_b64 v[34:35], v34, v[4:5]
	v_sub_u32_e32 v35, 29, v37
	v_cmp_eq_u32_e64 s[0:1], 0, v36
	v_and_b32_e32 v34, 7, v34
	v_lshlrev_b32_e32 v4, 8, v4
	v_cndmask_b32_e64 v35, v36, v35, s[0:1]
	v_cndmask_b32_e64 v13, v13, v34, s[0:1]
	v_lshl_add_u32 v34, v35, 10, v24
	v_and_or_b32 v4, v4, s62, v34
	v_lshl_or_b32 v4, v13, 7, v4
	v_cvt_f32_f16_e32 v13, v4
.LBB263_49:                             ;   in Loop: Header=BB263_14 Depth=1
	s_or_b64 exec, exec, s[48:49]
	ds_read_b32 v4, v17
	v_fma_mixlo_f16 v28, v27, v28, 0
	v_fma_mixlo_f16 v29, v27, v29, 0
	v_and_b32_e32 v28, 0xffff, v28
	v_and_b32_e32 v29, 0xffff, v29
	s_waitcnt lgkmcnt(0)
	v_lshrrev_b32_e32 v34, 16, v4
	v_and_b32_e32 v4, 0xffff, v4
	;;#ASMSTART
	v_cvt_f32_f16 v4, v4;
	;;#ASMEND
	;;#ASMSTART
	v_cvt_f32_f16 v34, v34;
	;;#ASMEND
	;;#ASMSTART
	v_cvt_f32_f16 v28, v28;
	;;#ASMEND
	;;#ASMSTART
	v_cvt_f32_f16 v29, v29;
	;;#ASMEND
	ds_read_b32 v35, v17 offset:4
	v_fma_mixlo_f16 v30, v27, v30, 0
	v_fma_mixlo_f16 v31, v27, v31, 0
	v_and_b32_e32 v30, 0xffff, v30
	v_and_b32_e32 v31, 0xffff, v31
	s_waitcnt lgkmcnt(0)
	v_lshrrev_b32_e32 v36, 16, v35
	v_and_b32_e32 v35, 0xffff, v35
	;;#ASMSTART
	v_cvt_f32_f16 v35, v35;
	;;#ASMEND
	;;#ASMSTART
	v_cvt_f32_f16 v36, v36;
	;;#ASMEND
	;; [unrolled: 3-line block ×4, first 2 shown]
	ds_read_b32 v37, v17 offset:8
	v_fma_mixlo_f16 v32, v27, v32, 0
	v_fma_mixlo_f16 v33, v27, v33, 0
	;; [unrolled: 1-line block ×4, first 2 shown]
	v_mul_f32_e32 v27, v35, v30
	v_fmac_f32_e32 v27, v4, v28
	s_waitcnt lgkmcnt(0)
	v_lshrrev_b32_e32 v4, 16, v37
	v_and_b32_e32 v28, 0xffff, v37
	v_and_b32_e32 v30, 0xffff, v32
	;; [unrolled: 1-line block ×3, first 2 shown]
	;;#ASMSTART
	v_cvt_f32_f16 v28, v28;
	;;#ASMEND
	;;#ASMSTART
	v_cvt_f32_f16 v4, v4;
	;;#ASMEND
	;; [unrolled: 3-line block ×4, first 2 shown]
	ds_read_b32 v33, v17 offset:12
	v_mul_f32_e32 v31, v36, v31
	v_fmac_f32_e32 v31, v34, v29
	v_fmac_f32_e32 v27, v28, v30
	;; [unrolled: 1-line block ×3, first 2 shown]
	s_waitcnt lgkmcnt(0)
	v_lshrrev_b32_e32 v4, 16, v33
	v_and_b32_e32 v28, 0xffff, v33
	v_and_b32_e32 v12, 0xffff, v12
	;;#ASMSTART
	v_cvt_f32_f16 v28, v28;
	;;#ASMEND
	;;#ASMSTART
	v_cvt_f32_f16 v4, v4;
	;;#ASMEND
	;; [unrolled: 3-line block ×3, first 2 shown]
	v_and_b32_e32 v13, 0xffff, v13
	;;#ASMSTART
	v_cvt_f32_f16 v13, v13;
	;;#ASMEND
	v_fmac_f32_e32 v27, v28, v12
	v_and_b32_e32 v12, 64, v25
	v_fmac_f32_e32 v31, v4, v13
	v_add_u32_e32 v12, 64, v12
	v_xor_b32_e32 v13, 2, v25
	v_cmp_lt_i32_e64 s[0:1], v13, v12
	v_add_f32_e32 v4, v27, v31
	s_nop 0
	v_cndmask_b32_e64 v13, v25, v13, s[0:1]
	v_lshlrev_b32_e32 v13, 2, v13
	ds_bpermute_b32 v13, v13, v4
	s_waitcnt lgkmcnt(0)
	v_add_f32_e32 v4, v4, v13
	v_xor_b32_e32 v13, 1, v25
	v_cmp_lt_i32_e64 s[0:1], v13, v12
	s_nop 1
	v_cndmask_b32_e64 v12, v25, v13, s[0:1]
	v_lshlrev_b32_e32 v12, 2, v12
	ds_bpermute_b32 v12, v12, v4
	s_and_saveexec_b64 s[46:47], vcc
	s_cbranch_execz .LBB263_12
; %bb.50:                               ;   in Loop: Header=BB263_14 Depth=1
	v_add_u32_e32 v13, v22, v20
	v_cvt_f32_i32_e32 v13, v13
	s_waitcnt lgkmcnt(0)
	v_add_f32_e32 v4, v4, v12
	v_add_u32_e32 v27, v16, v20
	v_cmp_gt_i32_e64 s[0:1], s33, v27
	v_mul_f32_e32 v12, s3, v13
	v_cndmask_b32_e64 v12, 0, v12, s[6:7]
	v_fmac_f32_e32 v12, s43, v4
	v_cndmask_b32_e64 v4, 0, v12, s[0:1]
	ds_write_b32 v21, v4
	v_max_f32_e32 v4, v18, v18
	v_max_f32_e32 v4, v4, v12
	v_cndmask_b32_e64 v18, v18, v4, s[0:1]
	s_branch .LBB263_12
.LBB263_51:                             ;   in Loop: Header=BB263_14 Depth=1
	v_cmp_eq_u16_sdwa s[64:65], v4, s61 src0_sel:BYTE_0 src1_sel:DWORD
	s_mov_b64 s[0:1], -1
                                        ; implicit-def: $sgpr50
	s_and_saveexec_b64 s[48:49], s[64:65]
; %bb.52:                               ;   in Loop: Header=BB263_14 Depth=1
	s_mov_b32 s50, 0x7fc02000
	s_xor_b64 s[0:1], exec, -1
; %bb.53:                               ;   in Loop: Header=BB263_14 Depth=1
	s_or_b64 exec, exec, s[48:49]
	s_and_b64 s[0:1], s[0:1], exec
	s_or_saveexec_b64 s[46:47], s[46:47]
	v_mov_b32_e32 v28, s50
	s_xor_b64 exec, exec, s[46:47]
	s_cbranch_execz .LBB263_19
.LBB263_54:                             ;   in Loop: Header=BB263_14 Depth=1
	v_cmp_ne_u16_sdwa s[48:49], v4, v5 src0_sel:BYTE_0 src1_sel:DWORD
	s_andn2_b64 s[0:1], s[0:1], exec
	s_and_b64 s[48:49], s[48:49], exec
	v_mov_b32_e32 v28, 0
	s_or_b64 s[0:1], s[0:1], s[48:49]
	s_or_b64 exec, exec, s[46:47]
	v_and_b32_e32 v4, 0xffff, v4
	s_and_saveexec_b64 s[46:47], s[0:1]
	s_cbranch_execnz .LBB263_20
	s_branch .LBB263_21
.LBB263_55:                             ;   in Loop: Header=BB263_14 Depth=1
	v_cmp_eq_u16_e64 s[0:1], s61, v4
	s_mov_b64 s[46:47], -1
                                        ; implicit-def: $sgpr63
	s_and_saveexec_b64 s[50:51], s[0:1]
; %bb.56:                               ;   in Loop: Header=BB263_14 Depth=1
	s_mov_b32 s63, 0x7fc02000
	s_xor_b64 s[46:47], exec, -1
; %bb.57:                               ;   in Loop: Header=BB263_14 Depth=1
	s_or_b64 exec, exec, s[50:51]
	s_and_b64 s[46:47], s[46:47], exec
	s_or_saveexec_b64 s[48:49], s[48:49]
	v_mov_b32_e32 v29, s63
	s_xor_b64 exec, exec, s[48:49]
	s_cbranch_execz .LBB263_23
.LBB263_58:                             ;   in Loop: Header=BB263_14 Depth=1
	v_cmp_ne_u16_e64 s[0:1], 0, v4
	s_andn2_b64 s[46:47], s[46:47], exec
	s_and_b64 s[0:1], s[0:1], exec
	v_mov_b32_e32 v29, 0
	s_or_b64 s[46:47], s[46:47], s[0:1]
	s_or_b64 exec, exec, s[48:49]
	s_and_saveexec_b64 s[48:49], s[46:47]
	s_cbranch_execnz .LBB263_24
	s_branch .LBB263_25
.LBB263_59:                             ;   in Loop: Header=BB263_14 Depth=1
	v_cmp_eq_u16_sdwa s[64:65], v4, s61 src0_sel:BYTE_0 src1_sel:DWORD
	s_mov_b64 s[0:1], -1
                                        ; implicit-def: $sgpr50
	s_and_saveexec_b64 s[48:49], s[64:65]
; %bb.60:                               ;   in Loop: Header=BB263_14 Depth=1
	s_mov_b32 s50, 0x7fc02000
	s_xor_b64 s[0:1], exec, -1
; %bb.61:                               ;   in Loop: Header=BB263_14 Depth=1
	s_or_b64 exec, exec, s[48:49]
	s_and_b64 s[0:1], s[0:1], exec
	s_or_saveexec_b64 s[46:47], s[46:47]
	v_mov_b32_e32 v30, s50
	s_xor_b64 exec, exec, s[46:47]
	s_cbranch_execz .LBB263_27
.LBB263_62:                             ;   in Loop: Header=BB263_14 Depth=1
	v_cmp_ne_u16_sdwa s[48:49], v4, v5 src0_sel:BYTE_0 src1_sel:DWORD
	s_andn2_b64 s[0:1], s[0:1], exec
	s_and_b64 s[48:49], s[48:49], exec
	v_mov_b32_e32 v30, 0
	s_or_b64 s[0:1], s[0:1], s[48:49]
	s_or_b64 exec, exec, s[46:47]
	v_and_b32_e32 v4, 0xffff, v4
	s_and_saveexec_b64 s[46:47], s[0:1]
	s_cbranch_execnz .LBB263_28
	s_branch .LBB263_29
.LBB263_63:                             ;   in Loop: Header=BB263_14 Depth=1
	v_cmp_eq_u16_e64 s[0:1], s61, v4
	s_mov_b64 s[46:47], -1
                                        ; implicit-def: $sgpr63
	s_and_saveexec_b64 s[50:51], s[0:1]
; %bb.64:                               ;   in Loop: Header=BB263_14 Depth=1
	s_mov_b32 s63, 0x7fc02000
	s_xor_b64 s[46:47], exec, -1
; %bb.65:                               ;   in Loop: Header=BB263_14 Depth=1
	s_or_b64 exec, exec, s[50:51]
	s_and_b64 s[46:47], s[46:47], exec
	s_or_saveexec_b64 s[48:49], s[48:49]
	v_mov_b32_e32 v31, s63
	s_xor_b64 exec, exec, s[48:49]
	s_cbranch_execz .LBB263_31
.LBB263_66:                             ;   in Loop: Header=BB263_14 Depth=1
	v_cmp_ne_u16_e64 s[0:1], 0, v4
	s_andn2_b64 s[46:47], s[46:47], exec
	s_and_b64 s[0:1], s[0:1], exec
	v_mov_b32_e32 v31, 0
	s_or_b64 s[46:47], s[46:47], s[0:1]
	s_or_b64 exec, exec, s[48:49]
	s_and_saveexec_b64 s[48:49], s[46:47]
	s_cbranch_execnz .LBB263_32
	s_branch .LBB263_33
.LBB263_67:                             ;   in Loop: Header=BB263_14 Depth=1
	v_cmp_eq_u16_sdwa s[64:65], v4, s61 src0_sel:BYTE_0 src1_sel:DWORD
	s_mov_b64 s[0:1], -1
                                        ; implicit-def: $sgpr50
	s_and_saveexec_b64 s[48:49], s[64:65]
; %bb.68:                               ;   in Loop: Header=BB263_14 Depth=1
	s_mov_b32 s50, 0x7fc02000
	s_xor_b64 s[0:1], exec, -1
; %bb.69:                               ;   in Loop: Header=BB263_14 Depth=1
	s_or_b64 exec, exec, s[48:49]
	s_and_b64 s[0:1], s[0:1], exec
	s_or_saveexec_b64 s[46:47], s[46:47]
	v_mov_b32_e32 v32, s50
	s_xor_b64 exec, exec, s[46:47]
	s_cbranch_execz .LBB263_35
.LBB263_70:                             ;   in Loop: Header=BB263_14 Depth=1
	v_cmp_ne_u16_sdwa s[48:49], v4, v5 src0_sel:BYTE_0 src1_sel:DWORD
	s_andn2_b64 s[0:1], s[0:1], exec
	s_and_b64 s[48:49], s[48:49], exec
	v_mov_b32_e32 v32, 0
	s_or_b64 s[0:1], s[0:1], s[48:49]
	s_or_b64 exec, exec, s[46:47]
	v_and_b32_e32 v4, 0xffff, v4
	s_and_saveexec_b64 s[46:47], s[0:1]
	s_cbranch_execnz .LBB263_36
	s_branch .LBB263_37
.LBB263_71:                             ;   in Loop: Header=BB263_14 Depth=1
	v_cmp_eq_u16_e64 s[0:1], s61, v4
	s_mov_b64 s[46:47], -1
                                        ; implicit-def: $sgpr63
	s_and_saveexec_b64 s[50:51], s[0:1]
; %bb.72:                               ;   in Loop: Header=BB263_14 Depth=1
	s_mov_b32 s63, 0x7fc02000
	s_xor_b64 s[46:47], exec, -1
; %bb.73:                               ;   in Loop: Header=BB263_14 Depth=1
	s_or_b64 exec, exec, s[50:51]
	s_and_b64 s[46:47], s[46:47], exec
	s_or_saveexec_b64 s[48:49], s[48:49]
	v_mov_b32_e32 v33, s63
	s_xor_b64 exec, exec, s[48:49]
	s_cbranch_execz .LBB263_39
.LBB263_74:                             ;   in Loop: Header=BB263_14 Depth=1
	v_cmp_ne_u16_e64 s[0:1], 0, v4
	s_andn2_b64 s[46:47], s[46:47], exec
	s_and_b64 s[0:1], s[0:1], exec
	v_mov_b32_e32 v33, 0
	s_or_b64 s[46:47], s[46:47], s[0:1]
	s_or_b64 exec, exec, s[48:49]
	s_and_saveexec_b64 s[48:49], s[46:47]
	s_cbranch_execnz .LBB263_40
	s_branch .LBB263_41
.LBB263_75:                             ;   in Loop: Header=BB263_14 Depth=1
	v_cmp_eq_u16_sdwa s[64:65], v4, s61 src0_sel:BYTE_0 src1_sel:DWORD
	s_mov_b64 s[0:1], -1
                                        ; implicit-def: $sgpr50
	s_and_saveexec_b64 s[48:49], s[64:65]
; %bb.76:                               ;   in Loop: Header=BB263_14 Depth=1
	s_mov_b32 s50, 0x7fc02000
	s_xor_b64 s[0:1], exec, -1
; %bb.77:                               ;   in Loop: Header=BB263_14 Depth=1
	s_or_b64 exec, exec, s[48:49]
	s_and_b64 s[0:1], s[0:1], exec
	s_or_saveexec_b64 s[46:47], s[46:47]
	v_mov_b32_e32 v12, s50
	s_xor_b64 exec, exec, s[46:47]
	s_cbranch_execz .LBB263_43
.LBB263_78:                             ;   in Loop: Header=BB263_14 Depth=1
	v_cmp_ne_u16_sdwa s[48:49], v4, v5 src0_sel:BYTE_0 src1_sel:DWORD
	s_andn2_b64 s[0:1], s[0:1], exec
	s_and_b64 s[48:49], s[48:49], exec
	v_mov_b32_e32 v12, 0
	s_or_b64 s[0:1], s[0:1], s[48:49]
	s_or_b64 exec, exec, s[46:47]
	v_and_b32_e32 v4, 0xffff, v4
	s_and_saveexec_b64 s[46:47], s[0:1]
	s_cbranch_execnz .LBB263_44
	s_branch .LBB263_45
.LBB263_79:                             ;   in Loop: Header=BB263_14 Depth=1
	v_cmp_eq_u16_e64 s[0:1], s61, v4
	s_mov_b64 s[46:47], -1
                                        ; implicit-def: $sgpr63
	s_and_saveexec_b64 s[50:51], s[0:1]
; %bb.80:                               ;   in Loop: Header=BB263_14 Depth=1
	s_mov_b32 s63, 0x7fc02000
	s_xor_b64 s[46:47], exec, -1
; %bb.81:                               ;   in Loop: Header=BB263_14 Depth=1
	s_or_b64 exec, exec, s[50:51]
	s_and_b64 s[46:47], s[46:47], exec
	s_or_saveexec_b64 s[48:49], s[48:49]
	v_mov_b32_e32 v13, s63
	s_xor_b64 exec, exec, s[48:49]
	s_cbranch_execz .LBB263_47
.LBB263_82:                             ;   in Loop: Header=BB263_14 Depth=1
	v_cmp_ne_u16_e64 s[0:1], 0, v4
	s_andn2_b64 s[46:47], s[46:47], exec
	s_and_b64 s[0:1], s[0:1], exec
	v_mov_b32_e32 v13, 0
	s_or_b64 s[46:47], s[46:47], s[0:1]
	s_or_b64 exec, exec, s[48:49]
	s_and_saveexec_b64 s[48:49], s[46:47]
	s_cbranch_execnz .LBB263_48
	s_branch .LBB263_49
.LBB263_83:
	s_or_b64 exec, exec, s[44:45]
.LBB263_84:
	s_or_b64 exec, exec, s[18:19]
	v_mbcnt_hi_u32_b32 v4, -1, v15
	v_and_b32_e32 v5, 64, v4
	v_add_u32_e32 v5, 64, v5
	v_xor_b32_e32 v6, 32, v4
	v_cmp_lt_i32_e32 vcc, v6, v5
	v_xor_b32_e32 v9, 16, v4
	v_max_f32_e32 v8, v18, v18
	v_cndmask_b32_e32 v6, v4, v6, vcc
	v_lshlrev_b32_e32 v7, 2, v6
	ds_bpermute_b32 v6, v7, v18
	v_cmp_lt_i32_e32 vcc, v9, v5
	v_xor_b32_e32 v10, 8, v4
	v_and_b32_e32 v11, 63, v0
	s_waitcnt lgkmcnt(0)
	v_max_f32_e32 v6, v6, v6
	v_max_f32_e32 v6, v8, v6
	v_cndmask_b32_e32 v8, v4, v9, vcc
	v_lshlrev_b32_e32 v8, 2, v8
	ds_bpermute_b32 v9, v8, v6
	v_cmp_lt_i32_e32 vcc, v10, v5
	s_waitcnt lgkmcnt(0)
	v_max_f32_e32 v9, v9, v9
	v_max_f32_e32 v6, v6, v9
	v_cndmask_b32_e32 v9, v4, v10, vcc
	v_lshlrev_b32_e32 v12, 2, v9
	ds_bpermute_b32 v9, v12, v6
	v_xor_b32_e32 v10, 4, v4
	v_cmp_lt_i32_e32 vcc, v10, v5
	s_waitcnt lgkmcnt(0)
	v_max_f32_e32 v9, v9, v9
	v_max_f32_e32 v6, v6, v9
	v_cndmask_b32_e32 v9, v4, v10, vcc
	v_lshlrev_b32_e32 v13, 2, v9
	ds_bpermute_b32 v10, v13, v6
	v_cmp_eq_u32_e32 vcc, 0, v11
	v_lshlrev_b32_e32 v9, 2, v14
	s_and_saveexec_b64 s[0:1], vcc
	s_cbranch_execz .LBB263_86
; %bb.85:
	s_waitcnt lgkmcnt(0)
	v_max_f32_e32 v10, v10, v10
	v_max_f32_e32 v6, v6, v6
	v_max_f32_e32 v6, v6, v10
	ds_write_b32 v9, v6 offset:64
.LBB263_86:
	s_or_b64 exec, exec, s[0:1]
	v_cmp_gt_u32_e64 s[0:1], 2, v11
	v_mov_b32_e32 v6, 0xff7fffff
	s_waitcnt lgkmcnt(0)
	v_lshlrev_b32_e32 v10, 2, v11
	s_barrier
	s_and_saveexec_b64 s[6:7], s[0:1]
	s_cbranch_execz .LBB263_88
; %bb.87:
	ds_read_b32 v6, v10 offset:64
.LBB263_88:
	s_or_b64 exec, exec, s[6:7]
	v_xor_b32_e32 v15, 1, v4
	v_cmp_lt_i32_e64 s[6:7], v15, v5
	s_sub_i32 s3, s52, s16
	s_lshl_b32 s3, s3, 4
	v_cndmask_b32_e64 v15, v4, v15, s[6:7]
	v_lshlrev_b32_e32 v18, 2, v15
	s_waitcnt lgkmcnt(0)
	ds_bpermute_b32 v15, v18, v6
	v_max_f32_e32 v6, v6, v6
	s_add_i32 s3, s3, s56
	s_min_i32 s43, s3, s33
	s_sub_i32 s3, s43, s56
	s_waitcnt lgkmcnt(0)
	v_max_f32_e32 v15, v15, v15
	v_max_f32_e32 v6, v6, v15
	v_lshlrev_b32_e32 v15, 2, v4
	v_and_b32_e32 v15, 0x100, v15
	ds_bpermute_b32 v6, v15, v6
	v_cmp_gt_i32_e64 s[6:7], s3, v0
	v_mov_b32_e32 v16, 0
	s_and_saveexec_b64 s[12:13], s[6:7]
	s_cbranch_execz .LBB263_92
; %bb.89:
	v_mov_b32_e32 v16, 0x50
	v_lshl_add_u32 v17, v0, 2, v16
	s_mov_b64 s[18:19], 0
	v_mov_b32_e32 v16, 0
	v_mov_b32_e32 v19, v0
.LBB263_90:                             ; =>This Inner Loop Header: Depth=1
	ds_read_b32 v20, v17
	v_add_u32_e32 v19, 0x80, v19
	v_cmp_le_i32_e64 s[10:11], s3, v19
	s_or_b64 s[18:19], s[10:11], s[18:19]
	s_waitcnt lgkmcnt(0)
	v_sub_f32_e32 v20, v20, v6
	v_mul_f32_e32 v20, 0x3fb8aa3b, v20
	v_exp_f32_e32 v20, v20
	ds_write_b32 v17, v20
	v_add_f32_e32 v16, v16, v20
	v_add_u32_e32 v17, 0x200, v17
	s_andn2_b64 exec, exec, s[18:19]
	s_cbranch_execnz .LBB263_90
; %bb.91:
	s_or_b64 exec, exec, s[18:19]
.LBB263_92:
	s_or_b64 exec, exec, s[12:13]
	ds_bpermute_b32 v7, v7, v16
	s_waitcnt lgkmcnt(0)
	v_add_f32_e32 v7, v16, v7
	ds_bpermute_b32 v8, v8, v7
	s_waitcnt lgkmcnt(0)
	v_add_f32_e32 v7, v7, v8
	ds_bpermute_b32 v8, v12, v7
	v_xor_b32_e32 v12, 2, v4
	v_cmp_lt_i32_e64 s[10:11], v12, v5
	s_waitcnt lgkmcnt(0)
	v_add_f32_e32 v7, v7, v8
	ds_bpermute_b32 v8, v13, v7
	v_cndmask_b32_e64 v4, v4, v12, s[10:11]
	v_lshlrev_b32_e32 v4, 2, v4
	s_waitcnt lgkmcnt(0)
	v_add_f32_e32 v5, v7, v8
	ds_bpermute_b32 v4, v4, v5
	s_waitcnt lgkmcnt(0)
	v_add_f32_e32 v4, v5, v4
	ds_bpermute_b32 v5, v18, v4
	s_waitcnt lgkmcnt(0)
	v_add_f32_e32 v4, v4, v5
	s_and_saveexec_b64 s[10:11], vcc
	s_cbranch_execz .LBB263_94
; %bb.93:
	ds_write_b32 v9, v4 offset:72
.LBB263_94:
	s_or_b64 exec, exec, s[10:11]
	s_waitcnt lgkmcnt(0)
	s_barrier
	s_and_saveexec_b64 s[10:11], s[0:1]
	s_cbranch_execz .LBB263_96
; %bb.95:
	ds_read_b32 v4, v10 offset:72
.LBB263_96:
	s_or_b64 exec, exec, s[10:11]
	s_waitcnt lgkmcnt(0)
	ds_bpermute_b32 v5, v18, v4
	s_waitcnt lgkmcnt(0)
	v_add_f32_e32 v4, v4, v5
	ds_bpermute_b32 v7, v15, v4
	s_and_saveexec_b64 s[0:1], s[6:7]
	s_cbranch_execz .LBB263_109
; %bb.97:
	s_waitcnt lgkmcnt(0)
	v_add_f32_e32 v4, 0x358637bd, v7
	v_div_scale_f32 v5, s[6:7], v4, v4, 1.0
	v_rcp_f32_e32 v8, v5
	v_div_scale_f32 v9, vcc, 1.0, v4, 1.0
	s_movk_i32 s6, 0x7f
	v_fma_f32 v10, -v5, v8, 1.0
	v_fmac_f32_e32 v8, v10, v8
	v_mul_f32_e32 v10, v9, v8
	v_fma_f32 v12, -v5, v10, v9
	v_fmac_f32_e32 v10, v12, v8
	v_fma_f32 v5, -v5, v10, v9
	v_div_fmas_f32 v5, v5, v8, v10
	v_div_fixup_f32 v4, v5, v4, 1.0
	v_xad_u32 v5, v0, -1, s43
	v_subrev_u32_e32 v8, s56, v5
	v_cmp_lt_u32_e32 vcc, s6, v8
	s_mov_b64 s[10:11], -1
	v_mov_b32_e32 v5, v0
	s_and_saveexec_b64 s[6:7], vcc
	s_cbranch_execz .LBB263_106
; %bb.98:
	v_lshrrev_b32_e32 v8, 7, v8
	v_add_u32_e32 v10, -1, v8
	v_lshrrev_b32_e32 v9, 1, v10
	v_mov_b32_e32 v5, v4
	v_add_u32_e32 v9, 1, v9
	v_cmp_lt_u32_e32 vcc, 13, v10
	v_mov_b32_e32 v13, 0
	s_and_saveexec_b64 s[10:11], vcc
	s_cbranch_execz .LBB263_102
; %bb.99:
	v_mov_b32_e32 v12, 0x50
	v_and_b32_e32 v10, -8, v9
	v_lshl_add_u32 v12, v0, 2, v12
	s_mov_b32 s18, 0
	s_mov_b64 s[12:13], 0
.LBB263_100:                            ; =>This Inner Loop Header: Depth=1
	ds_read2st64_b32 v[16:17], v12 offset1:2
	ds_read2st64_b32 v[20:21], v12 offset0:4 offset1:6
	ds_read2st64_b32 v[22:23], v12 offset0:8 offset1:10
	;; [unrolled: 1-line block ×3, first 2 shown]
	v_add_u32_e32 v10, -8, v10
	s_waitcnt lgkmcnt(3)
	v_pk_mul_f32 v[16:17], v[4:5], v[16:17]
	s_waitcnt lgkmcnt(2)
	v_pk_mul_f32 v[20:21], v[4:5], v[20:21]
	ds_write2st64_b32 v12, v16, v17 offset1:2
	ds_write2st64_b32 v12, v20, v21 offset0:4 offset1:6
	ds_read2st64_b32 v[20:21], v12 offset0:16 offset1:18
	s_waitcnt lgkmcnt(4)
	v_pk_mul_f32 v[16:17], v[4:5], v[22:23]
	ds_write2st64_b32 v12, v16, v17 offset0:8 offset1:10
	s_waitcnt lgkmcnt(4)
	v_pk_mul_f32 v[16:17], v[4:5], v[24:25]
	ds_write2st64_b32 v12, v16, v17 offset0:12 offset1:14
	ds_read2st64_b32 v[16:17], v12 offset0:20 offset1:22
	s_waitcnt lgkmcnt(3)
	v_pk_mul_f32 v[20:21], v[4:5], v[20:21]
	ds_read2st64_b32 v[22:23], v12 offset0:24 offset1:26
	ds_write2st64_b32 v12, v20, v21 offset0:16 offset1:18
	ds_read2st64_b32 v[20:21], v12 offset0:28 offset1:30
	s_waitcnt lgkmcnt(3)
	v_pk_mul_f32 v[16:17], v[4:5], v[16:17]
	ds_write2st64_b32 v12, v16, v17 offset0:20 offset1:22
	s_waitcnt lgkmcnt(3)
	v_pk_mul_f32 v[16:17], v[4:5], v[22:23]
	ds_write2st64_b32 v12, v16, v17 offset0:24 offset1:26
	s_waitcnt lgkmcnt(2)
	v_pk_mul_f32 v[16:17], v[4:5], v[20:21]
	s_add_i32 s18, s18, 16
	v_cmp_eq_u32_e32 vcc, 0, v10
	ds_write2st64_b32 v12, v16, v17 offset0:28 offset1:30
	v_add_u32_e32 v12, 0x2000, v12
	s_or_b64 s[12:13], vcc, s[12:13]
	v_mov_b32_e32 v13, s18
	s_andn2_b64 exec, exec, s[12:13]
	s_cbranch_execnz .LBB263_100
; %bb.101:
	s_or_b64 exec, exec, s[12:13]
.LBB263_102:
	s_or_b64 exec, exec, s[10:11]
	v_and_b32_e32 v9, 7, v9
	v_cmp_ne_u32_e32 vcc, 0, v9
	s_and_saveexec_b64 s[10:11], vcc
	s_cbranch_execz .LBB263_105
; %bb.103:
	v_lshlrev_b32_e32 v10, 9, v13
	v_lshlrev_b32_e32 v12, 2, v0
	s_movk_i32 s12, 0x50
	v_add3_u32 v10, v10, v12, s12
	s_mov_b64 s[12:13], 0
.LBB263_104:                            ; =>This Inner Loop Header: Depth=1
	ds_read2st64_b32 v[12:13], v10 offset1:2
	v_add_u32_e32 v9, -1, v9
	v_cmp_eq_u32_e32 vcc, 0, v9
	s_or_b64 s[12:13], vcc, s[12:13]
	s_waitcnt lgkmcnt(0)
	v_pk_mul_f32 v[12:13], v[4:5], v[12:13]
	ds_write2st64_b32 v10, v12, v13 offset1:2
	v_add_u32_e32 v10, 0x400, v10
	s_andn2_b64 exec, exec, s[12:13]
	s_cbranch_execnz .LBB263_104
.LBB263_105:
	s_or_b64 exec, exec, s[10:11]
	v_add_u32_e32 v8, 1, v8
	v_and_b32_e32 v9, 0x3fffffe, v8
	v_cmp_ne_u32_e32 vcc, v8, v9
	v_lshl_add_u32 v5, v9, 7, v0
	s_orn2_b64 s[10:11], vcc, exec
.LBB263_106:
	s_or_b64 exec, exec, s[6:7]
	s_and_b64 exec, exec, s[10:11]
	s_cbranch_execz .LBB263_109
; %bb.107:
	v_mov_b32_e32 v8, 0x50
	v_lshl_add_u32 v8, v5, 2, v8
	s_mov_b64 s[6:7], 0
.LBB263_108:                            ; =>This Inner Loop Header: Depth=1
	ds_read_b32 v9, v8
	v_add_u32_e32 v5, 0x80, v5
	v_cmp_le_i32_e32 vcc, s3, v5
	s_or_b64 s[6:7], vcc, s[6:7]
	s_waitcnt lgkmcnt(0)
	v_mul_f32_e32 v9, v4, v9
	ds_write_b32 v8, v9
	v_add_u32_e32 v8, 0x200, v8
	s_andn2_b64 exec, exec, s[6:7]
	s_cbranch_execnz .LBB263_108
.LBB263_109:
	s_or_b64 exec, exec, s[0:1]
	s_mul_i32 s0, s20, s34
	v_cmp_eq_u32_e32 vcc, 0, v0
	s_mul_i32 s6, s0, s5
	s_waitcnt lgkmcnt(0)
	s_barrier
	s_and_saveexec_b64 s[0:1], vcc
	s_cbranch_execz .LBB263_111
; %bb.110:
	s_ashr_i32 s7, s6, 31
	s_lshl_b64 s[10:11], s[6:7], 2
	s_add_u32 s5, s26, s10
	s_mul_i32 s2, s20, s2
	s_addc_u32 s7, s27, s11
	s_ashr_i32 s3, s2, 31
	s_lshl_b64 s[2:3], s[2:3], 2
	s_add_u32 s12, s5, s2
	s_addc_u32 s7, s7, s3
	s_ashr_i32 s5, s4, 31
	s_lshl_b64 s[4:5], s[4:5], 2
	s_add_u32 s12, s12, s4
	s_addc_u32 s13, s7, s5
	s_add_u32 s7, s24, s10
	s_addc_u32 s10, s25, s11
	;; [unrolled: 2-line block ×3, first 2 shown]
	s_add_u32 s2, s2, s4
	v_mov_b32_e32 v4, 0
	s_addc_u32 s3, s3, s5
	global_store_dword v4, v6, s[12:13]
	global_store_dword v4, v7, s[2:3]
.LBB263_111:
	s_or_b64 exec, exec, s[0:1]
	v_mov_b32_e32 v21, 0
	s_and_saveexec_b64 s[2:3], s[8:9]
	s_cbranch_execz .LBB263_183
; %bb.112:
	s_sub_i32 s7, s54, s21
	s_ashr_i32 s1, s55, 31
	s_add_u32 s0, s40, s55
	s_addc_u32 s1, s41, s1
	s_abs_i32 s18, s22
	v_cvt_f32_u32_e32 v4, s18
	v_lshlrev_b32_e32 v5, 3, v0
	v_and_b32_e32 v19, 8, v5
	s_add_i32 s53, s53, -1
	v_rcp_iflag_f32_e32 v8, v4
	v_and_b32_e32 v4, 0x1f8, v5
	v_mov_b32_e32 v5, 0
	v_lshl_add_u64 v[6:7], s[0:1], 0, v[4:5]
	v_mul_f32_e32 v4, 0x4f7ffffe, v8
	v_cvt_u32_f32_e32 v4, v4
	s_sub_i32 s0, 0, s18
	s_mov_b32 s19, s33
	s_mov_b64 s[4:5], 0
	v_mul_lo_u32 v8, s0, v4
	s_lshl_b64 s[0:1], s[38:39], 2
	s_add_u32 s0, s36, s0
	v_mul_hi_u32 v8, v4, v8
	s_addc_u32 s1, s37, s1
	v_add_u32_e32 v20, v4, v8
	v_lshl_add_u64 v[8:9], v[2:3], 2, s[0:1]
	v_and_b32_e32 v3, 1, v0
	v_lshlrev_b32_e32 v3, 5, v3
	v_lshl_or_b32 v3, v14, 6, v3
	v_add_u32_e32 v3, 0x50, v3
	s_movk_i32 s21, 0x7f
	s_movk_i32 s22, 0x80
	s_mov_b32 s24, 0x8000
	s_movk_i32 s25, 0x380
	s_mov_b32 s26, 0x3020706
	s_mov_b32 s27, 0x1000504
	;; [unrolled: 1-line block ×3, first 2 shown]
	v_mov_b32_e32 v22, 0x1c00
	v_mov_b32_e32 v21, 0
	s_branch .LBB263_115
.LBB263_113:                            ;   in Loop: Header=BB263_115 Depth=1
	s_or_b64 exec, exec, s[8:9]
	v_and_b32_e32 v14, 0xffff, v23
	v_and_b32_e32 v15, 0xffff, v25
	v_lshl_or_b32 v14, v24, 16, v14
	v_lshl_or_b32 v15, v26, 16, v15
	v_and_b32_e32 v16, 0xffff, v27
	v_and_b32_e32 v17, 0xffff, v29
	;;#ASMSTART
	v_pk_mul_f16 v13, v14, v13;

	;;#ASMEND
	;;#ASMSTART
	v_pk_mul_f16 v4, v15, v4;

	;;#ASMEND
	v_lshl_or_b32 v16, v28, 16, v16
	v_lshl_or_b32 v17, v30, 16, v17
	;;#ASMSTART
	v_pk_mul_f16 v12, v16, v12;

	;;#ASMEND
	;;#ASMSTART
	v_pk_mul_f16 v10, v17, v10;

	;;#ASMEND
	;;#ASMSTART
	v_pk_add_f16 v4, v13, v4;

	;;#ASMEND
	s_nop 0
	;;#ASMSTART
	v_pk_add_f16 v4, v4, v12;

	;;#ASMEND
	s_nop 0
	;; [unrolled: 5-line block ×3, first 2 shown]
	v_lshrrev_b32_e32 v10, 16, v4
	v_and_b32_e32 v4, 0xffff, v4
	;;#ASMSTART
	v_cvt_f32_f16 v4, v4;
	;;#ASMEND
	;;#ASMSTART
	v_cvt_f32_f16 v10, v10;
	;;#ASMEND
	s_nop 0
	v_add_f32_e32 v4, v4, v10
	v_add_f32_e32 v21, v21, v4
.LBB263_114:                            ;   in Loop: Header=BB263_115 Depth=1
	s_or_b64 exec, exec, s[0:1]
	v_add_u32_e32 v2, 2, v2
	v_cmp_le_i32_e32 vcc, s52, v2
	v_lshl_add_u64 v[8:9], v[8:9], 0, 8
	v_add_u32_e32 v1, 32, v1
	s_or_b64 s[4:5], vcc, s[4:5]
	v_add_u32_e32 v3, 0x80, v3
	s_andn2_b64 exec, exec, s[4:5]
	s_cbranch_execz .LBB263_182
.LBB263_115:                            ; =>This Inner Loop Header: Depth=1
	v_sub_u32_e32 v10, 0, v1
	v_max_i32_e32 v10, v1, v10
	v_mul_hi_u32 v12, v10, s35
	v_mul_lo_u32 v13, v12, s29
	v_sub_u32_e32 v10, v10, v13
	v_add_u32_e32 v13, 1, v12
	v_cmp_le_u32_e32 vcc, s29, v10
	v_ashrrev_i32_e32 v4, 31, v1
	v_xor_b32_e32 v4, s23, v4
	v_cndmask_b32_e32 v12, v12, v13, vcc
	v_subrev_u32_e32 v13, s29, v10
	v_cndmask_b32_e32 v10, v10, v13, vcc
	v_add_u32_e32 v13, 1, v12
	v_cmp_le_u32_e32 vcc, s29, v10
	s_nop 1
	v_cndmask_b32_e32 v10, v12, v13, vcc
	v_xor_b32_e32 v10, v10, v4
	v_sub_u32_e32 v4, v10, v4
	v_add_u32_e32 v10, s42, v4
	v_sub_u32_e32 v13, 0, v10
	v_ashrrev_i32_e32 v12, 31, v10
	v_max_i32_e32 v10, v10, v13
	v_mul_hi_u32 v13, v10, v20
	v_mul_lo_u32 v13, v13, s18
	v_sub_u32_e32 v10, v10, v13
	v_subrev_u32_e32 v13, s18, v10
	v_cmp_le_u32_e32 vcc, s18, v10
	v_cmp_lt_i32_e64 s[0:1], s7, v4
	s_nop 0
	v_cndmask_b32_e32 v10, v10, v13, vcc
	v_subrev_u32_e32 v13, s18, v10
	v_cmp_le_u32_e32 vcc, s18, v10
	s_nop 1
	v_cndmask_b32_e32 v10, v10, v13, vcc
	v_xor_b32_e32 v10, v10, v12
	v_sub_u32_e32 v10, v10, v12
	v_cmp_eq_u32_e32 vcc, 0, v10
	s_or_b64 s[8:9], vcc, s[0:1]
	s_and_saveexec_b64 s[0:1], s[8:9]
	s_cbranch_execz .LBB263_114
; %bb.116:                              ;   in Loop: Header=BB263_115 Depth=1
	ds_read2_b64 v[12:15], v3 offset1:1
	ds_read2_b64 v[28:31], v3 offset0:2 offset1:3
                                        ; implicit-def: $sgpr36
	s_waitcnt lgkmcnt(1)
	;;#ASMSTART
	v_cvt_f16_f32 v23, v12;

	;;#ASMEND
	;;#ASMSTART
	v_cvt_f16_f32 v24, v13;

	;;#ASMEND
	;; [unrolled: 4-line block ×4, first 2 shown]
	s_waitcnt lgkmcnt(0)
	;;#ASMSTART
	v_cvt_f16_f32 v27, v28;

	;;#ASMEND
	;;#ASMSTART
	v_cvt_f16_f32 v28, v29;

	;;#ASMEND
	;; [unrolled: 4-line block ×4, first 2 shown]
	global_load_dword v4, v[8:9], off
	s_waitcnt vmcnt(0)
	v_mad_i64_i32 v[14:15], s[8:9], v4, s17, v[6:7]
	global_load_dwordx2 v[12:13], v[14:15], off
	global_load_dword v10, v5, s[14:15]
	s_mov_b64 s[8:9], 0
	s_waitcnt vmcnt(1)
	v_cmp_gt_i16_sdwa s[10:11], v12, s21 src0_sel:BYTE_0 src1_sel:DWORD
	s_and_saveexec_b64 s[12:13], s[10:11]
	s_xor_b64 s[10:11], exec, s[12:13]
	s_cbranch_execnz .LBB263_150
; %bb.117:                              ;   in Loop: Header=BB263_115 Depth=1
	s_or_saveexec_b64 s[10:11], s[10:11]
	v_mov_b32_e32 v14, s36
	s_xor_b64 exec, exec, s[10:11]
	s_cbranch_execnz .LBB263_153
.LBB263_118:                            ;   in Loop: Header=BB263_115 Depth=1
	s_or_b64 exec, exec, s[10:11]
	s_and_saveexec_b64 s[10:11], s[8:9]
	s_cbranch_execz .LBB263_120
.LBB263_119:                            ;   in Loop: Header=BB263_115 Depth=1
	v_and_b32_e32 v4, 7, v12
	v_ffbh_u32_e32 v4, v4
	v_bfe_u32 v14, v12, 3, 4
	v_min_u32_e32 v4, 32, v4
	v_subrev_u32_e32 v15, 28, v4
	v_sub_u32_e32 v4, 29, v4
	v_cmp_eq_u32_e32 vcc, 0, v14
	s_nop 1
	v_cndmask_b32_e32 v4, v14, v4, vcc
	v_cndmask_b32_e32 v14, 0, v15, vcc
	v_lshlrev_b64 v[14:15], v14, v[12:13]
	v_lshlrev_b32_e32 v15, 8, v12
	v_lshl_add_u32 v4, v4, 10, v22
	v_lshlrev_b32_e32 v14, 7, v14
	v_and_or_b32 v4, v15, s24, v4
	v_and_or_b32 v4, v14, s25, v4
	v_cvt_f32_f16_e32 v14, v4
.LBB263_120:                            ;   in Loop: Header=BB263_115 Depth=1
	s_or_b64 exec, exec, s[10:11]
	v_lshrrev_b16_e32 v4, 8, v12
	v_cmp_lt_i16_e32 vcc, s21, v4
	s_mov_b64 s[8:9], 0
                                        ; implicit-def: $sgpr36
	s_and_saveexec_b64 s[10:11], vcc
	s_xor_b64 s[10:11], exec, s[10:11]
	s_cbranch_execnz .LBB263_154
; %bb.121:                              ;   in Loop: Header=BB263_115 Depth=1
	s_or_saveexec_b64 s[10:11], s[10:11]
	v_mov_b32_e32 v16, s36
	s_xor_b64 exec, exec, s[10:11]
	s_cbranch_execnz .LBB263_157
.LBB263_122:                            ;   in Loop: Header=BB263_115 Depth=1
	s_or_b64 exec, exec, s[10:11]
	s_and_saveexec_b64 s[10:11], s[8:9]
	s_cbranch_execz .LBB263_124
.LBB263_123:                            ;   in Loop: Header=BB263_115 Depth=1
	v_and_b32_e32 v15, 7, v4
	v_ffbh_u32_e32 v16, v15
	v_min_u32_e32 v32, 32, v16
	v_subrev_u32_e32 v16, 28, v32
	v_bfe_u32 v31, v4, 3, 4
	v_lshlrev_b64 v[16:17], v16, v[4:5]
	v_sub_u32_e32 v17, 29, v32
	v_cmp_eq_u32_e32 vcc, 0, v31
	v_and_b32_e32 v16, 7, v16
	v_lshlrev_b32_e32 v4, 8, v4
	v_cndmask_b32_e32 v17, v31, v17, vcc
	v_cndmask_b32_e32 v15, v15, v16, vcc
	v_lshl_add_u32 v16, v17, 10, v22
	v_and_or_b32 v4, v4, s24, v16
	v_lshl_or_b32 v4, v15, 7, v4
	v_cvt_f32_f16_e32 v16, v4
.LBB263_124:                            ;   in Loop: Header=BB263_115 Depth=1
	s_or_b64 exec, exec, s[10:11]
	v_lshrrev_b32_e32 v4, 16, v12
	v_cmp_gt_i16_sdwa s[10:11], v4, s21 src0_sel:BYTE_0 src1_sel:DWORD
	s_mov_b64 s[8:9], 0
                                        ; implicit-def: $sgpr36
	s_and_saveexec_b64 s[12:13], s[10:11]
	s_xor_b64 s[10:11], exec, s[12:13]
	s_cbranch_execnz .LBB263_158
; %bb.125:                              ;   in Loop: Header=BB263_115 Depth=1
	s_or_saveexec_b64 s[10:11], s[10:11]
	v_mov_b32_e32 v15, s36
	s_xor_b64 exec, exec, s[10:11]
	s_cbranch_execnz .LBB263_161
.LBB263_126:                            ;   in Loop: Header=BB263_115 Depth=1
	s_or_b64 exec, exec, s[10:11]
	s_and_saveexec_b64 s[10:11], s[8:9]
	s_cbranch_execz .LBB263_128
.LBB263_127:                            ;   in Loop: Header=BB263_115 Depth=1
	v_bfe_u32 v15, v12, 16, 3
	v_ffbh_u32_e32 v31, v15
	v_bfe_u32 v17, v12, 19, 4
	v_min_u32_e32 v31, 32, v31
	v_subrev_u32_e32 v32, 28, v31
	v_sub_u32_e32 v31, 29, v31
	v_cmp_eq_u32_e32 vcc, 0, v17
	v_lshlrev_b64 v[32:33], v32, v[4:5]
	v_and_b32_e32 v32, 7, v32
	v_cndmask_b32_e32 v17, v17, v31, vcc
	v_lshlrev_b32_e32 v4, 8, v4
	v_lshl_add_u32 v17, v17, 10, v22
	v_cndmask_b32_e32 v15, v15, v32, vcc
	v_and_or_b32 v4, v4, s24, v17
	v_lshl_or_b32 v4, v15, 7, v4
	v_cvt_f32_f16_e32 v15, v4
.LBB263_128:                            ;   in Loop: Header=BB263_115 Depth=1
	s_or_b64 exec, exec, s[10:11]
	v_lshrrev_b32_e32 v4, 24, v12
	v_cmp_lt_i16_e32 vcc, s21, v4
	s_mov_b64 s[8:9], 0
                                        ; implicit-def: $sgpr36
	s_and_saveexec_b64 s[10:11], vcc
	s_xor_b64 s[10:11], exec, s[10:11]
	s_cbranch_execnz .LBB263_162
; %bb.129:                              ;   in Loop: Header=BB263_115 Depth=1
	s_or_saveexec_b64 s[10:11], s[10:11]
	v_mov_b32_e32 v17, s36
	s_xor_b64 exec, exec, s[10:11]
	s_cbranch_execnz .LBB263_165
.LBB263_130:                            ;   in Loop: Header=BB263_115 Depth=1
	s_or_b64 exec, exec, s[10:11]
	s_and_saveexec_b64 s[10:11], s[8:9]
	s_cbranch_execz .LBB263_132
.LBB263_131:                            ;   in Loop: Header=BB263_115 Depth=1
	v_bfe_u32 v17, v12, 24, 3
	v_ffbh_u32_e32 v31, v17
	v_bfe_u32 v12, v12, 27, 4
	v_min_u32_e32 v31, 32, v31
	v_subrev_u32_e32 v32, 28, v31
	v_sub_u32_e32 v31, 29, v31
	v_cmp_eq_u32_e32 vcc, 0, v12
	v_lshlrev_b64 v[32:33], v32, v[4:5]
	v_and_b32_e32 v32, 7, v32
	v_cndmask_b32_e32 v12, v12, v31, vcc
	v_lshlrev_b32_e32 v4, 8, v4
	v_lshl_add_u32 v12, v12, 10, v22
	v_cndmask_b32_e32 v17, v17, v32, vcc
	v_and_or_b32 v4, v4, s24, v12
	v_lshl_or_b32 v4, v17, 7, v4
	v_cvt_f32_f16_e32 v17, v4
.LBB263_132:                            ;   in Loop: Header=BB263_115 Depth=1
	s_or_b64 exec, exec, s[10:11]
	v_cmp_gt_i16_sdwa s[10:11], v13, s21 src0_sel:BYTE_0 src1_sel:DWORD
	s_mov_b64 s[8:9], 0
                                        ; implicit-def: $sgpr36
	s_and_saveexec_b64 s[12:13], s[10:11]
	s_xor_b64 s[10:11], exec, s[12:13]
	s_cbranch_execnz .LBB263_166
; %bb.133:                              ;   in Loop: Header=BB263_115 Depth=1
	s_or_saveexec_b64 s[10:11], s[10:11]
	v_mov_b32_e32 v12, s36
	s_xor_b64 exec, exec, s[10:11]
	s_cbranch_execnz .LBB263_169
.LBB263_134:                            ;   in Loop: Header=BB263_115 Depth=1
	s_or_b64 exec, exec, s[10:11]
	v_mov_b32_e32 v4, v13
	s_and_saveexec_b64 s[10:11], s[8:9]
	s_cbranch_execz .LBB263_136
.LBB263_135:                            ;   in Loop: Header=BB263_115 Depth=1
	v_and_b32_e32 v12, 7, v13
	v_ffbh_u32_e32 v12, v12
	v_bfe_u32 v31, v13, 3, 4
	v_min_u32_e32 v12, 32, v12
	v_subrev_u32_e32 v32, 28, v12
	v_sub_u32_e32 v12, 29, v12
	v_cmp_eq_u32_e32 vcc, 0, v31
	s_nop 1
	v_cndmask_b32_e32 v12, v31, v12, vcc
	v_cndmask_b32_e32 v31, 0, v32, vcc
	v_lshlrev_b64 v[32:33], v31, v[4:5]
	v_lshlrev_b32_e32 v31, 7, v32
	v_lshlrev_b32_e32 v32, 8, v13
	v_lshl_add_u32 v12, v12, 10, v22
	v_and_or_b32 v12, v32, s24, v12
	v_and_or_b32 v12, v31, s25, v12
	v_cvt_f32_f16_e32 v12, v12
.LBB263_136:                            ;   in Loop: Header=BB263_115 Depth=1
	s_or_b64 exec, exec, s[10:11]
	v_lshrrev_b16_e32 v4, 8, v4
	v_cmp_lt_i16_e32 vcc, s21, v4
	s_mov_b64 s[8:9], 0
                                        ; implicit-def: $sgpr36
	s_and_saveexec_b64 s[10:11], vcc
	s_xor_b64 s[10:11], exec, s[10:11]
	s_cbranch_execnz .LBB263_170
; %bb.137:                              ;   in Loop: Header=BB263_115 Depth=1
	s_or_saveexec_b64 s[10:11], s[10:11]
	v_mov_b32_e32 v31, s36
	s_xor_b64 exec, exec, s[10:11]
	s_cbranch_execnz .LBB263_173
.LBB263_138:                            ;   in Loop: Header=BB263_115 Depth=1
	s_or_b64 exec, exec, s[10:11]
	s_and_saveexec_b64 s[10:11], s[8:9]
	s_cbranch_execz .LBB263_140
.LBB263_139:                            ;   in Loop: Header=BB263_115 Depth=1
	v_and_b32_e32 v31, 7, v4
	v_ffbh_u32_e32 v32, v31
	v_min_u32_e32 v35, 32, v32
	v_subrev_u32_e32 v32, 28, v35
	v_bfe_u32 v34, v4, 3, 4
	v_lshlrev_b64 v[32:33], v32, v[4:5]
	v_sub_u32_e32 v33, 29, v35
	v_cmp_eq_u32_e32 vcc, 0, v34
	v_and_b32_e32 v32, 7, v32
	v_lshlrev_b32_e32 v4, 8, v4
	v_cndmask_b32_e32 v33, v34, v33, vcc
	v_cndmask_b32_e32 v31, v31, v32, vcc
	v_lshl_add_u32 v32, v33, 10, v22
	v_and_or_b32 v4, v4, s24, v32
	v_lshl_or_b32 v4, v31, 7, v4
	v_cvt_f32_f16_e32 v31, v4
.LBB263_140:                            ;   in Loop: Header=BB263_115 Depth=1
	s_or_b64 exec, exec, s[10:11]
	v_lshrrev_b32_e32 v4, 16, v13
	v_cmp_gt_i16_sdwa s[10:11], v4, s21 src0_sel:BYTE_0 src1_sel:DWORD
	s_mov_b64 s[8:9], 0
                                        ; implicit-def: $sgpr36
	s_and_saveexec_b64 s[12:13], s[10:11]
	s_xor_b64 s[10:11], exec, s[12:13]
	s_cbranch_execnz .LBB263_174
; %bb.141:                              ;   in Loop: Header=BB263_115 Depth=1
	s_or_saveexec_b64 s[10:11], s[10:11]
	v_mov_b32_e32 v32, s36
	s_xor_b64 exec, exec, s[10:11]
	s_cbranch_execnz .LBB263_177
.LBB263_142:                            ;   in Loop: Header=BB263_115 Depth=1
	s_or_b64 exec, exec, s[10:11]
	s_and_saveexec_b64 s[10:11], s[8:9]
	s_cbranch_execz .LBB263_144
.LBB263_143:                            ;   in Loop: Header=BB263_115 Depth=1
	v_bfe_u32 v34, v13, 16, 3
	v_ffbh_u32_e32 v32, v34
	v_min_u32_e32 v36, 32, v32
	v_subrev_u32_e32 v32, 28, v36
	v_bfe_u32 v35, v13, 19, 4
	v_lshlrev_b64 v[32:33], v32, v[4:5]
	v_sub_u32_e32 v33, 29, v36
	v_cmp_eq_u32_e32 vcc, 0, v35
	v_and_b32_e32 v32, 7, v32
	v_lshlrev_b32_e32 v4, 8, v4
	v_cndmask_b32_e32 v33, v35, v33, vcc
	v_lshl_add_u32 v33, v33, 10, v22
	v_cndmask_b32_e32 v32, v34, v32, vcc
	v_and_or_b32 v4, v4, s24, v33
	v_lshl_or_b32 v4, v32, 7, v4
	v_cvt_f32_f16_e32 v32, v4
.LBB263_144:                            ;   in Loop: Header=BB263_115 Depth=1
	s_or_b64 exec, exec, s[10:11]
	v_lshrrev_b32_e32 v4, 24, v13
	v_cmp_lt_i16_e32 vcc, s21, v4
	s_mov_b64 s[8:9], 0
                                        ; implicit-def: $sgpr36
	s_and_saveexec_b64 s[10:11], vcc
	s_xor_b64 s[10:11], exec, s[10:11]
	s_cbranch_execnz .LBB263_178
; %bb.145:                              ;   in Loop: Header=BB263_115 Depth=1
	s_or_saveexec_b64 s[10:11], s[10:11]
	v_mov_b32_e32 v33, s36
	s_xor_b64 exec, exec, s[10:11]
	s_cbranch_execnz .LBB263_181
.LBB263_146:                            ;   in Loop: Header=BB263_115 Depth=1
	s_or_b64 exec, exec, s[10:11]
	s_and_saveexec_b64 s[10:11], s[8:9]
	s_cbranch_execz .LBB263_148
.LBB263_147:                            ;   in Loop: Header=BB263_115 Depth=1
	v_bfe_u32 v33, v13, 24, 3
	v_ffbh_u32_e32 v34, v33
	v_min_u32_e32 v36, 32, v34
	v_subrev_u32_e32 v34, 28, v36
	v_bfe_u32 v13, v13, 27, 4
	v_lshlrev_b64 v[34:35], v34, v[4:5]
	v_sub_u32_e32 v35, 29, v36
	v_cmp_eq_u32_e32 vcc, 0, v13
	v_and_b32_e32 v34, 7, v34
	v_lshlrev_b32_e32 v4, 8, v4
	v_cndmask_b32_e32 v13, v13, v35, vcc
	v_lshl_add_u32 v13, v13, 10, v22
	v_cndmask_b32_e32 v33, v33, v34, vcc
	v_and_or_b32 v4, v4, s24, v13
	v_lshl_or_b32 v4, v33, 7, v4
	v_cvt_f32_f16_e32 v33, v4
.LBB263_148:                            ;   in Loop: Header=BB263_115 Depth=1
	s_or_b64 exec, exec, s[10:11]
	s_waitcnt vmcnt(0)
	v_pk_mul_f32 v[16:17], v[10:11], v[16:17] op_sel_hi:[0,1]
	v_pk_mul_f32 v[14:15], v[10:11], v[14:15] op_sel_hi:[0,1]
	v_cvt_f16_f32_e32 v4, v17
	v_cvt_f16_f32_e32 v13, v16
	;; [unrolled: 1-line block ×4, first 2 shown]
	v_fma_mixlo_f16 v12, v10, v12, 0
	v_pack_b32_f16 v13, v13, v4
	v_cmp_eq_u32_e32 vcc, s53, v2
	v_pack_b32_f16 v14, v14, v15
	v_perm_b32 v4, v14, v13, s26
	v_perm_b32 v13, v14, v13, s27
	v_fma_mixlo_f16 v14, v10, v31, 0
	v_lshlrev_b32_e32 v14, 16, v14
	v_or_b32_sdwa v12, v14, v12 dst_sel:DWORD dst_unused:UNUSED_PAD src0_sel:DWORD src1_sel:WORD_0
	v_fma_mixlo_f16 v14, v10, v32, 0
	v_fma_mixlo_f16 v10, v10, v33, 0
	v_lshlrev_b32_e32 v10, 16, v10
	v_or_b32_sdwa v10, v10, v14 dst_sel:DWORD dst_unused:UNUSED_PAD src0_sel:DWORD src1_sel:WORD_0
	s_and_saveexec_b64 s[8:9], vcc
	s_cbranch_execz .LBB263_113
; %bb.149:                              ;   in Loop: Header=BB263_115 Depth=1
	v_add_u32_e32 v15, v19, v1
	v_add_u32_e32 v16, 1, v15
	v_lshrrev_b32_e32 v17, 16, v13
	v_cmp_gt_i32_e32 vcc, s19, v16
	v_lshrrev_b32_e32 v31, 16, v4
	v_lshrrev_b32_e32 v10, 16, v10
	v_cndmask_b32_e32 v16, 0, v17, vcc
	v_cmp_gt_i32_e32 vcc, s33, v15
	v_or_b32_e32 v17, 2, v15
	s_nop 0
	v_cndmask_b32_e32 v13, 0, v13, vcc
	v_perm_b32 v13, v16, v13, s34
	v_or_b32_e32 v16, 3, v15
	v_cmp_gt_i32_e32 vcc, s19, v16
	s_nop 1
	v_cndmask_b32_e32 v16, 0, v31, vcc
	v_cmp_gt_i32_e32 vcc, s33, v17
	v_or_b32_e32 v17, 4, v15
	v_lshrrev_b32_e32 v31, 16, v12
	v_cndmask_b32_e32 v4, 0, v4, vcc
	v_perm_b32 v4, v16, v4, s34
	v_or_b32_e32 v16, 5, v15
	v_cmp_gt_i32_e32 vcc, s19, v16
	s_nop 1
	v_cndmask_b32_e32 v16, 0, v31, vcc
	v_cmp_gt_i32_e32 vcc, s33, v17
	s_nop 1
	v_cndmask_b32_e32 v12, 0, v12, vcc
	v_perm_b32 v12, v16, v12, s34
	v_or_b32_e32 v16, 7, v15
	v_or_b32_e32 v15, 6, v15
	v_cmp_gt_i32_e32 vcc, s19, v16
	s_nop 1
	v_cndmask_b32_e32 v10, 0, v10, vcc
	v_cmp_gt_i32_e32 vcc, s33, v15
	s_nop 1
	v_cndmask_b32_e32 v14, 0, v14, vcc
	v_perm_b32 v10, v10, v14, s34
	s_branch .LBB263_113
.LBB263_150:                            ;   in Loop: Header=BB263_115 Depth=1
	v_cmp_eq_u16_sdwa s[38:39], v12, s22 src0_sel:BYTE_0 src1_sel:DWORD
	s_mov_b64 s[8:9], -1
                                        ; implicit-def: $sgpr36
	s_and_saveexec_b64 s[12:13], s[38:39]
; %bb.151:                              ;   in Loop: Header=BB263_115 Depth=1
	s_mov_b32 s36, 0x7fc02000
	s_xor_b64 s[8:9], exec, -1
; %bb.152:                              ;   in Loop: Header=BB263_115 Depth=1
	s_or_b64 exec, exec, s[12:13]
	s_and_b64 s[8:9], s[8:9], exec
	s_or_saveexec_b64 s[10:11], s[10:11]
	v_mov_b32_e32 v14, s36
	s_xor_b64 exec, exec, s[10:11]
	s_cbranch_execz .LBB263_118
.LBB263_153:                            ;   in Loop: Header=BB263_115 Depth=1
	v_cmp_ne_u16_sdwa s[12:13], v12, v5 src0_sel:BYTE_0 src1_sel:DWORD
	s_andn2_b64 s[8:9], s[8:9], exec
	s_and_b64 s[12:13], s[12:13], exec
	v_mov_b32_e32 v14, 0
	s_or_b64 s[8:9], s[8:9], s[12:13]
	s_or_b64 exec, exec, s[10:11]
	s_and_saveexec_b64 s[10:11], s[8:9]
	s_cbranch_execnz .LBB263_119
	s_branch .LBB263_120
.LBB263_154:                            ;   in Loop: Header=BB263_115 Depth=1
	v_cmp_eq_u16_e32 vcc, s22, v4
	s_mov_b64 s[8:9], -1
                                        ; implicit-def: $sgpr36
	s_and_saveexec_b64 s[12:13], vcc
; %bb.155:                              ;   in Loop: Header=BB263_115 Depth=1
	s_mov_b32 s36, 0x7fc02000
	s_xor_b64 s[8:9], exec, -1
; %bb.156:                              ;   in Loop: Header=BB263_115 Depth=1
	s_or_b64 exec, exec, s[12:13]
	s_and_b64 s[8:9], s[8:9], exec
	s_or_saveexec_b64 s[10:11], s[10:11]
	v_mov_b32_e32 v16, s36
	s_xor_b64 exec, exec, s[10:11]
	s_cbranch_execz .LBB263_122
.LBB263_157:                            ;   in Loop: Header=BB263_115 Depth=1
	v_cmp_ne_u16_e32 vcc, 0, v4
	s_andn2_b64 s[8:9], s[8:9], exec
	s_and_b64 s[12:13], vcc, exec
	v_mov_b32_e32 v16, 0
	s_or_b64 s[8:9], s[8:9], s[12:13]
	s_or_b64 exec, exec, s[10:11]
	s_and_saveexec_b64 s[10:11], s[8:9]
	s_cbranch_execnz .LBB263_123
	s_branch .LBB263_124
.LBB263_158:                            ;   in Loop: Header=BB263_115 Depth=1
	v_cmp_eq_u16_sdwa s[38:39], v4, s22 src0_sel:BYTE_0 src1_sel:DWORD
	s_mov_b64 s[8:9], -1
                                        ; implicit-def: $sgpr36
	s_and_saveexec_b64 s[12:13], s[38:39]
; %bb.159:                              ;   in Loop: Header=BB263_115 Depth=1
	s_mov_b32 s36, 0x7fc02000
	s_xor_b64 s[8:9], exec, -1
; %bb.160:                              ;   in Loop: Header=BB263_115 Depth=1
	s_or_b64 exec, exec, s[12:13]
	s_and_b64 s[8:9], s[8:9], exec
	s_or_saveexec_b64 s[10:11], s[10:11]
	v_mov_b32_e32 v15, s36
	s_xor_b64 exec, exec, s[10:11]
	s_cbranch_execz .LBB263_126
.LBB263_161:                            ;   in Loop: Header=BB263_115 Depth=1
	v_cmp_ne_u16_sdwa s[12:13], v4, v5 src0_sel:BYTE_0 src1_sel:DWORD
	s_andn2_b64 s[8:9], s[8:9], exec
	s_and_b64 s[12:13], s[12:13], exec
	v_mov_b32_e32 v15, 0
	s_or_b64 s[8:9], s[8:9], s[12:13]
	s_or_b64 exec, exec, s[10:11]
	s_and_saveexec_b64 s[10:11], s[8:9]
	s_cbranch_execnz .LBB263_127
	s_branch .LBB263_128
.LBB263_162:                            ;   in Loop: Header=BB263_115 Depth=1
	v_cmp_eq_u16_e32 vcc, s22, v4
	s_mov_b64 s[8:9], -1
                                        ; implicit-def: $sgpr36
	s_and_saveexec_b64 s[12:13], vcc
; %bb.163:                              ;   in Loop: Header=BB263_115 Depth=1
	s_mov_b32 s36, 0x7fc02000
	s_xor_b64 s[8:9], exec, -1
; %bb.164:                              ;   in Loop: Header=BB263_115 Depth=1
	s_or_b64 exec, exec, s[12:13]
	s_and_b64 s[8:9], s[8:9], exec
	s_or_saveexec_b64 s[10:11], s[10:11]
	v_mov_b32_e32 v17, s36
	s_xor_b64 exec, exec, s[10:11]
	s_cbranch_execz .LBB263_130
.LBB263_165:                            ;   in Loop: Header=BB263_115 Depth=1
	v_cmp_ne_u16_e32 vcc, 0, v4
	s_andn2_b64 s[8:9], s[8:9], exec
	s_and_b64 s[12:13], vcc, exec
	v_mov_b32_e32 v17, 0
	s_or_b64 s[8:9], s[8:9], s[12:13]
	s_or_b64 exec, exec, s[10:11]
	s_and_saveexec_b64 s[10:11], s[8:9]
	s_cbranch_execnz .LBB263_131
	s_branch .LBB263_132
.LBB263_166:                            ;   in Loop: Header=BB263_115 Depth=1
	v_cmp_eq_u16_sdwa s[38:39], v13, s22 src0_sel:BYTE_0 src1_sel:DWORD
	s_mov_b64 s[8:9], -1
                                        ; implicit-def: $sgpr36
	s_and_saveexec_b64 s[12:13], s[38:39]
; %bb.167:                              ;   in Loop: Header=BB263_115 Depth=1
	s_mov_b32 s36, 0x7fc02000
	s_xor_b64 s[8:9], exec, -1
; %bb.168:                              ;   in Loop: Header=BB263_115 Depth=1
	s_or_b64 exec, exec, s[12:13]
	s_and_b64 s[8:9], s[8:9], exec
	s_or_saveexec_b64 s[10:11], s[10:11]
	v_mov_b32_e32 v12, s36
	s_xor_b64 exec, exec, s[10:11]
	s_cbranch_execz .LBB263_134
.LBB263_169:                            ;   in Loop: Header=BB263_115 Depth=1
	v_cmp_ne_u16_sdwa s[12:13], v13, v5 src0_sel:BYTE_0 src1_sel:DWORD
	s_andn2_b64 s[8:9], s[8:9], exec
	s_and_b64 s[12:13], s[12:13], exec
	v_mov_b32_e32 v12, 0
	s_or_b64 s[8:9], s[8:9], s[12:13]
	s_or_b64 exec, exec, s[10:11]
	v_mov_b32_e32 v4, v13
	s_and_saveexec_b64 s[10:11], s[8:9]
	s_cbranch_execnz .LBB263_135
	s_branch .LBB263_136
.LBB263_170:                            ;   in Loop: Header=BB263_115 Depth=1
	v_cmp_eq_u16_e32 vcc, s22, v4
	s_mov_b64 s[8:9], -1
                                        ; implicit-def: $sgpr36
	s_and_saveexec_b64 s[12:13], vcc
; %bb.171:                              ;   in Loop: Header=BB263_115 Depth=1
	s_mov_b32 s36, 0x7fc02000
	s_xor_b64 s[8:9], exec, -1
; %bb.172:                              ;   in Loop: Header=BB263_115 Depth=1
	s_or_b64 exec, exec, s[12:13]
	s_and_b64 s[8:9], s[8:9], exec
	s_or_saveexec_b64 s[10:11], s[10:11]
	v_mov_b32_e32 v31, s36
	s_xor_b64 exec, exec, s[10:11]
	s_cbranch_execz .LBB263_138
.LBB263_173:                            ;   in Loop: Header=BB263_115 Depth=1
	v_cmp_ne_u16_e32 vcc, 0, v4
	s_andn2_b64 s[8:9], s[8:9], exec
	s_and_b64 s[12:13], vcc, exec
	v_mov_b32_e32 v31, 0
	s_or_b64 s[8:9], s[8:9], s[12:13]
	s_or_b64 exec, exec, s[10:11]
	s_and_saveexec_b64 s[10:11], s[8:9]
	s_cbranch_execnz .LBB263_139
	s_branch .LBB263_140
.LBB263_174:                            ;   in Loop: Header=BB263_115 Depth=1
	v_cmp_eq_u16_sdwa s[38:39], v4, s22 src0_sel:BYTE_0 src1_sel:DWORD
	s_mov_b64 s[8:9], -1
                                        ; implicit-def: $sgpr36
	s_and_saveexec_b64 s[12:13], s[38:39]
; %bb.175:                              ;   in Loop: Header=BB263_115 Depth=1
	s_mov_b32 s36, 0x7fc02000
	s_xor_b64 s[8:9], exec, -1
; %bb.176:                              ;   in Loop: Header=BB263_115 Depth=1
	s_or_b64 exec, exec, s[12:13]
	s_and_b64 s[8:9], s[8:9], exec
	s_or_saveexec_b64 s[10:11], s[10:11]
	v_mov_b32_e32 v32, s36
	s_xor_b64 exec, exec, s[10:11]
	s_cbranch_execz .LBB263_142
.LBB263_177:                            ;   in Loop: Header=BB263_115 Depth=1
	v_cmp_ne_u16_sdwa s[12:13], v4, v5 src0_sel:BYTE_0 src1_sel:DWORD
	s_andn2_b64 s[8:9], s[8:9], exec
	s_and_b64 s[12:13], s[12:13], exec
	v_mov_b32_e32 v32, 0
	s_or_b64 s[8:9], s[8:9], s[12:13]
	s_or_b64 exec, exec, s[10:11]
	s_and_saveexec_b64 s[10:11], s[8:9]
	s_cbranch_execnz .LBB263_143
	s_branch .LBB263_144
.LBB263_178:                            ;   in Loop: Header=BB263_115 Depth=1
	v_cmp_eq_u16_e32 vcc, s22, v4
	s_mov_b64 s[8:9], -1
                                        ; implicit-def: $sgpr36
	s_and_saveexec_b64 s[12:13], vcc
; %bb.179:                              ;   in Loop: Header=BB263_115 Depth=1
	s_mov_b32 s36, 0x7fc02000
	s_xor_b64 s[8:9], exec, -1
; %bb.180:                              ;   in Loop: Header=BB263_115 Depth=1
	s_or_b64 exec, exec, s[12:13]
	s_and_b64 s[8:9], s[8:9], exec
	s_or_saveexec_b64 s[10:11], s[10:11]
	v_mov_b32_e32 v33, s36
	s_xor_b64 exec, exec, s[10:11]
	s_cbranch_execz .LBB263_146
.LBB263_181:                            ;   in Loop: Header=BB263_115 Depth=1
	v_cmp_ne_u16_e32 vcc, 0, v4
	s_andn2_b64 s[8:9], s[8:9], exec
	s_and_b64 s[12:13], vcc, exec
	v_mov_b32_e32 v33, 0
	s_or_b64 s[8:9], s[8:9], s[12:13]
	s_or_b64 exec, exec, s[10:11]
	s_and_saveexec_b64 s[10:11], s[8:9]
	s_cbranch_execnz .LBB263_147
	s_branch .LBB263_148
.LBB263_182:
	s_or_b64 exec, exec, s[4:5]
.LBB263_183:
	s_or_b64 exec, exec, s[2:3]
	ds_bpermute_b32 v1, v18, v21
	v_and_b32_e32 v2, 0x3c1, v0
	v_cmp_eq_u32_e32 vcc, 64, v2
	s_waitcnt lgkmcnt(0)
	s_barrier
	v_add_f32_e32 v1, v21, v1
	s_and_saveexec_b64 s[0:1], vcc
	s_cbranch_execz .LBB263_185
; %bb.184:
	v_mov_b32_e32 v3, 0x50
	v_lshl_add_u32 v3, v11, 1, v3
	ds_write_b32 v3, v1
.LBB263_185:
	s_or_b64 exec, exec, s[0:1]
	v_cmp_eq_u32_e32 vcc, 0, v2
	s_waitcnt lgkmcnt(0)
	s_barrier
	s_and_saveexec_b64 s[0:1], vcc
	s_cbranch_execz .LBB263_187
; %bb.186:
	v_mov_b32_e32 v2, 0x50
	v_lshl_add_u32 v2, v0, 1, v2
	ds_read_b32 v2, v2
	s_waitcnt lgkmcnt(0)
	v_add_f32_e32 v1, v1, v2
.LBB263_187:
	s_or_b64 exec, exec, s[0:1]
	s_barrier
	s_and_saveexec_b64 s[0:1], vcc
	s_cbranch_execz .LBB263_189
; %bb.188:
	s_lshl_b32 s0, s6, 5
	s_ashr_i32 s1, s0, 31
	s_lshl_b64 s[0:1], s[0:1], 1
	s_add_u32 s2, s30, s0
	s_mul_i32 s0, s20, s28
	s_addc_u32 s3, s31, s1
	s_ashr_i32 s1, s0, 31
	s_lshl_b64 s[0:1], s[0:1], 1
	s_add_u32 s2, s2, s0
	s_addc_u32 s3, s3, s1
	s_ashr_i32 s17, s16, 31
	s_lshl_b64 s[0:1], s[16:17], 1
	s_add_u32 s0, s2, s0
	s_addc_u32 s1, s3, s1
	;;#ASMSTART
	v_cvt_f16_f32 v1, v1;

	;;#ASMEND
	global_store_short v0, v1, s[0:1]
.LBB263_189:
	s_endpgm
	.section	.rodata,"a",@progbits
	.p2align	6, 0x0
	.amdhsa_kernel _ZN4vllm25paged_attention_v2_kernelIthLi32ELi16ELi128ELNS_18Fp8KVCacheDataTypeE1ELb1ELi512EEEvPfS2_PT_PKS3_PKT0_S9_ifPKiSB_iPKfiiiSD_SD_iiiii
		.amdhsa_group_segment_fixed_size 80
		.amdhsa_private_segment_fixed_size 0
		.amdhsa_kernarg_size 400
		.amdhsa_user_sgpr_count 2
		.amdhsa_user_sgpr_dispatch_ptr 0
		.amdhsa_user_sgpr_queue_ptr 0
		.amdhsa_user_sgpr_kernarg_segment_ptr 1
		.amdhsa_user_sgpr_dispatch_id 0
		.amdhsa_user_sgpr_kernarg_preload_length 0
		.amdhsa_user_sgpr_kernarg_preload_offset 0
		.amdhsa_user_sgpr_private_segment_size 0
		.amdhsa_uses_dynamic_stack 0
		.amdhsa_enable_private_segment 0
		.amdhsa_system_sgpr_workgroup_id_x 1
		.amdhsa_system_sgpr_workgroup_id_y 1
		.amdhsa_system_sgpr_workgroup_id_z 1
		.amdhsa_system_sgpr_workgroup_info 0
		.amdhsa_system_vgpr_workitem_id 0
		.amdhsa_next_free_vgpr 38
		.amdhsa_next_free_sgpr 66
		.amdhsa_accum_offset 40
		.amdhsa_reserve_vcc 1
		.amdhsa_float_round_mode_32 0
		.amdhsa_float_round_mode_16_64 0
		.amdhsa_float_denorm_mode_32 3
		.amdhsa_float_denorm_mode_16_64 3
		.amdhsa_dx10_clamp 1
		.amdhsa_ieee_mode 1
		.amdhsa_fp16_overflow 0
		.amdhsa_tg_split 0
		.amdhsa_exception_fp_ieee_invalid_op 0
		.amdhsa_exception_fp_denorm_src 0
		.amdhsa_exception_fp_ieee_div_zero 0
		.amdhsa_exception_fp_ieee_overflow 0
		.amdhsa_exception_fp_ieee_underflow 0
		.amdhsa_exception_fp_ieee_inexact 0
		.amdhsa_exception_int_div_zero 0
	.end_amdhsa_kernel
	.section	.text._ZN4vllm25paged_attention_v2_kernelIthLi32ELi16ELi128ELNS_18Fp8KVCacheDataTypeE1ELb1ELi512EEEvPfS2_PT_PKS3_PKT0_S9_ifPKiSB_iPKfiiiSD_SD_iiiii,"axG",@progbits,_ZN4vllm25paged_attention_v2_kernelIthLi32ELi16ELi128ELNS_18Fp8KVCacheDataTypeE1ELb1ELi512EEEvPfS2_PT_PKS3_PKT0_S9_ifPKiSB_iPKfiiiSD_SD_iiiii,comdat
.Lfunc_end263:
	.size	_ZN4vllm25paged_attention_v2_kernelIthLi32ELi16ELi128ELNS_18Fp8KVCacheDataTypeE1ELb1ELi512EEEvPfS2_PT_PKS3_PKT0_S9_ifPKiSB_iPKfiiiSD_SD_iiiii, .Lfunc_end263-_ZN4vllm25paged_attention_v2_kernelIthLi32ELi16ELi128ELNS_18Fp8KVCacheDataTypeE1ELb1ELi512EEEvPfS2_PT_PKS3_PKT0_S9_ifPKiSB_iPKfiiiSD_SD_iiiii
                                        ; -- End function
	.section	.AMDGPU.csdata,"",@progbits
; Kernel info:
; codeLenInByte = 8700
; NumSgprs: 72
; NumVgprs: 38
; NumAgprs: 0
; TotalNumVgprs: 38
; ScratchSize: 0
; MemoryBound: 0
; FloatMode: 240
; IeeeMode: 1
; LDSByteSize: 80 bytes/workgroup (compile time only)
; SGPRBlocks: 8
; VGPRBlocks: 4
; NumSGPRsForWavesPerEU: 72
; NumVGPRsForWavesPerEU: 38
; AccumOffset: 40
; Occupancy: 8
; WaveLimiterHint : 1
; COMPUTE_PGM_RSRC2:SCRATCH_EN: 0
; COMPUTE_PGM_RSRC2:USER_SGPR: 2
; COMPUTE_PGM_RSRC2:TRAP_HANDLER: 0
; COMPUTE_PGM_RSRC2:TGID_X_EN: 1
; COMPUTE_PGM_RSRC2:TGID_Y_EN: 1
; COMPUTE_PGM_RSRC2:TGID_Z_EN: 1
; COMPUTE_PGM_RSRC2:TIDIG_COMP_CNT: 0
; COMPUTE_PGM_RSRC3_GFX90A:ACCUM_OFFSET: 9
; COMPUTE_PGM_RSRC3_GFX90A:TG_SPLIT: 0
	.section	.text._ZN4vllm25paged_attention_v2_kernelIthLi64ELi16ELi128ELNS_18Fp8KVCacheDataTypeE1ELb1ELi512EEEvPfS2_PT_PKS3_PKT0_S9_ifPKiSB_iPKfiiiSD_SD_iiiii,"axG",@progbits,_ZN4vllm25paged_attention_v2_kernelIthLi64ELi16ELi128ELNS_18Fp8KVCacheDataTypeE1ELb1ELi512EEEvPfS2_PT_PKS3_PKT0_S9_ifPKiSB_iPKfiiiSD_SD_iiiii,comdat
	.protected	_ZN4vllm25paged_attention_v2_kernelIthLi64ELi16ELi128ELNS_18Fp8KVCacheDataTypeE1ELb1ELi512EEEvPfS2_PT_PKS3_PKT0_S9_ifPKiSB_iPKfiiiSD_SD_iiiii ; -- Begin function _ZN4vllm25paged_attention_v2_kernelIthLi64ELi16ELi128ELNS_18Fp8KVCacheDataTypeE1ELb1ELi512EEEvPfS2_PT_PKS3_PKT0_S9_ifPKiSB_iPKfiiiSD_SD_iiiii
	.globl	_ZN4vllm25paged_attention_v2_kernelIthLi64ELi16ELi128ELNS_18Fp8KVCacheDataTypeE1ELb1ELi512EEEvPfS2_PT_PKS3_PKT0_S9_ifPKiSB_iPKfiiiSD_SD_iiiii
	.p2align	8
	.type	_ZN4vllm25paged_attention_v2_kernelIthLi64ELi16ELi128ELNS_18Fp8KVCacheDataTypeE1ELb1ELi512EEEvPfS2_PT_PKS3_PKT0_S9_ifPKiSB_iPKfiiiSD_SD_iiiii,@function
_ZN4vllm25paged_attention_v2_kernelIthLi64ELi16ELi128ELNS_18Fp8KVCacheDataTypeE1ELb1ELi512EEEvPfS2_PT_PKS3_PKT0_S9_ifPKiSB_iPKfiiiSD_SD_iiiii: ; @_ZN4vllm25paged_attention_v2_kernelIthLi64ELi16ELi128ELNS_18Fp8KVCacheDataTypeE1ELb1ELi512EEEvPfS2_PT_PKS3_PKT0_S9_ifPKiSB_iPKfiiiSD_SD_iiiii
; %bb.0:
	s_load_dwordx2 s[6:7], s[0:1], 0x40
	s_mov_b32 s34, s3
	s_ashr_i32 s35, s3, 31
	s_lshl_b64 s[8:9], s[34:35], 2
	s_waitcnt lgkmcnt(0)
	s_add_u32 s6, s6, s8
	s_addc_u32 s7, s7, s9
	s_load_dword s33, s[6:7], 0x0
	s_lshl_b32 s55, s4, 9
	s_waitcnt lgkmcnt(0)
	s_cmp_ge_i32 s55, s33
	s_cbranch_scc1 .LBB264_323
; %bb.1:
	s_load_dword s5, s[0:1], 0x90
	s_load_dwordx2 s[42:43], s[0:1], 0x30
	s_waitcnt lgkmcnt(0)
	s_abs_i32 s7, s5
	s_abs_i32 s3, s42
	v_cvt_f32_u32_e32 v1, s3
	s_sub_i32 s8, 0, s3
	s_xor_b32 s6, s5, s42
	s_ashr_i32 s6, s6, 31
	v_rcp_iflag_f32_e32 v1, v1
	s_nop 0
	v_mul_f32_e32 v1, 0x4f7ffffe, v1
	v_cvt_u32_f32_e32 v1, v1
	s_nop 0
	v_readfirstlane_b32 s9, v1
	s_mul_i32 s8, s8, s9
	s_mul_hi_u32 s8, s9, s8
	s_add_i32 s9, s9, s8
	s_mul_hi_u32 s8, s7, s9
	s_mul_i32 s9, s8, s3
	s_sub_i32 s7, s7, s9
	s_add_i32 s10, s8, 1
	s_sub_i32 s9, s7, s3
	s_cmp_ge_u32 s7, s3
	s_cselect_b32 s8, s10, s8
	s_cselect_b32 s7, s9, s7
	s_add_i32 s9, s8, 1
	s_cmp_ge_u32 s7, s3
	s_cselect_b32 s3, s9, s8
	s_xor_b32 s3, s3, s6
	s_sub_i32 s11, s3, s6
	s_abs_i32 s8, s11
	v_cvt_f32_u32_e32 v1, s8
	s_load_dwordx2 s[6:7], s[0:1], 0x50
	s_sub_i32 s10, 0, s8
	s_abs_i32 s9, s2
	v_rcp_iflag_f32_e32 v1, v1
	s_mov_b32 s3, 0
	v_mul_f32_e32 v1, 0x4f7ffffe, v1
	v_cvt_u32_f32_e32 v1, v1
	s_nop 0
	v_readfirstlane_b32 s12, v1
	s_mul_i32 s10, s10, s12
	s_mul_hi_u32 s10, s12, s10
	s_add_i32 s12, s12, s10
	s_waitcnt lgkmcnt(0)
	s_cmp_eq_u64 s[6:7], 0
	s_mul_hi_u32 s10, s9, s12
	s_cbranch_scc1 .LBB264_3
; %bb.2:
	s_ashr_i32 s3, s2, 31
	s_lshl_b64 s[12:13], s[2:3], 2
	s_add_u32 s6, s6, s12
	s_addc_u32 s7, s7, s13
	s_load_dword s3, s[6:7], 0x0
.LBB264_3:
	s_load_dwordx4 s[16:19], s[0:1], 0x58
	s_ashr_i32 s12, s2, 31
	s_ashr_i32 s11, s11, 31
	v_and_b32_e32 v9, 3, v0
	s_lshl_b32 s28, s2, 6
	v_cmp_gt_u32_e32 vcc, 32, v0
	s_and_saveexec_b64 s[6:7], vcc
	s_cbranch_execz .LBB264_5
; %bb.4:
	s_load_dwordx2 s[14:15], s[0:1], 0x18
	s_waitcnt lgkmcnt(0)
	s_mul_i32 s20, s34, s16
	s_ashr_i32 s21, s20, 31
	s_lshl_b64 s[20:21], s[20:21], 1
	v_lshlrev_b32_e32 v1, 2, v0
	s_add_u32 s13, s14, s20
	s_addc_u32 s16, s15, s21
	s_ashr_i32 s29, s28, 31
	s_lshl_b64 s[14:15], s[28:29], 1
	s_add_u32 s14, s13, s14
	s_addc_u32 s15, s16, s15
	global_load_dword v1, v1, s[14:15]
	v_and_b32_e32 v2, 0x3fc, v0
	v_lshl_add_u32 v2, v9, 5, v2
	s_waitcnt vmcnt(0)
	ds_write_b32 v2, v1
.LBB264_5:
	s_or_b64 exec, exec, s[6:7]
	s_mul_i32 s7, s10, s8
	s_sub_i32 s7, s9, s7
	s_xor_b32 s6, s12, s11
	s_add_i32 s9, s10, 1
	s_sub_i32 s11, s7, s8
	s_load_dwordx4 s[20:23], s[0:1], 0x78
	s_cmp_ge_u32 s7, s8
	s_cselect_b32 s9, s9, s10
	s_cselect_b32 s7, s11, s7
	s_add_i32 s10, s9, 1
	s_cmp_ge_u32 s7, s8
	s_cselect_b32 s7, s10, s9
	s_load_dword s10, s[0:1], 0x88
	s_waitcnt lgkmcnt(0)
	s_abs_i32 s29, s23
	v_cvt_f32_u32_e32 v1, s29
	s_xor_b32 s7, s7, s6
	s_sub_i32 s54, s7, s6
	s_sub_i32 s6, 0, s29
	v_rcp_iflag_f32_e32 v1, v1
	s_add_i32 s11, s33, -1
	s_abs_i32 s8, s11
	v_mul_f32_e32 v1, 0x4f7ffffe, v1
	v_cvt_u32_f32_e32 v1, v1
	s_barrier
	v_readfirstlane_b32 s35, v1
	s_mul_i32 s6, s6, s35
	s_mul_hi_u32 s6, s35, s6
	s_add_i32 s35, s35, s6
	s_cmp_lt_i32 s10, 0
	s_mul_hi_u32 s9, s8, s35
	s_cbranch_scc0 .LBB264_7
; %bb.6:
	s_mul_i32 s6, s20, s42
	s_add_i32 s6, s54, s6
	s_mul_i32 s6, s6, s10
	s_sub_i32 s42, 1, s6
	s_mov_b64 s[6:7], 0
	s_branch .LBB264_8
.LBB264_7:
	s_mov_b64 s[6:7], -1
                                        ; implicit-def: $sgpr42
.LBB264_8:
	s_load_dwordx2 s[36:37], s[0:1], 0x38
	s_ashr_i32 s11, s11, 31
	s_andn2_b64 vcc, exec, s[6:7]
	s_ashr_i32 s23, s23, 31
	s_cbranch_vccnz .LBB264_10
; %bb.9:
	s_mul_i32 s6, s5, s20
	s_add_i32 s6, s6, s2
	s_mul_i32 s6, s6, s10
	s_add_i32 s42, s6, 1
.LBB264_10:
	s_load_dwordx2 s[40:41], s[0:1], 0x28
	s_load_dword s6, s[0:1], 0x48
	s_load_dwordx4 s[24:27], s[0:1], 0x0
	s_load_dwordx2 s[30:31], s[0:1], 0x10
	s_load_dword s20, s[0:1], 0x98
	s_load_dwordx4 s[12:15], s[0:1], 0x68
	s_mul_i32 s7, s9, s29
	s_waitcnt lgkmcnt(0)
	s_mul_i32 s38, s34, s6
	s_sub_i32 s7, s8, s7
	s_ashr_i32 s39, s38, 31
	s_xor_b32 s6, s11, s23
	s_add_i32 s8, s9, 1
	s_sub_i32 s10, s7, s29
	s_cmp_ge_u32 s7, s29
	s_cselect_b32 s8, s8, s9
	s_cselect_b32 s7, s10, s7
	s_add_i32 s9, s8, 1
	s_cmp_ge_u32 s7, s29
	s_cselect_b32 s7, s9, s8
	s_xor_b32 s7, s7, s6
	s_sub_i32 s53, s7, s6
	s_add_i32 s6, s33, 15
	s_ashr_i32 s7, s6, 31
	s_lshr_b32 s7, s7, 28
	s_add_i32 s6, s6, s7
	s_lshl_b32 s56, s4, 5
	s_ashr_i32 s16, s6, 4
	s_add_i32 s6, s56, 32
	v_lshrrev_b32_e32 v14, 6, v0
	s_min_i32 s52, s6, s16
	v_or_b32_e32 v2, s56, v14
	v_cmp_gt_i32_e64 s[8:9], s52, v2
	v_mov_b32_e32 v18, 0xff7fffff
	s_mul_i32 s54, s54, s18
	v_ashrrev_i32_e32 v3, 31, v2
	v_lshl_add_u32 v1, v14, 4, s55
	v_mbcnt_lo_u32_b32 v15, -1, 0
	s_and_saveexec_b64 s[18:19], s[8:9]
	s_cbranch_execz .LBB264_148
; %bb.11:
	s_load_dwordx2 s[0:1], s[0:1], 0x20
	s_sub_i32 s57, s53, s21
	s_ashr_i32 s6, s54, 31
	v_bfe_u32 v16, v0, 2, 4
	v_lshlrev_b32_e32 v4, 4, v16
	s_waitcnt lgkmcnt(0)
	s_add_u32 s0, s0, s54
	s_addc_u32 s1, s1, s6
	s_abs_i32 s58, s22
	v_cvt_f32_u32_e32 v6, s58
	v_mov_b32_e32 v5, 0
	v_cmp_eq_u32_e32 vcc, 0, v9
	s_mov_b32 s59, s17
	v_rcp_iflag_f32_e32 v10, v6
	v_lshl_add_u64 v[6:7], s[0:1], 0, v[4:5]
	s_sub_i32 s0, 0, s58
	v_lshlrev_b32_e32 v8, 1, v9
	v_mul_f32_e32 v4, 0x4f7ffffe, v10
	v_cvt_u32_f32_e32 v4, v4
	v_lshlrev_b32_e32 v17, 5, v9
	v_cmp_neq_f32_e64 s[6:7], s3, 0
	v_mov_b32_e32 v9, v5
	v_mul_lo_u32 v10, s0, v4
	v_mul_hi_u32 v10, v4, v10
	v_add_u32_e32 v19, v4, v10
	s_lshl_b64 s[0:1], s[38:39], 2
	v_lshlrev_b32_e32 v4, 2, v16
	s_add_u32 s0, s36, s0
	v_lshl_or_b32 v4, v14, 6, v4
	s_addc_u32 s1, s37, s1
	v_add_u32_e32 v21, 0x90, v4
	v_subrev_u32_e32 v4, s33, v16
	v_lshl_add_u64 v[10:11], v[2:3], 2, s[0:1]
	v_lshl_add_u32 v20, v14, 4, s55
	v_add_u32_e32 v22, 1, v4
	s_mov_b64 s[44:45], 0
	v_mov_b32_e32 v23, 0xff7fffff
	s_movk_i32 s60, 0x7f
	s_movk_i32 s61, 0x80
	s_mov_b32 s62, 0x8000
	v_mov_b32_e32 v24, 0x1c00
	v_mbcnt_hi_u32_b32 v25, -1, v15
	v_mov_b32_e32 v18, 0xff7fffff
	v_mov_b32_e32 v26, v2
	s_branch .LBB264_14
.LBB264_12:                             ;   in Loop: Header=BB264_14 Depth=1
	s_or_b64 exec, exec, s[46:47]
.LBB264_13:                             ;   in Loop: Header=BB264_14 Depth=1
	s_or_b64 exec, exec, s[10:11]
	v_add_u32_e32 v26, 2, v26
	v_cmp_le_i32_e64 s[0:1], s52, v26
	v_lshl_add_u64 v[10:11], v[10:11], 0, 8
	v_add_u32_e32 v20, 32, v20
	s_or_b64 s[44:45], s[0:1], s[44:45]
	v_add_u32_e32 v21, 0x80, v21
	s_andn2_b64 exec, exec, s[44:45]
	s_cbranch_execz .LBB264_147
.LBB264_14:                             ; =>This Inner Loop Header: Depth=1
	s_waitcnt lgkmcnt(0)
	v_sub_u32_e32 v12, 0, v20
	v_max_i32_e32 v12, v20, v12
	v_mul_hi_u32 v13, v12, s35
	v_mul_lo_u32 v27, v13, s29
	v_sub_u32_e32 v12, v12, v27
	v_add_u32_e32 v27, 1, v13
	v_cmp_le_u32_e64 s[0:1], s29, v12
	v_ashrrev_i32_e32 v4, 31, v20
	v_xor_b32_e32 v4, s23, v4
	v_cndmask_b32_e64 v13, v13, v27, s[0:1]
	v_subrev_u32_e32 v27, s29, v12
	v_cndmask_b32_e64 v12, v12, v27, s[0:1]
	v_add_u32_e32 v27, 1, v13
	v_cmp_le_u32_e64 s[0:1], s29, v12
	s_nop 1
	v_cndmask_b32_e64 v12, v13, v27, s[0:1]
	v_xor_b32_e32 v12, v12, v4
	v_sub_u32_e32 v4, v12, v4
	v_add_u32_e32 v12, s42, v4
	v_sub_u32_e32 v27, 0, v12
	v_ashrrev_i32_e32 v13, 31, v12
	v_max_i32_e32 v12, v12, v27
	v_mul_hi_u32 v27, v12, v19
	v_mul_lo_u32 v27, v27, s58
	v_sub_u32_e32 v12, v12, v27
	v_subrev_u32_e32 v27, s58, v12
	v_cmp_le_u32_e64 s[0:1], s58, v12
	v_cmp_ge_i32_e64 s[10:11], s57, v4
	s_nop 0
	v_cndmask_b32_e64 v12, v12, v27, s[0:1]
	v_subrev_u32_e32 v27, s58, v12
	v_cmp_le_u32_e64 s[0:1], s58, v12
	s_nop 1
	v_cndmask_b32_e64 v12, v12, v27, s[0:1]
	v_xor_b32_e32 v12, v12, v13
	v_sub_u32_e32 v12, v12, v13
	v_cmp_ne_u32_e64 s[0:1], 0, v12
	s_and_b64 s[0:1], s[0:1], s[10:11]
	s_and_b64 s[46:47], vcc, s[0:1]
	s_and_saveexec_b64 s[10:11], s[46:47]
	s_cbranch_execz .LBB264_16
; %bb.15:                               ;   in Loop: Header=BB264_14 Depth=1
	ds_write_b32 v21, v23
.LBB264_16:                             ;   in Loop: Header=BB264_14 Depth=1
	s_or_b64 exec, exec, s[10:11]
	s_xor_b64 s[0:1], s[0:1], -1
	s_and_saveexec_b64 s[10:11], s[0:1]
	s_cbranch_execz .LBB264_13
; %bb.17:                               ;   in Loop: Header=BB264_14 Depth=1
	global_load_dword v4, v[10:11], off
                                        ; implicit-def: $sgpr50
	s_waitcnt vmcnt(0)
	v_mad_i64_i32 v[12:13], s[0:1], v4, s59, v[6:7]
	v_lshl_add_u64 v[12:13], v[12:13], 0, v[8:9]
	global_load_ushort v4, v[12:13], off
	global_load_dword v27, v5, s[12:13]
	s_mov_b64 s[0:1], 0
	s_waitcnt vmcnt(1)
	v_cmp_gt_i16_sdwa s[46:47], v4, s60 src0_sel:BYTE_0 src1_sel:DWORD
	s_and_saveexec_b64 s[48:49], s[46:47]
	s_xor_b64 s[46:47], exec, s[48:49]
	s_cbranch_execnz .LBB264_83
; %bb.18:                               ;   in Loop: Header=BB264_14 Depth=1
	s_or_saveexec_b64 s[46:47], s[46:47]
	v_mov_b32_e32 v28, s50
	s_xor_b64 exec, exec, s[46:47]
	s_cbranch_execnz .LBB264_86
.LBB264_19:                             ;   in Loop: Header=BB264_14 Depth=1
	s_or_b64 exec, exec, s[46:47]
	v_and_b32_e32 v4, 0xffff, v4
	s_and_saveexec_b64 s[46:47], s[0:1]
	s_cbranch_execz .LBB264_21
.LBB264_20:                             ;   in Loop: Header=BB264_14 Depth=1
	v_and_b32_e32 v30, 7, v4
	v_ffbh_u32_e32 v28, v30
	v_min_u32_e32 v32, 32, v28
	v_subrev_u32_e32 v28, 28, v32
	v_bfe_u32 v31, v4, 3, 4
	v_lshlrev_b64 v[28:29], v28, v[4:5]
	v_sub_u32_e32 v29, 29, v32
	v_cmp_eq_u32_e64 s[0:1], 0, v31
	v_and_b32_e32 v28, 7, v28
	s_nop 0
	v_cndmask_b32_e64 v29, v31, v29, s[0:1]
	v_cndmask_b32_e64 v28, v30, v28, s[0:1]
	v_lshlrev_b32_e32 v30, 8, v4
	v_lshl_add_u32 v29, v29, 10, v24
	v_and_or_b32 v29, v30, s62, v29
	v_lshl_or_b32 v28, v28, 7, v29
	v_cvt_f32_f16_e32 v28, v28
.LBB264_21:                             ;   in Loop: Header=BB264_14 Depth=1
	s_or_b64 exec, exec, s[46:47]
	v_lshrrev_b16_e32 v4, 8, v4
	v_cmp_lt_i16_e64 s[0:1], s60, v4
	s_mov_b64 s[46:47], 0
                                        ; implicit-def: $sgpr63
	s_and_saveexec_b64 s[48:49], s[0:1]
	s_xor_b64 s[48:49], exec, s[48:49]
	s_cbranch_execnz .LBB264_87
; %bb.22:                               ;   in Loop: Header=BB264_14 Depth=1
	s_or_saveexec_b64 s[48:49], s[48:49]
	v_mov_b32_e32 v29, s63
	s_xor_b64 exec, exec, s[48:49]
	s_cbranch_execnz .LBB264_90
.LBB264_23:                             ;   in Loop: Header=BB264_14 Depth=1
	s_or_b64 exec, exec, s[48:49]
	s_and_saveexec_b64 s[48:49], s[46:47]
	s_cbranch_execz .LBB264_25
.LBB264_24:                             ;   in Loop: Header=BB264_14 Depth=1
	v_and_b32_e32 v29, 7, v4
	v_ffbh_u32_e32 v30, v29
	v_min_u32_e32 v33, 32, v30
	v_subrev_u32_e32 v30, 28, v33
	v_bfe_u32 v32, v4, 3, 4
	v_lshlrev_b64 v[30:31], v30, v[4:5]
	v_sub_u32_e32 v31, 29, v33
	v_cmp_eq_u32_e64 s[0:1], 0, v32
	v_and_b32_e32 v30, 7, v30
	v_lshlrev_b32_e32 v4, 8, v4
	v_cndmask_b32_e64 v31, v32, v31, s[0:1]
	v_cndmask_b32_e64 v29, v29, v30, s[0:1]
	v_lshl_add_u32 v30, v31, 10, v24
	v_and_or_b32 v4, v4, s62, v30
	v_lshl_or_b32 v4, v29, 7, v4
	v_cvt_f32_f16_e32 v29, v4
.LBB264_25:                             ;   in Loop: Header=BB264_14 Depth=1
	s_or_b64 exec, exec, s[48:49]
	global_load_ushort v4, v[12:13], off offset:8
	s_mov_b64 s[0:1], 0
                                        ; implicit-def: $sgpr50
	s_waitcnt vmcnt(0)
	v_cmp_gt_i16_sdwa s[46:47], v4, s60 src0_sel:BYTE_0 src1_sel:DWORD
	s_and_saveexec_b64 s[48:49], s[46:47]
	s_xor_b64 s[46:47], exec, s[48:49]
	s_cbranch_execnz .LBB264_91
; %bb.26:                               ;   in Loop: Header=BB264_14 Depth=1
	s_or_saveexec_b64 s[46:47], s[46:47]
	v_mov_b32_e32 v30, s50
	s_xor_b64 exec, exec, s[46:47]
	s_cbranch_execnz .LBB264_94
.LBB264_27:                             ;   in Loop: Header=BB264_14 Depth=1
	s_or_b64 exec, exec, s[46:47]
	v_and_b32_e32 v4, 0xffff, v4
	s_and_saveexec_b64 s[46:47], s[0:1]
	s_cbranch_execz .LBB264_29
.LBB264_28:                             ;   in Loop: Header=BB264_14 Depth=1
	v_and_b32_e32 v32, 7, v4
	v_ffbh_u32_e32 v30, v32
	v_min_u32_e32 v34, 32, v30
	v_subrev_u32_e32 v30, 28, v34
	v_bfe_u32 v33, v4, 3, 4
	v_lshlrev_b64 v[30:31], v30, v[4:5]
	v_sub_u32_e32 v31, 29, v34
	v_cmp_eq_u32_e64 s[0:1], 0, v33
	v_and_b32_e32 v30, 7, v30
	s_nop 0
	v_cndmask_b32_e64 v31, v33, v31, s[0:1]
	v_cndmask_b32_e64 v30, v32, v30, s[0:1]
	v_lshlrev_b32_e32 v32, 8, v4
	v_lshl_add_u32 v31, v31, 10, v24
	v_and_or_b32 v31, v32, s62, v31
	v_lshl_or_b32 v30, v30, 7, v31
	v_cvt_f32_f16_e32 v30, v30
.LBB264_29:                             ;   in Loop: Header=BB264_14 Depth=1
	s_or_b64 exec, exec, s[46:47]
	v_lshrrev_b16_e32 v4, 8, v4
	v_cmp_lt_i16_e64 s[0:1], s60, v4
	s_mov_b64 s[46:47], 0
                                        ; implicit-def: $sgpr63
	s_and_saveexec_b64 s[48:49], s[0:1]
	s_xor_b64 s[48:49], exec, s[48:49]
	s_cbranch_execnz .LBB264_95
; %bb.30:                               ;   in Loop: Header=BB264_14 Depth=1
	s_or_saveexec_b64 s[48:49], s[48:49]
	v_mov_b32_e32 v31, s63
	s_xor_b64 exec, exec, s[48:49]
	s_cbranch_execnz .LBB264_98
.LBB264_31:                             ;   in Loop: Header=BB264_14 Depth=1
	s_or_b64 exec, exec, s[48:49]
	s_and_saveexec_b64 s[48:49], s[46:47]
	s_cbranch_execz .LBB264_33
.LBB264_32:                             ;   in Loop: Header=BB264_14 Depth=1
	v_and_b32_e32 v31, 7, v4
	v_ffbh_u32_e32 v32, v31
	v_min_u32_e32 v35, 32, v32
	v_subrev_u32_e32 v32, 28, v35
	v_bfe_u32 v34, v4, 3, 4
	v_lshlrev_b64 v[32:33], v32, v[4:5]
	v_sub_u32_e32 v33, 29, v35
	v_cmp_eq_u32_e64 s[0:1], 0, v34
	v_and_b32_e32 v32, 7, v32
	v_lshlrev_b32_e32 v4, 8, v4
	v_cndmask_b32_e64 v33, v34, v33, s[0:1]
	v_cndmask_b32_e64 v31, v31, v32, s[0:1]
	v_lshl_add_u32 v32, v33, 10, v24
	v_and_or_b32 v4, v4, s62, v32
	v_lshl_or_b32 v4, v31, 7, v4
	v_cvt_f32_f16_e32 v31, v4
.LBB264_33:                             ;   in Loop: Header=BB264_14 Depth=1
	s_or_b64 exec, exec, s[48:49]
	global_load_ushort v4, v[12:13], off offset:256
	s_mov_b64 s[0:1], 0
                                        ; implicit-def: $sgpr50
	s_waitcnt vmcnt(0)
	v_cmp_gt_i16_sdwa s[46:47], v4, s60 src0_sel:BYTE_0 src1_sel:DWORD
	s_and_saveexec_b64 s[48:49], s[46:47]
	s_xor_b64 s[46:47], exec, s[48:49]
	s_cbranch_execnz .LBB264_99
; %bb.34:                               ;   in Loop: Header=BB264_14 Depth=1
	s_or_saveexec_b64 s[46:47], s[46:47]
	v_mov_b32_e32 v32, s50
	s_xor_b64 exec, exec, s[46:47]
	s_cbranch_execnz .LBB264_102
.LBB264_35:                             ;   in Loop: Header=BB264_14 Depth=1
	s_or_b64 exec, exec, s[46:47]
	v_and_b32_e32 v4, 0xffff, v4
	s_and_saveexec_b64 s[46:47], s[0:1]
	s_cbranch_execz .LBB264_37
.LBB264_36:                             ;   in Loop: Header=BB264_14 Depth=1
	v_and_b32_e32 v34, 7, v4
	v_ffbh_u32_e32 v32, v34
	v_min_u32_e32 v36, 32, v32
	v_subrev_u32_e32 v32, 28, v36
	v_bfe_u32 v35, v4, 3, 4
	v_lshlrev_b64 v[32:33], v32, v[4:5]
	v_sub_u32_e32 v33, 29, v36
	v_cmp_eq_u32_e64 s[0:1], 0, v35
	v_and_b32_e32 v32, 7, v32
	s_nop 0
	v_cndmask_b32_e64 v33, v35, v33, s[0:1]
	v_cndmask_b32_e64 v32, v34, v32, s[0:1]
	v_lshlrev_b32_e32 v34, 8, v4
	v_lshl_add_u32 v33, v33, 10, v24
	v_and_or_b32 v33, v34, s62, v33
	v_lshl_or_b32 v32, v32, 7, v33
	v_cvt_f32_f16_e32 v32, v32
.LBB264_37:                             ;   in Loop: Header=BB264_14 Depth=1
	s_or_b64 exec, exec, s[46:47]
	v_lshrrev_b16_e32 v4, 8, v4
	v_cmp_lt_i16_e64 s[0:1], s60, v4
	s_mov_b64 s[46:47], 0
                                        ; implicit-def: $sgpr63
	s_and_saveexec_b64 s[48:49], s[0:1]
	s_xor_b64 s[48:49], exec, s[48:49]
	s_cbranch_execnz .LBB264_103
; %bb.38:                               ;   in Loop: Header=BB264_14 Depth=1
	s_or_saveexec_b64 s[48:49], s[48:49]
	v_mov_b32_e32 v33, s63
	s_xor_b64 exec, exec, s[48:49]
	s_cbranch_execnz .LBB264_106
.LBB264_39:                             ;   in Loop: Header=BB264_14 Depth=1
	s_or_b64 exec, exec, s[48:49]
	s_and_saveexec_b64 s[48:49], s[46:47]
	s_cbranch_execz .LBB264_41
.LBB264_40:                             ;   in Loop: Header=BB264_14 Depth=1
	v_and_b32_e32 v33, 7, v4
	v_ffbh_u32_e32 v34, v33
	v_min_u32_e32 v37, 32, v34
	v_subrev_u32_e32 v34, 28, v37
	v_bfe_u32 v36, v4, 3, 4
	v_lshlrev_b64 v[34:35], v34, v[4:5]
	v_sub_u32_e32 v35, 29, v37
	v_cmp_eq_u32_e64 s[0:1], 0, v36
	v_and_b32_e32 v34, 7, v34
	v_lshlrev_b32_e32 v4, 8, v4
	v_cndmask_b32_e64 v35, v36, v35, s[0:1]
	v_cndmask_b32_e64 v33, v33, v34, s[0:1]
	v_lshl_add_u32 v34, v35, 10, v24
	v_and_or_b32 v4, v4, s62, v34
	v_lshl_or_b32 v4, v33, 7, v4
	v_cvt_f32_f16_e32 v33, v4
.LBB264_41:                             ;   in Loop: Header=BB264_14 Depth=1
	s_or_b64 exec, exec, s[48:49]
	global_load_ushort v4, v[12:13], off offset:264
	s_mov_b64 s[0:1], 0
                                        ; implicit-def: $sgpr50
	s_waitcnt vmcnt(0)
	v_cmp_gt_i16_sdwa s[46:47], v4, s60 src0_sel:BYTE_0 src1_sel:DWORD
	s_and_saveexec_b64 s[48:49], s[46:47]
	s_xor_b64 s[46:47], exec, s[48:49]
	s_cbranch_execnz .LBB264_107
; %bb.42:                               ;   in Loop: Header=BB264_14 Depth=1
	s_or_saveexec_b64 s[46:47], s[46:47]
	v_mov_b32_e32 v34, s50
	s_xor_b64 exec, exec, s[46:47]
	s_cbranch_execnz .LBB264_110
.LBB264_43:                             ;   in Loop: Header=BB264_14 Depth=1
	s_or_b64 exec, exec, s[46:47]
	v_and_b32_e32 v4, 0xffff, v4
	s_and_saveexec_b64 s[46:47], s[0:1]
	s_cbranch_execz .LBB264_45
.LBB264_44:                             ;   in Loop: Header=BB264_14 Depth=1
	v_and_b32_e32 v36, 7, v4
	v_ffbh_u32_e32 v34, v36
	v_min_u32_e32 v38, 32, v34
	v_subrev_u32_e32 v34, 28, v38
	v_bfe_u32 v37, v4, 3, 4
	v_lshlrev_b64 v[34:35], v34, v[4:5]
	v_sub_u32_e32 v35, 29, v38
	v_cmp_eq_u32_e64 s[0:1], 0, v37
	v_and_b32_e32 v34, 7, v34
	s_nop 0
	v_cndmask_b32_e64 v35, v37, v35, s[0:1]
	v_cndmask_b32_e64 v34, v36, v34, s[0:1]
	v_lshlrev_b32_e32 v36, 8, v4
	v_lshl_add_u32 v35, v35, 10, v24
	v_and_or_b32 v35, v36, s62, v35
	v_lshl_or_b32 v34, v34, 7, v35
	v_cvt_f32_f16_e32 v34, v34
.LBB264_45:                             ;   in Loop: Header=BB264_14 Depth=1
	s_or_b64 exec, exec, s[46:47]
	v_lshrrev_b16_e32 v4, 8, v4
	v_cmp_lt_i16_e64 s[0:1], s60, v4
	s_mov_b64 s[46:47], 0
                                        ; implicit-def: $sgpr63
	s_and_saveexec_b64 s[48:49], s[0:1]
	s_xor_b64 s[48:49], exec, s[48:49]
	s_cbranch_execnz .LBB264_111
; %bb.46:                               ;   in Loop: Header=BB264_14 Depth=1
	s_or_saveexec_b64 s[48:49], s[48:49]
	v_mov_b32_e32 v35, s63
	s_xor_b64 exec, exec, s[48:49]
	s_cbranch_execnz .LBB264_114
.LBB264_47:                             ;   in Loop: Header=BB264_14 Depth=1
	s_or_b64 exec, exec, s[48:49]
	s_and_saveexec_b64 s[48:49], s[46:47]
	s_cbranch_execz .LBB264_49
.LBB264_48:                             ;   in Loop: Header=BB264_14 Depth=1
	v_and_b32_e32 v35, 7, v4
	v_ffbh_u32_e32 v36, v35
	v_min_u32_e32 v39, 32, v36
	v_subrev_u32_e32 v36, 28, v39
	v_bfe_u32 v38, v4, 3, 4
	v_lshlrev_b64 v[36:37], v36, v[4:5]
	v_sub_u32_e32 v37, 29, v39
	v_cmp_eq_u32_e64 s[0:1], 0, v38
	v_and_b32_e32 v36, 7, v36
	v_lshlrev_b32_e32 v4, 8, v4
	v_cndmask_b32_e64 v37, v38, v37, s[0:1]
	v_cndmask_b32_e64 v35, v35, v36, s[0:1]
	v_lshl_add_u32 v36, v37, 10, v24
	v_and_or_b32 v4, v4, s62, v36
	v_lshl_or_b32 v4, v35, 7, v4
	v_cvt_f32_f16_e32 v35, v4
.LBB264_49:                             ;   in Loop: Header=BB264_14 Depth=1
	s_or_b64 exec, exec, s[48:49]
	global_load_ushort v4, v[12:13], off offset:512
	s_mov_b64 s[0:1], 0
                                        ; implicit-def: $sgpr50
	s_waitcnt vmcnt(0)
	v_cmp_gt_i16_sdwa s[46:47], v4, s60 src0_sel:BYTE_0 src1_sel:DWORD
	s_and_saveexec_b64 s[48:49], s[46:47]
	s_xor_b64 s[46:47], exec, s[48:49]
	s_cbranch_execnz .LBB264_115
; %bb.50:                               ;   in Loop: Header=BB264_14 Depth=1
	s_or_saveexec_b64 s[46:47], s[46:47]
	v_mov_b32_e32 v36, s50
	s_xor_b64 exec, exec, s[46:47]
	s_cbranch_execnz .LBB264_118
.LBB264_51:                             ;   in Loop: Header=BB264_14 Depth=1
	s_or_b64 exec, exec, s[46:47]
	v_and_b32_e32 v4, 0xffff, v4
	s_and_saveexec_b64 s[46:47], s[0:1]
	s_cbranch_execz .LBB264_53
.LBB264_52:                             ;   in Loop: Header=BB264_14 Depth=1
	v_and_b32_e32 v38, 7, v4
	v_ffbh_u32_e32 v36, v38
	v_min_u32_e32 v40, 32, v36
	v_subrev_u32_e32 v36, 28, v40
	v_bfe_u32 v39, v4, 3, 4
	v_lshlrev_b64 v[36:37], v36, v[4:5]
	v_sub_u32_e32 v37, 29, v40
	v_cmp_eq_u32_e64 s[0:1], 0, v39
	v_and_b32_e32 v36, 7, v36
	s_nop 0
	v_cndmask_b32_e64 v37, v39, v37, s[0:1]
	v_cndmask_b32_e64 v36, v38, v36, s[0:1]
	v_lshlrev_b32_e32 v38, 8, v4
	v_lshl_add_u32 v37, v37, 10, v24
	v_and_or_b32 v37, v38, s62, v37
	v_lshl_or_b32 v36, v36, 7, v37
	v_cvt_f32_f16_e32 v36, v36
.LBB264_53:                             ;   in Loop: Header=BB264_14 Depth=1
	s_or_b64 exec, exec, s[46:47]
	v_lshrrev_b16_e32 v4, 8, v4
	v_cmp_lt_i16_e64 s[0:1], s60, v4
	s_mov_b64 s[46:47], 0
                                        ; implicit-def: $sgpr63
	s_and_saveexec_b64 s[48:49], s[0:1]
	s_xor_b64 s[48:49], exec, s[48:49]
	s_cbranch_execnz .LBB264_119
; %bb.54:                               ;   in Loop: Header=BB264_14 Depth=1
	s_or_saveexec_b64 s[48:49], s[48:49]
	v_mov_b32_e32 v37, s63
	s_xor_b64 exec, exec, s[48:49]
	s_cbranch_execnz .LBB264_122
.LBB264_55:                             ;   in Loop: Header=BB264_14 Depth=1
	s_or_b64 exec, exec, s[48:49]
	s_and_saveexec_b64 s[48:49], s[46:47]
	s_cbranch_execz .LBB264_57
.LBB264_56:                             ;   in Loop: Header=BB264_14 Depth=1
	v_and_b32_e32 v37, 7, v4
	v_ffbh_u32_e32 v38, v37
	v_min_u32_e32 v41, 32, v38
	v_subrev_u32_e32 v38, 28, v41
	v_bfe_u32 v40, v4, 3, 4
	v_lshlrev_b64 v[38:39], v38, v[4:5]
	v_sub_u32_e32 v39, 29, v41
	v_cmp_eq_u32_e64 s[0:1], 0, v40
	v_and_b32_e32 v38, 7, v38
	v_lshlrev_b32_e32 v4, 8, v4
	v_cndmask_b32_e64 v39, v40, v39, s[0:1]
	v_cndmask_b32_e64 v37, v37, v38, s[0:1]
	v_lshl_add_u32 v38, v39, 10, v24
	v_and_or_b32 v4, v4, s62, v38
	v_lshl_or_b32 v4, v37, 7, v4
	v_cvt_f32_f16_e32 v37, v4
.LBB264_57:                             ;   in Loop: Header=BB264_14 Depth=1
	s_or_b64 exec, exec, s[48:49]
	global_load_ushort v4, v[12:13], off offset:520
	s_mov_b64 s[0:1], 0
                                        ; implicit-def: $sgpr50
	s_waitcnt vmcnt(0)
	v_cmp_gt_i16_sdwa s[46:47], v4, s60 src0_sel:BYTE_0 src1_sel:DWORD
	s_and_saveexec_b64 s[48:49], s[46:47]
	s_xor_b64 s[46:47], exec, s[48:49]
	s_cbranch_execnz .LBB264_123
; %bb.58:                               ;   in Loop: Header=BB264_14 Depth=1
	s_or_saveexec_b64 s[46:47], s[46:47]
	v_mov_b32_e32 v38, s50
	s_xor_b64 exec, exec, s[46:47]
	s_cbranch_execnz .LBB264_126
.LBB264_59:                             ;   in Loop: Header=BB264_14 Depth=1
	s_or_b64 exec, exec, s[46:47]
	v_and_b32_e32 v4, 0xffff, v4
	s_and_saveexec_b64 s[46:47], s[0:1]
	s_cbranch_execz .LBB264_61
.LBB264_60:                             ;   in Loop: Header=BB264_14 Depth=1
	v_and_b32_e32 v40, 7, v4
	v_ffbh_u32_e32 v38, v40
	v_min_u32_e32 v42, 32, v38
	v_subrev_u32_e32 v38, 28, v42
	v_bfe_u32 v41, v4, 3, 4
	v_lshlrev_b64 v[38:39], v38, v[4:5]
	v_sub_u32_e32 v39, 29, v42
	v_cmp_eq_u32_e64 s[0:1], 0, v41
	v_and_b32_e32 v38, 7, v38
	s_nop 0
	v_cndmask_b32_e64 v39, v41, v39, s[0:1]
	v_cndmask_b32_e64 v38, v40, v38, s[0:1]
	v_lshlrev_b32_e32 v40, 8, v4
	v_lshl_add_u32 v39, v39, 10, v24
	v_and_or_b32 v39, v40, s62, v39
	v_lshl_or_b32 v38, v38, 7, v39
	v_cvt_f32_f16_e32 v38, v38
.LBB264_61:                             ;   in Loop: Header=BB264_14 Depth=1
	s_or_b64 exec, exec, s[46:47]
	v_lshrrev_b16_e32 v4, 8, v4
	v_cmp_lt_i16_e64 s[0:1], s60, v4
	s_mov_b64 s[46:47], 0
                                        ; implicit-def: $sgpr63
	s_and_saveexec_b64 s[48:49], s[0:1]
	s_xor_b64 s[48:49], exec, s[48:49]
	s_cbranch_execnz .LBB264_127
; %bb.62:                               ;   in Loop: Header=BB264_14 Depth=1
	s_or_saveexec_b64 s[48:49], s[48:49]
	v_mov_b32_e32 v39, s63
	s_xor_b64 exec, exec, s[48:49]
	s_cbranch_execnz .LBB264_130
.LBB264_63:                             ;   in Loop: Header=BB264_14 Depth=1
	s_or_b64 exec, exec, s[48:49]
	s_and_saveexec_b64 s[48:49], s[46:47]
	s_cbranch_execz .LBB264_65
.LBB264_64:                             ;   in Loop: Header=BB264_14 Depth=1
	v_and_b32_e32 v39, 7, v4
	v_ffbh_u32_e32 v40, v39
	v_min_u32_e32 v43, 32, v40
	v_subrev_u32_e32 v40, 28, v43
	v_bfe_u32 v42, v4, 3, 4
	v_lshlrev_b64 v[40:41], v40, v[4:5]
	v_sub_u32_e32 v41, 29, v43
	v_cmp_eq_u32_e64 s[0:1], 0, v42
	v_and_b32_e32 v40, 7, v40
	v_lshlrev_b32_e32 v4, 8, v4
	v_cndmask_b32_e64 v41, v42, v41, s[0:1]
	v_cndmask_b32_e64 v39, v39, v40, s[0:1]
	v_lshl_add_u32 v40, v41, 10, v24
	v_and_or_b32 v4, v4, s62, v40
	v_lshl_or_b32 v4, v39, 7, v4
	v_cvt_f32_f16_e32 v39, v4
.LBB264_65:                             ;   in Loop: Header=BB264_14 Depth=1
	s_or_b64 exec, exec, s[48:49]
	global_load_ushort v4, v[12:13], off offset:768
	s_mov_b64 s[0:1], 0
                                        ; implicit-def: $sgpr50
	s_waitcnt vmcnt(0)
	v_cmp_gt_i16_sdwa s[46:47], v4, s60 src0_sel:BYTE_0 src1_sel:DWORD
	s_and_saveexec_b64 s[48:49], s[46:47]
	s_xor_b64 s[46:47], exec, s[48:49]
	s_cbranch_execnz .LBB264_131
; %bb.66:                               ;   in Loop: Header=BB264_14 Depth=1
	s_or_saveexec_b64 s[46:47], s[46:47]
	v_mov_b32_e32 v40, s50
	s_xor_b64 exec, exec, s[46:47]
	s_cbranch_execnz .LBB264_134
.LBB264_67:                             ;   in Loop: Header=BB264_14 Depth=1
	s_or_b64 exec, exec, s[46:47]
	v_and_b32_e32 v4, 0xffff, v4
	s_and_saveexec_b64 s[46:47], s[0:1]
	s_cbranch_execz .LBB264_69
.LBB264_68:                             ;   in Loop: Header=BB264_14 Depth=1
	v_and_b32_e32 v42, 7, v4
	v_ffbh_u32_e32 v40, v42
	v_min_u32_e32 v44, 32, v40
	v_subrev_u32_e32 v40, 28, v44
	v_bfe_u32 v43, v4, 3, 4
	v_lshlrev_b64 v[40:41], v40, v[4:5]
	v_sub_u32_e32 v41, 29, v44
	v_cmp_eq_u32_e64 s[0:1], 0, v43
	v_and_b32_e32 v40, 7, v40
	s_nop 0
	v_cndmask_b32_e64 v41, v43, v41, s[0:1]
	v_cndmask_b32_e64 v40, v42, v40, s[0:1]
	v_lshlrev_b32_e32 v42, 8, v4
	v_lshl_add_u32 v41, v41, 10, v24
	v_and_or_b32 v41, v42, s62, v41
	v_lshl_or_b32 v40, v40, 7, v41
	v_cvt_f32_f16_e32 v40, v40
.LBB264_69:                             ;   in Loop: Header=BB264_14 Depth=1
	s_or_b64 exec, exec, s[46:47]
	v_lshrrev_b16_e32 v4, 8, v4
	v_cmp_lt_i16_e64 s[0:1], s60, v4
	s_mov_b64 s[46:47], 0
                                        ; implicit-def: $sgpr63
	s_and_saveexec_b64 s[48:49], s[0:1]
	s_xor_b64 s[48:49], exec, s[48:49]
	s_cbranch_execnz .LBB264_135
; %bb.70:                               ;   in Loop: Header=BB264_14 Depth=1
	s_or_saveexec_b64 s[48:49], s[48:49]
	v_mov_b32_e32 v41, s63
	s_xor_b64 exec, exec, s[48:49]
	s_cbranch_execnz .LBB264_138
.LBB264_71:                             ;   in Loop: Header=BB264_14 Depth=1
	s_or_b64 exec, exec, s[48:49]
	s_and_saveexec_b64 s[48:49], s[46:47]
	s_cbranch_execz .LBB264_73
.LBB264_72:                             ;   in Loop: Header=BB264_14 Depth=1
	v_and_b32_e32 v41, 7, v4
	v_ffbh_u32_e32 v42, v41
	v_min_u32_e32 v45, 32, v42
	v_subrev_u32_e32 v42, 28, v45
	v_bfe_u32 v44, v4, 3, 4
	v_lshlrev_b64 v[42:43], v42, v[4:5]
	v_sub_u32_e32 v43, 29, v45
	v_cmp_eq_u32_e64 s[0:1], 0, v44
	v_and_b32_e32 v42, 7, v42
	v_lshlrev_b32_e32 v4, 8, v4
	v_cndmask_b32_e64 v43, v44, v43, s[0:1]
	v_cndmask_b32_e64 v41, v41, v42, s[0:1]
	v_lshl_add_u32 v42, v43, 10, v24
	v_and_or_b32 v4, v4, s62, v42
	v_lshl_or_b32 v4, v41, 7, v4
	v_cvt_f32_f16_e32 v41, v4
.LBB264_73:                             ;   in Loop: Header=BB264_14 Depth=1
	s_or_b64 exec, exec, s[48:49]
	global_load_ushort v4, v[12:13], off offset:776
	s_mov_b64 s[0:1], 0
                                        ; implicit-def: $sgpr50
	s_waitcnt vmcnt(0)
	v_cmp_gt_i16_sdwa s[46:47], v4, s60 src0_sel:BYTE_0 src1_sel:DWORD
	s_and_saveexec_b64 s[48:49], s[46:47]
	s_xor_b64 s[46:47], exec, s[48:49]
	s_cbranch_execnz .LBB264_139
; %bb.74:                               ;   in Loop: Header=BB264_14 Depth=1
	s_or_saveexec_b64 s[46:47], s[46:47]
	v_mov_b32_e32 v12, s50
	s_xor_b64 exec, exec, s[46:47]
	s_cbranch_execnz .LBB264_142
.LBB264_75:                             ;   in Loop: Header=BB264_14 Depth=1
	s_or_b64 exec, exec, s[46:47]
	v_and_b32_e32 v4, 0xffff, v4
	s_and_saveexec_b64 s[46:47], s[0:1]
	s_cbranch_execz .LBB264_77
.LBB264_76:                             ;   in Loop: Header=BB264_14 Depth=1
	v_and_b32_e32 v42, 7, v4
	v_ffbh_u32_e32 v12, v42
	v_min_u32_e32 v44, 32, v12
	v_subrev_u32_e32 v12, 28, v44
	v_bfe_u32 v43, v4, 3, 4
	v_lshlrev_b64 v[12:13], v12, v[4:5]
	v_sub_u32_e32 v13, 29, v44
	v_cmp_eq_u32_e64 s[0:1], 0, v43
	v_and_b32_e32 v12, 7, v12
	s_nop 0
	v_cndmask_b32_e64 v13, v43, v13, s[0:1]
	v_cndmask_b32_e64 v12, v42, v12, s[0:1]
	v_lshlrev_b32_e32 v42, 8, v4
	v_lshl_add_u32 v13, v13, 10, v24
	v_and_or_b32 v13, v42, s62, v13
	v_lshl_or_b32 v12, v12, 7, v13
	v_cvt_f32_f16_e32 v12, v12
.LBB264_77:                             ;   in Loop: Header=BB264_14 Depth=1
	s_or_b64 exec, exec, s[46:47]
	v_lshrrev_b16_e32 v4, 8, v4
	v_cmp_lt_i16_e64 s[0:1], s60, v4
	s_mov_b64 s[46:47], 0
                                        ; implicit-def: $sgpr63
	s_and_saveexec_b64 s[48:49], s[0:1]
	s_xor_b64 s[48:49], exec, s[48:49]
	s_cbranch_execnz .LBB264_143
; %bb.78:                               ;   in Loop: Header=BB264_14 Depth=1
	s_or_saveexec_b64 s[48:49], s[48:49]
	v_mov_b32_e32 v13, s63
	s_xor_b64 exec, exec, s[48:49]
	s_cbranch_execnz .LBB264_146
.LBB264_79:                             ;   in Loop: Header=BB264_14 Depth=1
	s_or_b64 exec, exec, s[48:49]
	s_and_saveexec_b64 s[48:49], s[46:47]
	s_cbranch_execz .LBB264_81
.LBB264_80:                             ;   in Loop: Header=BB264_14 Depth=1
	v_and_b32_e32 v13, 7, v4
	v_ffbh_u32_e32 v42, v13
	v_min_u32_e32 v45, 32, v42
	v_subrev_u32_e32 v42, 28, v45
	v_bfe_u32 v44, v4, 3, 4
	v_lshlrev_b64 v[42:43], v42, v[4:5]
	v_sub_u32_e32 v43, 29, v45
	v_cmp_eq_u32_e64 s[0:1], 0, v44
	v_and_b32_e32 v42, 7, v42
	v_lshlrev_b32_e32 v4, 8, v4
	v_cndmask_b32_e64 v43, v44, v43, s[0:1]
	v_cndmask_b32_e64 v13, v13, v42, s[0:1]
	v_lshl_add_u32 v42, v43, 10, v24
	v_and_or_b32 v4, v4, s62, v42
	v_lshl_or_b32 v4, v13, 7, v4
	v_cvt_f32_f16_e32 v13, v4
.LBB264_81:                             ;   in Loop: Header=BB264_14 Depth=1
	s_or_b64 exec, exec, s[48:49]
	ds_read_b32 v4, v17
	v_fma_mixlo_f16 v28, v27, v28, 0
	v_fma_mixlo_f16 v29, v27, v29, 0
	v_and_b32_e32 v28, 0xffff, v28
	v_and_b32_e32 v29, 0xffff, v29
	s_waitcnt lgkmcnt(0)
	v_lshrrev_b32_e32 v42, 16, v4
	v_and_b32_e32 v4, 0xffff, v4
	;;#ASMSTART
	v_cvt_f32_f16 v4, v4;
	;;#ASMEND
	;;#ASMSTART
	v_cvt_f32_f16 v42, v42;
	;;#ASMEND
	;;#ASMSTART
	v_cvt_f32_f16 v28, v28;
	;;#ASMEND
	;;#ASMSTART
	v_cvt_f32_f16 v29, v29;
	;;#ASMEND
	ds_read_b32 v43, v17 offset:4
	v_fma_mixlo_f16 v30, v27, v30, 0
	v_fma_mixlo_f16 v31, v27, v31, 0
	v_and_b32_e32 v30, 0xffff, v30
	v_and_b32_e32 v31, 0xffff, v31
	s_waitcnt lgkmcnt(0)
	v_lshrrev_b32_e32 v44, 16, v43
	v_and_b32_e32 v43, 0xffff, v43
	;;#ASMSTART
	v_cvt_f32_f16 v43, v43;
	;;#ASMEND
	;;#ASMSTART
	v_cvt_f32_f16 v44, v44;
	;;#ASMEND
	;;#ASMSTART
	v_cvt_f32_f16 v30, v30;
	;;#ASMEND
	;;#ASMSTART
	v_cvt_f32_f16 v31, v31;
	;;#ASMEND
	ds_read_b32 v45, v17 offset:8
	;; [unrolled: 20-line block ×4, first 2 shown]
	v_fma_mixlo_f16 v40, v27, v40, 0
	v_fma_mixlo_f16 v41, v27, v41, 0
	;; [unrolled: 1-line block ×8, first 2 shown]
	v_mul_f32_e32 v27, v43, v30
	v_fmac_f32_e32 v27, v4, v28
	s_waitcnt lgkmcnt(0)
	v_lshrrev_b32_e32 v4, 16, v49
	v_and_b32_e32 v28, 0xffff, v49
	v_and_b32_e32 v30, 0xffff, v36
	;; [unrolled: 1-line block ×3, first 2 shown]
	;;#ASMSTART
	v_cvt_f32_f16 v28, v28;
	;;#ASMEND
	;;#ASMSTART
	v_cvt_f32_f16 v4, v4;
	;;#ASMEND
	;; [unrolled: 3-line block ×4, first 2 shown]
	ds_read_b32 v37, v17 offset:20
	v_mul_f32_e32 v31, v44, v31
	v_fmac_f32_e32 v31, v42, v29
	v_fmac_f32_e32 v27, v45, v32
	;; [unrolled: 1-line block ×3, first 2 shown]
	s_waitcnt lgkmcnt(0)
	v_lshrrev_b32_e32 v29, 16, v37
	v_and_b32_e32 v32, 0xffff, v37
	v_and_b32_e32 v33, 0xffff, v38
	v_and_b32_e32 v37, 0xffff, v39
	;;#ASMSTART
	v_cvt_f32_f16 v32, v32;
	;;#ASMEND
	;;#ASMSTART
	v_cvt_f32_f16 v29, v29;
	;;#ASMEND
	;; [unrolled: 3-line block ×4, first 2 shown]
	ds_read_b32 v38, v17 offset:24
	v_fmac_f32_e32 v27, v47, v34
	v_fmac_f32_e32 v31, v48, v35
	v_fmac_f32_e32 v27, v28, v30
	v_fmac_f32_e32 v31, v4, v36
	s_waitcnt lgkmcnt(0)
	v_lshrrev_b32_e32 v4, 16, v38
	v_and_b32_e32 v28, 0xffff, v38
	v_and_b32_e32 v30, 0xffff, v40
	;; [unrolled: 1-line block ×3, first 2 shown]
	;;#ASMSTART
	v_cvt_f32_f16 v28, v28;
	;;#ASMEND
	;;#ASMSTART
	v_cvt_f32_f16 v4, v4;
	;;#ASMEND
	;; [unrolled: 3-line block ×4, first 2 shown]
	ds_read_b32 v35, v17 offset:28
	v_fmac_f32_e32 v27, v32, v33
	v_fmac_f32_e32 v31, v29, v37
	;; [unrolled: 1-line block ×4, first 2 shown]
	s_waitcnt lgkmcnt(0)
	v_lshrrev_b32_e32 v4, 16, v35
	v_and_b32_e32 v28, 0xffff, v35
	v_and_b32_e32 v12, 0xffff, v12
	;;#ASMSTART
	v_cvt_f32_f16 v28, v28;
	;;#ASMEND
	;;#ASMSTART
	v_cvt_f32_f16 v4, v4;
	;;#ASMEND
	;; [unrolled: 3-line block ×3, first 2 shown]
	v_and_b32_e32 v13, 0xffff, v13
	;;#ASMSTART
	v_cvt_f32_f16 v13, v13;
	;;#ASMEND
	v_fmac_f32_e32 v27, v28, v12
	v_and_b32_e32 v12, 64, v25
	v_fmac_f32_e32 v31, v4, v13
	v_add_u32_e32 v12, 64, v12
	v_xor_b32_e32 v13, 2, v25
	v_cmp_lt_i32_e64 s[0:1], v13, v12
	v_add_f32_e32 v4, v27, v31
	s_nop 0
	v_cndmask_b32_e64 v13, v25, v13, s[0:1]
	v_lshlrev_b32_e32 v13, 2, v13
	ds_bpermute_b32 v13, v13, v4
	s_waitcnt lgkmcnt(0)
	v_add_f32_e32 v4, v4, v13
	v_xor_b32_e32 v13, 1, v25
	v_cmp_lt_i32_e64 s[0:1], v13, v12
	s_nop 1
	v_cndmask_b32_e64 v12, v25, v13, s[0:1]
	v_lshlrev_b32_e32 v12, 2, v12
	ds_bpermute_b32 v12, v12, v4
	s_and_saveexec_b64 s[46:47], vcc
	s_cbranch_execz .LBB264_12
; %bb.82:                               ;   in Loop: Header=BB264_14 Depth=1
	v_add_u32_e32 v13, v22, v20
	v_cvt_f32_i32_e32 v13, v13
	s_waitcnt lgkmcnt(0)
	v_add_f32_e32 v4, v4, v12
	v_add_u32_e32 v27, v16, v20
	v_cmp_gt_i32_e64 s[0:1], s33, v27
	v_mul_f32_e32 v12, s3, v13
	v_cndmask_b32_e64 v12, 0, v12, s[6:7]
	v_fmac_f32_e32 v12, s43, v4
	v_cndmask_b32_e64 v4, 0, v12, s[0:1]
	ds_write_b32 v21, v4
	v_max_f32_e32 v4, v18, v18
	v_max_f32_e32 v4, v4, v12
	v_cndmask_b32_e64 v18, v18, v4, s[0:1]
	s_branch .LBB264_12
.LBB264_83:                             ;   in Loop: Header=BB264_14 Depth=1
	v_cmp_eq_u16_sdwa s[64:65], v4, s61 src0_sel:BYTE_0 src1_sel:DWORD
	s_mov_b64 s[0:1], -1
                                        ; implicit-def: $sgpr50
	s_and_saveexec_b64 s[48:49], s[64:65]
; %bb.84:                               ;   in Loop: Header=BB264_14 Depth=1
	s_mov_b32 s50, 0x7fc02000
	s_xor_b64 s[0:1], exec, -1
; %bb.85:                               ;   in Loop: Header=BB264_14 Depth=1
	s_or_b64 exec, exec, s[48:49]
	s_and_b64 s[0:1], s[0:1], exec
	s_or_saveexec_b64 s[46:47], s[46:47]
	v_mov_b32_e32 v28, s50
	s_xor_b64 exec, exec, s[46:47]
	s_cbranch_execz .LBB264_19
.LBB264_86:                             ;   in Loop: Header=BB264_14 Depth=1
	v_cmp_ne_u16_sdwa s[48:49], v4, v5 src0_sel:BYTE_0 src1_sel:DWORD
	s_andn2_b64 s[0:1], s[0:1], exec
	s_and_b64 s[48:49], s[48:49], exec
	v_mov_b32_e32 v28, 0
	s_or_b64 s[0:1], s[0:1], s[48:49]
	s_or_b64 exec, exec, s[46:47]
	v_and_b32_e32 v4, 0xffff, v4
	s_and_saveexec_b64 s[46:47], s[0:1]
	s_cbranch_execnz .LBB264_20
	s_branch .LBB264_21
.LBB264_87:                             ;   in Loop: Header=BB264_14 Depth=1
	v_cmp_eq_u16_e64 s[0:1], s61, v4
	s_mov_b64 s[46:47], -1
                                        ; implicit-def: $sgpr63
	s_and_saveexec_b64 s[50:51], s[0:1]
; %bb.88:                               ;   in Loop: Header=BB264_14 Depth=1
	s_mov_b32 s63, 0x7fc02000
	s_xor_b64 s[46:47], exec, -1
; %bb.89:                               ;   in Loop: Header=BB264_14 Depth=1
	s_or_b64 exec, exec, s[50:51]
	s_and_b64 s[46:47], s[46:47], exec
	s_or_saveexec_b64 s[48:49], s[48:49]
	v_mov_b32_e32 v29, s63
	s_xor_b64 exec, exec, s[48:49]
	s_cbranch_execz .LBB264_23
.LBB264_90:                             ;   in Loop: Header=BB264_14 Depth=1
	v_cmp_ne_u16_e64 s[0:1], 0, v4
	s_andn2_b64 s[46:47], s[46:47], exec
	s_and_b64 s[0:1], s[0:1], exec
	v_mov_b32_e32 v29, 0
	s_or_b64 s[46:47], s[46:47], s[0:1]
	s_or_b64 exec, exec, s[48:49]
	s_and_saveexec_b64 s[48:49], s[46:47]
	s_cbranch_execnz .LBB264_24
	s_branch .LBB264_25
.LBB264_91:                             ;   in Loop: Header=BB264_14 Depth=1
	v_cmp_eq_u16_sdwa s[64:65], v4, s61 src0_sel:BYTE_0 src1_sel:DWORD
	s_mov_b64 s[0:1], -1
                                        ; implicit-def: $sgpr50
	s_and_saveexec_b64 s[48:49], s[64:65]
; %bb.92:                               ;   in Loop: Header=BB264_14 Depth=1
	s_mov_b32 s50, 0x7fc02000
	s_xor_b64 s[0:1], exec, -1
; %bb.93:                               ;   in Loop: Header=BB264_14 Depth=1
	s_or_b64 exec, exec, s[48:49]
	s_and_b64 s[0:1], s[0:1], exec
	s_or_saveexec_b64 s[46:47], s[46:47]
	v_mov_b32_e32 v30, s50
	s_xor_b64 exec, exec, s[46:47]
	s_cbranch_execz .LBB264_27
.LBB264_94:                             ;   in Loop: Header=BB264_14 Depth=1
	v_cmp_ne_u16_sdwa s[48:49], v4, v5 src0_sel:BYTE_0 src1_sel:DWORD
	s_andn2_b64 s[0:1], s[0:1], exec
	s_and_b64 s[48:49], s[48:49], exec
	v_mov_b32_e32 v30, 0
	s_or_b64 s[0:1], s[0:1], s[48:49]
	s_or_b64 exec, exec, s[46:47]
	v_and_b32_e32 v4, 0xffff, v4
	s_and_saveexec_b64 s[46:47], s[0:1]
	s_cbranch_execnz .LBB264_28
	s_branch .LBB264_29
.LBB264_95:                             ;   in Loop: Header=BB264_14 Depth=1
	v_cmp_eq_u16_e64 s[0:1], s61, v4
	s_mov_b64 s[46:47], -1
                                        ; implicit-def: $sgpr63
	s_and_saveexec_b64 s[50:51], s[0:1]
; %bb.96:                               ;   in Loop: Header=BB264_14 Depth=1
	s_mov_b32 s63, 0x7fc02000
	s_xor_b64 s[46:47], exec, -1
; %bb.97:                               ;   in Loop: Header=BB264_14 Depth=1
	s_or_b64 exec, exec, s[50:51]
	s_and_b64 s[46:47], s[46:47], exec
	s_or_saveexec_b64 s[48:49], s[48:49]
	v_mov_b32_e32 v31, s63
	s_xor_b64 exec, exec, s[48:49]
	s_cbranch_execz .LBB264_31
.LBB264_98:                             ;   in Loop: Header=BB264_14 Depth=1
	v_cmp_ne_u16_e64 s[0:1], 0, v4
	s_andn2_b64 s[46:47], s[46:47], exec
	s_and_b64 s[0:1], s[0:1], exec
	v_mov_b32_e32 v31, 0
	s_or_b64 s[46:47], s[46:47], s[0:1]
	s_or_b64 exec, exec, s[48:49]
	s_and_saveexec_b64 s[48:49], s[46:47]
	s_cbranch_execnz .LBB264_32
	s_branch .LBB264_33
.LBB264_99:                             ;   in Loop: Header=BB264_14 Depth=1
	v_cmp_eq_u16_sdwa s[64:65], v4, s61 src0_sel:BYTE_0 src1_sel:DWORD
	s_mov_b64 s[0:1], -1
                                        ; implicit-def: $sgpr50
	s_and_saveexec_b64 s[48:49], s[64:65]
; %bb.100:                              ;   in Loop: Header=BB264_14 Depth=1
	s_mov_b32 s50, 0x7fc02000
	s_xor_b64 s[0:1], exec, -1
; %bb.101:                              ;   in Loop: Header=BB264_14 Depth=1
	s_or_b64 exec, exec, s[48:49]
	s_and_b64 s[0:1], s[0:1], exec
	s_or_saveexec_b64 s[46:47], s[46:47]
	v_mov_b32_e32 v32, s50
	s_xor_b64 exec, exec, s[46:47]
	s_cbranch_execz .LBB264_35
.LBB264_102:                            ;   in Loop: Header=BB264_14 Depth=1
	v_cmp_ne_u16_sdwa s[48:49], v4, v5 src0_sel:BYTE_0 src1_sel:DWORD
	s_andn2_b64 s[0:1], s[0:1], exec
	s_and_b64 s[48:49], s[48:49], exec
	v_mov_b32_e32 v32, 0
	s_or_b64 s[0:1], s[0:1], s[48:49]
	s_or_b64 exec, exec, s[46:47]
	v_and_b32_e32 v4, 0xffff, v4
	s_and_saveexec_b64 s[46:47], s[0:1]
	s_cbranch_execnz .LBB264_36
	s_branch .LBB264_37
.LBB264_103:                            ;   in Loop: Header=BB264_14 Depth=1
	v_cmp_eq_u16_e64 s[0:1], s61, v4
	s_mov_b64 s[46:47], -1
                                        ; implicit-def: $sgpr63
	s_and_saveexec_b64 s[50:51], s[0:1]
; %bb.104:                              ;   in Loop: Header=BB264_14 Depth=1
	s_mov_b32 s63, 0x7fc02000
	s_xor_b64 s[46:47], exec, -1
; %bb.105:                              ;   in Loop: Header=BB264_14 Depth=1
	s_or_b64 exec, exec, s[50:51]
	s_and_b64 s[46:47], s[46:47], exec
	s_or_saveexec_b64 s[48:49], s[48:49]
	v_mov_b32_e32 v33, s63
	s_xor_b64 exec, exec, s[48:49]
	s_cbranch_execz .LBB264_39
.LBB264_106:                            ;   in Loop: Header=BB264_14 Depth=1
	v_cmp_ne_u16_e64 s[0:1], 0, v4
	s_andn2_b64 s[46:47], s[46:47], exec
	s_and_b64 s[0:1], s[0:1], exec
	v_mov_b32_e32 v33, 0
	s_or_b64 s[46:47], s[46:47], s[0:1]
	s_or_b64 exec, exec, s[48:49]
	s_and_saveexec_b64 s[48:49], s[46:47]
	s_cbranch_execnz .LBB264_40
	s_branch .LBB264_41
.LBB264_107:                            ;   in Loop: Header=BB264_14 Depth=1
	v_cmp_eq_u16_sdwa s[64:65], v4, s61 src0_sel:BYTE_0 src1_sel:DWORD
	s_mov_b64 s[0:1], -1
                                        ; implicit-def: $sgpr50
	s_and_saveexec_b64 s[48:49], s[64:65]
; %bb.108:                              ;   in Loop: Header=BB264_14 Depth=1
	s_mov_b32 s50, 0x7fc02000
	s_xor_b64 s[0:1], exec, -1
; %bb.109:                              ;   in Loop: Header=BB264_14 Depth=1
	s_or_b64 exec, exec, s[48:49]
	s_and_b64 s[0:1], s[0:1], exec
	s_or_saveexec_b64 s[46:47], s[46:47]
	v_mov_b32_e32 v34, s50
	s_xor_b64 exec, exec, s[46:47]
	s_cbranch_execz .LBB264_43
.LBB264_110:                            ;   in Loop: Header=BB264_14 Depth=1
	v_cmp_ne_u16_sdwa s[48:49], v4, v5 src0_sel:BYTE_0 src1_sel:DWORD
	s_andn2_b64 s[0:1], s[0:1], exec
	s_and_b64 s[48:49], s[48:49], exec
	v_mov_b32_e32 v34, 0
	s_or_b64 s[0:1], s[0:1], s[48:49]
	s_or_b64 exec, exec, s[46:47]
	v_and_b32_e32 v4, 0xffff, v4
	s_and_saveexec_b64 s[46:47], s[0:1]
	s_cbranch_execnz .LBB264_44
	s_branch .LBB264_45
.LBB264_111:                            ;   in Loop: Header=BB264_14 Depth=1
	v_cmp_eq_u16_e64 s[0:1], s61, v4
	s_mov_b64 s[46:47], -1
                                        ; implicit-def: $sgpr63
	s_and_saveexec_b64 s[50:51], s[0:1]
; %bb.112:                              ;   in Loop: Header=BB264_14 Depth=1
	s_mov_b32 s63, 0x7fc02000
	s_xor_b64 s[46:47], exec, -1
; %bb.113:                              ;   in Loop: Header=BB264_14 Depth=1
	s_or_b64 exec, exec, s[50:51]
	s_and_b64 s[46:47], s[46:47], exec
	s_or_saveexec_b64 s[48:49], s[48:49]
	v_mov_b32_e32 v35, s63
	s_xor_b64 exec, exec, s[48:49]
	s_cbranch_execz .LBB264_47
.LBB264_114:                            ;   in Loop: Header=BB264_14 Depth=1
	v_cmp_ne_u16_e64 s[0:1], 0, v4
	s_andn2_b64 s[46:47], s[46:47], exec
	s_and_b64 s[0:1], s[0:1], exec
	v_mov_b32_e32 v35, 0
	s_or_b64 s[46:47], s[46:47], s[0:1]
	s_or_b64 exec, exec, s[48:49]
	s_and_saveexec_b64 s[48:49], s[46:47]
	s_cbranch_execnz .LBB264_48
	s_branch .LBB264_49
.LBB264_115:                            ;   in Loop: Header=BB264_14 Depth=1
	v_cmp_eq_u16_sdwa s[64:65], v4, s61 src0_sel:BYTE_0 src1_sel:DWORD
	s_mov_b64 s[0:1], -1
                                        ; implicit-def: $sgpr50
	s_and_saveexec_b64 s[48:49], s[64:65]
; %bb.116:                              ;   in Loop: Header=BB264_14 Depth=1
	s_mov_b32 s50, 0x7fc02000
	s_xor_b64 s[0:1], exec, -1
; %bb.117:                              ;   in Loop: Header=BB264_14 Depth=1
	s_or_b64 exec, exec, s[48:49]
	s_and_b64 s[0:1], s[0:1], exec
	s_or_saveexec_b64 s[46:47], s[46:47]
	v_mov_b32_e32 v36, s50
	s_xor_b64 exec, exec, s[46:47]
	s_cbranch_execz .LBB264_51
.LBB264_118:                            ;   in Loop: Header=BB264_14 Depth=1
	v_cmp_ne_u16_sdwa s[48:49], v4, v5 src0_sel:BYTE_0 src1_sel:DWORD
	s_andn2_b64 s[0:1], s[0:1], exec
	s_and_b64 s[48:49], s[48:49], exec
	v_mov_b32_e32 v36, 0
	s_or_b64 s[0:1], s[0:1], s[48:49]
	s_or_b64 exec, exec, s[46:47]
	v_and_b32_e32 v4, 0xffff, v4
	s_and_saveexec_b64 s[46:47], s[0:1]
	s_cbranch_execnz .LBB264_52
	s_branch .LBB264_53
.LBB264_119:                            ;   in Loop: Header=BB264_14 Depth=1
	v_cmp_eq_u16_e64 s[0:1], s61, v4
	s_mov_b64 s[46:47], -1
                                        ; implicit-def: $sgpr63
	s_and_saveexec_b64 s[50:51], s[0:1]
; %bb.120:                              ;   in Loop: Header=BB264_14 Depth=1
	s_mov_b32 s63, 0x7fc02000
	s_xor_b64 s[46:47], exec, -1
; %bb.121:                              ;   in Loop: Header=BB264_14 Depth=1
	s_or_b64 exec, exec, s[50:51]
	s_and_b64 s[46:47], s[46:47], exec
	s_or_saveexec_b64 s[48:49], s[48:49]
	v_mov_b32_e32 v37, s63
	s_xor_b64 exec, exec, s[48:49]
	s_cbranch_execz .LBB264_55
.LBB264_122:                            ;   in Loop: Header=BB264_14 Depth=1
	v_cmp_ne_u16_e64 s[0:1], 0, v4
	s_andn2_b64 s[46:47], s[46:47], exec
	s_and_b64 s[0:1], s[0:1], exec
	v_mov_b32_e32 v37, 0
	s_or_b64 s[46:47], s[46:47], s[0:1]
	s_or_b64 exec, exec, s[48:49]
	s_and_saveexec_b64 s[48:49], s[46:47]
	s_cbranch_execnz .LBB264_56
	s_branch .LBB264_57
.LBB264_123:                            ;   in Loop: Header=BB264_14 Depth=1
	v_cmp_eq_u16_sdwa s[64:65], v4, s61 src0_sel:BYTE_0 src1_sel:DWORD
	s_mov_b64 s[0:1], -1
                                        ; implicit-def: $sgpr50
	s_and_saveexec_b64 s[48:49], s[64:65]
; %bb.124:                              ;   in Loop: Header=BB264_14 Depth=1
	s_mov_b32 s50, 0x7fc02000
	s_xor_b64 s[0:1], exec, -1
; %bb.125:                              ;   in Loop: Header=BB264_14 Depth=1
	s_or_b64 exec, exec, s[48:49]
	s_and_b64 s[0:1], s[0:1], exec
	s_or_saveexec_b64 s[46:47], s[46:47]
	v_mov_b32_e32 v38, s50
	s_xor_b64 exec, exec, s[46:47]
	s_cbranch_execz .LBB264_59
.LBB264_126:                            ;   in Loop: Header=BB264_14 Depth=1
	v_cmp_ne_u16_sdwa s[48:49], v4, v5 src0_sel:BYTE_0 src1_sel:DWORD
	s_andn2_b64 s[0:1], s[0:1], exec
	s_and_b64 s[48:49], s[48:49], exec
	v_mov_b32_e32 v38, 0
	s_or_b64 s[0:1], s[0:1], s[48:49]
	s_or_b64 exec, exec, s[46:47]
	v_and_b32_e32 v4, 0xffff, v4
	s_and_saveexec_b64 s[46:47], s[0:1]
	s_cbranch_execnz .LBB264_60
	s_branch .LBB264_61
.LBB264_127:                            ;   in Loop: Header=BB264_14 Depth=1
	v_cmp_eq_u16_e64 s[0:1], s61, v4
	s_mov_b64 s[46:47], -1
                                        ; implicit-def: $sgpr63
	s_and_saveexec_b64 s[50:51], s[0:1]
; %bb.128:                              ;   in Loop: Header=BB264_14 Depth=1
	s_mov_b32 s63, 0x7fc02000
	s_xor_b64 s[46:47], exec, -1
; %bb.129:                              ;   in Loop: Header=BB264_14 Depth=1
	s_or_b64 exec, exec, s[50:51]
	s_and_b64 s[46:47], s[46:47], exec
	s_or_saveexec_b64 s[48:49], s[48:49]
	v_mov_b32_e32 v39, s63
	s_xor_b64 exec, exec, s[48:49]
	s_cbranch_execz .LBB264_63
.LBB264_130:                            ;   in Loop: Header=BB264_14 Depth=1
	v_cmp_ne_u16_e64 s[0:1], 0, v4
	s_andn2_b64 s[46:47], s[46:47], exec
	s_and_b64 s[0:1], s[0:1], exec
	v_mov_b32_e32 v39, 0
	s_or_b64 s[46:47], s[46:47], s[0:1]
	s_or_b64 exec, exec, s[48:49]
	s_and_saveexec_b64 s[48:49], s[46:47]
	s_cbranch_execnz .LBB264_64
	s_branch .LBB264_65
.LBB264_131:                            ;   in Loop: Header=BB264_14 Depth=1
	v_cmp_eq_u16_sdwa s[64:65], v4, s61 src0_sel:BYTE_0 src1_sel:DWORD
	s_mov_b64 s[0:1], -1
                                        ; implicit-def: $sgpr50
	s_and_saveexec_b64 s[48:49], s[64:65]
; %bb.132:                              ;   in Loop: Header=BB264_14 Depth=1
	s_mov_b32 s50, 0x7fc02000
	s_xor_b64 s[0:1], exec, -1
; %bb.133:                              ;   in Loop: Header=BB264_14 Depth=1
	s_or_b64 exec, exec, s[48:49]
	s_and_b64 s[0:1], s[0:1], exec
	s_or_saveexec_b64 s[46:47], s[46:47]
	v_mov_b32_e32 v40, s50
	s_xor_b64 exec, exec, s[46:47]
	s_cbranch_execz .LBB264_67
.LBB264_134:                            ;   in Loop: Header=BB264_14 Depth=1
	v_cmp_ne_u16_sdwa s[48:49], v4, v5 src0_sel:BYTE_0 src1_sel:DWORD
	s_andn2_b64 s[0:1], s[0:1], exec
	s_and_b64 s[48:49], s[48:49], exec
	v_mov_b32_e32 v40, 0
	s_or_b64 s[0:1], s[0:1], s[48:49]
	s_or_b64 exec, exec, s[46:47]
	v_and_b32_e32 v4, 0xffff, v4
	s_and_saveexec_b64 s[46:47], s[0:1]
	s_cbranch_execnz .LBB264_68
	s_branch .LBB264_69
.LBB264_135:                            ;   in Loop: Header=BB264_14 Depth=1
	v_cmp_eq_u16_e64 s[0:1], s61, v4
	s_mov_b64 s[46:47], -1
                                        ; implicit-def: $sgpr63
	s_and_saveexec_b64 s[50:51], s[0:1]
; %bb.136:                              ;   in Loop: Header=BB264_14 Depth=1
	s_mov_b32 s63, 0x7fc02000
	s_xor_b64 s[46:47], exec, -1
; %bb.137:                              ;   in Loop: Header=BB264_14 Depth=1
	s_or_b64 exec, exec, s[50:51]
	s_and_b64 s[46:47], s[46:47], exec
	s_or_saveexec_b64 s[48:49], s[48:49]
	v_mov_b32_e32 v41, s63
	s_xor_b64 exec, exec, s[48:49]
	s_cbranch_execz .LBB264_71
.LBB264_138:                            ;   in Loop: Header=BB264_14 Depth=1
	v_cmp_ne_u16_e64 s[0:1], 0, v4
	s_andn2_b64 s[46:47], s[46:47], exec
	s_and_b64 s[0:1], s[0:1], exec
	v_mov_b32_e32 v41, 0
	s_or_b64 s[46:47], s[46:47], s[0:1]
	s_or_b64 exec, exec, s[48:49]
	s_and_saveexec_b64 s[48:49], s[46:47]
	s_cbranch_execnz .LBB264_72
	s_branch .LBB264_73
.LBB264_139:                            ;   in Loop: Header=BB264_14 Depth=1
	v_cmp_eq_u16_sdwa s[64:65], v4, s61 src0_sel:BYTE_0 src1_sel:DWORD
	s_mov_b64 s[0:1], -1
                                        ; implicit-def: $sgpr50
	s_and_saveexec_b64 s[48:49], s[64:65]
; %bb.140:                              ;   in Loop: Header=BB264_14 Depth=1
	s_mov_b32 s50, 0x7fc02000
	s_xor_b64 s[0:1], exec, -1
; %bb.141:                              ;   in Loop: Header=BB264_14 Depth=1
	s_or_b64 exec, exec, s[48:49]
	s_and_b64 s[0:1], s[0:1], exec
	s_or_saveexec_b64 s[46:47], s[46:47]
	v_mov_b32_e32 v12, s50
	s_xor_b64 exec, exec, s[46:47]
	s_cbranch_execz .LBB264_75
.LBB264_142:                            ;   in Loop: Header=BB264_14 Depth=1
	v_cmp_ne_u16_sdwa s[48:49], v4, v5 src0_sel:BYTE_0 src1_sel:DWORD
	s_andn2_b64 s[0:1], s[0:1], exec
	s_and_b64 s[48:49], s[48:49], exec
	v_mov_b32_e32 v12, 0
	s_or_b64 s[0:1], s[0:1], s[48:49]
	s_or_b64 exec, exec, s[46:47]
	v_and_b32_e32 v4, 0xffff, v4
	s_and_saveexec_b64 s[46:47], s[0:1]
	s_cbranch_execnz .LBB264_76
	s_branch .LBB264_77
.LBB264_143:                            ;   in Loop: Header=BB264_14 Depth=1
	v_cmp_eq_u16_e64 s[0:1], s61, v4
	s_mov_b64 s[46:47], -1
                                        ; implicit-def: $sgpr63
	s_and_saveexec_b64 s[50:51], s[0:1]
; %bb.144:                              ;   in Loop: Header=BB264_14 Depth=1
	s_mov_b32 s63, 0x7fc02000
	s_xor_b64 s[46:47], exec, -1
; %bb.145:                              ;   in Loop: Header=BB264_14 Depth=1
	s_or_b64 exec, exec, s[50:51]
	s_and_b64 s[46:47], s[46:47], exec
	s_or_saveexec_b64 s[48:49], s[48:49]
	v_mov_b32_e32 v13, s63
	s_xor_b64 exec, exec, s[48:49]
	s_cbranch_execz .LBB264_79
.LBB264_146:                            ;   in Loop: Header=BB264_14 Depth=1
	v_cmp_ne_u16_e64 s[0:1], 0, v4
	s_andn2_b64 s[46:47], s[46:47], exec
	s_and_b64 s[0:1], s[0:1], exec
	v_mov_b32_e32 v13, 0
	s_or_b64 s[46:47], s[46:47], s[0:1]
	s_or_b64 exec, exec, s[48:49]
	s_and_saveexec_b64 s[48:49], s[46:47]
	s_cbranch_execnz .LBB264_80
	s_branch .LBB264_81
.LBB264_147:
	s_or_b64 exec, exec, s[44:45]
.LBB264_148:
	s_or_b64 exec, exec, s[18:19]
	v_mbcnt_hi_u32_b32 v4, -1, v15
	v_and_b32_e32 v5, 64, v4
	v_add_u32_e32 v5, 64, v5
	v_xor_b32_e32 v6, 32, v4
	v_cmp_lt_i32_e32 vcc, v6, v5
	v_xor_b32_e32 v9, 16, v4
	v_max_f32_e32 v8, v18, v18
	v_cndmask_b32_e32 v6, v4, v6, vcc
	v_lshlrev_b32_e32 v7, 2, v6
	ds_bpermute_b32 v6, v7, v18
	v_cmp_lt_i32_e32 vcc, v9, v5
	v_xor_b32_e32 v10, 8, v4
	v_and_b32_e32 v15, 63, v0
	s_waitcnt lgkmcnt(0)
	v_max_f32_e32 v6, v6, v6
	v_max_f32_e32 v6, v8, v6
	v_cndmask_b32_e32 v8, v4, v9, vcc
	v_lshlrev_b32_e32 v8, 2, v8
	ds_bpermute_b32 v9, v8, v6
	v_cmp_lt_i32_e32 vcc, v10, v5
	s_waitcnt lgkmcnt(0)
	v_max_f32_e32 v9, v9, v9
	v_max_f32_e32 v6, v6, v9
	v_cndmask_b32_e32 v9, v4, v10, vcc
	v_lshlrev_b32_e32 v11, 2, v9
	ds_bpermute_b32 v9, v11, v6
	v_xor_b32_e32 v10, 4, v4
	v_cmp_lt_i32_e32 vcc, v10, v5
	s_waitcnt lgkmcnt(0)
	v_max_f32_e32 v9, v9, v9
	v_max_f32_e32 v6, v6, v9
	v_cndmask_b32_e32 v9, v4, v10, vcc
	v_lshlrev_b32_e32 v12, 2, v9
	ds_bpermute_b32 v10, v12, v6
	v_cmp_eq_u32_e32 vcc, 0, v15
	v_lshlrev_b32_e32 v9, 2, v14
	s_and_saveexec_b64 s[0:1], vcc
	s_cbranch_execz .LBB264_150
; %bb.149:
	s_waitcnt lgkmcnt(0)
	v_max_f32_e32 v10, v10, v10
	v_max_f32_e32 v6, v6, v6
	;; [unrolled: 1-line block ×3, first 2 shown]
	ds_write_b32 v9, v6 offset:128
.LBB264_150:
	s_or_b64 exec, exec, s[0:1]
	v_cmp_gt_u32_e64 s[0:1], 2, v15
	v_mov_b32_e32 v6, 0xff7fffff
	s_waitcnt lgkmcnt(0)
	v_lshlrev_b32_e32 v10, 2, v15
	s_barrier
	s_and_saveexec_b64 s[6:7], s[0:1]
	s_cbranch_execz .LBB264_152
; %bb.151:
	ds_read_b32 v6, v10 offset:128
.LBB264_152:
	s_or_b64 exec, exec, s[6:7]
	v_xor_b32_e32 v13, 1, v4
	v_cmp_lt_i32_e64 s[6:7], v13, v5
	s_sub_i32 s3, s52, s56
	s_lshl_b32 s3, s3, 4
	v_cndmask_b32_e64 v13, v4, v13, s[6:7]
	v_lshlrev_b32_e32 v22, 2, v13
	s_waitcnt lgkmcnt(0)
	ds_bpermute_b32 v13, v22, v6
	v_max_f32_e32 v6, v6, v6
	s_add_i32 s3, s3, s55
	s_min_i32 s43, s3, s33
	s_sub_i32 s3, s43, s55
	s_waitcnt lgkmcnt(0)
	v_max_f32_e32 v13, v13, v13
	v_max_f32_e32 v6, v6, v13
	v_lshlrev_b32_e32 v13, 2, v4
	v_and_b32_e32 v13, 0x100, v13
	ds_bpermute_b32 v6, v13, v6
	v_cmp_gt_i32_e64 s[6:7], s3, v0
	v_mov_b32_e32 v16, 0
	s_and_saveexec_b64 s[12:13], s[6:7]
	s_cbranch_execz .LBB264_156
; %bb.153:
	v_mov_b32_e32 v16, 0x90
	v_lshl_add_u32 v17, v0, 2, v16
	s_mov_b64 s[18:19], 0
	v_mov_b32_e32 v16, 0
	v_mov_b32_e32 v18, v0
.LBB264_154:                            ; =>This Inner Loop Header: Depth=1
	ds_read_b32 v19, v17
	v_add_u32_e32 v18, 0x80, v18
	v_cmp_le_i32_e64 s[10:11], s3, v18
	s_or_b64 s[18:19], s[10:11], s[18:19]
	s_waitcnt lgkmcnt(0)
	v_sub_f32_e32 v19, v19, v6
	v_mul_f32_e32 v19, 0x3fb8aa3b, v19
	v_exp_f32_e32 v19, v19
	ds_write_b32 v17, v19
	v_add_f32_e32 v16, v16, v19
	v_add_u32_e32 v17, 0x200, v17
	s_andn2_b64 exec, exec, s[18:19]
	s_cbranch_execnz .LBB264_154
; %bb.155:
	s_or_b64 exec, exec, s[18:19]
.LBB264_156:
	s_or_b64 exec, exec, s[12:13]
	ds_bpermute_b32 v7, v7, v16
	s_waitcnt lgkmcnt(0)
	v_add_f32_e32 v7, v16, v7
	ds_bpermute_b32 v8, v8, v7
	s_waitcnt lgkmcnt(0)
	v_add_f32_e32 v7, v7, v8
	ds_bpermute_b32 v8, v11, v7
	v_xor_b32_e32 v11, 2, v4
	v_cmp_lt_i32_e64 s[10:11], v11, v5
	s_waitcnt lgkmcnt(0)
	v_add_f32_e32 v7, v7, v8
	ds_bpermute_b32 v8, v12, v7
	v_cndmask_b32_e64 v4, v4, v11, s[10:11]
	v_lshlrev_b32_e32 v4, 2, v4
	s_waitcnt lgkmcnt(0)
	v_add_f32_e32 v5, v7, v8
	ds_bpermute_b32 v4, v4, v5
	s_waitcnt lgkmcnt(0)
	v_add_f32_e32 v4, v5, v4
	ds_bpermute_b32 v5, v22, v4
	s_waitcnt lgkmcnt(0)
	v_add_f32_e32 v4, v4, v5
	s_and_saveexec_b64 s[10:11], vcc
	s_cbranch_execz .LBB264_158
; %bb.157:
	ds_write_b32 v9, v4 offset:136
.LBB264_158:
	s_or_b64 exec, exec, s[10:11]
	s_waitcnt lgkmcnt(0)
	s_barrier
	s_and_saveexec_b64 s[10:11], s[0:1]
	s_cbranch_execz .LBB264_160
; %bb.159:
	ds_read_b32 v4, v10 offset:136
.LBB264_160:
	s_or_b64 exec, exec, s[10:11]
	s_waitcnt lgkmcnt(0)
	ds_bpermute_b32 v5, v22, v4
	s_waitcnt lgkmcnt(0)
	v_add_f32_e32 v4, v4, v5
	ds_bpermute_b32 v7, v13, v4
	s_and_saveexec_b64 s[0:1], s[6:7]
	s_cbranch_execz .LBB264_173
; %bb.161:
	s_waitcnt lgkmcnt(0)
	v_add_f32_e32 v4, 0x358637bd, v7
	v_div_scale_f32 v5, s[6:7], v4, v4, 1.0
	v_rcp_f32_e32 v8, v5
	v_div_scale_f32 v9, vcc, 1.0, v4, 1.0
	s_movk_i32 s6, 0x7f
	v_fma_f32 v10, -v5, v8, 1.0
	v_fmac_f32_e32 v8, v10, v8
	v_mul_f32_e32 v10, v9, v8
	v_fma_f32 v11, -v5, v10, v9
	v_fmac_f32_e32 v10, v11, v8
	v_fma_f32 v5, -v5, v10, v9
	v_div_fmas_f32 v5, v5, v8, v10
	v_div_fixup_f32 v4, v5, v4, 1.0
	v_xad_u32 v5, v0, -1, s43
	v_subrev_u32_e32 v8, s55, v5
	v_cmp_lt_u32_e32 vcc, s6, v8
	s_mov_b64 s[10:11], -1
	v_mov_b32_e32 v5, v0
	s_and_saveexec_b64 s[6:7], vcc
	s_cbranch_execz .LBB264_170
; %bb.162:
	v_lshrrev_b32_e32 v8, 7, v8
	v_add_u32_e32 v10, -1, v8
	v_lshrrev_b32_e32 v9, 1, v10
	v_mov_b32_e32 v5, v4
	v_add_u32_e32 v9, 1, v9
	v_cmp_lt_u32_e32 vcc, 13, v10
	v_mov_b32_e32 v12, 0
	s_and_saveexec_b64 s[10:11], vcc
	s_cbranch_execz .LBB264_166
; %bb.163:
	v_mov_b32_e32 v11, 0x90
	v_and_b32_e32 v10, -8, v9
	v_lshl_add_u32 v11, v0, 2, v11
	s_mov_b32 s18, 0
	s_mov_b64 s[12:13], 0
.LBB264_164:                            ; =>This Inner Loop Header: Depth=1
	ds_read2st64_b32 v[12:13], v11 offset1:2
	ds_read2st64_b32 v[16:17], v11 offset0:4 offset1:6
	ds_read2st64_b32 v[18:19], v11 offset0:8 offset1:10
	;; [unrolled: 1-line block ×3, first 2 shown]
	v_add_u32_e32 v10, -8, v10
	s_waitcnt lgkmcnt(3)
	v_pk_mul_f32 v[12:13], v[4:5], v[12:13]
	s_waitcnt lgkmcnt(2)
	v_pk_mul_f32 v[16:17], v[4:5], v[16:17]
	ds_write2st64_b32 v11, v12, v13 offset1:2
	ds_write2st64_b32 v11, v16, v17 offset0:4 offset1:6
	ds_read2st64_b32 v[16:17], v11 offset0:16 offset1:18
	s_waitcnt lgkmcnt(4)
	v_pk_mul_f32 v[12:13], v[4:5], v[18:19]
	ds_write2st64_b32 v11, v12, v13 offset0:8 offset1:10
	s_waitcnt lgkmcnt(4)
	v_pk_mul_f32 v[12:13], v[4:5], v[20:21]
	ds_write2st64_b32 v11, v12, v13 offset0:12 offset1:14
	ds_read2st64_b32 v[12:13], v11 offset0:20 offset1:22
	s_waitcnt lgkmcnt(3)
	v_pk_mul_f32 v[16:17], v[4:5], v[16:17]
	ds_read2st64_b32 v[18:19], v11 offset0:24 offset1:26
	ds_write2st64_b32 v11, v16, v17 offset0:16 offset1:18
	ds_read2st64_b32 v[16:17], v11 offset0:28 offset1:30
	s_waitcnt lgkmcnt(3)
	v_pk_mul_f32 v[12:13], v[4:5], v[12:13]
	ds_write2st64_b32 v11, v12, v13 offset0:20 offset1:22
	s_waitcnt lgkmcnt(3)
	v_pk_mul_f32 v[12:13], v[4:5], v[18:19]
	ds_write2st64_b32 v11, v12, v13 offset0:24 offset1:26
	s_waitcnt lgkmcnt(2)
	v_pk_mul_f32 v[12:13], v[4:5], v[16:17]
	s_add_i32 s18, s18, 16
	v_cmp_eq_u32_e32 vcc, 0, v10
	ds_write2st64_b32 v11, v12, v13 offset0:28 offset1:30
	v_add_u32_e32 v11, 0x2000, v11
	s_or_b64 s[12:13], vcc, s[12:13]
	v_mov_b32_e32 v12, s18
	s_andn2_b64 exec, exec, s[12:13]
	s_cbranch_execnz .LBB264_164
; %bb.165:
	s_or_b64 exec, exec, s[12:13]
.LBB264_166:
	s_or_b64 exec, exec, s[10:11]
	v_and_b32_e32 v9, 7, v9
	v_cmp_ne_u32_e32 vcc, 0, v9
	s_and_saveexec_b64 s[10:11], vcc
	s_cbranch_execz .LBB264_169
; %bb.167:
	v_lshlrev_b32_e32 v10, 9, v12
	v_lshlrev_b32_e32 v11, 2, v0
	s_movk_i32 s12, 0x90
	v_add3_u32 v10, v10, v11, s12
	s_mov_b64 s[12:13], 0
.LBB264_168:                            ; =>This Inner Loop Header: Depth=1
	ds_read2st64_b32 v[12:13], v10 offset1:2
	v_add_u32_e32 v9, -1, v9
	v_cmp_eq_u32_e32 vcc, 0, v9
	s_or_b64 s[12:13], vcc, s[12:13]
	s_waitcnt lgkmcnt(0)
	v_pk_mul_f32 v[12:13], v[4:5], v[12:13]
	ds_write2st64_b32 v10, v12, v13 offset1:2
	v_add_u32_e32 v10, 0x400, v10
	s_andn2_b64 exec, exec, s[12:13]
	s_cbranch_execnz .LBB264_168
.LBB264_169:
	s_or_b64 exec, exec, s[10:11]
	v_add_u32_e32 v8, 1, v8
	v_and_b32_e32 v9, 0x3fffffe, v8
	v_cmp_ne_u32_e32 vcc, v8, v9
	v_lshl_add_u32 v5, v9, 7, v0
	s_orn2_b64 s[10:11], vcc, exec
.LBB264_170:
	s_or_b64 exec, exec, s[6:7]
	s_and_b64 exec, exec, s[10:11]
	s_cbranch_execz .LBB264_173
; %bb.171:
	v_mov_b32_e32 v8, 0x90
	v_lshl_add_u32 v8, v5, 2, v8
	s_mov_b64 s[6:7], 0
.LBB264_172:                            ; =>This Inner Loop Header: Depth=1
	ds_read_b32 v9, v8
	v_add_u32_e32 v5, 0x80, v5
	v_cmp_le_i32_e32 vcc, s3, v5
	s_or_b64 s[6:7], vcc, s[6:7]
	s_waitcnt lgkmcnt(0)
	v_mul_f32_e32 v9, v4, v9
	ds_write_b32 v8, v9
	v_add_u32_e32 v8, 0x200, v8
	s_andn2_b64 exec, exec, s[6:7]
	s_cbranch_execnz .LBB264_172
.LBB264_173:
	s_or_b64 exec, exec, s[0:1]
	s_mul_i32 s0, s20, s34
	v_cmp_eq_u32_e32 vcc, 0, v0
	s_mul_i32 s6, s0, s5
	s_waitcnt lgkmcnt(0)
	s_barrier
	s_and_saveexec_b64 s[0:1], vcc
	s_cbranch_execz .LBB264_175
; %bb.174:
	s_ashr_i32 s7, s6, 31
	s_lshl_b64 s[10:11], s[6:7], 2
	s_add_u32 s5, s26, s10
	s_mul_i32 s2, s20, s2
	s_addc_u32 s7, s27, s11
	s_ashr_i32 s3, s2, 31
	s_lshl_b64 s[2:3], s[2:3], 2
	s_add_u32 s18, s5, s2
	s_addc_u32 s7, s7, s3
	s_ashr_i32 s5, s4, 31
	s_lshl_b64 s[12:13], s[4:5], 2
	s_add_u32 s18, s18, s12
	s_addc_u32 s19, s7, s13
	s_add_u32 s5, s24, s10
	s_addc_u32 s7, s25, s11
	;; [unrolled: 2-line block ×3, first 2 shown]
	s_add_u32 s2, s2, s12
	v_mov_b32_e32 v4, 0
	s_addc_u32 s3, s3, s13
	global_store_dword v4, v6, s[18:19]
	global_store_dword v4, v7, s[2:3]
.LBB264_175:
	s_or_b64 exec, exec, s[0:1]
	v_mov_b32_e32 v7, 0
	v_and_b32_e32 v23, 1, v0
	v_mov_b32_e32 v6, 0
	s_and_saveexec_b64 s[2:3], s[8:9]
	s_cbranch_execz .LBB264_313
; %bb.176:
	s_sub_i32 s5, s53, s21
	s_ashr_i32 s1, s54, 31
	s_add_u32 s0, s40, s54
	s_addc_u32 s1, s41, s1
	s_abs_i32 s7, s22
	v_cvt_f32_u32_e32 v4, s7
	v_lshlrev_b32_e32 v5, 3, v0
	v_and_b32_e32 v24, 8, v5
	s_add_i32 s22, s16, -1
	v_rcp_iflag_f32_e32 v6, v4
	v_and_b32_e32 v4, 0x1f8, v5
	s_sub_i32 s8, 0, s7
	s_mov_b32 s21, s17
	v_mul_f32_e32 v5, 0x4f7ffffe, v6
	v_cvt_u32_f32_e32 v6, v5
	v_mov_b32_e32 v5, 0
	v_lshl_add_u64 v[8:9], s[0:1], 0, v[4:5]
	s_lshl_b64 s[0:1], s[38:39], 2
	s_add_u32 s0, s36, s0
	s_addc_u32 s1, s37, s1
	v_mul_lo_u32 v7, s8, v6
	v_lshl_add_u64 v[10:11], v[2:3], 2, s[0:1]
	v_lshlrev_b32_e32 v3, 5, v23
	v_mul_hi_u32 v7, v6, v7
	v_lshl_or_b32 v3, v14, 6, v3
	s_mov_b32 s24, s33
	v_add_u32_e32 v25, v6, v7
	v_add_u32_e32 v3, 0x90, v3
	s_mov_b64 s[8:9], 0
	s_movk_i32 s25, 0x7f
	s_movk_i32 s26, 0x80
	s_mov_b32 s27, 0x8000
	s_movk_i32 s34, 0x380
	s_mov_b32 s36, 0x3020706
	s_mov_b32 s37, 0x1000504
	;; [unrolled: 1-line block ×3, first 2 shown]
	v_mov_b32_e32 v26, 0x1c00
	v_mov_b32_e32 v6, 0
	;; [unrolled: 1-line block ×3, first 2 shown]
	s_branch .LBB264_179
.LBB264_177:                            ;   in Loop: Header=BB264_179 Depth=1
	s_or_b64 exec, exec, s[0:1]
	;;#ASMSTART
	v_pk_mul_f16 v13, v36, v13;

	;;#ASMEND
	;;#ASMSTART
	v_pk_mul_f16 v4, v35, v4;

	;;#ASMEND
	;; [unrolled: 4-line block ×4, first 2 shown]
	v_add_f32_e32 v16, v37, v38
	;;#ASMSTART
	v_pk_add_f16 v4, v13, v4;

	;;#ASMEND
	v_add_f32_e32 v6, v6, v16
	;;#ASMSTART
	v_pk_add_f16 v4, v4, v12;

	;;#ASMEND
	s_nop 0
	;;#ASMSTART
	v_pk_add_f16 v4, v4, v14;

	;;#ASMEND
	s_nop 0
	v_lshrrev_b32_e32 v12, 16, v4
	v_and_b32_e32 v4, 0xffff, v4
	;;#ASMSTART
	v_cvt_f32_f16 v4, v4;
	;;#ASMEND
	;;#ASMSTART
	v_cvt_f32_f16 v12, v12;
	;;#ASMEND
	s_nop 0
	v_add_f32_e32 v4, v4, v12
	v_add_f32_e32 v7, v7, v4
.LBB264_178:                            ;   in Loop: Header=BB264_179 Depth=1
	s_or_b64 exec, exec, s[10:11]
	v_add_u32_e32 v2, 2, v2
	v_cmp_le_i32_e32 vcc, s52, v2
	v_lshl_add_u64 v[10:11], v[10:11], 0, 8
	v_add_u32_e32 v1, 32, v1
	s_or_b64 s[8:9], vcc, s[8:9]
	v_add_u32_e32 v3, 0x80, v3
	s_andn2_b64 exec, exec, s[8:9]
	s_cbranch_execz .LBB264_312
.LBB264_179:                            ; =>This Inner Loop Header: Depth=1
	v_sub_u32_e32 v12, 0, v1
	v_max_i32_e32 v12, v1, v12
	v_mul_hi_u32 v13, v12, s35
	v_mul_lo_u32 v14, v13, s29
	v_sub_u32_e32 v12, v12, v14
	v_add_u32_e32 v14, 1, v13
	v_cmp_le_u32_e32 vcc, s29, v12
	v_ashrrev_i32_e32 v4, 31, v1
	v_xor_b32_e32 v4, s23, v4
	v_cndmask_b32_e32 v13, v13, v14, vcc
	v_subrev_u32_e32 v14, s29, v12
	v_cndmask_b32_e32 v12, v12, v14, vcc
	v_add_u32_e32 v14, 1, v13
	v_cmp_le_u32_e32 vcc, s29, v12
	s_nop 1
	v_cndmask_b32_e32 v12, v13, v14, vcc
	v_xor_b32_e32 v12, v12, v4
	v_sub_u32_e32 v4, v12, v4
	v_add_u32_e32 v12, s42, v4
	v_sub_u32_e32 v14, 0, v12
	v_ashrrev_i32_e32 v13, 31, v12
	v_max_i32_e32 v12, v12, v14
	v_mul_hi_u32 v14, v12, v25
	v_mul_lo_u32 v14, v14, s7
	v_sub_u32_e32 v12, v12, v14
	v_subrev_u32_e32 v14, s7, v12
	v_cmp_le_u32_e32 vcc, s7, v12
	v_cmp_lt_i32_e64 s[0:1], s5, v4
	s_nop 0
	v_cndmask_b32_e32 v12, v12, v14, vcc
	v_subrev_u32_e32 v14, s7, v12
	v_cmp_le_u32_e32 vcc, s7, v12
	s_nop 1
	v_cndmask_b32_e32 v12, v12, v14, vcc
	v_xor_b32_e32 v12, v12, v13
	v_sub_u32_e32 v12, v12, v13
	v_cmp_eq_u32_e32 vcc, 0, v12
	s_or_b64 s[0:1], vcc, s[0:1]
	s_and_saveexec_b64 s[10:11], s[0:1]
	s_cbranch_execz .LBB264_178
; %bb.180:                              ;   in Loop: Header=BB264_179 Depth=1
	ds_read2_b64 v[16:19], v3 offset1:1
	ds_read2_b64 v[28:31], v3 offset0:2 offset1:3
                                        ; implicit-def: $sgpr18
	s_waitcnt lgkmcnt(1)
	;;#ASMSTART
	v_cvt_f16_f32 v33, v16;

	;;#ASMEND
	;;#ASMSTART
	v_cvt_f16_f32 v34, v17;

	;;#ASMEND
	;; [unrolled: 4-line block ×4, first 2 shown]
	s_waitcnt lgkmcnt(0)
	;;#ASMSTART
	v_cvt_f16_f32 v38, v28;

	;;#ASMEND
	;;#ASMSTART
	v_cvt_f16_f32 v39, v29;

	;;#ASMEND
	;; [unrolled: 4-line block ×4, first 2 shown]
	global_load_dword v4, v[10:11], off
	s_waitcnt vmcnt(0)
	v_mad_i64_i32 v[12:13], s[0:1], v4, s21, v[8:9]
	global_load_dwordx2 v[16:17], v[12:13], off
	global_load_dword v14, v5, s[14:15]
	s_mov_b64 s[0:1], 0
	s_waitcnt vmcnt(1)
	v_cmp_gt_i16_sdwa s[12:13], v16, s25 src0_sel:BYTE_0 src1_sel:DWORD
	s_and_saveexec_b64 s[16:17], s[12:13]
	s_xor_b64 s[12:13], exec, s[16:17]
	s_cbranch_execnz .LBB264_248
; %bb.181:                              ;   in Loop: Header=BB264_179 Depth=1
	s_or_saveexec_b64 s[12:13], s[12:13]
	v_mov_b32_e32 v18, s18
	s_xor_b64 exec, exec, s[12:13]
	s_cbranch_execnz .LBB264_251
.LBB264_182:                            ;   in Loop: Header=BB264_179 Depth=1
	s_or_b64 exec, exec, s[12:13]
	s_and_saveexec_b64 s[12:13], s[0:1]
	s_cbranch_execz .LBB264_184
.LBB264_183:                            ;   in Loop: Header=BB264_179 Depth=1
	v_and_b32_e32 v4, 7, v16
	v_ffbh_u32_e32 v4, v4
	v_bfe_u32 v18, v16, 3, 4
	v_min_u32_e32 v4, 32, v4
	v_subrev_u32_e32 v19, 28, v4
	v_sub_u32_e32 v4, 29, v4
	v_cmp_eq_u32_e32 vcc, 0, v18
	s_nop 1
	v_cndmask_b32_e32 v4, v18, v4, vcc
	v_cndmask_b32_e32 v18, 0, v19, vcc
	v_lshlrev_b64 v[18:19], v18, v[16:17]
	v_lshlrev_b32_e32 v19, 8, v16
	v_lshl_add_u32 v4, v4, 10, v26
	v_lshlrev_b32_e32 v18, 7, v18
	v_and_or_b32 v4, v19, s27, v4
	v_and_or_b32 v4, v18, s34, v4
	v_cvt_f32_f16_e32 v18, v4
.LBB264_184:                            ;   in Loop: Header=BB264_179 Depth=1
	s_or_b64 exec, exec, s[12:13]
	v_lshrrev_b16_e32 v4, 8, v16
	v_cmp_lt_i16_e32 vcc, s25, v4
	s_mov_b64 s[0:1], 0
                                        ; implicit-def: $sgpr18
	s_and_saveexec_b64 s[12:13], vcc
	s_xor_b64 s[12:13], exec, s[12:13]
	s_cbranch_execnz .LBB264_252
; %bb.185:                              ;   in Loop: Header=BB264_179 Depth=1
	s_or_saveexec_b64 s[12:13], s[12:13]
	v_mov_b32_e32 v20, s18
	s_xor_b64 exec, exec, s[12:13]
	s_cbranch_execnz .LBB264_255
.LBB264_186:                            ;   in Loop: Header=BB264_179 Depth=1
	s_or_b64 exec, exec, s[12:13]
	s_and_saveexec_b64 s[12:13], s[0:1]
	s_cbranch_execz .LBB264_188
.LBB264_187:                            ;   in Loop: Header=BB264_179 Depth=1
	v_and_b32_e32 v19, 7, v4
	v_ffbh_u32_e32 v20, v19
	v_min_u32_e32 v28, 32, v20
	v_subrev_u32_e32 v20, 28, v28
	v_bfe_u32 v27, v4, 3, 4
	v_lshlrev_b64 v[20:21], v20, v[4:5]
	v_sub_u32_e32 v21, 29, v28
	v_cmp_eq_u32_e32 vcc, 0, v27
	v_and_b32_e32 v20, 7, v20
	v_lshlrev_b32_e32 v4, 8, v4
	v_cndmask_b32_e32 v21, v27, v21, vcc
	v_cndmask_b32_e32 v19, v19, v20, vcc
	v_lshl_add_u32 v20, v21, 10, v26
	v_and_or_b32 v4, v4, s27, v20
	v_lshl_or_b32 v4, v19, 7, v4
	v_cvt_f32_f16_e32 v20, v4
.LBB264_188:                            ;   in Loop: Header=BB264_179 Depth=1
	s_or_b64 exec, exec, s[12:13]
	v_lshrrev_b32_e32 v4, 16, v16
	v_cmp_gt_i16_sdwa s[12:13], v4, s25 src0_sel:BYTE_0 src1_sel:DWORD
	s_mov_b64 s[0:1], 0
                                        ; implicit-def: $sgpr18
	s_and_saveexec_b64 s[16:17], s[12:13]
	s_xor_b64 s[12:13], exec, s[16:17]
	s_cbranch_execnz .LBB264_256
; %bb.189:                              ;   in Loop: Header=BB264_179 Depth=1
	s_or_saveexec_b64 s[12:13], s[12:13]
	v_mov_b32_e32 v19, s18
	s_xor_b64 exec, exec, s[12:13]
	s_cbranch_execnz .LBB264_259
.LBB264_190:                            ;   in Loop: Header=BB264_179 Depth=1
	s_or_b64 exec, exec, s[12:13]
	s_and_saveexec_b64 s[12:13], s[0:1]
	s_cbranch_execz .LBB264_192
.LBB264_191:                            ;   in Loop: Header=BB264_179 Depth=1
	v_bfe_u32 v19, v16, 16, 3
	v_ffbh_u32_e32 v27, v19
	v_bfe_u32 v21, v16, 19, 4
	v_min_u32_e32 v27, 32, v27
	v_subrev_u32_e32 v28, 28, v27
	v_sub_u32_e32 v27, 29, v27
	v_cmp_eq_u32_e32 vcc, 0, v21
	v_lshlrev_b64 v[28:29], v28, v[4:5]
	v_and_b32_e32 v28, 7, v28
	v_cndmask_b32_e32 v21, v21, v27, vcc
	v_lshlrev_b32_e32 v4, 8, v4
	v_lshl_add_u32 v21, v21, 10, v26
	v_cndmask_b32_e32 v19, v19, v28, vcc
	v_and_or_b32 v4, v4, s27, v21
	v_lshl_or_b32 v4, v19, 7, v4
	v_cvt_f32_f16_e32 v19, v4
.LBB264_192:                            ;   in Loop: Header=BB264_179 Depth=1
	s_or_b64 exec, exec, s[12:13]
	v_lshrrev_b32_e32 v4, 24, v16
	v_cmp_lt_i16_e32 vcc, s25, v4
	s_mov_b64 s[0:1], 0
                                        ; implicit-def: $sgpr18
	s_and_saveexec_b64 s[12:13], vcc
	s_xor_b64 s[12:13], exec, s[12:13]
	s_cbranch_execnz .LBB264_260
; %bb.193:                              ;   in Loop: Header=BB264_179 Depth=1
	s_or_saveexec_b64 s[12:13], s[12:13]
	v_mov_b32_e32 v21, s18
	s_xor_b64 exec, exec, s[12:13]
	s_cbranch_execnz .LBB264_263
.LBB264_194:                            ;   in Loop: Header=BB264_179 Depth=1
	s_or_b64 exec, exec, s[12:13]
	s_and_saveexec_b64 s[12:13], s[0:1]
	s_cbranch_execz .LBB264_196
.LBB264_195:                            ;   in Loop: Header=BB264_179 Depth=1
	v_bfe_u32 v21, v16, 24, 3
	v_ffbh_u32_e32 v27, v21
	v_bfe_u32 v16, v16, 27, 4
	v_min_u32_e32 v27, 32, v27
	v_subrev_u32_e32 v28, 28, v27
	v_sub_u32_e32 v27, 29, v27
	v_cmp_eq_u32_e32 vcc, 0, v16
	v_lshlrev_b64 v[28:29], v28, v[4:5]
	v_and_b32_e32 v28, 7, v28
	v_cndmask_b32_e32 v16, v16, v27, vcc
	v_lshlrev_b32_e32 v4, 8, v4
	v_lshl_add_u32 v16, v16, 10, v26
	v_cndmask_b32_e32 v21, v21, v28, vcc
	v_and_or_b32 v4, v4, s27, v16
	v_lshl_or_b32 v4, v21, 7, v4
	v_cvt_f32_f16_e32 v21, v4
.LBB264_196:                            ;   in Loop: Header=BB264_179 Depth=1
	s_or_b64 exec, exec, s[12:13]
	v_cmp_gt_i16_sdwa s[12:13], v17, s25 src0_sel:BYTE_0 src1_sel:DWORD
	s_mov_b64 s[0:1], 0
                                        ; implicit-def: $sgpr18
	s_and_saveexec_b64 s[16:17], s[12:13]
	s_xor_b64 s[12:13], exec, s[16:17]
	s_cbranch_execnz .LBB264_264
; %bb.197:                              ;   in Loop: Header=BB264_179 Depth=1
	s_or_saveexec_b64 s[12:13], s[12:13]
	v_mov_b32_e32 v16, s18
	s_xor_b64 exec, exec, s[12:13]
	s_cbranch_execnz .LBB264_267
.LBB264_198:                            ;   in Loop: Header=BB264_179 Depth=1
	s_or_b64 exec, exec, s[12:13]
	v_mov_b32_e32 v4, v17
	s_and_saveexec_b64 s[12:13], s[0:1]
	s_cbranch_execz .LBB264_200
.LBB264_199:                            ;   in Loop: Header=BB264_179 Depth=1
	v_and_b32_e32 v16, 7, v17
	v_ffbh_u32_e32 v16, v16
	v_bfe_u32 v27, v17, 3, 4
	v_min_u32_e32 v16, 32, v16
	v_subrev_u32_e32 v28, 28, v16
	v_sub_u32_e32 v16, 29, v16
	v_cmp_eq_u32_e32 vcc, 0, v27
	s_nop 1
	v_cndmask_b32_e32 v16, v27, v16, vcc
	v_cndmask_b32_e32 v27, 0, v28, vcc
	v_lshlrev_b64 v[28:29], v27, v[4:5]
	v_lshlrev_b32_e32 v27, 7, v28
	v_lshlrev_b32_e32 v28, 8, v17
	v_lshl_add_u32 v16, v16, 10, v26
	v_and_or_b32 v16, v28, s27, v16
	v_and_or_b32 v16, v27, s34, v16
	v_cvt_f32_f16_e32 v16, v16
.LBB264_200:                            ;   in Loop: Header=BB264_179 Depth=1
	s_or_b64 exec, exec, s[12:13]
	v_lshrrev_b16_e32 v4, 8, v4
	v_cmp_lt_i16_e32 vcc, s25, v4
	s_mov_b64 s[0:1], 0
                                        ; implicit-def: $sgpr18
	s_and_saveexec_b64 s[12:13], vcc
	s_xor_b64 s[12:13], exec, s[12:13]
	s_cbranch_execnz .LBB264_268
; %bb.201:                              ;   in Loop: Header=BB264_179 Depth=1
	s_or_saveexec_b64 s[12:13], s[12:13]
	v_mov_b32_e32 v28, s18
	s_xor_b64 exec, exec, s[12:13]
	s_cbranch_execnz .LBB264_271
.LBB264_202:                            ;   in Loop: Header=BB264_179 Depth=1
	s_or_b64 exec, exec, s[12:13]
	s_and_saveexec_b64 s[12:13], s[0:1]
	s_cbranch_execz .LBB264_204
.LBB264_203:                            ;   in Loop: Header=BB264_179 Depth=1
	v_and_b32_e32 v27, 7, v4
	v_ffbh_u32_e32 v28, v27
	v_min_u32_e32 v31, 32, v28
	v_subrev_u32_e32 v28, 28, v31
	v_bfe_u32 v30, v4, 3, 4
	v_lshlrev_b64 v[28:29], v28, v[4:5]
	v_sub_u32_e32 v29, 29, v31
	v_cmp_eq_u32_e32 vcc, 0, v30
	v_and_b32_e32 v28, 7, v28
	v_lshlrev_b32_e32 v4, 8, v4
	v_cndmask_b32_e32 v29, v30, v29, vcc
	v_cndmask_b32_e32 v27, v27, v28, vcc
	v_lshl_add_u32 v28, v29, 10, v26
	v_and_or_b32 v4, v4, s27, v28
	v_lshl_or_b32 v4, v27, 7, v4
	v_cvt_f32_f16_e32 v28, v4
.LBB264_204:                            ;   in Loop: Header=BB264_179 Depth=1
	s_or_b64 exec, exec, s[12:13]
	v_lshrrev_b32_e32 v4, 16, v17
	v_cmp_gt_i16_sdwa s[12:13], v4, s25 src0_sel:BYTE_0 src1_sel:DWORD
	s_mov_b64 s[0:1], 0
                                        ; implicit-def: $sgpr18
	s_and_saveexec_b64 s[16:17], s[12:13]
	s_xor_b64 s[12:13], exec, s[16:17]
	s_cbranch_execnz .LBB264_272
; %bb.205:                              ;   in Loop: Header=BB264_179 Depth=1
	s_or_saveexec_b64 s[12:13], s[12:13]
	v_mov_b32_e32 v29, s18
	s_xor_b64 exec, exec, s[12:13]
	s_cbranch_execnz .LBB264_275
.LBB264_206:                            ;   in Loop: Header=BB264_179 Depth=1
	s_or_b64 exec, exec, s[12:13]
	s_and_saveexec_b64 s[12:13], s[0:1]
	s_cbranch_execz .LBB264_208
.LBB264_207:                            ;   in Loop: Header=BB264_179 Depth=1
	v_bfe_u32 v27, v17, 16, 3
	v_ffbh_u32_e32 v30, v27
	v_min_u32_e32 v32, 32, v30
	v_subrev_u32_e32 v30, 28, v32
	v_bfe_u32 v29, v17, 19, 4
	v_lshlrev_b64 v[30:31], v30, v[4:5]
	v_sub_u32_e32 v31, 29, v32
	v_cmp_eq_u32_e32 vcc, 0, v29
	v_and_b32_e32 v30, 7, v30
	v_lshlrev_b32_e32 v4, 8, v4
	v_cndmask_b32_e32 v29, v29, v31, vcc
	v_lshl_add_u32 v29, v29, 10, v26
	v_cndmask_b32_e32 v27, v27, v30, vcc
	v_and_or_b32 v4, v4, s27, v29
	v_lshl_or_b32 v4, v27, 7, v4
	v_cvt_f32_f16_e32 v29, v4
.LBB264_208:                            ;   in Loop: Header=BB264_179 Depth=1
	s_or_b64 exec, exec, s[12:13]
	v_lshrrev_b32_e32 v4, 24, v17
	v_cmp_lt_i16_e32 vcc, s25, v4
	s_mov_b64 s[0:1], 0
                                        ; implicit-def: $sgpr18
	s_and_saveexec_b64 s[12:13], vcc
	s_xor_b64 s[12:13], exec, s[12:13]
	s_cbranch_execnz .LBB264_276
; %bb.209:                              ;   in Loop: Header=BB264_179 Depth=1
	s_or_saveexec_b64 s[12:13], s[12:13]
	v_mov_b32_e32 v30, s18
	s_xor_b64 exec, exec, s[12:13]
	s_cbranch_execnz .LBB264_279
.LBB264_210:                            ;   in Loop: Header=BB264_179 Depth=1
	s_or_b64 exec, exec, s[12:13]
	s_and_saveexec_b64 s[12:13], s[0:1]
	s_cbranch_execz .LBB264_212
.LBB264_211:                            ;   in Loop: Header=BB264_179 Depth=1
	v_bfe_u32 v27, v17, 24, 3
	v_ffbh_u32_e32 v30, v27
	v_min_u32_e32 v32, 32, v30
	v_subrev_u32_e32 v30, 28, v32
	v_bfe_u32 v17, v17, 27, 4
	v_lshlrev_b64 v[30:31], v30, v[4:5]
	v_sub_u32_e32 v31, 29, v32
	v_cmp_eq_u32_e32 vcc, 0, v17
	v_and_b32_e32 v30, 7, v30
	v_lshlrev_b32_e32 v4, 8, v4
	v_cndmask_b32_e32 v17, v17, v31, vcc
	v_lshl_add_u32 v17, v17, 10, v26
	v_cndmask_b32_e32 v27, v27, v30, vcc
	v_and_or_b32 v4, v4, s27, v17
	v_lshl_or_b32 v4, v27, 7, v4
	v_cvt_f32_f16_e32 v30, v4
.LBB264_212:                            ;   in Loop: Header=BB264_179 Depth=1
	s_or_b64 exec, exec, s[12:13]
	s_waitcnt vmcnt(0)
	v_pk_mul_f32 v[20:21], v[14:15], v[20:21] op_sel_hi:[0,1]
	v_pk_mul_f32 v[18:19], v[14:15], v[18:19] op_sel_hi:[0,1]
	v_cvt_f16_f32_e32 v4, v21
	v_cvt_f16_f32_e32 v17, v20
	;; [unrolled: 1-line block ×4, first 2 shown]
	v_fma_mixlo_f16 v16, v14, v16, 0
	v_pack_b32_f16 v17, v17, v4
	v_add_u32_e32 v27, v24, v1
	v_pack_b32_f16 v18, v18, v19
	v_perm_b32 v4, v18, v17, s36
	v_perm_b32 v17, v18, v17, s37
	v_fma_mixlo_f16 v18, v14, v28, 0
	v_lshlrev_b32_e32 v18, 16, v18
	v_or_b32_sdwa v16, v18, v16 dst_sel:DWORD dst_unused:UNUSED_PAD src0_sel:DWORD src1_sel:WORD_0
	v_fma_mixlo_f16 v18, v14, v29, 0
	v_fma_mixlo_f16 v14, v14, v30, 0
	v_lshlrev_b32_e32 v14, 16, v14
	v_cmp_eq_u32_e32 vcc, s22, v2
	v_or_b32_sdwa v14, v14, v18 dst_sel:DWORD dst_unused:UNUSED_PAD src0_sel:DWORD src1_sel:WORD_0
	v_add_u32_e32 v32, 1, v27
	v_or_b32_e32 v31, 3, v27
	v_or_b32_e32 v30, 2, v27
	;; [unrolled: 1-line block ×6, first 2 shown]
	s_and_saveexec_b64 s[12:13], vcc
	s_cbranch_execz .LBB264_214
; %bb.213:                              ;   in Loop: Header=BB264_179 Depth=1
	v_lshrrev_b32_e32 v19, 16, v17
	v_cmp_gt_i32_e64 s[0:1], s24, v32
	v_lshrrev_b32_e32 v14, 16, v14
	s_nop 0
	v_cndmask_b32_e64 v19, 0, v19, s[0:1]
	v_cmp_gt_i32_e64 s[0:1], s33, v27
	s_nop 1
	v_cndmask_b32_e64 v17, 0, v17, s[0:1]
	v_perm_b32 v17, v19, v17, s38
	v_lshrrev_b32_e32 v19, 16, v4
	v_cmp_gt_i32_e64 s[0:1], s24, v31
	s_nop 1
	v_cndmask_b32_e64 v19, 0, v19, s[0:1]
	v_cmp_gt_i32_e64 s[0:1], s33, v30
	s_nop 1
	v_cndmask_b32_e64 v4, 0, v4, s[0:1]
	v_perm_b32 v4, v19, v4, s38
	v_lshrrev_b32_e32 v19, 16, v16
	v_cmp_gt_i32_e64 s[0:1], s24, v29
	s_nop 1
	v_cndmask_b32_e64 v19, 0, v19, s[0:1]
	v_cmp_gt_i32_e64 s[0:1], s33, v28
	s_nop 1
	v_cndmask_b32_e64 v16, 0, v16, s[0:1]
	v_cmp_gt_i32_e64 s[0:1], s24, v21
	v_perm_b32 v16, v19, v16, s38
	s_nop 0
	v_cndmask_b32_e64 v14, 0, v14, s[0:1]
	v_cmp_gt_i32_e64 s[0:1], s33, v20
	s_nop 1
	v_cndmask_b32_e64 v18, 0, v18, s[0:1]
	v_perm_b32 v14, v14, v18, s38
.LBB264_214:                            ;   in Loop: Header=BB264_179 Depth=1
	s_or_b64 exec, exec, s[12:13]
	v_and_b32_e32 v18, 0xffff, v33
	v_lshl_or_b32 v36, v34, 16, v18
	v_and_b32_e32 v18, 0xffff, v35
	v_lshl_or_b32 v35, v37, 16, v18
	;; [unrolled: 2-line block ×3, first 2 shown]
	v_and_b32_e32 v18, 0xffff, v40
	;;#ASMSTART
	v_pk_mul_f16 v17, v36, v17;

	;;#ASMEND
	;;#ASMSTART
	v_pk_mul_f16 v4, v35, v4;

	;;#ASMEND
	v_lshl_or_b32 v33, v41, 16, v18
	;;#ASMSTART
	v_pk_mul_f16 v16, v34, v16;

	;;#ASMEND
	;;#ASMSTART
	v_pk_mul_f16 v14, v33, v14;

	;;#ASMEND
	;;#ASMSTART
	v_pk_add_f16 v4, v17, v4;

	;;#ASMEND
	s_mov_b64 s[0:1], 0
	;;#ASMSTART
	v_pk_add_f16 v4, v4, v16;

	;;#ASMEND
                                        ; implicit-def: $sgpr18
	s_nop 0
	;;#ASMSTART
	v_pk_add_f16 v4, v4, v14;

	;;#ASMEND
	s_nop 0
	v_lshrrev_b32_e32 v14, 16, v4
	v_and_b32_e32 v4, 0xffff, v4
	;;#ASMSTART
	v_cvt_f32_f16 v37, v4;
	;;#ASMEND
	;;#ASMSTART
	v_cvt_f32_f16 v38, v14;
	;;#ASMEND
	global_load_dwordx2 v[16:17], v[12:13], off offset:512
	global_load_dword v14, v5, s[14:15]
	s_waitcnt vmcnt(1)
	v_cmp_gt_i16_sdwa s[12:13], v16, s25 src0_sel:BYTE_0 src1_sel:DWORD
	s_and_saveexec_b64 s[16:17], s[12:13]
	s_xor_b64 s[12:13], exec, s[16:17]
	s_cbranch_execnz .LBB264_280
; %bb.215:                              ;   in Loop: Header=BB264_179 Depth=1
	s_or_saveexec_b64 s[12:13], s[12:13]
	v_mov_b32_e32 v12, s18
	s_xor_b64 exec, exec, s[12:13]
	s_cbranch_execnz .LBB264_283
.LBB264_216:                            ;   in Loop: Header=BB264_179 Depth=1
	s_or_b64 exec, exec, s[12:13]
	s_and_saveexec_b64 s[12:13], s[0:1]
	s_cbranch_execz .LBB264_218
.LBB264_217:                            ;   in Loop: Header=BB264_179 Depth=1
	v_and_b32_e32 v4, 7, v16
	v_ffbh_u32_e32 v4, v4
	v_bfe_u32 v12, v16, 3, 4
	v_min_u32_e32 v4, 32, v4
	v_subrev_u32_e32 v13, 28, v4
	v_sub_u32_e32 v4, 29, v4
	v_cmp_eq_u32_e64 s[0:1], 0, v12
	s_nop 1
	v_cndmask_b32_e64 v4, v12, v4, s[0:1]
	v_cndmask_b32_e64 v12, 0, v13, s[0:1]
	v_lshlrev_b64 v[12:13], v12, v[16:17]
	v_lshlrev_b32_e32 v13, 8, v16
	v_lshl_add_u32 v4, v4, 10, v26
	v_lshlrev_b32_e32 v12, 7, v12
	v_and_or_b32 v4, v13, s27, v4
	v_and_or_b32 v4, v12, s34, v4
	v_cvt_f32_f16_e32 v12, v4
.LBB264_218:                            ;   in Loop: Header=BB264_179 Depth=1
	s_or_b64 exec, exec, s[12:13]
	v_lshrrev_b16_e32 v4, 8, v16
	v_cmp_lt_i16_e64 s[0:1], s25, v4
	s_mov_b64 s[12:13], 0
                                        ; implicit-def: $sgpr39
	s_and_saveexec_b64 s[16:17], s[0:1]
	s_xor_b64 s[16:17], exec, s[16:17]
	s_cbranch_execnz .LBB264_284
; %bb.219:                              ;   in Loop: Header=BB264_179 Depth=1
	s_or_saveexec_b64 s[16:17], s[16:17]
	v_mov_b32_e32 v18, s39
	s_xor_b64 exec, exec, s[16:17]
	s_cbranch_execnz .LBB264_287
.LBB264_220:                            ;   in Loop: Header=BB264_179 Depth=1
	s_or_b64 exec, exec, s[16:17]
	s_and_saveexec_b64 s[16:17], s[12:13]
	s_cbranch_execz .LBB264_222
.LBB264_221:                            ;   in Loop: Header=BB264_179 Depth=1
	v_and_b32_e32 v13, 7, v4
	v_ffbh_u32_e32 v18, v13
	v_min_u32_e32 v40, 32, v18
	v_subrev_u32_e32 v18, 28, v40
	v_bfe_u32 v39, v4, 3, 4
	v_lshlrev_b64 v[18:19], v18, v[4:5]
	v_sub_u32_e32 v19, 29, v40
	v_cmp_eq_u32_e64 s[0:1], 0, v39
	v_and_b32_e32 v18, 7, v18
	v_lshlrev_b32_e32 v4, 8, v4
	v_cndmask_b32_e64 v19, v39, v19, s[0:1]
	v_cndmask_b32_e64 v13, v13, v18, s[0:1]
	v_lshl_add_u32 v18, v19, 10, v26
	v_and_or_b32 v4, v4, s27, v18
	v_lshl_or_b32 v4, v13, 7, v4
	v_cvt_f32_f16_e32 v18, v4
.LBB264_222:                            ;   in Loop: Header=BB264_179 Depth=1
	s_or_b64 exec, exec, s[16:17]
	v_lshrrev_b32_e32 v4, 16, v16
	v_cmp_gt_i16_sdwa s[12:13], v4, s25 src0_sel:BYTE_0 src1_sel:DWORD
	s_mov_b64 s[0:1], 0
                                        ; implicit-def: $sgpr18
	s_and_saveexec_b64 s[16:17], s[12:13]
	s_xor_b64 s[12:13], exec, s[16:17]
	s_cbranch_execnz .LBB264_288
; %bb.223:                              ;   in Loop: Header=BB264_179 Depth=1
	s_or_saveexec_b64 s[12:13], s[12:13]
	v_mov_b32_e32 v13, s18
	s_xor_b64 exec, exec, s[12:13]
	s_cbranch_execnz .LBB264_291
.LBB264_224:                            ;   in Loop: Header=BB264_179 Depth=1
	s_or_b64 exec, exec, s[12:13]
	s_and_saveexec_b64 s[12:13], s[0:1]
	s_cbranch_execz .LBB264_226
.LBB264_225:                            ;   in Loop: Header=BB264_179 Depth=1
	v_bfe_u32 v13, v16, 16, 3
	v_ffbh_u32_e32 v39, v13
	v_bfe_u32 v19, v16, 19, 4
	v_min_u32_e32 v39, 32, v39
	v_subrev_u32_e32 v40, 28, v39
	v_sub_u32_e32 v39, 29, v39
	v_cmp_eq_u32_e64 s[0:1], 0, v19
	v_lshlrev_b64 v[40:41], v40, v[4:5]
	v_and_b32_e32 v40, 7, v40
	v_cndmask_b32_e64 v19, v19, v39, s[0:1]
	v_lshlrev_b32_e32 v4, 8, v4
	v_lshl_add_u32 v19, v19, 10, v26
	v_cndmask_b32_e64 v13, v13, v40, s[0:1]
	v_and_or_b32 v4, v4, s27, v19
	v_lshl_or_b32 v4, v13, 7, v4
	v_cvt_f32_f16_e32 v13, v4
.LBB264_226:                            ;   in Loop: Header=BB264_179 Depth=1
	s_or_b64 exec, exec, s[12:13]
	v_lshrrev_b32_e32 v4, 24, v16
	v_cmp_lt_i16_e64 s[0:1], s25, v4
	s_mov_b64 s[12:13], 0
                                        ; implicit-def: $sgpr39
	s_and_saveexec_b64 s[16:17], s[0:1]
	s_xor_b64 s[16:17], exec, s[16:17]
	s_cbranch_execnz .LBB264_292
; %bb.227:                              ;   in Loop: Header=BB264_179 Depth=1
	s_or_saveexec_b64 s[16:17], s[16:17]
	v_mov_b32_e32 v19, s39
	s_xor_b64 exec, exec, s[16:17]
	s_cbranch_execnz .LBB264_295
.LBB264_228:                            ;   in Loop: Header=BB264_179 Depth=1
	s_or_b64 exec, exec, s[16:17]
	s_and_saveexec_b64 s[16:17], s[12:13]
	s_cbranch_execz .LBB264_230
.LBB264_229:                            ;   in Loop: Header=BB264_179 Depth=1
	v_bfe_u32 v19, v16, 24, 3
	v_ffbh_u32_e32 v39, v19
	v_bfe_u32 v16, v16, 27, 4
	v_min_u32_e32 v39, 32, v39
	v_subrev_u32_e32 v40, 28, v39
	v_sub_u32_e32 v39, 29, v39
	v_cmp_eq_u32_e64 s[0:1], 0, v16
	v_lshlrev_b64 v[40:41], v40, v[4:5]
	v_and_b32_e32 v40, 7, v40
	v_cndmask_b32_e64 v16, v16, v39, s[0:1]
	v_lshlrev_b32_e32 v4, 8, v4
	v_lshl_add_u32 v16, v16, 10, v26
	v_cndmask_b32_e64 v19, v19, v40, s[0:1]
	v_and_or_b32 v4, v4, s27, v16
	v_lshl_or_b32 v4, v19, 7, v4
	v_cvt_f32_f16_e32 v19, v4
.LBB264_230:                            ;   in Loop: Header=BB264_179 Depth=1
	s_or_b64 exec, exec, s[16:17]
	v_cmp_gt_i16_sdwa s[12:13], v17, s25 src0_sel:BYTE_0 src1_sel:DWORD
	s_mov_b64 s[0:1], 0
                                        ; implicit-def: $sgpr18
	s_and_saveexec_b64 s[16:17], s[12:13]
	s_xor_b64 s[12:13], exec, s[16:17]
	s_cbranch_execnz .LBB264_296
; %bb.231:                              ;   in Loop: Header=BB264_179 Depth=1
	s_or_saveexec_b64 s[12:13], s[12:13]
	v_mov_b32_e32 v16, s18
	s_xor_b64 exec, exec, s[12:13]
	s_cbranch_execnz .LBB264_299
.LBB264_232:                            ;   in Loop: Header=BB264_179 Depth=1
	s_or_b64 exec, exec, s[12:13]
	v_mov_b32_e32 v4, v17
	s_and_saveexec_b64 s[12:13], s[0:1]
	s_cbranch_execz .LBB264_234
.LBB264_233:                            ;   in Loop: Header=BB264_179 Depth=1
	v_and_b32_e32 v16, 7, v17
	v_ffbh_u32_e32 v16, v16
	v_bfe_u32 v39, v17, 3, 4
	v_min_u32_e32 v16, 32, v16
	v_subrev_u32_e32 v40, 28, v16
	v_sub_u32_e32 v16, 29, v16
	v_cmp_eq_u32_e64 s[0:1], 0, v39
	s_nop 1
	v_cndmask_b32_e64 v16, v39, v16, s[0:1]
	v_cndmask_b32_e64 v39, 0, v40, s[0:1]
	v_lshlrev_b64 v[40:41], v39, v[4:5]
	v_lshlrev_b32_e32 v39, 7, v40
	v_lshlrev_b32_e32 v40, 8, v17
	v_lshl_add_u32 v16, v16, 10, v26
	v_and_or_b32 v16, v40, s27, v16
	v_and_or_b32 v16, v39, s34, v16
	v_cvt_f32_f16_e32 v16, v16
.LBB264_234:                            ;   in Loop: Header=BB264_179 Depth=1
	s_or_b64 exec, exec, s[12:13]
	v_lshrrev_b16_e32 v4, 8, v4
	v_cmp_lt_i16_e64 s[0:1], s25, v4
	s_mov_b64 s[12:13], 0
                                        ; implicit-def: $sgpr39
	s_and_saveexec_b64 s[16:17], s[0:1]
	s_xor_b64 s[16:17], exec, s[16:17]
	s_cbranch_execnz .LBB264_300
; %bb.235:                              ;   in Loop: Header=BB264_179 Depth=1
	s_or_saveexec_b64 s[16:17], s[16:17]
	v_mov_b32_e32 v39, s39
	s_xor_b64 exec, exec, s[16:17]
	s_cbranch_execnz .LBB264_303
.LBB264_236:                            ;   in Loop: Header=BB264_179 Depth=1
	s_or_b64 exec, exec, s[16:17]
	s_and_saveexec_b64 s[16:17], s[12:13]
	s_cbranch_execz .LBB264_238
.LBB264_237:                            ;   in Loop: Header=BB264_179 Depth=1
	v_and_b32_e32 v39, 7, v4
	v_ffbh_u32_e32 v40, v39
	v_min_u32_e32 v43, 32, v40
	v_subrev_u32_e32 v40, 28, v43
	v_bfe_u32 v42, v4, 3, 4
	v_lshlrev_b64 v[40:41], v40, v[4:5]
	v_sub_u32_e32 v41, 29, v43
	v_cmp_eq_u32_e64 s[0:1], 0, v42
	v_and_b32_e32 v40, 7, v40
	v_lshlrev_b32_e32 v4, 8, v4
	v_cndmask_b32_e64 v41, v42, v41, s[0:1]
	v_cndmask_b32_e64 v39, v39, v40, s[0:1]
	v_lshl_add_u32 v40, v41, 10, v26
	v_and_or_b32 v4, v4, s27, v40
	v_lshl_or_b32 v4, v39, 7, v4
	v_cvt_f32_f16_e32 v39, v4
.LBB264_238:                            ;   in Loop: Header=BB264_179 Depth=1
	s_or_b64 exec, exec, s[16:17]
	v_lshrrev_b32_e32 v4, 16, v17
	v_cmp_gt_i16_sdwa s[12:13], v4, s25 src0_sel:BYTE_0 src1_sel:DWORD
	s_mov_b64 s[0:1], 0
                                        ; implicit-def: $sgpr18
	s_and_saveexec_b64 s[16:17], s[12:13]
	s_xor_b64 s[12:13], exec, s[16:17]
	s_cbranch_execnz .LBB264_304
; %bb.239:                              ;   in Loop: Header=BB264_179 Depth=1
	s_or_saveexec_b64 s[12:13], s[12:13]
	v_mov_b32_e32 v40, s18
	s_xor_b64 exec, exec, s[12:13]
	s_cbranch_execnz .LBB264_307
.LBB264_240:                            ;   in Loop: Header=BB264_179 Depth=1
	s_or_b64 exec, exec, s[12:13]
	s_and_saveexec_b64 s[12:13], s[0:1]
	s_cbranch_execz .LBB264_242
.LBB264_241:                            ;   in Loop: Header=BB264_179 Depth=1
	v_bfe_u32 v42, v17, 16, 3
	v_ffbh_u32_e32 v40, v42
	v_min_u32_e32 v44, 32, v40
	v_subrev_u32_e32 v40, 28, v44
	v_bfe_u32 v43, v17, 19, 4
	v_lshlrev_b64 v[40:41], v40, v[4:5]
	v_sub_u32_e32 v41, 29, v44
	v_cmp_eq_u32_e64 s[0:1], 0, v43
	v_and_b32_e32 v40, 7, v40
	v_lshlrev_b32_e32 v4, 8, v4
	v_cndmask_b32_e64 v41, v43, v41, s[0:1]
	v_lshl_add_u32 v41, v41, 10, v26
	v_cndmask_b32_e64 v40, v42, v40, s[0:1]
	v_and_or_b32 v4, v4, s27, v41
	v_lshl_or_b32 v4, v40, 7, v4
	v_cvt_f32_f16_e32 v40, v4
.LBB264_242:                            ;   in Loop: Header=BB264_179 Depth=1
	s_or_b64 exec, exec, s[12:13]
	v_lshrrev_b32_e32 v4, 24, v17
	v_cmp_lt_i16_e64 s[0:1], s25, v4
	s_mov_b64 s[12:13], 0
                                        ; implicit-def: $sgpr39
	s_and_saveexec_b64 s[16:17], s[0:1]
	s_xor_b64 s[16:17], exec, s[16:17]
	s_cbranch_execnz .LBB264_308
; %bb.243:                              ;   in Loop: Header=BB264_179 Depth=1
	s_or_saveexec_b64 s[16:17], s[16:17]
	v_mov_b32_e32 v41, s39
	s_xor_b64 exec, exec, s[16:17]
	s_cbranch_execnz .LBB264_311
.LBB264_244:                            ;   in Loop: Header=BB264_179 Depth=1
	s_or_b64 exec, exec, s[16:17]
	s_and_saveexec_b64 s[16:17], s[12:13]
	s_cbranch_execz .LBB264_246
.LBB264_245:                            ;   in Loop: Header=BB264_179 Depth=1
	v_bfe_u32 v41, v17, 24, 3
	v_ffbh_u32_e32 v42, v41
	v_min_u32_e32 v44, 32, v42
	v_subrev_u32_e32 v42, 28, v44
	v_bfe_u32 v17, v17, 27, 4
	v_lshlrev_b64 v[42:43], v42, v[4:5]
	v_sub_u32_e32 v43, 29, v44
	v_cmp_eq_u32_e64 s[0:1], 0, v17
	v_and_b32_e32 v42, 7, v42
	v_lshlrev_b32_e32 v4, 8, v4
	v_cndmask_b32_e64 v17, v17, v43, s[0:1]
	v_lshl_add_u32 v17, v17, 10, v26
	v_cndmask_b32_e64 v41, v41, v42, s[0:1]
	v_and_or_b32 v4, v4, s27, v17
	v_lshl_or_b32 v4, v41, 7, v4
	v_cvt_f32_f16_e32 v41, v4
.LBB264_246:                            ;   in Loop: Header=BB264_179 Depth=1
	s_or_b64 exec, exec, s[16:17]
	s_waitcnt vmcnt(0)
	v_pk_mul_f32 v[18:19], v[14:15], v[18:19] op_sel_hi:[0,1]
	v_pk_mul_f32 v[12:13], v[14:15], v[12:13] op_sel_hi:[0,1]
	v_cvt_f16_f32_e32 v4, v19
	v_cvt_f16_f32_e32 v17, v18
	;; [unrolled: 1-line block ×4, first 2 shown]
	v_fma_mixlo_f16 v16, v14, v16, 0
	v_pack_b32_f16 v17, v17, v4
	v_pack_b32_f16 v12, v12, v13
	v_perm_b32 v4, v12, v17, s36
	v_perm_b32 v13, v12, v17, s37
	v_fma_mixlo_f16 v12, v14, v39, 0
	v_lshlrev_b32_e32 v12, 16, v12
	v_or_b32_sdwa v12, v12, v16 dst_sel:DWORD dst_unused:UNUSED_PAD src0_sel:DWORD src1_sel:WORD_0
	v_fma_mixlo_f16 v16, v14, v40, 0
	v_fma_mixlo_f16 v14, v14, v41, 0
	v_lshlrev_b32_e32 v14, 16, v14
	v_or_b32_sdwa v14, v14, v16 dst_sel:DWORD dst_unused:UNUSED_PAD src0_sel:DWORD src1_sel:WORD_0
	s_and_saveexec_b64 s[0:1], vcc
	s_cbranch_execz .LBB264_177
; %bb.247:                              ;   in Loop: Header=BB264_179 Depth=1
	v_lshrrev_b32_e32 v17, 16, v13
	v_cmp_gt_i32_e32 vcc, s24, v32
	v_lshrrev_b32_e32 v14, 16, v14
	s_nop 0
	v_cndmask_b32_e32 v17, 0, v17, vcc
	v_cmp_gt_i32_e32 vcc, s33, v27
	s_nop 1
	v_cndmask_b32_e32 v13, 0, v13, vcc
	v_perm_b32 v13, v17, v13, s38
	v_lshrrev_b32_e32 v17, 16, v4
	v_cmp_gt_i32_e32 vcc, s24, v31
	s_nop 1
	v_cndmask_b32_e32 v17, 0, v17, vcc
	v_cmp_gt_i32_e32 vcc, s33, v30
	s_nop 1
	v_cndmask_b32_e32 v4, 0, v4, vcc
	v_perm_b32 v4, v17, v4, s38
	v_lshrrev_b32_e32 v17, 16, v12
	v_cmp_gt_i32_e32 vcc, s24, v29
	s_nop 1
	v_cndmask_b32_e32 v17, 0, v17, vcc
	v_cmp_gt_i32_e32 vcc, s33, v28
	s_nop 1
	v_cndmask_b32_e32 v12, 0, v12, vcc
	v_cmp_gt_i32_e32 vcc, s24, v21
	v_perm_b32 v12, v17, v12, s38
	s_nop 0
	v_cndmask_b32_e32 v14, 0, v14, vcc
	v_cmp_gt_i32_e32 vcc, s33, v20
	s_nop 1
	v_cndmask_b32_e32 v16, 0, v16, vcc
	v_perm_b32 v14, v14, v16, s38
	s_branch .LBB264_177
.LBB264_248:                            ;   in Loop: Header=BB264_179 Depth=1
	v_cmp_eq_u16_sdwa s[40:41], v16, s26 src0_sel:BYTE_0 src1_sel:DWORD
	s_mov_b64 s[0:1], -1
                                        ; implicit-def: $sgpr18
	s_and_saveexec_b64 s[16:17], s[40:41]
; %bb.249:                              ;   in Loop: Header=BB264_179 Depth=1
	s_mov_b32 s18, 0x7fc02000
	s_xor_b64 s[0:1], exec, -1
; %bb.250:                              ;   in Loop: Header=BB264_179 Depth=1
	s_or_b64 exec, exec, s[16:17]
	s_and_b64 s[0:1], s[0:1], exec
	s_or_saveexec_b64 s[12:13], s[12:13]
	v_mov_b32_e32 v18, s18
	s_xor_b64 exec, exec, s[12:13]
	s_cbranch_execz .LBB264_182
.LBB264_251:                            ;   in Loop: Header=BB264_179 Depth=1
	v_cmp_ne_u16_sdwa s[16:17], v16, v5 src0_sel:BYTE_0 src1_sel:DWORD
	s_andn2_b64 s[0:1], s[0:1], exec
	s_and_b64 s[16:17], s[16:17], exec
	v_mov_b32_e32 v18, 0
	s_or_b64 s[0:1], s[0:1], s[16:17]
	s_or_b64 exec, exec, s[12:13]
	s_and_saveexec_b64 s[12:13], s[0:1]
	s_cbranch_execnz .LBB264_183
	s_branch .LBB264_184
.LBB264_252:                            ;   in Loop: Header=BB264_179 Depth=1
	v_cmp_eq_u16_e32 vcc, s26, v4
	s_mov_b64 s[0:1], -1
                                        ; implicit-def: $sgpr18
	s_and_saveexec_b64 s[16:17], vcc
; %bb.253:                              ;   in Loop: Header=BB264_179 Depth=1
	s_mov_b32 s18, 0x7fc02000
	s_xor_b64 s[0:1], exec, -1
; %bb.254:                              ;   in Loop: Header=BB264_179 Depth=1
	s_or_b64 exec, exec, s[16:17]
	s_and_b64 s[0:1], s[0:1], exec
	s_or_saveexec_b64 s[12:13], s[12:13]
	v_mov_b32_e32 v20, s18
	s_xor_b64 exec, exec, s[12:13]
	s_cbranch_execz .LBB264_186
.LBB264_255:                            ;   in Loop: Header=BB264_179 Depth=1
	v_cmp_ne_u16_e32 vcc, 0, v4
	s_andn2_b64 s[0:1], s[0:1], exec
	s_and_b64 s[16:17], vcc, exec
	v_mov_b32_e32 v20, 0
	s_or_b64 s[0:1], s[0:1], s[16:17]
	s_or_b64 exec, exec, s[12:13]
	s_and_saveexec_b64 s[12:13], s[0:1]
	s_cbranch_execnz .LBB264_187
	s_branch .LBB264_188
.LBB264_256:                            ;   in Loop: Header=BB264_179 Depth=1
	v_cmp_eq_u16_sdwa s[40:41], v4, s26 src0_sel:BYTE_0 src1_sel:DWORD
	s_mov_b64 s[0:1], -1
                                        ; implicit-def: $sgpr18
	s_and_saveexec_b64 s[16:17], s[40:41]
; %bb.257:                              ;   in Loop: Header=BB264_179 Depth=1
	s_mov_b32 s18, 0x7fc02000
	s_xor_b64 s[0:1], exec, -1
; %bb.258:                              ;   in Loop: Header=BB264_179 Depth=1
	s_or_b64 exec, exec, s[16:17]
	s_and_b64 s[0:1], s[0:1], exec
	s_or_saveexec_b64 s[12:13], s[12:13]
	v_mov_b32_e32 v19, s18
	s_xor_b64 exec, exec, s[12:13]
	s_cbranch_execz .LBB264_190
.LBB264_259:                            ;   in Loop: Header=BB264_179 Depth=1
	v_cmp_ne_u16_sdwa s[16:17], v4, v5 src0_sel:BYTE_0 src1_sel:DWORD
	s_andn2_b64 s[0:1], s[0:1], exec
	s_and_b64 s[16:17], s[16:17], exec
	v_mov_b32_e32 v19, 0
	s_or_b64 s[0:1], s[0:1], s[16:17]
	s_or_b64 exec, exec, s[12:13]
	s_and_saveexec_b64 s[12:13], s[0:1]
	s_cbranch_execnz .LBB264_191
	s_branch .LBB264_192
.LBB264_260:                            ;   in Loop: Header=BB264_179 Depth=1
	v_cmp_eq_u16_e32 vcc, s26, v4
	s_mov_b64 s[0:1], -1
                                        ; implicit-def: $sgpr18
	s_and_saveexec_b64 s[16:17], vcc
; %bb.261:                              ;   in Loop: Header=BB264_179 Depth=1
	s_mov_b32 s18, 0x7fc02000
	s_xor_b64 s[0:1], exec, -1
; %bb.262:                              ;   in Loop: Header=BB264_179 Depth=1
	s_or_b64 exec, exec, s[16:17]
	s_and_b64 s[0:1], s[0:1], exec
	s_or_saveexec_b64 s[12:13], s[12:13]
	v_mov_b32_e32 v21, s18
	s_xor_b64 exec, exec, s[12:13]
	s_cbranch_execz .LBB264_194
.LBB264_263:                            ;   in Loop: Header=BB264_179 Depth=1
	v_cmp_ne_u16_e32 vcc, 0, v4
	s_andn2_b64 s[0:1], s[0:1], exec
	s_and_b64 s[16:17], vcc, exec
	v_mov_b32_e32 v21, 0
	s_or_b64 s[0:1], s[0:1], s[16:17]
	s_or_b64 exec, exec, s[12:13]
	s_and_saveexec_b64 s[12:13], s[0:1]
	s_cbranch_execnz .LBB264_195
	s_branch .LBB264_196
.LBB264_264:                            ;   in Loop: Header=BB264_179 Depth=1
	v_cmp_eq_u16_sdwa s[40:41], v17, s26 src0_sel:BYTE_0 src1_sel:DWORD
	s_mov_b64 s[0:1], -1
                                        ; implicit-def: $sgpr18
	s_and_saveexec_b64 s[16:17], s[40:41]
; %bb.265:                              ;   in Loop: Header=BB264_179 Depth=1
	s_mov_b32 s18, 0x7fc02000
	s_xor_b64 s[0:1], exec, -1
; %bb.266:                              ;   in Loop: Header=BB264_179 Depth=1
	s_or_b64 exec, exec, s[16:17]
	s_and_b64 s[0:1], s[0:1], exec
	s_or_saveexec_b64 s[12:13], s[12:13]
	v_mov_b32_e32 v16, s18
	s_xor_b64 exec, exec, s[12:13]
	s_cbranch_execz .LBB264_198
.LBB264_267:                            ;   in Loop: Header=BB264_179 Depth=1
	v_cmp_ne_u16_sdwa s[16:17], v17, v5 src0_sel:BYTE_0 src1_sel:DWORD
	s_andn2_b64 s[0:1], s[0:1], exec
	s_and_b64 s[16:17], s[16:17], exec
	v_mov_b32_e32 v16, 0
	s_or_b64 s[0:1], s[0:1], s[16:17]
	s_or_b64 exec, exec, s[12:13]
	v_mov_b32_e32 v4, v17
	s_and_saveexec_b64 s[12:13], s[0:1]
	s_cbranch_execnz .LBB264_199
	s_branch .LBB264_200
.LBB264_268:                            ;   in Loop: Header=BB264_179 Depth=1
	v_cmp_eq_u16_e32 vcc, s26, v4
	s_mov_b64 s[0:1], -1
                                        ; implicit-def: $sgpr18
	s_and_saveexec_b64 s[16:17], vcc
; %bb.269:                              ;   in Loop: Header=BB264_179 Depth=1
	s_mov_b32 s18, 0x7fc02000
	s_xor_b64 s[0:1], exec, -1
; %bb.270:                              ;   in Loop: Header=BB264_179 Depth=1
	s_or_b64 exec, exec, s[16:17]
	s_and_b64 s[0:1], s[0:1], exec
	s_or_saveexec_b64 s[12:13], s[12:13]
	v_mov_b32_e32 v28, s18
	s_xor_b64 exec, exec, s[12:13]
	s_cbranch_execz .LBB264_202
.LBB264_271:                            ;   in Loop: Header=BB264_179 Depth=1
	v_cmp_ne_u16_e32 vcc, 0, v4
	s_andn2_b64 s[0:1], s[0:1], exec
	s_and_b64 s[16:17], vcc, exec
	v_mov_b32_e32 v28, 0
	s_or_b64 s[0:1], s[0:1], s[16:17]
	s_or_b64 exec, exec, s[12:13]
	s_and_saveexec_b64 s[12:13], s[0:1]
	s_cbranch_execnz .LBB264_203
	s_branch .LBB264_204
.LBB264_272:                            ;   in Loop: Header=BB264_179 Depth=1
	v_cmp_eq_u16_sdwa s[40:41], v4, s26 src0_sel:BYTE_0 src1_sel:DWORD
	s_mov_b64 s[0:1], -1
                                        ; implicit-def: $sgpr18
	s_and_saveexec_b64 s[16:17], s[40:41]
; %bb.273:                              ;   in Loop: Header=BB264_179 Depth=1
	s_mov_b32 s18, 0x7fc02000
	s_xor_b64 s[0:1], exec, -1
; %bb.274:                              ;   in Loop: Header=BB264_179 Depth=1
	s_or_b64 exec, exec, s[16:17]
	s_and_b64 s[0:1], s[0:1], exec
	s_or_saveexec_b64 s[12:13], s[12:13]
	v_mov_b32_e32 v29, s18
	s_xor_b64 exec, exec, s[12:13]
	s_cbranch_execz .LBB264_206
.LBB264_275:                            ;   in Loop: Header=BB264_179 Depth=1
	v_cmp_ne_u16_sdwa s[16:17], v4, v5 src0_sel:BYTE_0 src1_sel:DWORD
	s_andn2_b64 s[0:1], s[0:1], exec
	s_and_b64 s[16:17], s[16:17], exec
	v_mov_b32_e32 v29, 0
	s_or_b64 s[0:1], s[0:1], s[16:17]
	s_or_b64 exec, exec, s[12:13]
	s_and_saveexec_b64 s[12:13], s[0:1]
	s_cbranch_execnz .LBB264_207
	s_branch .LBB264_208
.LBB264_276:                            ;   in Loop: Header=BB264_179 Depth=1
	v_cmp_eq_u16_e32 vcc, s26, v4
	s_mov_b64 s[0:1], -1
                                        ; implicit-def: $sgpr18
	s_and_saveexec_b64 s[16:17], vcc
; %bb.277:                              ;   in Loop: Header=BB264_179 Depth=1
	s_mov_b32 s18, 0x7fc02000
	s_xor_b64 s[0:1], exec, -1
; %bb.278:                              ;   in Loop: Header=BB264_179 Depth=1
	s_or_b64 exec, exec, s[16:17]
	s_and_b64 s[0:1], s[0:1], exec
	s_or_saveexec_b64 s[12:13], s[12:13]
	v_mov_b32_e32 v30, s18
	s_xor_b64 exec, exec, s[12:13]
	s_cbranch_execz .LBB264_210
.LBB264_279:                            ;   in Loop: Header=BB264_179 Depth=1
	v_cmp_ne_u16_e32 vcc, 0, v4
	s_andn2_b64 s[0:1], s[0:1], exec
	s_and_b64 s[16:17], vcc, exec
	v_mov_b32_e32 v30, 0
	s_or_b64 s[0:1], s[0:1], s[16:17]
	s_or_b64 exec, exec, s[12:13]
	s_and_saveexec_b64 s[12:13], s[0:1]
	s_cbranch_execnz .LBB264_211
	s_branch .LBB264_212
.LBB264_280:                            ;   in Loop: Header=BB264_179 Depth=1
	v_cmp_eq_u16_sdwa s[40:41], v16, s26 src0_sel:BYTE_0 src1_sel:DWORD
	s_mov_b64 s[0:1], -1
                                        ; implicit-def: $sgpr18
	s_and_saveexec_b64 s[16:17], s[40:41]
; %bb.281:                              ;   in Loop: Header=BB264_179 Depth=1
	s_mov_b32 s18, 0x7fc02000
	s_xor_b64 s[0:1], exec, -1
; %bb.282:                              ;   in Loop: Header=BB264_179 Depth=1
	s_or_b64 exec, exec, s[16:17]
	s_and_b64 s[0:1], s[0:1], exec
	s_or_saveexec_b64 s[12:13], s[12:13]
	v_mov_b32_e32 v12, s18
	s_xor_b64 exec, exec, s[12:13]
	s_cbranch_execz .LBB264_216
.LBB264_283:                            ;   in Loop: Header=BB264_179 Depth=1
	v_cmp_ne_u16_sdwa s[16:17], v16, v5 src0_sel:BYTE_0 src1_sel:DWORD
	s_andn2_b64 s[0:1], s[0:1], exec
	s_and_b64 s[16:17], s[16:17], exec
	v_mov_b32_e32 v12, 0
	s_or_b64 s[0:1], s[0:1], s[16:17]
	s_or_b64 exec, exec, s[12:13]
	s_and_saveexec_b64 s[12:13], s[0:1]
	s_cbranch_execnz .LBB264_217
	s_branch .LBB264_218
.LBB264_284:                            ;   in Loop: Header=BB264_179 Depth=1
	v_cmp_eq_u16_e64 s[0:1], s26, v4
	s_mov_b64 s[12:13], -1
                                        ; implicit-def: $sgpr39
	s_and_saveexec_b64 s[18:19], s[0:1]
; %bb.285:                              ;   in Loop: Header=BB264_179 Depth=1
	s_mov_b32 s39, 0x7fc02000
	s_xor_b64 s[12:13], exec, -1
; %bb.286:                              ;   in Loop: Header=BB264_179 Depth=1
	s_or_b64 exec, exec, s[18:19]
	s_and_b64 s[12:13], s[12:13], exec
	s_or_saveexec_b64 s[16:17], s[16:17]
	v_mov_b32_e32 v18, s39
	s_xor_b64 exec, exec, s[16:17]
	s_cbranch_execz .LBB264_220
.LBB264_287:                            ;   in Loop: Header=BB264_179 Depth=1
	v_cmp_ne_u16_e64 s[0:1], 0, v4
	s_andn2_b64 s[12:13], s[12:13], exec
	s_and_b64 s[0:1], s[0:1], exec
	v_mov_b32_e32 v18, 0
	s_or_b64 s[12:13], s[12:13], s[0:1]
	s_or_b64 exec, exec, s[16:17]
	s_and_saveexec_b64 s[16:17], s[12:13]
	s_cbranch_execnz .LBB264_221
	s_branch .LBB264_222
.LBB264_288:                            ;   in Loop: Header=BB264_179 Depth=1
	v_cmp_eq_u16_sdwa s[40:41], v4, s26 src0_sel:BYTE_0 src1_sel:DWORD
	s_mov_b64 s[0:1], -1
                                        ; implicit-def: $sgpr18
	s_and_saveexec_b64 s[16:17], s[40:41]
; %bb.289:                              ;   in Loop: Header=BB264_179 Depth=1
	s_mov_b32 s18, 0x7fc02000
	s_xor_b64 s[0:1], exec, -1
; %bb.290:                              ;   in Loop: Header=BB264_179 Depth=1
	s_or_b64 exec, exec, s[16:17]
	s_and_b64 s[0:1], s[0:1], exec
	s_or_saveexec_b64 s[12:13], s[12:13]
	v_mov_b32_e32 v13, s18
	s_xor_b64 exec, exec, s[12:13]
	s_cbranch_execz .LBB264_224
.LBB264_291:                            ;   in Loop: Header=BB264_179 Depth=1
	v_cmp_ne_u16_sdwa s[16:17], v4, v5 src0_sel:BYTE_0 src1_sel:DWORD
	s_andn2_b64 s[0:1], s[0:1], exec
	s_and_b64 s[16:17], s[16:17], exec
	v_mov_b32_e32 v13, 0
	s_or_b64 s[0:1], s[0:1], s[16:17]
	s_or_b64 exec, exec, s[12:13]
	s_and_saveexec_b64 s[12:13], s[0:1]
	s_cbranch_execnz .LBB264_225
	s_branch .LBB264_226
.LBB264_292:                            ;   in Loop: Header=BB264_179 Depth=1
	v_cmp_eq_u16_e64 s[0:1], s26, v4
	s_mov_b64 s[12:13], -1
                                        ; implicit-def: $sgpr39
	s_and_saveexec_b64 s[18:19], s[0:1]
; %bb.293:                              ;   in Loop: Header=BB264_179 Depth=1
	s_mov_b32 s39, 0x7fc02000
	s_xor_b64 s[12:13], exec, -1
; %bb.294:                              ;   in Loop: Header=BB264_179 Depth=1
	s_or_b64 exec, exec, s[18:19]
	s_and_b64 s[12:13], s[12:13], exec
	s_or_saveexec_b64 s[16:17], s[16:17]
	v_mov_b32_e32 v19, s39
	s_xor_b64 exec, exec, s[16:17]
	s_cbranch_execz .LBB264_228
.LBB264_295:                            ;   in Loop: Header=BB264_179 Depth=1
	v_cmp_ne_u16_e64 s[0:1], 0, v4
	s_andn2_b64 s[12:13], s[12:13], exec
	s_and_b64 s[0:1], s[0:1], exec
	v_mov_b32_e32 v19, 0
	s_or_b64 s[12:13], s[12:13], s[0:1]
	s_or_b64 exec, exec, s[16:17]
	s_and_saveexec_b64 s[16:17], s[12:13]
	s_cbranch_execnz .LBB264_229
	s_branch .LBB264_230
.LBB264_296:                            ;   in Loop: Header=BB264_179 Depth=1
	v_cmp_eq_u16_sdwa s[40:41], v17, s26 src0_sel:BYTE_0 src1_sel:DWORD
	s_mov_b64 s[0:1], -1
                                        ; implicit-def: $sgpr18
	s_and_saveexec_b64 s[16:17], s[40:41]
; %bb.297:                              ;   in Loop: Header=BB264_179 Depth=1
	s_mov_b32 s18, 0x7fc02000
	s_xor_b64 s[0:1], exec, -1
; %bb.298:                              ;   in Loop: Header=BB264_179 Depth=1
	s_or_b64 exec, exec, s[16:17]
	s_and_b64 s[0:1], s[0:1], exec
	s_or_saveexec_b64 s[12:13], s[12:13]
	v_mov_b32_e32 v16, s18
	s_xor_b64 exec, exec, s[12:13]
	s_cbranch_execz .LBB264_232
.LBB264_299:                            ;   in Loop: Header=BB264_179 Depth=1
	v_cmp_ne_u16_sdwa s[16:17], v17, v5 src0_sel:BYTE_0 src1_sel:DWORD
	s_andn2_b64 s[0:1], s[0:1], exec
	s_and_b64 s[16:17], s[16:17], exec
	v_mov_b32_e32 v16, 0
	s_or_b64 s[0:1], s[0:1], s[16:17]
	s_or_b64 exec, exec, s[12:13]
	v_mov_b32_e32 v4, v17
	s_and_saveexec_b64 s[12:13], s[0:1]
	s_cbranch_execnz .LBB264_233
	s_branch .LBB264_234
.LBB264_300:                            ;   in Loop: Header=BB264_179 Depth=1
	v_cmp_eq_u16_e64 s[0:1], s26, v4
	s_mov_b64 s[12:13], -1
                                        ; implicit-def: $sgpr39
	s_and_saveexec_b64 s[18:19], s[0:1]
; %bb.301:                              ;   in Loop: Header=BB264_179 Depth=1
	s_mov_b32 s39, 0x7fc02000
	s_xor_b64 s[12:13], exec, -1
; %bb.302:                              ;   in Loop: Header=BB264_179 Depth=1
	s_or_b64 exec, exec, s[18:19]
	s_and_b64 s[12:13], s[12:13], exec
	s_or_saveexec_b64 s[16:17], s[16:17]
	v_mov_b32_e32 v39, s39
	s_xor_b64 exec, exec, s[16:17]
	s_cbranch_execz .LBB264_236
.LBB264_303:                            ;   in Loop: Header=BB264_179 Depth=1
	v_cmp_ne_u16_e64 s[0:1], 0, v4
	s_andn2_b64 s[12:13], s[12:13], exec
	s_and_b64 s[0:1], s[0:1], exec
	v_mov_b32_e32 v39, 0
	s_or_b64 s[12:13], s[12:13], s[0:1]
	s_or_b64 exec, exec, s[16:17]
	s_and_saveexec_b64 s[16:17], s[12:13]
	s_cbranch_execnz .LBB264_237
	s_branch .LBB264_238
.LBB264_304:                            ;   in Loop: Header=BB264_179 Depth=1
	v_cmp_eq_u16_sdwa s[40:41], v4, s26 src0_sel:BYTE_0 src1_sel:DWORD
	s_mov_b64 s[0:1], -1
                                        ; implicit-def: $sgpr18
	s_and_saveexec_b64 s[16:17], s[40:41]
; %bb.305:                              ;   in Loop: Header=BB264_179 Depth=1
	s_mov_b32 s18, 0x7fc02000
	s_xor_b64 s[0:1], exec, -1
; %bb.306:                              ;   in Loop: Header=BB264_179 Depth=1
	s_or_b64 exec, exec, s[16:17]
	s_and_b64 s[0:1], s[0:1], exec
	s_or_saveexec_b64 s[12:13], s[12:13]
	v_mov_b32_e32 v40, s18
	s_xor_b64 exec, exec, s[12:13]
	s_cbranch_execz .LBB264_240
.LBB264_307:                            ;   in Loop: Header=BB264_179 Depth=1
	v_cmp_ne_u16_sdwa s[16:17], v4, v5 src0_sel:BYTE_0 src1_sel:DWORD
	s_andn2_b64 s[0:1], s[0:1], exec
	s_and_b64 s[16:17], s[16:17], exec
	v_mov_b32_e32 v40, 0
	s_or_b64 s[0:1], s[0:1], s[16:17]
	s_or_b64 exec, exec, s[12:13]
	s_and_saveexec_b64 s[12:13], s[0:1]
	s_cbranch_execnz .LBB264_241
	s_branch .LBB264_242
.LBB264_308:                            ;   in Loop: Header=BB264_179 Depth=1
	v_cmp_eq_u16_e64 s[0:1], s26, v4
	s_mov_b64 s[12:13], -1
                                        ; implicit-def: $sgpr39
	s_and_saveexec_b64 s[18:19], s[0:1]
; %bb.309:                              ;   in Loop: Header=BB264_179 Depth=1
	s_mov_b32 s39, 0x7fc02000
	s_xor_b64 s[12:13], exec, -1
; %bb.310:                              ;   in Loop: Header=BB264_179 Depth=1
	s_or_b64 exec, exec, s[18:19]
	s_and_b64 s[12:13], s[12:13], exec
	s_or_saveexec_b64 s[16:17], s[16:17]
	v_mov_b32_e32 v41, s39
	s_xor_b64 exec, exec, s[16:17]
	s_cbranch_execz .LBB264_244
.LBB264_311:                            ;   in Loop: Header=BB264_179 Depth=1
	v_cmp_ne_u16_e64 s[0:1], 0, v4
	s_andn2_b64 s[12:13], s[12:13], exec
	s_and_b64 s[0:1], s[0:1], exec
	v_mov_b32_e32 v41, 0
	s_or_b64 s[12:13], s[12:13], s[0:1]
	s_or_b64 exec, exec, s[16:17]
	s_and_saveexec_b64 s[16:17], s[12:13]
	s_cbranch_execnz .LBB264_245
	s_branch .LBB264_246
.LBB264_312:
	s_or_b64 exec, exec, s[8:9]
.LBB264_313:
	s_or_b64 exec, exec, s[2:3]
	ds_bpermute_b32 v2, v22, v6
	ds_bpermute_b32 v3, v22, v7
	v_and_b32_e32 v1, 0x3c1, v0
	v_cmp_eq_u32_e32 vcc, 64, v1
	s_waitcnt lgkmcnt(0)
	s_barrier
	v_pk_add_f32 v[2:3], v[6:7], v[2:3]
	s_and_saveexec_b64 s[0:1], vcc
	s_cbranch_execz .LBB264_315
; %bb.314:
	v_mov_b32_e32 v4, 0x90
	v_lshl_add_u32 v4, v15, 1, v4
	ds_write2_b32 v4, v2, v3 offset1:32
.LBB264_315:
	s_or_b64 exec, exec, s[0:1]
	v_cmp_gt_u32_e32 vcc, 64, v0
	s_waitcnt lgkmcnt(0)
	s_barrier
	s_and_saveexec_b64 s[0:1], vcc
	s_cbranch_execz .LBB264_321
; %bb.316:
	v_cmp_eq_u32_e32 vcc, 0, v23
	v_lshrrev_b32_e32 v4, 1, v0
	s_and_saveexec_b64 s[2:3], vcc
	s_cbranch_execz .LBB264_318
; %bb.317:
	v_mov_b32_e32 v5, 0x90
	v_lshl_add_u32 v5, v4, 2, v5
	ds_read_b32 v5, v5
	s_waitcnt lgkmcnt(0)
	v_add_f32_e32 v2, v2, v5
.LBB264_318:
	s_or_b64 exec, exec, s[2:3]
	s_and_saveexec_b64 s[2:3], vcc
	s_cbranch_execz .LBB264_320
; %bb.319:
	v_mov_b32_e32 v5, 0x90
	v_lshl_add_u32 v4, v4, 2, v5
	ds_read_b32 v4, v4 offset:128
	s_waitcnt lgkmcnt(0)
	v_add_f32_e32 v3, v3, v4
.LBB264_320:
	s_or_b64 exec, exec, s[2:3]
.LBB264_321:
	s_or_b64 exec, exec, s[0:1]
	v_cmp_eq_u32_e32 vcc, 0, v1
	s_barrier
	s_and_saveexec_b64 s[0:1], vcc
	s_cbranch_execz .LBB264_323
; %bb.322:
	s_lshl_b32 s0, s6, 6
	s_ashr_i32 s1, s0, 31
	s_lshl_b64 s[0:1], s[0:1], 1
	s_add_u32 s2, s30, s0
	s_mul_i32 s0, s20, s28
	s_addc_u32 s3, s31, s1
	s_ashr_i32 s1, s0, 31
	s_lshl_b64 s[0:1], s[0:1], 1
	s_add_u32 s2, s2, s0
	s_addc_u32 s3, s3, s1
	s_lshl_b32 s0, s4, 6
	s_ashr_i32 s1, s0, 31
	s_lshl_b64 s[0:1], s[0:1], 1
	s_add_u32 s0, s2, s0
	s_addc_u32 s1, s3, s1
	;;#ASMSTART
	v_cvt_f16_f32 v1, v2;

	;;#ASMEND
	global_store_short v0, v1, s[0:1]
	;;#ASMSTART
	v_cvt_f16_f32 v1, v3;

	;;#ASMEND
	global_store_short v0, v1, s[0:1] offset:64
.LBB264_323:
	s_endpgm
	.section	.rodata,"a",@progbits
	.p2align	6, 0x0
	.amdhsa_kernel _ZN4vllm25paged_attention_v2_kernelIthLi64ELi16ELi128ELNS_18Fp8KVCacheDataTypeE1ELb1ELi512EEEvPfS2_PT_PKS3_PKT0_S9_ifPKiSB_iPKfiiiSD_SD_iiiii
		.amdhsa_group_segment_fixed_size 144
		.amdhsa_private_segment_fixed_size 0
		.amdhsa_kernarg_size 400
		.amdhsa_user_sgpr_count 2
		.amdhsa_user_sgpr_dispatch_ptr 0
		.amdhsa_user_sgpr_queue_ptr 0
		.amdhsa_user_sgpr_kernarg_segment_ptr 1
		.amdhsa_user_sgpr_dispatch_id 0
		.amdhsa_user_sgpr_kernarg_preload_length 0
		.amdhsa_user_sgpr_kernarg_preload_offset 0
		.amdhsa_user_sgpr_private_segment_size 0
		.amdhsa_uses_dynamic_stack 0
		.amdhsa_enable_private_segment 0
		.amdhsa_system_sgpr_workgroup_id_x 1
		.amdhsa_system_sgpr_workgroup_id_y 1
		.amdhsa_system_sgpr_workgroup_id_z 1
		.amdhsa_system_sgpr_workgroup_info 0
		.amdhsa_system_vgpr_workitem_id 0
		.amdhsa_next_free_vgpr 50
		.amdhsa_next_free_sgpr 66
		.amdhsa_accum_offset 52
		.amdhsa_reserve_vcc 1
		.amdhsa_float_round_mode_32 0
		.amdhsa_float_round_mode_16_64 0
		.amdhsa_float_denorm_mode_32 3
		.amdhsa_float_denorm_mode_16_64 3
		.amdhsa_dx10_clamp 1
		.amdhsa_ieee_mode 1
		.amdhsa_fp16_overflow 0
		.amdhsa_tg_split 0
		.amdhsa_exception_fp_ieee_invalid_op 0
		.amdhsa_exception_fp_denorm_src 0
		.amdhsa_exception_fp_ieee_div_zero 0
		.amdhsa_exception_fp_ieee_overflow 0
		.amdhsa_exception_fp_ieee_underflow 0
		.amdhsa_exception_fp_ieee_inexact 0
		.amdhsa_exception_int_div_zero 0
	.end_amdhsa_kernel
	.section	.text._ZN4vllm25paged_attention_v2_kernelIthLi64ELi16ELi128ELNS_18Fp8KVCacheDataTypeE1ELb1ELi512EEEvPfS2_PT_PKS3_PKT0_S9_ifPKiSB_iPKfiiiSD_SD_iiiii,"axG",@progbits,_ZN4vllm25paged_attention_v2_kernelIthLi64ELi16ELi128ELNS_18Fp8KVCacheDataTypeE1ELb1ELi512EEEvPfS2_PT_PKS3_PKT0_S9_ifPKiSB_iPKfiiiSD_SD_iiiii,comdat
.Lfunc_end264:
	.size	_ZN4vllm25paged_attention_v2_kernelIthLi64ELi16ELi128ELNS_18Fp8KVCacheDataTypeE1ELb1ELi512EEEvPfS2_PT_PKS3_PKT0_S9_ifPKiSB_iPKfiiiSD_SD_iiiii, .Lfunc_end264-_ZN4vllm25paged_attention_v2_kernelIthLi64ELi16ELi128ELNS_18Fp8KVCacheDataTypeE1ELb1ELi512EEEvPfS2_PT_PKS3_PKT0_S9_ifPKiSB_iPKfiiiSD_SD_iiiii
                                        ; -- End function
	.section	.AMDGPU.csdata,"",@progbits
; Kernel info:
; codeLenInByte = 13768
; NumSgprs: 72
; NumVgprs: 50
; NumAgprs: 0
; TotalNumVgprs: 50
; ScratchSize: 0
; MemoryBound: 0
; FloatMode: 240
; IeeeMode: 1
; LDSByteSize: 144 bytes/workgroup (compile time only)
; SGPRBlocks: 8
; VGPRBlocks: 6
; NumSGPRsForWavesPerEU: 72
; NumVGPRsForWavesPerEU: 50
; AccumOffset: 52
; Occupancy: 8
; WaveLimiterHint : 1
; COMPUTE_PGM_RSRC2:SCRATCH_EN: 0
; COMPUTE_PGM_RSRC2:USER_SGPR: 2
; COMPUTE_PGM_RSRC2:TRAP_HANDLER: 0
; COMPUTE_PGM_RSRC2:TGID_X_EN: 1
; COMPUTE_PGM_RSRC2:TGID_Y_EN: 1
; COMPUTE_PGM_RSRC2:TGID_Z_EN: 1
; COMPUTE_PGM_RSRC2:TIDIG_COMP_CNT: 0
; COMPUTE_PGM_RSRC3_GFX90A:ACCUM_OFFSET: 12
; COMPUTE_PGM_RSRC3_GFX90A:TG_SPLIT: 0
	.section	.text._ZN4vllm25paged_attention_v2_kernelIthLi80ELi16ELi128ELNS_18Fp8KVCacheDataTypeE1ELb1ELi512EEEvPfS2_PT_PKS3_PKT0_S9_ifPKiSB_iPKfiiiSD_SD_iiiii,"axG",@progbits,_ZN4vllm25paged_attention_v2_kernelIthLi80ELi16ELi128ELNS_18Fp8KVCacheDataTypeE1ELb1ELi512EEEvPfS2_PT_PKS3_PKT0_S9_ifPKiSB_iPKfiiiSD_SD_iiiii,comdat
	.protected	_ZN4vllm25paged_attention_v2_kernelIthLi80ELi16ELi128ELNS_18Fp8KVCacheDataTypeE1ELb1ELi512EEEvPfS2_PT_PKS3_PKT0_S9_ifPKiSB_iPKfiiiSD_SD_iiiii ; -- Begin function _ZN4vllm25paged_attention_v2_kernelIthLi80ELi16ELi128ELNS_18Fp8KVCacheDataTypeE1ELb1ELi512EEEvPfS2_PT_PKS3_PKT0_S9_ifPKiSB_iPKfiiiSD_SD_iiiii
	.globl	_ZN4vllm25paged_attention_v2_kernelIthLi80ELi16ELi128ELNS_18Fp8KVCacheDataTypeE1ELb1ELi512EEEvPfS2_PT_PKS3_PKT0_S9_ifPKiSB_iPKfiiiSD_SD_iiiii
	.p2align	8
	.type	_ZN4vllm25paged_attention_v2_kernelIthLi80ELi16ELi128ELNS_18Fp8KVCacheDataTypeE1ELb1ELi512EEEvPfS2_PT_PKS3_PKT0_S9_ifPKiSB_iPKfiiiSD_SD_iiiii,@function
_ZN4vllm25paged_attention_v2_kernelIthLi80ELi16ELi128ELNS_18Fp8KVCacheDataTypeE1ELb1ELi512EEEvPfS2_PT_PKS3_PKT0_S9_ifPKiSB_iPKfiiiSD_SD_iiiii: ; @_ZN4vllm25paged_attention_v2_kernelIthLi80ELi16ELi128ELNS_18Fp8KVCacheDataTypeE1ELb1ELi512EEEvPfS2_PT_PKS3_PKT0_S9_ifPKiSB_iPKfiiiSD_SD_iiiii
; %bb.0:
	s_load_dwordx2 s[6:7], s[0:1], 0x40
	s_mov_b32 s34, s3
	s_ashr_i32 s35, s3, 31
	s_lshl_b64 s[8:9], s[34:35], 2
	s_waitcnt lgkmcnt(0)
	s_add_u32 s6, s6, s8
	s_addc_u32 s7, s7, s9
	s_load_dword s33, s[6:7], 0x0
	s_lshl_b32 s55, s4, 9
	s_waitcnt lgkmcnt(0)
	s_cmp_ge_i32 s55, s33
	s_cbranch_scc1 .LBB265_431
; %bb.1:
	s_load_dword s5, s[0:1], 0x90
	s_load_dwordx2 s[42:43], s[0:1], 0x30
	s_mov_b32 s56, 0
	s_waitcnt lgkmcnt(0)
	s_abs_i32 s7, s5
	s_abs_i32 s3, s42
	v_cvt_f32_u32_e32 v1, s3
	s_sub_i32 s8, 0, s3
	s_xor_b32 s6, s5, s42
	s_ashr_i32 s6, s6, 31
	v_rcp_iflag_f32_e32 v1, v1
	s_nop 0
	v_mul_f32_e32 v1, 0x4f7ffffe, v1
	v_cvt_u32_f32_e32 v1, v1
	s_nop 0
	v_readfirstlane_b32 s9, v1
	s_mul_i32 s8, s8, s9
	s_mul_hi_u32 s8, s9, s8
	s_add_i32 s9, s9, s8
	s_mul_hi_u32 s8, s7, s9
	s_mul_i32 s9, s8, s3
	s_sub_i32 s7, s7, s9
	s_add_i32 s10, s8, 1
	s_sub_i32 s9, s7, s3
	s_cmp_ge_u32 s7, s3
	s_cselect_b32 s8, s10, s8
	s_cselect_b32 s7, s9, s7
	s_add_i32 s9, s8, 1
	s_cmp_ge_u32 s7, s3
	s_cselect_b32 s3, s9, s8
	s_xor_b32 s3, s3, s6
	s_sub_i32 s11, s3, s6
	s_abs_i32 s8, s11
	v_cvt_f32_u32_e32 v1, s8
	s_load_dwordx2 s[6:7], s[0:1], 0x50
	s_sub_i32 s3, 0, s8
	s_abs_i32 s9, s2
	v_rcp_iflag_f32_e32 v1, v1
	s_nop 0
	v_mul_f32_e32 v1, 0x4f7ffffe, v1
	v_cvt_u32_f32_e32 v1, v1
	s_nop 0
	v_readfirstlane_b32 s10, v1
	s_mul_i32 s3, s3, s10
	s_mul_hi_u32 s3, s10, s3
	s_add_i32 s10, s10, s3
	s_waitcnt lgkmcnt(0)
	s_cmp_eq_u64 s[6:7], 0
	s_mul_hi_u32 s10, s9, s10
	s_cbranch_scc1 .LBB265_3
; %bb.2:
	s_ashr_i32 s3, s2, 31
	s_lshl_b64 s[12:13], s[2:3], 2
	s_add_u32 s6, s6, s12
	s_addc_u32 s7, s7, s13
	s_load_dword s56, s[6:7], 0x0
.LBB265_3:
	s_load_dwordx4 s[16:19], s[0:1], 0x58
	s_ashr_i32 s3, s2, 31
	s_ashr_i32 s11, s11, 31
	v_and_b32_e32 v9, 3, v0
	s_mul_i32 s28, s2, 0x50
	v_cmp_gt_u32_e32 vcc, 40, v0
	s_and_saveexec_b64 s[6:7], vcc
	s_cbranch_execz .LBB265_5
; %bb.4:
	s_load_dwordx2 s[12:13], s[0:1], 0x18
	s_waitcnt lgkmcnt(0)
	s_mul_i32 s14, s34, s16
	s_ashr_i32 s15, s14, 31
	s_lshl_b64 s[14:15], s[14:15], 1
	v_lshlrev_b32_e32 v1, 2, v0
	s_add_u32 s14, s12, s14
	s_addc_u32 s15, s13, s15
	s_ashr_i32 s29, s28, 31
	s_lshl_b64 s[12:13], s[28:29], 1
	s_add_u32 s12, s14, s12
	s_addc_u32 s13, s15, s13
	global_load_dword v1, v1, s[12:13]
	v_and_b32_e32 v2, 0x3fc, v0
	v_mad_u32_u24 v2, v9, 40, v2
	s_waitcnt vmcnt(0)
	ds_write_b32 v2, v1
.LBB265_5:
	s_or_b64 exec, exec, s[6:7]
	s_mul_i32 s6, s10, s8
	s_sub_i32 s6, s9, s6
	s_xor_b32 s3, s3, s11
	s_add_i32 s7, s10, 1
	s_sub_i32 s9, s6, s8
	s_load_dwordx4 s[20:23], s[0:1], 0x78
	s_cmp_ge_u32 s6, s8
	s_cselect_b32 s7, s7, s10
	s_cselect_b32 s6, s9, s6
	s_add_i32 s9, s7, 1
	s_cmp_ge_u32 s6, s8
	s_cselect_b32 s6, s9, s7
	s_load_dword s9, s[0:1], 0x88
	s_waitcnt lgkmcnt(0)
	s_abs_i32 s35, s23
	v_cvt_f32_u32_e32 v1, s35
	s_xor_b32 s6, s6, s3
	s_sub_i32 s10, s6, s3
	s_sub_i32 s6, 0, s35
	v_rcp_iflag_f32_e32 v1, v1
	s_add_i32 s11, s33, -1
	s_abs_i32 s3, s11
	v_mul_f32_e32 v1, 0x4f7ffffe, v1
	v_cvt_u32_f32_e32 v1, v1
	s_barrier
	v_readfirstlane_b32 s52, v1
	s_mul_i32 s6, s6, s52
	s_mul_hi_u32 s6, s52, s6
	s_add_i32 s52, s52, s6
	s_cmp_lt_i32 s9, 0
	s_mul_hi_u32 s8, s3, s52
	s_cbranch_scc0 .LBB265_7
; %bb.6:
	s_mul_i32 s6, s20, s42
	s_add_i32 s6, s10, s6
	s_mul_i32 s6, s6, s9
	s_sub_i32 s42, 1, s6
	s_mov_b64 s[6:7], 0
	s_branch .LBB265_8
.LBB265_7:
	s_mov_b64 s[6:7], -1
                                        ; implicit-def: $sgpr42
.LBB265_8:
	s_load_dwordx2 s[36:37], s[0:1], 0x38
	s_ashr_i32 s11, s11, 31
	s_andn2_b64 vcc, exec, s[6:7]
	s_ashr_i32 s53, s23, 31
	s_cbranch_vccnz .LBB265_10
; %bb.9:
	s_mul_i32 s6, s5, s20
	s_add_i32 s6, s6, s2
	s_mul_i32 s6, s6, s9
	s_add_i32 s42, s6, 1
.LBB265_10:
	s_load_dwordx2 s[40:41], s[0:1], 0x28
	s_load_dword s6, s[0:1], 0x48
	s_load_dwordx4 s[24:27], s[0:1], 0x0
	s_load_dwordx2 s[30:31], s[0:1], 0x10
	s_load_dword s29, s[0:1], 0x98
	s_load_dwordx4 s[12:15], s[0:1], 0x68
	s_mul_i32 s7, s8, s35
	s_waitcnt lgkmcnt(0)
	s_mul_i32 s38, s34, s6
	s_sub_i32 s3, s3, s7
	s_ashr_i32 s39, s38, 31
	s_xor_b32 s6, s11, s53
	s_add_i32 s7, s8, 1
	s_sub_i32 s9, s3, s35
	s_cmp_ge_u32 s3, s35
	s_cselect_b32 s7, s7, s8
	s_cselect_b32 s3, s9, s3
	s_add_i32 s8, s7, 1
	s_cmp_ge_u32 s3, s35
	s_cselect_b32 s3, s8, s7
	s_xor_b32 s3, s3, s6
	s_sub_i32 s16, s3, s6
	s_add_i32 s3, s33, 15
	s_ashr_i32 s6, s3, 31
	s_lshr_b32 s6, s6, 28
	s_add_i32 s3, s3, s6
	s_lshl_b32 s23, s4, 5
	s_ashr_i32 s3, s3, 4
	s_add_i32 s6, s23, 32
	v_lshrrev_b32_e32 v16, 6, v0
	s_min_i32 s54, s6, s3
	v_or_b32_e32 v6, s23, v16
	v_cmp_gt_i32_e64 s[8:9], s54, v6
	v_mov_b32_e32 v18, 0xff7fffff
	s_mul_i32 s20, s10, s18
	v_ashrrev_i32_e32 v7, 31, v6
	v_lshl_add_u32 v1, v16, 4, s55
	v_mbcnt_lo_u32_b32 v14, -1, 0
	s_and_saveexec_b64 s[18:19], s[8:9]
	s_cbranch_execz .LBB265_180
; %bb.11:
	s_load_dwordx2 s[0:1], s[0:1], 0x20
	s_sub_i32 s57, s16, s21
	s_ashr_i32 s6, s20, 31
	v_bfe_u32 v15, v0, 2, 4
	v_lshlrev_b32_e32 v2, 4, v15
	s_waitcnt lgkmcnt(0)
	s_add_u32 s0, s0, s20
	s_addc_u32 s1, s1, s6
	s_abs_i32 s58, s22
	v_cvt_f32_u32_e32 v4, s58
	v_mov_b32_e32 v3, 0
	v_cmp_eq_u32_e32 vcc, 0, v9
	s_mov_b32 s59, s17
	v_rcp_iflag_f32_e32 v10, v4
	v_lshl_add_u64 v[4:5], s[0:1], 0, v[2:3]
	s_sub_i32 s0, 0, s58
	v_lshlrev_b32_e32 v8, 1, v9
	v_mul_f32_e32 v2, 0x4f7ffffe, v10
	v_cvt_u32_f32_e32 v2, v2
	v_mul_u32_u24_e32 v17, 40, v9
	v_cmp_neq_f32_e64 s[6:7], s56, 0
	v_mov_b32_e32 v9, v3
	v_mul_lo_u32 v10, s0, v2
	v_mul_hi_u32 v10, v2, v10
	v_add_u32_e32 v19, v2, v10
	s_lshl_b64 s[0:1], s[38:39], 2
	v_lshlrev_b32_e32 v2, 2, v15
	s_add_u32 s0, s36, s0
	v_lshl_or_b32 v2, v16, 6, v2
	s_addc_u32 s1, s37, s1
	v_add_u32_e32 v21, 0xb0, v2
	v_subrev_u32_e32 v2, s33, v15
	v_lshl_add_u64 v[10:11], v[6:7], 2, s[0:1]
	v_lshl_add_u32 v20, v16, 4, s55
	v_add_u32_e32 v22, 1, v2
	s_mov_b64 s[44:45], 0
	v_mov_b32_e32 v23, 0xff7fffff
	s_movk_i32 s60, 0x7f
	s_movk_i32 s61, 0x80
	s_mov_b32 s62, 0x8000
	v_mov_b32_e32 v24, 0x1c00
	v_mbcnt_hi_u32_b32 v25, -1, v14
	v_mov_b32_e32 v18, 0xff7fffff
	v_mov_b32_e32 v26, v6
	s_branch .LBB265_14
.LBB265_12:                             ;   in Loop: Header=BB265_14 Depth=1
	s_or_b64 exec, exec, s[46:47]
.LBB265_13:                             ;   in Loop: Header=BB265_14 Depth=1
	s_or_b64 exec, exec, s[10:11]
	v_add_u32_e32 v26, 2, v26
	v_cmp_le_i32_e64 s[0:1], s54, v26
	v_lshl_add_u64 v[10:11], v[10:11], 0, 8
	v_add_u32_e32 v20, 32, v20
	s_or_b64 s[44:45], s[0:1], s[44:45]
	v_add_u32_e32 v21, 0x80, v21
	s_andn2_b64 exec, exec, s[44:45]
	s_cbranch_execz .LBB265_179
.LBB265_14:                             ; =>This Inner Loop Header: Depth=1
	s_waitcnt lgkmcnt(0)
	v_sub_u32_e32 v12, 0, v20
	v_max_i32_e32 v12, v20, v12
	v_mul_hi_u32 v13, v12, s52
	v_mul_lo_u32 v27, v13, s35
	v_sub_u32_e32 v12, v12, v27
	v_add_u32_e32 v27, 1, v13
	v_cmp_le_u32_e64 s[0:1], s35, v12
	v_ashrrev_i32_e32 v2, 31, v20
	v_xor_b32_e32 v2, s53, v2
	v_cndmask_b32_e64 v13, v13, v27, s[0:1]
	v_subrev_u32_e32 v27, s35, v12
	v_cndmask_b32_e64 v12, v12, v27, s[0:1]
	v_add_u32_e32 v27, 1, v13
	v_cmp_le_u32_e64 s[0:1], s35, v12
	s_nop 1
	v_cndmask_b32_e64 v12, v13, v27, s[0:1]
	v_xor_b32_e32 v12, v12, v2
	v_sub_u32_e32 v2, v12, v2
	v_add_u32_e32 v12, s42, v2
	v_sub_u32_e32 v27, 0, v12
	v_ashrrev_i32_e32 v13, 31, v12
	v_max_i32_e32 v12, v12, v27
	v_mul_hi_u32 v27, v12, v19
	v_mul_lo_u32 v27, v27, s58
	v_sub_u32_e32 v12, v12, v27
	v_subrev_u32_e32 v27, s58, v12
	v_cmp_le_u32_e64 s[0:1], s58, v12
	v_cmp_ge_i32_e64 s[10:11], s57, v2
	s_nop 0
	v_cndmask_b32_e64 v12, v12, v27, s[0:1]
	v_subrev_u32_e32 v27, s58, v12
	v_cmp_le_u32_e64 s[0:1], s58, v12
	s_nop 1
	v_cndmask_b32_e64 v12, v12, v27, s[0:1]
	v_xor_b32_e32 v12, v12, v13
	v_sub_u32_e32 v12, v12, v13
	v_cmp_ne_u32_e64 s[0:1], 0, v12
	s_and_b64 s[0:1], s[0:1], s[10:11]
	s_and_b64 s[46:47], vcc, s[0:1]
	s_and_saveexec_b64 s[10:11], s[46:47]
	s_cbranch_execz .LBB265_16
; %bb.15:                               ;   in Loop: Header=BB265_14 Depth=1
	ds_write_b32 v21, v23
.LBB265_16:                             ;   in Loop: Header=BB265_14 Depth=1
	s_or_b64 exec, exec, s[10:11]
	s_xor_b64 s[0:1], s[0:1], -1
	s_and_saveexec_b64 s[10:11], s[0:1]
	s_cbranch_execz .LBB265_13
; %bb.17:                               ;   in Loop: Header=BB265_14 Depth=1
	global_load_dword v2, v[10:11], off
                                        ; implicit-def: $sgpr50
	s_waitcnt vmcnt(0)
	v_mad_i64_i32 v[12:13], s[0:1], v2, s59, v[4:5]
	v_lshl_add_u64 v[12:13], v[12:13], 0, v[8:9]
	global_load_ushort v2, v[12:13], off
	global_load_dword v27, v3, s[12:13]
	s_mov_b64 s[0:1], 0
	s_waitcnt vmcnt(1)
	v_cmp_gt_i16_sdwa s[46:47], v2, s60 src0_sel:BYTE_0 src1_sel:DWORD
	s_and_saveexec_b64 s[48:49], s[46:47]
	s_xor_b64 s[46:47], exec, s[48:49]
	s_cbranch_execnz .LBB265_99
; %bb.18:                               ;   in Loop: Header=BB265_14 Depth=1
	s_or_saveexec_b64 s[46:47], s[46:47]
	v_mov_b32_e32 v28, s50
	s_xor_b64 exec, exec, s[46:47]
	s_cbranch_execnz .LBB265_102
.LBB265_19:                             ;   in Loop: Header=BB265_14 Depth=1
	s_or_b64 exec, exec, s[46:47]
	v_and_b32_e32 v2, 0xffff, v2
	s_and_saveexec_b64 s[46:47], s[0:1]
	s_cbranch_execz .LBB265_21
.LBB265_20:                             ;   in Loop: Header=BB265_14 Depth=1
	v_and_b32_e32 v30, 7, v2
	v_ffbh_u32_e32 v28, v30
	v_min_u32_e32 v32, 32, v28
	v_subrev_u32_e32 v28, 28, v32
	v_bfe_u32 v31, v2, 3, 4
	v_lshlrev_b64 v[28:29], v28, v[2:3]
	v_sub_u32_e32 v29, 29, v32
	v_cmp_eq_u32_e64 s[0:1], 0, v31
	v_and_b32_e32 v28, 7, v28
	s_nop 0
	v_cndmask_b32_e64 v29, v31, v29, s[0:1]
	v_cndmask_b32_e64 v28, v30, v28, s[0:1]
	v_lshlrev_b32_e32 v30, 8, v2
	v_lshl_add_u32 v29, v29, 10, v24
	v_and_or_b32 v29, v30, s62, v29
	v_lshl_or_b32 v28, v28, 7, v29
	v_cvt_f32_f16_e32 v28, v28
.LBB265_21:                             ;   in Loop: Header=BB265_14 Depth=1
	s_or_b64 exec, exec, s[46:47]
	v_lshrrev_b16_e32 v2, 8, v2
	v_cmp_lt_i16_e64 s[0:1], s60, v2
	s_mov_b64 s[46:47], 0
                                        ; implicit-def: $sgpr63
	s_and_saveexec_b64 s[48:49], s[0:1]
	s_xor_b64 s[48:49], exec, s[48:49]
	s_cbranch_execnz .LBB265_103
; %bb.22:                               ;   in Loop: Header=BB265_14 Depth=1
	s_or_saveexec_b64 s[48:49], s[48:49]
	v_mov_b32_e32 v29, s63
	s_xor_b64 exec, exec, s[48:49]
	s_cbranch_execnz .LBB265_106
.LBB265_23:                             ;   in Loop: Header=BB265_14 Depth=1
	s_or_b64 exec, exec, s[48:49]
	s_and_saveexec_b64 s[48:49], s[46:47]
	s_cbranch_execz .LBB265_25
.LBB265_24:                             ;   in Loop: Header=BB265_14 Depth=1
	v_and_b32_e32 v29, 7, v2
	v_ffbh_u32_e32 v30, v29
	v_min_u32_e32 v33, 32, v30
	v_subrev_u32_e32 v30, 28, v33
	v_bfe_u32 v32, v2, 3, 4
	v_lshlrev_b64 v[30:31], v30, v[2:3]
	v_sub_u32_e32 v31, 29, v33
	v_cmp_eq_u32_e64 s[0:1], 0, v32
	v_and_b32_e32 v30, 7, v30
	v_lshlrev_b32_e32 v2, 8, v2
	v_cndmask_b32_e64 v31, v32, v31, s[0:1]
	v_cndmask_b32_e64 v29, v29, v30, s[0:1]
	v_lshl_add_u32 v30, v31, 10, v24
	v_and_or_b32 v2, v2, s62, v30
	v_lshl_or_b32 v2, v29, 7, v2
	v_cvt_f32_f16_e32 v29, v2
.LBB265_25:                             ;   in Loop: Header=BB265_14 Depth=1
	s_or_b64 exec, exec, s[48:49]
	global_load_ushort v2, v[12:13], off offset:8
	s_mov_b64 s[0:1], 0
                                        ; implicit-def: $sgpr50
	s_waitcnt vmcnt(0)
	v_cmp_gt_i16_sdwa s[46:47], v2, s60 src0_sel:BYTE_0 src1_sel:DWORD
	s_and_saveexec_b64 s[48:49], s[46:47]
	s_xor_b64 s[46:47], exec, s[48:49]
	s_cbranch_execnz .LBB265_107
; %bb.26:                               ;   in Loop: Header=BB265_14 Depth=1
	s_or_saveexec_b64 s[46:47], s[46:47]
	v_mov_b32_e32 v30, s50
	s_xor_b64 exec, exec, s[46:47]
	s_cbranch_execnz .LBB265_110
.LBB265_27:                             ;   in Loop: Header=BB265_14 Depth=1
	s_or_b64 exec, exec, s[46:47]
	v_and_b32_e32 v2, 0xffff, v2
	s_and_saveexec_b64 s[46:47], s[0:1]
	s_cbranch_execz .LBB265_29
.LBB265_28:                             ;   in Loop: Header=BB265_14 Depth=1
	v_and_b32_e32 v32, 7, v2
	v_ffbh_u32_e32 v30, v32
	v_min_u32_e32 v34, 32, v30
	v_subrev_u32_e32 v30, 28, v34
	v_bfe_u32 v33, v2, 3, 4
	v_lshlrev_b64 v[30:31], v30, v[2:3]
	v_sub_u32_e32 v31, 29, v34
	v_cmp_eq_u32_e64 s[0:1], 0, v33
	v_and_b32_e32 v30, 7, v30
	s_nop 0
	v_cndmask_b32_e64 v31, v33, v31, s[0:1]
	v_cndmask_b32_e64 v30, v32, v30, s[0:1]
	v_lshlrev_b32_e32 v32, 8, v2
	v_lshl_add_u32 v31, v31, 10, v24
	v_and_or_b32 v31, v32, s62, v31
	v_lshl_or_b32 v30, v30, 7, v31
	v_cvt_f32_f16_e32 v30, v30
.LBB265_29:                             ;   in Loop: Header=BB265_14 Depth=1
	s_or_b64 exec, exec, s[46:47]
	v_lshrrev_b16_e32 v2, 8, v2
	v_cmp_lt_i16_e64 s[0:1], s60, v2
	s_mov_b64 s[46:47], 0
                                        ; implicit-def: $sgpr63
	s_and_saveexec_b64 s[48:49], s[0:1]
	s_xor_b64 s[48:49], exec, s[48:49]
	s_cbranch_execnz .LBB265_111
; %bb.30:                               ;   in Loop: Header=BB265_14 Depth=1
	s_or_saveexec_b64 s[48:49], s[48:49]
	v_mov_b32_e32 v31, s63
	s_xor_b64 exec, exec, s[48:49]
	s_cbranch_execnz .LBB265_114
.LBB265_31:                             ;   in Loop: Header=BB265_14 Depth=1
	s_or_b64 exec, exec, s[48:49]
	s_and_saveexec_b64 s[48:49], s[46:47]
	s_cbranch_execz .LBB265_33
.LBB265_32:                             ;   in Loop: Header=BB265_14 Depth=1
	v_and_b32_e32 v31, 7, v2
	v_ffbh_u32_e32 v32, v31
	v_min_u32_e32 v35, 32, v32
	v_subrev_u32_e32 v32, 28, v35
	v_bfe_u32 v34, v2, 3, 4
	v_lshlrev_b64 v[32:33], v32, v[2:3]
	v_sub_u32_e32 v33, 29, v35
	v_cmp_eq_u32_e64 s[0:1], 0, v34
	v_and_b32_e32 v32, 7, v32
	v_lshlrev_b32_e32 v2, 8, v2
	v_cndmask_b32_e64 v33, v34, v33, s[0:1]
	v_cndmask_b32_e64 v31, v31, v32, s[0:1]
	v_lshl_add_u32 v32, v33, 10, v24
	v_and_or_b32 v2, v2, s62, v32
	v_lshl_or_b32 v2, v31, 7, v2
	v_cvt_f32_f16_e32 v31, v2
.LBB265_33:                             ;   in Loop: Header=BB265_14 Depth=1
	s_or_b64 exec, exec, s[48:49]
	global_load_ushort v2, v[12:13], off offset:256
	s_mov_b64 s[0:1], 0
                                        ; implicit-def: $sgpr50
	s_waitcnt vmcnt(0)
	v_cmp_gt_i16_sdwa s[46:47], v2, s60 src0_sel:BYTE_0 src1_sel:DWORD
	s_and_saveexec_b64 s[48:49], s[46:47]
	s_xor_b64 s[46:47], exec, s[48:49]
	s_cbranch_execnz .LBB265_115
; %bb.34:                               ;   in Loop: Header=BB265_14 Depth=1
	s_or_saveexec_b64 s[46:47], s[46:47]
	v_mov_b32_e32 v32, s50
	s_xor_b64 exec, exec, s[46:47]
	s_cbranch_execnz .LBB265_118
.LBB265_35:                             ;   in Loop: Header=BB265_14 Depth=1
	s_or_b64 exec, exec, s[46:47]
	v_and_b32_e32 v2, 0xffff, v2
	s_and_saveexec_b64 s[46:47], s[0:1]
	s_cbranch_execz .LBB265_37
.LBB265_36:                             ;   in Loop: Header=BB265_14 Depth=1
	v_and_b32_e32 v34, 7, v2
	v_ffbh_u32_e32 v32, v34
	v_min_u32_e32 v36, 32, v32
	v_subrev_u32_e32 v32, 28, v36
	v_bfe_u32 v35, v2, 3, 4
	v_lshlrev_b64 v[32:33], v32, v[2:3]
	v_sub_u32_e32 v33, 29, v36
	v_cmp_eq_u32_e64 s[0:1], 0, v35
	v_and_b32_e32 v32, 7, v32
	s_nop 0
	v_cndmask_b32_e64 v33, v35, v33, s[0:1]
	v_cndmask_b32_e64 v32, v34, v32, s[0:1]
	v_lshlrev_b32_e32 v34, 8, v2
	v_lshl_add_u32 v33, v33, 10, v24
	v_and_or_b32 v33, v34, s62, v33
	v_lshl_or_b32 v32, v32, 7, v33
	v_cvt_f32_f16_e32 v32, v32
.LBB265_37:                             ;   in Loop: Header=BB265_14 Depth=1
	s_or_b64 exec, exec, s[46:47]
	v_lshrrev_b16_e32 v2, 8, v2
	v_cmp_lt_i16_e64 s[0:1], s60, v2
	s_mov_b64 s[46:47], 0
                                        ; implicit-def: $sgpr63
	s_and_saveexec_b64 s[48:49], s[0:1]
	s_xor_b64 s[48:49], exec, s[48:49]
	s_cbranch_execnz .LBB265_119
; %bb.38:                               ;   in Loop: Header=BB265_14 Depth=1
	s_or_saveexec_b64 s[48:49], s[48:49]
	v_mov_b32_e32 v33, s63
	s_xor_b64 exec, exec, s[48:49]
	s_cbranch_execnz .LBB265_122
.LBB265_39:                             ;   in Loop: Header=BB265_14 Depth=1
	s_or_b64 exec, exec, s[48:49]
	s_and_saveexec_b64 s[48:49], s[46:47]
	s_cbranch_execz .LBB265_41
.LBB265_40:                             ;   in Loop: Header=BB265_14 Depth=1
	v_and_b32_e32 v33, 7, v2
	v_ffbh_u32_e32 v34, v33
	v_min_u32_e32 v37, 32, v34
	v_subrev_u32_e32 v34, 28, v37
	v_bfe_u32 v36, v2, 3, 4
	v_lshlrev_b64 v[34:35], v34, v[2:3]
	v_sub_u32_e32 v35, 29, v37
	v_cmp_eq_u32_e64 s[0:1], 0, v36
	v_and_b32_e32 v34, 7, v34
	v_lshlrev_b32_e32 v2, 8, v2
	v_cndmask_b32_e64 v35, v36, v35, s[0:1]
	v_cndmask_b32_e64 v33, v33, v34, s[0:1]
	v_lshl_add_u32 v34, v35, 10, v24
	v_and_or_b32 v2, v2, s62, v34
	v_lshl_or_b32 v2, v33, 7, v2
	v_cvt_f32_f16_e32 v33, v2
.LBB265_41:                             ;   in Loop: Header=BB265_14 Depth=1
	s_or_b64 exec, exec, s[48:49]
	global_load_ushort v2, v[12:13], off offset:264
	s_mov_b64 s[0:1], 0
                                        ; implicit-def: $sgpr50
	s_waitcnt vmcnt(0)
	v_cmp_gt_i16_sdwa s[46:47], v2, s60 src0_sel:BYTE_0 src1_sel:DWORD
	s_and_saveexec_b64 s[48:49], s[46:47]
	s_xor_b64 s[46:47], exec, s[48:49]
	s_cbranch_execnz .LBB265_123
; %bb.42:                               ;   in Loop: Header=BB265_14 Depth=1
	s_or_saveexec_b64 s[46:47], s[46:47]
	v_mov_b32_e32 v34, s50
	s_xor_b64 exec, exec, s[46:47]
	s_cbranch_execnz .LBB265_126
.LBB265_43:                             ;   in Loop: Header=BB265_14 Depth=1
	s_or_b64 exec, exec, s[46:47]
	v_and_b32_e32 v2, 0xffff, v2
	s_and_saveexec_b64 s[46:47], s[0:1]
	s_cbranch_execz .LBB265_45
.LBB265_44:                             ;   in Loop: Header=BB265_14 Depth=1
	v_and_b32_e32 v36, 7, v2
	v_ffbh_u32_e32 v34, v36
	v_min_u32_e32 v38, 32, v34
	v_subrev_u32_e32 v34, 28, v38
	v_bfe_u32 v37, v2, 3, 4
	v_lshlrev_b64 v[34:35], v34, v[2:3]
	v_sub_u32_e32 v35, 29, v38
	v_cmp_eq_u32_e64 s[0:1], 0, v37
	v_and_b32_e32 v34, 7, v34
	s_nop 0
	v_cndmask_b32_e64 v35, v37, v35, s[0:1]
	v_cndmask_b32_e64 v34, v36, v34, s[0:1]
	v_lshlrev_b32_e32 v36, 8, v2
	v_lshl_add_u32 v35, v35, 10, v24
	v_and_or_b32 v35, v36, s62, v35
	v_lshl_or_b32 v34, v34, 7, v35
	v_cvt_f32_f16_e32 v34, v34
.LBB265_45:                             ;   in Loop: Header=BB265_14 Depth=1
	s_or_b64 exec, exec, s[46:47]
	v_lshrrev_b16_e32 v2, 8, v2
	v_cmp_lt_i16_e64 s[0:1], s60, v2
	s_mov_b64 s[46:47], 0
                                        ; implicit-def: $sgpr63
	s_and_saveexec_b64 s[48:49], s[0:1]
	s_xor_b64 s[48:49], exec, s[48:49]
	s_cbranch_execnz .LBB265_127
; %bb.46:                               ;   in Loop: Header=BB265_14 Depth=1
	s_or_saveexec_b64 s[48:49], s[48:49]
	v_mov_b32_e32 v35, s63
	s_xor_b64 exec, exec, s[48:49]
	s_cbranch_execnz .LBB265_130
.LBB265_47:                             ;   in Loop: Header=BB265_14 Depth=1
	s_or_b64 exec, exec, s[48:49]
	s_and_saveexec_b64 s[48:49], s[46:47]
	s_cbranch_execz .LBB265_49
.LBB265_48:                             ;   in Loop: Header=BB265_14 Depth=1
	v_and_b32_e32 v35, 7, v2
	v_ffbh_u32_e32 v36, v35
	v_min_u32_e32 v39, 32, v36
	v_subrev_u32_e32 v36, 28, v39
	v_bfe_u32 v38, v2, 3, 4
	v_lshlrev_b64 v[36:37], v36, v[2:3]
	v_sub_u32_e32 v37, 29, v39
	v_cmp_eq_u32_e64 s[0:1], 0, v38
	v_and_b32_e32 v36, 7, v36
	v_lshlrev_b32_e32 v2, 8, v2
	v_cndmask_b32_e64 v37, v38, v37, s[0:1]
	v_cndmask_b32_e64 v35, v35, v36, s[0:1]
	v_lshl_add_u32 v36, v37, 10, v24
	v_and_or_b32 v2, v2, s62, v36
	v_lshl_or_b32 v2, v35, 7, v2
	v_cvt_f32_f16_e32 v35, v2
.LBB265_49:                             ;   in Loop: Header=BB265_14 Depth=1
	s_or_b64 exec, exec, s[48:49]
	global_load_ushort v2, v[12:13], off offset:512
	s_mov_b64 s[0:1], 0
                                        ; implicit-def: $sgpr50
	s_waitcnt vmcnt(0)
	v_cmp_gt_i16_sdwa s[46:47], v2, s60 src0_sel:BYTE_0 src1_sel:DWORD
	s_and_saveexec_b64 s[48:49], s[46:47]
	s_xor_b64 s[46:47], exec, s[48:49]
	s_cbranch_execnz .LBB265_131
; %bb.50:                               ;   in Loop: Header=BB265_14 Depth=1
	s_or_saveexec_b64 s[46:47], s[46:47]
	v_mov_b32_e32 v36, s50
	s_xor_b64 exec, exec, s[46:47]
	s_cbranch_execnz .LBB265_134
.LBB265_51:                             ;   in Loop: Header=BB265_14 Depth=1
	s_or_b64 exec, exec, s[46:47]
	v_and_b32_e32 v2, 0xffff, v2
	s_and_saveexec_b64 s[46:47], s[0:1]
	s_cbranch_execz .LBB265_53
.LBB265_52:                             ;   in Loop: Header=BB265_14 Depth=1
	v_and_b32_e32 v38, 7, v2
	v_ffbh_u32_e32 v36, v38
	v_min_u32_e32 v40, 32, v36
	v_subrev_u32_e32 v36, 28, v40
	v_bfe_u32 v39, v2, 3, 4
	v_lshlrev_b64 v[36:37], v36, v[2:3]
	v_sub_u32_e32 v37, 29, v40
	v_cmp_eq_u32_e64 s[0:1], 0, v39
	v_and_b32_e32 v36, 7, v36
	s_nop 0
	v_cndmask_b32_e64 v37, v39, v37, s[0:1]
	v_cndmask_b32_e64 v36, v38, v36, s[0:1]
	v_lshlrev_b32_e32 v38, 8, v2
	v_lshl_add_u32 v37, v37, 10, v24
	v_and_or_b32 v37, v38, s62, v37
	v_lshl_or_b32 v36, v36, 7, v37
	v_cvt_f32_f16_e32 v36, v36
.LBB265_53:                             ;   in Loop: Header=BB265_14 Depth=1
	s_or_b64 exec, exec, s[46:47]
	v_lshrrev_b16_e32 v2, 8, v2
	v_cmp_lt_i16_e64 s[0:1], s60, v2
	s_mov_b64 s[46:47], 0
                                        ; implicit-def: $sgpr63
	s_and_saveexec_b64 s[48:49], s[0:1]
	s_xor_b64 s[48:49], exec, s[48:49]
	s_cbranch_execnz .LBB265_135
; %bb.54:                               ;   in Loop: Header=BB265_14 Depth=1
	s_or_saveexec_b64 s[48:49], s[48:49]
	v_mov_b32_e32 v37, s63
	s_xor_b64 exec, exec, s[48:49]
	s_cbranch_execnz .LBB265_138
.LBB265_55:                             ;   in Loop: Header=BB265_14 Depth=1
	s_or_b64 exec, exec, s[48:49]
	s_and_saveexec_b64 s[48:49], s[46:47]
	s_cbranch_execz .LBB265_57
.LBB265_56:                             ;   in Loop: Header=BB265_14 Depth=1
	v_and_b32_e32 v37, 7, v2
	v_ffbh_u32_e32 v38, v37
	v_min_u32_e32 v41, 32, v38
	v_subrev_u32_e32 v38, 28, v41
	v_bfe_u32 v40, v2, 3, 4
	v_lshlrev_b64 v[38:39], v38, v[2:3]
	v_sub_u32_e32 v39, 29, v41
	v_cmp_eq_u32_e64 s[0:1], 0, v40
	v_and_b32_e32 v38, 7, v38
	v_lshlrev_b32_e32 v2, 8, v2
	v_cndmask_b32_e64 v39, v40, v39, s[0:1]
	v_cndmask_b32_e64 v37, v37, v38, s[0:1]
	v_lshl_add_u32 v38, v39, 10, v24
	v_and_or_b32 v2, v2, s62, v38
	v_lshl_or_b32 v2, v37, 7, v2
	v_cvt_f32_f16_e32 v37, v2
.LBB265_57:                             ;   in Loop: Header=BB265_14 Depth=1
	s_or_b64 exec, exec, s[48:49]
	global_load_ushort v2, v[12:13], off offset:520
	s_mov_b64 s[0:1], 0
                                        ; implicit-def: $sgpr50
	s_waitcnt vmcnt(0)
	v_cmp_gt_i16_sdwa s[46:47], v2, s60 src0_sel:BYTE_0 src1_sel:DWORD
	s_and_saveexec_b64 s[48:49], s[46:47]
	s_xor_b64 s[46:47], exec, s[48:49]
	s_cbranch_execnz .LBB265_139
; %bb.58:                               ;   in Loop: Header=BB265_14 Depth=1
	s_or_saveexec_b64 s[46:47], s[46:47]
	v_mov_b32_e32 v38, s50
	s_xor_b64 exec, exec, s[46:47]
	s_cbranch_execnz .LBB265_142
.LBB265_59:                             ;   in Loop: Header=BB265_14 Depth=1
	s_or_b64 exec, exec, s[46:47]
	v_and_b32_e32 v2, 0xffff, v2
	s_and_saveexec_b64 s[46:47], s[0:1]
	s_cbranch_execz .LBB265_61
.LBB265_60:                             ;   in Loop: Header=BB265_14 Depth=1
	v_and_b32_e32 v40, 7, v2
	v_ffbh_u32_e32 v38, v40
	v_min_u32_e32 v42, 32, v38
	v_subrev_u32_e32 v38, 28, v42
	v_bfe_u32 v41, v2, 3, 4
	v_lshlrev_b64 v[38:39], v38, v[2:3]
	v_sub_u32_e32 v39, 29, v42
	v_cmp_eq_u32_e64 s[0:1], 0, v41
	v_and_b32_e32 v38, 7, v38
	s_nop 0
	v_cndmask_b32_e64 v39, v41, v39, s[0:1]
	v_cndmask_b32_e64 v38, v40, v38, s[0:1]
	v_lshlrev_b32_e32 v40, 8, v2
	v_lshl_add_u32 v39, v39, 10, v24
	v_and_or_b32 v39, v40, s62, v39
	v_lshl_or_b32 v38, v38, 7, v39
	v_cvt_f32_f16_e32 v38, v38
.LBB265_61:                             ;   in Loop: Header=BB265_14 Depth=1
	s_or_b64 exec, exec, s[46:47]
	v_lshrrev_b16_e32 v2, 8, v2
	v_cmp_lt_i16_e64 s[0:1], s60, v2
	s_mov_b64 s[46:47], 0
                                        ; implicit-def: $sgpr63
	s_and_saveexec_b64 s[48:49], s[0:1]
	s_xor_b64 s[48:49], exec, s[48:49]
	s_cbranch_execnz .LBB265_143
; %bb.62:                               ;   in Loop: Header=BB265_14 Depth=1
	s_or_saveexec_b64 s[48:49], s[48:49]
	v_mov_b32_e32 v39, s63
	s_xor_b64 exec, exec, s[48:49]
	s_cbranch_execnz .LBB265_146
.LBB265_63:                             ;   in Loop: Header=BB265_14 Depth=1
	s_or_b64 exec, exec, s[48:49]
	s_and_saveexec_b64 s[48:49], s[46:47]
	s_cbranch_execz .LBB265_65
.LBB265_64:                             ;   in Loop: Header=BB265_14 Depth=1
	v_and_b32_e32 v39, 7, v2
	v_ffbh_u32_e32 v40, v39
	v_min_u32_e32 v43, 32, v40
	v_subrev_u32_e32 v40, 28, v43
	v_bfe_u32 v42, v2, 3, 4
	v_lshlrev_b64 v[40:41], v40, v[2:3]
	v_sub_u32_e32 v41, 29, v43
	v_cmp_eq_u32_e64 s[0:1], 0, v42
	v_and_b32_e32 v40, 7, v40
	v_lshlrev_b32_e32 v2, 8, v2
	v_cndmask_b32_e64 v41, v42, v41, s[0:1]
	v_cndmask_b32_e64 v39, v39, v40, s[0:1]
	v_lshl_add_u32 v40, v41, 10, v24
	v_and_or_b32 v2, v2, s62, v40
	v_lshl_or_b32 v2, v39, 7, v2
	v_cvt_f32_f16_e32 v39, v2
.LBB265_65:                             ;   in Loop: Header=BB265_14 Depth=1
	s_or_b64 exec, exec, s[48:49]
	global_load_ushort v2, v[12:13], off offset:768
	s_mov_b64 s[0:1], 0
                                        ; implicit-def: $sgpr50
	s_waitcnt vmcnt(0)
	v_cmp_gt_i16_sdwa s[46:47], v2, s60 src0_sel:BYTE_0 src1_sel:DWORD
	s_and_saveexec_b64 s[48:49], s[46:47]
	s_xor_b64 s[46:47], exec, s[48:49]
	s_cbranch_execnz .LBB265_147
; %bb.66:                               ;   in Loop: Header=BB265_14 Depth=1
	s_or_saveexec_b64 s[46:47], s[46:47]
	v_mov_b32_e32 v40, s50
	s_xor_b64 exec, exec, s[46:47]
	s_cbranch_execnz .LBB265_150
.LBB265_67:                             ;   in Loop: Header=BB265_14 Depth=1
	s_or_b64 exec, exec, s[46:47]
	v_and_b32_e32 v2, 0xffff, v2
	s_and_saveexec_b64 s[46:47], s[0:1]
	s_cbranch_execz .LBB265_69
.LBB265_68:                             ;   in Loop: Header=BB265_14 Depth=1
	v_and_b32_e32 v42, 7, v2
	v_ffbh_u32_e32 v40, v42
	v_min_u32_e32 v44, 32, v40
	v_subrev_u32_e32 v40, 28, v44
	v_bfe_u32 v43, v2, 3, 4
	v_lshlrev_b64 v[40:41], v40, v[2:3]
	v_sub_u32_e32 v41, 29, v44
	v_cmp_eq_u32_e64 s[0:1], 0, v43
	v_and_b32_e32 v40, 7, v40
	s_nop 0
	v_cndmask_b32_e64 v41, v43, v41, s[0:1]
	v_cndmask_b32_e64 v40, v42, v40, s[0:1]
	v_lshlrev_b32_e32 v42, 8, v2
	v_lshl_add_u32 v41, v41, 10, v24
	v_and_or_b32 v41, v42, s62, v41
	v_lshl_or_b32 v40, v40, 7, v41
	v_cvt_f32_f16_e32 v40, v40
.LBB265_69:                             ;   in Loop: Header=BB265_14 Depth=1
	s_or_b64 exec, exec, s[46:47]
	v_lshrrev_b16_e32 v2, 8, v2
	v_cmp_lt_i16_e64 s[0:1], s60, v2
	s_mov_b64 s[46:47], 0
                                        ; implicit-def: $sgpr63
	s_and_saveexec_b64 s[48:49], s[0:1]
	s_xor_b64 s[48:49], exec, s[48:49]
	s_cbranch_execnz .LBB265_151
; %bb.70:                               ;   in Loop: Header=BB265_14 Depth=1
	s_or_saveexec_b64 s[48:49], s[48:49]
	v_mov_b32_e32 v41, s63
	s_xor_b64 exec, exec, s[48:49]
	s_cbranch_execnz .LBB265_154
.LBB265_71:                             ;   in Loop: Header=BB265_14 Depth=1
	s_or_b64 exec, exec, s[48:49]
	s_and_saveexec_b64 s[48:49], s[46:47]
	s_cbranch_execz .LBB265_73
.LBB265_72:                             ;   in Loop: Header=BB265_14 Depth=1
	v_and_b32_e32 v41, 7, v2
	v_ffbh_u32_e32 v42, v41
	v_min_u32_e32 v45, 32, v42
	v_subrev_u32_e32 v42, 28, v45
	v_bfe_u32 v44, v2, 3, 4
	v_lshlrev_b64 v[42:43], v42, v[2:3]
	v_sub_u32_e32 v43, 29, v45
	v_cmp_eq_u32_e64 s[0:1], 0, v44
	v_and_b32_e32 v42, 7, v42
	v_lshlrev_b32_e32 v2, 8, v2
	v_cndmask_b32_e64 v43, v44, v43, s[0:1]
	v_cndmask_b32_e64 v41, v41, v42, s[0:1]
	v_lshl_add_u32 v42, v43, 10, v24
	v_and_or_b32 v2, v2, s62, v42
	v_lshl_or_b32 v2, v41, 7, v2
	v_cvt_f32_f16_e32 v41, v2
.LBB265_73:                             ;   in Loop: Header=BB265_14 Depth=1
	s_or_b64 exec, exec, s[48:49]
	global_load_ushort v2, v[12:13], off offset:776
	s_mov_b64 s[0:1], 0
                                        ; implicit-def: $sgpr50
	s_waitcnt vmcnt(0)
	v_cmp_gt_i16_sdwa s[46:47], v2, s60 src0_sel:BYTE_0 src1_sel:DWORD
	s_and_saveexec_b64 s[48:49], s[46:47]
	s_xor_b64 s[46:47], exec, s[48:49]
	s_cbranch_execnz .LBB265_155
; %bb.74:                               ;   in Loop: Header=BB265_14 Depth=1
	s_or_saveexec_b64 s[46:47], s[46:47]
	v_mov_b32_e32 v42, s50
	s_xor_b64 exec, exec, s[46:47]
	s_cbranch_execnz .LBB265_158
.LBB265_75:                             ;   in Loop: Header=BB265_14 Depth=1
	s_or_b64 exec, exec, s[46:47]
	v_and_b32_e32 v2, 0xffff, v2
	s_and_saveexec_b64 s[46:47], s[0:1]
	s_cbranch_execz .LBB265_77
.LBB265_76:                             ;   in Loop: Header=BB265_14 Depth=1
	v_and_b32_e32 v44, 7, v2
	v_ffbh_u32_e32 v42, v44
	v_min_u32_e32 v46, 32, v42
	v_subrev_u32_e32 v42, 28, v46
	v_bfe_u32 v45, v2, 3, 4
	v_lshlrev_b64 v[42:43], v42, v[2:3]
	v_sub_u32_e32 v43, 29, v46
	v_cmp_eq_u32_e64 s[0:1], 0, v45
	v_and_b32_e32 v42, 7, v42
	s_nop 0
	v_cndmask_b32_e64 v43, v45, v43, s[0:1]
	v_cndmask_b32_e64 v42, v44, v42, s[0:1]
	v_lshlrev_b32_e32 v44, 8, v2
	v_lshl_add_u32 v43, v43, 10, v24
	v_and_or_b32 v43, v44, s62, v43
	v_lshl_or_b32 v42, v42, 7, v43
	v_cvt_f32_f16_e32 v42, v42
.LBB265_77:                             ;   in Loop: Header=BB265_14 Depth=1
	s_or_b64 exec, exec, s[46:47]
	v_lshrrev_b16_e32 v2, 8, v2
	v_cmp_lt_i16_e64 s[0:1], s60, v2
	s_mov_b64 s[46:47], 0
                                        ; implicit-def: $sgpr63
	s_and_saveexec_b64 s[48:49], s[0:1]
	s_xor_b64 s[48:49], exec, s[48:49]
	s_cbranch_execnz .LBB265_159
; %bb.78:                               ;   in Loop: Header=BB265_14 Depth=1
	s_or_saveexec_b64 s[48:49], s[48:49]
	v_mov_b32_e32 v43, s63
	s_xor_b64 exec, exec, s[48:49]
	s_cbranch_execnz .LBB265_162
.LBB265_79:                             ;   in Loop: Header=BB265_14 Depth=1
	s_or_b64 exec, exec, s[48:49]
	s_and_saveexec_b64 s[48:49], s[46:47]
	s_cbranch_execz .LBB265_81
.LBB265_80:                             ;   in Loop: Header=BB265_14 Depth=1
	v_and_b32_e32 v43, 7, v2
	v_ffbh_u32_e32 v44, v43
	v_min_u32_e32 v47, 32, v44
	v_subrev_u32_e32 v44, 28, v47
	v_bfe_u32 v46, v2, 3, 4
	v_lshlrev_b64 v[44:45], v44, v[2:3]
	v_sub_u32_e32 v45, 29, v47
	v_cmp_eq_u32_e64 s[0:1], 0, v46
	v_and_b32_e32 v44, 7, v44
	v_lshlrev_b32_e32 v2, 8, v2
	v_cndmask_b32_e64 v45, v46, v45, s[0:1]
	v_cndmask_b32_e64 v43, v43, v44, s[0:1]
	v_lshl_add_u32 v44, v45, 10, v24
	v_and_or_b32 v2, v2, s62, v44
	v_lshl_or_b32 v2, v43, 7, v2
	v_cvt_f32_f16_e32 v43, v2
.LBB265_81:                             ;   in Loop: Header=BB265_14 Depth=1
	s_or_b64 exec, exec, s[48:49]
	global_load_ushort v2, v[12:13], off offset:1024
	s_mov_b64 s[0:1], 0
                                        ; implicit-def: $sgpr50
	s_waitcnt vmcnt(0)
	v_cmp_gt_i16_sdwa s[46:47], v2, s60 src0_sel:BYTE_0 src1_sel:DWORD
	s_and_saveexec_b64 s[48:49], s[46:47]
	s_xor_b64 s[46:47], exec, s[48:49]
	s_cbranch_execnz .LBB265_163
; %bb.82:                               ;   in Loop: Header=BB265_14 Depth=1
	s_or_saveexec_b64 s[46:47], s[46:47]
	v_mov_b32_e32 v44, s50
	s_xor_b64 exec, exec, s[46:47]
	s_cbranch_execnz .LBB265_166
.LBB265_83:                             ;   in Loop: Header=BB265_14 Depth=1
	s_or_b64 exec, exec, s[46:47]
	v_and_b32_e32 v2, 0xffff, v2
	s_and_saveexec_b64 s[46:47], s[0:1]
	s_cbranch_execz .LBB265_85
.LBB265_84:                             ;   in Loop: Header=BB265_14 Depth=1
	v_and_b32_e32 v46, 7, v2
	v_ffbh_u32_e32 v44, v46
	v_min_u32_e32 v48, 32, v44
	v_subrev_u32_e32 v44, 28, v48
	v_bfe_u32 v47, v2, 3, 4
	v_lshlrev_b64 v[44:45], v44, v[2:3]
	v_sub_u32_e32 v45, 29, v48
	v_cmp_eq_u32_e64 s[0:1], 0, v47
	v_and_b32_e32 v44, 7, v44
	s_nop 0
	v_cndmask_b32_e64 v45, v47, v45, s[0:1]
	v_cndmask_b32_e64 v44, v46, v44, s[0:1]
	v_lshlrev_b32_e32 v46, 8, v2
	v_lshl_add_u32 v45, v45, 10, v24
	v_and_or_b32 v45, v46, s62, v45
	v_lshl_or_b32 v44, v44, 7, v45
	v_cvt_f32_f16_e32 v44, v44
.LBB265_85:                             ;   in Loop: Header=BB265_14 Depth=1
	s_or_b64 exec, exec, s[46:47]
	v_lshrrev_b16_e32 v2, 8, v2
	v_cmp_lt_i16_e64 s[0:1], s60, v2
	s_mov_b64 s[46:47], 0
                                        ; implicit-def: $sgpr63
	s_and_saveexec_b64 s[48:49], s[0:1]
	s_xor_b64 s[48:49], exec, s[48:49]
	s_cbranch_execnz .LBB265_167
; %bb.86:                               ;   in Loop: Header=BB265_14 Depth=1
	s_or_saveexec_b64 s[48:49], s[48:49]
	v_mov_b32_e32 v45, s63
	s_xor_b64 exec, exec, s[48:49]
	s_cbranch_execnz .LBB265_170
.LBB265_87:                             ;   in Loop: Header=BB265_14 Depth=1
	s_or_b64 exec, exec, s[48:49]
	s_and_saveexec_b64 s[48:49], s[46:47]
	s_cbranch_execz .LBB265_89
.LBB265_88:                             ;   in Loop: Header=BB265_14 Depth=1
	v_and_b32_e32 v45, 7, v2
	v_ffbh_u32_e32 v46, v45
	v_min_u32_e32 v49, 32, v46
	v_subrev_u32_e32 v46, 28, v49
	v_bfe_u32 v48, v2, 3, 4
	v_lshlrev_b64 v[46:47], v46, v[2:3]
	v_sub_u32_e32 v47, 29, v49
	v_cmp_eq_u32_e64 s[0:1], 0, v48
	v_and_b32_e32 v46, 7, v46
	v_lshlrev_b32_e32 v2, 8, v2
	v_cndmask_b32_e64 v47, v48, v47, s[0:1]
	v_cndmask_b32_e64 v45, v45, v46, s[0:1]
	v_lshl_add_u32 v46, v47, 10, v24
	v_and_or_b32 v2, v2, s62, v46
	v_lshl_or_b32 v2, v45, 7, v2
	v_cvt_f32_f16_e32 v45, v2
.LBB265_89:                             ;   in Loop: Header=BB265_14 Depth=1
	s_or_b64 exec, exec, s[48:49]
	global_load_ushort v2, v[12:13], off offset:1032
	s_mov_b64 s[0:1], 0
                                        ; implicit-def: $sgpr50
	s_waitcnt vmcnt(0)
	v_cmp_gt_i16_sdwa s[46:47], v2, s60 src0_sel:BYTE_0 src1_sel:DWORD
	s_and_saveexec_b64 s[48:49], s[46:47]
	s_xor_b64 s[46:47], exec, s[48:49]
	s_cbranch_execnz .LBB265_171
; %bb.90:                               ;   in Loop: Header=BB265_14 Depth=1
	s_or_saveexec_b64 s[46:47], s[46:47]
	v_mov_b32_e32 v12, s50
	s_xor_b64 exec, exec, s[46:47]
	s_cbranch_execnz .LBB265_174
.LBB265_91:                             ;   in Loop: Header=BB265_14 Depth=1
	s_or_b64 exec, exec, s[46:47]
	v_and_b32_e32 v2, 0xffff, v2
	s_and_saveexec_b64 s[46:47], s[0:1]
	s_cbranch_execz .LBB265_93
.LBB265_92:                             ;   in Loop: Header=BB265_14 Depth=1
	v_and_b32_e32 v46, 7, v2
	v_ffbh_u32_e32 v12, v46
	v_min_u32_e32 v48, 32, v12
	v_subrev_u32_e32 v12, 28, v48
	v_bfe_u32 v47, v2, 3, 4
	v_lshlrev_b64 v[12:13], v12, v[2:3]
	v_sub_u32_e32 v13, 29, v48
	v_cmp_eq_u32_e64 s[0:1], 0, v47
	v_and_b32_e32 v12, 7, v12
	s_nop 0
	v_cndmask_b32_e64 v13, v47, v13, s[0:1]
	v_cndmask_b32_e64 v12, v46, v12, s[0:1]
	v_lshlrev_b32_e32 v46, 8, v2
	v_lshl_add_u32 v13, v13, 10, v24
	v_and_or_b32 v13, v46, s62, v13
	v_lshl_or_b32 v12, v12, 7, v13
	v_cvt_f32_f16_e32 v12, v12
.LBB265_93:                             ;   in Loop: Header=BB265_14 Depth=1
	s_or_b64 exec, exec, s[46:47]
	v_lshrrev_b16_e32 v2, 8, v2
	v_cmp_lt_i16_e64 s[0:1], s60, v2
	s_mov_b64 s[46:47], 0
                                        ; implicit-def: $sgpr63
	s_and_saveexec_b64 s[48:49], s[0:1]
	s_xor_b64 s[48:49], exec, s[48:49]
	s_cbranch_execnz .LBB265_175
; %bb.94:                               ;   in Loop: Header=BB265_14 Depth=1
	s_or_saveexec_b64 s[48:49], s[48:49]
	v_mov_b32_e32 v13, s63
	s_xor_b64 exec, exec, s[48:49]
	s_cbranch_execnz .LBB265_178
.LBB265_95:                             ;   in Loop: Header=BB265_14 Depth=1
	s_or_b64 exec, exec, s[48:49]
	s_and_saveexec_b64 s[48:49], s[46:47]
	s_cbranch_execz .LBB265_97
.LBB265_96:                             ;   in Loop: Header=BB265_14 Depth=1
	v_and_b32_e32 v13, 7, v2
	v_ffbh_u32_e32 v46, v13
	v_min_u32_e32 v49, 32, v46
	v_subrev_u32_e32 v46, 28, v49
	v_bfe_u32 v48, v2, 3, 4
	v_lshlrev_b64 v[46:47], v46, v[2:3]
	v_sub_u32_e32 v47, 29, v49
	v_cmp_eq_u32_e64 s[0:1], 0, v48
	v_and_b32_e32 v46, 7, v46
	v_lshlrev_b32_e32 v2, 8, v2
	v_cndmask_b32_e64 v47, v48, v47, s[0:1]
	v_cndmask_b32_e64 v13, v13, v46, s[0:1]
	v_lshl_add_u32 v46, v47, 10, v24
	v_and_or_b32 v2, v2, s62, v46
	v_lshl_or_b32 v2, v13, 7, v2
	v_cvt_f32_f16_e32 v13, v2
.LBB265_97:                             ;   in Loop: Header=BB265_14 Depth=1
	s_or_b64 exec, exec, s[48:49]
	ds_read_b32 v2, v17
	v_fma_mixlo_f16 v28, v27, v28, 0
	v_fma_mixlo_f16 v29, v27, v29, 0
	v_and_b32_e32 v28, 0xffff, v28
	v_and_b32_e32 v29, 0xffff, v29
	s_waitcnt lgkmcnt(0)
	v_lshrrev_b32_e32 v46, 16, v2
	v_and_b32_e32 v2, 0xffff, v2
	;;#ASMSTART
	v_cvt_f32_f16 v2, v2;
	;;#ASMEND
	;;#ASMSTART
	v_cvt_f32_f16 v46, v46;
	;;#ASMEND
	;;#ASMSTART
	v_cvt_f32_f16 v28, v28;
	;;#ASMEND
	;;#ASMSTART
	v_cvt_f32_f16 v29, v29;
	;;#ASMEND
	ds_read_b32 v47, v17 offset:4
	v_fma_mixlo_f16 v30, v27, v30, 0
	v_fma_mixlo_f16 v31, v27, v31, 0
	v_and_b32_e32 v30, 0xffff, v30
	v_and_b32_e32 v31, 0xffff, v31
	s_waitcnt lgkmcnt(0)
	v_lshrrev_b32_e32 v48, 16, v47
	v_and_b32_e32 v47, 0xffff, v47
	;;#ASMSTART
	v_cvt_f32_f16 v47, v47;
	;;#ASMEND
	;;#ASMSTART
	v_cvt_f32_f16 v48, v48;
	;;#ASMEND
	;;#ASMSTART
	v_cvt_f32_f16 v30, v30;
	;;#ASMEND
	;;#ASMSTART
	v_cvt_f32_f16 v31, v31;
	;;#ASMEND
	ds_read_b32 v49, v17 offset:8
	;; [unrolled: 20-line block ×5, first 2 shown]
	v_fma_mixlo_f16 v44, v27, v44, 0
	v_fma_mixlo_f16 v45, v27, v45, 0
	;; [unrolled: 1-line block ×10, first 2 shown]
	v_mul_f32_e32 v27, v47, v30
	v_fmac_f32_e32 v27, v2, v28
	s_waitcnt lgkmcnt(0)
	v_lshrrev_b32_e32 v2, 16, v55
	v_and_b32_e32 v28, 0xffff, v55
	v_and_b32_e32 v30, 0xffff, v38
	;; [unrolled: 1-line block ×3, first 2 shown]
	;;#ASMSTART
	v_cvt_f32_f16 v28, v28;
	;;#ASMEND
	;;#ASMSTART
	v_cvt_f32_f16 v2, v2;
	;;#ASMEND
	;; [unrolled: 3-line block ×4, first 2 shown]
	ds_read_b32 v39, v17 offset:24
	v_mul_f32_e32 v31, v48, v31
	v_fmac_f32_e32 v31, v46, v29
	v_fmac_f32_e32 v27, v49, v32
	;; [unrolled: 1-line block ×3, first 2 shown]
	s_waitcnt lgkmcnt(0)
	v_lshrrev_b32_e32 v29, 16, v39
	v_and_b32_e32 v32, 0xffff, v39
	v_and_b32_e32 v33, 0xffff, v40
	;; [unrolled: 1-line block ×3, first 2 shown]
	;;#ASMSTART
	v_cvt_f32_f16 v32, v32;
	;;#ASMEND
	;;#ASMSTART
	v_cvt_f32_f16 v29, v29;
	;;#ASMEND
	;; [unrolled: 3-line block ×4, first 2 shown]
	ds_read_b32 v40, v17 offset:28
	v_fmac_f32_e32 v27, v51, v34
	v_fmac_f32_e32 v31, v52, v35
	v_fmac_f32_e32 v27, v53, v36
	v_fmac_f32_e32 v31, v54, v37
	s_waitcnt lgkmcnt(0)
	v_lshrrev_b32_e32 v34, 16, v40
	v_and_b32_e32 v35, 0xffff, v40
	v_and_b32_e32 v36, 0xffff, v42
	;; [unrolled: 1-line block ×3, first 2 shown]
	;;#ASMSTART
	v_cvt_f32_f16 v35, v35;
	;;#ASMEND
	;;#ASMSTART
	v_cvt_f32_f16 v34, v34;
	;;#ASMEND
	;; [unrolled: 3-line block ×4, first 2 shown]
	ds_read_b32 v40, v17 offset:32
	v_fmac_f32_e32 v31, v2, v38
	v_fmac_f32_e32 v27, v28, v30
	;; [unrolled: 1-line block ×3, first 2 shown]
	v_and_b32_e32 v29, 0xffff, v44
	s_waitcnt lgkmcnt(0)
	v_lshrrev_b32_e32 v2, 16, v40
	v_and_b32_e32 v28, 0xffff, v40
	v_and_b32_e32 v30, 0xffff, v45
	v_fmac_f32_e32 v27, v32, v33
	;;#ASMSTART
	v_cvt_f32_f16 v28, v28;
	;;#ASMEND
	;;#ASMSTART
	v_cvt_f32_f16 v2, v2;
	;;#ASMEND
	;; [unrolled: 3-line block ×4, first 2 shown]
	ds_read_b32 v32, v17 offset:36
	v_fmac_f32_e32 v27, v35, v36
	v_fmac_f32_e32 v31, v34, v37
	;; [unrolled: 1-line block ×4, first 2 shown]
	s_waitcnt lgkmcnt(0)
	v_lshrrev_b32_e32 v2, 16, v32
	v_and_b32_e32 v28, 0xffff, v32
	v_and_b32_e32 v12, 0xffff, v12
	;;#ASMSTART
	v_cvt_f32_f16 v28, v28;
	;;#ASMEND
	;;#ASMSTART
	v_cvt_f32_f16 v2, v2;
	;;#ASMEND
	;; [unrolled: 3-line block ×3, first 2 shown]
	v_and_b32_e32 v13, 0xffff, v13
	;;#ASMSTART
	v_cvt_f32_f16 v13, v13;
	;;#ASMEND
	v_fmac_f32_e32 v27, v28, v12
	v_and_b32_e32 v12, 64, v25
	v_fmac_f32_e32 v31, v2, v13
	v_add_u32_e32 v12, 64, v12
	v_xor_b32_e32 v13, 2, v25
	v_cmp_lt_i32_e64 s[0:1], v13, v12
	v_add_f32_e32 v2, v27, v31
	s_nop 0
	v_cndmask_b32_e64 v13, v25, v13, s[0:1]
	v_lshlrev_b32_e32 v13, 2, v13
	ds_bpermute_b32 v13, v13, v2
	s_waitcnt lgkmcnt(0)
	v_add_f32_e32 v2, v2, v13
	v_xor_b32_e32 v13, 1, v25
	v_cmp_lt_i32_e64 s[0:1], v13, v12
	s_nop 1
	v_cndmask_b32_e64 v12, v25, v13, s[0:1]
	v_lshlrev_b32_e32 v12, 2, v12
	ds_bpermute_b32 v12, v12, v2
	s_and_saveexec_b64 s[46:47], vcc
	s_cbranch_execz .LBB265_12
; %bb.98:                               ;   in Loop: Header=BB265_14 Depth=1
	v_add_u32_e32 v13, v22, v20
	v_cvt_f32_i32_e32 v13, v13
	s_waitcnt lgkmcnt(0)
	v_add_f32_e32 v2, v2, v12
	v_add_u32_e32 v27, v15, v20
	v_cmp_gt_i32_e64 s[0:1], s33, v27
	v_mul_f32_e32 v12, s56, v13
	v_cndmask_b32_e64 v12, 0, v12, s[6:7]
	v_fmac_f32_e32 v12, s43, v2
	v_cndmask_b32_e64 v2, 0, v12, s[0:1]
	ds_write_b32 v21, v2
	v_max_f32_e32 v2, v18, v18
	v_max_f32_e32 v2, v2, v12
	v_cndmask_b32_e64 v18, v18, v2, s[0:1]
	s_branch .LBB265_12
.LBB265_99:                             ;   in Loop: Header=BB265_14 Depth=1
	v_cmp_eq_u16_sdwa s[64:65], v2, s61 src0_sel:BYTE_0 src1_sel:DWORD
	s_mov_b64 s[0:1], -1
                                        ; implicit-def: $sgpr50
	s_and_saveexec_b64 s[48:49], s[64:65]
; %bb.100:                              ;   in Loop: Header=BB265_14 Depth=1
	s_mov_b32 s50, 0x7fc02000
	s_xor_b64 s[0:1], exec, -1
; %bb.101:                              ;   in Loop: Header=BB265_14 Depth=1
	s_or_b64 exec, exec, s[48:49]
	s_and_b64 s[0:1], s[0:1], exec
	s_or_saveexec_b64 s[46:47], s[46:47]
	v_mov_b32_e32 v28, s50
	s_xor_b64 exec, exec, s[46:47]
	s_cbranch_execz .LBB265_19
.LBB265_102:                            ;   in Loop: Header=BB265_14 Depth=1
	v_cmp_ne_u16_sdwa s[48:49], v2, v3 src0_sel:BYTE_0 src1_sel:DWORD
	s_andn2_b64 s[0:1], s[0:1], exec
	s_and_b64 s[48:49], s[48:49], exec
	v_mov_b32_e32 v28, 0
	s_or_b64 s[0:1], s[0:1], s[48:49]
	s_or_b64 exec, exec, s[46:47]
	v_and_b32_e32 v2, 0xffff, v2
	s_and_saveexec_b64 s[46:47], s[0:1]
	s_cbranch_execnz .LBB265_20
	s_branch .LBB265_21
.LBB265_103:                            ;   in Loop: Header=BB265_14 Depth=1
	v_cmp_eq_u16_e64 s[0:1], s61, v2
	s_mov_b64 s[46:47], -1
                                        ; implicit-def: $sgpr63
	s_and_saveexec_b64 s[50:51], s[0:1]
; %bb.104:                              ;   in Loop: Header=BB265_14 Depth=1
	s_mov_b32 s63, 0x7fc02000
	s_xor_b64 s[46:47], exec, -1
; %bb.105:                              ;   in Loop: Header=BB265_14 Depth=1
	s_or_b64 exec, exec, s[50:51]
	s_and_b64 s[46:47], s[46:47], exec
	s_or_saveexec_b64 s[48:49], s[48:49]
	v_mov_b32_e32 v29, s63
	s_xor_b64 exec, exec, s[48:49]
	s_cbranch_execz .LBB265_23
.LBB265_106:                            ;   in Loop: Header=BB265_14 Depth=1
	v_cmp_ne_u16_e64 s[0:1], 0, v2
	s_andn2_b64 s[46:47], s[46:47], exec
	s_and_b64 s[0:1], s[0:1], exec
	v_mov_b32_e32 v29, 0
	s_or_b64 s[46:47], s[46:47], s[0:1]
	s_or_b64 exec, exec, s[48:49]
	s_and_saveexec_b64 s[48:49], s[46:47]
	s_cbranch_execnz .LBB265_24
	s_branch .LBB265_25
.LBB265_107:                            ;   in Loop: Header=BB265_14 Depth=1
	v_cmp_eq_u16_sdwa s[64:65], v2, s61 src0_sel:BYTE_0 src1_sel:DWORD
	s_mov_b64 s[0:1], -1
                                        ; implicit-def: $sgpr50
	s_and_saveexec_b64 s[48:49], s[64:65]
; %bb.108:                              ;   in Loop: Header=BB265_14 Depth=1
	s_mov_b32 s50, 0x7fc02000
	s_xor_b64 s[0:1], exec, -1
; %bb.109:                              ;   in Loop: Header=BB265_14 Depth=1
	s_or_b64 exec, exec, s[48:49]
	s_and_b64 s[0:1], s[0:1], exec
	s_or_saveexec_b64 s[46:47], s[46:47]
	v_mov_b32_e32 v30, s50
	s_xor_b64 exec, exec, s[46:47]
	s_cbranch_execz .LBB265_27
.LBB265_110:                            ;   in Loop: Header=BB265_14 Depth=1
	v_cmp_ne_u16_sdwa s[48:49], v2, v3 src0_sel:BYTE_0 src1_sel:DWORD
	s_andn2_b64 s[0:1], s[0:1], exec
	s_and_b64 s[48:49], s[48:49], exec
	v_mov_b32_e32 v30, 0
	s_or_b64 s[0:1], s[0:1], s[48:49]
	s_or_b64 exec, exec, s[46:47]
	v_and_b32_e32 v2, 0xffff, v2
	s_and_saveexec_b64 s[46:47], s[0:1]
	s_cbranch_execnz .LBB265_28
	s_branch .LBB265_29
.LBB265_111:                            ;   in Loop: Header=BB265_14 Depth=1
	v_cmp_eq_u16_e64 s[0:1], s61, v2
	s_mov_b64 s[46:47], -1
                                        ; implicit-def: $sgpr63
	s_and_saveexec_b64 s[50:51], s[0:1]
; %bb.112:                              ;   in Loop: Header=BB265_14 Depth=1
	s_mov_b32 s63, 0x7fc02000
	s_xor_b64 s[46:47], exec, -1
; %bb.113:                              ;   in Loop: Header=BB265_14 Depth=1
	s_or_b64 exec, exec, s[50:51]
	s_and_b64 s[46:47], s[46:47], exec
	s_or_saveexec_b64 s[48:49], s[48:49]
	v_mov_b32_e32 v31, s63
	s_xor_b64 exec, exec, s[48:49]
	s_cbranch_execz .LBB265_31
.LBB265_114:                            ;   in Loop: Header=BB265_14 Depth=1
	v_cmp_ne_u16_e64 s[0:1], 0, v2
	s_andn2_b64 s[46:47], s[46:47], exec
	s_and_b64 s[0:1], s[0:1], exec
	v_mov_b32_e32 v31, 0
	s_or_b64 s[46:47], s[46:47], s[0:1]
	s_or_b64 exec, exec, s[48:49]
	s_and_saveexec_b64 s[48:49], s[46:47]
	s_cbranch_execnz .LBB265_32
	s_branch .LBB265_33
.LBB265_115:                            ;   in Loop: Header=BB265_14 Depth=1
	v_cmp_eq_u16_sdwa s[64:65], v2, s61 src0_sel:BYTE_0 src1_sel:DWORD
	s_mov_b64 s[0:1], -1
                                        ; implicit-def: $sgpr50
	s_and_saveexec_b64 s[48:49], s[64:65]
; %bb.116:                              ;   in Loop: Header=BB265_14 Depth=1
	s_mov_b32 s50, 0x7fc02000
	s_xor_b64 s[0:1], exec, -1
; %bb.117:                              ;   in Loop: Header=BB265_14 Depth=1
	s_or_b64 exec, exec, s[48:49]
	s_and_b64 s[0:1], s[0:1], exec
	s_or_saveexec_b64 s[46:47], s[46:47]
	v_mov_b32_e32 v32, s50
	s_xor_b64 exec, exec, s[46:47]
	s_cbranch_execz .LBB265_35
.LBB265_118:                            ;   in Loop: Header=BB265_14 Depth=1
	v_cmp_ne_u16_sdwa s[48:49], v2, v3 src0_sel:BYTE_0 src1_sel:DWORD
	s_andn2_b64 s[0:1], s[0:1], exec
	s_and_b64 s[48:49], s[48:49], exec
	v_mov_b32_e32 v32, 0
	s_or_b64 s[0:1], s[0:1], s[48:49]
	s_or_b64 exec, exec, s[46:47]
	v_and_b32_e32 v2, 0xffff, v2
	s_and_saveexec_b64 s[46:47], s[0:1]
	s_cbranch_execnz .LBB265_36
	s_branch .LBB265_37
.LBB265_119:                            ;   in Loop: Header=BB265_14 Depth=1
	v_cmp_eq_u16_e64 s[0:1], s61, v2
	s_mov_b64 s[46:47], -1
                                        ; implicit-def: $sgpr63
	s_and_saveexec_b64 s[50:51], s[0:1]
; %bb.120:                              ;   in Loop: Header=BB265_14 Depth=1
	s_mov_b32 s63, 0x7fc02000
	s_xor_b64 s[46:47], exec, -1
; %bb.121:                              ;   in Loop: Header=BB265_14 Depth=1
	s_or_b64 exec, exec, s[50:51]
	s_and_b64 s[46:47], s[46:47], exec
	s_or_saveexec_b64 s[48:49], s[48:49]
	v_mov_b32_e32 v33, s63
	s_xor_b64 exec, exec, s[48:49]
	s_cbranch_execz .LBB265_39
.LBB265_122:                            ;   in Loop: Header=BB265_14 Depth=1
	v_cmp_ne_u16_e64 s[0:1], 0, v2
	s_andn2_b64 s[46:47], s[46:47], exec
	s_and_b64 s[0:1], s[0:1], exec
	v_mov_b32_e32 v33, 0
	s_or_b64 s[46:47], s[46:47], s[0:1]
	s_or_b64 exec, exec, s[48:49]
	s_and_saveexec_b64 s[48:49], s[46:47]
	s_cbranch_execnz .LBB265_40
	s_branch .LBB265_41
.LBB265_123:                            ;   in Loop: Header=BB265_14 Depth=1
	v_cmp_eq_u16_sdwa s[64:65], v2, s61 src0_sel:BYTE_0 src1_sel:DWORD
	s_mov_b64 s[0:1], -1
                                        ; implicit-def: $sgpr50
	s_and_saveexec_b64 s[48:49], s[64:65]
; %bb.124:                              ;   in Loop: Header=BB265_14 Depth=1
	s_mov_b32 s50, 0x7fc02000
	s_xor_b64 s[0:1], exec, -1
; %bb.125:                              ;   in Loop: Header=BB265_14 Depth=1
	s_or_b64 exec, exec, s[48:49]
	s_and_b64 s[0:1], s[0:1], exec
	s_or_saveexec_b64 s[46:47], s[46:47]
	v_mov_b32_e32 v34, s50
	s_xor_b64 exec, exec, s[46:47]
	s_cbranch_execz .LBB265_43
.LBB265_126:                            ;   in Loop: Header=BB265_14 Depth=1
	v_cmp_ne_u16_sdwa s[48:49], v2, v3 src0_sel:BYTE_0 src1_sel:DWORD
	s_andn2_b64 s[0:1], s[0:1], exec
	s_and_b64 s[48:49], s[48:49], exec
	v_mov_b32_e32 v34, 0
	s_or_b64 s[0:1], s[0:1], s[48:49]
	s_or_b64 exec, exec, s[46:47]
	v_and_b32_e32 v2, 0xffff, v2
	s_and_saveexec_b64 s[46:47], s[0:1]
	s_cbranch_execnz .LBB265_44
	s_branch .LBB265_45
.LBB265_127:                            ;   in Loop: Header=BB265_14 Depth=1
	v_cmp_eq_u16_e64 s[0:1], s61, v2
	s_mov_b64 s[46:47], -1
                                        ; implicit-def: $sgpr63
	s_and_saveexec_b64 s[50:51], s[0:1]
; %bb.128:                              ;   in Loop: Header=BB265_14 Depth=1
	s_mov_b32 s63, 0x7fc02000
	s_xor_b64 s[46:47], exec, -1
; %bb.129:                              ;   in Loop: Header=BB265_14 Depth=1
	s_or_b64 exec, exec, s[50:51]
	s_and_b64 s[46:47], s[46:47], exec
	s_or_saveexec_b64 s[48:49], s[48:49]
	v_mov_b32_e32 v35, s63
	s_xor_b64 exec, exec, s[48:49]
	s_cbranch_execz .LBB265_47
.LBB265_130:                            ;   in Loop: Header=BB265_14 Depth=1
	v_cmp_ne_u16_e64 s[0:1], 0, v2
	s_andn2_b64 s[46:47], s[46:47], exec
	s_and_b64 s[0:1], s[0:1], exec
	v_mov_b32_e32 v35, 0
	s_or_b64 s[46:47], s[46:47], s[0:1]
	s_or_b64 exec, exec, s[48:49]
	s_and_saveexec_b64 s[48:49], s[46:47]
	s_cbranch_execnz .LBB265_48
	s_branch .LBB265_49
.LBB265_131:                            ;   in Loop: Header=BB265_14 Depth=1
	v_cmp_eq_u16_sdwa s[64:65], v2, s61 src0_sel:BYTE_0 src1_sel:DWORD
	s_mov_b64 s[0:1], -1
                                        ; implicit-def: $sgpr50
	s_and_saveexec_b64 s[48:49], s[64:65]
; %bb.132:                              ;   in Loop: Header=BB265_14 Depth=1
	s_mov_b32 s50, 0x7fc02000
	s_xor_b64 s[0:1], exec, -1
; %bb.133:                              ;   in Loop: Header=BB265_14 Depth=1
	s_or_b64 exec, exec, s[48:49]
	s_and_b64 s[0:1], s[0:1], exec
	s_or_saveexec_b64 s[46:47], s[46:47]
	v_mov_b32_e32 v36, s50
	s_xor_b64 exec, exec, s[46:47]
	s_cbranch_execz .LBB265_51
.LBB265_134:                            ;   in Loop: Header=BB265_14 Depth=1
	v_cmp_ne_u16_sdwa s[48:49], v2, v3 src0_sel:BYTE_0 src1_sel:DWORD
	s_andn2_b64 s[0:1], s[0:1], exec
	s_and_b64 s[48:49], s[48:49], exec
	v_mov_b32_e32 v36, 0
	s_or_b64 s[0:1], s[0:1], s[48:49]
	s_or_b64 exec, exec, s[46:47]
	v_and_b32_e32 v2, 0xffff, v2
	s_and_saveexec_b64 s[46:47], s[0:1]
	s_cbranch_execnz .LBB265_52
	s_branch .LBB265_53
.LBB265_135:                            ;   in Loop: Header=BB265_14 Depth=1
	v_cmp_eq_u16_e64 s[0:1], s61, v2
	s_mov_b64 s[46:47], -1
                                        ; implicit-def: $sgpr63
	s_and_saveexec_b64 s[50:51], s[0:1]
; %bb.136:                              ;   in Loop: Header=BB265_14 Depth=1
	s_mov_b32 s63, 0x7fc02000
	s_xor_b64 s[46:47], exec, -1
; %bb.137:                              ;   in Loop: Header=BB265_14 Depth=1
	s_or_b64 exec, exec, s[50:51]
	s_and_b64 s[46:47], s[46:47], exec
	s_or_saveexec_b64 s[48:49], s[48:49]
	v_mov_b32_e32 v37, s63
	s_xor_b64 exec, exec, s[48:49]
	s_cbranch_execz .LBB265_55
.LBB265_138:                            ;   in Loop: Header=BB265_14 Depth=1
	v_cmp_ne_u16_e64 s[0:1], 0, v2
	s_andn2_b64 s[46:47], s[46:47], exec
	s_and_b64 s[0:1], s[0:1], exec
	v_mov_b32_e32 v37, 0
	s_or_b64 s[46:47], s[46:47], s[0:1]
	s_or_b64 exec, exec, s[48:49]
	s_and_saveexec_b64 s[48:49], s[46:47]
	s_cbranch_execnz .LBB265_56
	s_branch .LBB265_57
.LBB265_139:                            ;   in Loop: Header=BB265_14 Depth=1
	v_cmp_eq_u16_sdwa s[64:65], v2, s61 src0_sel:BYTE_0 src1_sel:DWORD
	s_mov_b64 s[0:1], -1
                                        ; implicit-def: $sgpr50
	s_and_saveexec_b64 s[48:49], s[64:65]
; %bb.140:                              ;   in Loop: Header=BB265_14 Depth=1
	s_mov_b32 s50, 0x7fc02000
	s_xor_b64 s[0:1], exec, -1
; %bb.141:                              ;   in Loop: Header=BB265_14 Depth=1
	s_or_b64 exec, exec, s[48:49]
	s_and_b64 s[0:1], s[0:1], exec
	s_or_saveexec_b64 s[46:47], s[46:47]
	v_mov_b32_e32 v38, s50
	s_xor_b64 exec, exec, s[46:47]
	s_cbranch_execz .LBB265_59
.LBB265_142:                            ;   in Loop: Header=BB265_14 Depth=1
	v_cmp_ne_u16_sdwa s[48:49], v2, v3 src0_sel:BYTE_0 src1_sel:DWORD
	s_andn2_b64 s[0:1], s[0:1], exec
	s_and_b64 s[48:49], s[48:49], exec
	v_mov_b32_e32 v38, 0
	s_or_b64 s[0:1], s[0:1], s[48:49]
	s_or_b64 exec, exec, s[46:47]
	v_and_b32_e32 v2, 0xffff, v2
	s_and_saveexec_b64 s[46:47], s[0:1]
	s_cbranch_execnz .LBB265_60
	s_branch .LBB265_61
.LBB265_143:                            ;   in Loop: Header=BB265_14 Depth=1
	v_cmp_eq_u16_e64 s[0:1], s61, v2
	s_mov_b64 s[46:47], -1
                                        ; implicit-def: $sgpr63
	s_and_saveexec_b64 s[50:51], s[0:1]
; %bb.144:                              ;   in Loop: Header=BB265_14 Depth=1
	s_mov_b32 s63, 0x7fc02000
	s_xor_b64 s[46:47], exec, -1
; %bb.145:                              ;   in Loop: Header=BB265_14 Depth=1
	s_or_b64 exec, exec, s[50:51]
	s_and_b64 s[46:47], s[46:47], exec
	s_or_saveexec_b64 s[48:49], s[48:49]
	v_mov_b32_e32 v39, s63
	s_xor_b64 exec, exec, s[48:49]
	s_cbranch_execz .LBB265_63
.LBB265_146:                            ;   in Loop: Header=BB265_14 Depth=1
	v_cmp_ne_u16_e64 s[0:1], 0, v2
	s_andn2_b64 s[46:47], s[46:47], exec
	s_and_b64 s[0:1], s[0:1], exec
	v_mov_b32_e32 v39, 0
	s_or_b64 s[46:47], s[46:47], s[0:1]
	s_or_b64 exec, exec, s[48:49]
	s_and_saveexec_b64 s[48:49], s[46:47]
	s_cbranch_execnz .LBB265_64
	s_branch .LBB265_65
.LBB265_147:                            ;   in Loop: Header=BB265_14 Depth=1
	v_cmp_eq_u16_sdwa s[64:65], v2, s61 src0_sel:BYTE_0 src1_sel:DWORD
	s_mov_b64 s[0:1], -1
                                        ; implicit-def: $sgpr50
	s_and_saveexec_b64 s[48:49], s[64:65]
; %bb.148:                              ;   in Loop: Header=BB265_14 Depth=1
	s_mov_b32 s50, 0x7fc02000
	s_xor_b64 s[0:1], exec, -1
; %bb.149:                              ;   in Loop: Header=BB265_14 Depth=1
	s_or_b64 exec, exec, s[48:49]
	s_and_b64 s[0:1], s[0:1], exec
	s_or_saveexec_b64 s[46:47], s[46:47]
	v_mov_b32_e32 v40, s50
	s_xor_b64 exec, exec, s[46:47]
	s_cbranch_execz .LBB265_67
.LBB265_150:                            ;   in Loop: Header=BB265_14 Depth=1
	v_cmp_ne_u16_sdwa s[48:49], v2, v3 src0_sel:BYTE_0 src1_sel:DWORD
	s_andn2_b64 s[0:1], s[0:1], exec
	s_and_b64 s[48:49], s[48:49], exec
	v_mov_b32_e32 v40, 0
	s_or_b64 s[0:1], s[0:1], s[48:49]
	s_or_b64 exec, exec, s[46:47]
	v_and_b32_e32 v2, 0xffff, v2
	s_and_saveexec_b64 s[46:47], s[0:1]
	s_cbranch_execnz .LBB265_68
	s_branch .LBB265_69
.LBB265_151:                            ;   in Loop: Header=BB265_14 Depth=1
	v_cmp_eq_u16_e64 s[0:1], s61, v2
	s_mov_b64 s[46:47], -1
                                        ; implicit-def: $sgpr63
	s_and_saveexec_b64 s[50:51], s[0:1]
; %bb.152:                              ;   in Loop: Header=BB265_14 Depth=1
	s_mov_b32 s63, 0x7fc02000
	s_xor_b64 s[46:47], exec, -1
; %bb.153:                              ;   in Loop: Header=BB265_14 Depth=1
	s_or_b64 exec, exec, s[50:51]
	s_and_b64 s[46:47], s[46:47], exec
	s_or_saveexec_b64 s[48:49], s[48:49]
	v_mov_b32_e32 v41, s63
	s_xor_b64 exec, exec, s[48:49]
	s_cbranch_execz .LBB265_71
.LBB265_154:                            ;   in Loop: Header=BB265_14 Depth=1
	v_cmp_ne_u16_e64 s[0:1], 0, v2
	s_andn2_b64 s[46:47], s[46:47], exec
	s_and_b64 s[0:1], s[0:1], exec
	v_mov_b32_e32 v41, 0
	s_or_b64 s[46:47], s[46:47], s[0:1]
	s_or_b64 exec, exec, s[48:49]
	s_and_saveexec_b64 s[48:49], s[46:47]
	s_cbranch_execnz .LBB265_72
	s_branch .LBB265_73
.LBB265_155:                            ;   in Loop: Header=BB265_14 Depth=1
	v_cmp_eq_u16_sdwa s[64:65], v2, s61 src0_sel:BYTE_0 src1_sel:DWORD
	s_mov_b64 s[0:1], -1
                                        ; implicit-def: $sgpr50
	s_and_saveexec_b64 s[48:49], s[64:65]
; %bb.156:                              ;   in Loop: Header=BB265_14 Depth=1
	s_mov_b32 s50, 0x7fc02000
	s_xor_b64 s[0:1], exec, -1
; %bb.157:                              ;   in Loop: Header=BB265_14 Depth=1
	s_or_b64 exec, exec, s[48:49]
	s_and_b64 s[0:1], s[0:1], exec
	s_or_saveexec_b64 s[46:47], s[46:47]
	v_mov_b32_e32 v42, s50
	s_xor_b64 exec, exec, s[46:47]
	s_cbranch_execz .LBB265_75
.LBB265_158:                            ;   in Loop: Header=BB265_14 Depth=1
	v_cmp_ne_u16_sdwa s[48:49], v2, v3 src0_sel:BYTE_0 src1_sel:DWORD
	s_andn2_b64 s[0:1], s[0:1], exec
	s_and_b64 s[48:49], s[48:49], exec
	v_mov_b32_e32 v42, 0
	s_or_b64 s[0:1], s[0:1], s[48:49]
	s_or_b64 exec, exec, s[46:47]
	v_and_b32_e32 v2, 0xffff, v2
	s_and_saveexec_b64 s[46:47], s[0:1]
	s_cbranch_execnz .LBB265_76
	s_branch .LBB265_77
.LBB265_159:                            ;   in Loop: Header=BB265_14 Depth=1
	v_cmp_eq_u16_e64 s[0:1], s61, v2
	s_mov_b64 s[46:47], -1
                                        ; implicit-def: $sgpr63
	s_and_saveexec_b64 s[50:51], s[0:1]
; %bb.160:                              ;   in Loop: Header=BB265_14 Depth=1
	s_mov_b32 s63, 0x7fc02000
	s_xor_b64 s[46:47], exec, -1
; %bb.161:                              ;   in Loop: Header=BB265_14 Depth=1
	s_or_b64 exec, exec, s[50:51]
	s_and_b64 s[46:47], s[46:47], exec
	s_or_saveexec_b64 s[48:49], s[48:49]
	v_mov_b32_e32 v43, s63
	s_xor_b64 exec, exec, s[48:49]
	s_cbranch_execz .LBB265_79
.LBB265_162:                            ;   in Loop: Header=BB265_14 Depth=1
	v_cmp_ne_u16_e64 s[0:1], 0, v2
	s_andn2_b64 s[46:47], s[46:47], exec
	s_and_b64 s[0:1], s[0:1], exec
	v_mov_b32_e32 v43, 0
	s_or_b64 s[46:47], s[46:47], s[0:1]
	s_or_b64 exec, exec, s[48:49]
	s_and_saveexec_b64 s[48:49], s[46:47]
	s_cbranch_execnz .LBB265_80
	s_branch .LBB265_81
.LBB265_163:                            ;   in Loop: Header=BB265_14 Depth=1
	v_cmp_eq_u16_sdwa s[64:65], v2, s61 src0_sel:BYTE_0 src1_sel:DWORD
	s_mov_b64 s[0:1], -1
                                        ; implicit-def: $sgpr50
	s_and_saveexec_b64 s[48:49], s[64:65]
; %bb.164:                              ;   in Loop: Header=BB265_14 Depth=1
	s_mov_b32 s50, 0x7fc02000
	s_xor_b64 s[0:1], exec, -1
; %bb.165:                              ;   in Loop: Header=BB265_14 Depth=1
	s_or_b64 exec, exec, s[48:49]
	s_and_b64 s[0:1], s[0:1], exec
	s_or_saveexec_b64 s[46:47], s[46:47]
	v_mov_b32_e32 v44, s50
	s_xor_b64 exec, exec, s[46:47]
	s_cbranch_execz .LBB265_83
.LBB265_166:                            ;   in Loop: Header=BB265_14 Depth=1
	v_cmp_ne_u16_sdwa s[48:49], v2, v3 src0_sel:BYTE_0 src1_sel:DWORD
	s_andn2_b64 s[0:1], s[0:1], exec
	s_and_b64 s[48:49], s[48:49], exec
	v_mov_b32_e32 v44, 0
	s_or_b64 s[0:1], s[0:1], s[48:49]
	s_or_b64 exec, exec, s[46:47]
	v_and_b32_e32 v2, 0xffff, v2
	s_and_saveexec_b64 s[46:47], s[0:1]
	s_cbranch_execnz .LBB265_84
	s_branch .LBB265_85
.LBB265_167:                            ;   in Loop: Header=BB265_14 Depth=1
	v_cmp_eq_u16_e64 s[0:1], s61, v2
	s_mov_b64 s[46:47], -1
                                        ; implicit-def: $sgpr63
	s_and_saveexec_b64 s[50:51], s[0:1]
; %bb.168:                              ;   in Loop: Header=BB265_14 Depth=1
	s_mov_b32 s63, 0x7fc02000
	s_xor_b64 s[46:47], exec, -1
; %bb.169:                              ;   in Loop: Header=BB265_14 Depth=1
	s_or_b64 exec, exec, s[50:51]
	s_and_b64 s[46:47], s[46:47], exec
	s_or_saveexec_b64 s[48:49], s[48:49]
	v_mov_b32_e32 v45, s63
	s_xor_b64 exec, exec, s[48:49]
	s_cbranch_execz .LBB265_87
.LBB265_170:                            ;   in Loop: Header=BB265_14 Depth=1
	v_cmp_ne_u16_e64 s[0:1], 0, v2
	s_andn2_b64 s[46:47], s[46:47], exec
	s_and_b64 s[0:1], s[0:1], exec
	v_mov_b32_e32 v45, 0
	s_or_b64 s[46:47], s[46:47], s[0:1]
	s_or_b64 exec, exec, s[48:49]
	s_and_saveexec_b64 s[48:49], s[46:47]
	s_cbranch_execnz .LBB265_88
	s_branch .LBB265_89
.LBB265_171:                            ;   in Loop: Header=BB265_14 Depth=1
	v_cmp_eq_u16_sdwa s[64:65], v2, s61 src0_sel:BYTE_0 src1_sel:DWORD
	s_mov_b64 s[0:1], -1
                                        ; implicit-def: $sgpr50
	s_and_saveexec_b64 s[48:49], s[64:65]
; %bb.172:                              ;   in Loop: Header=BB265_14 Depth=1
	s_mov_b32 s50, 0x7fc02000
	s_xor_b64 s[0:1], exec, -1
; %bb.173:                              ;   in Loop: Header=BB265_14 Depth=1
	s_or_b64 exec, exec, s[48:49]
	s_and_b64 s[0:1], s[0:1], exec
	s_or_saveexec_b64 s[46:47], s[46:47]
	v_mov_b32_e32 v12, s50
	s_xor_b64 exec, exec, s[46:47]
	s_cbranch_execz .LBB265_91
.LBB265_174:                            ;   in Loop: Header=BB265_14 Depth=1
	v_cmp_ne_u16_sdwa s[48:49], v2, v3 src0_sel:BYTE_0 src1_sel:DWORD
	s_andn2_b64 s[0:1], s[0:1], exec
	s_and_b64 s[48:49], s[48:49], exec
	v_mov_b32_e32 v12, 0
	s_or_b64 s[0:1], s[0:1], s[48:49]
	s_or_b64 exec, exec, s[46:47]
	v_and_b32_e32 v2, 0xffff, v2
	s_and_saveexec_b64 s[46:47], s[0:1]
	s_cbranch_execnz .LBB265_92
	s_branch .LBB265_93
.LBB265_175:                            ;   in Loop: Header=BB265_14 Depth=1
	v_cmp_eq_u16_e64 s[0:1], s61, v2
	s_mov_b64 s[46:47], -1
                                        ; implicit-def: $sgpr63
	s_and_saveexec_b64 s[50:51], s[0:1]
; %bb.176:                              ;   in Loop: Header=BB265_14 Depth=1
	s_mov_b32 s63, 0x7fc02000
	s_xor_b64 s[46:47], exec, -1
; %bb.177:                              ;   in Loop: Header=BB265_14 Depth=1
	s_or_b64 exec, exec, s[50:51]
	s_and_b64 s[46:47], s[46:47], exec
	s_or_saveexec_b64 s[48:49], s[48:49]
	v_mov_b32_e32 v13, s63
	s_xor_b64 exec, exec, s[48:49]
	s_cbranch_execz .LBB265_95
.LBB265_178:                            ;   in Loop: Header=BB265_14 Depth=1
	v_cmp_ne_u16_e64 s[0:1], 0, v2
	s_andn2_b64 s[46:47], s[46:47], exec
	s_and_b64 s[0:1], s[0:1], exec
	v_mov_b32_e32 v13, 0
	s_or_b64 s[46:47], s[46:47], s[0:1]
	s_or_b64 exec, exec, s[48:49]
	s_and_saveexec_b64 s[48:49], s[46:47]
	s_cbranch_execnz .LBB265_96
	s_branch .LBB265_97
.LBB265_179:
	s_or_b64 exec, exec, s[44:45]
.LBB265_180:
	s_or_b64 exec, exec, s[18:19]
	v_mbcnt_hi_u32_b32 v2, -1, v14
	v_and_b32_e32 v3, 64, v2
	v_add_u32_e32 v3, 64, v3
	v_xor_b32_e32 v4, 32, v2
	v_cmp_lt_i32_e32 vcc, v4, v3
	v_xor_b32_e32 v8, 16, v2
	v_max_f32_e32 v5, v18, v18
	v_cndmask_b32_e32 v4, v2, v4, vcc
	v_lshlrev_b32_e32 v9, 2, v4
	ds_bpermute_b32 v4, v9, v18
	v_cmp_lt_i32_e32 vcc, v8, v3
	v_lshlrev_b32_e32 v11, 2, v16
	s_waitcnt lgkmcnt(0)
	v_max_f32_e32 v4, v4, v4
	v_max_f32_e32 v4, v5, v4
	v_cndmask_b32_e32 v5, v2, v8, vcc
	v_lshlrev_b32_e32 v10, 2, v5
	ds_bpermute_b32 v5, v10, v4
	v_xor_b32_e32 v8, 8, v2
	v_cmp_lt_i32_e32 vcc, v8, v3
	s_waitcnt lgkmcnt(0)
	v_max_f32_e32 v5, v5, v5
	v_max_f32_e32 v4, v4, v5
	v_cndmask_b32_e32 v5, v2, v8, vcc
	v_lshlrev_b32_e32 v13, 2, v5
	ds_bpermute_b32 v5, v13, v4
	v_xor_b32_e32 v8, 4, v2
	v_cmp_lt_i32_e32 vcc, v8, v3
	s_waitcnt lgkmcnt(0)
	v_max_f32_e32 v5, v5, v5
	v_max_f32_e32 v4, v4, v5
	v_cndmask_b32_e32 v5, v2, v8, vcc
	v_lshlrev_b32_e32 v14, 2, v5
	ds_bpermute_b32 v5, v14, v4
	v_and_b32_e32 v8, 63, v0
	v_cmp_eq_u32_e32 vcc, 0, v8
	s_and_saveexec_b64 s[0:1], vcc
	s_cbranch_execz .LBB265_182
; %bb.181:
	s_waitcnt lgkmcnt(0)
	v_max_f32_e32 v5, v5, v5
	v_max_f32_e32 v4, v4, v4
	;; [unrolled: 1-line block ×3, first 2 shown]
	ds_write_b32 v11, v4 offset:160
.LBB265_182:
	s_or_b64 exec, exec, s[0:1]
	v_cmp_gt_u32_e64 s[0:1], 2, v8
	v_mov_b32_e32 v4, 0xff7fffff
	v_lshlrev_b32_e32 v12, 2, v8
	s_waitcnt lgkmcnt(0)
	s_barrier
	s_and_saveexec_b64 s[6:7], s[0:1]
	s_cbranch_execz .LBB265_184
; %bb.183:
	ds_read_b32 v4, v12 offset:160
.LBB265_184:
	s_or_b64 exec, exec, s[6:7]
	v_xor_b32_e32 v5, 1, v2
	v_cmp_lt_i32_e64 s[6:7], v5, v3
	v_mov_b32_e32 v17, 0
	s_nop 0
	v_cndmask_b32_e64 v5, v2, v5, s[6:7]
	v_lshlrev_b32_e32 v5, 2, v5
	s_waitcnt lgkmcnt(0)
	ds_bpermute_b32 v15, v5, v4
	v_max_f32_e32 v4, v4, v4
	s_sub_i32 s6, s54, s23
	s_lshl_b32 s6, s6, 4
	s_add_i32 s6, s6, s55
	s_waitcnt lgkmcnt(0)
	v_max_f32_e32 v15, v15, v15
	v_max_f32_e32 v4, v4, v15
	v_lshlrev_b32_e32 v15, 2, v2
	v_and_b32_e32 v15, 0x100, v15
	ds_bpermute_b32 v4, v15, v4
	s_min_i32 s43, s6, s33
	s_sub_i32 s23, s43, s55
	v_cmp_gt_i32_e64 s[6:7], s23, v0
	s_and_saveexec_b64 s[12:13], s[6:7]
	s_cbranch_execz .LBB265_188
; %bb.185:
	v_mov_b32_e32 v17, 0xb0
	v_lshl_add_u32 v18, v0, 2, v17
	s_mov_b64 s[18:19], 0
	v_mov_b32_e32 v17, 0
	v_mov_b32_e32 v19, v0
.LBB265_186:                            ; =>This Inner Loop Header: Depth=1
	ds_read_b32 v20, v18
	v_add_u32_e32 v19, 0x80, v19
	v_cmp_le_i32_e64 s[10:11], s23, v19
	s_or_b64 s[18:19], s[10:11], s[18:19]
	s_waitcnt lgkmcnt(0)
	v_sub_f32_e32 v20, v20, v4
	v_mul_f32_e32 v20, 0x3fb8aa3b, v20
	v_exp_f32_e32 v20, v20
	ds_write_b32 v18, v20
	v_add_f32_e32 v17, v17, v20
	v_add_u32_e32 v18, 0x200, v18
	s_andn2_b64 exec, exec, s[18:19]
	s_cbranch_execnz .LBB265_186
; %bb.187:
	s_or_b64 exec, exec, s[18:19]
.LBB265_188:
	s_or_b64 exec, exec, s[12:13]
	ds_bpermute_b32 v9, v9, v17
	s_waitcnt lgkmcnt(0)
	v_add_f32_e32 v9, v17, v9
	ds_bpermute_b32 v10, v10, v9
	s_waitcnt lgkmcnt(0)
	v_add_f32_e32 v9, v9, v10
	ds_bpermute_b32 v10, v13, v9
	v_xor_b32_e32 v13, 2, v2
	v_cmp_lt_i32_e64 s[10:11], v13, v3
	s_waitcnt lgkmcnt(0)
	v_add_f32_e32 v9, v9, v10
	ds_bpermute_b32 v10, v14, v9
	v_cndmask_b32_e64 v2, v2, v13, s[10:11]
	v_lshlrev_b32_e32 v2, 2, v2
	s_waitcnt lgkmcnt(0)
	v_add_f32_e32 v3, v9, v10
	ds_bpermute_b32 v2, v2, v3
	s_waitcnt lgkmcnt(0)
	v_add_f32_e32 v2, v3, v2
	ds_bpermute_b32 v3, v5, v2
	s_waitcnt lgkmcnt(0)
	v_add_f32_e32 v2, v2, v3
	s_and_saveexec_b64 s[10:11], vcc
	s_cbranch_execz .LBB265_190
; %bb.189:
	ds_write_b32 v11, v2 offset:168
.LBB265_190:
	s_or_b64 exec, exec, s[10:11]
	s_waitcnt lgkmcnt(0)
	s_barrier
	s_and_saveexec_b64 s[10:11], s[0:1]
	s_cbranch_execz .LBB265_192
; %bb.191:
	ds_read_b32 v2, v12 offset:168
.LBB265_192:
	s_or_b64 exec, exec, s[10:11]
	s_waitcnt lgkmcnt(0)
	ds_bpermute_b32 v3, v5, v2
	s_waitcnt lgkmcnt(0)
	v_add_f32_e32 v2, v2, v3
	ds_bpermute_b32 v9, v15, v2
	s_and_saveexec_b64 s[0:1], s[6:7]
	s_cbranch_execz .LBB265_205
; %bb.193:
	s_waitcnt lgkmcnt(0)
	v_add_f32_e32 v2, 0x358637bd, v9
	v_div_scale_f32 v3, s[6:7], v2, v2, 1.0
	v_rcp_f32_e32 v10, v3
	v_div_scale_f32 v11, vcc, 1.0, v2, 1.0
	s_movk_i32 s6, 0x7f
	v_fma_f32 v12, -v3, v10, 1.0
	v_fmac_f32_e32 v10, v12, v10
	v_mul_f32_e32 v12, v11, v10
	v_fma_f32 v13, -v3, v12, v11
	v_fmac_f32_e32 v12, v13, v10
	v_fma_f32 v3, -v3, v12, v11
	v_div_fmas_f32 v3, v3, v10, v12
	v_div_fixup_f32 v2, v3, v2, 1.0
	v_xad_u32 v3, v0, -1, s43
	v_subrev_u32_e32 v10, s55, v3
	v_cmp_lt_u32_e32 vcc, s6, v10
	s_mov_b64 s[10:11], -1
	v_mov_b32_e32 v3, v0
	s_and_saveexec_b64 s[6:7], vcc
	s_cbranch_execz .LBB265_202
; %bb.194:
	v_lshrrev_b32_e32 v10, 7, v10
	v_add_u32_e32 v12, -1, v10
	v_lshrrev_b32_e32 v11, 1, v12
	v_mov_b32_e32 v3, v2
	v_add_u32_e32 v11, 1, v11
	v_cmp_lt_u32_e32 vcc, 13, v12
	v_mov_b32_e32 v14, 0
	s_and_saveexec_b64 s[10:11], vcc
	s_cbranch_execz .LBB265_198
; %bb.195:
	v_mov_b32_e32 v13, 0xb0
	v_and_b32_e32 v12, -8, v11
	v_lshl_add_u32 v13, v0, 2, v13
	s_mov_b32 s18, 0
	s_mov_b64 s[12:13], 0
.LBB265_196:                            ; =>This Inner Loop Header: Depth=1
	ds_read2st64_b32 v[14:15], v13 offset1:2
	ds_read2st64_b32 v[18:19], v13 offset0:4 offset1:6
	ds_read2st64_b32 v[20:21], v13 offset0:8 offset1:10
	;; [unrolled: 1-line block ×3, first 2 shown]
	v_add_u32_e32 v12, -8, v12
	s_waitcnt lgkmcnt(3)
	v_pk_mul_f32 v[14:15], v[2:3], v[14:15]
	s_waitcnt lgkmcnt(2)
	v_pk_mul_f32 v[18:19], v[2:3], v[18:19]
	ds_write2st64_b32 v13, v14, v15 offset1:2
	ds_write2st64_b32 v13, v18, v19 offset0:4 offset1:6
	ds_read2st64_b32 v[18:19], v13 offset0:16 offset1:18
	s_waitcnt lgkmcnt(4)
	v_pk_mul_f32 v[14:15], v[2:3], v[20:21]
	ds_write2st64_b32 v13, v14, v15 offset0:8 offset1:10
	s_waitcnt lgkmcnt(4)
	v_pk_mul_f32 v[14:15], v[2:3], v[22:23]
	ds_write2st64_b32 v13, v14, v15 offset0:12 offset1:14
	ds_read2st64_b32 v[14:15], v13 offset0:20 offset1:22
	s_waitcnt lgkmcnt(3)
	v_pk_mul_f32 v[18:19], v[2:3], v[18:19]
	ds_read2st64_b32 v[20:21], v13 offset0:24 offset1:26
	ds_write2st64_b32 v13, v18, v19 offset0:16 offset1:18
	ds_read2st64_b32 v[18:19], v13 offset0:28 offset1:30
	s_waitcnt lgkmcnt(3)
	v_pk_mul_f32 v[14:15], v[2:3], v[14:15]
	ds_write2st64_b32 v13, v14, v15 offset0:20 offset1:22
	s_waitcnt lgkmcnt(3)
	v_pk_mul_f32 v[14:15], v[2:3], v[20:21]
	ds_write2st64_b32 v13, v14, v15 offset0:24 offset1:26
	s_waitcnt lgkmcnt(2)
	v_pk_mul_f32 v[14:15], v[2:3], v[18:19]
	s_add_i32 s18, s18, 16
	v_cmp_eq_u32_e32 vcc, 0, v12
	ds_write2st64_b32 v13, v14, v15 offset0:28 offset1:30
	v_add_u32_e32 v13, 0x2000, v13
	s_or_b64 s[12:13], vcc, s[12:13]
	v_mov_b32_e32 v14, s18
	s_andn2_b64 exec, exec, s[12:13]
	s_cbranch_execnz .LBB265_196
; %bb.197:
	s_or_b64 exec, exec, s[12:13]
.LBB265_198:
	s_or_b64 exec, exec, s[10:11]
	v_and_b32_e32 v11, 7, v11
	v_cmp_ne_u32_e32 vcc, 0, v11
	s_and_saveexec_b64 s[10:11], vcc
	s_cbranch_execz .LBB265_201
; %bb.199:
	v_lshlrev_b32_e32 v12, 9, v14
	v_lshlrev_b32_e32 v13, 2, v0
	s_movk_i32 s12, 0xb0
	v_add3_u32 v12, v12, v13, s12
	s_mov_b64 s[12:13], 0
.LBB265_200:                            ; =>This Inner Loop Header: Depth=1
	ds_read2st64_b32 v[14:15], v12 offset1:2
	v_add_u32_e32 v11, -1, v11
	v_cmp_eq_u32_e32 vcc, 0, v11
	s_or_b64 s[12:13], vcc, s[12:13]
	s_waitcnt lgkmcnt(0)
	v_pk_mul_f32 v[14:15], v[2:3], v[14:15]
	ds_write2st64_b32 v12, v14, v15 offset1:2
	v_add_u32_e32 v12, 0x400, v12
	s_andn2_b64 exec, exec, s[12:13]
	s_cbranch_execnz .LBB265_200
.LBB265_201:
	s_or_b64 exec, exec, s[10:11]
	v_add_u32_e32 v10, 1, v10
	v_and_b32_e32 v11, 0x3fffffe, v10
	v_cmp_ne_u32_e32 vcc, v10, v11
	v_lshl_add_u32 v3, v11, 7, v0
	s_orn2_b64 s[10:11], vcc, exec
.LBB265_202:
	s_or_b64 exec, exec, s[6:7]
	s_and_b64 exec, exec, s[10:11]
	s_cbranch_execz .LBB265_205
; %bb.203:
	v_mov_b32_e32 v10, 0xb0
	v_lshl_add_u32 v10, v3, 2, v10
	s_mov_b64 s[6:7], 0
.LBB265_204:                            ; =>This Inner Loop Header: Depth=1
	ds_read_b32 v11, v10
	v_add_u32_e32 v3, 0x80, v3
	v_cmp_le_i32_e32 vcc, s23, v3
	s_or_b64 s[6:7], vcc, s[6:7]
	s_waitcnt lgkmcnt(0)
	v_mul_f32_e32 v11, v2, v11
	ds_write_b32 v10, v11
	v_add_u32_e32 v10, 0x200, v10
	s_andn2_b64 exec, exec, s[6:7]
	s_cbranch_execnz .LBB265_204
.LBB265_205:
	s_or_b64 exec, exec, s[0:1]
	s_mul_i32 s0, s29, s34
	v_cmp_eq_u32_e32 vcc, 0, v0
	s_mul_i32 s6, s0, s5
	s_waitcnt lgkmcnt(0)
	s_barrier
	s_and_saveexec_b64 s[0:1], vcc
	s_cbranch_execz .LBB265_207
; %bb.206:
	s_ashr_i32 s7, s6, 31
	s_lshl_b64 s[10:11], s[6:7], 2
	s_add_u32 s5, s26, s10
	s_mul_i32 s12, s29, s2
	s_addc_u32 s7, s27, s11
	s_ashr_i32 s13, s12, 31
	s_lshl_b64 s[12:13], s[12:13], 2
	s_add_u32 s2, s5, s12
	s_addc_u32 s7, s7, s13
	s_ashr_i32 s5, s4, 31
	s_lshl_b64 s[18:19], s[4:5], 2
	s_add_u32 s26, s2, s18
	s_addc_u32 s27, s7, s19
	s_add_u32 s2, s24, s10
	s_addc_u32 s5, s25, s11
	;; [unrolled: 2-line block ×3, first 2 shown]
	s_add_u32 s10, s2, s18
	v_mov_b32_e32 v2, 0
	s_addc_u32 s11, s5, s19
	global_store_dword v2, v4, s[26:27]
	global_store_dword v2, v9, s[10:11]
.LBB265_207:
	s_or_b64 exec, exec, s[0:1]
	s_mov_b32 s0, 0
	v_mov_b32_e32 v4, 0
	v_lshrrev_b32_e32 v29, 1, v8
	v_and_b32_e32 v28, 1, v0
	v_mov_b32_e32 v3, 0
	v_mov_b32_e32 v2, 0
	s_and_saveexec_b64 s[10:11], s[8:9]
	s_cbranch_execz .LBB265_413
; %bb.208:
	s_sub_i32 s5, s16, s21
	s_ashr_i32 s1, s20, 31
	s_add_u32 s8, s40, s20
	v_lshlrev_b32_e32 v2, 3, v0
	s_addc_u32 s9, s41, s1
	s_abs_i32 s27, s22
	v_and_b32_e32 v30, 8, v2
	v_cvt_f32_u32_e32 v2, s27
	v_or_b32_e32 v3, 64, v29
	s_movk_i32 s1, 0x50
	v_cmp_gt_u32_e32 vcc, s1, v3
	v_rcp_iflag_f32_e32 v2, v2
	s_sub_i32 s1, 0, s27
	s_add_i32 s26, s3, -1
	v_lshl_or_b32 v12, v3, 4, v30
	v_mul_f32_e32 v2, 0x4f7ffffe, v2
	v_cvt_u32_f32_e32 v2, v2
	s_lshl_b64 s[2:3], s[38:39], 2
	s_add_u32 s2, s36, s2
	s_addc_u32 s3, s37, s3
	v_mul_lo_u32 v3, s1, v2
	v_mul_hi_u32 v3, v2, v3
	v_add_u32_e32 v31, v2, v3
	v_lshlrev_b32_e32 v2, 5, v28
	v_lshl_add_u64 v[14:15], v[6:7], 2, s[2:3]
	v_lshl_or_b32 v2, v16, 6, v2
	s_mov_b32 s2, s0
	v_mov_b32_e32 v11, 0
	v_add_u32_e32 v7, 0xb0, v2
	s_mov_b32 s1, s0
	v_mov_b32_e32 v4, s2
	s_mov_b32 s7, s17
	v_lshl_or_b32 v8, v29, 4, v30
	v_mov_b32_e32 v9, v11
	v_mov_b32_e32 v13, v11
	s_mov_b32 s34, s33
	s_mov_b64 s[12:13], 0
	v_mov_b32_e32 v3, s1
	v_mov_b32_e32 v2, s0
	s_movk_i32 s36, 0x7f
	s_movk_i32 s37, 0x80
	s_mov_b32 s38, 0x8000
	s_movk_i32 s39, 0x380
	s_mov_b32 s40, 0x3020706
	s_mov_b32 s41, 0x1000504
	;; [unrolled: 1-line block ×3, first 2 shown]
	v_mov_b32_e32 v32, 0x1c00
	s_branch .LBB265_212
.LBB265_209:                            ;   in Loop: Header=BB265_212 Depth=1
	s_or_b64 exec, exec, s[2:3]
	;;#ASMSTART
	v_pk_mul_f16 v18, v35, v19;

	;;#ASMEND
	;;#ASMSTART
	v_pk_mul_f16 v10, v34, v10;

	;;#ASMEND
	;; [unrolled: 4-line block ×4, first 2 shown]
	s_nop 0
	;;#ASMSTART
	v_pk_add_f16 v10, v18, v10;

	;;#ASMEND
	s_nop 0
	;;#ASMSTART
	v_pk_add_f16 v10, v10, v17;

	;;#ASMEND
	;; [unrolled: 5-line block ×3, first 2 shown]
	s_nop 0
	v_lshrrev_b32_e32 v16, 16, v10
	v_and_b32_e32 v10, 0xffff, v10
	;;#ASMSTART
	v_cvt_f32_f16 v10, v10;
	;;#ASMEND
	;;#ASMSTART
	v_cvt_f32_f16 v16, v16;
	;;#ASMEND
	s_nop 0
	v_add_f32_e32 v10, v10, v16
	v_add_f32_e32 v4, v4, v10
.LBB265_210:                            ;   in Loop: Header=BB265_212 Depth=1
	s_or_b64 exec, exec, s[18:19]
.LBB265_211:                            ;   in Loop: Header=BB265_212 Depth=1
	s_or_b64 exec, exec, s[16:17]
	v_add_u32_e32 v6, 2, v6
	v_cmp_le_i32_e64 s[0:1], s54, v6
	v_lshl_add_u64 v[14:15], v[14:15], 0, 8
	v_add_u32_e32 v1, 32, v1
	s_or_b64 s[12:13], s[0:1], s[12:13]
	v_add_u32_e32 v7, 0x80, v7
	s_andn2_b64 exec, exec, s[12:13]
	s_cbranch_execz .LBB265_412
.LBB265_212:                            ; =>This Inner Loop Header: Depth=1
	v_sub_u32_e32 v16, 0, v1
	v_max_i32_e32 v16, v1, v16
	v_mul_hi_u32 v17, v16, s52
	v_mul_lo_u32 v18, v17, s35
	v_sub_u32_e32 v16, v16, v18
	v_add_u32_e32 v18, 1, v17
	v_cmp_le_u32_e64 s[0:1], s35, v16
	v_ashrrev_i32_e32 v10, 31, v1
	v_xor_b32_e32 v10, s53, v10
	v_cndmask_b32_e64 v17, v17, v18, s[0:1]
	v_subrev_u32_e32 v18, s35, v16
	v_cndmask_b32_e64 v16, v16, v18, s[0:1]
	v_add_u32_e32 v18, 1, v17
	v_cmp_le_u32_e64 s[0:1], s35, v16
	s_nop 1
	v_cndmask_b32_e64 v16, v17, v18, s[0:1]
	v_xor_b32_e32 v16, v16, v10
	v_sub_u32_e32 v10, v16, v10
	v_add_u32_e32 v16, s42, v10
	v_sub_u32_e32 v18, 0, v16
	v_ashrrev_i32_e32 v17, 31, v16
	v_max_i32_e32 v16, v16, v18
	v_mul_hi_u32 v18, v16, v31
	v_mul_lo_u32 v18, v18, s27
	v_sub_u32_e32 v16, v16, v18
	v_subrev_u32_e32 v18, s27, v16
	v_cmp_le_u32_e64 s[0:1], s27, v16
	v_cmp_lt_i32_e64 s[2:3], s5, v10
	s_nop 0
	v_cndmask_b32_e64 v16, v16, v18, s[0:1]
	v_subrev_u32_e32 v18, s27, v16
	v_cmp_le_u32_e64 s[0:1], s27, v16
	s_nop 1
	v_cndmask_b32_e64 v16, v16, v18, s[0:1]
	v_xor_b32_e32 v16, v16, v17
	v_sub_u32_e32 v16, v16, v17
	v_cmp_eq_u32_e64 s[0:1], 0, v16
	s_or_b64 s[0:1], s[0:1], s[2:3]
	s_and_saveexec_b64 s[16:17], s[0:1]
	s_cbranch_execz .LBB265_211
; %bb.213:                              ;   in Loop: Header=BB265_212 Depth=1
	ds_read2_b64 v[16:19], v7 offset1:1
	ds_read2_b64 v[22:25], v7 offset0:2 offset1:3
                                        ; implicit-def: $sgpr20
	s_waitcnt lgkmcnt(1)
	;;#ASMSTART
	v_cvt_f16_f32 v21, v16;

	;;#ASMEND
	;;#ASMSTART
	v_cvt_f16_f32 v33, v17;

	;;#ASMEND
	;; [unrolled: 4-line block ×4, first 2 shown]
	s_waitcnt lgkmcnt(0)
	;;#ASMSTART
	v_cvt_f16_f32 v37, v22;

	;;#ASMEND
	;;#ASMSTART
	v_cvt_f16_f32 v38, v23;

	;;#ASMEND
	;; [unrolled: 4-line block ×4, first 2 shown]
	global_load_dword v10, v[14:15], off
	v_mov_b64_e32 v[16:17], s[8:9]
	s_waitcnt vmcnt(0)
	v_mad_i64_i32 v[16:17], s[0:1], v10, s7, v[16:17]
	v_lshl_add_u64 v[18:19], v[16:17], 0, v[8:9]
	global_load_dwordx2 v[22:23], v[18:19], off
	global_load_dword v20, v11, s[14:15]
	s_mov_b64 s[0:1], 0
	s_waitcnt vmcnt(1)
	v_cmp_gt_i16_sdwa s[2:3], v22, s36 src0_sel:BYTE_0 src1_sel:DWORD
	s_and_saveexec_b64 s[18:19], s[2:3]
	s_xor_b64 s[2:3], exec, s[18:19]
	s_cbranch_execnz .LBB265_316
; %bb.214:                              ;   in Loop: Header=BB265_212 Depth=1
	s_or_saveexec_b64 s[2:3], s[2:3]
	v_mov_b32_e32 v24, s20
	s_xor_b64 exec, exec, s[2:3]
	s_cbranch_execnz .LBB265_319
.LBB265_215:                            ;   in Loop: Header=BB265_212 Depth=1
	s_or_b64 exec, exec, s[2:3]
	s_and_saveexec_b64 s[2:3], s[0:1]
	s_cbranch_execz .LBB265_217
.LBB265_216:                            ;   in Loop: Header=BB265_212 Depth=1
	v_and_b32_e32 v10, 7, v22
	v_ffbh_u32_e32 v10, v10
	v_bfe_u32 v24, v22, 3, 4
	v_min_u32_e32 v10, 32, v10
	v_subrev_u32_e32 v25, 28, v10
	v_sub_u32_e32 v10, 29, v10
	v_cmp_eq_u32_e64 s[0:1], 0, v24
	s_nop 1
	v_cndmask_b32_e64 v10, v24, v10, s[0:1]
	v_cndmask_b32_e64 v24, 0, v25, s[0:1]
	v_lshlrev_b64 v[24:25], v24, v[22:23]
	v_lshlrev_b32_e32 v25, 8, v22
	v_lshl_add_u32 v10, v10, 10, v32
	v_lshlrev_b32_e32 v24, 7, v24
	v_and_or_b32 v10, v25, s38, v10
	v_and_or_b32 v10, v24, s39, v10
	v_cvt_f32_f16_e32 v24, v10
.LBB265_217:                            ;   in Loop: Header=BB265_212 Depth=1
	s_or_b64 exec, exec, s[2:3]
	v_lshrrev_b16_e32 v10, 8, v22
	v_cmp_lt_i16_e64 s[0:1], s36, v10
	s_mov_b64 s[2:3], 0
                                        ; implicit-def: $sgpr22
	s_and_saveexec_b64 s[18:19], s[0:1]
	s_xor_b64 s[18:19], exec, s[18:19]
	s_cbranch_execnz .LBB265_320
; %bb.218:                              ;   in Loop: Header=BB265_212 Depth=1
	s_or_saveexec_b64 s[18:19], s[18:19]
	v_mov_b32_e32 v26, s22
	s_xor_b64 exec, exec, s[18:19]
	s_cbranch_execnz .LBB265_323
.LBB265_219:                            ;   in Loop: Header=BB265_212 Depth=1
	s_or_b64 exec, exec, s[18:19]
	s_and_saveexec_b64 s[18:19], s[2:3]
	s_cbranch_execz .LBB265_221
.LBB265_220:                            ;   in Loop: Header=BB265_212 Depth=1
	v_and_b32_e32 v25, 7, v10
	v_ffbh_u32_e32 v26, v25
	v_min_u32_e32 v41, 32, v26
	v_subrev_u32_e32 v26, 28, v41
	v_bfe_u32 v35, v10, 3, 4
	v_lshlrev_b64 v[26:27], v26, v[10:11]
	v_sub_u32_e32 v27, 29, v41
	v_cmp_eq_u32_e64 s[0:1], 0, v35
	v_and_b32_e32 v26, 7, v26
	v_lshlrev_b32_e32 v10, 8, v10
	v_cndmask_b32_e64 v27, v35, v27, s[0:1]
	v_cndmask_b32_e64 v25, v25, v26, s[0:1]
	v_lshl_add_u32 v26, v27, 10, v32
	v_and_or_b32 v10, v10, s38, v26
	v_lshl_or_b32 v10, v25, 7, v10
	v_cvt_f32_f16_e32 v26, v10
.LBB265_221:                            ;   in Loop: Header=BB265_212 Depth=1
	s_or_b64 exec, exec, s[18:19]
	v_lshrrev_b32_e32 v10, 16, v22
	v_cmp_gt_i16_sdwa s[2:3], v10, s36 src0_sel:BYTE_0 src1_sel:DWORD
	s_mov_b64 s[0:1], 0
                                        ; implicit-def: $sgpr20
	s_and_saveexec_b64 s[18:19], s[2:3]
	s_xor_b64 s[2:3], exec, s[18:19]
	s_cbranch_execnz .LBB265_324
; %bb.222:                              ;   in Loop: Header=BB265_212 Depth=1
	s_or_saveexec_b64 s[2:3], s[2:3]
	v_mov_b32_e32 v25, s20
	s_xor_b64 exec, exec, s[2:3]
	s_cbranch_execnz .LBB265_327
.LBB265_223:                            ;   in Loop: Header=BB265_212 Depth=1
	s_or_b64 exec, exec, s[2:3]
	s_and_saveexec_b64 s[2:3], s[0:1]
	s_cbranch_execz .LBB265_225
.LBB265_224:                            ;   in Loop: Header=BB265_212 Depth=1
	v_bfe_u32 v25, v22, 16, 3
	v_ffbh_u32_e32 v35, v25
	v_bfe_u32 v27, v22, 19, 4
	v_min_u32_e32 v35, 32, v35
	v_subrev_u32_e32 v41, 28, v35
	v_sub_u32_e32 v35, 29, v35
	v_cmp_eq_u32_e64 s[0:1], 0, v27
	v_lshlrev_b64 v[42:43], v41, v[10:11]
	v_and_b32_e32 v41, 7, v42
	v_cndmask_b32_e64 v27, v27, v35, s[0:1]
	v_lshlrev_b32_e32 v10, 8, v10
	v_lshl_add_u32 v27, v27, 10, v32
	v_cndmask_b32_e64 v25, v25, v41, s[0:1]
	v_and_or_b32 v10, v10, s38, v27
	v_lshl_or_b32 v10, v25, 7, v10
	v_cvt_f32_f16_e32 v25, v10
.LBB265_225:                            ;   in Loop: Header=BB265_212 Depth=1
	s_or_b64 exec, exec, s[2:3]
	v_lshrrev_b32_e32 v10, 24, v22
	v_cmp_lt_i16_e64 s[0:1], s36, v10
	s_mov_b64 s[2:3], 0
                                        ; implicit-def: $sgpr22
	s_and_saveexec_b64 s[18:19], s[0:1]
	s_xor_b64 s[18:19], exec, s[18:19]
	s_cbranch_execnz .LBB265_328
; %bb.226:                              ;   in Loop: Header=BB265_212 Depth=1
	s_or_saveexec_b64 s[18:19], s[18:19]
	v_mov_b32_e32 v27, s22
	s_xor_b64 exec, exec, s[18:19]
	s_cbranch_execnz .LBB265_331
.LBB265_227:                            ;   in Loop: Header=BB265_212 Depth=1
	s_or_b64 exec, exec, s[18:19]
	s_and_saveexec_b64 s[18:19], s[2:3]
	s_cbranch_execz .LBB265_229
.LBB265_228:                            ;   in Loop: Header=BB265_212 Depth=1
	v_bfe_u32 v27, v22, 24, 3
	v_ffbh_u32_e32 v35, v27
	v_bfe_u32 v22, v22, 27, 4
	v_min_u32_e32 v35, 32, v35
	v_subrev_u32_e32 v41, 28, v35
	v_sub_u32_e32 v35, 29, v35
	v_cmp_eq_u32_e64 s[0:1], 0, v22
	v_lshlrev_b64 v[42:43], v41, v[10:11]
	v_and_b32_e32 v41, 7, v42
	v_cndmask_b32_e64 v22, v22, v35, s[0:1]
	v_lshlrev_b32_e32 v10, 8, v10
	v_lshl_add_u32 v22, v22, 10, v32
	v_cndmask_b32_e64 v27, v27, v41, s[0:1]
	v_and_or_b32 v10, v10, s38, v22
	v_lshl_or_b32 v10, v27, 7, v10
	v_cvt_f32_f16_e32 v27, v10
.LBB265_229:                            ;   in Loop: Header=BB265_212 Depth=1
	s_or_b64 exec, exec, s[18:19]
	v_cmp_gt_i16_sdwa s[2:3], v23, s36 src0_sel:BYTE_0 src1_sel:DWORD
	s_mov_b64 s[0:1], 0
                                        ; implicit-def: $sgpr20
	s_and_saveexec_b64 s[18:19], s[2:3]
	s_xor_b64 s[2:3], exec, s[18:19]
	s_cbranch_execnz .LBB265_332
; %bb.230:                              ;   in Loop: Header=BB265_212 Depth=1
	s_or_saveexec_b64 s[2:3], s[2:3]
	v_mov_b32_e32 v22, s20
	s_xor_b64 exec, exec, s[2:3]
	s_cbranch_execnz .LBB265_335
.LBB265_231:                            ;   in Loop: Header=BB265_212 Depth=1
	s_or_b64 exec, exec, s[2:3]
	v_mov_b32_e32 v10, v23
	s_and_saveexec_b64 s[2:3], s[0:1]
	s_cbranch_execz .LBB265_233
.LBB265_232:                            ;   in Loop: Header=BB265_212 Depth=1
	v_and_b32_e32 v22, 7, v23
	v_ffbh_u32_e32 v22, v22
	v_bfe_u32 v35, v23, 3, 4
	v_min_u32_e32 v22, 32, v22
	v_subrev_u32_e32 v41, 28, v22
	v_sub_u32_e32 v22, 29, v22
	v_cmp_eq_u32_e64 s[0:1], 0, v35
	s_nop 1
	v_cndmask_b32_e64 v22, v35, v22, s[0:1]
	v_cndmask_b32_e64 v35, 0, v41, s[0:1]
	v_lshlrev_b64 v[42:43], v35, v[10:11]
	v_lshlrev_b32_e32 v41, 8, v23
	v_lshl_add_u32 v22, v22, 10, v32
	v_lshlrev_b32_e32 v35, 7, v42
	v_and_or_b32 v22, v41, s38, v22
	v_and_or_b32 v22, v35, s39, v22
	v_cvt_f32_f16_e32 v22, v22
.LBB265_233:                            ;   in Loop: Header=BB265_212 Depth=1
	s_or_b64 exec, exec, s[2:3]
	v_lshrrev_b16_e32 v10, 8, v10
	v_cmp_lt_i16_e64 s[0:1], s36, v10
	s_mov_b64 s[2:3], 0
                                        ; implicit-def: $sgpr22
	s_and_saveexec_b64 s[18:19], s[0:1]
	s_xor_b64 s[18:19], exec, s[18:19]
	s_cbranch_execnz .LBB265_336
; %bb.234:                              ;   in Loop: Header=BB265_212 Depth=1
	s_or_saveexec_b64 s[18:19], s[18:19]
	v_mov_b32_e32 v35, s22
	s_xor_b64 exec, exec, s[18:19]
	s_cbranch_execnz .LBB265_339
.LBB265_235:                            ;   in Loop: Header=BB265_212 Depth=1
	s_or_b64 exec, exec, s[18:19]
	s_and_saveexec_b64 s[18:19], s[2:3]
	s_cbranch_execz .LBB265_237
.LBB265_236:                            ;   in Loop: Header=BB265_212 Depth=1
	v_and_b32_e32 v35, 7, v10
	v_ffbh_u32_e32 v42, v35
	v_min_u32_e32 v44, 32, v42
	v_subrev_u32_e32 v42, 28, v44
	v_bfe_u32 v41, v10, 3, 4
	v_lshlrev_b64 v[42:43], v42, v[10:11]
	v_sub_u32_e32 v43, 29, v44
	v_cmp_eq_u32_e64 s[0:1], 0, v41
	v_and_b32_e32 v42, 7, v42
	v_lshlrev_b32_e32 v10, 8, v10
	v_cndmask_b32_e64 v41, v41, v43, s[0:1]
	v_lshl_add_u32 v41, v41, 10, v32
	v_cndmask_b32_e64 v35, v35, v42, s[0:1]
	v_and_or_b32 v10, v10, s38, v41
	v_lshl_or_b32 v10, v35, 7, v10
	v_cvt_f32_f16_e32 v35, v10
.LBB265_237:                            ;   in Loop: Header=BB265_212 Depth=1
	s_or_b64 exec, exec, s[18:19]
	v_lshrrev_b32_e32 v10, 16, v23
	v_cmp_gt_i16_sdwa s[2:3], v10, s36 src0_sel:BYTE_0 src1_sel:DWORD
	s_mov_b64 s[0:1], 0
                                        ; implicit-def: $sgpr20
	s_and_saveexec_b64 s[18:19], s[2:3]
	s_xor_b64 s[2:3], exec, s[18:19]
	s_cbranch_execnz .LBB265_340
; %bb.238:                              ;   in Loop: Header=BB265_212 Depth=1
	s_or_saveexec_b64 s[2:3], s[2:3]
	v_mov_b32_e32 v41, s20
	s_xor_b64 exec, exec, s[2:3]
	s_cbranch_execnz .LBB265_343
.LBB265_239:                            ;   in Loop: Header=BB265_212 Depth=1
	s_or_b64 exec, exec, s[2:3]
	s_and_saveexec_b64 s[2:3], s[0:1]
	s_cbranch_execz .LBB265_241
.LBB265_240:                            ;   in Loop: Header=BB265_212 Depth=1
	v_bfe_u32 v41, v23, 16, 3
	v_ffbh_u32_e32 v42, v41
	v_min_u32_e32 v45, 32, v42
	v_subrev_u32_e32 v42, 28, v45
	v_bfe_u32 v44, v23, 19, 4
	v_lshlrev_b64 v[42:43], v42, v[10:11]
	v_sub_u32_e32 v43, 29, v45
	v_cmp_eq_u32_e64 s[0:1], 0, v44
	v_and_b32_e32 v42, 7, v42
	v_lshlrev_b32_e32 v10, 8, v10
	v_cndmask_b32_e64 v43, v44, v43, s[0:1]
	v_cndmask_b32_e64 v41, v41, v42, s[0:1]
	v_lshl_add_u32 v42, v43, 10, v32
	v_and_or_b32 v10, v10, s38, v42
	v_lshl_or_b32 v10, v41, 7, v10
	v_cvt_f32_f16_e32 v41, v10
.LBB265_241:                            ;   in Loop: Header=BB265_212 Depth=1
	s_or_b64 exec, exec, s[2:3]
	v_lshrrev_b32_e32 v10, 24, v23
	v_cmp_lt_i16_e64 s[0:1], s36, v10
	s_mov_b64 s[2:3], 0
                                        ; implicit-def: $sgpr22
	s_and_saveexec_b64 s[18:19], s[0:1]
	s_xor_b64 s[18:19], exec, s[18:19]
	s_cbranch_execnz .LBB265_344
; %bb.242:                              ;   in Loop: Header=BB265_212 Depth=1
	s_or_saveexec_b64 s[18:19], s[18:19]
	v_mov_b32_e32 v42, s22
	s_xor_b64 exec, exec, s[18:19]
	s_cbranch_execnz .LBB265_347
.LBB265_243:                            ;   in Loop: Header=BB265_212 Depth=1
	s_or_b64 exec, exec, s[18:19]
	s_and_saveexec_b64 s[18:19], s[2:3]
	s_cbranch_execz .LBB265_245
.LBB265_244:                            ;   in Loop: Header=BB265_212 Depth=1
	v_bfe_u32 v44, v23, 24, 3
	v_ffbh_u32_e32 v42, v44
	v_min_u32_e32 v45, 32, v42
	v_subrev_u32_e32 v42, 28, v45
	v_bfe_u32 v23, v23, 27, 4
	v_lshlrev_b64 v[42:43], v42, v[10:11]
	v_sub_u32_e32 v43, 29, v45
	v_cmp_eq_u32_e64 s[0:1], 0, v23
	v_and_b32_e32 v42, 7, v42
	v_lshlrev_b32_e32 v10, 8, v10
	v_cndmask_b32_e64 v23, v23, v43, s[0:1]
	v_lshl_add_u32 v23, v23, 10, v32
	v_cndmask_b32_e64 v42, v44, v42, s[0:1]
	v_and_or_b32 v10, v10, s38, v23
	v_lshl_or_b32 v10, v42, 7, v10
	v_cvt_f32_f16_e32 v42, v10
.LBB265_245:                            ;   in Loop: Header=BB265_212 Depth=1
	s_or_b64 exec, exec, s[18:19]
	s_waitcnt vmcnt(0)
	v_pk_mul_f32 v[26:27], v[20:21], v[26:27] op_sel_hi:[0,1]
	v_pk_mul_f32 v[24:25], v[20:21], v[24:25] op_sel_hi:[0,1]
	v_cvt_f16_f32_e32 v10, v27
	v_cvt_f16_f32_e32 v23, v26
	;; [unrolled: 1-line block ×4, first 2 shown]
	v_fma_mixlo_f16 v22, v20, v22, 0
	v_pack_b32_f16 v23, v23, v10
	v_add_u32_e32 v26, v30, v1
	v_pack_b32_f16 v24, v24, v25
	v_perm_b32 v10, v24, v23, s40
	v_perm_b32 v23, v24, v23, s41
	v_fma_mixlo_f16 v24, v20, v35, 0
	v_lshlrev_b32_e32 v24, 16, v24
	v_or_b32_sdwa v22, v24, v22 dst_sel:DWORD dst_unused:UNUSED_PAD src0_sel:DWORD src1_sel:WORD_0
	v_fma_mixlo_f16 v24, v20, v41, 0
	v_fma_mixlo_f16 v20, v20, v42, 0
	v_lshlrev_b32_e32 v20, 16, v20
	v_cmp_eq_u32_e64 s[0:1], s26, v6
	v_or_b32_sdwa v20, v20, v24 dst_sel:DWORD dst_unused:UNUSED_PAD src0_sel:DWORD src1_sel:WORD_0
	s_and_saveexec_b64 s[18:19], s[0:1]
	s_cbranch_execz .LBB265_247
; %bb.246:                              ;   in Loop: Header=BB265_212 Depth=1
	v_add_u32_e32 v25, 1, v26
	v_lshrrev_b32_e32 v27, 16, v23
	v_cmp_gt_i32_e64 s[2:3], s34, v25
	v_lshrrev_b32_e32 v35, 16, v10
	v_lshrrev_b32_e32 v20, 16, v20
	v_cndmask_b32_e64 v25, 0, v27, s[2:3]
	v_cmp_gt_i32_e64 s[2:3], s33, v26
	v_or_b32_e32 v27, 2, v26
	s_nop 0
	v_cndmask_b32_e64 v23, 0, v23, s[2:3]
	v_perm_b32 v23, v25, v23, s43
	v_or_b32_e32 v25, 3, v26
	v_cmp_gt_i32_e64 s[2:3], s34, v25
	s_nop 1
	v_cndmask_b32_e64 v25, 0, v35, s[2:3]
	v_cmp_gt_i32_e64 s[2:3], s33, v27
	v_or_b32_e32 v27, 4, v26
	v_lshrrev_b32_e32 v35, 16, v22
	v_cndmask_b32_e64 v10, 0, v10, s[2:3]
	v_perm_b32 v10, v25, v10, s43
	v_or_b32_e32 v25, 5, v26
	v_cmp_gt_i32_e64 s[2:3], s34, v25
	s_nop 1
	v_cndmask_b32_e64 v25, 0, v35, s[2:3]
	v_cmp_gt_i32_e64 s[2:3], s33, v27
	v_or_b32_e32 v27, 6, v26
	s_nop 0
	v_cndmask_b32_e64 v22, 0, v22, s[2:3]
	v_perm_b32 v22, v25, v22, s43
	v_or_b32_e32 v25, 7, v26
	v_cmp_gt_i32_e64 s[2:3], s34, v25
	s_nop 1
	v_cndmask_b32_e64 v20, 0, v20, s[2:3]
	v_cmp_gt_i32_e64 s[2:3], s33, v27
	s_nop 1
	v_cndmask_b32_e64 v24, 0, v24, s[2:3]
	v_perm_b32 v20, v20, v24, s43
.LBB265_247:                            ;   in Loop: Header=BB265_212 Depth=1
	s_or_b64 exec, exec, s[18:19]
	v_and_b32_e32 v21, 0xffff, v21
	v_lshl_or_b32 v35, v33, 16, v21
	v_and_b32_e32 v21, 0xffff, v34
	v_lshl_or_b32 v34, v36, 16, v21
	;; [unrolled: 2-line block ×4, first 2 shown]
	;;#ASMSTART
	v_pk_mul_f16 v21, v35, v23;

	;;#ASMEND
	;;#ASMSTART
	v_pk_mul_f16 v10, v34, v10;

	;;#ASMEND
	;; [unrolled: 4-line block ×4, first 2 shown]
	s_mov_b64 s[2:3], 0
	;;#ASMSTART
	v_pk_add_f16 v10, v21, v10;

	;;#ASMEND
                                        ; implicit-def: $sgpr22
	s_nop 0
	;;#ASMSTART
	v_pk_add_f16 v10, v10, v22;

	;;#ASMEND
	s_nop 0
	;;#ASMSTART
	v_pk_add_f16 v10, v10, v20;

	;;#ASMEND
	s_nop 0
	v_lshrrev_b32_e32 v20, 16, v10
	v_and_b32_e32 v10, 0xffff, v10
	;;#ASMSTART
	v_cvt_f32_f16 v21, v10;
	;;#ASMEND
	;;#ASMSTART
	v_cvt_f32_f16 v36, v20;
	;;#ASMEND
	global_load_dwordx2 v[22:23], v[18:19], off offset:512
	global_load_dword v20, v11, s[14:15]
	s_waitcnt vmcnt(1)
	v_cmp_gt_i16_sdwa s[18:19], v22, s36 src0_sel:BYTE_0 src1_sel:DWORD
	s_and_saveexec_b64 s[20:21], s[18:19]
	s_xor_b64 s[18:19], exec, s[20:21]
	s_cbranch_execnz .LBB265_348
; %bb.248:                              ;   in Loop: Header=BB265_212 Depth=1
	s_or_saveexec_b64 s[18:19], s[18:19]
	v_mov_b32_e32 v18, s22
	s_xor_b64 exec, exec, s[18:19]
	s_cbranch_execnz .LBB265_351
.LBB265_249:                            ;   in Loop: Header=BB265_212 Depth=1
	s_or_b64 exec, exec, s[18:19]
	s_and_saveexec_b64 s[18:19], s[2:3]
	s_cbranch_execz .LBB265_251
.LBB265_250:                            ;   in Loop: Header=BB265_212 Depth=1
	v_and_b32_e32 v10, 7, v22
	v_ffbh_u32_e32 v10, v10
	v_bfe_u32 v18, v22, 3, 4
	v_min_u32_e32 v10, 32, v10
	v_subrev_u32_e32 v19, 28, v10
	v_sub_u32_e32 v10, 29, v10
	v_cmp_eq_u32_e64 s[2:3], 0, v18
	s_nop 1
	v_cndmask_b32_e64 v10, v18, v10, s[2:3]
	v_cndmask_b32_e64 v18, 0, v19, s[2:3]
	v_lshlrev_b64 v[18:19], v18, v[22:23]
	v_lshlrev_b32_e32 v19, 8, v22
	v_lshl_add_u32 v10, v10, 10, v32
	v_lshlrev_b32_e32 v18, 7, v18
	v_and_or_b32 v10, v19, s38, v10
	v_and_or_b32 v10, v18, s39, v10
	v_cvt_f32_f16_e32 v18, v10
.LBB265_251:                            ;   in Loop: Header=BB265_212 Depth=1
	s_or_b64 exec, exec, s[18:19]
	v_lshrrev_b16_e32 v10, 8, v22
	v_cmp_lt_i16_e64 s[2:3], s36, v10
	s_mov_b64 s[18:19], 0
                                        ; implicit-def: $sgpr24
	s_and_saveexec_b64 s[20:21], s[2:3]
	s_xor_b64 s[20:21], exec, s[20:21]
	s_cbranch_execnz .LBB265_352
; %bb.252:                              ;   in Loop: Header=BB265_212 Depth=1
	s_or_saveexec_b64 s[20:21], s[20:21]
	v_mov_b32_e32 v24, s24
	s_xor_b64 exec, exec, s[20:21]
	s_cbranch_execnz .LBB265_355
.LBB265_253:                            ;   in Loop: Header=BB265_212 Depth=1
	s_or_b64 exec, exec, s[20:21]
	s_and_saveexec_b64 s[20:21], s[18:19]
	s_cbranch_execz .LBB265_255
.LBB265_254:                            ;   in Loop: Header=BB265_212 Depth=1
	v_and_b32_e32 v19, 7, v10
	v_ffbh_u32_e32 v24, v19
	v_min_u32_e32 v38, 32, v24
	v_subrev_u32_e32 v24, 28, v38
	v_bfe_u32 v37, v10, 3, 4
	v_lshlrev_b64 v[24:25], v24, v[10:11]
	v_sub_u32_e32 v25, 29, v38
	v_cmp_eq_u32_e64 s[2:3], 0, v37
	v_and_b32_e32 v24, 7, v24
	v_lshlrev_b32_e32 v10, 8, v10
	v_cndmask_b32_e64 v25, v37, v25, s[2:3]
	v_cndmask_b32_e64 v19, v19, v24, s[2:3]
	v_lshl_add_u32 v24, v25, 10, v32
	v_and_or_b32 v10, v10, s38, v24
	v_lshl_or_b32 v10, v19, 7, v10
	v_cvt_f32_f16_e32 v24, v10
.LBB265_255:                            ;   in Loop: Header=BB265_212 Depth=1
	s_or_b64 exec, exec, s[20:21]
	v_lshrrev_b32_e32 v10, 16, v22
	v_cmp_gt_i16_sdwa s[18:19], v10, s36 src0_sel:BYTE_0 src1_sel:DWORD
	s_mov_b64 s[2:3], 0
                                        ; implicit-def: $sgpr22
	s_and_saveexec_b64 s[20:21], s[18:19]
	s_xor_b64 s[18:19], exec, s[20:21]
	s_cbranch_execnz .LBB265_356
; %bb.256:                              ;   in Loop: Header=BB265_212 Depth=1
	s_or_saveexec_b64 s[18:19], s[18:19]
	v_mov_b32_e32 v19, s22
	s_xor_b64 exec, exec, s[18:19]
	s_cbranch_execnz .LBB265_359
.LBB265_257:                            ;   in Loop: Header=BB265_212 Depth=1
	s_or_b64 exec, exec, s[18:19]
	s_and_saveexec_b64 s[18:19], s[2:3]
	s_cbranch_execz .LBB265_259
.LBB265_258:                            ;   in Loop: Header=BB265_212 Depth=1
	v_bfe_u32 v19, v22, 16, 3
	v_ffbh_u32_e32 v37, v19
	v_bfe_u32 v25, v22, 19, 4
	v_min_u32_e32 v37, 32, v37
	v_subrev_u32_e32 v38, 28, v37
	v_sub_u32_e32 v37, 29, v37
	v_cmp_eq_u32_e64 s[2:3], 0, v25
	v_lshlrev_b64 v[38:39], v38, v[10:11]
	v_and_b32_e32 v38, 7, v38
	v_cndmask_b32_e64 v25, v25, v37, s[2:3]
	v_lshlrev_b32_e32 v10, 8, v10
	v_lshl_add_u32 v25, v25, 10, v32
	v_cndmask_b32_e64 v19, v19, v38, s[2:3]
	v_and_or_b32 v10, v10, s38, v25
	v_lshl_or_b32 v10, v19, 7, v10
	v_cvt_f32_f16_e32 v19, v10
.LBB265_259:                            ;   in Loop: Header=BB265_212 Depth=1
	s_or_b64 exec, exec, s[18:19]
	v_lshrrev_b32_e32 v10, 24, v22
	v_cmp_lt_i16_e64 s[2:3], s36, v10
	s_mov_b64 s[18:19], 0
                                        ; implicit-def: $sgpr24
	s_and_saveexec_b64 s[20:21], s[2:3]
	s_xor_b64 s[20:21], exec, s[20:21]
	s_cbranch_execnz .LBB265_360
; %bb.260:                              ;   in Loop: Header=BB265_212 Depth=1
	s_or_saveexec_b64 s[20:21], s[20:21]
	v_mov_b32_e32 v25, s24
	s_xor_b64 exec, exec, s[20:21]
	s_cbranch_execnz .LBB265_363
.LBB265_261:                            ;   in Loop: Header=BB265_212 Depth=1
	s_or_b64 exec, exec, s[20:21]
	s_and_saveexec_b64 s[20:21], s[18:19]
	s_cbranch_execz .LBB265_263
.LBB265_262:                            ;   in Loop: Header=BB265_212 Depth=1
	v_bfe_u32 v25, v22, 24, 3
	v_ffbh_u32_e32 v37, v25
	v_bfe_u32 v22, v22, 27, 4
	v_min_u32_e32 v37, 32, v37
	v_subrev_u32_e32 v38, 28, v37
	v_sub_u32_e32 v37, 29, v37
	v_cmp_eq_u32_e64 s[2:3], 0, v22
	v_lshlrev_b64 v[38:39], v38, v[10:11]
	v_and_b32_e32 v38, 7, v38
	v_cndmask_b32_e64 v22, v22, v37, s[2:3]
	v_lshlrev_b32_e32 v10, 8, v10
	v_lshl_add_u32 v22, v22, 10, v32
	v_cndmask_b32_e64 v25, v25, v38, s[2:3]
	v_and_or_b32 v10, v10, s38, v22
	v_lshl_or_b32 v10, v25, 7, v10
	v_cvt_f32_f16_e32 v25, v10
.LBB265_263:                            ;   in Loop: Header=BB265_212 Depth=1
	s_or_b64 exec, exec, s[20:21]
	v_cmp_gt_i16_sdwa s[18:19], v23, s36 src0_sel:BYTE_0 src1_sel:DWORD
	s_mov_b64 s[2:3], 0
                                        ; implicit-def: $sgpr22
	s_and_saveexec_b64 s[20:21], s[18:19]
	s_xor_b64 s[18:19], exec, s[20:21]
	s_cbranch_execnz .LBB265_364
; %bb.264:                              ;   in Loop: Header=BB265_212 Depth=1
	s_or_saveexec_b64 s[18:19], s[18:19]
	v_mov_b32_e32 v22, s22
	s_xor_b64 exec, exec, s[18:19]
	s_cbranch_execnz .LBB265_367
.LBB265_265:                            ;   in Loop: Header=BB265_212 Depth=1
	s_or_b64 exec, exec, s[18:19]
	v_mov_b32_e32 v10, v23
	s_and_saveexec_b64 s[18:19], s[2:3]
	s_cbranch_execz .LBB265_267
.LBB265_266:                            ;   in Loop: Header=BB265_212 Depth=1
	v_and_b32_e32 v22, 7, v23
	v_ffbh_u32_e32 v22, v22
	v_bfe_u32 v37, v23, 3, 4
	v_min_u32_e32 v22, 32, v22
	v_subrev_u32_e32 v38, 28, v22
	v_sub_u32_e32 v22, 29, v22
	v_cmp_eq_u32_e64 s[2:3], 0, v37
	s_nop 1
	v_cndmask_b32_e64 v22, v37, v22, s[2:3]
	v_cndmask_b32_e64 v37, 0, v38, s[2:3]
	v_lshlrev_b64 v[38:39], v37, v[10:11]
	v_lshlrev_b32_e32 v37, 7, v38
	v_lshlrev_b32_e32 v38, 8, v23
	v_lshl_add_u32 v22, v22, 10, v32
	v_and_or_b32 v22, v38, s38, v22
	v_and_or_b32 v22, v37, s39, v22
	v_cvt_f32_f16_e32 v22, v22
.LBB265_267:                            ;   in Loop: Header=BB265_212 Depth=1
	s_or_b64 exec, exec, s[18:19]
	v_lshrrev_b16_e32 v10, 8, v10
	v_cmp_lt_i16_e64 s[2:3], s36, v10
	s_mov_b64 s[18:19], 0
                                        ; implicit-def: $sgpr24
	s_and_saveexec_b64 s[20:21], s[2:3]
	s_xor_b64 s[20:21], exec, s[20:21]
	s_cbranch_execnz .LBB265_368
; %bb.268:                              ;   in Loop: Header=BB265_212 Depth=1
	s_or_saveexec_b64 s[20:21], s[20:21]
	v_mov_b32_e32 v37, s24
	s_xor_b64 exec, exec, s[20:21]
	s_cbranch_execnz .LBB265_371
.LBB265_269:                            ;   in Loop: Header=BB265_212 Depth=1
	s_or_b64 exec, exec, s[20:21]
	s_and_saveexec_b64 s[20:21], s[18:19]
	s_cbranch_execz .LBB265_271
.LBB265_270:                            ;   in Loop: Header=BB265_212 Depth=1
	v_and_b32_e32 v37, 7, v10
	v_ffbh_u32_e32 v38, v37
	v_min_u32_e32 v41, 32, v38
	v_subrev_u32_e32 v38, 28, v41
	v_bfe_u32 v40, v10, 3, 4
	v_lshlrev_b64 v[38:39], v38, v[10:11]
	v_sub_u32_e32 v39, 29, v41
	v_cmp_eq_u32_e64 s[2:3], 0, v40
	v_and_b32_e32 v38, 7, v38
	v_lshlrev_b32_e32 v10, 8, v10
	v_cndmask_b32_e64 v39, v40, v39, s[2:3]
	v_cndmask_b32_e64 v37, v37, v38, s[2:3]
	v_lshl_add_u32 v38, v39, 10, v32
	v_and_or_b32 v10, v10, s38, v38
	v_lshl_or_b32 v10, v37, 7, v10
	v_cvt_f32_f16_e32 v37, v10
.LBB265_271:                            ;   in Loop: Header=BB265_212 Depth=1
	s_or_b64 exec, exec, s[20:21]
	v_lshrrev_b32_e32 v10, 16, v23
	v_cmp_gt_i16_sdwa s[18:19], v10, s36 src0_sel:BYTE_0 src1_sel:DWORD
	s_mov_b64 s[2:3], 0
                                        ; implicit-def: $sgpr22
	s_and_saveexec_b64 s[20:21], s[18:19]
	s_xor_b64 s[18:19], exec, s[20:21]
	s_cbranch_execnz .LBB265_372
; %bb.272:                              ;   in Loop: Header=BB265_212 Depth=1
	s_or_saveexec_b64 s[18:19], s[18:19]
	v_mov_b32_e32 v38, s22
	s_xor_b64 exec, exec, s[18:19]
	s_cbranch_execnz .LBB265_375
.LBB265_273:                            ;   in Loop: Header=BB265_212 Depth=1
	s_or_b64 exec, exec, s[18:19]
	s_and_saveexec_b64 s[18:19], s[2:3]
	s_cbranch_execz .LBB265_275
.LBB265_274:                            ;   in Loop: Header=BB265_212 Depth=1
	v_bfe_u32 v40, v23, 16, 3
	v_ffbh_u32_e32 v38, v40
	v_min_u32_e32 v42, 32, v38
	v_subrev_u32_e32 v38, 28, v42
	v_bfe_u32 v41, v23, 19, 4
	v_lshlrev_b64 v[38:39], v38, v[10:11]
	v_sub_u32_e32 v39, 29, v42
	v_cmp_eq_u32_e64 s[2:3], 0, v41
	v_and_b32_e32 v38, 7, v38
	v_lshlrev_b32_e32 v10, 8, v10
	v_cndmask_b32_e64 v39, v41, v39, s[2:3]
	v_lshl_add_u32 v39, v39, 10, v32
	v_cndmask_b32_e64 v38, v40, v38, s[2:3]
	v_and_or_b32 v10, v10, s38, v39
	v_lshl_or_b32 v10, v38, 7, v10
	v_cvt_f32_f16_e32 v38, v10
.LBB265_275:                            ;   in Loop: Header=BB265_212 Depth=1
	s_or_b64 exec, exec, s[18:19]
	v_lshrrev_b32_e32 v10, 24, v23
	v_cmp_lt_i16_e64 s[2:3], s36, v10
	s_mov_b64 s[18:19], 0
                                        ; implicit-def: $sgpr24
	s_and_saveexec_b64 s[20:21], s[2:3]
	s_xor_b64 s[20:21], exec, s[20:21]
	s_cbranch_execnz .LBB265_376
; %bb.276:                              ;   in Loop: Header=BB265_212 Depth=1
	s_or_saveexec_b64 s[20:21], s[20:21]
	v_mov_b32_e32 v39, s24
	s_xor_b64 exec, exec, s[20:21]
	s_cbranch_execnz .LBB265_379
.LBB265_277:                            ;   in Loop: Header=BB265_212 Depth=1
	s_or_b64 exec, exec, s[20:21]
	s_and_saveexec_b64 s[20:21], s[18:19]
	s_cbranch_execz .LBB265_279
.LBB265_278:                            ;   in Loop: Header=BB265_212 Depth=1
	v_bfe_u32 v39, v23, 24, 3
	v_ffbh_u32_e32 v40, v39
	v_min_u32_e32 v42, 32, v40
	v_subrev_u32_e32 v40, 28, v42
	v_bfe_u32 v23, v23, 27, 4
	v_lshlrev_b64 v[40:41], v40, v[10:11]
	v_sub_u32_e32 v41, 29, v42
	v_cmp_eq_u32_e64 s[2:3], 0, v23
	v_and_b32_e32 v40, 7, v40
	v_lshlrev_b32_e32 v10, 8, v10
	v_cndmask_b32_e64 v23, v23, v41, s[2:3]
	v_lshl_add_u32 v23, v23, 10, v32
	v_cndmask_b32_e64 v39, v39, v40, s[2:3]
	v_and_or_b32 v10, v10, s38, v23
	v_lshl_or_b32 v10, v39, 7, v10
	v_cvt_f32_f16_e32 v39, v10
.LBB265_279:                            ;   in Loop: Header=BB265_212 Depth=1
	s_or_b64 exec, exec, s[20:21]
	s_waitcnt vmcnt(0)
	v_pk_mul_f32 v[18:19], v[20:21], v[18:19] op_sel_hi:[0,1]
	v_cvt_f16_f32_e32 v19, v19
	v_cvt_f16_f32_e32 v18, v18
	v_pk_mul_f32 v[24:25], v[20:21], v[24:25] op_sel_hi:[0,1]
	v_cvt_f16_f32_e32 v10, v25
	v_cvt_f16_f32_e32 v23, v24
	v_pack_b32_f16 v18, v18, v19
	v_fma_mixlo_f16 v19, v20, v37, 0
	v_lshlrev_b32_e32 v19, 16, v19
	v_fma_mixlo_f16 v22, v20, v22, 0
	v_or_b32_sdwa v19, v19, v22 dst_sel:DWORD dst_unused:UNUSED_PAD src0_sel:DWORD src1_sel:WORD_0
	v_fma_mixlo_f16 v22, v20, v38, 0
	v_fma_mixlo_f16 v20, v20, v39, 0
	v_pack_b32_f16 v23, v23, v10
	v_lshlrev_b32_e32 v20, 16, v20
	v_perm_b32 v10, v18, v23, s40
	v_perm_b32 v18, v18, v23, s41
	v_or_b32_sdwa v20, v20, v22 dst_sel:DWORD dst_unused:UNUSED_PAD src0_sel:DWORD src1_sel:WORD_0
	s_and_saveexec_b64 s[18:19], s[0:1]
	s_cbranch_execz .LBB265_281
; %bb.280:                              ;   in Loop: Header=BB265_212 Depth=1
	v_add_u32_e32 v23, 1, v26
	v_lshrrev_b32_e32 v24, 16, v18
	v_cmp_gt_i32_e64 s[2:3], s34, v23
	v_lshrrev_b32_e32 v25, 16, v10
	v_lshrrev_b32_e32 v20, 16, v20
	v_cndmask_b32_e64 v23, 0, v24, s[2:3]
	v_cmp_gt_i32_e64 s[2:3], s33, v26
	v_or_b32_e32 v24, 2, v26
	s_nop 0
	v_cndmask_b32_e64 v18, 0, v18, s[2:3]
	v_perm_b32 v18, v23, v18, s43
	v_or_b32_e32 v23, 3, v26
	v_cmp_gt_i32_e64 s[2:3], s34, v23
	s_nop 1
	v_cndmask_b32_e64 v23, 0, v25, s[2:3]
	v_cmp_gt_i32_e64 s[2:3], s33, v24
	v_or_b32_e32 v24, 4, v26
	v_lshrrev_b32_e32 v25, 16, v19
	v_cndmask_b32_e64 v10, 0, v10, s[2:3]
	v_perm_b32 v10, v23, v10, s43
	v_or_b32_e32 v23, 5, v26
	v_cmp_gt_i32_e64 s[2:3], s34, v23
	s_nop 1
	v_cndmask_b32_e64 v23, 0, v25, s[2:3]
	v_cmp_gt_i32_e64 s[2:3], s33, v24
	v_or_b32_e32 v24, 6, v26
	s_nop 0
	v_cndmask_b32_e64 v19, 0, v19, s[2:3]
	v_perm_b32 v19, v23, v19, s43
	v_or_b32_e32 v23, 7, v26
	v_cmp_gt_i32_e64 s[2:3], s34, v23
	s_nop 1
	v_cndmask_b32_e64 v20, 0, v20, s[2:3]
	v_cmp_gt_i32_e64 s[2:3], s33, v24
	s_nop 1
	v_cndmask_b32_e64 v22, 0, v22, s[2:3]
	v_perm_b32 v20, v20, v22, s43
.LBB265_281:                            ;   in Loop: Header=BB265_212 Depth=1
	s_or_b64 exec, exec, s[18:19]
	;;#ASMSTART
	v_pk_mul_f16 v18, v35, v18;

	;;#ASMEND
	;;#ASMSTART
	v_pk_mul_f16 v10, v34, v10;

	;;#ASMEND
	;; [unrolled: 4-line block ×4, first 2 shown]
	v_add_f32_e32 v21, v21, v36
	;;#ASMSTART
	v_pk_add_f16 v10, v18, v10;

	;;#ASMEND
	v_add_f32_e32 v2, v2, v21
	;;#ASMSTART
	v_pk_add_f16 v10, v10, v19;

	;;#ASMEND
	s_nop 0
	;;#ASMSTART
	v_pk_add_f16 v10, v10, v20;

	;;#ASMEND
	s_nop 0
	v_lshrrev_b32_e32 v18, 16, v10
	v_and_b32_e32 v10, 0xffff, v10
	;;#ASMSTART
	v_cvt_f32_f16 v10, v10;
	;;#ASMEND
	;;#ASMSTART
	v_cvt_f32_f16 v18, v18;
	;;#ASMEND
	s_nop 0
	v_add_f32_e32 v10, v10, v18
	v_add_f32_e32 v3, v3, v10
	s_and_saveexec_b64 s[18:19], vcc
	s_cbranch_execz .LBB265_210
; %bb.282:                              ;   in Loop: Header=BB265_212 Depth=1
	v_lshl_add_u64 v[20:21], v[16:17], 0, v[12:13]
	global_load_dwordx2 v[18:19], v[20:21], off
	global_load_dword v16, v11, s[14:15]
	s_mov_b64 s[2:3], 0
                                        ; implicit-def: $sgpr24
	s_waitcnt vmcnt(1)
	v_cmp_gt_i16_sdwa s[20:21], v18, s36 src0_sel:BYTE_0 src1_sel:DWORD
	s_and_saveexec_b64 s[22:23], s[20:21]
	s_xor_b64 s[20:21], exec, s[22:23]
	s_cbranch_execnz .LBB265_380
; %bb.283:                              ;   in Loop: Header=BB265_212 Depth=1
	s_or_saveexec_b64 s[20:21], s[20:21]
	v_mov_b32_e32 v20, s24
	s_xor_b64 exec, exec, s[20:21]
	s_cbranch_execnz .LBB265_383
.LBB265_284:                            ;   in Loop: Header=BB265_212 Depth=1
	s_or_b64 exec, exec, s[20:21]
	s_and_saveexec_b64 s[20:21], s[2:3]
	s_cbranch_execz .LBB265_286
.LBB265_285:                            ;   in Loop: Header=BB265_212 Depth=1
	v_and_b32_e32 v10, 7, v18
	v_ffbh_u32_e32 v10, v10
	v_bfe_u32 v17, v18, 3, 4
	v_min_u32_e32 v10, 32, v10
	v_subrev_u32_e32 v20, 28, v10
	v_sub_u32_e32 v10, 29, v10
	v_cmp_eq_u32_e64 s[2:3], 0, v17
	s_nop 1
	v_cndmask_b32_e64 v10, v17, v10, s[2:3]
	v_cndmask_b32_e64 v17, 0, v20, s[2:3]
	v_lshlrev_b64 v[20:21], v17, v[18:19]
	v_lshlrev_b32_e32 v17, 7, v20
	v_lshlrev_b32_e32 v20, 8, v18
	v_lshl_add_u32 v10, v10, 10, v32
	v_and_or_b32 v10, v20, s38, v10
	v_and_or_b32 v10, v17, s39, v10
	v_cvt_f32_f16_e32 v20, v10
.LBB265_286:                            ;   in Loop: Header=BB265_212 Depth=1
	s_or_b64 exec, exec, s[20:21]
	v_lshrrev_b16_e32 v10, 8, v18
	v_cmp_lt_i16_e64 s[2:3], s36, v10
	s_mov_b64 s[20:21], 0
                                        ; implicit-def: $sgpr44
	s_and_saveexec_b64 s[22:23], s[2:3]
	s_xor_b64 s[22:23], exec, s[22:23]
	s_cbranch_execnz .LBB265_384
; %bb.287:                              ;   in Loop: Header=BB265_212 Depth=1
	s_or_saveexec_b64 s[22:23], s[22:23]
	v_mov_b32_e32 v22, s44
	s_xor_b64 exec, exec, s[22:23]
	s_cbranch_execnz .LBB265_387
.LBB265_288:                            ;   in Loop: Header=BB265_212 Depth=1
	s_or_b64 exec, exec, s[22:23]
	s_and_saveexec_b64 s[22:23], s[20:21]
	s_cbranch_execz .LBB265_290
.LBB265_289:                            ;   in Loop: Header=BB265_212 Depth=1
	v_and_b32_e32 v17, 7, v10
	v_ffbh_u32_e32 v22, v17
	v_min_u32_e32 v24, 32, v22
	v_subrev_u32_e32 v22, 28, v24
	v_bfe_u32 v21, v10, 3, 4
	v_lshlrev_b64 v[22:23], v22, v[10:11]
	v_sub_u32_e32 v23, 29, v24
	v_cmp_eq_u32_e64 s[2:3], 0, v21
	v_and_b32_e32 v22, 7, v22
	v_lshlrev_b32_e32 v10, 8, v10
	v_cndmask_b32_e64 v21, v21, v23, s[2:3]
	v_lshl_add_u32 v21, v21, 10, v32
	v_cndmask_b32_e64 v17, v17, v22, s[2:3]
	v_and_or_b32 v10, v10, s38, v21
	v_lshl_or_b32 v10, v17, 7, v10
	v_cvt_f32_f16_e32 v22, v10
.LBB265_290:                            ;   in Loop: Header=BB265_212 Depth=1
	s_or_b64 exec, exec, s[22:23]
	v_lshrrev_b32_e32 v10, 16, v18
	v_cmp_gt_i16_sdwa s[20:21], v10, s36 src0_sel:BYTE_0 src1_sel:DWORD
	s_mov_b64 s[2:3], 0
                                        ; implicit-def: $sgpr24
	s_and_saveexec_b64 s[22:23], s[20:21]
	s_xor_b64 s[20:21], exec, s[22:23]
	s_cbranch_execnz .LBB265_388
; %bb.291:                              ;   in Loop: Header=BB265_212 Depth=1
	s_or_saveexec_b64 s[20:21], s[20:21]
	v_mov_b32_e32 v21, s24
	s_xor_b64 exec, exec, s[20:21]
	s_cbranch_execnz .LBB265_391
.LBB265_292:                            ;   in Loop: Header=BB265_212 Depth=1
	s_or_b64 exec, exec, s[20:21]
	s_and_saveexec_b64 s[20:21], s[2:3]
	s_cbranch_execz .LBB265_294
.LBB265_293:                            ;   in Loop: Header=BB265_212 Depth=1
	v_bfe_u32 v17, v18, 16, 3
	v_ffbh_u32_e32 v23, v17
	v_bfe_u32 v21, v18, 19, 4
	v_min_u32_e32 v23, 32, v23
	v_subrev_u32_e32 v24, 28, v23
	v_sub_u32_e32 v23, 29, v23
	v_cmp_eq_u32_e64 s[2:3], 0, v21
	v_lshlrev_b64 v[24:25], v24, v[10:11]
	v_and_b32_e32 v24, 7, v24
	v_cndmask_b32_e64 v21, v21, v23, s[2:3]
	v_lshlrev_b32_e32 v10, 8, v10
	v_lshl_add_u32 v21, v21, 10, v32
	v_cndmask_b32_e64 v17, v17, v24, s[2:3]
	v_and_or_b32 v10, v10, s38, v21
	v_lshl_or_b32 v10, v17, 7, v10
	v_cvt_f32_f16_e32 v21, v10
.LBB265_294:                            ;   in Loop: Header=BB265_212 Depth=1
	s_or_b64 exec, exec, s[20:21]
	v_lshrrev_b32_e32 v10, 24, v18
	v_cmp_lt_i16_e64 s[2:3], s36, v10
	s_mov_b64 s[20:21], 0
                                        ; implicit-def: $sgpr44
	s_and_saveexec_b64 s[22:23], s[2:3]
	s_xor_b64 s[22:23], exec, s[22:23]
	s_cbranch_execnz .LBB265_392
; %bb.295:                              ;   in Loop: Header=BB265_212 Depth=1
	s_or_saveexec_b64 s[22:23], s[22:23]
	v_mov_b32_e32 v23, s44
	s_xor_b64 exec, exec, s[22:23]
	s_cbranch_execnz .LBB265_395
.LBB265_296:                            ;   in Loop: Header=BB265_212 Depth=1
	s_or_b64 exec, exec, s[22:23]
	s_and_saveexec_b64 s[22:23], s[20:21]
	s_cbranch_execz .LBB265_298
.LBB265_297:                            ;   in Loop: Header=BB265_212 Depth=1
	v_bfe_u32 v17, v18, 24, 3
	v_ffbh_u32_e32 v23, v17
	v_bfe_u32 v18, v18, 27, 4
	v_min_u32_e32 v23, 32, v23
	v_subrev_u32_e32 v24, 28, v23
	v_sub_u32_e32 v23, 29, v23
	v_cmp_eq_u32_e64 s[2:3], 0, v18
	v_lshlrev_b64 v[24:25], v24, v[10:11]
	v_and_b32_e32 v24, 7, v24
	v_cndmask_b32_e64 v18, v18, v23, s[2:3]
	v_lshlrev_b32_e32 v10, 8, v10
	v_lshl_add_u32 v18, v18, 10, v32
	v_cndmask_b32_e64 v17, v17, v24, s[2:3]
	v_and_or_b32 v10, v10, s38, v18
	v_lshl_or_b32 v10, v17, 7, v10
	v_cvt_f32_f16_e32 v23, v10
.LBB265_298:                            ;   in Loop: Header=BB265_212 Depth=1
	s_or_b64 exec, exec, s[22:23]
	v_cmp_gt_i16_sdwa s[20:21], v19, s36 src0_sel:BYTE_0 src1_sel:DWORD
	s_mov_b64 s[2:3], 0
                                        ; implicit-def: $sgpr24
	s_and_saveexec_b64 s[22:23], s[20:21]
	s_xor_b64 s[20:21], exec, s[22:23]
	s_cbranch_execnz .LBB265_396
; %bb.299:                              ;   in Loop: Header=BB265_212 Depth=1
	s_or_saveexec_b64 s[20:21], s[20:21]
	v_mov_b32_e32 v17, s24
	s_xor_b64 exec, exec, s[20:21]
	s_cbranch_execnz .LBB265_399
.LBB265_300:                            ;   in Loop: Header=BB265_212 Depth=1
	s_or_b64 exec, exec, s[20:21]
	v_mov_b32_e32 v10, v19
	s_and_saveexec_b64 s[20:21], s[2:3]
	s_cbranch_execz .LBB265_302
.LBB265_301:                            ;   in Loop: Header=BB265_212 Depth=1
	v_and_b32_e32 v17, 7, v19
	v_ffbh_u32_e32 v17, v17
	v_bfe_u32 v18, v19, 3, 4
	v_min_u32_e32 v17, 32, v17
	v_subrev_u32_e32 v24, 28, v17
	v_sub_u32_e32 v17, 29, v17
	v_cmp_eq_u32_e64 s[2:3], 0, v18
	s_nop 1
	v_cndmask_b32_e64 v17, v18, v17, s[2:3]
	v_cndmask_b32_e64 v18, 0, v24, s[2:3]
	v_lshlrev_b64 v[24:25], v18, v[10:11]
	v_lshlrev_b32_e32 v18, 7, v24
	v_lshlrev_b32_e32 v24, 8, v19
	v_lshl_add_u32 v17, v17, 10, v32
	v_and_or_b32 v17, v24, s38, v17
	v_and_or_b32 v17, v18, s39, v17
	v_cvt_f32_f16_e32 v17, v17
.LBB265_302:                            ;   in Loop: Header=BB265_212 Depth=1
	s_or_b64 exec, exec, s[20:21]
	v_lshrrev_b16_e32 v10, 8, v10
	v_cmp_lt_i16_e64 s[2:3], s36, v10
	s_mov_b64 s[20:21], 0
                                        ; implicit-def: $sgpr44
	s_and_saveexec_b64 s[22:23], s[2:3]
	s_xor_b64 s[22:23], exec, s[22:23]
	s_cbranch_execnz .LBB265_400
; %bb.303:                              ;   in Loop: Header=BB265_212 Depth=1
	s_or_saveexec_b64 s[22:23], s[22:23]
	v_mov_b32_e32 v18, s44
	s_xor_b64 exec, exec, s[22:23]
	s_cbranch_execnz .LBB265_403
.LBB265_304:                            ;   in Loop: Header=BB265_212 Depth=1
	s_or_b64 exec, exec, s[22:23]
	s_and_saveexec_b64 s[22:23], s[20:21]
	s_cbranch_execz .LBB265_306
.LBB265_305:                            ;   in Loop: Header=BB265_212 Depth=1
	v_and_b32_e32 v18, 7, v10
	v_ffbh_u32_e32 v24, v18
	v_min_u32_e32 v37, 32, v24
	v_subrev_u32_e32 v24, 28, v37
	v_bfe_u32 v36, v10, 3, 4
	v_lshlrev_b64 v[24:25], v24, v[10:11]
	v_sub_u32_e32 v25, 29, v37
	v_cmp_eq_u32_e64 s[2:3], 0, v36
	v_and_b32_e32 v24, 7, v24
	v_lshlrev_b32_e32 v10, 8, v10
	v_cndmask_b32_e64 v25, v36, v25, s[2:3]
	v_cndmask_b32_e64 v18, v18, v24, s[2:3]
	v_lshl_add_u32 v24, v25, 10, v32
	v_and_or_b32 v10, v10, s38, v24
	v_lshl_or_b32 v10, v18, 7, v10
	v_cvt_f32_f16_e32 v18, v10
.LBB265_306:                            ;   in Loop: Header=BB265_212 Depth=1
	s_or_b64 exec, exec, s[22:23]
	v_lshrrev_b32_e32 v10, 16, v19
	v_cmp_gt_i16_sdwa s[20:21], v10, s36 src0_sel:BYTE_0 src1_sel:DWORD
	s_mov_b64 s[2:3], 0
                                        ; implicit-def: $sgpr24
	s_and_saveexec_b64 s[22:23], s[20:21]
	s_xor_b64 s[20:21], exec, s[22:23]
	s_cbranch_execnz .LBB265_404
; %bb.307:                              ;   in Loop: Header=BB265_212 Depth=1
	s_or_saveexec_b64 s[20:21], s[20:21]
	v_mov_b32_e32 v24, s24
	s_xor_b64 exec, exec, s[20:21]
	s_cbranch_execnz .LBB265_407
.LBB265_308:                            ;   in Loop: Header=BB265_212 Depth=1
	s_or_b64 exec, exec, s[20:21]
	s_and_saveexec_b64 s[20:21], s[2:3]
	s_cbranch_execz .LBB265_310
.LBB265_309:                            ;   in Loop: Header=BB265_212 Depth=1
	v_bfe_u32 v36, v19, 16, 3
	v_ffbh_u32_e32 v24, v36
	v_min_u32_e32 v38, 32, v24
	v_subrev_u32_e32 v24, 28, v38
	v_bfe_u32 v37, v19, 19, 4
	v_lshlrev_b64 v[24:25], v24, v[10:11]
	v_sub_u32_e32 v25, 29, v38
	v_cmp_eq_u32_e64 s[2:3], 0, v37
	v_and_b32_e32 v24, 7, v24
	v_lshlrev_b32_e32 v10, 8, v10
	v_cndmask_b32_e64 v25, v37, v25, s[2:3]
	v_lshl_add_u32 v25, v25, 10, v32
	v_cndmask_b32_e64 v24, v36, v24, s[2:3]
	v_and_or_b32 v10, v10, s38, v25
	v_lshl_or_b32 v10, v24, 7, v10
	v_cvt_f32_f16_e32 v24, v10
.LBB265_310:                            ;   in Loop: Header=BB265_212 Depth=1
	s_or_b64 exec, exec, s[20:21]
	v_lshrrev_b32_e32 v10, 24, v19
	v_cmp_lt_i16_e64 s[2:3], s36, v10
	s_mov_b64 s[20:21], 0
                                        ; implicit-def: $sgpr44
	s_and_saveexec_b64 s[22:23], s[2:3]
	s_xor_b64 s[22:23], exec, s[22:23]
	s_cbranch_execnz .LBB265_408
; %bb.311:                              ;   in Loop: Header=BB265_212 Depth=1
	s_or_saveexec_b64 s[22:23], s[22:23]
	v_mov_b32_e32 v25, s44
	s_xor_b64 exec, exec, s[22:23]
	s_cbranch_execnz .LBB265_411
.LBB265_312:                            ;   in Loop: Header=BB265_212 Depth=1
	s_or_b64 exec, exec, s[22:23]
	s_and_saveexec_b64 s[22:23], s[20:21]
	s_cbranch_execz .LBB265_314
.LBB265_313:                            ;   in Loop: Header=BB265_212 Depth=1
	v_bfe_u32 v25, v19, 24, 3
	v_ffbh_u32_e32 v36, v25
	v_min_u32_e32 v38, 32, v36
	v_subrev_u32_e32 v36, 28, v38
	v_bfe_u32 v19, v19, 27, 4
	v_lshlrev_b64 v[36:37], v36, v[10:11]
	v_sub_u32_e32 v37, 29, v38
	v_cmp_eq_u32_e64 s[2:3], 0, v19
	v_and_b32_e32 v36, 7, v36
	v_lshlrev_b32_e32 v10, 8, v10
	v_cndmask_b32_e64 v19, v19, v37, s[2:3]
	v_lshl_add_u32 v19, v19, 10, v32
	v_cndmask_b32_e64 v25, v25, v36, s[2:3]
	v_and_or_b32 v10, v10, s38, v19
	v_lshl_or_b32 v10, v25, 7, v10
	v_cvt_f32_f16_e32 v25, v10
.LBB265_314:                            ;   in Loop: Header=BB265_212 Depth=1
	s_or_b64 exec, exec, s[22:23]
	s_waitcnt vmcnt(0)
	v_pk_mul_f32 v[22:23], v[16:17], v[22:23] op_sel_hi:[0,1]
	v_pk_mul_f32 v[20:21], v[16:17], v[20:21] op_sel_hi:[0,1]
	v_cvt_f16_f32_e32 v10, v23
	v_cvt_f16_f32_e32 v19, v22
	;; [unrolled: 1-line block ×4, first 2 shown]
	v_fma_mixlo_f16 v18, v16, v18, 0
	v_lshlrev_b32_e32 v18, 16, v18
	v_fma_mixlo_f16 v17, v16, v17, 0
	v_or_b32_sdwa v17, v18, v17 dst_sel:DWORD dst_unused:UNUSED_PAD src0_sel:DWORD src1_sel:WORD_0
	v_fma_mixlo_f16 v18, v16, v24, 0
	v_fma_mixlo_f16 v16, v16, v25, 0
	v_pack_b32_f16 v19, v19, v10
	v_pack_b32_f16 v20, v20, v21
	v_lshlrev_b32_e32 v16, 16, v16
	v_perm_b32 v10, v20, v19, s40
	v_perm_b32 v19, v20, v19, s41
	v_or_b32_sdwa v16, v16, v18 dst_sel:DWORD dst_unused:UNUSED_PAD src0_sel:DWORD src1_sel:WORD_0
	s_and_saveexec_b64 s[2:3], s[0:1]
	s_cbranch_execz .LBB265_209
; %bb.315:                              ;   in Loop: Header=BB265_212 Depth=1
	v_add_u32_e32 v20, 1, v26
	v_lshrrev_b32_e32 v21, 16, v19
	v_cmp_gt_i32_e64 s[0:1], s34, v20
	v_lshrrev_b32_e32 v22, 16, v10
	v_lshrrev_b32_e32 v16, 16, v16
	v_cndmask_b32_e64 v20, 0, v21, s[0:1]
	v_cmp_gt_i32_e64 s[0:1], s33, v26
	v_or_b32_e32 v21, 2, v26
	s_nop 0
	v_cndmask_b32_e64 v19, 0, v19, s[0:1]
	v_perm_b32 v19, v20, v19, s43
	v_or_b32_e32 v20, 3, v26
	v_cmp_gt_i32_e64 s[0:1], s34, v20
	s_nop 1
	v_cndmask_b32_e64 v20, 0, v22, s[0:1]
	v_cmp_gt_i32_e64 s[0:1], s33, v21
	v_or_b32_e32 v21, 4, v26
	v_lshrrev_b32_e32 v22, 16, v17
	v_cndmask_b32_e64 v10, 0, v10, s[0:1]
	v_perm_b32 v10, v20, v10, s43
	v_or_b32_e32 v20, 5, v26
	v_cmp_gt_i32_e64 s[0:1], s34, v20
	s_nop 1
	v_cndmask_b32_e64 v20, 0, v22, s[0:1]
	v_cmp_gt_i32_e64 s[0:1], s33, v21
	v_or_b32_e32 v21, 6, v26
	s_nop 0
	v_cndmask_b32_e64 v17, 0, v17, s[0:1]
	v_perm_b32 v17, v20, v17, s43
	v_or_b32_e32 v20, 7, v26
	v_cmp_gt_i32_e64 s[0:1], s34, v20
	s_nop 1
	v_cndmask_b32_e64 v16, 0, v16, s[0:1]
	v_cmp_gt_i32_e64 s[0:1], s33, v21
	s_nop 1
	v_cndmask_b32_e64 v18, 0, v18, s[0:1]
	v_perm_b32 v16, v16, v18, s43
	s_branch .LBB265_209
.LBB265_316:                            ;   in Loop: Header=BB265_212 Depth=1
	v_cmp_eq_u16_sdwa s[22:23], v22, s37 src0_sel:BYTE_0 src1_sel:DWORD
	s_mov_b64 s[0:1], -1
                                        ; implicit-def: $sgpr20
	s_and_saveexec_b64 s[18:19], s[22:23]
; %bb.317:                              ;   in Loop: Header=BB265_212 Depth=1
	s_mov_b32 s20, 0x7fc02000
	s_xor_b64 s[0:1], exec, -1
; %bb.318:                              ;   in Loop: Header=BB265_212 Depth=1
	s_or_b64 exec, exec, s[18:19]
	s_and_b64 s[0:1], s[0:1], exec
	s_or_saveexec_b64 s[2:3], s[2:3]
	v_mov_b32_e32 v24, s20
	s_xor_b64 exec, exec, s[2:3]
	s_cbranch_execz .LBB265_215
.LBB265_319:                            ;   in Loop: Header=BB265_212 Depth=1
	v_cmp_ne_u16_sdwa s[18:19], v22, v11 src0_sel:BYTE_0 src1_sel:DWORD
	s_andn2_b64 s[0:1], s[0:1], exec
	s_and_b64 s[18:19], s[18:19], exec
	v_mov_b32_e32 v24, 0
	s_or_b64 s[0:1], s[0:1], s[18:19]
	s_or_b64 exec, exec, s[2:3]
	s_and_saveexec_b64 s[2:3], s[0:1]
	s_cbranch_execnz .LBB265_216
	s_branch .LBB265_217
.LBB265_320:                            ;   in Loop: Header=BB265_212 Depth=1
	v_cmp_eq_u16_e64 s[0:1], s37, v10
	s_mov_b64 s[2:3], -1
                                        ; implicit-def: $sgpr22
	s_and_saveexec_b64 s[20:21], s[0:1]
; %bb.321:                              ;   in Loop: Header=BB265_212 Depth=1
	s_mov_b32 s22, 0x7fc02000
	s_xor_b64 s[2:3], exec, -1
; %bb.322:                              ;   in Loop: Header=BB265_212 Depth=1
	s_or_b64 exec, exec, s[20:21]
	s_and_b64 s[2:3], s[2:3], exec
	s_or_saveexec_b64 s[18:19], s[18:19]
	v_mov_b32_e32 v26, s22
	s_xor_b64 exec, exec, s[18:19]
	s_cbranch_execz .LBB265_219
.LBB265_323:                            ;   in Loop: Header=BB265_212 Depth=1
	v_cmp_ne_u16_e64 s[0:1], 0, v10
	s_andn2_b64 s[2:3], s[2:3], exec
	s_and_b64 s[0:1], s[0:1], exec
	v_mov_b32_e32 v26, 0
	s_or_b64 s[2:3], s[2:3], s[0:1]
	s_or_b64 exec, exec, s[18:19]
	s_and_saveexec_b64 s[18:19], s[2:3]
	s_cbranch_execnz .LBB265_220
	s_branch .LBB265_221
.LBB265_324:                            ;   in Loop: Header=BB265_212 Depth=1
	v_cmp_eq_u16_sdwa s[22:23], v10, s37 src0_sel:BYTE_0 src1_sel:DWORD
	s_mov_b64 s[0:1], -1
                                        ; implicit-def: $sgpr20
	s_and_saveexec_b64 s[18:19], s[22:23]
; %bb.325:                              ;   in Loop: Header=BB265_212 Depth=1
	s_mov_b32 s20, 0x7fc02000
	s_xor_b64 s[0:1], exec, -1
; %bb.326:                              ;   in Loop: Header=BB265_212 Depth=1
	s_or_b64 exec, exec, s[18:19]
	s_and_b64 s[0:1], s[0:1], exec
	s_or_saveexec_b64 s[2:3], s[2:3]
	v_mov_b32_e32 v25, s20
	s_xor_b64 exec, exec, s[2:3]
	s_cbranch_execz .LBB265_223
.LBB265_327:                            ;   in Loop: Header=BB265_212 Depth=1
	v_cmp_ne_u16_sdwa s[18:19], v10, v11 src0_sel:BYTE_0 src1_sel:DWORD
	s_andn2_b64 s[0:1], s[0:1], exec
	s_and_b64 s[18:19], s[18:19], exec
	v_mov_b32_e32 v25, 0
	s_or_b64 s[0:1], s[0:1], s[18:19]
	s_or_b64 exec, exec, s[2:3]
	s_and_saveexec_b64 s[2:3], s[0:1]
	s_cbranch_execnz .LBB265_224
	s_branch .LBB265_225
.LBB265_328:                            ;   in Loop: Header=BB265_212 Depth=1
	v_cmp_eq_u16_e64 s[0:1], s37, v10
	s_mov_b64 s[2:3], -1
                                        ; implicit-def: $sgpr22
	s_and_saveexec_b64 s[20:21], s[0:1]
; %bb.329:                              ;   in Loop: Header=BB265_212 Depth=1
	s_mov_b32 s22, 0x7fc02000
	s_xor_b64 s[2:3], exec, -1
; %bb.330:                              ;   in Loop: Header=BB265_212 Depth=1
	s_or_b64 exec, exec, s[20:21]
	s_and_b64 s[2:3], s[2:3], exec
	s_or_saveexec_b64 s[18:19], s[18:19]
	v_mov_b32_e32 v27, s22
	s_xor_b64 exec, exec, s[18:19]
	s_cbranch_execz .LBB265_227
.LBB265_331:                            ;   in Loop: Header=BB265_212 Depth=1
	v_cmp_ne_u16_e64 s[0:1], 0, v10
	s_andn2_b64 s[2:3], s[2:3], exec
	s_and_b64 s[0:1], s[0:1], exec
	v_mov_b32_e32 v27, 0
	s_or_b64 s[2:3], s[2:3], s[0:1]
	s_or_b64 exec, exec, s[18:19]
	s_and_saveexec_b64 s[18:19], s[2:3]
	s_cbranch_execnz .LBB265_228
	s_branch .LBB265_229
.LBB265_332:                            ;   in Loop: Header=BB265_212 Depth=1
	v_cmp_eq_u16_sdwa s[22:23], v23, s37 src0_sel:BYTE_0 src1_sel:DWORD
	s_mov_b64 s[0:1], -1
                                        ; implicit-def: $sgpr20
	s_and_saveexec_b64 s[18:19], s[22:23]
; %bb.333:                              ;   in Loop: Header=BB265_212 Depth=1
	s_mov_b32 s20, 0x7fc02000
	s_xor_b64 s[0:1], exec, -1
; %bb.334:                              ;   in Loop: Header=BB265_212 Depth=1
	s_or_b64 exec, exec, s[18:19]
	s_and_b64 s[0:1], s[0:1], exec
	s_or_saveexec_b64 s[2:3], s[2:3]
	v_mov_b32_e32 v22, s20
	s_xor_b64 exec, exec, s[2:3]
	s_cbranch_execz .LBB265_231
.LBB265_335:                            ;   in Loop: Header=BB265_212 Depth=1
	v_cmp_ne_u16_sdwa s[18:19], v23, v11 src0_sel:BYTE_0 src1_sel:DWORD
	s_andn2_b64 s[0:1], s[0:1], exec
	s_and_b64 s[18:19], s[18:19], exec
	v_mov_b32_e32 v22, 0
	s_or_b64 s[0:1], s[0:1], s[18:19]
	s_or_b64 exec, exec, s[2:3]
	v_mov_b32_e32 v10, v23
	s_and_saveexec_b64 s[2:3], s[0:1]
	s_cbranch_execnz .LBB265_232
	s_branch .LBB265_233
.LBB265_336:                            ;   in Loop: Header=BB265_212 Depth=1
	v_cmp_eq_u16_e64 s[0:1], s37, v10
	s_mov_b64 s[2:3], -1
                                        ; implicit-def: $sgpr22
	s_and_saveexec_b64 s[20:21], s[0:1]
; %bb.337:                              ;   in Loop: Header=BB265_212 Depth=1
	s_mov_b32 s22, 0x7fc02000
	s_xor_b64 s[2:3], exec, -1
; %bb.338:                              ;   in Loop: Header=BB265_212 Depth=1
	s_or_b64 exec, exec, s[20:21]
	s_and_b64 s[2:3], s[2:3], exec
	s_or_saveexec_b64 s[18:19], s[18:19]
	v_mov_b32_e32 v35, s22
	s_xor_b64 exec, exec, s[18:19]
	s_cbranch_execz .LBB265_235
.LBB265_339:                            ;   in Loop: Header=BB265_212 Depth=1
	v_cmp_ne_u16_e64 s[0:1], 0, v10
	s_andn2_b64 s[2:3], s[2:3], exec
	s_and_b64 s[0:1], s[0:1], exec
	v_mov_b32_e32 v35, 0
	s_or_b64 s[2:3], s[2:3], s[0:1]
	s_or_b64 exec, exec, s[18:19]
	s_and_saveexec_b64 s[18:19], s[2:3]
	s_cbranch_execnz .LBB265_236
	s_branch .LBB265_237
.LBB265_340:                            ;   in Loop: Header=BB265_212 Depth=1
	v_cmp_eq_u16_sdwa s[22:23], v10, s37 src0_sel:BYTE_0 src1_sel:DWORD
	s_mov_b64 s[0:1], -1
                                        ; implicit-def: $sgpr20
	s_and_saveexec_b64 s[18:19], s[22:23]
; %bb.341:                              ;   in Loop: Header=BB265_212 Depth=1
	s_mov_b32 s20, 0x7fc02000
	s_xor_b64 s[0:1], exec, -1
; %bb.342:                              ;   in Loop: Header=BB265_212 Depth=1
	s_or_b64 exec, exec, s[18:19]
	s_and_b64 s[0:1], s[0:1], exec
	s_or_saveexec_b64 s[2:3], s[2:3]
	v_mov_b32_e32 v41, s20
	s_xor_b64 exec, exec, s[2:3]
	s_cbranch_execz .LBB265_239
.LBB265_343:                            ;   in Loop: Header=BB265_212 Depth=1
	v_cmp_ne_u16_sdwa s[18:19], v10, v11 src0_sel:BYTE_0 src1_sel:DWORD
	s_andn2_b64 s[0:1], s[0:1], exec
	s_and_b64 s[18:19], s[18:19], exec
	v_mov_b32_e32 v41, 0
	s_or_b64 s[0:1], s[0:1], s[18:19]
	s_or_b64 exec, exec, s[2:3]
	s_and_saveexec_b64 s[2:3], s[0:1]
	s_cbranch_execnz .LBB265_240
	s_branch .LBB265_241
.LBB265_344:                            ;   in Loop: Header=BB265_212 Depth=1
	v_cmp_eq_u16_e64 s[0:1], s37, v10
	s_mov_b64 s[2:3], -1
                                        ; implicit-def: $sgpr22
	s_and_saveexec_b64 s[20:21], s[0:1]
; %bb.345:                              ;   in Loop: Header=BB265_212 Depth=1
	s_mov_b32 s22, 0x7fc02000
	s_xor_b64 s[2:3], exec, -1
; %bb.346:                              ;   in Loop: Header=BB265_212 Depth=1
	s_or_b64 exec, exec, s[20:21]
	s_and_b64 s[2:3], s[2:3], exec
	s_or_saveexec_b64 s[18:19], s[18:19]
	v_mov_b32_e32 v42, s22
	s_xor_b64 exec, exec, s[18:19]
	s_cbranch_execz .LBB265_243
.LBB265_347:                            ;   in Loop: Header=BB265_212 Depth=1
	v_cmp_ne_u16_e64 s[0:1], 0, v10
	s_andn2_b64 s[2:3], s[2:3], exec
	s_and_b64 s[0:1], s[0:1], exec
	v_mov_b32_e32 v42, 0
	s_or_b64 s[2:3], s[2:3], s[0:1]
	s_or_b64 exec, exec, s[18:19]
	s_and_saveexec_b64 s[18:19], s[2:3]
	s_cbranch_execnz .LBB265_244
	s_branch .LBB265_245
.LBB265_348:                            ;   in Loop: Header=BB265_212 Depth=1
	v_cmp_eq_u16_sdwa s[24:25], v22, s37 src0_sel:BYTE_0 src1_sel:DWORD
	s_mov_b64 s[2:3], -1
                                        ; implicit-def: $sgpr22
	s_and_saveexec_b64 s[20:21], s[24:25]
; %bb.349:                              ;   in Loop: Header=BB265_212 Depth=1
	s_mov_b32 s22, 0x7fc02000
	s_xor_b64 s[2:3], exec, -1
; %bb.350:                              ;   in Loop: Header=BB265_212 Depth=1
	s_or_b64 exec, exec, s[20:21]
	s_and_b64 s[2:3], s[2:3], exec
	s_or_saveexec_b64 s[18:19], s[18:19]
	v_mov_b32_e32 v18, s22
	s_xor_b64 exec, exec, s[18:19]
	s_cbranch_execz .LBB265_249
.LBB265_351:                            ;   in Loop: Header=BB265_212 Depth=1
	v_cmp_ne_u16_sdwa s[20:21], v22, v11 src0_sel:BYTE_0 src1_sel:DWORD
	s_andn2_b64 s[2:3], s[2:3], exec
	s_and_b64 s[20:21], s[20:21], exec
	v_mov_b32_e32 v18, 0
	s_or_b64 s[2:3], s[2:3], s[20:21]
	s_or_b64 exec, exec, s[18:19]
	s_and_saveexec_b64 s[18:19], s[2:3]
	s_cbranch_execnz .LBB265_250
	s_branch .LBB265_251
.LBB265_352:                            ;   in Loop: Header=BB265_212 Depth=1
	v_cmp_eq_u16_e64 s[2:3], s37, v10
	s_mov_b64 s[18:19], -1
                                        ; implicit-def: $sgpr24
	s_and_saveexec_b64 s[22:23], s[2:3]
; %bb.353:                              ;   in Loop: Header=BB265_212 Depth=1
	s_mov_b32 s24, 0x7fc02000
	s_xor_b64 s[18:19], exec, -1
; %bb.354:                              ;   in Loop: Header=BB265_212 Depth=1
	s_or_b64 exec, exec, s[22:23]
	s_and_b64 s[18:19], s[18:19], exec
	s_or_saveexec_b64 s[20:21], s[20:21]
	v_mov_b32_e32 v24, s24
	s_xor_b64 exec, exec, s[20:21]
	s_cbranch_execz .LBB265_253
.LBB265_355:                            ;   in Loop: Header=BB265_212 Depth=1
	v_cmp_ne_u16_e64 s[2:3], 0, v10
	s_andn2_b64 s[18:19], s[18:19], exec
	s_and_b64 s[2:3], s[2:3], exec
	v_mov_b32_e32 v24, 0
	s_or_b64 s[18:19], s[18:19], s[2:3]
	s_or_b64 exec, exec, s[20:21]
	s_and_saveexec_b64 s[20:21], s[18:19]
	s_cbranch_execnz .LBB265_254
	s_branch .LBB265_255
.LBB265_356:                            ;   in Loop: Header=BB265_212 Depth=1
	v_cmp_eq_u16_sdwa s[24:25], v10, s37 src0_sel:BYTE_0 src1_sel:DWORD
	s_mov_b64 s[2:3], -1
                                        ; implicit-def: $sgpr22
	s_and_saveexec_b64 s[20:21], s[24:25]
; %bb.357:                              ;   in Loop: Header=BB265_212 Depth=1
	s_mov_b32 s22, 0x7fc02000
	s_xor_b64 s[2:3], exec, -1
; %bb.358:                              ;   in Loop: Header=BB265_212 Depth=1
	s_or_b64 exec, exec, s[20:21]
	s_and_b64 s[2:3], s[2:3], exec
	s_or_saveexec_b64 s[18:19], s[18:19]
	v_mov_b32_e32 v19, s22
	s_xor_b64 exec, exec, s[18:19]
	s_cbranch_execz .LBB265_257
.LBB265_359:                            ;   in Loop: Header=BB265_212 Depth=1
	v_cmp_ne_u16_sdwa s[20:21], v10, v11 src0_sel:BYTE_0 src1_sel:DWORD
	s_andn2_b64 s[2:3], s[2:3], exec
	s_and_b64 s[20:21], s[20:21], exec
	v_mov_b32_e32 v19, 0
	s_or_b64 s[2:3], s[2:3], s[20:21]
	s_or_b64 exec, exec, s[18:19]
	s_and_saveexec_b64 s[18:19], s[2:3]
	s_cbranch_execnz .LBB265_258
	s_branch .LBB265_259
.LBB265_360:                            ;   in Loop: Header=BB265_212 Depth=1
	v_cmp_eq_u16_e64 s[2:3], s37, v10
	s_mov_b64 s[18:19], -1
                                        ; implicit-def: $sgpr24
	s_and_saveexec_b64 s[22:23], s[2:3]
; %bb.361:                              ;   in Loop: Header=BB265_212 Depth=1
	s_mov_b32 s24, 0x7fc02000
	s_xor_b64 s[18:19], exec, -1
; %bb.362:                              ;   in Loop: Header=BB265_212 Depth=1
	s_or_b64 exec, exec, s[22:23]
	s_and_b64 s[18:19], s[18:19], exec
	s_or_saveexec_b64 s[20:21], s[20:21]
	v_mov_b32_e32 v25, s24
	s_xor_b64 exec, exec, s[20:21]
	s_cbranch_execz .LBB265_261
.LBB265_363:                            ;   in Loop: Header=BB265_212 Depth=1
	v_cmp_ne_u16_e64 s[2:3], 0, v10
	s_andn2_b64 s[18:19], s[18:19], exec
	s_and_b64 s[2:3], s[2:3], exec
	v_mov_b32_e32 v25, 0
	s_or_b64 s[18:19], s[18:19], s[2:3]
	s_or_b64 exec, exec, s[20:21]
	s_and_saveexec_b64 s[20:21], s[18:19]
	s_cbranch_execnz .LBB265_262
	s_branch .LBB265_263
.LBB265_364:                            ;   in Loop: Header=BB265_212 Depth=1
	v_cmp_eq_u16_sdwa s[24:25], v23, s37 src0_sel:BYTE_0 src1_sel:DWORD
	s_mov_b64 s[2:3], -1
                                        ; implicit-def: $sgpr22
	s_and_saveexec_b64 s[20:21], s[24:25]
; %bb.365:                              ;   in Loop: Header=BB265_212 Depth=1
	s_mov_b32 s22, 0x7fc02000
	s_xor_b64 s[2:3], exec, -1
; %bb.366:                              ;   in Loop: Header=BB265_212 Depth=1
	s_or_b64 exec, exec, s[20:21]
	s_and_b64 s[2:3], s[2:3], exec
	s_or_saveexec_b64 s[18:19], s[18:19]
	v_mov_b32_e32 v22, s22
	s_xor_b64 exec, exec, s[18:19]
	s_cbranch_execz .LBB265_265
.LBB265_367:                            ;   in Loop: Header=BB265_212 Depth=1
	v_cmp_ne_u16_sdwa s[20:21], v23, v11 src0_sel:BYTE_0 src1_sel:DWORD
	s_andn2_b64 s[2:3], s[2:3], exec
	s_and_b64 s[20:21], s[20:21], exec
	v_mov_b32_e32 v22, 0
	s_or_b64 s[2:3], s[2:3], s[20:21]
	s_or_b64 exec, exec, s[18:19]
	v_mov_b32_e32 v10, v23
	s_and_saveexec_b64 s[18:19], s[2:3]
	s_cbranch_execnz .LBB265_266
	s_branch .LBB265_267
.LBB265_368:                            ;   in Loop: Header=BB265_212 Depth=1
	v_cmp_eq_u16_e64 s[2:3], s37, v10
	s_mov_b64 s[18:19], -1
                                        ; implicit-def: $sgpr24
	s_and_saveexec_b64 s[22:23], s[2:3]
; %bb.369:                              ;   in Loop: Header=BB265_212 Depth=1
	s_mov_b32 s24, 0x7fc02000
	s_xor_b64 s[18:19], exec, -1
; %bb.370:                              ;   in Loop: Header=BB265_212 Depth=1
	s_or_b64 exec, exec, s[22:23]
	s_and_b64 s[18:19], s[18:19], exec
	s_or_saveexec_b64 s[20:21], s[20:21]
	v_mov_b32_e32 v37, s24
	s_xor_b64 exec, exec, s[20:21]
	s_cbranch_execz .LBB265_269
.LBB265_371:                            ;   in Loop: Header=BB265_212 Depth=1
	v_cmp_ne_u16_e64 s[2:3], 0, v10
	s_andn2_b64 s[18:19], s[18:19], exec
	s_and_b64 s[2:3], s[2:3], exec
	v_mov_b32_e32 v37, 0
	s_or_b64 s[18:19], s[18:19], s[2:3]
	s_or_b64 exec, exec, s[20:21]
	s_and_saveexec_b64 s[20:21], s[18:19]
	s_cbranch_execnz .LBB265_270
	s_branch .LBB265_271
.LBB265_372:                            ;   in Loop: Header=BB265_212 Depth=1
	v_cmp_eq_u16_sdwa s[24:25], v10, s37 src0_sel:BYTE_0 src1_sel:DWORD
	s_mov_b64 s[2:3], -1
                                        ; implicit-def: $sgpr22
	s_and_saveexec_b64 s[20:21], s[24:25]
; %bb.373:                              ;   in Loop: Header=BB265_212 Depth=1
	s_mov_b32 s22, 0x7fc02000
	s_xor_b64 s[2:3], exec, -1
; %bb.374:                              ;   in Loop: Header=BB265_212 Depth=1
	s_or_b64 exec, exec, s[20:21]
	s_and_b64 s[2:3], s[2:3], exec
	s_or_saveexec_b64 s[18:19], s[18:19]
	v_mov_b32_e32 v38, s22
	s_xor_b64 exec, exec, s[18:19]
	s_cbranch_execz .LBB265_273
.LBB265_375:                            ;   in Loop: Header=BB265_212 Depth=1
	v_cmp_ne_u16_sdwa s[20:21], v10, v11 src0_sel:BYTE_0 src1_sel:DWORD
	s_andn2_b64 s[2:3], s[2:3], exec
	s_and_b64 s[20:21], s[20:21], exec
	v_mov_b32_e32 v38, 0
	s_or_b64 s[2:3], s[2:3], s[20:21]
	s_or_b64 exec, exec, s[18:19]
	s_and_saveexec_b64 s[18:19], s[2:3]
	s_cbranch_execnz .LBB265_274
	s_branch .LBB265_275
.LBB265_376:                            ;   in Loop: Header=BB265_212 Depth=1
	v_cmp_eq_u16_e64 s[2:3], s37, v10
	s_mov_b64 s[18:19], -1
                                        ; implicit-def: $sgpr24
	s_and_saveexec_b64 s[22:23], s[2:3]
; %bb.377:                              ;   in Loop: Header=BB265_212 Depth=1
	s_mov_b32 s24, 0x7fc02000
	s_xor_b64 s[18:19], exec, -1
; %bb.378:                              ;   in Loop: Header=BB265_212 Depth=1
	s_or_b64 exec, exec, s[22:23]
	s_and_b64 s[18:19], s[18:19], exec
	s_or_saveexec_b64 s[20:21], s[20:21]
	v_mov_b32_e32 v39, s24
	s_xor_b64 exec, exec, s[20:21]
	s_cbranch_execz .LBB265_277
.LBB265_379:                            ;   in Loop: Header=BB265_212 Depth=1
	v_cmp_ne_u16_e64 s[2:3], 0, v10
	s_andn2_b64 s[18:19], s[18:19], exec
	s_and_b64 s[2:3], s[2:3], exec
	v_mov_b32_e32 v39, 0
	s_or_b64 s[18:19], s[18:19], s[2:3]
	s_or_b64 exec, exec, s[20:21]
	s_and_saveexec_b64 s[20:21], s[18:19]
	s_cbranch_execnz .LBB265_278
	s_branch .LBB265_279
.LBB265_380:                            ;   in Loop: Header=BB265_212 Depth=1
	v_cmp_eq_u16_sdwa s[44:45], v18, s37 src0_sel:BYTE_0 src1_sel:DWORD
	s_mov_b64 s[2:3], -1
                                        ; implicit-def: $sgpr24
	s_and_saveexec_b64 s[22:23], s[44:45]
; %bb.381:                              ;   in Loop: Header=BB265_212 Depth=1
	s_mov_b32 s24, 0x7fc02000
	s_xor_b64 s[2:3], exec, -1
; %bb.382:                              ;   in Loop: Header=BB265_212 Depth=1
	s_or_b64 exec, exec, s[22:23]
	s_and_b64 s[2:3], s[2:3], exec
	s_or_saveexec_b64 s[20:21], s[20:21]
	v_mov_b32_e32 v20, s24
	s_xor_b64 exec, exec, s[20:21]
	s_cbranch_execz .LBB265_284
.LBB265_383:                            ;   in Loop: Header=BB265_212 Depth=1
	v_cmp_ne_u16_sdwa s[22:23], v18, v11 src0_sel:BYTE_0 src1_sel:DWORD
	s_andn2_b64 s[2:3], s[2:3], exec
	s_and_b64 s[22:23], s[22:23], exec
	v_mov_b32_e32 v20, 0
	s_or_b64 s[2:3], s[2:3], s[22:23]
	s_or_b64 exec, exec, s[20:21]
	s_and_saveexec_b64 s[20:21], s[2:3]
	s_cbranch_execnz .LBB265_285
	s_branch .LBB265_286
.LBB265_384:                            ;   in Loop: Header=BB265_212 Depth=1
	v_cmp_eq_u16_e64 s[2:3], s37, v10
	s_mov_b64 s[20:21], -1
                                        ; implicit-def: $sgpr44
	s_and_saveexec_b64 s[24:25], s[2:3]
; %bb.385:                              ;   in Loop: Header=BB265_212 Depth=1
	s_mov_b32 s44, 0x7fc02000
	s_xor_b64 s[20:21], exec, -1
; %bb.386:                              ;   in Loop: Header=BB265_212 Depth=1
	s_or_b64 exec, exec, s[24:25]
	s_and_b64 s[20:21], s[20:21], exec
	s_or_saveexec_b64 s[22:23], s[22:23]
	v_mov_b32_e32 v22, s44
	s_xor_b64 exec, exec, s[22:23]
	s_cbranch_execz .LBB265_288
.LBB265_387:                            ;   in Loop: Header=BB265_212 Depth=1
	v_cmp_ne_u16_e64 s[2:3], 0, v10
	s_andn2_b64 s[20:21], s[20:21], exec
	s_and_b64 s[2:3], s[2:3], exec
	v_mov_b32_e32 v22, 0
	s_or_b64 s[20:21], s[20:21], s[2:3]
	s_or_b64 exec, exec, s[22:23]
	s_and_saveexec_b64 s[22:23], s[20:21]
	s_cbranch_execnz .LBB265_289
	s_branch .LBB265_290
.LBB265_388:                            ;   in Loop: Header=BB265_212 Depth=1
	v_cmp_eq_u16_sdwa s[44:45], v10, s37 src0_sel:BYTE_0 src1_sel:DWORD
	s_mov_b64 s[2:3], -1
                                        ; implicit-def: $sgpr24
	s_and_saveexec_b64 s[22:23], s[44:45]
; %bb.389:                              ;   in Loop: Header=BB265_212 Depth=1
	s_mov_b32 s24, 0x7fc02000
	s_xor_b64 s[2:3], exec, -1
; %bb.390:                              ;   in Loop: Header=BB265_212 Depth=1
	s_or_b64 exec, exec, s[22:23]
	s_and_b64 s[2:3], s[2:3], exec
	s_or_saveexec_b64 s[20:21], s[20:21]
	v_mov_b32_e32 v21, s24
	s_xor_b64 exec, exec, s[20:21]
	s_cbranch_execz .LBB265_292
.LBB265_391:                            ;   in Loop: Header=BB265_212 Depth=1
	v_cmp_ne_u16_sdwa s[22:23], v10, v11 src0_sel:BYTE_0 src1_sel:DWORD
	s_andn2_b64 s[2:3], s[2:3], exec
	s_and_b64 s[22:23], s[22:23], exec
	v_mov_b32_e32 v21, 0
	s_or_b64 s[2:3], s[2:3], s[22:23]
	s_or_b64 exec, exec, s[20:21]
	s_and_saveexec_b64 s[20:21], s[2:3]
	s_cbranch_execnz .LBB265_293
	s_branch .LBB265_294
.LBB265_392:                            ;   in Loop: Header=BB265_212 Depth=1
	v_cmp_eq_u16_e64 s[2:3], s37, v10
	s_mov_b64 s[20:21], -1
                                        ; implicit-def: $sgpr44
	s_and_saveexec_b64 s[24:25], s[2:3]
; %bb.393:                              ;   in Loop: Header=BB265_212 Depth=1
	s_mov_b32 s44, 0x7fc02000
	s_xor_b64 s[20:21], exec, -1
; %bb.394:                              ;   in Loop: Header=BB265_212 Depth=1
	s_or_b64 exec, exec, s[24:25]
	s_and_b64 s[20:21], s[20:21], exec
	s_or_saveexec_b64 s[22:23], s[22:23]
	v_mov_b32_e32 v23, s44
	s_xor_b64 exec, exec, s[22:23]
	s_cbranch_execz .LBB265_296
.LBB265_395:                            ;   in Loop: Header=BB265_212 Depth=1
	v_cmp_ne_u16_e64 s[2:3], 0, v10
	s_andn2_b64 s[20:21], s[20:21], exec
	s_and_b64 s[2:3], s[2:3], exec
	v_mov_b32_e32 v23, 0
	s_or_b64 s[20:21], s[20:21], s[2:3]
	s_or_b64 exec, exec, s[22:23]
	s_and_saveexec_b64 s[22:23], s[20:21]
	s_cbranch_execnz .LBB265_297
	s_branch .LBB265_298
.LBB265_396:                            ;   in Loop: Header=BB265_212 Depth=1
	v_cmp_eq_u16_sdwa s[44:45], v19, s37 src0_sel:BYTE_0 src1_sel:DWORD
	s_mov_b64 s[2:3], -1
                                        ; implicit-def: $sgpr24
	s_and_saveexec_b64 s[22:23], s[44:45]
; %bb.397:                              ;   in Loop: Header=BB265_212 Depth=1
	s_mov_b32 s24, 0x7fc02000
	s_xor_b64 s[2:3], exec, -1
; %bb.398:                              ;   in Loop: Header=BB265_212 Depth=1
	s_or_b64 exec, exec, s[22:23]
	s_and_b64 s[2:3], s[2:3], exec
	s_or_saveexec_b64 s[20:21], s[20:21]
	v_mov_b32_e32 v17, s24
	s_xor_b64 exec, exec, s[20:21]
	s_cbranch_execz .LBB265_300
.LBB265_399:                            ;   in Loop: Header=BB265_212 Depth=1
	v_cmp_ne_u16_sdwa s[22:23], v19, v11 src0_sel:BYTE_0 src1_sel:DWORD
	s_andn2_b64 s[2:3], s[2:3], exec
	s_and_b64 s[22:23], s[22:23], exec
	v_mov_b32_e32 v17, 0
	s_or_b64 s[2:3], s[2:3], s[22:23]
	s_or_b64 exec, exec, s[20:21]
	v_mov_b32_e32 v10, v19
	s_and_saveexec_b64 s[20:21], s[2:3]
	s_cbranch_execnz .LBB265_301
	s_branch .LBB265_302
.LBB265_400:                            ;   in Loop: Header=BB265_212 Depth=1
	v_cmp_eq_u16_e64 s[2:3], s37, v10
	s_mov_b64 s[20:21], -1
                                        ; implicit-def: $sgpr44
	s_and_saveexec_b64 s[24:25], s[2:3]
; %bb.401:                              ;   in Loop: Header=BB265_212 Depth=1
	s_mov_b32 s44, 0x7fc02000
	s_xor_b64 s[20:21], exec, -1
; %bb.402:                              ;   in Loop: Header=BB265_212 Depth=1
	s_or_b64 exec, exec, s[24:25]
	s_and_b64 s[20:21], s[20:21], exec
	s_or_saveexec_b64 s[22:23], s[22:23]
	v_mov_b32_e32 v18, s44
	s_xor_b64 exec, exec, s[22:23]
	s_cbranch_execz .LBB265_304
.LBB265_403:                            ;   in Loop: Header=BB265_212 Depth=1
	v_cmp_ne_u16_e64 s[2:3], 0, v10
	s_andn2_b64 s[20:21], s[20:21], exec
	s_and_b64 s[2:3], s[2:3], exec
	v_mov_b32_e32 v18, 0
	s_or_b64 s[20:21], s[20:21], s[2:3]
	s_or_b64 exec, exec, s[22:23]
	s_and_saveexec_b64 s[22:23], s[20:21]
	s_cbranch_execnz .LBB265_305
	s_branch .LBB265_306
.LBB265_404:                            ;   in Loop: Header=BB265_212 Depth=1
	v_cmp_eq_u16_sdwa s[44:45], v10, s37 src0_sel:BYTE_0 src1_sel:DWORD
	s_mov_b64 s[2:3], -1
                                        ; implicit-def: $sgpr24
	s_and_saveexec_b64 s[22:23], s[44:45]
; %bb.405:                              ;   in Loop: Header=BB265_212 Depth=1
	s_mov_b32 s24, 0x7fc02000
	s_xor_b64 s[2:3], exec, -1
; %bb.406:                              ;   in Loop: Header=BB265_212 Depth=1
	s_or_b64 exec, exec, s[22:23]
	s_and_b64 s[2:3], s[2:3], exec
	s_or_saveexec_b64 s[20:21], s[20:21]
	v_mov_b32_e32 v24, s24
	s_xor_b64 exec, exec, s[20:21]
	s_cbranch_execz .LBB265_308
.LBB265_407:                            ;   in Loop: Header=BB265_212 Depth=1
	v_cmp_ne_u16_sdwa s[22:23], v10, v11 src0_sel:BYTE_0 src1_sel:DWORD
	s_andn2_b64 s[2:3], s[2:3], exec
	s_and_b64 s[22:23], s[22:23], exec
	v_mov_b32_e32 v24, 0
	s_or_b64 s[2:3], s[2:3], s[22:23]
	s_or_b64 exec, exec, s[20:21]
	s_and_saveexec_b64 s[20:21], s[2:3]
	s_cbranch_execnz .LBB265_309
	s_branch .LBB265_310
.LBB265_408:                            ;   in Loop: Header=BB265_212 Depth=1
	v_cmp_eq_u16_e64 s[2:3], s37, v10
	s_mov_b64 s[20:21], -1
                                        ; implicit-def: $sgpr44
	s_and_saveexec_b64 s[24:25], s[2:3]
; %bb.409:                              ;   in Loop: Header=BB265_212 Depth=1
	s_mov_b32 s44, 0x7fc02000
	s_xor_b64 s[20:21], exec, -1
; %bb.410:                              ;   in Loop: Header=BB265_212 Depth=1
	s_or_b64 exec, exec, s[24:25]
	s_and_b64 s[20:21], s[20:21], exec
	s_or_saveexec_b64 s[22:23], s[22:23]
	v_mov_b32_e32 v25, s44
	s_xor_b64 exec, exec, s[22:23]
	s_cbranch_execz .LBB265_312
.LBB265_411:                            ;   in Loop: Header=BB265_212 Depth=1
	v_cmp_ne_u16_e64 s[2:3], 0, v10
	s_andn2_b64 s[20:21], s[20:21], exec
	s_and_b64 s[2:3], s[2:3], exec
	v_mov_b32_e32 v25, 0
	s_or_b64 s[20:21], s[20:21], s[2:3]
	s_or_b64 exec, exec, s[22:23]
	s_and_saveexec_b64 s[22:23], s[20:21]
	s_cbranch_execnz .LBB265_313
	s_branch .LBB265_314
.LBB265_412:
	s_or_b64 exec, exec, s[12:13]
.LBB265_413:
	s_or_b64 exec, exec, s[10:11]
	ds_bpermute_b32 v1, v5, v4
	ds_bpermute_b32 v6, v5, v2
	;; [unrolled: 1-line block ×3, first 2 shown]
	s_waitcnt lgkmcnt(0)
	s_barrier
	v_add_f32_e32 v1, v4, v1
	v_and_b32_e32 v4, 0x3c0, v0
	v_pk_add_f32 v[2:3], v[2:3], v[6:7]
	v_cmp_eq_u32_e32 vcc, 64, v4
	s_and_saveexec_b64 s[2:3], vcc
	s_cbranch_execz .LBB265_418
; %bb.414:
	v_cmp_eq_u32_e32 vcc, 0, v28
	s_and_saveexec_b64 s[0:1], vcc
	s_cbranch_execz .LBB265_416
; %bb.415:
	v_mov_b32_e32 v4, 0xb0
	v_lshl_add_u32 v4, v29, 2, v4
	ds_write2_b32 v4, v2, v3 offset1:32
.LBB265_416:
	s_or_b64 exec, exec, s[0:1]
	v_or_b32_e32 v4, 64, v29
	s_movk_i32 s0, 0x50
	v_cmp_gt_u32_e64 s[0:1], s0, v4
	s_and_b64 s[0:1], vcc, s[0:1]
	s_and_b64 exec, exec, s[0:1]
	s_cbranch_execz .LBB265_418
; %bb.417:
	v_mov_b32_e32 v4, 0xb0
	v_lshl_add_u32 v4, v29, 2, v4
	ds_write_b32 v4, v1 offset:256
.LBB265_418:
	s_or_b64 exec, exec, s[2:3]
	v_cmp_gt_u32_e32 vcc, 64, v0
	v_lshrrev_b32_e32 v0, 1, v0
	s_waitcnt lgkmcnt(0)
	s_barrier
	s_and_saveexec_b64 s[8:9], vcc
	s_cbranch_execz .LBB265_426
; %bb.419:
	v_cmp_eq_u32_e64 s[0:1], 0, v28
	s_and_saveexec_b64 s[2:3], s[0:1]
	s_cbranch_execz .LBB265_421
; %bb.420:
	v_mov_b32_e32 v4, 0xb0
	v_lshl_add_u32 v4, v0, 2, v4
	ds_read_b32 v4, v4
	s_waitcnt lgkmcnt(0)
	v_add_f32_e32 v2, v2, v4
.LBB265_421:
	s_or_b64 exec, exec, s[2:3]
	s_and_saveexec_b64 s[2:3], s[0:1]
	s_cbranch_execz .LBB265_423
; %bb.422:
	v_mov_b32_e32 v4, 0xb0
	v_lshl_add_u32 v4, v0, 2, v4
	ds_read_b32 v4, v4 offset:128
	s_waitcnt lgkmcnt(0)
	v_add_f32_e32 v3, v3, v4
.LBB265_423:
	s_or_b64 exec, exec, s[2:3]
	v_or_b32_e32 v4, 64, v0
	s_movk_i32 s2, 0x50
	v_cmp_gt_u32_e64 s[2:3], s2, v4
	s_and_b64 s[2:3], s[0:1], s[2:3]
	s_and_saveexec_b64 s[0:1], s[2:3]
	s_cbranch_execz .LBB265_425
; %bb.424:
	v_mov_b32_e32 v4, 0xb0
	v_lshl_add_u32 v4, v0, 2, v4
	ds_read_b32 v4, v4 offset:256
	s_waitcnt lgkmcnt(0)
	v_add_f32_e32 v1, v1, v4
.LBB265_425:
	s_or_b64 exec, exec, s[0:1]
.LBB265_426:
	s_or_b64 exec, exec, s[8:9]
	s_barrier
	s_and_saveexec_b64 s[0:1], vcc
	s_cbranch_execz .LBB265_431
; %bb.427:
	s_mul_i32 s0, s6, 0x50
	s_ashr_i32 s1, s0, 31
	s_lshl_b64 s[0:1], s[0:1], 1
	s_add_u32 s2, s30, s0
	s_mul_i32 s0, s29, s28
	s_addc_u32 s3, s31, s1
	s_ashr_i32 s1, s0, 31
	s_lshl_b64 s[0:1], s[0:1], 1
	s_add_u32 s2, s2, s0
	s_mul_i32 s0, s4, 0x50
	s_addc_u32 s3, s3, s1
	s_ashr_i32 s1, s0, 31
	s_lshl_b64 s[0:1], s[0:1], 1
	s_add_u32 s2, s2, s0
	s_movk_i32 s5, 0x50
	s_addc_u32 s3, s3, s1
	v_cmp_eq_u32_e32 vcc, 0, v28
	v_lshlrev_b32_e32 v4, 1, v0
	s_and_saveexec_b64 s[0:1], vcc
	s_cbranch_execz .LBB265_429
; %bb.428:
	;;#ASMSTART
	v_cvt_f16_f32 v2, v2;

	;;#ASMEND
	global_store_short v4, v2, s[2:3]
	;;#ASMSTART
	v_cvt_f16_f32 v2, v3;

	;;#ASMEND
	global_store_short v4, v2, s[2:3] offset:64
.LBB265_429:
	s_or_b64 exec, exec, s[0:1]
	v_or_b32_e32 v0, 64, v0
	v_cmp_gt_u32_e64 s[0:1], s5, v0
	s_and_b64 s[0:1], vcc, s[0:1]
	s_and_b64 exec, exec, s[0:1]
	s_cbranch_execz .LBB265_431
; %bb.430:
	;;#ASMSTART
	v_cvt_f16_f32 v0, v1;

	;;#ASMEND
	global_store_short v4, v0, s[2:3] offset:128
.LBB265_431:
	s_endpgm
	.section	.rodata,"a",@progbits
	.p2align	6, 0x0
	.amdhsa_kernel _ZN4vllm25paged_attention_v2_kernelIthLi80ELi16ELi128ELNS_18Fp8KVCacheDataTypeE1ELb1ELi512EEEvPfS2_PT_PKS3_PKT0_S9_ifPKiSB_iPKfiiiSD_SD_iiiii
		.amdhsa_group_segment_fixed_size 176
		.amdhsa_private_segment_fixed_size 0
		.amdhsa_kernarg_size 400
		.amdhsa_user_sgpr_count 2
		.amdhsa_user_sgpr_dispatch_ptr 0
		.amdhsa_user_sgpr_queue_ptr 0
		.amdhsa_user_sgpr_kernarg_segment_ptr 1
		.amdhsa_user_sgpr_dispatch_id 0
		.amdhsa_user_sgpr_kernarg_preload_length 0
		.amdhsa_user_sgpr_kernarg_preload_offset 0
		.amdhsa_user_sgpr_private_segment_size 0
		.amdhsa_uses_dynamic_stack 0
		.amdhsa_enable_private_segment 0
		.amdhsa_system_sgpr_workgroup_id_x 1
		.amdhsa_system_sgpr_workgroup_id_y 1
		.amdhsa_system_sgpr_workgroup_id_z 1
		.amdhsa_system_sgpr_workgroup_info 0
		.amdhsa_system_vgpr_workitem_id 0
		.amdhsa_next_free_vgpr 56
		.amdhsa_next_free_sgpr 66
		.amdhsa_accum_offset 56
		.amdhsa_reserve_vcc 1
		.amdhsa_float_round_mode_32 0
		.amdhsa_float_round_mode_16_64 0
		.amdhsa_float_denorm_mode_32 3
		.amdhsa_float_denorm_mode_16_64 3
		.amdhsa_dx10_clamp 1
		.amdhsa_ieee_mode 1
		.amdhsa_fp16_overflow 0
		.amdhsa_tg_split 0
		.amdhsa_exception_fp_ieee_invalid_op 0
		.amdhsa_exception_fp_denorm_src 0
		.amdhsa_exception_fp_ieee_div_zero 0
		.amdhsa_exception_fp_ieee_overflow 0
		.amdhsa_exception_fp_ieee_underflow 0
		.amdhsa_exception_fp_ieee_inexact 0
		.amdhsa_exception_int_div_zero 0
	.end_amdhsa_kernel
	.section	.text._ZN4vllm25paged_attention_v2_kernelIthLi80ELi16ELi128ELNS_18Fp8KVCacheDataTypeE1ELb1ELi512EEEvPfS2_PT_PKS3_PKT0_S9_ifPKiSB_iPKfiiiSD_SD_iiiii,"axG",@progbits,_ZN4vllm25paged_attention_v2_kernelIthLi80ELi16ELi128ELNS_18Fp8KVCacheDataTypeE1ELb1ELi512EEEvPfS2_PT_PKS3_PKT0_S9_ifPKiSB_iPKfiiiSD_SD_iiiii,comdat
.Lfunc_end265:
	.size	_ZN4vllm25paged_attention_v2_kernelIthLi80ELi16ELi128ELNS_18Fp8KVCacheDataTypeE1ELb1ELi512EEEvPfS2_PT_PKS3_PKT0_S9_ifPKiSB_iPKfiiiSD_SD_iiiii, .Lfunc_end265-_ZN4vllm25paged_attention_v2_kernelIthLi80ELi16ELi128ELNS_18Fp8KVCacheDataTypeE1ELb1ELi512EEEvPfS2_PT_PKS3_PKT0_S9_ifPKiSB_iPKfiiiSD_SD_iiiii
                                        ; -- End function
	.section	.AMDGPU.csdata,"",@progbits
; Kernel info:
; codeLenInByte = 18088
; NumSgprs: 72
; NumVgprs: 56
; NumAgprs: 0
; TotalNumVgprs: 56
; ScratchSize: 0
; MemoryBound: 0
; FloatMode: 240
; IeeeMode: 1
; LDSByteSize: 176 bytes/workgroup (compile time only)
; SGPRBlocks: 8
; VGPRBlocks: 6
; NumSGPRsForWavesPerEU: 72
; NumVGPRsForWavesPerEU: 56
; AccumOffset: 56
; Occupancy: 8
; WaveLimiterHint : 1
; COMPUTE_PGM_RSRC2:SCRATCH_EN: 0
; COMPUTE_PGM_RSRC2:USER_SGPR: 2
; COMPUTE_PGM_RSRC2:TRAP_HANDLER: 0
; COMPUTE_PGM_RSRC2:TGID_X_EN: 1
; COMPUTE_PGM_RSRC2:TGID_Y_EN: 1
; COMPUTE_PGM_RSRC2:TGID_Z_EN: 1
; COMPUTE_PGM_RSRC2:TIDIG_COMP_CNT: 0
; COMPUTE_PGM_RSRC3_GFX90A:ACCUM_OFFSET: 13
; COMPUTE_PGM_RSRC3_GFX90A:TG_SPLIT: 0
	.section	.text._ZN4vllm25paged_attention_v2_kernelIthLi96ELi16ELi128ELNS_18Fp8KVCacheDataTypeE1ELb1ELi512EEEvPfS2_PT_PKS3_PKT0_S9_ifPKiSB_iPKfiiiSD_SD_iiiii,"axG",@progbits,_ZN4vllm25paged_attention_v2_kernelIthLi96ELi16ELi128ELNS_18Fp8KVCacheDataTypeE1ELb1ELi512EEEvPfS2_PT_PKS3_PKT0_S9_ifPKiSB_iPKfiiiSD_SD_iiiii,comdat
	.protected	_ZN4vllm25paged_attention_v2_kernelIthLi96ELi16ELi128ELNS_18Fp8KVCacheDataTypeE1ELb1ELi512EEEvPfS2_PT_PKS3_PKT0_S9_ifPKiSB_iPKfiiiSD_SD_iiiii ; -- Begin function _ZN4vllm25paged_attention_v2_kernelIthLi96ELi16ELi128ELNS_18Fp8KVCacheDataTypeE1ELb1ELi512EEEvPfS2_PT_PKS3_PKT0_S9_ifPKiSB_iPKfiiiSD_SD_iiiii
	.globl	_ZN4vllm25paged_attention_v2_kernelIthLi96ELi16ELi128ELNS_18Fp8KVCacheDataTypeE1ELb1ELi512EEEvPfS2_PT_PKS3_PKT0_S9_ifPKiSB_iPKfiiiSD_SD_iiiii
	.p2align	8
	.type	_ZN4vllm25paged_attention_v2_kernelIthLi96ELi16ELi128ELNS_18Fp8KVCacheDataTypeE1ELb1ELi512EEEvPfS2_PT_PKS3_PKT0_S9_ifPKiSB_iPKfiiiSD_SD_iiiii,@function
_ZN4vllm25paged_attention_v2_kernelIthLi96ELi16ELi128ELNS_18Fp8KVCacheDataTypeE1ELb1ELi512EEEvPfS2_PT_PKS3_PKT0_S9_ifPKiSB_iPKfiiiSD_SD_iiiii: ; @_ZN4vllm25paged_attention_v2_kernelIthLi96ELi16ELi128ELNS_18Fp8KVCacheDataTypeE1ELb1ELi512EEEvPfS2_PT_PKS3_PKT0_S9_ifPKiSB_iPKfiiiSD_SD_iiiii
; %bb.0:
	s_load_dwordx2 s[6:7], s[0:1], 0x40
	s_mov_b32 s34, s3
	s_ashr_i32 s35, s3, 31
	s_lshl_b64 s[8:9], s[34:35], 2
	s_waitcnt lgkmcnt(0)
	s_add_u32 s6, s6, s8
	s_addc_u32 s7, s7, s9
	s_load_dword s33, s[6:7], 0x0
	s_lshl_b32 s54, s4, 9
	s_waitcnt lgkmcnt(0)
	s_cmp_ge_i32 s54, s33
	s_cbranch_scc1 .LBB266_453
; %bb.1:
	s_load_dword s5, s[0:1], 0x90
	s_load_dwordx2 s[42:43], s[0:1], 0x30
	s_mov_b32 s55, 0
	s_waitcnt lgkmcnt(0)
	s_abs_i32 s7, s5
	s_abs_i32 s3, s42
	v_cvt_f32_u32_e32 v1, s3
	s_sub_i32 s8, 0, s3
	s_xor_b32 s6, s5, s42
	s_ashr_i32 s6, s6, 31
	v_rcp_iflag_f32_e32 v1, v1
	s_nop 0
	v_mul_f32_e32 v1, 0x4f7ffffe, v1
	v_cvt_u32_f32_e32 v1, v1
	s_nop 0
	v_readfirstlane_b32 s9, v1
	s_mul_i32 s8, s8, s9
	s_mul_hi_u32 s8, s9, s8
	s_add_i32 s9, s9, s8
	s_mul_hi_u32 s8, s7, s9
	s_mul_i32 s9, s8, s3
	s_sub_i32 s7, s7, s9
	s_add_i32 s10, s8, 1
	s_sub_i32 s9, s7, s3
	s_cmp_ge_u32 s7, s3
	s_cselect_b32 s8, s10, s8
	s_cselect_b32 s7, s9, s7
	s_add_i32 s9, s8, 1
	s_cmp_ge_u32 s7, s3
	s_cselect_b32 s3, s9, s8
	s_xor_b32 s3, s3, s6
	s_sub_i32 s11, s3, s6
	s_abs_i32 s8, s11
	v_cvt_f32_u32_e32 v1, s8
	s_load_dwordx2 s[6:7], s[0:1], 0x50
	s_sub_i32 s3, 0, s8
	s_abs_i32 s9, s2
	v_rcp_iflag_f32_e32 v1, v1
	s_nop 0
	v_mul_f32_e32 v1, 0x4f7ffffe, v1
	v_cvt_u32_f32_e32 v1, v1
	s_nop 0
	v_readfirstlane_b32 s10, v1
	s_mul_i32 s3, s3, s10
	s_mul_hi_u32 s3, s10, s3
	s_add_i32 s10, s10, s3
	s_waitcnt lgkmcnt(0)
	s_cmp_eq_u64 s[6:7], 0
	s_mul_hi_u32 s10, s9, s10
	s_cbranch_scc1 .LBB266_3
; %bb.2:
	s_ashr_i32 s3, s2, 31
	s_lshl_b64 s[12:13], s[2:3], 2
	s_add_u32 s6, s6, s12
	s_addc_u32 s7, s7, s13
	s_load_dword s55, s[6:7], 0x0
.LBB266_3:
	s_load_dwordx4 s[16:19], s[0:1], 0x58
	s_ashr_i32 s3, s2, 31
	s_ashr_i32 s11, s11, 31
	v_and_b32_e32 v9, 3, v0
	s_mul_i32 s28, s2, 0x60
	v_cmp_gt_u32_e32 vcc, 48, v0
	s_and_saveexec_b64 s[6:7], vcc
	s_cbranch_execz .LBB266_5
; %bb.4:
	s_load_dwordx2 s[12:13], s[0:1], 0x18
	s_waitcnt lgkmcnt(0)
	s_mul_i32 s14, s34, s16
	s_ashr_i32 s15, s14, 31
	s_lshl_b64 s[14:15], s[14:15], 1
	v_lshlrev_b32_e32 v1, 2, v0
	s_add_u32 s14, s12, s14
	s_addc_u32 s15, s13, s15
	s_ashr_i32 s29, s28, 31
	s_lshl_b64 s[12:13], s[28:29], 1
	s_add_u32 s12, s14, s12
	s_addc_u32 s13, s15, s13
	global_load_dword v1, v1, s[12:13]
	v_and_b32_e32 v2, 0x3fc, v0
	v_mad_u32_u24 v2, v9, 48, v2
	s_waitcnt vmcnt(0)
	ds_write_b32 v2, v1
.LBB266_5:
	s_or_b64 exec, exec, s[6:7]
	s_mul_i32 s6, s10, s8
	s_sub_i32 s6, s9, s6
	s_xor_b32 s3, s3, s11
	s_add_i32 s7, s10, 1
	s_sub_i32 s9, s6, s8
	s_load_dwordx4 s[20:23], s[0:1], 0x78
	s_cmp_ge_u32 s6, s8
	s_cselect_b32 s7, s7, s10
	s_cselect_b32 s6, s9, s6
	s_add_i32 s9, s7, 1
	s_cmp_ge_u32 s6, s8
	s_cselect_b32 s6, s9, s7
	s_load_dword s9, s[0:1], 0x88
	s_waitcnt lgkmcnt(0)
	s_abs_i32 s29, s23
	v_cvt_f32_u32_e32 v1, s29
	s_xor_b32 s6, s6, s3
	s_sub_i32 s53, s6, s3
	s_sub_i32 s6, 0, s29
	v_rcp_iflag_f32_e32 v1, v1
	s_add_i32 s10, s33, -1
	s_abs_i32 s3, s10
	v_mul_f32_e32 v1, 0x4f7ffffe, v1
	v_cvt_u32_f32_e32 v1, v1
	s_barrier
	v_readfirstlane_b32 s35, v1
	s_mul_i32 s6, s6, s35
	s_mul_hi_u32 s6, s35, s6
	s_add_i32 s35, s35, s6
	s_cmp_lt_i32 s9, 0
	s_mul_hi_u32 s8, s3, s35
	s_cbranch_scc0 .LBB266_7
; %bb.6:
	s_mul_i32 s6, s20, s42
	s_add_i32 s6, s53, s6
	s_mul_i32 s6, s6, s9
	s_sub_i32 s42, 1, s6
	s_mov_b64 s[6:7], 0
	s_branch .LBB266_8
.LBB266_7:
	s_mov_b64 s[6:7], -1
                                        ; implicit-def: $sgpr42
.LBB266_8:
	s_load_dwordx2 s[36:37], s[0:1], 0x38
	s_ashr_i32 s10, s10, 31
	s_andn2_b64 vcc, exec, s[6:7]
	s_ashr_i32 s23, s23, 31
	s_cbranch_vccnz .LBB266_10
; %bb.9:
	s_mul_i32 s6, s5, s20
	s_add_i32 s6, s6, s2
	s_mul_i32 s6, s6, s9
	s_add_i32 s42, s6, 1
.LBB266_10:
	s_load_dwordx2 s[40:41], s[0:1], 0x28
	s_load_dword s6, s[0:1], 0x48
	s_load_dwordx4 s[24:27], s[0:1], 0x0
	s_load_dwordx2 s[30:31], s[0:1], 0x10
	s_load_dword s20, s[0:1], 0x98
	s_load_dwordx4 s[12:15], s[0:1], 0x68
	s_mul_i32 s7, s8, s29
	s_waitcnt lgkmcnt(0)
	s_mul_i32 s38, s34, s6
	s_sub_i32 s3, s3, s7
	s_ashr_i32 s39, s38, 31
	s_xor_b32 s6, s10, s23
	s_add_i32 s7, s8, 1
	s_sub_i32 s9, s3, s29
	s_cmp_ge_u32 s3, s29
	s_cselect_b32 s7, s7, s8
	s_cselect_b32 s3, s9, s3
	s_add_i32 s8, s7, 1
	s_cmp_ge_u32 s3, s29
	s_cselect_b32 s3, s8, s7
	s_xor_b32 s3, s3, s6
	s_sub_i32 s16, s3, s6
	s_add_i32 s3, s33, 15
	s_ashr_i32 s6, s3, 31
	s_lshr_b32 s6, s6, 28
	s_add_i32 s3, s3, s6
	s_lshl_b32 s56, s4, 5
	s_ashr_i32 s3, s3, 4
	s_add_i32 s6, s56, 32
	v_lshrrev_b32_e32 v14, 6, v0
	s_min_i32 s52, s6, s3
	v_or_b32_e32 v6, s56, v14
	v_cmp_gt_i32_e64 s[8:9], s52, v6
	v_mov_b32_e32 v18, 0xff7fffff
	s_mul_i32 s53, s53, s18
	v_ashrrev_i32_e32 v7, 31, v6
	v_lshl_add_u32 v1, v14, 4, s54
	v_mbcnt_lo_u32_b32 v15, -1, 0
	s_and_saveexec_b64 s[18:19], s[8:9]
	s_cbranch_execz .LBB266_212
; %bb.11:
	s_load_dwordx2 s[0:1], s[0:1], 0x20
	s_sub_i32 s57, s16, s21
	s_ashr_i32 s6, s53, 31
	v_bfe_u32 v16, v0, 2, 4
	v_lshlrev_b32_e32 v2, 4, v16
	s_waitcnt lgkmcnt(0)
	s_add_u32 s0, s0, s53
	s_addc_u32 s1, s1, s6
	s_abs_i32 s58, s22
	v_cvt_f32_u32_e32 v4, s58
	v_mov_b32_e32 v3, 0
	v_cmp_eq_u32_e32 vcc, 0, v9
	s_mov_b32 s59, s17
	v_rcp_iflag_f32_e32 v10, v4
	v_lshl_add_u64 v[4:5], s[0:1], 0, v[2:3]
	s_sub_i32 s0, 0, s58
	v_lshlrev_b32_e32 v8, 1, v9
	v_mul_f32_e32 v2, 0x4f7ffffe, v10
	v_cvt_u32_f32_e32 v2, v2
	v_mul_u32_u24_e32 v17, 48, v9
	v_cmp_neq_f32_e64 s[6:7], s55, 0
	v_mov_b32_e32 v9, v3
	v_mul_lo_u32 v10, s0, v2
	v_mul_hi_u32 v10, v2, v10
	v_add_u32_e32 v19, v2, v10
	s_lshl_b64 s[0:1], s[38:39], 2
	v_lshlrev_b32_e32 v2, 2, v16
	s_add_u32 s0, s36, s0
	v_lshl_or_b32 v2, v14, 6, v2
	s_addc_u32 s1, s37, s1
	v_add_u32_e32 v21, 0xd0, v2
	v_subrev_u32_e32 v2, s33, v16
	v_lshl_add_u64 v[10:11], v[6:7], 2, s[0:1]
	v_lshl_add_u32 v20, v14, 4, s54
	v_add_u32_e32 v22, 1, v2
	s_mov_b64 s[44:45], 0
	v_mov_b32_e32 v23, 0xff7fffff
	s_movk_i32 s60, 0x7f
	s_movk_i32 s61, 0x80
	s_mov_b32 s62, 0x8000
	v_mov_b32_e32 v24, 0x1c00
	v_mbcnt_hi_u32_b32 v25, -1, v15
	v_mov_b32_e32 v18, 0xff7fffff
	v_mov_b32_e32 v26, v6
	s_branch .LBB266_14
.LBB266_12:                             ;   in Loop: Header=BB266_14 Depth=1
	s_or_b64 exec, exec, s[46:47]
.LBB266_13:                             ;   in Loop: Header=BB266_14 Depth=1
	s_or_b64 exec, exec, s[10:11]
	v_add_u32_e32 v26, 2, v26
	v_cmp_le_i32_e64 s[0:1], s52, v26
	v_lshl_add_u64 v[10:11], v[10:11], 0, 8
	v_add_u32_e32 v20, 32, v20
	s_or_b64 s[44:45], s[0:1], s[44:45]
	v_add_u32_e32 v21, 0x80, v21
	s_andn2_b64 exec, exec, s[44:45]
	s_cbranch_execz .LBB266_211
.LBB266_14:                             ; =>This Inner Loop Header: Depth=1
	s_waitcnt lgkmcnt(0)
	v_sub_u32_e32 v12, 0, v20
	v_max_i32_e32 v12, v20, v12
	v_mul_hi_u32 v13, v12, s35
	v_mul_lo_u32 v27, v13, s29
	v_sub_u32_e32 v12, v12, v27
	v_add_u32_e32 v27, 1, v13
	v_cmp_le_u32_e64 s[0:1], s29, v12
	v_ashrrev_i32_e32 v2, 31, v20
	v_xor_b32_e32 v2, s23, v2
	v_cndmask_b32_e64 v13, v13, v27, s[0:1]
	v_subrev_u32_e32 v27, s29, v12
	v_cndmask_b32_e64 v12, v12, v27, s[0:1]
	v_add_u32_e32 v27, 1, v13
	v_cmp_le_u32_e64 s[0:1], s29, v12
	s_nop 1
	v_cndmask_b32_e64 v12, v13, v27, s[0:1]
	v_xor_b32_e32 v12, v12, v2
	v_sub_u32_e32 v2, v12, v2
	v_add_u32_e32 v12, s42, v2
	v_sub_u32_e32 v27, 0, v12
	v_ashrrev_i32_e32 v13, 31, v12
	v_max_i32_e32 v12, v12, v27
	v_mul_hi_u32 v27, v12, v19
	v_mul_lo_u32 v27, v27, s58
	v_sub_u32_e32 v12, v12, v27
	v_subrev_u32_e32 v27, s58, v12
	v_cmp_le_u32_e64 s[0:1], s58, v12
	v_cmp_ge_i32_e64 s[10:11], s57, v2
	s_nop 0
	v_cndmask_b32_e64 v12, v12, v27, s[0:1]
	v_subrev_u32_e32 v27, s58, v12
	v_cmp_le_u32_e64 s[0:1], s58, v12
	s_nop 1
	v_cndmask_b32_e64 v12, v12, v27, s[0:1]
	v_xor_b32_e32 v12, v12, v13
	v_sub_u32_e32 v12, v12, v13
	v_cmp_ne_u32_e64 s[0:1], 0, v12
	s_and_b64 s[0:1], s[0:1], s[10:11]
	s_and_b64 s[46:47], vcc, s[0:1]
	s_and_saveexec_b64 s[10:11], s[46:47]
	s_cbranch_execz .LBB266_16
; %bb.15:                               ;   in Loop: Header=BB266_14 Depth=1
	ds_write_b32 v21, v23
.LBB266_16:                             ;   in Loop: Header=BB266_14 Depth=1
	s_or_b64 exec, exec, s[10:11]
	s_xor_b64 s[0:1], s[0:1], -1
	s_and_saveexec_b64 s[10:11], s[0:1]
	s_cbranch_execz .LBB266_13
; %bb.17:                               ;   in Loop: Header=BB266_14 Depth=1
	global_load_dword v2, v[10:11], off
                                        ; implicit-def: $sgpr50
	s_waitcnt vmcnt(0)
	v_mad_i64_i32 v[12:13], s[0:1], v2, s59, v[4:5]
	v_lshl_add_u64 v[12:13], v[12:13], 0, v[8:9]
	global_load_ushort v2, v[12:13], off
	global_load_dword v27, v3, s[12:13]
	s_mov_b64 s[0:1], 0
	s_waitcnt vmcnt(1)
	v_cmp_gt_i16_sdwa s[46:47], v2, s60 src0_sel:BYTE_0 src1_sel:DWORD
	s_and_saveexec_b64 s[48:49], s[46:47]
	s_xor_b64 s[46:47], exec, s[48:49]
	s_cbranch_execnz .LBB266_115
; %bb.18:                               ;   in Loop: Header=BB266_14 Depth=1
	s_or_saveexec_b64 s[46:47], s[46:47]
	v_mov_b32_e32 v28, s50
	s_xor_b64 exec, exec, s[46:47]
	s_cbranch_execnz .LBB266_118
.LBB266_19:                             ;   in Loop: Header=BB266_14 Depth=1
	s_or_b64 exec, exec, s[46:47]
	v_and_b32_e32 v2, 0xffff, v2
	s_and_saveexec_b64 s[46:47], s[0:1]
	s_cbranch_execz .LBB266_21
.LBB266_20:                             ;   in Loop: Header=BB266_14 Depth=1
	v_and_b32_e32 v30, 7, v2
	v_ffbh_u32_e32 v28, v30
	v_min_u32_e32 v32, 32, v28
	v_subrev_u32_e32 v28, 28, v32
	v_bfe_u32 v31, v2, 3, 4
	v_lshlrev_b64 v[28:29], v28, v[2:3]
	v_sub_u32_e32 v29, 29, v32
	v_cmp_eq_u32_e64 s[0:1], 0, v31
	v_and_b32_e32 v28, 7, v28
	s_nop 0
	v_cndmask_b32_e64 v29, v31, v29, s[0:1]
	v_cndmask_b32_e64 v28, v30, v28, s[0:1]
	v_lshlrev_b32_e32 v30, 8, v2
	v_lshl_add_u32 v29, v29, 10, v24
	v_and_or_b32 v29, v30, s62, v29
	v_lshl_or_b32 v28, v28, 7, v29
	v_cvt_f32_f16_e32 v28, v28
.LBB266_21:                             ;   in Loop: Header=BB266_14 Depth=1
	s_or_b64 exec, exec, s[46:47]
	v_lshrrev_b16_e32 v2, 8, v2
	v_cmp_lt_i16_e64 s[0:1], s60, v2
	s_mov_b64 s[46:47], 0
                                        ; implicit-def: $sgpr63
	s_and_saveexec_b64 s[48:49], s[0:1]
	s_xor_b64 s[48:49], exec, s[48:49]
	s_cbranch_execnz .LBB266_119
; %bb.22:                               ;   in Loop: Header=BB266_14 Depth=1
	s_or_saveexec_b64 s[48:49], s[48:49]
	v_mov_b32_e32 v29, s63
	s_xor_b64 exec, exec, s[48:49]
	s_cbranch_execnz .LBB266_122
.LBB266_23:                             ;   in Loop: Header=BB266_14 Depth=1
	s_or_b64 exec, exec, s[48:49]
	s_and_saveexec_b64 s[48:49], s[46:47]
	s_cbranch_execz .LBB266_25
.LBB266_24:                             ;   in Loop: Header=BB266_14 Depth=1
	v_and_b32_e32 v29, 7, v2
	v_ffbh_u32_e32 v30, v29
	v_min_u32_e32 v33, 32, v30
	v_subrev_u32_e32 v30, 28, v33
	v_bfe_u32 v32, v2, 3, 4
	v_lshlrev_b64 v[30:31], v30, v[2:3]
	v_sub_u32_e32 v31, 29, v33
	v_cmp_eq_u32_e64 s[0:1], 0, v32
	v_and_b32_e32 v30, 7, v30
	v_lshlrev_b32_e32 v2, 8, v2
	v_cndmask_b32_e64 v31, v32, v31, s[0:1]
	v_cndmask_b32_e64 v29, v29, v30, s[0:1]
	v_lshl_add_u32 v30, v31, 10, v24
	v_and_or_b32 v2, v2, s62, v30
	v_lshl_or_b32 v2, v29, 7, v2
	v_cvt_f32_f16_e32 v29, v2
.LBB266_25:                             ;   in Loop: Header=BB266_14 Depth=1
	s_or_b64 exec, exec, s[48:49]
	global_load_ushort v2, v[12:13], off offset:8
	s_mov_b64 s[0:1], 0
                                        ; implicit-def: $sgpr50
	s_waitcnt vmcnt(0)
	v_cmp_gt_i16_sdwa s[46:47], v2, s60 src0_sel:BYTE_0 src1_sel:DWORD
	s_and_saveexec_b64 s[48:49], s[46:47]
	s_xor_b64 s[46:47], exec, s[48:49]
	s_cbranch_execnz .LBB266_123
; %bb.26:                               ;   in Loop: Header=BB266_14 Depth=1
	s_or_saveexec_b64 s[46:47], s[46:47]
	v_mov_b32_e32 v30, s50
	s_xor_b64 exec, exec, s[46:47]
	s_cbranch_execnz .LBB266_126
.LBB266_27:                             ;   in Loop: Header=BB266_14 Depth=1
	s_or_b64 exec, exec, s[46:47]
	v_and_b32_e32 v2, 0xffff, v2
	s_and_saveexec_b64 s[46:47], s[0:1]
	s_cbranch_execz .LBB266_29
.LBB266_28:                             ;   in Loop: Header=BB266_14 Depth=1
	v_and_b32_e32 v32, 7, v2
	v_ffbh_u32_e32 v30, v32
	v_min_u32_e32 v34, 32, v30
	v_subrev_u32_e32 v30, 28, v34
	v_bfe_u32 v33, v2, 3, 4
	v_lshlrev_b64 v[30:31], v30, v[2:3]
	v_sub_u32_e32 v31, 29, v34
	v_cmp_eq_u32_e64 s[0:1], 0, v33
	v_and_b32_e32 v30, 7, v30
	s_nop 0
	v_cndmask_b32_e64 v31, v33, v31, s[0:1]
	v_cndmask_b32_e64 v30, v32, v30, s[0:1]
	v_lshlrev_b32_e32 v32, 8, v2
	v_lshl_add_u32 v31, v31, 10, v24
	v_and_or_b32 v31, v32, s62, v31
	v_lshl_or_b32 v30, v30, 7, v31
	v_cvt_f32_f16_e32 v30, v30
.LBB266_29:                             ;   in Loop: Header=BB266_14 Depth=1
	s_or_b64 exec, exec, s[46:47]
	v_lshrrev_b16_e32 v2, 8, v2
	v_cmp_lt_i16_e64 s[0:1], s60, v2
	s_mov_b64 s[46:47], 0
                                        ; implicit-def: $sgpr63
	s_and_saveexec_b64 s[48:49], s[0:1]
	s_xor_b64 s[48:49], exec, s[48:49]
	s_cbranch_execnz .LBB266_127
; %bb.30:                               ;   in Loop: Header=BB266_14 Depth=1
	s_or_saveexec_b64 s[48:49], s[48:49]
	v_mov_b32_e32 v31, s63
	s_xor_b64 exec, exec, s[48:49]
	s_cbranch_execnz .LBB266_130
.LBB266_31:                             ;   in Loop: Header=BB266_14 Depth=1
	s_or_b64 exec, exec, s[48:49]
	s_and_saveexec_b64 s[48:49], s[46:47]
	s_cbranch_execz .LBB266_33
.LBB266_32:                             ;   in Loop: Header=BB266_14 Depth=1
	v_and_b32_e32 v31, 7, v2
	v_ffbh_u32_e32 v32, v31
	v_min_u32_e32 v35, 32, v32
	v_subrev_u32_e32 v32, 28, v35
	v_bfe_u32 v34, v2, 3, 4
	v_lshlrev_b64 v[32:33], v32, v[2:3]
	v_sub_u32_e32 v33, 29, v35
	v_cmp_eq_u32_e64 s[0:1], 0, v34
	v_and_b32_e32 v32, 7, v32
	v_lshlrev_b32_e32 v2, 8, v2
	v_cndmask_b32_e64 v33, v34, v33, s[0:1]
	v_cndmask_b32_e64 v31, v31, v32, s[0:1]
	v_lshl_add_u32 v32, v33, 10, v24
	v_and_or_b32 v2, v2, s62, v32
	v_lshl_or_b32 v2, v31, 7, v2
	v_cvt_f32_f16_e32 v31, v2
.LBB266_33:                             ;   in Loop: Header=BB266_14 Depth=1
	s_or_b64 exec, exec, s[48:49]
	global_load_ushort v2, v[12:13], off offset:256
	s_mov_b64 s[0:1], 0
                                        ; implicit-def: $sgpr50
	s_waitcnt vmcnt(0)
	v_cmp_gt_i16_sdwa s[46:47], v2, s60 src0_sel:BYTE_0 src1_sel:DWORD
	s_and_saveexec_b64 s[48:49], s[46:47]
	s_xor_b64 s[46:47], exec, s[48:49]
	s_cbranch_execnz .LBB266_131
; %bb.34:                               ;   in Loop: Header=BB266_14 Depth=1
	s_or_saveexec_b64 s[46:47], s[46:47]
	v_mov_b32_e32 v32, s50
	s_xor_b64 exec, exec, s[46:47]
	s_cbranch_execnz .LBB266_134
.LBB266_35:                             ;   in Loop: Header=BB266_14 Depth=1
	s_or_b64 exec, exec, s[46:47]
	v_and_b32_e32 v2, 0xffff, v2
	s_and_saveexec_b64 s[46:47], s[0:1]
	s_cbranch_execz .LBB266_37
.LBB266_36:                             ;   in Loop: Header=BB266_14 Depth=1
	v_and_b32_e32 v34, 7, v2
	v_ffbh_u32_e32 v32, v34
	v_min_u32_e32 v36, 32, v32
	v_subrev_u32_e32 v32, 28, v36
	v_bfe_u32 v35, v2, 3, 4
	v_lshlrev_b64 v[32:33], v32, v[2:3]
	v_sub_u32_e32 v33, 29, v36
	v_cmp_eq_u32_e64 s[0:1], 0, v35
	v_and_b32_e32 v32, 7, v32
	s_nop 0
	v_cndmask_b32_e64 v33, v35, v33, s[0:1]
	v_cndmask_b32_e64 v32, v34, v32, s[0:1]
	v_lshlrev_b32_e32 v34, 8, v2
	v_lshl_add_u32 v33, v33, 10, v24
	v_and_or_b32 v33, v34, s62, v33
	v_lshl_or_b32 v32, v32, 7, v33
	v_cvt_f32_f16_e32 v32, v32
.LBB266_37:                             ;   in Loop: Header=BB266_14 Depth=1
	s_or_b64 exec, exec, s[46:47]
	v_lshrrev_b16_e32 v2, 8, v2
	v_cmp_lt_i16_e64 s[0:1], s60, v2
	s_mov_b64 s[46:47], 0
                                        ; implicit-def: $sgpr63
	s_and_saveexec_b64 s[48:49], s[0:1]
	s_xor_b64 s[48:49], exec, s[48:49]
	s_cbranch_execnz .LBB266_135
; %bb.38:                               ;   in Loop: Header=BB266_14 Depth=1
	s_or_saveexec_b64 s[48:49], s[48:49]
	v_mov_b32_e32 v33, s63
	s_xor_b64 exec, exec, s[48:49]
	s_cbranch_execnz .LBB266_138
.LBB266_39:                             ;   in Loop: Header=BB266_14 Depth=1
	s_or_b64 exec, exec, s[48:49]
	s_and_saveexec_b64 s[48:49], s[46:47]
	s_cbranch_execz .LBB266_41
.LBB266_40:                             ;   in Loop: Header=BB266_14 Depth=1
	v_and_b32_e32 v33, 7, v2
	v_ffbh_u32_e32 v34, v33
	v_min_u32_e32 v37, 32, v34
	v_subrev_u32_e32 v34, 28, v37
	v_bfe_u32 v36, v2, 3, 4
	v_lshlrev_b64 v[34:35], v34, v[2:3]
	v_sub_u32_e32 v35, 29, v37
	v_cmp_eq_u32_e64 s[0:1], 0, v36
	v_and_b32_e32 v34, 7, v34
	v_lshlrev_b32_e32 v2, 8, v2
	v_cndmask_b32_e64 v35, v36, v35, s[0:1]
	v_cndmask_b32_e64 v33, v33, v34, s[0:1]
	v_lshl_add_u32 v34, v35, 10, v24
	v_and_or_b32 v2, v2, s62, v34
	v_lshl_or_b32 v2, v33, 7, v2
	v_cvt_f32_f16_e32 v33, v2
.LBB266_41:                             ;   in Loop: Header=BB266_14 Depth=1
	s_or_b64 exec, exec, s[48:49]
	global_load_ushort v2, v[12:13], off offset:264
	s_mov_b64 s[0:1], 0
                                        ; implicit-def: $sgpr50
	s_waitcnt vmcnt(0)
	v_cmp_gt_i16_sdwa s[46:47], v2, s60 src0_sel:BYTE_0 src1_sel:DWORD
	s_and_saveexec_b64 s[48:49], s[46:47]
	s_xor_b64 s[46:47], exec, s[48:49]
	s_cbranch_execnz .LBB266_139
; %bb.42:                               ;   in Loop: Header=BB266_14 Depth=1
	s_or_saveexec_b64 s[46:47], s[46:47]
	v_mov_b32_e32 v34, s50
	s_xor_b64 exec, exec, s[46:47]
	s_cbranch_execnz .LBB266_142
.LBB266_43:                             ;   in Loop: Header=BB266_14 Depth=1
	s_or_b64 exec, exec, s[46:47]
	v_and_b32_e32 v2, 0xffff, v2
	s_and_saveexec_b64 s[46:47], s[0:1]
	s_cbranch_execz .LBB266_45
.LBB266_44:                             ;   in Loop: Header=BB266_14 Depth=1
	v_and_b32_e32 v36, 7, v2
	v_ffbh_u32_e32 v34, v36
	v_min_u32_e32 v38, 32, v34
	v_subrev_u32_e32 v34, 28, v38
	v_bfe_u32 v37, v2, 3, 4
	v_lshlrev_b64 v[34:35], v34, v[2:3]
	v_sub_u32_e32 v35, 29, v38
	v_cmp_eq_u32_e64 s[0:1], 0, v37
	v_and_b32_e32 v34, 7, v34
	s_nop 0
	v_cndmask_b32_e64 v35, v37, v35, s[0:1]
	v_cndmask_b32_e64 v34, v36, v34, s[0:1]
	v_lshlrev_b32_e32 v36, 8, v2
	v_lshl_add_u32 v35, v35, 10, v24
	v_and_or_b32 v35, v36, s62, v35
	v_lshl_or_b32 v34, v34, 7, v35
	v_cvt_f32_f16_e32 v34, v34
.LBB266_45:                             ;   in Loop: Header=BB266_14 Depth=1
	s_or_b64 exec, exec, s[46:47]
	v_lshrrev_b16_e32 v2, 8, v2
	v_cmp_lt_i16_e64 s[0:1], s60, v2
	s_mov_b64 s[46:47], 0
                                        ; implicit-def: $sgpr63
	s_and_saveexec_b64 s[48:49], s[0:1]
	s_xor_b64 s[48:49], exec, s[48:49]
	s_cbranch_execnz .LBB266_143
; %bb.46:                               ;   in Loop: Header=BB266_14 Depth=1
	s_or_saveexec_b64 s[48:49], s[48:49]
	v_mov_b32_e32 v35, s63
	s_xor_b64 exec, exec, s[48:49]
	s_cbranch_execnz .LBB266_146
.LBB266_47:                             ;   in Loop: Header=BB266_14 Depth=1
	s_or_b64 exec, exec, s[48:49]
	s_and_saveexec_b64 s[48:49], s[46:47]
	s_cbranch_execz .LBB266_49
.LBB266_48:                             ;   in Loop: Header=BB266_14 Depth=1
	v_and_b32_e32 v35, 7, v2
	v_ffbh_u32_e32 v36, v35
	v_min_u32_e32 v39, 32, v36
	v_subrev_u32_e32 v36, 28, v39
	v_bfe_u32 v38, v2, 3, 4
	v_lshlrev_b64 v[36:37], v36, v[2:3]
	v_sub_u32_e32 v37, 29, v39
	v_cmp_eq_u32_e64 s[0:1], 0, v38
	v_and_b32_e32 v36, 7, v36
	v_lshlrev_b32_e32 v2, 8, v2
	v_cndmask_b32_e64 v37, v38, v37, s[0:1]
	v_cndmask_b32_e64 v35, v35, v36, s[0:1]
	v_lshl_add_u32 v36, v37, 10, v24
	v_and_or_b32 v2, v2, s62, v36
	v_lshl_or_b32 v2, v35, 7, v2
	v_cvt_f32_f16_e32 v35, v2
.LBB266_49:                             ;   in Loop: Header=BB266_14 Depth=1
	s_or_b64 exec, exec, s[48:49]
	global_load_ushort v2, v[12:13], off offset:512
	s_mov_b64 s[0:1], 0
                                        ; implicit-def: $sgpr50
	s_waitcnt vmcnt(0)
	v_cmp_gt_i16_sdwa s[46:47], v2, s60 src0_sel:BYTE_0 src1_sel:DWORD
	s_and_saveexec_b64 s[48:49], s[46:47]
	s_xor_b64 s[46:47], exec, s[48:49]
	s_cbranch_execnz .LBB266_147
; %bb.50:                               ;   in Loop: Header=BB266_14 Depth=1
	s_or_saveexec_b64 s[46:47], s[46:47]
	v_mov_b32_e32 v36, s50
	s_xor_b64 exec, exec, s[46:47]
	s_cbranch_execnz .LBB266_150
.LBB266_51:                             ;   in Loop: Header=BB266_14 Depth=1
	s_or_b64 exec, exec, s[46:47]
	v_and_b32_e32 v2, 0xffff, v2
	s_and_saveexec_b64 s[46:47], s[0:1]
	s_cbranch_execz .LBB266_53
.LBB266_52:                             ;   in Loop: Header=BB266_14 Depth=1
	v_and_b32_e32 v38, 7, v2
	v_ffbh_u32_e32 v36, v38
	v_min_u32_e32 v40, 32, v36
	v_subrev_u32_e32 v36, 28, v40
	v_bfe_u32 v39, v2, 3, 4
	v_lshlrev_b64 v[36:37], v36, v[2:3]
	v_sub_u32_e32 v37, 29, v40
	v_cmp_eq_u32_e64 s[0:1], 0, v39
	v_and_b32_e32 v36, 7, v36
	s_nop 0
	v_cndmask_b32_e64 v37, v39, v37, s[0:1]
	v_cndmask_b32_e64 v36, v38, v36, s[0:1]
	v_lshlrev_b32_e32 v38, 8, v2
	v_lshl_add_u32 v37, v37, 10, v24
	v_and_or_b32 v37, v38, s62, v37
	v_lshl_or_b32 v36, v36, 7, v37
	v_cvt_f32_f16_e32 v36, v36
.LBB266_53:                             ;   in Loop: Header=BB266_14 Depth=1
	s_or_b64 exec, exec, s[46:47]
	v_lshrrev_b16_e32 v2, 8, v2
	v_cmp_lt_i16_e64 s[0:1], s60, v2
	s_mov_b64 s[46:47], 0
                                        ; implicit-def: $sgpr63
	s_and_saveexec_b64 s[48:49], s[0:1]
	s_xor_b64 s[48:49], exec, s[48:49]
	s_cbranch_execnz .LBB266_151
; %bb.54:                               ;   in Loop: Header=BB266_14 Depth=1
	s_or_saveexec_b64 s[48:49], s[48:49]
	v_mov_b32_e32 v37, s63
	s_xor_b64 exec, exec, s[48:49]
	s_cbranch_execnz .LBB266_154
.LBB266_55:                             ;   in Loop: Header=BB266_14 Depth=1
	s_or_b64 exec, exec, s[48:49]
	s_and_saveexec_b64 s[48:49], s[46:47]
	s_cbranch_execz .LBB266_57
.LBB266_56:                             ;   in Loop: Header=BB266_14 Depth=1
	v_and_b32_e32 v37, 7, v2
	v_ffbh_u32_e32 v38, v37
	v_min_u32_e32 v41, 32, v38
	v_subrev_u32_e32 v38, 28, v41
	v_bfe_u32 v40, v2, 3, 4
	v_lshlrev_b64 v[38:39], v38, v[2:3]
	v_sub_u32_e32 v39, 29, v41
	v_cmp_eq_u32_e64 s[0:1], 0, v40
	v_and_b32_e32 v38, 7, v38
	v_lshlrev_b32_e32 v2, 8, v2
	v_cndmask_b32_e64 v39, v40, v39, s[0:1]
	v_cndmask_b32_e64 v37, v37, v38, s[0:1]
	v_lshl_add_u32 v38, v39, 10, v24
	v_and_or_b32 v2, v2, s62, v38
	v_lshl_or_b32 v2, v37, 7, v2
	v_cvt_f32_f16_e32 v37, v2
.LBB266_57:                             ;   in Loop: Header=BB266_14 Depth=1
	s_or_b64 exec, exec, s[48:49]
	global_load_ushort v2, v[12:13], off offset:520
	s_mov_b64 s[0:1], 0
                                        ; implicit-def: $sgpr50
	s_waitcnt vmcnt(0)
	v_cmp_gt_i16_sdwa s[46:47], v2, s60 src0_sel:BYTE_0 src1_sel:DWORD
	s_and_saveexec_b64 s[48:49], s[46:47]
	s_xor_b64 s[46:47], exec, s[48:49]
	s_cbranch_execnz .LBB266_155
; %bb.58:                               ;   in Loop: Header=BB266_14 Depth=1
	s_or_saveexec_b64 s[46:47], s[46:47]
	v_mov_b32_e32 v38, s50
	s_xor_b64 exec, exec, s[46:47]
	s_cbranch_execnz .LBB266_158
.LBB266_59:                             ;   in Loop: Header=BB266_14 Depth=1
	s_or_b64 exec, exec, s[46:47]
	v_and_b32_e32 v2, 0xffff, v2
	s_and_saveexec_b64 s[46:47], s[0:1]
	s_cbranch_execz .LBB266_61
.LBB266_60:                             ;   in Loop: Header=BB266_14 Depth=1
	v_and_b32_e32 v40, 7, v2
	v_ffbh_u32_e32 v38, v40
	v_min_u32_e32 v42, 32, v38
	v_subrev_u32_e32 v38, 28, v42
	v_bfe_u32 v41, v2, 3, 4
	v_lshlrev_b64 v[38:39], v38, v[2:3]
	v_sub_u32_e32 v39, 29, v42
	v_cmp_eq_u32_e64 s[0:1], 0, v41
	v_and_b32_e32 v38, 7, v38
	s_nop 0
	v_cndmask_b32_e64 v39, v41, v39, s[0:1]
	v_cndmask_b32_e64 v38, v40, v38, s[0:1]
	v_lshlrev_b32_e32 v40, 8, v2
	v_lshl_add_u32 v39, v39, 10, v24
	v_and_or_b32 v39, v40, s62, v39
	v_lshl_or_b32 v38, v38, 7, v39
	v_cvt_f32_f16_e32 v38, v38
.LBB266_61:                             ;   in Loop: Header=BB266_14 Depth=1
	s_or_b64 exec, exec, s[46:47]
	v_lshrrev_b16_e32 v2, 8, v2
	v_cmp_lt_i16_e64 s[0:1], s60, v2
	s_mov_b64 s[46:47], 0
                                        ; implicit-def: $sgpr63
	s_and_saveexec_b64 s[48:49], s[0:1]
	s_xor_b64 s[48:49], exec, s[48:49]
	s_cbranch_execnz .LBB266_159
; %bb.62:                               ;   in Loop: Header=BB266_14 Depth=1
	s_or_saveexec_b64 s[48:49], s[48:49]
	v_mov_b32_e32 v39, s63
	s_xor_b64 exec, exec, s[48:49]
	s_cbranch_execnz .LBB266_162
.LBB266_63:                             ;   in Loop: Header=BB266_14 Depth=1
	s_or_b64 exec, exec, s[48:49]
	s_and_saveexec_b64 s[48:49], s[46:47]
	s_cbranch_execz .LBB266_65
.LBB266_64:                             ;   in Loop: Header=BB266_14 Depth=1
	v_and_b32_e32 v39, 7, v2
	v_ffbh_u32_e32 v40, v39
	v_min_u32_e32 v43, 32, v40
	v_subrev_u32_e32 v40, 28, v43
	v_bfe_u32 v42, v2, 3, 4
	v_lshlrev_b64 v[40:41], v40, v[2:3]
	v_sub_u32_e32 v41, 29, v43
	v_cmp_eq_u32_e64 s[0:1], 0, v42
	v_and_b32_e32 v40, 7, v40
	v_lshlrev_b32_e32 v2, 8, v2
	v_cndmask_b32_e64 v41, v42, v41, s[0:1]
	v_cndmask_b32_e64 v39, v39, v40, s[0:1]
	v_lshl_add_u32 v40, v41, 10, v24
	v_and_or_b32 v2, v2, s62, v40
	v_lshl_or_b32 v2, v39, 7, v2
	v_cvt_f32_f16_e32 v39, v2
.LBB266_65:                             ;   in Loop: Header=BB266_14 Depth=1
	s_or_b64 exec, exec, s[48:49]
	global_load_ushort v2, v[12:13], off offset:768
	s_mov_b64 s[0:1], 0
                                        ; implicit-def: $sgpr50
	s_waitcnt vmcnt(0)
	v_cmp_gt_i16_sdwa s[46:47], v2, s60 src0_sel:BYTE_0 src1_sel:DWORD
	s_and_saveexec_b64 s[48:49], s[46:47]
	s_xor_b64 s[46:47], exec, s[48:49]
	s_cbranch_execnz .LBB266_163
; %bb.66:                               ;   in Loop: Header=BB266_14 Depth=1
	s_or_saveexec_b64 s[46:47], s[46:47]
	v_mov_b32_e32 v40, s50
	s_xor_b64 exec, exec, s[46:47]
	s_cbranch_execnz .LBB266_166
.LBB266_67:                             ;   in Loop: Header=BB266_14 Depth=1
	s_or_b64 exec, exec, s[46:47]
	v_and_b32_e32 v2, 0xffff, v2
	s_and_saveexec_b64 s[46:47], s[0:1]
	s_cbranch_execz .LBB266_69
.LBB266_68:                             ;   in Loop: Header=BB266_14 Depth=1
	v_and_b32_e32 v42, 7, v2
	v_ffbh_u32_e32 v40, v42
	v_min_u32_e32 v44, 32, v40
	v_subrev_u32_e32 v40, 28, v44
	v_bfe_u32 v43, v2, 3, 4
	v_lshlrev_b64 v[40:41], v40, v[2:3]
	v_sub_u32_e32 v41, 29, v44
	v_cmp_eq_u32_e64 s[0:1], 0, v43
	v_and_b32_e32 v40, 7, v40
	s_nop 0
	v_cndmask_b32_e64 v41, v43, v41, s[0:1]
	v_cndmask_b32_e64 v40, v42, v40, s[0:1]
	v_lshlrev_b32_e32 v42, 8, v2
	v_lshl_add_u32 v41, v41, 10, v24
	v_and_or_b32 v41, v42, s62, v41
	v_lshl_or_b32 v40, v40, 7, v41
	v_cvt_f32_f16_e32 v40, v40
.LBB266_69:                             ;   in Loop: Header=BB266_14 Depth=1
	s_or_b64 exec, exec, s[46:47]
	v_lshrrev_b16_e32 v2, 8, v2
	v_cmp_lt_i16_e64 s[0:1], s60, v2
	s_mov_b64 s[46:47], 0
                                        ; implicit-def: $sgpr63
	s_and_saveexec_b64 s[48:49], s[0:1]
	s_xor_b64 s[48:49], exec, s[48:49]
	s_cbranch_execnz .LBB266_167
; %bb.70:                               ;   in Loop: Header=BB266_14 Depth=1
	s_or_saveexec_b64 s[48:49], s[48:49]
	v_mov_b32_e32 v41, s63
	s_xor_b64 exec, exec, s[48:49]
	s_cbranch_execnz .LBB266_170
.LBB266_71:                             ;   in Loop: Header=BB266_14 Depth=1
	s_or_b64 exec, exec, s[48:49]
	s_and_saveexec_b64 s[48:49], s[46:47]
	s_cbranch_execz .LBB266_73
.LBB266_72:                             ;   in Loop: Header=BB266_14 Depth=1
	v_and_b32_e32 v41, 7, v2
	v_ffbh_u32_e32 v42, v41
	v_min_u32_e32 v45, 32, v42
	v_subrev_u32_e32 v42, 28, v45
	v_bfe_u32 v44, v2, 3, 4
	v_lshlrev_b64 v[42:43], v42, v[2:3]
	v_sub_u32_e32 v43, 29, v45
	v_cmp_eq_u32_e64 s[0:1], 0, v44
	v_and_b32_e32 v42, 7, v42
	v_lshlrev_b32_e32 v2, 8, v2
	v_cndmask_b32_e64 v43, v44, v43, s[0:1]
	v_cndmask_b32_e64 v41, v41, v42, s[0:1]
	v_lshl_add_u32 v42, v43, 10, v24
	v_and_or_b32 v2, v2, s62, v42
	v_lshl_or_b32 v2, v41, 7, v2
	v_cvt_f32_f16_e32 v41, v2
.LBB266_73:                             ;   in Loop: Header=BB266_14 Depth=1
	s_or_b64 exec, exec, s[48:49]
	global_load_ushort v2, v[12:13], off offset:776
	s_mov_b64 s[0:1], 0
                                        ; implicit-def: $sgpr50
	s_waitcnt vmcnt(0)
	v_cmp_gt_i16_sdwa s[46:47], v2, s60 src0_sel:BYTE_0 src1_sel:DWORD
	s_and_saveexec_b64 s[48:49], s[46:47]
	s_xor_b64 s[46:47], exec, s[48:49]
	s_cbranch_execnz .LBB266_171
; %bb.74:                               ;   in Loop: Header=BB266_14 Depth=1
	s_or_saveexec_b64 s[46:47], s[46:47]
	v_mov_b32_e32 v42, s50
	s_xor_b64 exec, exec, s[46:47]
	s_cbranch_execnz .LBB266_174
.LBB266_75:                             ;   in Loop: Header=BB266_14 Depth=1
	s_or_b64 exec, exec, s[46:47]
	v_and_b32_e32 v2, 0xffff, v2
	s_and_saveexec_b64 s[46:47], s[0:1]
	s_cbranch_execz .LBB266_77
.LBB266_76:                             ;   in Loop: Header=BB266_14 Depth=1
	v_and_b32_e32 v44, 7, v2
	v_ffbh_u32_e32 v42, v44
	v_min_u32_e32 v46, 32, v42
	v_subrev_u32_e32 v42, 28, v46
	v_bfe_u32 v45, v2, 3, 4
	v_lshlrev_b64 v[42:43], v42, v[2:3]
	v_sub_u32_e32 v43, 29, v46
	v_cmp_eq_u32_e64 s[0:1], 0, v45
	v_and_b32_e32 v42, 7, v42
	s_nop 0
	v_cndmask_b32_e64 v43, v45, v43, s[0:1]
	v_cndmask_b32_e64 v42, v44, v42, s[0:1]
	v_lshlrev_b32_e32 v44, 8, v2
	v_lshl_add_u32 v43, v43, 10, v24
	v_and_or_b32 v43, v44, s62, v43
	v_lshl_or_b32 v42, v42, 7, v43
	v_cvt_f32_f16_e32 v42, v42
.LBB266_77:                             ;   in Loop: Header=BB266_14 Depth=1
	s_or_b64 exec, exec, s[46:47]
	v_lshrrev_b16_e32 v2, 8, v2
	v_cmp_lt_i16_e64 s[0:1], s60, v2
	s_mov_b64 s[46:47], 0
                                        ; implicit-def: $sgpr63
	s_and_saveexec_b64 s[48:49], s[0:1]
	s_xor_b64 s[48:49], exec, s[48:49]
	s_cbranch_execnz .LBB266_175
; %bb.78:                               ;   in Loop: Header=BB266_14 Depth=1
	s_or_saveexec_b64 s[48:49], s[48:49]
	v_mov_b32_e32 v43, s63
	s_xor_b64 exec, exec, s[48:49]
	s_cbranch_execnz .LBB266_178
.LBB266_79:                             ;   in Loop: Header=BB266_14 Depth=1
	s_or_b64 exec, exec, s[48:49]
	s_and_saveexec_b64 s[48:49], s[46:47]
	s_cbranch_execz .LBB266_81
.LBB266_80:                             ;   in Loop: Header=BB266_14 Depth=1
	v_and_b32_e32 v43, 7, v2
	v_ffbh_u32_e32 v44, v43
	v_min_u32_e32 v47, 32, v44
	v_subrev_u32_e32 v44, 28, v47
	v_bfe_u32 v46, v2, 3, 4
	v_lshlrev_b64 v[44:45], v44, v[2:3]
	v_sub_u32_e32 v45, 29, v47
	v_cmp_eq_u32_e64 s[0:1], 0, v46
	v_and_b32_e32 v44, 7, v44
	v_lshlrev_b32_e32 v2, 8, v2
	v_cndmask_b32_e64 v45, v46, v45, s[0:1]
	v_cndmask_b32_e64 v43, v43, v44, s[0:1]
	v_lshl_add_u32 v44, v45, 10, v24
	v_and_or_b32 v2, v2, s62, v44
	v_lshl_or_b32 v2, v43, 7, v2
	v_cvt_f32_f16_e32 v43, v2
.LBB266_81:                             ;   in Loop: Header=BB266_14 Depth=1
	s_or_b64 exec, exec, s[48:49]
	global_load_ushort v2, v[12:13], off offset:1024
	s_mov_b64 s[0:1], 0
                                        ; implicit-def: $sgpr50
	s_waitcnt vmcnt(0)
	v_cmp_gt_i16_sdwa s[46:47], v2, s60 src0_sel:BYTE_0 src1_sel:DWORD
	s_and_saveexec_b64 s[48:49], s[46:47]
	s_xor_b64 s[46:47], exec, s[48:49]
	s_cbranch_execnz .LBB266_179
; %bb.82:                               ;   in Loop: Header=BB266_14 Depth=1
	s_or_saveexec_b64 s[46:47], s[46:47]
	v_mov_b32_e32 v44, s50
	s_xor_b64 exec, exec, s[46:47]
	s_cbranch_execnz .LBB266_182
.LBB266_83:                             ;   in Loop: Header=BB266_14 Depth=1
	s_or_b64 exec, exec, s[46:47]
	v_and_b32_e32 v2, 0xffff, v2
	s_and_saveexec_b64 s[46:47], s[0:1]
	s_cbranch_execz .LBB266_85
.LBB266_84:                             ;   in Loop: Header=BB266_14 Depth=1
	v_and_b32_e32 v46, 7, v2
	v_ffbh_u32_e32 v44, v46
	v_min_u32_e32 v48, 32, v44
	v_subrev_u32_e32 v44, 28, v48
	v_bfe_u32 v47, v2, 3, 4
	v_lshlrev_b64 v[44:45], v44, v[2:3]
	v_sub_u32_e32 v45, 29, v48
	v_cmp_eq_u32_e64 s[0:1], 0, v47
	v_and_b32_e32 v44, 7, v44
	s_nop 0
	v_cndmask_b32_e64 v45, v47, v45, s[0:1]
	v_cndmask_b32_e64 v44, v46, v44, s[0:1]
	v_lshlrev_b32_e32 v46, 8, v2
	v_lshl_add_u32 v45, v45, 10, v24
	v_and_or_b32 v45, v46, s62, v45
	v_lshl_or_b32 v44, v44, 7, v45
	v_cvt_f32_f16_e32 v44, v44
.LBB266_85:                             ;   in Loop: Header=BB266_14 Depth=1
	s_or_b64 exec, exec, s[46:47]
	v_lshrrev_b16_e32 v2, 8, v2
	v_cmp_lt_i16_e64 s[0:1], s60, v2
	s_mov_b64 s[46:47], 0
                                        ; implicit-def: $sgpr63
	s_and_saveexec_b64 s[48:49], s[0:1]
	s_xor_b64 s[48:49], exec, s[48:49]
	s_cbranch_execnz .LBB266_183
; %bb.86:                               ;   in Loop: Header=BB266_14 Depth=1
	s_or_saveexec_b64 s[48:49], s[48:49]
	v_mov_b32_e32 v45, s63
	s_xor_b64 exec, exec, s[48:49]
	s_cbranch_execnz .LBB266_186
.LBB266_87:                             ;   in Loop: Header=BB266_14 Depth=1
	s_or_b64 exec, exec, s[48:49]
	s_and_saveexec_b64 s[48:49], s[46:47]
	s_cbranch_execz .LBB266_89
.LBB266_88:                             ;   in Loop: Header=BB266_14 Depth=1
	v_and_b32_e32 v45, 7, v2
	v_ffbh_u32_e32 v46, v45
	v_min_u32_e32 v49, 32, v46
	v_subrev_u32_e32 v46, 28, v49
	v_bfe_u32 v48, v2, 3, 4
	v_lshlrev_b64 v[46:47], v46, v[2:3]
	v_sub_u32_e32 v47, 29, v49
	v_cmp_eq_u32_e64 s[0:1], 0, v48
	v_and_b32_e32 v46, 7, v46
	v_lshlrev_b32_e32 v2, 8, v2
	v_cndmask_b32_e64 v47, v48, v47, s[0:1]
	v_cndmask_b32_e64 v45, v45, v46, s[0:1]
	v_lshl_add_u32 v46, v47, 10, v24
	v_and_or_b32 v2, v2, s62, v46
	v_lshl_or_b32 v2, v45, 7, v2
	v_cvt_f32_f16_e32 v45, v2
.LBB266_89:                             ;   in Loop: Header=BB266_14 Depth=1
	s_or_b64 exec, exec, s[48:49]
	global_load_ushort v2, v[12:13], off offset:1032
	s_mov_b64 s[0:1], 0
                                        ; implicit-def: $sgpr50
	s_waitcnt vmcnt(0)
	v_cmp_gt_i16_sdwa s[46:47], v2, s60 src0_sel:BYTE_0 src1_sel:DWORD
	s_and_saveexec_b64 s[48:49], s[46:47]
	s_xor_b64 s[46:47], exec, s[48:49]
	s_cbranch_execnz .LBB266_187
; %bb.90:                               ;   in Loop: Header=BB266_14 Depth=1
	s_or_saveexec_b64 s[46:47], s[46:47]
	v_mov_b32_e32 v46, s50
	s_xor_b64 exec, exec, s[46:47]
	s_cbranch_execnz .LBB266_190
.LBB266_91:                             ;   in Loop: Header=BB266_14 Depth=1
	s_or_b64 exec, exec, s[46:47]
	v_and_b32_e32 v2, 0xffff, v2
	s_and_saveexec_b64 s[46:47], s[0:1]
	s_cbranch_execz .LBB266_93
.LBB266_92:                             ;   in Loop: Header=BB266_14 Depth=1
	v_and_b32_e32 v48, 7, v2
	v_ffbh_u32_e32 v46, v48
	v_min_u32_e32 v50, 32, v46
	v_subrev_u32_e32 v46, 28, v50
	v_bfe_u32 v49, v2, 3, 4
	v_lshlrev_b64 v[46:47], v46, v[2:3]
	v_sub_u32_e32 v47, 29, v50
	v_cmp_eq_u32_e64 s[0:1], 0, v49
	v_and_b32_e32 v46, 7, v46
	s_nop 0
	v_cndmask_b32_e64 v47, v49, v47, s[0:1]
	v_cndmask_b32_e64 v46, v48, v46, s[0:1]
	v_lshlrev_b32_e32 v48, 8, v2
	v_lshl_add_u32 v47, v47, 10, v24
	v_and_or_b32 v47, v48, s62, v47
	v_lshl_or_b32 v46, v46, 7, v47
	v_cvt_f32_f16_e32 v46, v46
.LBB266_93:                             ;   in Loop: Header=BB266_14 Depth=1
	s_or_b64 exec, exec, s[46:47]
	v_lshrrev_b16_e32 v2, 8, v2
	v_cmp_lt_i16_e64 s[0:1], s60, v2
	s_mov_b64 s[46:47], 0
                                        ; implicit-def: $sgpr63
	s_and_saveexec_b64 s[48:49], s[0:1]
	s_xor_b64 s[48:49], exec, s[48:49]
	s_cbranch_execnz .LBB266_191
; %bb.94:                               ;   in Loop: Header=BB266_14 Depth=1
	s_or_saveexec_b64 s[48:49], s[48:49]
	v_mov_b32_e32 v47, s63
	s_xor_b64 exec, exec, s[48:49]
	s_cbranch_execnz .LBB266_194
.LBB266_95:                             ;   in Loop: Header=BB266_14 Depth=1
	s_or_b64 exec, exec, s[48:49]
	s_and_saveexec_b64 s[48:49], s[46:47]
	s_cbranch_execz .LBB266_97
.LBB266_96:                             ;   in Loop: Header=BB266_14 Depth=1
	v_and_b32_e32 v47, 7, v2
	v_ffbh_u32_e32 v48, v47
	v_min_u32_e32 v51, 32, v48
	v_subrev_u32_e32 v48, 28, v51
	v_bfe_u32 v50, v2, 3, 4
	v_lshlrev_b64 v[48:49], v48, v[2:3]
	v_sub_u32_e32 v49, 29, v51
	v_cmp_eq_u32_e64 s[0:1], 0, v50
	v_and_b32_e32 v48, 7, v48
	v_lshlrev_b32_e32 v2, 8, v2
	v_cndmask_b32_e64 v49, v50, v49, s[0:1]
	v_cndmask_b32_e64 v47, v47, v48, s[0:1]
	v_lshl_add_u32 v48, v49, 10, v24
	v_and_or_b32 v2, v2, s62, v48
	v_lshl_or_b32 v2, v47, 7, v2
	v_cvt_f32_f16_e32 v47, v2
.LBB266_97:                             ;   in Loop: Header=BB266_14 Depth=1
	s_or_b64 exec, exec, s[48:49]
	global_load_ushort v2, v[12:13], off offset:1280
	s_mov_b64 s[0:1], 0
                                        ; implicit-def: $sgpr50
	s_waitcnt vmcnt(0)
	v_cmp_gt_i16_sdwa s[46:47], v2, s60 src0_sel:BYTE_0 src1_sel:DWORD
	s_and_saveexec_b64 s[48:49], s[46:47]
	s_xor_b64 s[46:47], exec, s[48:49]
	s_cbranch_execnz .LBB266_195
; %bb.98:                               ;   in Loop: Header=BB266_14 Depth=1
	s_or_saveexec_b64 s[46:47], s[46:47]
	v_mov_b32_e32 v48, s50
	s_xor_b64 exec, exec, s[46:47]
	s_cbranch_execnz .LBB266_198
.LBB266_99:                             ;   in Loop: Header=BB266_14 Depth=1
	s_or_b64 exec, exec, s[46:47]
	v_and_b32_e32 v2, 0xffff, v2
	s_and_saveexec_b64 s[46:47], s[0:1]
	s_cbranch_execz .LBB266_101
.LBB266_100:                            ;   in Loop: Header=BB266_14 Depth=1
	v_and_b32_e32 v50, 7, v2
	v_ffbh_u32_e32 v48, v50
	v_min_u32_e32 v52, 32, v48
	v_subrev_u32_e32 v48, 28, v52
	v_bfe_u32 v51, v2, 3, 4
	v_lshlrev_b64 v[48:49], v48, v[2:3]
	v_sub_u32_e32 v49, 29, v52
	v_cmp_eq_u32_e64 s[0:1], 0, v51
	v_and_b32_e32 v48, 7, v48
	s_nop 0
	v_cndmask_b32_e64 v49, v51, v49, s[0:1]
	v_cndmask_b32_e64 v48, v50, v48, s[0:1]
	v_lshlrev_b32_e32 v50, 8, v2
	v_lshl_add_u32 v49, v49, 10, v24
	v_and_or_b32 v49, v50, s62, v49
	v_lshl_or_b32 v48, v48, 7, v49
	v_cvt_f32_f16_e32 v48, v48
.LBB266_101:                            ;   in Loop: Header=BB266_14 Depth=1
	s_or_b64 exec, exec, s[46:47]
	v_lshrrev_b16_e32 v2, 8, v2
	v_cmp_lt_i16_e64 s[0:1], s60, v2
	s_mov_b64 s[46:47], 0
                                        ; implicit-def: $sgpr63
	s_and_saveexec_b64 s[48:49], s[0:1]
	s_xor_b64 s[48:49], exec, s[48:49]
	s_cbranch_execnz .LBB266_199
; %bb.102:                              ;   in Loop: Header=BB266_14 Depth=1
	s_or_saveexec_b64 s[48:49], s[48:49]
	v_mov_b32_e32 v49, s63
	s_xor_b64 exec, exec, s[48:49]
	s_cbranch_execnz .LBB266_202
.LBB266_103:                            ;   in Loop: Header=BB266_14 Depth=1
	s_or_b64 exec, exec, s[48:49]
	s_and_saveexec_b64 s[48:49], s[46:47]
	s_cbranch_execz .LBB266_105
.LBB266_104:                            ;   in Loop: Header=BB266_14 Depth=1
	v_and_b32_e32 v49, 7, v2
	v_ffbh_u32_e32 v50, v49
	v_min_u32_e32 v53, 32, v50
	v_subrev_u32_e32 v50, 28, v53
	v_bfe_u32 v52, v2, 3, 4
	v_lshlrev_b64 v[50:51], v50, v[2:3]
	v_sub_u32_e32 v51, 29, v53
	v_cmp_eq_u32_e64 s[0:1], 0, v52
	v_and_b32_e32 v50, 7, v50
	v_lshlrev_b32_e32 v2, 8, v2
	v_cndmask_b32_e64 v51, v52, v51, s[0:1]
	v_cndmask_b32_e64 v49, v49, v50, s[0:1]
	v_lshl_add_u32 v50, v51, 10, v24
	v_and_or_b32 v2, v2, s62, v50
	v_lshl_or_b32 v2, v49, 7, v2
	v_cvt_f32_f16_e32 v49, v2
.LBB266_105:                            ;   in Loop: Header=BB266_14 Depth=1
	s_or_b64 exec, exec, s[48:49]
	global_load_ushort v2, v[12:13], off offset:1288
	s_mov_b64 s[0:1], 0
                                        ; implicit-def: $sgpr50
	s_waitcnt vmcnt(0)
	v_cmp_gt_i16_sdwa s[46:47], v2, s60 src0_sel:BYTE_0 src1_sel:DWORD
	s_and_saveexec_b64 s[48:49], s[46:47]
	s_xor_b64 s[46:47], exec, s[48:49]
	s_cbranch_execnz .LBB266_203
; %bb.106:                              ;   in Loop: Header=BB266_14 Depth=1
	s_or_saveexec_b64 s[46:47], s[46:47]
	v_mov_b32_e32 v12, s50
	s_xor_b64 exec, exec, s[46:47]
	s_cbranch_execnz .LBB266_206
.LBB266_107:                            ;   in Loop: Header=BB266_14 Depth=1
	s_or_b64 exec, exec, s[46:47]
	v_and_b32_e32 v2, 0xffff, v2
	s_and_saveexec_b64 s[46:47], s[0:1]
	s_cbranch_execz .LBB266_109
.LBB266_108:                            ;   in Loop: Header=BB266_14 Depth=1
	v_and_b32_e32 v50, 7, v2
	v_ffbh_u32_e32 v12, v50
	v_min_u32_e32 v52, 32, v12
	v_subrev_u32_e32 v12, 28, v52
	v_bfe_u32 v51, v2, 3, 4
	v_lshlrev_b64 v[12:13], v12, v[2:3]
	v_sub_u32_e32 v13, 29, v52
	v_cmp_eq_u32_e64 s[0:1], 0, v51
	v_and_b32_e32 v12, 7, v12
	s_nop 0
	v_cndmask_b32_e64 v13, v51, v13, s[0:1]
	v_cndmask_b32_e64 v12, v50, v12, s[0:1]
	v_lshlrev_b32_e32 v50, 8, v2
	v_lshl_add_u32 v13, v13, 10, v24
	v_and_or_b32 v13, v50, s62, v13
	v_lshl_or_b32 v12, v12, 7, v13
	v_cvt_f32_f16_e32 v12, v12
.LBB266_109:                            ;   in Loop: Header=BB266_14 Depth=1
	s_or_b64 exec, exec, s[46:47]
	v_lshrrev_b16_e32 v2, 8, v2
	v_cmp_lt_i16_e64 s[0:1], s60, v2
	s_mov_b64 s[46:47], 0
                                        ; implicit-def: $sgpr63
	s_and_saveexec_b64 s[48:49], s[0:1]
	s_xor_b64 s[48:49], exec, s[48:49]
	s_cbranch_execnz .LBB266_207
; %bb.110:                              ;   in Loop: Header=BB266_14 Depth=1
	s_or_saveexec_b64 s[48:49], s[48:49]
	v_mov_b32_e32 v13, s63
	s_xor_b64 exec, exec, s[48:49]
	s_cbranch_execnz .LBB266_210
.LBB266_111:                            ;   in Loop: Header=BB266_14 Depth=1
	s_or_b64 exec, exec, s[48:49]
	s_and_saveexec_b64 s[48:49], s[46:47]
	s_cbranch_execz .LBB266_113
.LBB266_112:                            ;   in Loop: Header=BB266_14 Depth=1
	v_and_b32_e32 v13, 7, v2
	v_ffbh_u32_e32 v50, v13
	v_min_u32_e32 v53, 32, v50
	v_subrev_u32_e32 v50, 28, v53
	v_bfe_u32 v52, v2, 3, 4
	v_lshlrev_b64 v[50:51], v50, v[2:3]
	v_sub_u32_e32 v51, 29, v53
	v_cmp_eq_u32_e64 s[0:1], 0, v52
	v_and_b32_e32 v50, 7, v50
	v_lshlrev_b32_e32 v2, 8, v2
	v_cndmask_b32_e64 v51, v52, v51, s[0:1]
	v_cndmask_b32_e64 v13, v13, v50, s[0:1]
	v_lshl_add_u32 v50, v51, 10, v24
	v_and_or_b32 v2, v2, s62, v50
	v_lshl_or_b32 v2, v13, 7, v2
	v_cvt_f32_f16_e32 v13, v2
.LBB266_113:                            ;   in Loop: Header=BB266_14 Depth=1
	s_or_b64 exec, exec, s[48:49]
	ds_read_b32 v2, v17
	v_fma_mixlo_f16 v28, v27, v28, 0
	v_fma_mixlo_f16 v29, v27, v29, 0
	v_and_b32_e32 v28, 0xffff, v28
	v_and_b32_e32 v29, 0xffff, v29
	s_waitcnt lgkmcnt(0)
	v_lshrrev_b32_e32 v50, 16, v2
	v_and_b32_e32 v2, 0xffff, v2
	;;#ASMSTART
	v_cvt_f32_f16 v2, v2;
	;;#ASMEND
	;;#ASMSTART
	v_cvt_f32_f16 v50, v50;
	;;#ASMEND
	;;#ASMSTART
	v_cvt_f32_f16 v28, v28;
	;;#ASMEND
	;;#ASMSTART
	v_cvt_f32_f16 v29, v29;
	;;#ASMEND
	ds_read_b32 v51, v17 offset:4
	v_fma_mixlo_f16 v30, v27, v30, 0
	v_fma_mixlo_f16 v31, v27, v31, 0
	v_and_b32_e32 v30, 0xffff, v30
	v_and_b32_e32 v31, 0xffff, v31
	s_waitcnt lgkmcnt(0)
	v_lshrrev_b32_e32 v52, 16, v51
	v_and_b32_e32 v51, 0xffff, v51
	;;#ASMSTART
	v_cvt_f32_f16 v51, v51;
	;;#ASMEND
	;;#ASMSTART
	v_cvt_f32_f16 v52, v52;
	;;#ASMEND
	;;#ASMSTART
	v_cvt_f32_f16 v30, v30;
	;;#ASMEND
	;;#ASMSTART
	v_cvt_f32_f16 v31, v31;
	;;#ASMEND
	ds_read_b32 v53, v17 offset:8
	;; [unrolled: 20-line block ×6, first 2 shown]
	v_fma_mixlo_f16 v48, v27, v48, 0
	v_fma_mixlo_f16 v49, v27, v49, 0
	;; [unrolled: 1-line block ×12, first 2 shown]
	v_mul_f32_e32 v27, v51, v30
	v_fmac_f32_e32 v27, v2, v28
	s_waitcnt lgkmcnt(0)
	v_lshrrev_b32_e32 v2, 16, v61
	v_and_b32_e32 v28, 0xffff, v61
	v_and_b32_e32 v30, 0xffff, v40
	;; [unrolled: 1-line block ×3, first 2 shown]
	;;#ASMSTART
	v_cvt_f32_f16 v28, v28;
	;;#ASMEND
	;;#ASMSTART
	v_cvt_f32_f16 v2, v2;
	;;#ASMEND
	;; [unrolled: 3-line block ×4, first 2 shown]
	ds_read_b32 v41, v17 offset:28
	v_mul_f32_e32 v31, v52, v31
	v_fmac_f32_e32 v31, v50, v29
	v_fmac_f32_e32 v27, v53, v32
	v_fmac_f32_e32 v31, v54, v33
	s_waitcnt lgkmcnt(0)
	v_lshrrev_b32_e32 v29, 16, v41
	v_and_b32_e32 v32, 0xffff, v41
	v_and_b32_e32 v33, 0xffff, v42
	v_and_b32_e32 v41, 0xffff, v43
	;;#ASMSTART
	v_cvt_f32_f16 v32, v32;
	;;#ASMEND
	;;#ASMSTART
	v_cvt_f32_f16 v29, v29;
	;;#ASMEND
	;;#ASMSTART
	v_cvt_f32_f16 v33, v33;
	;;#ASMEND
	;;#ASMSTART
	v_cvt_f32_f16 v41, v41;
	;;#ASMEND
	ds_read_b32 v42, v17 offset:32
	v_fmac_f32_e32 v27, v55, v34
	v_fmac_f32_e32 v31, v56, v35
	v_fmac_f32_e32 v27, v57, v36
	v_fmac_f32_e32 v31, v58, v37
	s_waitcnt lgkmcnt(0)
	v_lshrrev_b32_e32 v34, 16, v42
	v_and_b32_e32 v35, 0xffff, v42
	v_and_b32_e32 v36, 0xffff, v44
	v_and_b32_e32 v37, 0xffff, v45
	;;#ASMSTART
	v_cvt_f32_f16 v35, v35;
	;;#ASMEND
	;;#ASMSTART
	v_cvt_f32_f16 v34, v34;
	;;#ASMEND
	;;#ASMSTART
	v_cvt_f32_f16 v36, v36;
	;;#ASMEND
	;;#ASMSTART
	v_cvt_f32_f16 v37, v37;
	;;#ASMEND
	ds_read_b32 v42, v17 offset:36
	v_fmac_f32_e32 v27, v59, v38
	;; [unrolled: 22-line block ×3, first 2 shown]
	v_fmac_f32_e32 v27, v32, v33
	v_fmac_f32_e32 v31, v34, v37
	v_and_b32_e32 v33, 0xffff, v48
	s_waitcnt lgkmcnt(0)
	v_lshrrev_b32_e32 v29, 16, v39
	v_and_b32_e32 v32, 0xffff, v39
	v_and_b32_e32 v34, 0xffff, v49
	v_fmac_f32_e32 v27, v35, v36
	;;#ASMSTART
	v_cvt_f32_f16 v32, v32;
	;;#ASMEND
	;;#ASMSTART
	v_cvt_f32_f16 v29, v29;
	;;#ASMEND
	;; [unrolled: 3-line block ×4, first 2 shown]
	ds_read_b32 v35, v17 offset:44
	v_fmac_f32_e32 v27, v28, v30
	v_fmac_f32_e32 v31, v2, v38
	v_and_b32_e32 v12, 0xffff, v12
	v_fmac_f32_e32 v27, v32, v33
	s_waitcnt lgkmcnt(0)
	v_lshrrev_b32_e32 v2, 16, v35
	v_and_b32_e32 v28, 0xffff, v35
	;;#ASMSTART
	v_cvt_f32_f16 v28, v28;
	;;#ASMEND
	;;#ASMSTART
	v_cvt_f32_f16 v2, v2;
	;;#ASMEND
	;; [unrolled: 3-line block ×3, first 2 shown]
	v_and_b32_e32 v13, 0xffff, v13
	v_fmac_f32_e32 v31, v29, v34
	;;#ASMSTART
	v_cvt_f32_f16 v13, v13;
	;;#ASMEND
	v_fmac_f32_e32 v27, v28, v12
	v_and_b32_e32 v12, 64, v25
	v_fmac_f32_e32 v31, v2, v13
	v_add_u32_e32 v12, 64, v12
	v_xor_b32_e32 v13, 2, v25
	v_cmp_lt_i32_e64 s[0:1], v13, v12
	v_add_f32_e32 v2, v27, v31
	s_nop 0
	v_cndmask_b32_e64 v13, v25, v13, s[0:1]
	v_lshlrev_b32_e32 v13, 2, v13
	ds_bpermute_b32 v13, v13, v2
	s_waitcnt lgkmcnt(0)
	v_add_f32_e32 v2, v2, v13
	v_xor_b32_e32 v13, 1, v25
	v_cmp_lt_i32_e64 s[0:1], v13, v12
	s_nop 1
	v_cndmask_b32_e64 v12, v25, v13, s[0:1]
	v_lshlrev_b32_e32 v12, 2, v12
	ds_bpermute_b32 v12, v12, v2
	s_and_saveexec_b64 s[46:47], vcc
	s_cbranch_execz .LBB266_12
; %bb.114:                              ;   in Loop: Header=BB266_14 Depth=1
	v_add_u32_e32 v13, v22, v20
	v_cvt_f32_i32_e32 v13, v13
	s_waitcnt lgkmcnt(0)
	v_add_f32_e32 v2, v2, v12
	v_add_u32_e32 v27, v16, v20
	v_cmp_gt_i32_e64 s[0:1], s33, v27
	v_mul_f32_e32 v12, s55, v13
	v_cndmask_b32_e64 v12, 0, v12, s[6:7]
	v_fmac_f32_e32 v12, s43, v2
	v_cndmask_b32_e64 v2, 0, v12, s[0:1]
	ds_write_b32 v21, v2
	v_max_f32_e32 v2, v18, v18
	v_max_f32_e32 v2, v2, v12
	v_cndmask_b32_e64 v18, v18, v2, s[0:1]
	s_branch .LBB266_12
.LBB266_115:                            ;   in Loop: Header=BB266_14 Depth=1
	v_cmp_eq_u16_sdwa s[64:65], v2, s61 src0_sel:BYTE_0 src1_sel:DWORD
	s_mov_b64 s[0:1], -1
                                        ; implicit-def: $sgpr50
	s_and_saveexec_b64 s[48:49], s[64:65]
; %bb.116:                              ;   in Loop: Header=BB266_14 Depth=1
	s_mov_b32 s50, 0x7fc02000
	s_xor_b64 s[0:1], exec, -1
; %bb.117:                              ;   in Loop: Header=BB266_14 Depth=1
	s_or_b64 exec, exec, s[48:49]
	s_and_b64 s[0:1], s[0:1], exec
	s_or_saveexec_b64 s[46:47], s[46:47]
	v_mov_b32_e32 v28, s50
	s_xor_b64 exec, exec, s[46:47]
	s_cbranch_execz .LBB266_19
.LBB266_118:                            ;   in Loop: Header=BB266_14 Depth=1
	v_cmp_ne_u16_sdwa s[48:49], v2, v3 src0_sel:BYTE_0 src1_sel:DWORD
	s_andn2_b64 s[0:1], s[0:1], exec
	s_and_b64 s[48:49], s[48:49], exec
	v_mov_b32_e32 v28, 0
	s_or_b64 s[0:1], s[0:1], s[48:49]
	s_or_b64 exec, exec, s[46:47]
	v_and_b32_e32 v2, 0xffff, v2
	s_and_saveexec_b64 s[46:47], s[0:1]
	s_cbranch_execnz .LBB266_20
	s_branch .LBB266_21
.LBB266_119:                            ;   in Loop: Header=BB266_14 Depth=1
	v_cmp_eq_u16_e64 s[0:1], s61, v2
	s_mov_b64 s[46:47], -1
                                        ; implicit-def: $sgpr63
	s_and_saveexec_b64 s[50:51], s[0:1]
; %bb.120:                              ;   in Loop: Header=BB266_14 Depth=1
	s_mov_b32 s63, 0x7fc02000
	s_xor_b64 s[46:47], exec, -1
; %bb.121:                              ;   in Loop: Header=BB266_14 Depth=1
	s_or_b64 exec, exec, s[50:51]
	s_and_b64 s[46:47], s[46:47], exec
	s_or_saveexec_b64 s[48:49], s[48:49]
	v_mov_b32_e32 v29, s63
	s_xor_b64 exec, exec, s[48:49]
	s_cbranch_execz .LBB266_23
.LBB266_122:                            ;   in Loop: Header=BB266_14 Depth=1
	v_cmp_ne_u16_e64 s[0:1], 0, v2
	s_andn2_b64 s[46:47], s[46:47], exec
	s_and_b64 s[0:1], s[0:1], exec
	v_mov_b32_e32 v29, 0
	s_or_b64 s[46:47], s[46:47], s[0:1]
	s_or_b64 exec, exec, s[48:49]
	s_and_saveexec_b64 s[48:49], s[46:47]
	s_cbranch_execnz .LBB266_24
	s_branch .LBB266_25
.LBB266_123:                            ;   in Loop: Header=BB266_14 Depth=1
	v_cmp_eq_u16_sdwa s[64:65], v2, s61 src0_sel:BYTE_0 src1_sel:DWORD
	s_mov_b64 s[0:1], -1
                                        ; implicit-def: $sgpr50
	s_and_saveexec_b64 s[48:49], s[64:65]
; %bb.124:                              ;   in Loop: Header=BB266_14 Depth=1
	s_mov_b32 s50, 0x7fc02000
	s_xor_b64 s[0:1], exec, -1
; %bb.125:                              ;   in Loop: Header=BB266_14 Depth=1
	s_or_b64 exec, exec, s[48:49]
	s_and_b64 s[0:1], s[0:1], exec
	s_or_saveexec_b64 s[46:47], s[46:47]
	v_mov_b32_e32 v30, s50
	s_xor_b64 exec, exec, s[46:47]
	s_cbranch_execz .LBB266_27
.LBB266_126:                            ;   in Loop: Header=BB266_14 Depth=1
	v_cmp_ne_u16_sdwa s[48:49], v2, v3 src0_sel:BYTE_0 src1_sel:DWORD
	s_andn2_b64 s[0:1], s[0:1], exec
	s_and_b64 s[48:49], s[48:49], exec
	v_mov_b32_e32 v30, 0
	s_or_b64 s[0:1], s[0:1], s[48:49]
	s_or_b64 exec, exec, s[46:47]
	v_and_b32_e32 v2, 0xffff, v2
	s_and_saveexec_b64 s[46:47], s[0:1]
	s_cbranch_execnz .LBB266_28
	s_branch .LBB266_29
.LBB266_127:                            ;   in Loop: Header=BB266_14 Depth=1
	v_cmp_eq_u16_e64 s[0:1], s61, v2
	s_mov_b64 s[46:47], -1
                                        ; implicit-def: $sgpr63
	s_and_saveexec_b64 s[50:51], s[0:1]
; %bb.128:                              ;   in Loop: Header=BB266_14 Depth=1
	s_mov_b32 s63, 0x7fc02000
	s_xor_b64 s[46:47], exec, -1
; %bb.129:                              ;   in Loop: Header=BB266_14 Depth=1
	s_or_b64 exec, exec, s[50:51]
	s_and_b64 s[46:47], s[46:47], exec
	s_or_saveexec_b64 s[48:49], s[48:49]
	v_mov_b32_e32 v31, s63
	s_xor_b64 exec, exec, s[48:49]
	s_cbranch_execz .LBB266_31
.LBB266_130:                            ;   in Loop: Header=BB266_14 Depth=1
	v_cmp_ne_u16_e64 s[0:1], 0, v2
	s_andn2_b64 s[46:47], s[46:47], exec
	s_and_b64 s[0:1], s[0:1], exec
	v_mov_b32_e32 v31, 0
	s_or_b64 s[46:47], s[46:47], s[0:1]
	s_or_b64 exec, exec, s[48:49]
	s_and_saveexec_b64 s[48:49], s[46:47]
	s_cbranch_execnz .LBB266_32
	s_branch .LBB266_33
.LBB266_131:                            ;   in Loop: Header=BB266_14 Depth=1
	v_cmp_eq_u16_sdwa s[64:65], v2, s61 src0_sel:BYTE_0 src1_sel:DWORD
	s_mov_b64 s[0:1], -1
                                        ; implicit-def: $sgpr50
	s_and_saveexec_b64 s[48:49], s[64:65]
; %bb.132:                              ;   in Loop: Header=BB266_14 Depth=1
	s_mov_b32 s50, 0x7fc02000
	s_xor_b64 s[0:1], exec, -1
; %bb.133:                              ;   in Loop: Header=BB266_14 Depth=1
	s_or_b64 exec, exec, s[48:49]
	s_and_b64 s[0:1], s[0:1], exec
	s_or_saveexec_b64 s[46:47], s[46:47]
	v_mov_b32_e32 v32, s50
	s_xor_b64 exec, exec, s[46:47]
	s_cbranch_execz .LBB266_35
.LBB266_134:                            ;   in Loop: Header=BB266_14 Depth=1
	v_cmp_ne_u16_sdwa s[48:49], v2, v3 src0_sel:BYTE_0 src1_sel:DWORD
	s_andn2_b64 s[0:1], s[0:1], exec
	s_and_b64 s[48:49], s[48:49], exec
	v_mov_b32_e32 v32, 0
	s_or_b64 s[0:1], s[0:1], s[48:49]
	s_or_b64 exec, exec, s[46:47]
	v_and_b32_e32 v2, 0xffff, v2
	s_and_saveexec_b64 s[46:47], s[0:1]
	s_cbranch_execnz .LBB266_36
	s_branch .LBB266_37
.LBB266_135:                            ;   in Loop: Header=BB266_14 Depth=1
	v_cmp_eq_u16_e64 s[0:1], s61, v2
	s_mov_b64 s[46:47], -1
                                        ; implicit-def: $sgpr63
	s_and_saveexec_b64 s[50:51], s[0:1]
; %bb.136:                              ;   in Loop: Header=BB266_14 Depth=1
	s_mov_b32 s63, 0x7fc02000
	s_xor_b64 s[46:47], exec, -1
; %bb.137:                              ;   in Loop: Header=BB266_14 Depth=1
	s_or_b64 exec, exec, s[50:51]
	s_and_b64 s[46:47], s[46:47], exec
	s_or_saveexec_b64 s[48:49], s[48:49]
	v_mov_b32_e32 v33, s63
	s_xor_b64 exec, exec, s[48:49]
	s_cbranch_execz .LBB266_39
.LBB266_138:                            ;   in Loop: Header=BB266_14 Depth=1
	v_cmp_ne_u16_e64 s[0:1], 0, v2
	s_andn2_b64 s[46:47], s[46:47], exec
	s_and_b64 s[0:1], s[0:1], exec
	v_mov_b32_e32 v33, 0
	s_or_b64 s[46:47], s[46:47], s[0:1]
	s_or_b64 exec, exec, s[48:49]
	s_and_saveexec_b64 s[48:49], s[46:47]
	s_cbranch_execnz .LBB266_40
	s_branch .LBB266_41
.LBB266_139:                            ;   in Loop: Header=BB266_14 Depth=1
	v_cmp_eq_u16_sdwa s[64:65], v2, s61 src0_sel:BYTE_0 src1_sel:DWORD
	s_mov_b64 s[0:1], -1
                                        ; implicit-def: $sgpr50
	s_and_saveexec_b64 s[48:49], s[64:65]
; %bb.140:                              ;   in Loop: Header=BB266_14 Depth=1
	s_mov_b32 s50, 0x7fc02000
	s_xor_b64 s[0:1], exec, -1
; %bb.141:                              ;   in Loop: Header=BB266_14 Depth=1
	s_or_b64 exec, exec, s[48:49]
	s_and_b64 s[0:1], s[0:1], exec
	s_or_saveexec_b64 s[46:47], s[46:47]
	v_mov_b32_e32 v34, s50
	s_xor_b64 exec, exec, s[46:47]
	s_cbranch_execz .LBB266_43
.LBB266_142:                            ;   in Loop: Header=BB266_14 Depth=1
	v_cmp_ne_u16_sdwa s[48:49], v2, v3 src0_sel:BYTE_0 src1_sel:DWORD
	s_andn2_b64 s[0:1], s[0:1], exec
	s_and_b64 s[48:49], s[48:49], exec
	v_mov_b32_e32 v34, 0
	s_or_b64 s[0:1], s[0:1], s[48:49]
	s_or_b64 exec, exec, s[46:47]
	v_and_b32_e32 v2, 0xffff, v2
	s_and_saveexec_b64 s[46:47], s[0:1]
	s_cbranch_execnz .LBB266_44
	s_branch .LBB266_45
.LBB266_143:                            ;   in Loop: Header=BB266_14 Depth=1
	v_cmp_eq_u16_e64 s[0:1], s61, v2
	s_mov_b64 s[46:47], -1
                                        ; implicit-def: $sgpr63
	s_and_saveexec_b64 s[50:51], s[0:1]
; %bb.144:                              ;   in Loop: Header=BB266_14 Depth=1
	s_mov_b32 s63, 0x7fc02000
	s_xor_b64 s[46:47], exec, -1
; %bb.145:                              ;   in Loop: Header=BB266_14 Depth=1
	s_or_b64 exec, exec, s[50:51]
	s_and_b64 s[46:47], s[46:47], exec
	s_or_saveexec_b64 s[48:49], s[48:49]
	v_mov_b32_e32 v35, s63
	s_xor_b64 exec, exec, s[48:49]
	s_cbranch_execz .LBB266_47
.LBB266_146:                            ;   in Loop: Header=BB266_14 Depth=1
	v_cmp_ne_u16_e64 s[0:1], 0, v2
	s_andn2_b64 s[46:47], s[46:47], exec
	s_and_b64 s[0:1], s[0:1], exec
	v_mov_b32_e32 v35, 0
	s_or_b64 s[46:47], s[46:47], s[0:1]
	s_or_b64 exec, exec, s[48:49]
	s_and_saveexec_b64 s[48:49], s[46:47]
	s_cbranch_execnz .LBB266_48
	s_branch .LBB266_49
.LBB266_147:                            ;   in Loop: Header=BB266_14 Depth=1
	v_cmp_eq_u16_sdwa s[64:65], v2, s61 src0_sel:BYTE_0 src1_sel:DWORD
	s_mov_b64 s[0:1], -1
                                        ; implicit-def: $sgpr50
	s_and_saveexec_b64 s[48:49], s[64:65]
; %bb.148:                              ;   in Loop: Header=BB266_14 Depth=1
	s_mov_b32 s50, 0x7fc02000
	s_xor_b64 s[0:1], exec, -1
; %bb.149:                              ;   in Loop: Header=BB266_14 Depth=1
	s_or_b64 exec, exec, s[48:49]
	s_and_b64 s[0:1], s[0:1], exec
	s_or_saveexec_b64 s[46:47], s[46:47]
	v_mov_b32_e32 v36, s50
	s_xor_b64 exec, exec, s[46:47]
	s_cbranch_execz .LBB266_51
.LBB266_150:                            ;   in Loop: Header=BB266_14 Depth=1
	v_cmp_ne_u16_sdwa s[48:49], v2, v3 src0_sel:BYTE_0 src1_sel:DWORD
	s_andn2_b64 s[0:1], s[0:1], exec
	s_and_b64 s[48:49], s[48:49], exec
	v_mov_b32_e32 v36, 0
	s_or_b64 s[0:1], s[0:1], s[48:49]
	s_or_b64 exec, exec, s[46:47]
	v_and_b32_e32 v2, 0xffff, v2
	s_and_saveexec_b64 s[46:47], s[0:1]
	s_cbranch_execnz .LBB266_52
	s_branch .LBB266_53
.LBB266_151:                            ;   in Loop: Header=BB266_14 Depth=1
	v_cmp_eq_u16_e64 s[0:1], s61, v2
	s_mov_b64 s[46:47], -1
                                        ; implicit-def: $sgpr63
	s_and_saveexec_b64 s[50:51], s[0:1]
; %bb.152:                              ;   in Loop: Header=BB266_14 Depth=1
	s_mov_b32 s63, 0x7fc02000
	s_xor_b64 s[46:47], exec, -1
; %bb.153:                              ;   in Loop: Header=BB266_14 Depth=1
	s_or_b64 exec, exec, s[50:51]
	s_and_b64 s[46:47], s[46:47], exec
	s_or_saveexec_b64 s[48:49], s[48:49]
	v_mov_b32_e32 v37, s63
	s_xor_b64 exec, exec, s[48:49]
	s_cbranch_execz .LBB266_55
.LBB266_154:                            ;   in Loop: Header=BB266_14 Depth=1
	v_cmp_ne_u16_e64 s[0:1], 0, v2
	s_andn2_b64 s[46:47], s[46:47], exec
	s_and_b64 s[0:1], s[0:1], exec
	v_mov_b32_e32 v37, 0
	s_or_b64 s[46:47], s[46:47], s[0:1]
	s_or_b64 exec, exec, s[48:49]
	s_and_saveexec_b64 s[48:49], s[46:47]
	s_cbranch_execnz .LBB266_56
	s_branch .LBB266_57
.LBB266_155:                            ;   in Loop: Header=BB266_14 Depth=1
	v_cmp_eq_u16_sdwa s[64:65], v2, s61 src0_sel:BYTE_0 src1_sel:DWORD
	s_mov_b64 s[0:1], -1
                                        ; implicit-def: $sgpr50
	s_and_saveexec_b64 s[48:49], s[64:65]
; %bb.156:                              ;   in Loop: Header=BB266_14 Depth=1
	s_mov_b32 s50, 0x7fc02000
	s_xor_b64 s[0:1], exec, -1
; %bb.157:                              ;   in Loop: Header=BB266_14 Depth=1
	s_or_b64 exec, exec, s[48:49]
	s_and_b64 s[0:1], s[0:1], exec
	s_or_saveexec_b64 s[46:47], s[46:47]
	v_mov_b32_e32 v38, s50
	s_xor_b64 exec, exec, s[46:47]
	s_cbranch_execz .LBB266_59
.LBB266_158:                            ;   in Loop: Header=BB266_14 Depth=1
	v_cmp_ne_u16_sdwa s[48:49], v2, v3 src0_sel:BYTE_0 src1_sel:DWORD
	s_andn2_b64 s[0:1], s[0:1], exec
	s_and_b64 s[48:49], s[48:49], exec
	v_mov_b32_e32 v38, 0
	s_or_b64 s[0:1], s[0:1], s[48:49]
	s_or_b64 exec, exec, s[46:47]
	v_and_b32_e32 v2, 0xffff, v2
	s_and_saveexec_b64 s[46:47], s[0:1]
	s_cbranch_execnz .LBB266_60
	s_branch .LBB266_61
.LBB266_159:                            ;   in Loop: Header=BB266_14 Depth=1
	v_cmp_eq_u16_e64 s[0:1], s61, v2
	s_mov_b64 s[46:47], -1
                                        ; implicit-def: $sgpr63
	s_and_saveexec_b64 s[50:51], s[0:1]
; %bb.160:                              ;   in Loop: Header=BB266_14 Depth=1
	s_mov_b32 s63, 0x7fc02000
	s_xor_b64 s[46:47], exec, -1
; %bb.161:                              ;   in Loop: Header=BB266_14 Depth=1
	s_or_b64 exec, exec, s[50:51]
	s_and_b64 s[46:47], s[46:47], exec
	s_or_saveexec_b64 s[48:49], s[48:49]
	v_mov_b32_e32 v39, s63
	s_xor_b64 exec, exec, s[48:49]
	s_cbranch_execz .LBB266_63
.LBB266_162:                            ;   in Loop: Header=BB266_14 Depth=1
	v_cmp_ne_u16_e64 s[0:1], 0, v2
	s_andn2_b64 s[46:47], s[46:47], exec
	s_and_b64 s[0:1], s[0:1], exec
	v_mov_b32_e32 v39, 0
	s_or_b64 s[46:47], s[46:47], s[0:1]
	s_or_b64 exec, exec, s[48:49]
	s_and_saveexec_b64 s[48:49], s[46:47]
	s_cbranch_execnz .LBB266_64
	s_branch .LBB266_65
.LBB266_163:                            ;   in Loop: Header=BB266_14 Depth=1
	v_cmp_eq_u16_sdwa s[64:65], v2, s61 src0_sel:BYTE_0 src1_sel:DWORD
	s_mov_b64 s[0:1], -1
                                        ; implicit-def: $sgpr50
	s_and_saveexec_b64 s[48:49], s[64:65]
; %bb.164:                              ;   in Loop: Header=BB266_14 Depth=1
	s_mov_b32 s50, 0x7fc02000
	s_xor_b64 s[0:1], exec, -1
; %bb.165:                              ;   in Loop: Header=BB266_14 Depth=1
	s_or_b64 exec, exec, s[48:49]
	s_and_b64 s[0:1], s[0:1], exec
	s_or_saveexec_b64 s[46:47], s[46:47]
	v_mov_b32_e32 v40, s50
	s_xor_b64 exec, exec, s[46:47]
	s_cbranch_execz .LBB266_67
.LBB266_166:                            ;   in Loop: Header=BB266_14 Depth=1
	v_cmp_ne_u16_sdwa s[48:49], v2, v3 src0_sel:BYTE_0 src1_sel:DWORD
	s_andn2_b64 s[0:1], s[0:1], exec
	s_and_b64 s[48:49], s[48:49], exec
	v_mov_b32_e32 v40, 0
	s_or_b64 s[0:1], s[0:1], s[48:49]
	s_or_b64 exec, exec, s[46:47]
	v_and_b32_e32 v2, 0xffff, v2
	s_and_saveexec_b64 s[46:47], s[0:1]
	s_cbranch_execnz .LBB266_68
	s_branch .LBB266_69
.LBB266_167:                            ;   in Loop: Header=BB266_14 Depth=1
	v_cmp_eq_u16_e64 s[0:1], s61, v2
	s_mov_b64 s[46:47], -1
                                        ; implicit-def: $sgpr63
	s_and_saveexec_b64 s[50:51], s[0:1]
; %bb.168:                              ;   in Loop: Header=BB266_14 Depth=1
	s_mov_b32 s63, 0x7fc02000
	s_xor_b64 s[46:47], exec, -1
; %bb.169:                              ;   in Loop: Header=BB266_14 Depth=1
	s_or_b64 exec, exec, s[50:51]
	s_and_b64 s[46:47], s[46:47], exec
	s_or_saveexec_b64 s[48:49], s[48:49]
	v_mov_b32_e32 v41, s63
	s_xor_b64 exec, exec, s[48:49]
	s_cbranch_execz .LBB266_71
.LBB266_170:                            ;   in Loop: Header=BB266_14 Depth=1
	v_cmp_ne_u16_e64 s[0:1], 0, v2
	s_andn2_b64 s[46:47], s[46:47], exec
	s_and_b64 s[0:1], s[0:1], exec
	v_mov_b32_e32 v41, 0
	s_or_b64 s[46:47], s[46:47], s[0:1]
	s_or_b64 exec, exec, s[48:49]
	s_and_saveexec_b64 s[48:49], s[46:47]
	s_cbranch_execnz .LBB266_72
	s_branch .LBB266_73
.LBB266_171:                            ;   in Loop: Header=BB266_14 Depth=1
	v_cmp_eq_u16_sdwa s[64:65], v2, s61 src0_sel:BYTE_0 src1_sel:DWORD
	s_mov_b64 s[0:1], -1
                                        ; implicit-def: $sgpr50
	s_and_saveexec_b64 s[48:49], s[64:65]
; %bb.172:                              ;   in Loop: Header=BB266_14 Depth=1
	s_mov_b32 s50, 0x7fc02000
	s_xor_b64 s[0:1], exec, -1
; %bb.173:                              ;   in Loop: Header=BB266_14 Depth=1
	s_or_b64 exec, exec, s[48:49]
	s_and_b64 s[0:1], s[0:1], exec
	s_or_saveexec_b64 s[46:47], s[46:47]
	v_mov_b32_e32 v42, s50
	s_xor_b64 exec, exec, s[46:47]
	s_cbranch_execz .LBB266_75
.LBB266_174:                            ;   in Loop: Header=BB266_14 Depth=1
	v_cmp_ne_u16_sdwa s[48:49], v2, v3 src0_sel:BYTE_0 src1_sel:DWORD
	s_andn2_b64 s[0:1], s[0:1], exec
	s_and_b64 s[48:49], s[48:49], exec
	v_mov_b32_e32 v42, 0
	s_or_b64 s[0:1], s[0:1], s[48:49]
	s_or_b64 exec, exec, s[46:47]
	v_and_b32_e32 v2, 0xffff, v2
	s_and_saveexec_b64 s[46:47], s[0:1]
	s_cbranch_execnz .LBB266_76
	s_branch .LBB266_77
.LBB266_175:                            ;   in Loop: Header=BB266_14 Depth=1
	v_cmp_eq_u16_e64 s[0:1], s61, v2
	s_mov_b64 s[46:47], -1
                                        ; implicit-def: $sgpr63
	s_and_saveexec_b64 s[50:51], s[0:1]
; %bb.176:                              ;   in Loop: Header=BB266_14 Depth=1
	s_mov_b32 s63, 0x7fc02000
	s_xor_b64 s[46:47], exec, -1
; %bb.177:                              ;   in Loop: Header=BB266_14 Depth=1
	s_or_b64 exec, exec, s[50:51]
	s_and_b64 s[46:47], s[46:47], exec
	s_or_saveexec_b64 s[48:49], s[48:49]
	v_mov_b32_e32 v43, s63
	s_xor_b64 exec, exec, s[48:49]
	s_cbranch_execz .LBB266_79
.LBB266_178:                            ;   in Loop: Header=BB266_14 Depth=1
	v_cmp_ne_u16_e64 s[0:1], 0, v2
	s_andn2_b64 s[46:47], s[46:47], exec
	s_and_b64 s[0:1], s[0:1], exec
	v_mov_b32_e32 v43, 0
	s_or_b64 s[46:47], s[46:47], s[0:1]
	s_or_b64 exec, exec, s[48:49]
	s_and_saveexec_b64 s[48:49], s[46:47]
	s_cbranch_execnz .LBB266_80
	s_branch .LBB266_81
.LBB266_179:                            ;   in Loop: Header=BB266_14 Depth=1
	v_cmp_eq_u16_sdwa s[64:65], v2, s61 src0_sel:BYTE_0 src1_sel:DWORD
	s_mov_b64 s[0:1], -1
                                        ; implicit-def: $sgpr50
	s_and_saveexec_b64 s[48:49], s[64:65]
; %bb.180:                              ;   in Loop: Header=BB266_14 Depth=1
	s_mov_b32 s50, 0x7fc02000
	s_xor_b64 s[0:1], exec, -1
; %bb.181:                              ;   in Loop: Header=BB266_14 Depth=1
	s_or_b64 exec, exec, s[48:49]
	s_and_b64 s[0:1], s[0:1], exec
	s_or_saveexec_b64 s[46:47], s[46:47]
	v_mov_b32_e32 v44, s50
	s_xor_b64 exec, exec, s[46:47]
	s_cbranch_execz .LBB266_83
.LBB266_182:                            ;   in Loop: Header=BB266_14 Depth=1
	v_cmp_ne_u16_sdwa s[48:49], v2, v3 src0_sel:BYTE_0 src1_sel:DWORD
	s_andn2_b64 s[0:1], s[0:1], exec
	s_and_b64 s[48:49], s[48:49], exec
	v_mov_b32_e32 v44, 0
	s_or_b64 s[0:1], s[0:1], s[48:49]
	s_or_b64 exec, exec, s[46:47]
	v_and_b32_e32 v2, 0xffff, v2
	s_and_saveexec_b64 s[46:47], s[0:1]
	s_cbranch_execnz .LBB266_84
	s_branch .LBB266_85
.LBB266_183:                            ;   in Loop: Header=BB266_14 Depth=1
	v_cmp_eq_u16_e64 s[0:1], s61, v2
	s_mov_b64 s[46:47], -1
                                        ; implicit-def: $sgpr63
	s_and_saveexec_b64 s[50:51], s[0:1]
; %bb.184:                              ;   in Loop: Header=BB266_14 Depth=1
	s_mov_b32 s63, 0x7fc02000
	s_xor_b64 s[46:47], exec, -1
; %bb.185:                              ;   in Loop: Header=BB266_14 Depth=1
	s_or_b64 exec, exec, s[50:51]
	s_and_b64 s[46:47], s[46:47], exec
	s_or_saveexec_b64 s[48:49], s[48:49]
	v_mov_b32_e32 v45, s63
	s_xor_b64 exec, exec, s[48:49]
	s_cbranch_execz .LBB266_87
.LBB266_186:                            ;   in Loop: Header=BB266_14 Depth=1
	v_cmp_ne_u16_e64 s[0:1], 0, v2
	s_andn2_b64 s[46:47], s[46:47], exec
	s_and_b64 s[0:1], s[0:1], exec
	v_mov_b32_e32 v45, 0
	s_or_b64 s[46:47], s[46:47], s[0:1]
	s_or_b64 exec, exec, s[48:49]
	s_and_saveexec_b64 s[48:49], s[46:47]
	s_cbranch_execnz .LBB266_88
	s_branch .LBB266_89
.LBB266_187:                            ;   in Loop: Header=BB266_14 Depth=1
	v_cmp_eq_u16_sdwa s[64:65], v2, s61 src0_sel:BYTE_0 src1_sel:DWORD
	s_mov_b64 s[0:1], -1
                                        ; implicit-def: $sgpr50
	s_and_saveexec_b64 s[48:49], s[64:65]
; %bb.188:                              ;   in Loop: Header=BB266_14 Depth=1
	s_mov_b32 s50, 0x7fc02000
	s_xor_b64 s[0:1], exec, -1
; %bb.189:                              ;   in Loop: Header=BB266_14 Depth=1
	s_or_b64 exec, exec, s[48:49]
	s_and_b64 s[0:1], s[0:1], exec
	s_or_saveexec_b64 s[46:47], s[46:47]
	v_mov_b32_e32 v46, s50
	s_xor_b64 exec, exec, s[46:47]
	s_cbranch_execz .LBB266_91
.LBB266_190:                            ;   in Loop: Header=BB266_14 Depth=1
	v_cmp_ne_u16_sdwa s[48:49], v2, v3 src0_sel:BYTE_0 src1_sel:DWORD
	s_andn2_b64 s[0:1], s[0:1], exec
	s_and_b64 s[48:49], s[48:49], exec
	v_mov_b32_e32 v46, 0
	s_or_b64 s[0:1], s[0:1], s[48:49]
	s_or_b64 exec, exec, s[46:47]
	v_and_b32_e32 v2, 0xffff, v2
	s_and_saveexec_b64 s[46:47], s[0:1]
	s_cbranch_execnz .LBB266_92
	s_branch .LBB266_93
.LBB266_191:                            ;   in Loop: Header=BB266_14 Depth=1
	v_cmp_eq_u16_e64 s[0:1], s61, v2
	s_mov_b64 s[46:47], -1
                                        ; implicit-def: $sgpr63
	s_and_saveexec_b64 s[50:51], s[0:1]
; %bb.192:                              ;   in Loop: Header=BB266_14 Depth=1
	s_mov_b32 s63, 0x7fc02000
	s_xor_b64 s[46:47], exec, -1
; %bb.193:                              ;   in Loop: Header=BB266_14 Depth=1
	s_or_b64 exec, exec, s[50:51]
	s_and_b64 s[46:47], s[46:47], exec
	s_or_saveexec_b64 s[48:49], s[48:49]
	v_mov_b32_e32 v47, s63
	s_xor_b64 exec, exec, s[48:49]
	s_cbranch_execz .LBB266_95
.LBB266_194:                            ;   in Loop: Header=BB266_14 Depth=1
	v_cmp_ne_u16_e64 s[0:1], 0, v2
	s_andn2_b64 s[46:47], s[46:47], exec
	s_and_b64 s[0:1], s[0:1], exec
	v_mov_b32_e32 v47, 0
	s_or_b64 s[46:47], s[46:47], s[0:1]
	s_or_b64 exec, exec, s[48:49]
	s_and_saveexec_b64 s[48:49], s[46:47]
	s_cbranch_execnz .LBB266_96
	s_branch .LBB266_97
.LBB266_195:                            ;   in Loop: Header=BB266_14 Depth=1
	v_cmp_eq_u16_sdwa s[64:65], v2, s61 src0_sel:BYTE_0 src1_sel:DWORD
	s_mov_b64 s[0:1], -1
                                        ; implicit-def: $sgpr50
	s_and_saveexec_b64 s[48:49], s[64:65]
; %bb.196:                              ;   in Loop: Header=BB266_14 Depth=1
	s_mov_b32 s50, 0x7fc02000
	s_xor_b64 s[0:1], exec, -1
; %bb.197:                              ;   in Loop: Header=BB266_14 Depth=1
	s_or_b64 exec, exec, s[48:49]
	s_and_b64 s[0:1], s[0:1], exec
	s_or_saveexec_b64 s[46:47], s[46:47]
	v_mov_b32_e32 v48, s50
	s_xor_b64 exec, exec, s[46:47]
	s_cbranch_execz .LBB266_99
.LBB266_198:                            ;   in Loop: Header=BB266_14 Depth=1
	v_cmp_ne_u16_sdwa s[48:49], v2, v3 src0_sel:BYTE_0 src1_sel:DWORD
	s_andn2_b64 s[0:1], s[0:1], exec
	s_and_b64 s[48:49], s[48:49], exec
	v_mov_b32_e32 v48, 0
	s_or_b64 s[0:1], s[0:1], s[48:49]
	s_or_b64 exec, exec, s[46:47]
	v_and_b32_e32 v2, 0xffff, v2
	s_and_saveexec_b64 s[46:47], s[0:1]
	s_cbranch_execnz .LBB266_100
	s_branch .LBB266_101
.LBB266_199:                            ;   in Loop: Header=BB266_14 Depth=1
	v_cmp_eq_u16_e64 s[0:1], s61, v2
	s_mov_b64 s[46:47], -1
                                        ; implicit-def: $sgpr63
	s_and_saveexec_b64 s[50:51], s[0:1]
; %bb.200:                              ;   in Loop: Header=BB266_14 Depth=1
	s_mov_b32 s63, 0x7fc02000
	s_xor_b64 s[46:47], exec, -1
; %bb.201:                              ;   in Loop: Header=BB266_14 Depth=1
	s_or_b64 exec, exec, s[50:51]
	s_and_b64 s[46:47], s[46:47], exec
	s_or_saveexec_b64 s[48:49], s[48:49]
	v_mov_b32_e32 v49, s63
	s_xor_b64 exec, exec, s[48:49]
	s_cbranch_execz .LBB266_103
.LBB266_202:                            ;   in Loop: Header=BB266_14 Depth=1
	v_cmp_ne_u16_e64 s[0:1], 0, v2
	s_andn2_b64 s[46:47], s[46:47], exec
	s_and_b64 s[0:1], s[0:1], exec
	v_mov_b32_e32 v49, 0
	s_or_b64 s[46:47], s[46:47], s[0:1]
	s_or_b64 exec, exec, s[48:49]
	s_and_saveexec_b64 s[48:49], s[46:47]
	s_cbranch_execnz .LBB266_104
	s_branch .LBB266_105
.LBB266_203:                            ;   in Loop: Header=BB266_14 Depth=1
	v_cmp_eq_u16_sdwa s[64:65], v2, s61 src0_sel:BYTE_0 src1_sel:DWORD
	s_mov_b64 s[0:1], -1
                                        ; implicit-def: $sgpr50
	s_and_saveexec_b64 s[48:49], s[64:65]
; %bb.204:                              ;   in Loop: Header=BB266_14 Depth=1
	s_mov_b32 s50, 0x7fc02000
	s_xor_b64 s[0:1], exec, -1
; %bb.205:                              ;   in Loop: Header=BB266_14 Depth=1
	s_or_b64 exec, exec, s[48:49]
	s_and_b64 s[0:1], s[0:1], exec
	s_or_saveexec_b64 s[46:47], s[46:47]
	v_mov_b32_e32 v12, s50
	s_xor_b64 exec, exec, s[46:47]
	s_cbranch_execz .LBB266_107
.LBB266_206:                            ;   in Loop: Header=BB266_14 Depth=1
	v_cmp_ne_u16_sdwa s[48:49], v2, v3 src0_sel:BYTE_0 src1_sel:DWORD
	s_andn2_b64 s[0:1], s[0:1], exec
	s_and_b64 s[48:49], s[48:49], exec
	v_mov_b32_e32 v12, 0
	s_or_b64 s[0:1], s[0:1], s[48:49]
	s_or_b64 exec, exec, s[46:47]
	v_and_b32_e32 v2, 0xffff, v2
	s_and_saveexec_b64 s[46:47], s[0:1]
	s_cbranch_execnz .LBB266_108
	s_branch .LBB266_109
.LBB266_207:                            ;   in Loop: Header=BB266_14 Depth=1
	v_cmp_eq_u16_e64 s[0:1], s61, v2
	s_mov_b64 s[46:47], -1
                                        ; implicit-def: $sgpr63
	s_and_saveexec_b64 s[50:51], s[0:1]
; %bb.208:                              ;   in Loop: Header=BB266_14 Depth=1
	s_mov_b32 s63, 0x7fc02000
	s_xor_b64 s[46:47], exec, -1
; %bb.209:                              ;   in Loop: Header=BB266_14 Depth=1
	s_or_b64 exec, exec, s[50:51]
	s_and_b64 s[46:47], s[46:47], exec
	s_or_saveexec_b64 s[48:49], s[48:49]
	v_mov_b32_e32 v13, s63
	s_xor_b64 exec, exec, s[48:49]
	s_cbranch_execz .LBB266_111
.LBB266_210:                            ;   in Loop: Header=BB266_14 Depth=1
	v_cmp_ne_u16_e64 s[0:1], 0, v2
	s_andn2_b64 s[46:47], s[46:47], exec
	s_and_b64 s[0:1], s[0:1], exec
	v_mov_b32_e32 v13, 0
	s_or_b64 s[46:47], s[46:47], s[0:1]
	s_or_b64 exec, exec, s[48:49]
	s_and_saveexec_b64 s[48:49], s[46:47]
	s_cbranch_execnz .LBB266_112
	s_branch .LBB266_113
.LBB266_211:
	s_or_b64 exec, exec, s[44:45]
.LBB266_212:
	s_or_b64 exec, exec, s[18:19]
	v_mbcnt_hi_u32_b32 v2, -1, v15
	v_and_b32_e32 v3, 64, v2
	v_add_u32_e32 v3, 64, v3
	v_xor_b32_e32 v4, 32, v2
	v_cmp_lt_i32_e32 vcc, v4, v3
	v_xor_b32_e32 v9, 16, v2
	v_max_f32_e32 v5, v18, v18
	v_cndmask_b32_e32 v4, v2, v4, vcc
	v_lshlrev_b32_e32 v8, 2, v4
	ds_bpermute_b32 v4, v8, v18
	v_cmp_lt_i32_e32 vcc, v9, v3
	v_xor_b32_e32 v10, 8, v2
	s_waitcnt lgkmcnt(0)
	v_max_f32_e32 v4, v4, v4
	v_max_f32_e32 v4, v5, v4
	v_cndmask_b32_e32 v5, v2, v9, vcc
	v_lshlrev_b32_e32 v9, 2, v5
	ds_bpermute_b32 v5, v9, v4
	v_cmp_lt_i32_e32 vcc, v10, v3
	s_waitcnt lgkmcnt(0)
	v_max_f32_e32 v5, v5, v5
	v_max_f32_e32 v4, v4, v5
	v_cndmask_b32_e32 v5, v2, v10, vcc
	v_lshlrev_b32_e32 v12, 2, v5
	ds_bpermute_b32 v5, v12, v4
	v_xor_b32_e32 v10, 4, v2
	v_cmp_lt_i32_e32 vcc, v10, v3
	s_waitcnt lgkmcnt(0)
	v_max_f32_e32 v5, v5, v5
	v_max_f32_e32 v4, v4, v5
	v_cndmask_b32_e32 v5, v2, v10, vcc
	v_lshlrev_b32_e32 v13, 2, v5
	ds_bpermute_b32 v11, v13, v4
	v_and_b32_e32 v5, 63, v0
	v_cmp_eq_u32_e32 vcc, 0, v5
	v_lshlrev_b32_e32 v10, 2, v14
	s_and_saveexec_b64 s[0:1], vcc
	s_cbranch_execz .LBB266_214
; %bb.213:
	s_waitcnt lgkmcnt(0)
	v_max_f32_e32 v11, v11, v11
	v_max_f32_e32 v4, v4, v4
	v_max_f32_e32 v4, v4, v11
	ds_write_b32 v10, v4 offset:192
.LBB266_214:
	s_or_b64 exec, exec, s[0:1]
	v_cmp_gt_u32_e64 s[0:1], 2, v5
	v_mov_b32_e32 v4, 0xff7fffff
	s_waitcnt lgkmcnt(0)
	v_lshlrev_b32_e32 v11, 2, v5
	s_barrier
	s_and_saveexec_b64 s[6:7], s[0:1]
	s_cbranch_execz .LBB266_216
; %bb.215:
	ds_read_b32 v4, v11 offset:192
.LBB266_216:
	s_or_b64 exec, exec, s[6:7]
	v_xor_b32_e32 v15, 1, v2
	v_cmp_lt_i32_e64 s[6:7], v15, v3
	v_mov_b32_e32 v16, 0
	s_nop 0
	v_cndmask_b32_e64 v15, v2, v15, s[6:7]
	v_lshlrev_b32_e32 v17, 2, v15
	s_waitcnt lgkmcnt(0)
	ds_bpermute_b32 v15, v17, v4
	v_max_f32_e32 v4, v4, v4
	s_sub_i32 s6, s52, s56
	s_lshl_b32 s6, s6, 4
	s_add_i32 s6, s6, s54
	s_waitcnt lgkmcnt(0)
	v_max_f32_e32 v15, v15, v15
	v_max_f32_e32 v4, v4, v15
	v_lshlrev_b32_e32 v15, 2, v2
	v_and_b32_e32 v15, 0x100, v15
	ds_bpermute_b32 v4, v15, v4
	s_min_i32 s44, s6, s33
	s_sub_i32 s43, s44, s54
	v_cmp_gt_i32_e64 s[6:7], s43, v0
	s_and_saveexec_b64 s[12:13], s[6:7]
	s_cbranch_execz .LBB266_220
; %bb.217:
	v_mov_b32_e32 v16, 0xd0
	v_lshl_add_u32 v18, v0, 2, v16
	s_mov_b64 s[18:19], 0
	v_mov_b32_e32 v16, 0
	v_mov_b32_e32 v19, v0
.LBB266_218:                            ; =>This Inner Loop Header: Depth=1
	ds_read_b32 v20, v18
	v_add_u32_e32 v19, 0x80, v19
	v_cmp_le_i32_e64 s[10:11], s43, v19
	s_or_b64 s[18:19], s[10:11], s[18:19]
	s_waitcnt lgkmcnt(0)
	v_sub_f32_e32 v20, v20, v4
	v_mul_f32_e32 v20, 0x3fb8aa3b, v20
	v_exp_f32_e32 v20, v20
	ds_write_b32 v18, v20
	v_add_f32_e32 v16, v16, v20
	v_add_u32_e32 v18, 0x200, v18
	s_andn2_b64 exec, exec, s[18:19]
	s_cbranch_execnz .LBB266_218
; %bb.219:
	s_or_b64 exec, exec, s[18:19]
.LBB266_220:
	s_or_b64 exec, exec, s[12:13]
	ds_bpermute_b32 v8, v8, v16
	s_waitcnt lgkmcnt(0)
	v_add_f32_e32 v8, v16, v8
	ds_bpermute_b32 v9, v9, v8
	s_waitcnt lgkmcnt(0)
	v_add_f32_e32 v8, v8, v9
	ds_bpermute_b32 v9, v12, v8
	v_xor_b32_e32 v12, 2, v2
	v_cmp_lt_i32_e64 s[10:11], v12, v3
	s_waitcnt lgkmcnt(0)
	v_add_f32_e32 v8, v8, v9
	ds_bpermute_b32 v9, v13, v8
	v_cndmask_b32_e64 v2, v2, v12, s[10:11]
	v_lshlrev_b32_e32 v2, 2, v2
	s_waitcnt lgkmcnt(0)
	v_add_f32_e32 v3, v8, v9
	ds_bpermute_b32 v2, v2, v3
	s_waitcnt lgkmcnt(0)
	v_add_f32_e32 v2, v3, v2
	ds_bpermute_b32 v3, v17, v2
	s_waitcnt lgkmcnt(0)
	v_add_f32_e32 v2, v2, v3
	s_and_saveexec_b64 s[10:11], vcc
	s_cbranch_execz .LBB266_222
; %bb.221:
	ds_write_b32 v10, v2 offset:200
.LBB266_222:
	s_or_b64 exec, exec, s[10:11]
	s_waitcnt lgkmcnt(0)
	s_barrier
	s_and_saveexec_b64 s[10:11], s[0:1]
	s_cbranch_execz .LBB266_224
; %bb.223:
	ds_read_b32 v2, v11 offset:200
.LBB266_224:
	s_or_b64 exec, exec, s[10:11]
	s_waitcnt lgkmcnt(0)
	ds_bpermute_b32 v3, v17, v2
	s_waitcnt lgkmcnt(0)
	v_add_f32_e32 v2, v2, v3
	ds_bpermute_b32 v8, v15, v2
	s_and_saveexec_b64 s[0:1], s[6:7]
	s_cbranch_execz .LBB266_237
; %bb.225:
	s_waitcnt lgkmcnt(0)
	v_add_f32_e32 v2, 0x358637bd, v8
	v_div_scale_f32 v3, s[6:7], v2, v2, 1.0
	v_rcp_f32_e32 v9, v3
	v_div_scale_f32 v10, vcc, 1.0, v2, 1.0
	s_movk_i32 s6, 0x7f
	v_fma_f32 v11, -v3, v9, 1.0
	v_fmac_f32_e32 v9, v11, v9
	v_mul_f32_e32 v11, v10, v9
	v_fma_f32 v12, -v3, v11, v10
	v_fmac_f32_e32 v11, v12, v9
	v_fma_f32 v3, -v3, v11, v10
	v_div_fmas_f32 v3, v3, v9, v11
	v_div_fixup_f32 v2, v3, v2, 1.0
	v_xad_u32 v3, v0, -1, s44
	v_subrev_u32_e32 v9, s54, v3
	v_cmp_lt_u32_e32 vcc, s6, v9
	s_mov_b64 s[10:11], -1
	v_mov_b32_e32 v3, v0
	s_and_saveexec_b64 s[6:7], vcc
	s_cbranch_execz .LBB266_234
; %bb.226:
	v_lshrrev_b32_e32 v9, 7, v9
	v_add_u32_e32 v11, -1, v9
	v_lshrrev_b32_e32 v10, 1, v11
	v_mov_b32_e32 v3, v2
	v_add_u32_e32 v10, 1, v10
	v_cmp_lt_u32_e32 vcc, 13, v11
	v_mov_b32_e32 v13, 0
	s_and_saveexec_b64 s[10:11], vcc
	s_cbranch_execz .LBB266_230
; %bb.227:
	v_mov_b32_e32 v12, 0xd0
	v_and_b32_e32 v11, -8, v10
	v_lshl_add_u32 v12, v0, 2, v12
	s_mov_b32 s18, 0
	s_mov_b64 s[12:13], 0
.LBB266_228:                            ; =>This Inner Loop Header: Depth=1
	ds_read2st64_b32 v[18:19], v12 offset1:2
	ds_read2st64_b32 v[20:21], v12 offset0:4 offset1:6
	ds_read2st64_b32 v[22:23], v12 offset0:8 offset1:10
	;; [unrolled: 1-line block ×3, first 2 shown]
	v_add_u32_e32 v11, -8, v11
	s_waitcnt lgkmcnt(3)
	v_pk_mul_f32 v[18:19], v[2:3], v[18:19]
	s_waitcnt lgkmcnt(2)
	v_pk_mul_f32 v[20:21], v[2:3], v[20:21]
	ds_write2st64_b32 v12, v18, v19 offset1:2
	ds_write2st64_b32 v12, v20, v21 offset0:4 offset1:6
	ds_read2st64_b32 v[20:21], v12 offset0:16 offset1:18
	s_waitcnt lgkmcnt(4)
	v_pk_mul_f32 v[18:19], v[2:3], v[22:23]
	ds_write2st64_b32 v12, v18, v19 offset0:8 offset1:10
	s_waitcnt lgkmcnt(4)
	v_pk_mul_f32 v[18:19], v[2:3], v[24:25]
	ds_write2st64_b32 v12, v18, v19 offset0:12 offset1:14
	ds_read2st64_b32 v[18:19], v12 offset0:20 offset1:22
	s_waitcnt lgkmcnt(3)
	v_pk_mul_f32 v[20:21], v[2:3], v[20:21]
	ds_read2st64_b32 v[22:23], v12 offset0:24 offset1:26
	ds_write2st64_b32 v12, v20, v21 offset0:16 offset1:18
	ds_read2st64_b32 v[20:21], v12 offset0:28 offset1:30
	s_waitcnt lgkmcnt(3)
	v_pk_mul_f32 v[18:19], v[2:3], v[18:19]
	ds_write2st64_b32 v12, v18, v19 offset0:20 offset1:22
	s_waitcnt lgkmcnt(3)
	v_pk_mul_f32 v[18:19], v[2:3], v[22:23]
	ds_write2st64_b32 v12, v18, v19 offset0:24 offset1:26
	s_waitcnt lgkmcnt(2)
	v_pk_mul_f32 v[18:19], v[2:3], v[20:21]
	s_add_i32 s18, s18, 16
	v_cmp_eq_u32_e32 vcc, 0, v11
	ds_write2st64_b32 v12, v18, v19 offset0:28 offset1:30
	v_add_u32_e32 v12, 0x2000, v12
	s_or_b64 s[12:13], vcc, s[12:13]
	v_mov_b32_e32 v13, s18
	s_andn2_b64 exec, exec, s[12:13]
	s_cbranch_execnz .LBB266_228
; %bb.229:
	s_or_b64 exec, exec, s[12:13]
.LBB266_230:
	s_or_b64 exec, exec, s[10:11]
	v_and_b32_e32 v10, 7, v10
	v_cmp_ne_u32_e32 vcc, 0, v10
	s_and_saveexec_b64 s[10:11], vcc
	s_cbranch_execz .LBB266_233
; %bb.231:
	v_lshlrev_b32_e32 v11, 9, v13
	v_lshlrev_b32_e32 v12, 2, v0
	s_movk_i32 s12, 0xd0
	v_add3_u32 v11, v11, v12, s12
	s_mov_b64 s[12:13], 0
.LBB266_232:                            ; =>This Inner Loop Header: Depth=1
	ds_read2st64_b32 v[12:13], v11 offset1:2
	v_add_u32_e32 v10, -1, v10
	v_cmp_eq_u32_e32 vcc, 0, v10
	s_or_b64 s[12:13], vcc, s[12:13]
	s_waitcnt lgkmcnt(0)
	v_pk_mul_f32 v[12:13], v[2:3], v[12:13]
	ds_write2st64_b32 v11, v12, v13 offset1:2
	v_add_u32_e32 v11, 0x400, v11
	s_andn2_b64 exec, exec, s[12:13]
	s_cbranch_execnz .LBB266_232
.LBB266_233:
	s_or_b64 exec, exec, s[10:11]
	v_add_u32_e32 v9, 1, v9
	v_and_b32_e32 v10, 0x3fffffe, v9
	v_cmp_ne_u32_e32 vcc, v9, v10
	v_lshl_add_u32 v3, v10, 7, v0
	s_orn2_b64 s[10:11], vcc, exec
.LBB266_234:
	s_or_b64 exec, exec, s[6:7]
	s_and_b64 exec, exec, s[10:11]
	s_cbranch_execz .LBB266_237
; %bb.235:
	v_mov_b32_e32 v9, 0xd0
	v_lshl_add_u32 v9, v3, 2, v9
	s_mov_b64 s[6:7], 0
.LBB266_236:                            ; =>This Inner Loop Header: Depth=1
	ds_read_b32 v10, v9
	v_add_u32_e32 v3, 0x80, v3
	v_cmp_le_i32_e32 vcc, s43, v3
	s_or_b64 s[6:7], vcc, s[6:7]
	s_waitcnt lgkmcnt(0)
	v_mul_f32_e32 v10, v2, v10
	ds_write_b32 v9, v10
	v_add_u32_e32 v9, 0x200, v9
	s_andn2_b64 exec, exec, s[6:7]
	s_cbranch_execnz .LBB266_236
.LBB266_237:
	s_or_b64 exec, exec, s[0:1]
	s_mul_i32 s0, s20, s34
	v_cmp_eq_u32_e32 vcc, 0, v0
	s_mul_i32 s6, s0, s5
	s_waitcnt lgkmcnt(0)
	s_barrier
	s_and_saveexec_b64 s[0:1], vcc
	s_cbranch_execz .LBB266_239
; %bb.238:
	s_ashr_i32 s7, s6, 31
	s_lshl_b64 s[10:11], s[6:7], 2
	s_add_u32 s5, s26, s10
	s_mul_i32 s12, s20, s2
	s_addc_u32 s7, s27, s11
	s_ashr_i32 s13, s12, 31
	s_lshl_b64 s[12:13], s[12:13], 2
	s_add_u32 s2, s5, s12
	s_addc_u32 s7, s7, s13
	s_ashr_i32 s5, s4, 31
	s_lshl_b64 s[18:19], s[4:5], 2
	s_add_u32 s26, s2, s18
	s_addc_u32 s27, s7, s19
	s_add_u32 s2, s24, s10
	s_addc_u32 s5, s25, s11
	;; [unrolled: 2-line block ×3, first 2 shown]
	s_add_u32 s10, s2, s18
	v_mov_b32_e32 v2, 0
	s_addc_u32 s11, s5, s19
	global_store_dword v2, v4, s[26:27]
	global_store_dword v2, v8, s[10:11]
.LBB266_239:
	s_or_b64 exec, exec, s[0:1]
	s_mov_b32 s0, 0
	v_mov_b32_e32 v4, 0
	v_and_b32_e32 v24, 1, v0
	v_mov_b32_e32 v3, 0
	v_mov_b32_e32 v2, 0
	s_and_saveexec_b64 s[10:11], s[8:9]
	s_cbranch_execz .LBB266_443
; %bb.240:
	s_sub_i32 s5, s16, s21
	s_ashr_i32 s1, s53, 31
	s_add_u32 s8, s40, s53
	s_addc_u32 s9, s41, s1
	s_abs_i32 s7, s22
	v_cvt_f32_u32_e32 v2, s7
	v_lshlrev_b32_e32 v3, 3, v0
	s_sub_i32 s1, 0, s7
	v_and_b32_e32 v25, 8, v3
	v_rcp_iflag_f32_e32 v2, v2
	s_add_i32 s22, s3, -1
	v_and_b32_e32 v8, 0x1f8, v3
	s_lshl_b64 s[2:3], s[38:39], 2
	v_mul_f32_e32 v2, 0x4f7ffffe, v2
	v_cvt_u32_f32_e32 v2, v2
	s_add_u32 s2, s36, s2
	s_addc_u32 s3, s37, s3
	v_lshl_add_u64 v[12:13], v[6:7], 2, s[2:3]
	v_mul_lo_u32 v3, s1, v2
	v_mul_hi_u32 v3, v2, v3
	v_add_u32_e32 v26, v2, v3
	v_lshlrev_b32_e32 v2, 5, v24
	v_lshl_or_b32 v2, v14, 6, v2
	s_mov_b32 s2, s0
	v_mov_b32_e32 v9, 0
	v_add_u32_e32 v7, 0xd0, v2
	s_mov_b32 s1, s0
	v_mov_b32_e32 v4, s2
	s_mov_b32 s21, s17
	s_mov_b32 s24, s33
	v_lshl_add_u64 v[10:11], s[8:9], 0, v[8:9]
	s_mov_b64 s[8:9], 0
	v_mov_b32_e32 v3, s1
	v_mov_b32_e32 v2, s0
	s_movk_i32 s25, 0x7f
	s_movk_i32 s26, 0x80
	s_mov_b32 s27, 0x8000
	s_movk_i32 s34, 0x380
	s_mov_b32 s36, 0x3020706
	s_mov_b32 s37, 0x1000504
	;; [unrolled: 1-line block ×3, first 2 shown]
	v_mov_b32_e32 v27, 0x1c00
	s_branch .LBB266_243
.LBB266_241:                            ;   in Loop: Header=BB266_243 Depth=1
	s_or_b64 exec, exec, s[0:1]
	;;#ASMSTART
	v_pk_mul_f16 v15, v39, v15;

	;;#ASMEND
	;;#ASMSTART
	v_pk_mul_f16 v8, v38, v8;

	;;#ASMEND
	;; [unrolled: 4-line block ×4, first 2 shown]
	v_add_f32_e32 v18, v40, v41
	;;#ASMSTART
	v_pk_add_f16 v8, v15, v8;

	;;#ASMEND
	v_add_f32_e32 v2, v2, v18
	;;#ASMSTART
	v_pk_add_f16 v8, v8, v14;

	;;#ASMEND
	;; [unrolled: 5-line block ×3, first 2 shown]
	v_add_f32_e32 v3, v3, v18
	v_lshrrev_b32_e32 v14, 16, v8
	v_and_b32_e32 v8, 0xffff, v8
	;;#ASMSTART
	v_cvt_f32_f16 v8, v8;
	;;#ASMEND
	;;#ASMSTART
	v_cvt_f32_f16 v14, v14;
	;;#ASMEND
	s_nop 0
	v_add_f32_e32 v8, v8, v14
	v_add_f32_e32 v4, v4, v8
.LBB266_242:                            ;   in Loop: Header=BB266_243 Depth=1
	s_or_b64 exec, exec, s[2:3]
	v_add_u32_e32 v6, 2, v6
	v_cmp_le_i32_e32 vcc, s52, v6
	v_lshl_add_u64 v[12:13], v[12:13], 0, 8
	v_add_u32_e32 v1, 32, v1
	s_or_b64 s[8:9], vcc, s[8:9]
	v_add_u32_e32 v7, 0x80, v7
	s_andn2_b64 exec, exec, s[8:9]
	s_cbranch_execz .LBB266_442
.LBB266_243:                            ; =>This Inner Loop Header: Depth=1
	v_sub_u32_e32 v14, 0, v1
	v_max_i32_e32 v14, v1, v14
	v_mul_hi_u32 v15, v14, s35
	v_mul_lo_u32 v16, v15, s29
	v_sub_u32_e32 v14, v14, v16
	v_add_u32_e32 v16, 1, v15
	v_cmp_le_u32_e32 vcc, s29, v14
	v_ashrrev_i32_e32 v8, 31, v1
	v_xor_b32_e32 v8, s23, v8
	v_cndmask_b32_e32 v15, v15, v16, vcc
	v_subrev_u32_e32 v16, s29, v14
	v_cndmask_b32_e32 v14, v14, v16, vcc
	v_add_u32_e32 v16, 1, v15
	v_cmp_le_u32_e32 vcc, s29, v14
	s_nop 1
	v_cndmask_b32_e32 v14, v15, v16, vcc
	v_xor_b32_e32 v14, v14, v8
	v_sub_u32_e32 v8, v14, v8
	v_add_u32_e32 v14, s42, v8
	v_sub_u32_e32 v16, 0, v14
	v_ashrrev_i32_e32 v15, 31, v14
	v_max_i32_e32 v14, v14, v16
	v_mul_hi_u32 v16, v14, v26
	v_mul_lo_u32 v16, v16, s7
	v_sub_u32_e32 v14, v14, v16
	v_subrev_u32_e32 v16, s7, v14
	v_cmp_le_u32_e32 vcc, s7, v14
	v_cmp_lt_i32_e64 s[0:1], s5, v8
	s_nop 0
	v_cndmask_b32_e32 v14, v14, v16, vcc
	v_subrev_u32_e32 v16, s7, v14
	v_cmp_le_u32_e32 vcc, s7, v14
	s_nop 1
	v_cndmask_b32_e32 v14, v14, v16, vcc
	v_xor_b32_e32 v14, v14, v15
	v_sub_u32_e32 v14, v14, v15
	v_cmp_eq_u32_e32 vcc, 0, v14
	s_or_b64 s[0:1], vcc, s[0:1]
	s_and_saveexec_b64 s[2:3], s[0:1]
	s_cbranch_execz .LBB266_242
; %bb.244:                              ;   in Loop: Header=BB266_243 Depth=1
	ds_read2_b64 v[18:21], v7 offset1:1
	ds_read2_b64 v[28:31], v7 offset0:2 offset1:3
                                        ; implicit-def: $sgpr18
	s_waitcnt lgkmcnt(1)
	;;#ASMSTART
	v_cvt_f16_f32 v36, v18;

	;;#ASMEND
	;;#ASMSTART
	v_cvt_f16_f32 v37, v19;

	;;#ASMEND
	;; [unrolled: 4-line block ×4, first 2 shown]
	s_waitcnt lgkmcnt(0)
	;;#ASMSTART
	v_cvt_f16_f32 v41, v28;

	;;#ASMEND
	;;#ASMSTART
	v_cvt_f16_f32 v42, v29;

	;;#ASMEND
	;;#ASMSTART
	v_cvt_f16_f32 v43, v30;

	;;#ASMEND
	;;#ASMSTART
	v_cvt_f16_f32 v44, v31;

	;;#ASMEND
	global_load_dword v8, v[12:13], off
	s_waitcnt vmcnt(0)
	v_mad_i64_i32 v[14:15], s[0:1], v8, s21, v[10:11]
	global_load_dwordx2 v[18:19], v[14:15], off
	global_load_dword v16, v9, s[14:15]
	s_mov_b64 s[0:1], 0
	s_waitcnt vmcnt(1)
	v_cmp_gt_i16_sdwa s[12:13], v18, s25 src0_sel:BYTE_0 src1_sel:DWORD
	s_and_saveexec_b64 s[16:17], s[12:13]
	s_xor_b64 s[12:13], exec, s[16:17]
	s_cbranch_execnz .LBB266_346
; %bb.245:                              ;   in Loop: Header=BB266_243 Depth=1
	s_or_saveexec_b64 s[12:13], s[12:13]
	v_mov_b32_e32 v20, s18
	s_xor_b64 exec, exec, s[12:13]
	s_cbranch_execnz .LBB266_349
.LBB266_246:                            ;   in Loop: Header=BB266_243 Depth=1
	s_or_b64 exec, exec, s[12:13]
	s_and_saveexec_b64 s[12:13], s[0:1]
	s_cbranch_execz .LBB266_248
.LBB266_247:                            ;   in Loop: Header=BB266_243 Depth=1
	v_and_b32_e32 v8, 7, v18
	v_ffbh_u32_e32 v8, v8
	v_bfe_u32 v20, v18, 3, 4
	v_min_u32_e32 v8, 32, v8
	v_subrev_u32_e32 v21, 28, v8
	v_sub_u32_e32 v8, 29, v8
	v_cmp_eq_u32_e32 vcc, 0, v20
	s_nop 1
	v_cndmask_b32_e32 v8, v20, v8, vcc
	v_cndmask_b32_e32 v20, 0, v21, vcc
	v_lshlrev_b64 v[20:21], v20, v[18:19]
	v_lshlrev_b32_e32 v21, 8, v18
	v_lshl_add_u32 v8, v8, 10, v27
	v_lshlrev_b32_e32 v20, 7, v20
	v_and_or_b32 v8, v21, s27, v8
	v_and_or_b32 v8, v20, s34, v8
	v_cvt_f32_f16_e32 v20, v8
.LBB266_248:                            ;   in Loop: Header=BB266_243 Depth=1
	s_or_b64 exec, exec, s[12:13]
	v_lshrrev_b16_e32 v8, 8, v18
	v_cmp_lt_i16_e32 vcc, s25, v8
	s_mov_b64 s[0:1], 0
                                        ; implicit-def: $sgpr18
	s_and_saveexec_b64 s[12:13], vcc
	s_xor_b64 s[12:13], exec, s[12:13]
	s_cbranch_execnz .LBB266_350
; %bb.249:                              ;   in Loop: Header=BB266_243 Depth=1
	s_or_saveexec_b64 s[12:13], s[12:13]
	v_mov_b32_e32 v22, s18
	s_xor_b64 exec, exec, s[12:13]
	s_cbranch_execnz .LBB266_353
.LBB266_250:                            ;   in Loop: Header=BB266_243 Depth=1
	s_or_b64 exec, exec, s[12:13]
	s_and_saveexec_b64 s[12:13], s[0:1]
	s_cbranch_execz .LBB266_252
.LBB266_251:                            ;   in Loop: Header=BB266_243 Depth=1
	v_and_b32_e32 v21, 7, v8
	v_ffbh_u32_e32 v22, v21
	v_min_u32_e32 v29, 32, v22
	v_subrev_u32_e32 v22, 28, v29
	v_bfe_u32 v28, v8, 3, 4
	v_lshlrev_b64 v[22:23], v22, v[8:9]
	v_sub_u32_e32 v23, 29, v29
	v_cmp_eq_u32_e32 vcc, 0, v28
	v_and_b32_e32 v22, 7, v22
	v_lshlrev_b32_e32 v8, 8, v8
	v_cndmask_b32_e32 v23, v28, v23, vcc
	v_cndmask_b32_e32 v21, v21, v22, vcc
	v_lshl_add_u32 v22, v23, 10, v27
	v_and_or_b32 v8, v8, s27, v22
	v_lshl_or_b32 v8, v21, 7, v8
	v_cvt_f32_f16_e32 v22, v8
.LBB266_252:                            ;   in Loop: Header=BB266_243 Depth=1
	s_or_b64 exec, exec, s[12:13]
	v_lshrrev_b32_e32 v8, 16, v18
	v_cmp_gt_i16_sdwa s[12:13], v8, s25 src0_sel:BYTE_0 src1_sel:DWORD
	s_mov_b64 s[0:1], 0
                                        ; implicit-def: $sgpr18
	s_and_saveexec_b64 s[16:17], s[12:13]
	s_xor_b64 s[12:13], exec, s[16:17]
	s_cbranch_execnz .LBB266_354
; %bb.253:                              ;   in Loop: Header=BB266_243 Depth=1
	s_or_saveexec_b64 s[12:13], s[12:13]
	v_mov_b32_e32 v21, s18
	s_xor_b64 exec, exec, s[12:13]
	s_cbranch_execnz .LBB266_357
.LBB266_254:                            ;   in Loop: Header=BB266_243 Depth=1
	s_or_b64 exec, exec, s[12:13]
	s_and_saveexec_b64 s[12:13], s[0:1]
	s_cbranch_execz .LBB266_256
.LBB266_255:                            ;   in Loop: Header=BB266_243 Depth=1
	v_bfe_u32 v21, v18, 16, 3
	v_ffbh_u32_e32 v28, v21
	v_min_u32_e32 v30, 32, v28
	v_subrev_u32_e32 v28, 28, v30
	v_bfe_u32 v23, v18, 19, 4
	v_lshlrev_b64 v[28:29], v28, v[8:9]
	v_sub_u32_e32 v29, 29, v30
	v_cmp_eq_u32_e32 vcc, 0, v23
	v_and_b32_e32 v28, 7, v28
	v_lshlrev_b32_e32 v8, 8, v8
	v_cndmask_b32_e32 v23, v23, v29, vcc
	v_lshl_add_u32 v23, v23, 10, v27
	v_cndmask_b32_e32 v21, v21, v28, vcc
	v_and_or_b32 v8, v8, s27, v23
	v_lshl_or_b32 v8, v21, 7, v8
	v_cvt_f32_f16_e32 v21, v8
.LBB266_256:                            ;   in Loop: Header=BB266_243 Depth=1
	s_or_b64 exec, exec, s[12:13]
	v_lshrrev_b32_e32 v8, 24, v18
	v_cmp_lt_i16_e32 vcc, s25, v8
	s_mov_b64 s[0:1], 0
                                        ; implicit-def: $sgpr18
	s_and_saveexec_b64 s[12:13], vcc
	s_xor_b64 s[12:13], exec, s[12:13]
	s_cbranch_execnz .LBB266_358
; %bb.257:                              ;   in Loop: Header=BB266_243 Depth=1
	s_or_saveexec_b64 s[12:13], s[12:13]
	v_mov_b32_e32 v23, s18
	s_xor_b64 exec, exec, s[12:13]
	s_cbranch_execnz .LBB266_361
.LBB266_258:                            ;   in Loop: Header=BB266_243 Depth=1
	s_or_b64 exec, exec, s[12:13]
	s_and_saveexec_b64 s[12:13], s[0:1]
	s_cbranch_execz .LBB266_260
.LBB266_259:                            ;   in Loop: Header=BB266_243 Depth=1
	v_bfe_u32 v23, v18, 24, 3
	v_ffbh_u32_e32 v28, v23
	v_min_u32_e32 v30, 32, v28
	v_subrev_u32_e32 v28, 28, v30
	v_bfe_u32 v18, v18, 27, 4
	v_lshlrev_b64 v[28:29], v28, v[8:9]
	v_sub_u32_e32 v29, 29, v30
	v_cmp_eq_u32_e32 vcc, 0, v18
	v_and_b32_e32 v28, 7, v28
	v_lshlrev_b32_e32 v8, 8, v8
	v_cndmask_b32_e32 v18, v18, v29, vcc
	v_lshl_add_u32 v18, v18, 10, v27
	v_cndmask_b32_e32 v23, v23, v28, vcc
	v_and_or_b32 v8, v8, s27, v18
	v_lshl_or_b32 v8, v23, 7, v8
	v_cvt_f32_f16_e32 v23, v8
.LBB266_260:                            ;   in Loop: Header=BB266_243 Depth=1
	s_or_b64 exec, exec, s[12:13]
	v_cmp_gt_i16_sdwa s[12:13], v19, s25 src0_sel:BYTE_0 src1_sel:DWORD
	s_mov_b64 s[0:1], 0
                                        ; implicit-def: $sgpr18
	s_and_saveexec_b64 s[16:17], s[12:13]
	s_xor_b64 s[12:13], exec, s[16:17]
	s_cbranch_execnz .LBB266_362
; %bb.261:                              ;   in Loop: Header=BB266_243 Depth=1
	s_or_saveexec_b64 s[12:13], s[12:13]
	v_mov_b32_e32 v18, s18
	s_xor_b64 exec, exec, s[12:13]
	s_cbranch_execnz .LBB266_365
.LBB266_262:                            ;   in Loop: Header=BB266_243 Depth=1
	s_or_b64 exec, exec, s[12:13]
	v_mov_b32_e32 v8, v19
	s_and_saveexec_b64 s[12:13], s[0:1]
	s_cbranch_execz .LBB266_264
.LBB266_263:                            ;   in Loop: Header=BB266_243 Depth=1
	v_and_b32_e32 v18, 7, v19
	v_ffbh_u32_e32 v18, v18
	v_bfe_u32 v28, v19, 3, 4
	v_min_u32_e32 v18, 32, v18
	v_subrev_u32_e32 v29, 28, v18
	v_sub_u32_e32 v18, 29, v18
	v_cmp_eq_u32_e32 vcc, 0, v28
	s_nop 1
	v_cndmask_b32_e32 v18, v28, v18, vcc
	v_cndmask_b32_e32 v28, 0, v29, vcc
	v_lshlrev_b64 v[28:29], v28, v[8:9]
	v_lshlrev_b32_e32 v29, 8, v19
	v_lshl_add_u32 v18, v18, 10, v27
	v_lshlrev_b32_e32 v28, 7, v28
	v_and_or_b32 v18, v29, s27, v18
	v_and_or_b32 v18, v28, s34, v18
	v_cvt_f32_f16_e32 v18, v18
.LBB266_264:                            ;   in Loop: Header=BB266_243 Depth=1
	s_or_b64 exec, exec, s[12:13]
	v_lshrrev_b16_e32 v8, 8, v8
	v_cmp_lt_i16_e32 vcc, s25, v8
	s_mov_b64 s[0:1], 0
                                        ; implicit-def: $sgpr18
	s_and_saveexec_b64 s[12:13], vcc
	s_xor_b64 s[12:13], exec, s[12:13]
	s_cbranch_execnz .LBB266_366
; %bb.265:                              ;   in Loop: Header=BB266_243 Depth=1
	s_or_saveexec_b64 s[12:13], s[12:13]
	v_mov_b32_e32 v28, s18
	s_xor_b64 exec, exec, s[12:13]
	s_cbranch_execnz .LBB266_369
.LBB266_266:                            ;   in Loop: Header=BB266_243 Depth=1
	s_or_b64 exec, exec, s[12:13]
	s_and_saveexec_b64 s[12:13], s[0:1]
	s_cbranch_execz .LBB266_268
.LBB266_267:                            ;   in Loop: Header=BB266_243 Depth=1
	v_and_b32_e32 v30, 7, v8
	v_ffbh_u32_e32 v28, v30
	v_min_u32_e32 v32, 32, v28
	v_subrev_u32_e32 v28, 28, v32
	v_bfe_u32 v31, v8, 3, 4
	v_lshlrev_b64 v[28:29], v28, v[8:9]
	v_sub_u32_e32 v29, 29, v32
	v_cmp_eq_u32_e32 vcc, 0, v31
	v_and_b32_e32 v28, 7, v28
	v_lshlrev_b32_e32 v8, 8, v8
	v_cndmask_b32_e32 v29, v31, v29, vcc
	v_lshl_add_u32 v29, v29, 10, v27
	v_cndmask_b32_e32 v28, v30, v28, vcc
	v_and_or_b32 v8, v8, s27, v29
	v_lshl_or_b32 v8, v28, 7, v8
	v_cvt_f32_f16_e32 v28, v8
.LBB266_268:                            ;   in Loop: Header=BB266_243 Depth=1
	s_or_b64 exec, exec, s[12:13]
	v_lshrrev_b32_e32 v8, 16, v19
	v_cmp_gt_i16_sdwa s[12:13], v8, s25 src0_sel:BYTE_0 src1_sel:DWORD
	s_mov_b64 s[0:1], 0
                                        ; implicit-def: $sgpr18
	s_and_saveexec_b64 s[16:17], s[12:13]
	s_xor_b64 s[12:13], exec, s[16:17]
	s_cbranch_execnz .LBB266_370
; %bb.269:                              ;   in Loop: Header=BB266_243 Depth=1
	s_or_saveexec_b64 s[12:13], s[12:13]
	v_mov_b32_e32 v29, s18
	s_xor_b64 exec, exec, s[12:13]
	s_cbranch_execnz .LBB266_373
.LBB266_270:                            ;   in Loop: Header=BB266_243 Depth=1
	s_or_b64 exec, exec, s[12:13]
	s_and_saveexec_b64 s[12:13], s[0:1]
	s_cbranch_execz .LBB266_272
.LBB266_271:                            ;   in Loop: Header=BB266_243 Depth=1
	v_bfe_u32 v29, v19, 16, 3
	v_ffbh_u32_e32 v30, v29
	v_min_u32_e32 v33, 32, v30
	v_subrev_u32_e32 v30, 28, v33
	v_bfe_u32 v32, v19, 19, 4
	v_lshlrev_b64 v[30:31], v30, v[8:9]
	v_sub_u32_e32 v31, 29, v33
	v_cmp_eq_u32_e32 vcc, 0, v32
	v_and_b32_e32 v30, 7, v30
	v_lshlrev_b32_e32 v8, 8, v8
	v_cndmask_b32_e32 v31, v32, v31, vcc
	v_cndmask_b32_e32 v29, v29, v30, vcc
	v_lshl_add_u32 v30, v31, 10, v27
	v_and_or_b32 v8, v8, s27, v30
	v_lshl_or_b32 v8, v29, 7, v8
	v_cvt_f32_f16_e32 v29, v8
.LBB266_272:                            ;   in Loop: Header=BB266_243 Depth=1
	s_or_b64 exec, exec, s[12:13]
	v_lshrrev_b32_e32 v8, 24, v19
	v_cmp_lt_i16_e32 vcc, s25, v8
	s_mov_b64 s[0:1], 0
                                        ; implicit-def: $sgpr18
	s_and_saveexec_b64 s[12:13], vcc
	s_xor_b64 s[12:13], exec, s[12:13]
	s_cbranch_execnz .LBB266_374
; %bb.273:                              ;   in Loop: Header=BB266_243 Depth=1
	s_or_saveexec_b64 s[12:13], s[12:13]
	v_mov_b32_e32 v31, s18
	s_xor_b64 exec, exec, s[12:13]
	s_cbranch_execnz .LBB266_377
.LBB266_274:                            ;   in Loop: Header=BB266_243 Depth=1
	s_or_b64 exec, exec, s[12:13]
	s_and_saveexec_b64 s[12:13], s[0:1]
	s_cbranch_execz .LBB266_276
.LBB266_275:                            ;   in Loop: Header=BB266_243 Depth=1
	v_bfe_u32 v32, v19, 24, 3
	v_ffbh_u32_e32 v30, v32
	v_min_u32_e32 v33, 32, v30
	v_subrev_u32_e32 v30, 28, v33
	v_bfe_u32 v19, v19, 27, 4
	v_lshlrev_b64 v[30:31], v30, v[8:9]
	v_sub_u32_e32 v31, 29, v33
	v_cmp_eq_u32_e32 vcc, 0, v19
	v_and_b32_e32 v30, 7, v30
	v_lshlrev_b32_e32 v8, 8, v8
	v_cndmask_b32_e32 v19, v19, v31, vcc
	v_lshl_add_u32 v19, v19, 10, v27
	v_cndmask_b32_e32 v30, v32, v30, vcc
	v_and_or_b32 v8, v8, s27, v19
	v_lshl_or_b32 v8, v30, 7, v8
	v_cvt_f32_f16_e32 v31, v8
.LBB266_276:                            ;   in Loop: Header=BB266_243 Depth=1
	s_or_b64 exec, exec, s[12:13]
	s_waitcnt vmcnt(0)
	v_pk_mul_f32 v[22:23], v[16:17], v[22:23] op_sel_hi:[0,1]
	v_pk_mul_f32 v[20:21], v[16:17], v[20:21] op_sel_hi:[0,1]
	v_cvt_f16_f32_e32 v8, v23
	v_cvt_f16_f32_e32 v19, v22
	;; [unrolled: 1-line block ×4, first 2 shown]
	v_fma_mixlo_f16 v18, v16, v18, 0
	v_pack_b32_f16 v19, v19, v8
	v_add_u32_e32 v30, v25, v1
	v_pack_b32_f16 v20, v20, v21
	v_perm_b32 v8, v20, v19, s36
	v_perm_b32 v19, v20, v19, s37
	v_fma_mixlo_f16 v20, v16, v28, 0
	v_lshlrev_b32_e32 v20, 16, v20
	v_or_b32_sdwa v18, v20, v18 dst_sel:DWORD dst_unused:UNUSED_PAD src0_sel:DWORD src1_sel:WORD_0
	v_fma_mixlo_f16 v20, v16, v29, 0
	v_fma_mixlo_f16 v16, v16, v31, 0
	v_lshlrev_b32_e32 v16, 16, v16
	v_cmp_eq_u32_e32 vcc, s22, v6
	v_or_b32_sdwa v16, v16, v20 dst_sel:DWORD dst_unused:UNUSED_PAD src0_sel:DWORD src1_sel:WORD_0
	v_add_u32_e32 v35, 1, v30
	v_or_b32_e32 v34, 3, v30
	v_or_b32_e32 v33, 2, v30
	;; [unrolled: 1-line block ×6, first 2 shown]
	s_and_saveexec_b64 s[12:13], vcc
	s_cbranch_execz .LBB266_278
; %bb.277:                              ;   in Loop: Header=BB266_243 Depth=1
	v_lshrrev_b32_e32 v21, 16, v19
	v_cmp_gt_i32_e64 s[0:1], s24, v35
	v_lshrrev_b32_e32 v16, 16, v16
	s_nop 0
	v_cndmask_b32_e64 v21, 0, v21, s[0:1]
	v_cmp_gt_i32_e64 s[0:1], s33, v30
	s_nop 1
	v_cndmask_b32_e64 v19, 0, v19, s[0:1]
	v_perm_b32 v19, v21, v19, s38
	v_lshrrev_b32_e32 v21, 16, v8
	v_cmp_gt_i32_e64 s[0:1], s24, v34
	s_nop 1
	v_cndmask_b32_e64 v21, 0, v21, s[0:1]
	v_cmp_gt_i32_e64 s[0:1], s33, v33
	s_nop 1
	v_cndmask_b32_e64 v8, 0, v8, s[0:1]
	v_perm_b32 v8, v21, v8, s38
	v_lshrrev_b32_e32 v21, 16, v18
	v_cmp_gt_i32_e64 s[0:1], s24, v32
	s_nop 1
	v_cndmask_b32_e64 v21, 0, v21, s[0:1]
	v_cmp_gt_i32_e64 s[0:1], s33, v31
	s_nop 1
	v_cndmask_b32_e64 v18, 0, v18, s[0:1]
	v_cmp_gt_i32_e64 s[0:1], s24, v29
	v_perm_b32 v18, v21, v18, s38
	s_nop 0
	v_cndmask_b32_e64 v16, 0, v16, s[0:1]
	v_cmp_gt_i32_e64 s[0:1], s33, v28
	s_nop 1
	v_cndmask_b32_e64 v20, 0, v20, s[0:1]
	v_perm_b32 v16, v16, v20, s38
.LBB266_278:                            ;   in Loop: Header=BB266_243 Depth=1
	s_or_b64 exec, exec, s[12:13]
	v_and_b32_e32 v20, 0xffff, v36
	v_lshl_or_b32 v39, v37, 16, v20
	v_and_b32_e32 v20, 0xffff, v38
	v_lshl_or_b32 v38, v40, 16, v20
	;; [unrolled: 2-line block ×3, first 2 shown]
	v_and_b32_e32 v20, 0xffff, v43
	;;#ASMSTART
	v_pk_mul_f16 v19, v39, v19;

	;;#ASMEND
	;;#ASMSTART
	v_pk_mul_f16 v8, v38, v8;

	;;#ASMEND
	v_lshl_or_b32 v36, v44, 16, v20
	;;#ASMSTART
	v_pk_mul_f16 v18, v37, v18;

	;;#ASMEND
	;;#ASMSTART
	v_pk_mul_f16 v16, v36, v16;

	;;#ASMEND
	;;#ASMSTART
	v_pk_add_f16 v8, v19, v8;

	;;#ASMEND
	s_mov_b64 s[0:1], 0
	;;#ASMSTART
	v_pk_add_f16 v8, v8, v18;

	;;#ASMEND
                                        ; implicit-def: $sgpr18
	s_nop 0
	;;#ASMSTART
	v_pk_add_f16 v8, v8, v16;

	;;#ASMEND
	s_nop 0
	v_lshrrev_b32_e32 v16, 16, v8
	v_and_b32_e32 v8, 0xffff, v8
	;;#ASMSTART
	v_cvt_f32_f16 v40, v8;
	;;#ASMEND
	;;#ASMSTART
	v_cvt_f32_f16 v41, v16;
	;;#ASMEND
	global_load_dwordx2 v[18:19], v[14:15], off offset:512
	global_load_dword v16, v9, s[14:15]
	s_waitcnt vmcnt(1)
	v_cmp_gt_i16_sdwa s[12:13], v18, s25 src0_sel:BYTE_0 src1_sel:DWORD
	s_and_saveexec_b64 s[16:17], s[12:13]
	s_xor_b64 s[12:13], exec, s[16:17]
	s_cbranch_execnz .LBB266_378
; %bb.279:                              ;   in Loop: Header=BB266_243 Depth=1
	s_or_saveexec_b64 s[12:13], s[12:13]
	v_mov_b32_e32 v20, s18
	s_xor_b64 exec, exec, s[12:13]
	s_cbranch_execnz .LBB266_381
.LBB266_280:                            ;   in Loop: Header=BB266_243 Depth=1
	s_or_b64 exec, exec, s[12:13]
	s_and_saveexec_b64 s[12:13], s[0:1]
	s_cbranch_execz .LBB266_282
.LBB266_281:                            ;   in Loop: Header=BB266_243 Depth=1
	v_and_b32_e32 v8, 7, v18
	v_ffbh_u32_e32 v8, v8
	v_bfe_u32 v20, v18, 3, 4
	v_min_u32_e32 v8, 32, v8
	v_subrev_u32_e32 v21, 28, v8
	v_sub_u32_e32 v8, 29, v8
	v_cmp_eq_u32_e64 s[0:1], 0, v20
	s_nop 1
	v_cndmask_b32_e64 v8, v20, v8, s[0:1]
	v_cndmask_b32_e64 v20, 0, v21, s[0:1]
	v_lshlrev_b64 v[20:21], v20, v[18:19]
	v_lshlrev_b32_e32 v21, 8, v18
	v_lshl_add_u32 v8, v8, 10, v27
	v_lshlrev_b32_e32 v20, 7, v20
	v_and_or_b32 v8, v21, s27, v8
	v_and_or_b32 v8, v20, s34, v8
	v_cvt_f32_f16_e32 v20, v8
.LBB266_282:                            ;   in Loop: Header=BB266_243 Depth=1
	s_or_b64 exec, exec, s[12:13]
	v_lshrrev_b16_e32 v8, 8, v18
	v_cmp_lt_i16_e64 s[0:1], s25, v8
	s_mov_b64 s[12:13], 0
                                        ; implicit-def: $sgpr39
	s_and_saveexec_b64 s[16:17], s[0:1]
	s_xor_b64 s[16:17], exec, s[16:17]
	s_cbranch_execnz .LBB266_382
; %bb.283:                              ;   in Loop: Header=BB266_243 Depth=1
	s_or_saveexec_b64 s[16:17], s[16:17]
	v_mov_b32_e32 v22, s39
	s_xor_b64 exec, exec, s[16:17]
	s_cbranch_execnz .LBB266_385
.LBB266_284:                            ;   in Loop: Header=BB266_243 Depth=1
	s_or_b64 exec, exec, s[16:17]
	s_and_saveexec_b64 s[16:17], s[12:13]
	s_cbranch_execz .LBB266_286
.LBB266_285:                            ;   in Loop: Header=BB266_243 Depth=1
	v_and_b32_e32 v21, 7, v8
	v_ffbh_u32_e32 v22, v21
	v_min_u32_e32 v43, 32, v22
	v_subrev_u32_e32 v22, 28, v43
	v_bfe_u32 v42, v8, 3, 4
	v_lshlrev_b64 v[22:23], v22, v[8:9]
	v_sub_u32_e32 v23, 29, v43
	v_cmp_eq_u32_e64 s[0:1], 0, v42
	v_and_b32_e32 v22, 7, v22
	v_lshlrev_b32_e32 v8, 8, v8
	v_cndmask_b32_e64 v23, v42, v23, s[0:1]
	v_cndmask_b32_e64 v21, v21, v22, s[0:1]
	v_lshl_add_u32 v22, v23, 10, v27
	v_and_or_b32 v8, v8, s27, v22
	v_lshl_or_b32 v8, v21, 7, v8
	v_cvt_f32_f16_e32 v22, v8
.LBB266_286:                            ;   in Loop: Header=BB266_243 Depth=1
	s_or_b64 exec, exec, s[16:17]
	v_lshrrev_b32_e32 v8, 16, v18
	v_cmp_gt_i16_sdwa s[12:13], v8, s25 src0_sel:BYTE_0 src1_sel:DWORD
	s_mov_b64 s[0:1], 0
                                        ; implicit-def: $sgpr18
	s_and_saveexec_b64 s[16:17], s[12:13]
	s_xor_b64 s[12:13], exec, s[16:17]
	s_cbranch_execnz .LBB266_386
; %bb.287:                              ;   in Loop: Header=BB266_243 Depth=1
	s_or_saveexec_b64 s[12:13], s[12:13]
	v_mov_b32_e32 v21, s18
	s_xor_b64 exec, exec, s[12:13]
	s_cbranch_execnz .LBB266_389
.LBB266_288:                            ;   in Loop: Header=BB266_243 Depth=1
	s_or_b64 exec, exec, s[12:13]
	s_and_saveexec_b64 s[12:13], s[0:1]
	s_cbranch_execz .LBB266_290
.LBB266_289:                            ;   in Loop: Header=BB266_243 Depth=1
	v_bfe_u32 v21, v18, 16, 3
	v_ffbh_u32_e32 v42, v21
	v_min_u32_e32 v44, 32, v42
	v_subrev_u32_e32 v42, 28, v44
	v_bfe_u32 v23, v18, 19, 4
	v_lshlrev_b64 v[42:43], v42, v[8:9]
	v_sub_u32_e32 v43, 29, v44
	v_cmp_eq_u32_e64 s[0:1], 0, v23
	v_and_b32_e32 v42, 7, v42
	v_lshlrev_b32_e32 v8, 8, v8
	v_cndmask_b32_e64 v23, v23, v43, s[0:1]
	v_lshl_add_u32 v23, v23, 10, v27
	v_cndmask_b32_e64 v21, v21, v42, s[0:1]
	v_and_or_b32 v8, v8, s27, v23
	v_lshl_or_b32 v8, v21, 7, v8
	v_cvt_f32_f16_e32 v21, v8
.LBB266_290:                            ;   in Loop: Header=BB266_243 Depth=1
	s_or_b64 exec, exec, s[12:13]
	v_lshrrev_b32_e32 v8, 24, v18
	v_cmp_lt_i16_e64 s[0:1], s25, v8
	s_mov_b64 s[12:13], 0
                                        ; implicit-def: $sgpr39
	s_and_saveexec_b64 s[16:17], s[0:1]
	s_xor_b64 s[16:17], exec, s[16:17]
	s_cbranch_execnz .LBB266_390
; %bb.291:                              ;   in Loop: Header=BB266_243 Depth=1
	s_or_saveexec_b64 s[16:17], s[16:17]
	v_mov_b32_e32 v23, s39
	s_xor_b64 exec, exec, s[16:17]
	s_cbranch_execnz .LBB266_393
.LBB266_292:                            ;   in Loop: Header=BB266_243 Depth=1
	s_or_b64 exec, exec, s[16:17]
	s_and_saveexec_b64 s[16:17], s[12:13]
	s_cbranch_execz .LBB266_294
.LBB266_293:                            ;   in Loop: Header=BB266_243 Depth=1
	v_bfe_u32 v23, v18, 24, 3
	v_ffbh_u32_e32 v42, v23
	v_min_u32_e32 v44, 32, v42
	v_subrev_u32_e32 v42, 28, v44
	v_bfe_u32 v18, v18, 27, 4
	v_lshlrev_b64 v[42:43], v42, v[8:9]
	v_sub_u32_e32 v43, 29, v44
	v_cmp_eq_u32_e64 s[0:1], 0, v18
	v_and_b32_e32 v42, 7, v42
	v_lshlrev_b32_e32 v8, 8, v8
	v_cndmask_b32_e64 v18, v18, v43, s[0:1]
	v_lshl_add_u32 v18, v18, 10, v27
	v_cndmask_b32_e64 v23, v23, v42, s[0:1]
	v_and_or_b32 v8, v8, s27, v18
	v_lshl_or_b32 v8, v23, 7, v8
	v_cvt_f32_f16_e32 v23, v8
.LBB266_294:                            ;   in Loop: Header=BB266_243 Depth=1
	s_or_b64 exec, exec, s[16:17]
	v_cmp_gt_i16_sdwa s[12:13], v19, s25 src0_sel:BYTE_0 src1_sel:DWORD
	s_mov_b64 s[0:1], 0
                                        ; implicit-def: $sgpr18
	s_and_saveexec_b64 s[16:17], s[12:13]
	s_xor_b64 s[12:13], exec, s[16:17]
	s_cbranch_execnz .LBB266_394
; %bb.295:                              ;   in Loop: Header=BB266_243 Depth=1
	s_or_saveexec_b64 s[12:13], s[12:13]
	v_mov_b32_e32 v18, s18
	s_xor_b64 exec, exec, s[12:13]
	s_cbranch_execnz .LBB266_397
.LBB266_296:                            ;   in Loop: Header=BB266_243 Depth=1
	s_or_b64 exec, exec, s[12:13]
	v_mov_b32_e32 v8, v19
	s_and_saveexec_b64 s[12:13], s[0:1]
	s_cbranch_execz .LBB266_298
.LBB266_297:                            ;   in Loop: Header=BB266_243 Depth=1
	v_and_b32_e32 v18, 7, v19
	v_ffbh_u32_e32 v18, v18
	v_bfe_u32 v42, v19, 3, 4
	v_min_u32_e32 v18, 32, v18
	v_subrev_u32_e32 v43, 28, v18
	v_sub_u32_e32 v18, 29, v18
	v_cmp_eq_u32_e64 s[0:1], 0, v42
	s_nop 1
	v_cndmask_b32_e64 v18, v42, v18, s[0:1]
	v_cndmask_b32_e64 v42, 0, v43, s[0:1]
	v_lshlrev_b64 v[42:43], v42, v[8:9]
	v_lshlrev_b32_e32 v43, 8, v19
	v_lshl_add_u32 v18, v18, 10, v27
	v_lshlrev_b32_e32 v42, 7, v42
	v_and_or_b32 v18, v43, s27, v18
	v_and_or_b32 v18, v42, s34, v18
	v_cvt_f32_f16_e32 v18, v18
.LBB266_298:                            ;   in Loop: Header=BB266_243 Depth=1
	s_or_b64 exec, exec, s[12:13]
	v_lshrrev_b16_e32 v8, 8, v8
	v_cmp_lt_i16_e64 s[0:1], s25, v8
	s_mov_b64 s[12:13], 0
                                        ; implicit-def: $sgpr39
	s_and_saveexec_b64 s[16:17], s[0:1]
	s_xor_b64 s[16:17], exec, s[16:17]
	s_cbranch_execnz .LBB266_398
; %bb.299:                              ;   in Loop: Header=BB266_243 Depth=1
	s_or_saveexec_b64 s[16:17], s[16:17]
	v_mov_b32_e32 v42, s39
	s_xor_b64 exec, exec, s[16:17]
	s_cbranch_execnz .LBB266_401
.LBB266_300:                            ;   in Loop: Header=BB266_243 Depth=1
	s_or_b64 exec, exec, s[16:17]
	s_and_saveexec_b64 s[16:17], s[12:13]
	s_cbranch_execz .LBB266_302
.LBB266_301:                            ;   in Loop: Header=BB266_243 Depth=1
	v_and_b32_e32 v44, 7, v8
	v_ffbh_u32_e32 v42, v44
	v_min_u32_e32 v46, 32, v42
	v_subrev_u32_e32 v42, 28, v46
	v_bfe_u32 v45, v8, 3, 4
	v_lshlrev_b64 v[42:43], v42, v[8:9]
	v_sub_u32_e32 v43, 29, v46
	v_cmp_eq_u32_e64 s[0:1], 0, v45
	v_and_b32_e32 v42, 7, v42
	v_lshlrev_b32_e32 v8, 8, v8
	v_cndmask_b32_e64 v43, v45, v43, s[0:1]
	v_lshl_add_u32 v43, v43, 10, v27
	v_cndmask_b32_e64 v42, v44, v42, s[0:1]
	v_and_or_b32 v8, v8, s27, v43
	v_lshl_or_b32 v8, v42, 7, v8
	v_cvt_f32_f16_e32 v42, v8
.LBB266_302:                            ;   in Loop: Header=BB266_243 Depth=1
	s_or_b64 exec, exec, s[16:17]
	v_lshrrev_b32_e32 v8, 16, v19
	v_cmp_gt_i16_sdwa s[12:13], v8, s25 src0_sel:BYTE_0 src1_sel:DWORD
	s_mov_b64 s[0:1], 0
                                        ; implicit-def: $sgpr18
	s_and_saveexec_b64 s[16:17], s[12:13]
	s_xor_b64 s[12:13], exec, s[16:17]
	s_cbranch_execnz .LBB266_402
; %bb.303:                              ;   in Loop: Header=BB266_243 Depth=1
	s_or_saveexec_b64 s[12:13], s[12:13]
	v_mov_b32_e32 v43, s18
	s_xor_b64 exec, exec, s[12:13]
	s_cbranch_execnz .LBB266_405
.LBB266_304:                            ;   in Loop: Header=BB266_243 Depth=1
	s_or_b64 exec, exec, s[12:13]
	s_and_saveexec_b64 s[12:13], s[0:1]
	s_cbranch_execz .LBB266_306
.LBB266_305:                            ;   in Loop: Header=BB266_243 Depth=1
	v_bfe_u32 v43, v19, 16, 3
	v_ffbh_u32_e32 v44, v43
	v_min_u32_e32 v47, 32, v44
	v_subrev_u32_e32 v44, 28, v47
	v_bfe_u32 v46, v19, 19, 4
	v_lshlrev_b64 v[44:45], v44, v[8:9]
	v_sub_u32_e32 v45, 29, v47
	v_cmp_eq_u32_e64 s[0:1], 0, v46
	v_and_b32_e32 v44, 7, v44
	v_lshlrev_b32_e32 v8, 8, v8
	v_cndmask_b32_e64 v45, v46, v45, s[0:1]
	v_cndmask_b32_e64 v43, v43, v44, s[0:1]
	v_lshl_add_u32 v44, v45, 10, v27
	v_and_or_b32 v8, v8, s27, v44
	v_lshl_or_b32 v8, v43, 7, v8
	v_cvt_f32_f16_e32 v43, v8
.LBB266_306:                            ;   in Loop: Header=BB266_243 Depth=1
	s_or_b64 exec, exec, s[12:13]
	v_lshrrev_b32_e32 v8, 24, v19
	v_cmp_lt_i16_e64 s[0:1], s25, v8
	s_mov_b64 s[12:13], 0
                                        ; implicit-def: $sgpr39
	s_and_saveexec_b64 s[16:17], s[0:1]
	s_xor_b64 s[16:17], exec, s[16:17]
	s_cbranch_execnz .LBB266_406
; %bb.307:                              ;   in Loop: Header=BB266_243 Depth=1
	s_or_saveexec_b64 s[16:17], s[16:17]
	v_mov_b32_e32 v44, s39
	s_xor_b64 exec, exec, s[16:17]
	s_cbranch_execnz .LBB266_409
.LBB266_308:                            ;   in Loop: Header=BB266_243 Depth=1
	s_or_b64 exec, exec, s[16:17]
	s_and_saveexec_b64 s[16:17], s[12:13]
	s_cbranch_execz .LBB266_310
.LBB266_309:                            ;   in Loop: Header=BB266_243 Depth=1
	v_bfe_u32 v46, v19, 24, 3
	v_ffbh_u32_e32 v44, v46
	v_min_u32_e32 v47, 32, v44
	v_subrev_u32_e32 v44, 28, v47
	v_bfe_u32 v19, v19, 27, 4
	v_lshlrev_b64 v[44:45], v44, v[8:9]
	v_sub_u32_e32 v45, 29, v47
	v_cmp_eq_u32_e64 s[0:1], 0, v19
	v_and_b32_e32 v44, 7, v44
	v_lshlrev_b32_e32 v8, 8, v8
	v_cndmask_b32_e64 v19, v19, v45, s[0:1]
	v_lshl_add_u32 v19, v19, 10, v27
	v_cndmask_b32_e64 v44, v46, v44, s[0:1]
	v_and_or_b32 v8, v8, s27, v19
	v_lshl_or_b32 v8, v44, 7, v8
	v_cvt_f32_f16_e32 v44, v8
.LBB266_310:                            ;   in Loop: Header=BB266_243 Depth=1
	s_or_b64 exec, exec, s[16:17]
	s_waitcnt vmcnt(0)
	v_pk_mul_f32 v[22:23], v[16:17], v[22:23] op_sel_hi:[0,1]
	v_pk_mul_f32 v[20:21], v[16:17], v[20:21] op_sel_hi:[0,1]
	v_cvt_f16_f32_e32 v8, v23
	v_cvt_f16_f32_e32 v19, v22
	v_cvt_f16_f32_e32 v21, v21
	v_cvt_f16_f32_e32 v20, v20
	v_fma_mixlo_f16 v18, v16, v18, 0
	v_pack_b32_f16 v19, v19, v8
	v_pack_b32_f16 v20, v20, v21
	v_perm_b32 v8, v20, v19, s36
	v_perm_b32 v19, v20, v19, s37
	v_fma_mixlo_f16 v20, v16, v42, 0
	v_lshlrev_b32_e32 v20, 16, v20
	v_or_b32_sdwa v18, v20, v18 dst_sel:DWORD dst_unused:UNUSED_PAD src0_sel:DWORD src1_sel:WORD_0
	v_fma_mixlo_f16 v20, v16, v43, 0
	v_fma_mixlo_f16 v16, v16, v44, 0
	v_lshlrev_b32_e32 v16, 16, v16
	v_or_b32_sdwa v16, v16, v20 dst_sel:DWORD dst_unused:UNUSED_PAD src0_sel:DWORD src1_sel:WORD_0
	s_and_saveexec_b64 s[12:13], vcc
	s_cbranch_execz .LBB266_312
; %bb.311:                              ;   in Loop: Header=BB266_243 Depth=1
	v_lshrrev_b32_e32 v21, 16, v19
	v_cmp_gt_i32_e64 s[0:1], s24, v35
	v_lshrrev_b32_e32 v16, 16, v16
	s_nop 0
	v_cndmask_b32_e64 v21, 0, v21, s[0:1]
	v_cmp_gt_i32_e64 s[0:1], s33, v30
	s_nop 1
	v_cndmask_b32_e64 v19, 0, v19, s[0:1]
	v_perm_b32 v19, v21, v19, s38
	v_lshrrev_b32_e32 v21, 16, v8
	v_cmp_gt_i32_e64 s[0:1], s24, v34
	s_nop 1
	v_cndmask_b32_e64 v21, 0, v21, s[0:1]
	v_cmp_gt_i32_e64 s[0:1], s33, v33
	s_nop 1
	v_cndmask_b32_e64 v8, 0, v8, s[0:1]
	v_perm_b32 v8, v21, v8, s38
	v_lshrrev_b32_e32 v21, 16, v18
	v_cmp_gt_i32_e64 s[0:1], s24, v32
	s_nop 1
	v_cndmask_b32_e64 v21, 0, v21, s[0:1]
	v_cmp_gt_i32_e64 s[0:1], s33, v31
	s_nop 1
	v_cndmask_b32_e64 v18, 0, v18, s[0:1]
	v_cmp_gt_i32_e64 s[0:1], s24, v29
	v_perm_b32 v18, v21, v18, s38
	s_nop 0
	v_cndmask_b32_e64 v16, 0, v16, s[0:1]
	v_cmp_gt_i32_e64 s[0:1], s33, v28
	s_nop 1
	v_cndmask_b32_e64 v20, 0, v20, s[0:1]
	v_perm_b32 v16, v16, v20, s38
.LBB266_312:                            ;   in Loop: Header=BB266_243 Depth=1
	s_or_b64 exec, exec, s[12:13]
	;;#ASMSTART
	v_pk_mul_f16 v19, v39, v19;

	;;#ASMEND
	;;#ASMSTART
	v_pk_mul_f16 v8, v38, v8;

	;;#ASMEND
	;; [unrolled: 4-line block ×4, first 2 shown]
	s_mov_b64 s[0:1], 0
	;;#ASMSTART
	v_pk_add_f16 v8, v19, v8;

	;;#ASMEND
                                        ; implicit-def: $sgpr18
	s_nop 0
	;;#ASMSTART
	v_pk_add_f16 v8, v8, v18;

	;;#ASMEND
	s_nop 0
	;;#ASMSTART
	v_pk_add_f16 v8, v8, v16;

	;;#ASMEND
	s_nop 0
	v_lshrrev_b32_e32 v16, 16, v8
	v_and_b32_e32 v8, 0xffff, v8
	;;#ASMSTART
	v_cvt_f32_f16 v22, v8;
	;;#ASMEND
	;;#ASMSTART
	v_cvt_f32_f16 v23, v16;
	;;#ASMEND
	global_load_dwordx2 v[18:19], v[14:15], off offset:1024
	global_load_dword v16, v9, s[14:15]
	s_waitcnt vmcnt(1)
	v_cmp_gt_i16_sdwa s[12:13], v18, s25 src0_sel:BYTE_0 src1_sel:DWORD
	s_and_saveexec_b64 s[16:17], s[12:13]
	s_xor_b64 s[12:13], exec, s[16:17]
	s_cbranch_execnz .LBB266_410
; %bb.313:                              ;   in Loop: Header=BB266_243 Depth=1
	s_or_saveexec_b64 s[12:13], s[12:13]
	v_mov_b32_e32 v14, s18
	s_xor_b64 exec, exec, s[12:13]
	s_cbranch_execnz .LBB266_413
.LBB266_314:                            ;   in Loop: Header=BB266_243 Depth=1
	s_or_b64 exec, exec, s[12:13]
	s_and_saveexec_b64 s[12:13], s[0:1]
	s_cbranch_execz .LBB266_316
.LBB266_315:                            ;   in Loop: Header=BB266_243 Depth=1
	v_and_b32_e32 v8, 7, v18
	v_ffbh_u32_e32 v8, v8
	v_bfe_u32 v14, v18, 3, 4
	v_min_u32_e32 v8, 32, v8
	v_subrev_u32_e32 v15, 28, v8
	v_sub_u32_e32 v8, 29, v8
	v_cmp_eq_u32_e64 s[0:1], 0, v14
	s_nop 1
	v_cndmask_b32_e64 v8, v14, v8, s[0:1]
	v_cndmask_b32_e64 v14, 0, v15, s[0:1]
	v_lshlrev_b64 v[14:15], v14, v[18:19]
	v_lshlrev_b32_e32 v15, 8, v18
	v_lshl_add_u32 v8, v8, 10, v27
	v_lshlrev_b32_e32 v14, 7, v14
	v_and_or_b32 v8, v15, s27, v8
	v_and_or_b32 v8, v14, s34, v8
	v_cvt_f32_f16_e32 v14, v8
.LBB266_316:                            ;   in Loop: Header=BB266_243 Depth=1
	s_or_b64 exec, exec, s[12:13]
	v_lshrrev_b16_e32 v8, 8, v18
	v_cmp_lt_i16_e64 s[0:1], s25, v8
	s_mov_b64 s[12:13], 0
                                        ; implicit-def: $sgpr39
	s_and_saveexec_b64 s[16:17], s[0:1]
	s_xor_b64 s[16:17], exec, s[16:17]
	s_cbranch_execnz .LBB266_414
; %bb.317:                              ;   in Loop: Header=BB266_243 Depth=1
	s_or_saveexec_b64 s[16:17], s[16:17]
	v_mov_b32_e32 v20, s39
	s_xor_b64 exec, exec, s[16:17]
	s_cbranch_execnz .LBB266_417
.LBB266_318:                            ;   in Loop: Header=BB266_243 Depth=1
	s_or_b64 exec, exec, s[16:17]
	s_and_saveexec_b64 s[16:17], s[12:13]
	s_cbranch_execz .LBB266_320
.LBB266_319:                            ;   in Loop: Header=BB266_243 Depth=1
	v_and_b32_e32 v15, 7, v8
	v_ffbh_u32_e32 v20, v15
	v_min_u32_e32 v43, 32, v20
	v_subrev_u32_e32 v20, 28, v43
	v_bfe_u32 v42, v8, 3, 4
	v_lshlrev_b64 v[20:21], v20, v[8:9]
	v_sub_u32_e32 v21, 29, v43
	v_cmp_eq_u32_e64 s[0:1], 0, v42
	v_and_b32_e32 v20, 7, v20
	v_lshlrev_b32_e32 v8, 8, v8
	v_cndmask_b32_e64 v21, v42, v21, s[0:1]
	v_cndmask_b32_e64 v15, v15, v20, s[0:1]
	v_lshl_add_u32 v20, v21, 10, v27
	v_and_or_b32 v8, v8, s27, v20
	v_lshl_or_b32 v8, v15, 7, v8
	v_cvt_f32_f16_e32 v20, v8
.LBB266_320:                            ;   in Loop: Header=BB266_243 Depth=1
	s_or_b64 exec, exec, s[16:17]
	v_lshrrev_b32_e32 v8, 16, v18
	v_cmp_gt_i16_sdwa s[12:13], v8, s25 src0_sel:BYTE_0 src1_sel:DWORD
	s_mov_b64 s[0:1], 0
                                        ; implicit-def: $sgpr18
	s_and_saveexec_b64 s[16:17], s[12:13]
	s_xor_b64 s[12:13], exec, s[16:17]
	s_cbranch_execnz .LBB266_418
; %bb.321:                              ;   in Loop: Header=BB266_243 Depth=1
	s_or_saveexec_b64 s[12:13], s[12:13]
	v_mov_b32_e32 v15, s18
	s_xor_b64 exec, exec, s[12:13]
	s_cbranch_execnz .LBB266_421
.LBB266_322:                            ;   in Loop: Header=BB266_243 Depth=1
	s_or_b64 exec, exec, s[12:13]
	s_and_saveexec_b64 s[12:13], s[0:1]
	s_cbranch_execz .LBB266_324
.LBB266_323:                            ;   in Loop: Header=BB266_243 Depth=1
	v_bfe_u32 v15, v18, 16, 3
	v_ffbh_u32_e32 v42, v15
	v_min_u32_e32 v44, 32, v42
	v_subrev_u32_e32 v42, 28, v44
	v_bfe_u32 v21, v18, 19, 4
	v_lshlrev_b64 v[42:43], v42, v[8:9]
	v_sub_u32_e32 v43, 29, v44
	v_cmp_eq_u32_e64 s[0:1], 0, v21
	v_and_b32_e32 v42, 7, v42
	v_lshlrev_b32_e32 v8, 8, v8
	v_cndmask_b32_e64 v21, v21, v43, s[0:1]
	v_lshl_add_u32 v21, v21, 10, v27
	v_cndmask_b32_e64 v15, v15, v42, s[0:1]
	v_and_or_b32 v8, v8, s27, v21
	v_lshl_or_b32 v8, v15, 7, v8
	v_cvt_f32_f16_e32 v15, v8
.LBB266_324:                            ;   in Loop: Header=BB266_243 Depth=1
	s_or_b64 exec, exec, s[12:13]
	v_lshrrev_b32_e32 v8, 24, v18
	v_cmp_lt_i16_e64 s[0:1], s25, v8
	s_mov_b64 s[12:13], 0
                                        ; implicit-def: $sgpr39
	s_and_saveexec_b64 s[16:17], s[0:1]
	s_xor_b64 s[16:17], exec, s[16:17]
	s_cbranch_execnz .LBB266_422
; %bb.325:                              ;   in Loop: Header=BB266_243 Depth=1
	s_or_saveexec_b64 s[16:17], s[16:17]
	v_mov_b32_e32 v21, s39
	s_xor_b64 exec, exec, s[16:17]
	s_cbranch_execnz .LBB266_425
.LBB266_326:                            ;   in Loop: Header=BB266_243 Depth=1
	s_or_b64 exec, exec, s[16:17]
	s_and_saveexec_b64 s[16:17], s[12:13]
	s_cbranch_execz .LBB266_328
.LBB266_327:                            ;   in Loop: Header=BB266_243 Depth=1
	v_bfe_u32 v21, v18, 24, 3
	v_ffbh_u32_e32 v42, v21
	v_min_u32_e32 v44, 32, v42
	v_subrev_u32_e32 v42, 28, v44
	v_bfe_u32 v18, v18, 27, 4
	v_lshlrev_b64 v[42:43], v42, v[8:9]
	v_sub_u32_e32 v43, 29, v44
	v_cmp_eq_u32_e64 s[0:1], 0, v18
	v_and_b32_e32 v42, 7, v42
	v_lshlrev_b32_e32 v8, 8, v8
	v_cndmask_b32_e64 v18, v18, v43, s[0:1]
	v_lshl_add_u32 v18, v18, 10, v27
	v_cndmask_b32_e64 v21, v21, v42, s[0:1]
	v_and_or_b32 v8, v8, s27, v18
	v_lshl_or_b32 v8, v21, 7, v8
	v_cvt_f32_f16_e32 v21, v8
.LBB266_328:                            ;   in Loop: Header=BB266_243 Depth=1
	s_or_b64 exec, exec, s[16:17]
	v_cmp_gt_i16_sdwa s[12:13], v19, s25 src0_sel:BYTE_0 src1_sel:DWORD
	s_mov_b64 s[0:1], 0
                                        ; implicit-def: $sgpr18
	s_and_saveexec_b64 s[16:17], s[12:13]
	s_xor_b64 s[12:13], exec, s[16:17]
	s_cbranch_execnz .LBB266_426
; %bb.329:                              ;   in Loop: Header=BB266_243 Depth=1
	s_or_saveexec_b64 s[12:13], s[12:13]
	v_mov_b32_e32 v18, s18
	s_xor_b64 exec, exec, s[12:13]
	s_cbranch_execnz .LBB266_429
.LBB266_330:                            ;   in Loop: Header=BB266_243 Depth=1
	s_or_b64 exec, exec, s[12:13]
	v_mov_b32_e32 v8, v19
	s_and_saveexec_b64 s[12:13], s[0:1]
	s_cbranch_execz .LBB266_332
.LBB266_331:                            ;   in Loop: Header=BB266_243 Depth=1
	v_and_b32_e32 v18, 7, v19
	v_ffbh_u32_e32 v18, v18
	v_bfe_u32 v42, v19, 3, 4
	v_min_u32_e32 v18, 32, v18
	v_subrev_u32_e32 v43, 28, v18
	v_sub_u32_e32 v18, 29, v18
	v_cmp_eq_u32_e64 s[0:1], 0, v42
	s_nop 1
	v_cndmask_b32_e64 v18, v42, v18, s[0:1]
	v_cndmask_b32_e64 v42, 0, v43, s[0:1]
	v_lshlrev_b64 v[42:43], v42, v[8:9]
	v_lshlrev_b32_e32 v43, 8, v19
	v_lshl_add_u32 v18, v18, 10, v27
	v_lshlrev_b32_e32 v42, 7, v42
	v_and_or_b32 v18, v43, s27, v18
	v_and_or_b32 v18, v42, s34, v18
	v_cvt_f32_f16_e32 v18, v18
.LBB266_332:                            ;   in Loop: Header=BB266_243 Depth=1
	s_or_b64 exec, exec, s[12:13]
	v_lshrrev_b16_e32 v8, 8, v8
	v_cmp_lt_i16_e64 s[0:1], s25, v8
	s_mov_b64 s[12:13], 0
                                        ; implicit-def: $sgpr39
	s_and_saveexec_b64 s[16:17], s[0:1]
	s_xor_b64 s[16:17], exec, s[16:17]
	s_cbranch_execnz .LBB266_430
; %bb.333:                              ;   in Loop: Header=BB266_243 Depth=1
	s_or_saveexec_b64 s[16:17], s[16:17]
	v_mov_b32_e32 v42, s39
	s_xor_b64 exec, exec, s[16:17]
	s_cbranch_execnz .LBB266_433
.LBB266_334:                            ;   in Loop: Header=BB266_243 Depth=1
	s_or_b64 exec, exec, s[16:17]
	s_and_saveexec_b64 s[16:17], s[12:13]
	s_cbranch_execz .LBB266_336
.LBB266_335:                            ;   in Loop: Header=BB266_243 Depth=1
	v_and_b32_e32 v44, 7, v8
	v_ffbh_u32_e32 v42, v44
	v_min_u32_e32 v46, 32, v42
	v_subrev_u32_e32 v42, 28, v46
	v_bfe_u32 v45, v8, 3, 4
	v_lshlrev_b64 v[42:43], v42, v[8:9]
	v_sub_u32_e32 v43, 29, v46
	v_cmp_eq_u32_e64 s[0:1], 0, v45
	v_and_b32_e32 v42, 7, v42
	v_lshlrev_b32_e32 v8, 8, v8
	v_cndmask_b32_e64 v43, v45, v43, s[0:1]
	v_lshl_add_u32 v43, v43, 10, v27
	v_cndmask_b32_e64 v42, v44, v42, s[0:1]
	v_and_or_b32 v8, v8, s27, v43
	v_lshl_or_b32 v8, v42, 7, v8
	v_cvt_f32_f16_e32 v42, v8
.LBB266_336:                            ;   in Loop: Header=BB266_243 Depth=1
	s_or_b64 exec, exec, s[16:17]
	v_lshrrev_b32_e32 v8, 16, v19
	v_cmp_gt_i16_sdwa s[12:13], v8, s25 src0_sel:BYTE_0 src1_sel:DWORD
	s_mov_b64 s[0:1], 0
                                        ; implicit-def: $sgpr18
	s_and_saveexec_b64 s[16:17], s[12:13]
	s_xor_b64 s[12:13], exec, s[16:17]
	s_cbranch_execnz .LBB266_434
; %bb.337:                              ;   in Loop: Header=BB266_243 Depth=1
	s_or_saveexec_b64 s[12:13], s[12:13]
	v_mov_b32_e32 v43, s18
	s_xor_b64 exec, exec, s[12:13]
	s_cbranch_execnz .LBB266_437
.LBB266_338:                            ;   in Loop: Header=BB266_243 Depth=1
	s_or_b64 exec, exec, s[12:13]
	s_and_saveexec_b64 s[12:13], s[0:1]
	s_cbranch_execz .LBB266_340
.LBB266_339:                            ;   in Loop: Header=BB266_243 Depth=1
	v_bfe_u32 v43, v19, 16, 3
	v_ffbh_u32_e32 v44, v43
	v_min_u32_e32 v47, 32, v44
	v_subrev_u32_e32 v44, 28, v47
	v_bfe_u32 v46, v19, 19, 4
	v_lshlrev_b64 v[44:45], v44, v[8:9]
	v_sub_u32_e32 v45, 29, v47
	v_cmp_eq_u32_e64 s[0:1], 0, v46
	v_and_b32_e32 v44, 7, v44
	v_lshlrev_b32_e32 v8, 8, v8
	v_cndmask_b32_e64 v45, v46, v45, s[0:1]
	v_cndmask_b32_e64 v43, v43, v44, s[0:1]
	v_lshl_add_u32 v44, v45, 10, v27
	v_and_or_b32 v8, v8, s27, v44
	v_lshl_or_b32 v8, v43, 7, v8
	v_cvt_f32_f16_e32 v43, v8
.LBB266_340:                            ;   in Loop: Header=BB266_243 Depth=1
	s_or_b64 exec, exec, s[12:13]
	v_lshrrev_b32_e32 v8, 24, v19
	v_cmp_lt_i16_e64 s[0:1], s25, v8
	s_mov_b64 s[12:13], 0
                                        ; implicit-def: $sgpr39
	s_and_saveexec_b64 s[16:17], s[0:1]
	s_xor_b64 s[16:17], exec, s[16:17]
	s_cbranch_execnz .LBB266_438
; %bb.341:                              ;   in Loop: Header=BB266_243 Depth=1
	s_or_saveexec_b64 s[16:17], s[16:17]
	v_mov_b32_e32 v44, s39
	s_xor_b64 exec, exec, s[16:17]
	s_cbranch_execnz .LBB266_441
.LBB266_342:                            ;   in Loop: Header=BB266_243 Depth=1
	s_or_b64 exec, exec, s[16:17]
	s_and_saveexec_b64 s[16:17], s[12:13]
	s_cbranch_execz .LBB266_344
.LBB266_343:                            ;   in Loop: Header=BB266_243 Depth=1
	v_bfe_u32 v46, v19, 24, 3
	v_ffbh_u32_e32 v44, v46
	v_min_u32_e32 v47, 32, v44
	v_subrev_u32_e32 v44, 28, v47
	v_bfe_u32 v19, v19, 27, 4
	v_lshlrev_b64 v[44:45], v44, v[8:9]
	v_sub_u32_e32 v45, 29, v47
	v_cmp_eq_u32_e64 s[0:1], 0, v19
	v_and_b32_e32 v44, 7, v44
	v_lshlrev_b32_e32 v8, 8, v8
	v_cndmask_b32_e64 v19, v19, v45, s[0:1]
	v_lshl_add_u32 v19, v19, 10, v27
	v_cndmask_b32_e64 v44, v46, v44, s[0:1]
	v_and_or_b32 v8, v8, s27, v19
	v_lshl_or_b32 v8, v44, 7, v8
	v_cvt_f32_f16_e32 v44, v8
.LBB266_344:                            ;   in Loop: Header=BB266_243 Depth=1
	s_or_b64 exec, exec, s[16:17]
	s_waitcnt vmcnt(0)
	v_pk_mul_f32 v[20:21], v[16:17], v[20:21] op_sel_hi:[0,1]
	v_pk_mul_f32 v[14:15], v[16:17], v[14:15] op_sel_hi:[0,1]
	v_cvt_f16_f32_e32 v8, v21
	v_cvt_f16_f32_e32 v19, v20
	;; [unrolled: 1-line block ×4, first 2 shown]
	v_fma_mixlo_f16 v18, v16, v18, 0
	v_pack_b32_f16 v19, v19, v8
	v_pack_b32_f16 v14, v14, v15
	v_perm_b32 v8, v14, v19, s36
	v_perm_b32 v15, v14, v19, s37
	v_fma_mixlo_f16 v14, v16, v42, 0
	v_lshlrev_b32_e32 v14, 16, v14
	v_or_b32_sdwa v14, v14, v18 dst_sel:DWORD dst_unused:UNUSED_PAD src0_sel:DWORD src1_sel:WORD_0
	v_fma_mixlo_f16 v18, v16, v43, 0
	v_fma_mixlo_f16 v16, v16, v44, 0
	v_lshlrev_b32_e32 v16, 16, v16
	v_or_b32_sdwa v16, v16, v18 dst_sel:DWORD dst_unused:UNUSED_PAD src0_sel:DWORD src1_sel:WORD_0
	s_and_saveexec_b64 s[0:1], vcc
	s_cbranch_execz .LBB266_241
; %bb.345:                              ;   in Loop: Header=BB266_243 Depth=1
	v_lshrrev_b32_e32 v19, 16, v15
	v_cmp_gt_i32_e32 vcc, s24, v35
	v_lshrrev_b32_e32 v16, 16, v16
	s_nop 0
	v_cndmask_b32_e32 v19, 0, v19, vcc
	v_cmp_gt_i32_e32 vcc, s33, v30
	s_nop 1
	v_cndmask_b32_e32 v15, 0, v15, vcc
	v_perm_b32 v15, v19, v15, s38
	v_lshrrev_b32_e32 v19, 16, v8
	v_cmp_gt_i32_e32 vcc, s24, v34
	s_nop 1
	v_cndmask_b32_e32 v19, 0, v19, vcc
	v_cmp_gt_i32_e32 vcc, s33, v33
	s_nop 1
	v_cndmask_b32_e32 v8, 0, v8, vcc
	v_perm_b32 v8, v19, v8, s38
	v_lshrrev_b32_e32 v19, 16, v14
	v_cmp_gt_i32_e32 vcc, s24, v32
	s_nop 1
	v_cndmask_b32_e32 v19, 0, v19, vcc
	v_cmp_gt_i32_e32 vcc, s33, v31
	s_nop 1
	v_cndmask_b32_e32 v14, 0, v14, vcc
	v_cmp_gt_i32_e32 vcc, s24, v29
	v_perm_b32 v14, v19, v14, s38
	s_nop 0
	v_cndmask_b32_e32 v16, 0, v16, vcc
	v_cmp_gt_i32_e32 vcc, s33, v28
	s_nop 1
	v_cndmask_b32_e32 v18, 0, v18, vcc
	v_perm_b32 v16, v16, v18, s38
	s_branch .LBB266_241
.LBB266_346:                            ;   in Loop: Header=BB266_243 Depth=1
	v_cmp_eq_u16_sdwa s[40:41], v18, s26 src0_sel:BYTE_0 src1_sel:DWORD
	s_mov_b64 s[0:1], -1
                                        ; implicit-def: $sgpr18
	s_and_saveexec_b64 s[16:17], s[40:41]
; %bb.347:                              ;   in Loop: Header=BB266_243 Depth=1
	s_mov_b32 s18, 0x7fc02000
	s_xor_b64 s[0:1], exec, -1
; %bb.348:                              ;   in Loop: Header=BB266_243 Depth=1
	s_or_b64 exec, exec, s[16:17]
	s_and_b64 s[0:1], s[0:1], exec
	s_or_saveexec_b64 s[12:13], s[12:13]
	v_mov_b32_e32 v20, s18
	s_xor_b64 exec, exec, s[12:13]
	s_cbranch_execz .LBB266_246
.LBB266_349:                            ;   in Loop: Header=BB266_243 Depth=1
	v_cmp_ne_u16_sdwa s[16:17], v18, v9 src0_sel:BYTE_0 src1_sel:DWORD
	s_andn2_b64 s[0:1], s[0:1], exec
	s_and_b64 s[16:17], s[16:17], exec
	v_mov_b32_e32 v20, 0
	s_or_b64 s[0:1], s[0:1], s[16:17]
	s_or_b64 exec, exec, s[12:13]
	s_and_saveexec_b64 s[12:13], s[0:1]
	s_cbranch_execnz .LBB266_247
	s_branch .LBB266_248
.LBB266_350:                            ;   in Loop: Header=BB266_243 Depth=1
	v_cmp_eq_u16_e32 vcc, s26, v8
	s_mov_b64 s[0:1], -1
                                        ; implicit-def: $sgpr18
	s_and_saveexec_b64 s[16:17], vcc
; %bb.351:                              ;   in Loop: Header=BB266_243 Depth=1
	s_mov_b32 s18, 0x7fc02000
	s_xor_b64 s[0:1], exec, -1
; %bb.352:                              ;   in Loop: Header=BB266_243 Depth=1
	s_or_b64 exec, exec, s[16:17]
	s_and_b64 s[0:1], s[0:1], exec
	s_or_saveexec_b64 s[12:13], s[12:13]
	v_mov_b32_e32 v22, s18
	s_xor_b64 exec, exec, s[12:13]
	s_cbranch_execz .LBB266_250
.LBB266_353:                            ;   in Loop: Header=BB266_243 Depth=1
	v_cmp_ne_u16_e32 vcc, 0, v8
	s_andn2_b64 s[0:1], s[0:1], exec
	s_and_b64 s[16:17], vcc, exec
	v_mov_b32_e32 v22, 0
	s_or_b64 s[0:1], s[0:1], s[16:17]
	s_or_b64 exec, exec, s[12:13]
	s_and_saveexec_b64 s[12:13], s[0:1]
	s_cbranch_execnz .LBB266_251
	s_branch .LBB266_252
.LBB266_354:                            ;   in Loop: Header=BB266_243 Depth=1
	v_cmp_eq_u16_sdwa s[40:41], v8, s26 src0_sel:BYTE_0 src1_sel:DWORD
	s_mov_b64 s[0:1], -1
                                        ; implicit-def: $sgpr18
	s_and_saveexec_b64 s[16:17], s[40:41]
; %bb.355:                              ;   in Loop: Header=BB266_243 Depth=1
	s_mov_b32 s18, 0x7fc02000
	s_xor_b64 s[0:1], exec, -1
; %bb.356:                              ;   in Loop: Header=BB266_243 Depth=1
	s_or_b64 exec, exec, s[16:17]
	s_and_b64 s[0:1], s[0:1], exec
	s_or_saveexec_b64 s[12:13], s[12:13]
	v_mov_b32_e32 v21, s18
	s_xor_b64 exec, exec, s[12:13]
	s_cbranch_execz .LBB266_254
.LBB266_357:                            ;   in Loop: Header=BB266_243 Depth=1
	v_cmp_ne_u16_sdwa s[16:17], v8, v9 src0_sel:BYTE_0 src1_sel:DWORD
	s_andn2_b64 s[0:1], s[0:1], exec
	s_and_b64 s[16:17], s[16:17], exec
	v_mov_b32_e32 v21, 0
	s_or_b64 s[0:1], s[0:1], s[16:17]
	s_or_b64 exec, exec, s[12:13]
	s_and_saveexec_b64 s[12:13], s[0:1]
	s_cbranch_execnz .LBB266_255
	s_branch .LBB266_256
.LBB266_358:                            ;   in Loop: Header=BB266_243 Depth=1
	v_cmp_eq_u16_e32 vcc, s26, v8
	s_mov_b64 s[0:1], -1
                                        ; implicit-def: $sgpr18
	s_and_saveexec_b64 s[16:17], vcc
; %bb.359:                              ;   in Loop: Header=BB266_243 Depth=1
	s_mov_b32 s18, 0x7fc02000
	s_xor_b64 s[0:1], exec, -1
; %bb.360:                              ;   in Loop: Header=BB266_243 Depth=1
	s_or_b64 exec, exec, s[16:17]
	s_and_b64 s[0:1], s[0:1], exec
	s_or_saveexec_b64 s[12:13], s[12:13]
	v_mov_b32_e32 v23, s18
	s_xor_b64 exec, exec, s[12:13]
	s_cbranch_execz .LBB266_258
.LBB266_361:                            ;   in Loop: Header=BB266_243 Depth=1
	v_cmp_ne_u16_e32 vcc, 0, v8
	s_andn2_b64 s[0:1], s[0:1], exec
	s_and_b64 s[16:17], vcc, exec
	v_mov_b32_e32 v23, 0
	s_or_b64 s[0:1], s[0:1], s[16:17]
	s_or_b64 exec, exec, s[12:13]
	s_and_saveexec_b64 s[12:13], s[0:1]
	s_cbranch_execnz .LBB266_259
	s_branch .LBB266_260
.LBB266_362:                            ;   in Loop: Header=BB266_243 Depth=1
	v_cmp_eq_u16_sdwa s[40:41], v19, s26 src0_sel:BYTE_0 src1_sel:DWORD
	s_mov_b64 s[0:1], -1
                                        ; implicit-def: $sgpr18
	s_and_saveexec_b64 s[16:17], s[40:41]
; %bb.363:                              ;   in Loop: Header=BB266_243 Depth=1
	s_mov_b32 s18, 0x7fc02000
	s_xor_b64 s[0:1], exec, -1
; %bb.364:                              ;   in Loop: Header=BB266_243 Depth=1
	s_or_b64 exec, exec, s[16:17]
	s_and_b64 s[0:1], s[0:1], exec
	s_or_saveexec_b64 s[12:13], s[12:13]
	v_mov_b32_e32 v18, s18
	s_xor_b64 exec, exec, s[12:13]
	s_cbranch_execz .LBB266_262
.LBB266_365:                            ;   in Loop: Header=BB266_243 Depth=1
	v_cmp_ne_u16_sdwa s[16:17], v19, v9 src0_sel:BYTE_0 src1_sel:DWORD
	s_andn2_b64 s[0:1], s[0:1], exec
	s_and_b64 s[16:17], s[16:17], exec
	v_mov_b32_e32 v18, 0
	s_or_b64 s[0:1], s[0:1], s[16:17]
	s_or_b64 exec, exec, s[12:13]
	v_mov_b32_e32 v8, v19
	s_and_saveexec_b64 s[12:13], s[0:1]
	s_cbranch_execnz .LBB266_263
	s_branch .LBB266_264
.LBB266_366:                            ;   in Loop: Header=BB266_243 Depth=1
	v_cmp_eq_u16_e32 vcc, s26, v8
	s_mov_b64 s[0:1], -1
                                        ; implicit-def: $sgpr18
	s_and_saveexec_b64 s[16:17], vcc
; %bb.367:                              ;   in Loop: Header=BB266_243 Depth=1
	s_mov_b32 s18, 0x7fc02000
	s_xor_b64 s[0:1], exec, -1
; %bb.368:                              ;   in Loop: Header=BB266_243 Depth=1
	s_or_b64 exec, exec, s[16:17]
	s_and_b64 s[0:1], s[0:1], exec
	s_or_saveexec_b64 s[12:13], s[12:13]
	v_mov_b32_e32 v28, s18
	s_xor_b64 exec, exec, s[12:13]
	s_cbranch_execz .LBB266_266
.LBB266_369:                            ;   in Loop: Header=BB266_243 Depth=1
	v_cmp_ne_u16_e32 vcc, 0, v8
	s_andn2_b64 s[0:1], s[0:1], exec
	s_and_b64 s[16:17], vcc, exec
	v_mov_b32_e32 v28, 0
	s_or_b64 s[0:1], s[0:1], s[16:17]
	s_or_b64 exec, exec, s[12:13]
	s_and_saveexec_b64 s[12:13], s[0:1]
	s_cbranch_execnz .LBB266_267
	s_branch .LBB266_268
.LBB266_370:                            ;   in Loop: Header=BB266_243 Depth=1
	v_cmp_eq_u16_sdwa s[40:41], v8, s26 src0_sel:BYTE_0 src1_sel:DWORD
	s_mov_b64 s[0:1], -1
                                        ; implicit-def: $sgpr18
	s_and_saveexec_b64 s[16:17], s[40:41]
; %bb.371:                              ;   in Loop: Header=BB266_243 Depth=1
	s_mov_b32 s18, 0x7fc02000
	s_xor_b64 s[0:1], exec, -1
; %bb.372:                              ;   in Loop: Header=BB266_243 Depth=1
	s_or_b64 exec, exec, s[16:17]
	s_and_b64 s[0:1], s[0:1], exec
	s_or_saveexec_b64 s[12:13], s[12:13]
	v_mov_b32_e32 v29, s18
	s_xor_b64 exec, exec, s[12:13]
	s_cbranch_execz .LBB266_270
.LBB266_373:                            ;   in Loop: Header=BB266_243 Depth=1
	v_cmp_ne_u16_sdwa s[16:17], v8, v9 src0_sel:BYTE_0 src1_sel:DWORD
	s_andn2_b64 s[0:1], s[0:1], exec
	s_and_b64 s[16:17], s[16:17], exec
	v_mov_b32_e32 v29, 0
	s_or_b64 s[0:1], s[0:1], s[16:17]
	s_or_b64 exec, exec, s[12:13]
	s_and_saveexec_b64 s[12:13], s[0:1]
	s_cbranch_execnz .LBB266_271
	s_branch .LBB266_272
.LBB266_374:                            ;   in Loop: Header=BB266_243 Depth=1
	v_cmp_eq_u16_e32 vcc, s26, v8
	s_mov_b64 s[0:1], -1
                                        ; implicit-def: $sgpr18
	s_and_saveexec_b64 s[16:17], vcc
; %bb.375:                              ;   in Loop: Header=BB266_243 Depth=1
	s_mov_b32 s18, 0x7fc02000
	s_xor_b64 s[0:1], exec, -1
; %bb.376:                              ;   in Loop: Header=BB266_243 Depth=1
	s_or_b64 exec, exec, s[16:17]
	s_and_b64 s[0:1], s[0:1], exec
	s_or_saveexec_b64 s[12:13], s[12:13]
	v_mov_b32_e32 v31, s18
	s_xor_b64 exec, exec, s[12:13]
	s_cbranch_execz .LBB266_274
.LBB266_377:                            ;   in Loop: Header=BB266_243 Depth=1
	v_cmp_ne_u16_e32 vcc, 0, v8
	s_andn2_b64 s[0:1], s[0:1], exec
	s_and_b64 s[16:17], vcc, exec
	v_mov_b32_e32 v31, 0
	s_or_b64 s[0:1], s[0:1], s[16:17]
	s_or_b64 exec, exec, s[12:13]
	s_and_saveexec_b64 s[12:13], s[0:1]
	s_cbranch_execnz .LBB266_275
	s_branch .LBB266_276
.LBB266_378:                            ;   in Loop: Header=BB266_243 Depth=1
	v_cmp_eq_u16_sdwa s[40:41], v18, s26 src0_sel:BYTE_0 src1_sel:DWORD
	s_mov_b64 s[0:1], -1
                                        ; implicit-def: $sgpr18
	s_and_saveexec_b64 s[16:17], s[40:41]
; %bb.379:                              ;   in Loop: Header=BB266_243 Depth=1
	s_mov_b32 s18, 0x7fc02000
	s_xor_b64 s[0:1], exec, -1
; %bb.380:                              ;   in Loop: Header=BB266_243 Depth=1
	s_or_b64 exec, exec, s[16:17]
	s_and_b64 s[0:1], s[0:1], exec
	s_or_saveexec_b64 s[12:13], s[12:13]
	v_mov_b32_e32 v20, s18
	s_xor_b64 exec, exec, s[12:13]
	s_cbranch_execz .LBB266_280
.LBB266_381:                            ;   in Loop: Header=BB266_243 Depth=1
	v_cmp_ne_u16_sdwa s[16:17], v18, v9 src0_sel:BYTE_0 src1_sel:DWORD
	s_andn2_b64 s[0:1], s[0:1], exec
	s_and_b64 s[16:17], s[16:17], exec
	v_mov_b32_e32 v20, 0
	s_or_b64 s[0:1], s[0:1], s[16:17]
	s_or_b64 exec, exec, s[12:13]
	s_and_saveexec_b64 s[12:13], s[0:1]
	s_cbranch_execnz .LBB266_281
	s_branch .LBB266_282
.LBB266_382:                            ;   in Loop: Header=BB266_243 Depth=1
	v_cmp_eq_u16_e64 s[0:1], s26, v8
	s_mov_b64 s[12:13], -1
                                        ; implicit-def: $sgpr39
	s_and_saveexec_b64 s[18:19], s[0:1]
; %bb.383:                              ;   in Loop: Header=BB266_243 Depth=1
	s_mov_b32 s39, 0x7fc02000
	s_xor_b64 s[12:13], exec, -1
; %bb.384:                              ;   in Loop: Header=BB266_243 Depth=1
	s_or_b64 exec, exec, s[18:19]
	s_and_b64 s[12:13], s[12:13], exec
	s_or_saveexec_b64 s[16:17], s[16:17]
	v_mov_b32_e32 v22, s39
	s_xor_b64 exec, exec, s[16:17]
	s_cbranch_execz .LBB266_284
.LBB266_385:                            ;   in Loop: Header=BB266_243 Depth=1
	v_cmp_ne_u16_e64 s[0:1], 0, v8
	s_andn2_b64 s[12:13], s[12:13], exec
	s_and_b64 s[0:1], s[0:1], exec
	v_mov_b32_e32 v22, 0
	s_or_b64 s[12:13], s[12:13], s[0:1]
	s_or_b64 exec, exec, s[16:17]
	s_and_saveexec_b64 s[16:17], s[12:13]
	s_cbranch_execnz .LBB266_285
	s_branch .LBB266_286
.LBB266_386:                            ;   in Loop: Header=BB266_243 Depth=1
	v_cmp_eq_u16_sdwa s[40:41], v8, s26 src0_sel:BYTE_0 src1_sel:DWORD
	s_mov_b64 s[0:1], -1
                                        ; implicit-def: $sgpr18
	s_and_saveexec_b64 s[16:17], s[40:41]
; %bb.387:                              ;   in Loop: Header=BB266_243 Depth=1
	s_mov_b32 s18, 0x7fc02000
	s_xor_b64 s[0:1], exec, -1
; %bb.388:                              ;   in Loop: Header=BB266_243 Depth=1
	s_or_b64 exec, exec, s[16:17]
	s_and_b64 s[0:1], s[0:1], exec
	s_or_saveexec_b64 s[12:13], s[12:13]
	v_mov_b32_e32 v21, s18
	s_xor_b64 exec, exec, s[12:13]
	s_cbranch_execz .LBB266_288
.LBB266_389:                            ;   in Loop: Header=BB266_243 Depth=1
	v_cmp_ne_u16_sdwa s[16:17], v8, v9 src0_sel:BYTE_0 src1_sel:DWORD
	s_andn2_b64 s[0:1], s[0:1], exec
	s_and_b64 s[16:17], s[16:17], exec
	v_mov_b32_e32 v21, 0
	s_or_b64 s[0:1], s[0:1], s[16:17]
	s_or_b64 exec, exec, s[12:13]
	s_and_saveexec_b64 s[12:13], s[0:1]
	s_cbranch_execnz .LBB266_289
	s_branch .LBB266_290
.LBB266_390:                            ;   in Loop: Header=BB266_243 Depth=1
	v_cmp_eq_u16_e64 s[0:1], s26, v8
	s_mov_b64 s[12:13], -1
                                        ; implicit-def: $sgpr39
	s_and_saveexec_b64 s[18:19], s[0:1]
; %bb.391:                              ;   in Loop: Header=BB266_243 Depth=1
	s_mov_b32 s39, 0x7fc02000
	s_xor_b64 s[12:13], exec, -1
; %bb.392:                              ;   in Loop: Header=BB266_243 Depth=1
	s_or_b64 exec, exec, s[18:19]
	s_and_b64 s[12:13], s[12:13], exec
	s_or_saveexec_b64 s[16:17], s[16:17]
	v_mov_b32_e32 v23, s39
	s_xor_b64 exec, exec, s[16:17]
	s_cbranch_execz .LBB266_292
.LBB266_393:                            ;   in Loop: Header=BB266_243 Depth=1
	v_cmp_ne_u16_e64 s[0:1], 0, v8
	s_andn2_b64 s[12:13], s[12:13], exec
	s_and_b64 s[0:1], s[0:1], exec
	v_mov_b32_e32 v23, 0
	s_or_b64 s[12:13], s[12:13], s[0:1]
	s_or_b64 exec, exec, s[16:17]
	s_and_saveexec_b64 s[16:17], s[12:13]
	s_cbranch_execnz .LBB266_293
	s_branch .LBB266_294
.LBB266_394:                            ;   in Loop: Header=BB266_243 Depth=1
	v_cmp_eq_u16_sdwa s[40:41], v19, s26 src0_sel:BYTE_0 src1_sel:DWORD
	s_mov_b64 s[0:1], -1
                                        ; implicit-def: $sgpr18
	s_and_saveexec_b64 s[16:17], s[40:41]
; %bb.395:                              ;   in Loop: Header=BB266_243 Depth=1
	s_mov_b32 s18, 0x7fc02000
	s_xor_b64 s[0:1], exec, -1
; %bb.396:                              ;   in Loop: Header=BB266_243 Depth=1
	s_or_b64 exec, exec, s[16:17]
	s_and_b64 s[0:1], s[0:1], exec
	s_or_saveexec_b64 s[12:13], s[12:13]
	v_mov_b32_e32 v18, s18
	s_xor_b64 exec, exec, s[12:13]
	s_cbranch_execz .LBB266_296
.LBB266_397:                            ;   in Loop: Header=BB266_243 Depth=1
	v_cmp_ne_u16_sdwa s[16:17], v19, v9 src0_sel:BYTE_0 src1_sel:DWORD
	s_andn2_b64 s[0:1], s[0:1], exec
	s_and_b64 s[16:17], s[16:17], exec
	v_mov_b32_e32 v18, 0
	s_or_b64 s[0:1], s[0:1], s[16:17]
	s_or_b64 exec, exec, s[12:13]
	v_mov_b32_e32 v8, v19
	s_and_saveexec_b64 s[12:13], s[0:1]
	s_cbranch_execnz .LBB266_297
	s_branch .LBB266_298
.LBB266_398:                            ;   in Loop: Header=BB266_243 Depth=1
	v_cmp_eq_u16_e64 s[0:1], s26, v8
	s_mov_b64 s[12:13], -1
                                        ; implicit-def: $sgpr39
	s_and_saveexec_b64 s[18:19], s[0:1]
; %bb.399:                              ;   in Loop: Header=BB266_243 Depth=1
	s_mov_b32 s39, 0x7fc02000
	s_xor_b64 s[12:13], exec, -1
; %bb.400:                              ;   in Loop: Header=BB266_243 Depth=1
	s_or_b64 exec, exec, s[18:19]
	s_and_b64 s[12:13], s[12:13], exec
	s_or_saveexec_b64 s[16:17], s[16:17]
	v_mov_b32_e32 v42, s39
	s_xor_b64 exec, exec, s[16:17]
	s_cbranch_execz .LBB266_300
.LBB266_401:                            ;   in Loop: Header=BB266_243 Depth=1
	v_cmp_ne_u16_e64 s[0:1], 0, v8
	s_andn2_b64 s[12:13], s[12:13], exec
	s_and_b64 s[0:1], s[0:1], exec
	v_mov_b32_e32 v42, 0
	s_or_b64 s[12:13], s[12:13], s[0:1]
	s_or_b64 exec, exec, s[16:17]
	s_and_saveexec_b64 s[16:17], s[12:13]
	s_cbranch_execnz .LBB266_301
	s_branch .LBB266_302
.LBB266_402:                            ;   in Loop: Header=BB266_243 Depth=1
	v_cmp_eq_u16_sdwa s[40:41], v8, s26 src0_sel:BYTE_0 src1_sel:DWORD
	s_mov_b64 s[0:1], -1
                                        ; implicit-def: $sgpr18
	s_and_saveexec_b64 s[16:17], s[40:41]
; %bb.403:                              ;   in Loop: Header=BB266_243 Depth=1
	s_mov_b32 s18, 0x7fc02000
	s_xor_b64 s[0:1], exec, -1
; %bb.404:                              ;   in Loop: Header=BB266_243 Depth=1
	s_or_b64 exec, exec, s[16:17]
	s_and_b64 s[0:1], s[0:1], exec
	s_or_saveexec_b64 s[12:13], s[12:13]
	v_mov_b32_e32 v43, s18
	s_xor_b64 exec, exec, s[12:13]
	s_cbranch_execz .LBB266_304
.LBB266_405:                            ;   in Loop: Header=BB266_243 Depth=1
	v_cmp_ne_u16_sdwa s[16:17], v8, v9 src0_sel:BYTE_0 src1_sel:DWORD
	s_andn2_b64 s[0:1], s[0:1], exec
	s_and_b64 s[16:17], s[16:17], exec
	v_mov_b32_e32 v43, 0
	s_or_b64 s[0:1], s[0:1], s[16:17]
	s_or_b64 exec, exec, s[12:13]
	s_and_saveexec_b64 s[12:13], s[0:1]
	s_cbranch_execnz .LBB266_305
	s_branch .LBB266_306
.LBB266_406:                            ;   in Loop: Header=BB266_243 Depth=1
	v_cmp_eq_u16_e64 s[0:1], s26, v8
	s_mov_b64 s[12:13], -1
                                        ; implicit-def: $sgpr39
	s_and_saveexec_b64 s[18:19], s[0:1]
; %bb.407:                              ;   in Loop: Header=BB266_243 Depth=1
	s_mov_b32 s39, 0x7fc02000
	s_xor_b64 s[12:13], exec, -1
; %bb.408:                              ;   in Loop: Header=BB266_243 Depth=1
	s_or_b64 exec, exec, s[18:19]
	s_and_b64 s[12:13], s[12:13], exec
	s_or_saveexec_b64 s[16:17], s[16:17]
	v_mov_b32_e32 v44, s39
	s_xor_b64 exec, exec, s[16:17]
	s_cbranch_execz .LBB266_308
.LBB266_409:                            ;   in Loop: Header=BB266_243 Depth=1
	v_cmp_ne_u16_e64 s[0:1], 0, v8
	s_andn2_b64 s[12:13], s[12:13], exec
	s_and_b64 s[0:1], s[0:1], exec
	v_mov_b32_e32 v44, 0
	s_or_b64 s[12:13], s[12:13], s[0:1]
	s_or_b64 exec, exec, s[16:17]
	s_and_saveexec_b64 s[16:17], s[12:13]
	s_cbranch_execnz .LBB266_309
	s_branch .LBB266_310
.LBB266_410:                            ;   in Loop: Header=BB266_243 Depth=1
	v_cmp_eq_u16_sdwa s[40:41], v18, s26 src0_sel:BYTE_0 src1_sel:DWORD
	s_mov_b64 s[0:1], -1
                                        ; implicit-def: $sgpr18
	s_and_saveexec_b64 s[16:17], s[40:41]
; %bb.411:                              ;   in Loop: Header=BB266_243 Depth=1
	s_mov_b32 s18, 0x7fc02000
	s_xor_b64 s[0:1], exec, -1
; %bb.412:                              ;   in Loop: Header=BB266_243 Depth=1
	s_or_b64 exec, exec, s[16:17]
	s_and_b64 s[0:1], s[0:1], exec
	s_or_saveexec_b64 s[12:13], s[12:13]
	v_mov_b32_e32 v14, s18
	s_xor_b64 exec, exec, s[12:13]
	s_cbranch_execz .LBB266_314
.LBB266_413:                            ;   in Loop: Header=BB266_243 Depth=1
	v_cmp_ne_u16_sdwa s[16:17], v18, v9 src0_sel:BYTE_0 src1_sel:DWORD
	s_andn2_b64 s[0:1], s[0:1], exec
	s_and_b64 s[16:17], s[16:17], exec
	v_mov_b32_e32 v14, 0
	s_or_b64 s[0:1], s[0:1], s[16:17]
	s_or_b64 exec, exec, s[12:13]
	s_and_saveexec_b64 s[12:13], s[0:1]
	s_cbranch_execnz .LBB266_315
	s_branch .LBB266_316
.LBB266_414:                            ;   in Loop: Header=BB266_243 Depth=1
	v_cmp_eq_u16_e64 s[0:1], s26, v8
	s_mov_b64 s[12:13], -1
                                        ; implicit-def: $sgpr39
	s_and_saveexec_b64 s[18:19], s[0:1]
; %bb.415:                              ;   in Loop: Header=BB266_243 Depth=1
	s_mov_b32 s39, 0x7fc02000
	s_xor_b64 s[12:13], exec, -1
; %bb.416:                              ;   in Loop: Header=BB266_243 Depth=1
	s_or_b64 exec, exec, s[18:19]
	s_and_b64 s[12:13], s[12:13], exec
	s_or_saveexec_b64 s[16:17], s[16:17]
	v_mov_b32_e32 v20, s39
	s_xor_b64 exec, exec, s[16:17]
	s_cbranch_execz .LBB266_318
.LBB266_417:                            ;   in Loop: Header=BB266_243 Depth=1
	v_cmp_ne_u16_e64 s[0:1], 0, v8
	s_andn2_b64 s[12:13], s[12:13], exec
	s_and_b64 s[0:1], s[0:1], exec
	v_mov_b32_e32 v20, 0
	s_or_b64 s[12:13], s[12:13], s[0:1]
	s_or_b64 exec, exec, s[16:17]
	s_and_saveexec_b64 s[16:17], s[12:13]
	s_cbranch_execnz .LBB266_319
	s_branch .LBB266_320
.LBB266_418:                            ;   in Loop: Header=BB266_243 Depth=1
	v_cmp_eq_u16_sdwa s[40:41], v8, s26 src0_sel:BYTE_0 src1_sel:DWORD
	s_mov_b64 s[0:1], -1
                                        ; implicit-def: $sgpr18
	s_and_saveexec_b64 s[16:17], s[40:41]
; %bb.419:                              ;   in Loop: Header=BB266_243 Depth=1
	s_mov_b32 s18, 0x7fc02000
	s_xor_b64 s[0:1], exec, -1
; %bb.420:                              ;   in Loop: Header=BB266_243 Depth=1
	s_or_b64 exec, exec, s[16:17]
	s_and_b64 s[0:1], s[0:1], exec
	s_or_saveexec_b64 s[12:13], s[12:13]
	v_mov_b32_e32 v15, s18
	s_xor_b64 exec, exec, s[12:13]
	s_cbranch_execz .LBB266_322
.LBB266_421:                            ;   in Loop: Header=BB266_243 Depth=1
	v_cmp_ne_u16_sdwa s[16:17], v8, v9 src0_sel:BYTE_0 src1_sel:DWORD
	s_andn2_b64 s[0:1], s[0:1], exec
	s_and_b64 s[16:17], s[16:17], exec
	v_mov_b32_e32 v15, 0
	s_or_b64 s[0:1], s[0:1], s[16:17]
	s_or_b64 exec, exec, s[12:13]
	s_and_saveexec_b64 s[12:13], s[0:1]
	s_cbranch_execnz .LBB266_323
	s_branch .LBB266_324
.LBB266_422:                            ;   in Loop: Header=BB266_243 Depth=1
	v_cmp_eq_u16_e64 s[0:1], s26, v8
	s_mov_b64 s[12:13], -1
                                        ; implicit-def: $sgpr39
	s_and_saveexec_b64 s[18:19], s[0:1]
; %bb.423:                              ;   in Loop: Header=BB266_243 Depth=1
	s_mov_b32 s39, 0x7fc02000
	s_xor_b64 s[12:13], exec, -1
; %bb.424:                              ;   in Loop: Header=BB266_243 Depth=1
	s_or_b64 exec, exec, s[18:19]
	s_and_b64 s[12:13], s[12:13], exec
	s_or_saveexec_b64 s[16:17], s[16:17]
	v_mov_b32_e32 v21, s39
	s_xor_b64 exec, exec, s[16:17]
	s_cbranch_execz .LBB266_326
.LBB266_425:                            ;   in Loop: Header=BB266_243 Depth=1
	v_cmp_ne_u16_e64 s[0:1], 0, v8
	s_andn2_b64 s[12:13], s[12:13], exec
	s_and_b64 s[0:1], s[0:1], exec
	v_mov_b32_e32 v21, 0
	s_or_b64 s[12:13], s[12:13], s[0:1]
	s_or_b64 exec, exec, s[16:17]
	s_and_saveexec_b64 s[16:17], s[12:13]
	s_cbranch_execnz .LBB266_327
	s_branch .LBB266_328
.LBB266_426:                            ;   in Loop: Header=BB266_243 Depth=1
	v_cmp_eq_u16_sdwa s[40:41], v19, s26 src0_sel:BYTE_0 src1_sel:DWORD
	s_mov_b64 s[0:1], -1
                                        ; implicit-def: $sgpr18
	s_and_saveexec_b64 s[16:17], s[40:41]
; %bb.427:                              ;   in Loop: Header=BB266_243 Depth=1
	s_mov_b32 s18, 0x7fc02000
	s_xor_b64 s[0:1], exec, -1
; %bb.428:                              ;   in Loop: Header=BB266_243 Depth=1
	s_or_b64 exec, exec, s[16:17]
	s_and_b64 s[0:1], s[0:1], exec
	s_or_saveexec_b64 s[12:13], s[12:13]
	v_mov_b32_e32 v18, s18
	s_xor_b64 exec, exec, s[12:13]
	s_cbranch_execz .LBB266_330
.LBB266_429:                            ;   in Loop: Header=BB266_243 Depth=1
	v_cmp_ne_u16_sdwa s[16:17], v19, v9 src0_sel:BYTE_0 src1_sel:DWORD
	s_andn2_b64 s[0:1], s[0:1], exec
	s_and_b64 s[16:17], s[16:17], exec
	v_mov_b32_e32 v18, 0
	s_or_b64 s[0:1], s[0:1], s[16:17]
	s_or_b64 exec, exec, s[12:13]
	v_mov_b32_e32 v8, v19
	s_and_saveexec_b64 s[12:13], s[0:1]
	s_cbranch_execnz .LBB266_331
	s_branch .LBB266_332
.LBB266_430:                            ;   in Loop: Header=BB266_243 Depth=1
	v_cmp_eq_u16_e64 s[0:1], s26, v8
	s_mov_b64 s[12:13], -1
                                        ; implicit-def: $sgpr39
	s_and_saveexec_b64 s[18:19], s[0:1]
; %bb.431:                              ;   in Loop: Header=BB266_243 Depth=1
	s_mov_b32 s39, 0x7fc02000
	s_xor_b64 s[12:13], exec, -1
; %bb.432:                              ;   in Loop: Header=BB266_243 Depth=1
	s_or_b64 exec, exec, s[18:19]
	s_and_b64 s[12:13], s[12:13], exec
	s_or_saveexec_b64 s[16:17], s[16:17]
	v_mov_b32_e32 v42, s39
	s_xor_b64 exec, exec, s[16:17]
	s_cbranch_execz .LBB266_334
.LBB266_433:                            ;   in Loop: Header=BB266_243 Depth=1
	v_cmp_ne_u16_e64 s[0:1], 0, v8
	s_andn2_b64 s[12:13], s[12:13], exec
	s_and_b64 s[0:1], s[0:1], exec
	v_mov_b32_e32 v42, 0
	s_or_b64 s[12:13], s[12:13], s[0:1]
	s_or_b64 exec, exec, s[16:17]
	s_and_saveexec_b64 s[16:17], s[12:13]
	s_cbranch_execnz .LBB266_335
	s_branch .LBB266_336
.LBB266_434:                            ;   in Loop: Header=BB266_243 Depth=1
	v_cmp_eq_u16_sdwa s[40:41], v8, s26 src0_sel:BYTE_0 src1_sel:DWORD
	s_mov_b64 s[0:1], -1
                                        ; implicit-def: $sgpr18
	s_and_saveexec_b64 s[16:17], s[40:41]
; %bb.435:                              ;   in Loop: Header=BB266_243 Depth=1
	s_mov_b32 s18, 0x7fc02000
	s_xor_b64 s[0:1], exec, -1
; %bb.436:                              ;   in Loop: Header=BB266_243 Depth=1
	s_or_b64 exec, exec, s[16:17]
	s_and_b64 s[0:1], s[0:1], exec
	s_or_saveexec_b64 s[12:13], s[12:13]
	v_mov_b32_e32 v43, s18
	s_xor_b64 exec, exec, s[12:13]
	s_cbranch_execz .LBB266_338
.LBB266_437:                            ;   in Loop: Header=BB266_243 Depth=1
	v_cmp_ne_u16_sdwa s[16:17], v8, v9 src0_sel:BYTE_0 src1_sel:DWORD
	s_andn2_b64 s[0:1], s[0:1], exec
	s_and_b64 s[16:17], s[16:17], exec
	v_mov_b32_e32 v43, 0
	s_or_b64 s[0:1], s[0:1], s[16:17]
	s_or_b64 exec, exec, s[12:13]
	s_and_saveexec_b64 s[12:13], s[0:1]
	s_cbranch_execnz .LBB266_339
	s_branch .LBB266_340
.LBB266_438:                            ;   in Loop: Header=BB266_243 Depth=1
	v_cmp_eq_u16_e64 s[0:1], s26, v8
	s_mov_b64 s[12:13], -1
                                        ; implicit-def: $sgpr39
	s_and_saveexec_b64 s[18:19], s[0:1]
; %bb.439:                              ;   in Loop: Header=BB266_243 Depth=1
	s_mov_b32 s39, 0x7fc02000
	s_xor_b64 s[12:13], exec, -1
; %bb.440:                              ;   in Loop: Header=BB266_243 Depth=1
	s_or_b64 exec, exec, s[18:19]
	s_and_b64 s[12:13], s[12:13], exec
	s_or_saveexec_b64 s[16:17], s[16:17]
	v_mov_b32_e32 v44, s39
	s_xor_b64 exec, exec, s[16:17]
	s_cbranch_execz .LBB266_342
.LBB266_441:                            ;   in Loop: Header=BB266_243 Depth=1
	v_cmp_ne_u16_e64 s[0:1], 0, v8
	s_andn2_b64 s[12:13], s[12:13], exec
	s_and_b64 s[0:1], s[0:1], exec
	v_mov_b32_e32 v44, 0
	s_or_b64 s[12:13], s[12:13], s[0:1]
	s_or_b64 exec, exec, s[16:17]
	s_and_saveexec_b64 s[16:17], s[12:13]
	s_cbranch_execnz .LBB266_343
	s_branch .LBB266_344
.LBB266_442:
	s_or_b64 exec, exec, s[8:9]
.LBB266_443:
	s_or_b64 exec, exec, s[10:11]
	ds_bpermute_b32 v1, v17, v4
	ds_bpermute_b32 v6, v17, v2
	;; [unrolled: 1-line block ×3, first 2 shown]
	s_waitcnt lgkmcnt(0)
	s_barrier
	v_add_f32_e32 v1, v4, v1
	v_and_b32_e32 v4, 0x3c1, v0
	v_pk_add_f32 v[2:3], v[2:3], v[6:7]
	v_cmp_eq_u32_e32 vcc, 64, v4
	s_and_saveexec_b64 s[0:1], vcc
	s_cbranch_execz .LBB266_445
; %bb.444:
	v_mov_b32_e32 v6, 0xd0
	v_lshl_add_u32 v5, v5, 1, v6
	ds_write2_b32 v5, v2, v3 offset1:32
	ds_write_b32 v5, v1 offset:256
.LBB266_445:
	s_or_b64 exec, exec, s[0:1]
	v_cmp_gt_u32_e32 vcc, 64, v0
	s_waitcnt lgkmcnt(0)
	s_barrier
	s_and_saveexec_b64 s[0:1], vcc
	s_cbranch_execz .LBB266_451
; %bb.446:
	v_cmp_eq_u32_e32 vcc, 0, v24
	v_lshrrev_b32_e32 v5, 1, v0
	s_and_saveexec_b64 s[2:3], vcc
	s_cbranch_execnz .LBB266_454
; %bb.447:
	s_or_b64 exec, exec, s[2:3]
	s_and_saveexec_b64 s[2:3], vcc
	s_cbranch_execnz .LBB266_455
.LBB266_448:
	s_or_b64 exec, exec, s[2:3]
	s_and_saveexec_b64 s[2:3], vcc
	s_cbranch_execz .LBB266_450
.LBB266_449:
	v_mov_b32_e32 v6, 0xd0
	v_lshl_add_u32 v5, v5, 2, v6
	ds_read_b32 v5, v5 offset:256
	s_waitcnt lgkmcnt(0)
	v_add_f32_e32 v1, v1, v5
.LBB266_450:
	s_or_b64 exec, exec, s[2:3]
.LBB266_451:
	s_or_b64 exec, exec, s[0:1]
	v_cmp_eq_u32_e32 vcc, 0, v4
	s_barrier
	s_and_saveexec_b64 s[0:1], vcc
	s_cbranch_execz .LBB266_453
; %bb.452:
	s_mul_i32 s0, s6, 0x60
	s_ashr_i32 s1, s0, 31
	s_lshl_b64 s[0:1], s[0:1], 1
	s_add_u32 s2, s30, s0
	s_mul_i32 s0, s20, s28
	s_addc_u32 s3, s31, s1
	s_ashr_i32 s1, s0, 31
	s_lshl_b64 s[0:1], s[0:1], 1
	s_add_u32 s2, s2, s0
	s_mul_i32 s0, s4, 0x60
	s_addc_u32 s3, s3, s1
	s_ashr_i32 s1, s0, 31
	s_lshl_b64 s[0:1], s[0:1], 1
	s_add_u32 s0, s2, s0
	s_addc_u32 s1, s3, s1
	;;#ASMSTART
	v_cvt_f16_f32 v2, v2;

	;;#ASMEND
	global_store_short v0, v2, s[0:1]
	;;#ASMSTART
	v_cvt_f16_f32 v2, v3;

	;;#ASMEND
	global_store_short v0, v2, s[0:1] offset:64
	;;#ASMSTART
	v_cvt_f16_f32 v1, v1;

	;;#ASMEND
	global_store_short v0, v1, s[0:1] offset:128
.LBB266_453:
	s_endpgm
.LBB266_454:
	v_mov_b32_e32 v6, 0xd0
	v_lshl_add_u32 v6, v5, 2, v6
	ds_read_b32 v6, v6
	s_waitcnt lgkmcnt(0)
	v_add_f32_e32 v2, v2, v6
	s_or_b64 exec, exec, s[2:3]
	s_and_saveexec_b64 s[2:3], vcc
	s_cbranch_execz .LBB266_448
.LBB266_455:
	v_mov_b32_e32 v6, 0xd0
	v_lshl_add_u32 v6, v5, 2, v6
	ds_read_b32 v6, v6 offset:128
	s_waitcnt lgkmcnt(0)
	v_add_f32_e32 v3, v3, v6
	s_or_b64 exec, exec, s[2:3]
	s_and_saveexec_b64 s[2:3], vcc
	s_cbranch_execnz .LBB266_449
	s_branch .LBB266_450
	.section	.rodata,"a",@progbits
	.p2align	6, 0x0
	.amdhsa_kernel _ZN4vllm25paged_attention_v2_kernelIthLi96ELi16ELi128ELNS_18Fp8KVCacheDataTypeE1ELb1ELi512EEEvPfS2_PT_PKS3_PKT0_S9_ifPKiSB_iPKfiiiSD_SD_iiiii
		.amdhsa_group_segment_fixed_size 208
		.amdhsa_private_segment_fixed_size 0
		.amdhsa_kernarg_size 400
		.amdhsa_user_sgpr_count 2
		.amdhsa_user_sgpr_dispatch_ptr 0
		.amdhsa_user_sgpr_queue_ptr 0
		.amdhsa_user_sgpr_kernarg_segment_ptr 1
		.amdhsa_user_sgpr_dispatch_id 0
		.amdhsa_user_sgpr_kernarg_preload_length 0
		.amdhsa_user_sgpr_kernarg_preload_offset 0
		.amdhsa_user_sgpr_private_segment_size 0
		.amdhsa_uses_dynamic_stack 0
		.amdhsa_enable_private_segment 0
		.amdhsa_system_sgpr_workgroup_id_x 1
		.amdhsa_system_sgpr_workgroup_id_y 1
		.amdhsa_system_sgpr_workgroup_id_z 1
		.amdhsa_system_sgpr_workgroup_info 0
		.amdhsa_system_vgpr_workitem_id 0
		.amdhsa_next_free_vgpr 62
		.amdhsa_next_free_sgpr 66
		.amdhsa_accum_offset 64
		.amdhsa_reserve_vcc 1
		.amdhsa_float_round_mode_32 0
		.amdhsa_float_round_mode_16_64 0
		.amdhsa_float_denorm_mode_32 3
		.amdhsa_float_denorm_mode_16_64 3
		.amdhsa_dx10_clamp 1
		.amdhsa_ieee_mode 1
		.amdhsa_fp16_overflow 0
		.amdhsa_tg_split 0
		.amdhsa_exception_fp_ieee_invalid_op 0
		.amdhsa_exception_fp_denorm_src 0
		.amdhsa_exception_fp_ieee_div_zero 0
		.amdhsa_exception_fp_ieee_overflow 0
		.amdhsa_exception_fp_ieee_underflow 0
		.amdhsa_exception_fp_ieee_inexact 0
		.amdhsa_exception_int_div_zero 0
	.end_amdhsa_kernel
	.section	.text._ZN4vllm25paged_attention_v2_kernelIthLi96ELi16ELi128ELNS_18Fp8KVCacheDataTypeE1ELb1ELi512EEEvPfS2_PT_PKS3_PKT0_S9_ifPKiSB_iPKfiiiSD_SD_iiiii,"axG",@progbits,_ZN4vllm25paged_attention_v2_kernelIthLi96ELi16ELi128ELNS_18Fp8KVCacheDataTypeE1ELb1ELi512EEEvPfS2_PT_PKS3_PKT0_S9_ifPKiSB_iPKfiiiSD_SD_iiiii,comdat
.Lfunc_end266:
	.size	_ZN4vllm25paged_attention_v2_kernelIthLi96ELi16ELi128ELNS_18Fp8KVCacheDataTypeE1ELb1ELi512EEEvPfS2_PT_PKS3_PKT0_S9_ifPKiSB_iPKfiiiSD_SD_iiiii, .Lfunc_end266-_ZN4vllm25paged_attention_v2_kernelIthLi96ELi16ELi128ELNS_18Fp8KVCacheDataTypeE1ELb1ELi512EEEvPfS2_PT_PKS3_PKT0_S9_ifPKiSB_iPKfiiiSD_SD_iiiii
                                        ; -- End function
	.section	.AMDGPU.csdata,"",@progbits
; Kernel info:
; codeLenInByte = 18864
; NumSgprs: 72
; NumVgprs: 62
; NumAgprs: 0
; TotalNumVgprs: 62
; ScratchSize: 0
; MemoryBound: 0
; FloatMode: 240
; IeeeMode: 1
; LDSByteSize: 208 bytes/workgroup (compile time only)
; SGPRBlocks: 8
; VGPRBlocks: 7
; NumSGPRsForWavesPerEU: 72
; NumVGPRsForWavesPerEU: 62
; AccumOffset: 64
; Occupancy: 8
; WaveLimiterHint : 1
; COMPUTE_PGM_RSRC2:SCRATCH_EN: 0
; COMPUTE_PGM_RSRC2:USER_SGPR: 2
; COMPUTE_PGM_RSRC2:TRAP_HANDLER: 0
; COMPUTE_PGM_RSRC2:TGID_X_EN: 1
; COMPUTE_PGM_RSRC2:TGID_Y_EN: 1
; COMPUTE_PGM_RSRC2:TGID_Z_EN: 1
; COMPUTE_PGM_RSRC2:TIDIG_COMP_CNT: 0
; COMPUTE_PGM_RSRC3_GFX90A:ACCUM_OFFSET: 15
; COMPUTE_PGM_RSRC3_GFX90A:TG_SPLIT: 0
	.section	.text._ZN4vllm25paged_attention_v2_kernelIthLi112ELi16ELi128ELNS_18Fp8KVCacheDataTypeE1ELb1ELi512EEEvPfS2_PT_PKS3_PKT0_S9_ifPKiSB_iPKfiiiSD_SD_iiiii,"axG",@progbits,_ZN4vllm25paged_attention_v2_kernelIthLi112ELi16ELi128ELNS_18Fp8KVCacheDataTypeE1ELb1ELi512EEEvPfS2_PT_PKS3_PKT0_S9_ifPKiSB_iPKfiiiSD_SD_iiiii,comdat
	.protected	_ZN4vllm25paged_attention_v2_kernelIthLi112ELi16ELi128ELNS_18Fp8KVCacheDataTypeE1ELb1ELi512EEEvPfS2_PT_PKS3_PKT0_S9_ifPKiSB_iPKfiiiSD_SD_iiiii ; -- Begin function _ZN4vllm25paged_attention_v2_kernelIthLi112ELi16ELi128ELNS_18Fp8KVCacheDataTypeE1ELb1ELi512EEEvPfS2_PT_PKS3_PKT0_S9_ifPKiSB_iPKfiiiSD_SD_iiiii
	.globl	_ZN4vllm25paged_attention_v2_kernelIthLi112ELi16ELi128ELNS_18Fp8KVCacheDataTypeE1ELb1ELi512EEEvPfS2_PT_PKS3_PKT0_S9_ifPKiSB_iPKfiiiSD_SD_iiiii
	.p2align	8
	.type	_ZN4vllm25paged_attention_v2_kernelIthLi112ELi16ELi128ELNS_18Fp8KVCacheDataTypeE1ELb1ELi512EEEvPfS2_PT_PKS3_PKT0_S9_ifPKiSB_iPKfiiiSD_SD_iiiii,@function
_ZN4vllm25paged_attention_v2_kernelIthLi112ELi16ELi128ELNS_18Fp8KVCacheDataTypeE1ELb1ELi512EEEvPfS2_PT_PKS3_PKT0_S9_ifPKiSB_iPKfiiiSD_SD_iiiii: ; @_ZN4vllm25paged_attention_v2_kernelIthLi112ELi16ELi128ELNS_18Fp8KVCacheDataTypeE1ELb1ELi512EEEvPfS2_PT_PKS3_PKT0_S9_ifPKiSB_iPKfiiiSD_SD_iiiii
; %bb.0:
	s_load_dwordx2 s[6:7], s[0:1], 0x40
	s_mov_b32 s34, s3
	s_ashr_i32 s35, s3, 31
	s_lshl_b64 s[8:9], s[34:35], 2
	s_waitcnt lgkmcnt(0)
	s_add_u32 s6, s6, s8
	s_addc_u32 s7, s7, s9
	s_load_dword s33, s[6:7], 0x0
	s_lshl_b32 s55, s4, 9
	s_waitcnt lgkmcnt(0)
	s_cmp_ge_i32 s55, s33
	s_cbranch_scc1 .LBB267_561
; %bb.1:
	s_load_dword s5, s[0:1], 0x90
	s_load_dwordx2 s[42:43], s[0:1], 0x30
	s_mov_b32 s56, 0
	s_waitcnt lgkmcnt(0)
	s_abs_i32 s7, s5
	s_abs_i32 s3, s42
	v_cvt_f32_u32_e32 v1, s3
	s_sub_i32 s8, 0, s3
	s_xor_b32 s6, s5, s42
	s_ashr_i32 s6, s6, 31
	v_rcp_iflag_f32_e32 v1, v1
	s_nop 0
	v_mul_f32_e32 v1, 0x4f7ffffe, v1
	v_cvt_u32_f32_e32 v1, v1
	s_nop 0
	v_readfirstlane_b32 s9, v1
	s_mul_i32 s8, s8, s9
	s_mul_hi_u32 s8, s9, s8
	s_add_i32 s9, s9, s8
	s_mul_hi_u32 s8, s7, s9
	s_mul_i32 s9, s8, s3
	s_sub_i32 s7, s7, s9
	s_add_i32 s10, s8, 1
	s_sub_i32 s9, s7, s3
	s_cmp_ge_u32 s7, s3
	s_cselect_b32 s8, s10, s8
	s_cselect_b32 s7, s9, s7
	s_add_i32 s9, s8, 1
	s_cmp_ge_u32 s7, s3
	s_cselect_b32 s3, s9, s8
	s_xor_b32 s3, s3, s6
	s_sub_i32 s11, s3, s6
	s_abs_i32 s8, s11
	v_cvt_f32_u32_e32 v1, s8
	s_load_dwordx2 s[6:7], s[0:1], 0x50
	s_sub_i32 s3, 0, s8
	s_abs_i32 s9, s2
	v_rcp_iflag_f32_e32 v1, v1
	s_nop 0
	v_mul_f32_e32 v1, 0x4f7ffffe, v1
	v_cvt_u32_f32_e32 v1, v1
	s_nop 0
	v_readfirstlane_b32 s10, v1
	s_mul_i32 s3, s3, s10
	s_mul_hi_u32 s3, s10, s3
	s_add_i32 s10, s10, s3
	s_waitcnt lgkmcnt(0)
	s_cmp_eq_u64 s[6:7], 0
	s_mul_hi_u32 s10, s9, s10
	s_cbranch_scc1 .LBB267_3
; %bb.2:
	s_ashr_i32 s3, s2, 31
	s_lshl_b64 s[12:13], s[2:3], 2
	s_add_u32 s6, s6, s12
	s_addc_u32 s7, s7, s13
	s_load_dword s56, s[6:7], 0x0
.LBB267_3:
	s_load_dwordx4 s[16:19], s[0:1], 0x58
	s_ashr_i32 s3, s2, 31
	s_ashr_i32 s11, s11, 31
	v_and_b32_e32 v9, 3, v0
	s_mul_i32 s28, s2, 0x70
	v_cmp_gt_u32_e32 vcc, 56, v0
	s_and_saveexec_b64 s[6:7], vcc
	s_cbranch_execz .LBB267_5
; %bb.4:
	s_load_dwordx2 s[12:13], s[0:1], 0x18
	s_waitcnt lgkmcnt(0)
	s_mul_i32 s14, s34, s16
	s_ashr_i32 s15, s14, 31
	s_lshl_b64 s[14:15], s[14:15], 1
	v_lshlrev_b32_e32 v1, 2, v0
	s_add_u32 s14, s12, s14
	s_addc_u32 s15, s13, s15
	s_ashr_i32 s29, s28, 31
	s_lshl_b64 s[12:13], s[28:29], 1
	s_add_u32 s12, s14, s12
	s_addc_u32 s13, s15, s13
	global_load_dword v1, v1, s[12:13]
	v_and_b32_e32 v2, 0x3fc, v0
	v_mad_u32_u24 v2, v9, 56, v2
	s_waitcnt vmcnt(0)
	ds_write_b32 v2, v1
.LBB267_5:
	s_or_b64 exec, exec, s[6:7]
	s_mul_i32 s6, s10, s8
	s_sub_i32 s6, s9, s6
	s_xor_b32 s3, s3, s11
	s_add_i32 s7, s10, 1
	s_sub_i32 s9, s6, s8
	s_load_dwordx4 s[20:23], s[0:1], 0x78
	s_cmp_ge_u32 s6, s8
	s_cselect_b32 s7, s7, s10
	s_cselect_b32 s6, s9, s6
	s_add_i32 s9, s7, 1
	s_cmp_ge_u32 s6, s8
	s_cselect_b32 s6, s9, s7
	s_load_dword s9, s[0:1], 0x88
	s_waitcnt lgkmcnt(0)
	s_abs_i32 s35, s23
	v_cvt_f32_u32_e32 v1, s35
	s_xor_b32 s6, s6, s3
	s_sub_i32 s10, s6, s3
	s_sub_i32 s6, 0, s35
	v_rcp_iflag_f32_e32 v1, v1
	s_add_i32 s11, s33, -1
	s_abs_i32 s3, s11
	v_mul_f32_e32 v1, 0x4f7ffffe, v1
	v_cvt_u32_f32_e32 v1, v1
	s_barrier
	v_readfirstlane_b32 s52, v1
	s_mul_i32 s6, s6, s52
	s_mul_hi_u32 s6, s52, s6
	s_add_i32 s52, s52, s6
	s_cmp_lt_i32 s9, 0
	s_mul_hi_u32 s8, s3, s52
	s_cbranch_scc0 .LBB267_7
; %bb.6:
	s_mul_i32 s6, s20, s42
	s_add_i32 s6, s10, s6
	s_mul_i32 s6, s6, s9
	s_sub_i32 s42, 1, s6
	s_mov_b64 s[6:7], 0
	s_branch .LBB267_8
.LBB267_7:
	s_mov_b64 s[6:7], -1
                                        ; implicit-def: $sgpr42
.LBB267_8:
	s_load_dwordx2 s[36:37], s[0:1], 0x38
	s_ashr_i32 s11, s11, 31
	s_andn2_b64 vcc, exec, s[6:7]
	s_ashr_i32 s53, s23, 31
	s_cbranch_vccnz .LBB267_10
; %bb.9:
	s_mul_i32 s6, s5, s20
	s_add_i32 s6, s6, s2
	s_mul_i32 s6, s6, s9
	s_add_i32 s42, s6, 1
.LBB267_10:
	s_load_dwordx2 s[40:41], s[0:1], 0x28
	s_load_dword s6, s[0:1], 0x48
	s_load_dwordx4 s[24:27], s[0:1], 0x0
	s_load_dwordx2 s[30:31], s[0:1], 0x10
	s_load_dword s29, s[0:1], 0x98
	s_load_dwordx4 s[12:15], s[0:1], 0x68
	s_mul_i32 s7, s8, s35
	s_waitcnt lgkmcnt(0)
	s_mul_i32 s38, s34, s6
	s_sub_i32 s3, s3, s7
	s_ashr_i32 s39, s38, 31
	s_xor_b32 s6, s11, s53
	s_add_i32 s7, s8, 1
	s_sub_i32 s9, s3, s35
	s_cmp_ge_u32 s3, s35
	s_cselect_b32 s7, s7, s8
	s_cselect_b32 s3, s9, s3
	s_add_i32 s8, s7, 1
	s_cmp_ge_u32 s3, s35
	s_cselect_b32 s3, s8, s7
	s_xor_b32 s3, s3, s6
	s_sub_i32 s16, s3, s6
	s_add_i32 s3, s33, 15
	s_ashr_i32 s6, s3, 31
	s_lshr_b32 s6, s6, 28
	s_add_i32 s3, s3, s6
	s_lshl_b32 s23, s4, 5
	s_ashr_i32 s3, s3, 4
	s_add_i32 s6, s23, 32
	v_lshrrev_b32_e32 v16, 6, v0
	s_min_i32 s54, s6, s3
	v_or_b32_e32 v6, s23, v16
	v_cmp_gt_i32_e64 s[8:9], s54, v6
	v_mov_b32_e32 v18, 0xff7fffff
	s_mul_i32 s20, s10, s18
	v_ashrrev_i32_e32 v7, 31, v6
	v_lshl_add_u32 v1, v16, 4, s55
	v_mbcnt_lo_u32_b32 v14, -1, 0
	s_and_saveexec_b64 s[18:19], s[8:9]
	s_cbranch_execz .LBB267_244
; %bb.11:
	s_load_dwordx2 s[0:1], s[0:1], 0x20
	s_sub_i32 s57, s16, s21
	s_ashr_i32 s6, s20, 31
	v_bfe_u32 v15, v0, 2, 4
	v_lshlrev_b32_e32 v2, 4, v15
	s_waitcnt lgkmcnt(0)
	s_add_u32 s0, s0, s20
	s_addc_u32 s1, s1, s6
	s_abs_i32 s58, s22
	v_cvt_f32_u32_e32 v4, s58
	v_mov_b32_e32 v3, 0
	v_cmp_eq_u32_e32 vcc, 0, v9
	s_mov_b32 s59, s17
	v_rcp_iflag_f32_e32 v10, v4
	v_lshl_add_u64 v[4:5], s[0:1], 0, v[2:3]
	s_sub_i32 s0, 0, s58
	v_lshlrev_b32_e32 v8, 1, v9
	v_mul_f32_e32 v2, 0x4f7ffffe, v10
	v_cvt_u32_f32_e32 v2, v2
	v_mul_u32_u24_e32 v17, 56, v9
	v_cmp_neq_f32_e64 s[6:7], s56, 0
	v_mov_b32_e32 v9, v3
	v_mul_lo_u32 v10, s0, v2
	v_mul_hi_u32 v10, v2, v10
	v_add_u32_e32 v19, v2, v10
	s_lshl_b64 s[0:1], s[38:39], 2
	v_lshlrev_b32_e32 v2, 2, v15
	s_add_u32 s0, s36, s0
	v_lshl_or_b32 v2, v16, 6, v2
	s_addc_u32 s1, s37, s1
	v_add_u32_e32 v21, 0xf0, v2
	v_subrev_u32_e32 v2, s33, v15
	v_lshl_add_u64 v[10:11], v[6:7], 2, s[0:1]
	v_lshl_add_u32 v20, v16, 4, s55
	v_add_u32_e32 v22, 1, v2
	s_mov_b64 s[44:45], 0
	v_mov_b32_e32 v23, 0xff7fffff
	s_movk_i32 s60, 0x7f
	s_movk_i32 s61, 0x80
	s_mov_b32 s62, 0x8000
	v_mov_b32_e32 v24, 0x1c00
	v_mbcnt_hi_u32_b32 v25, -1, v14
	v_mov_b32_e32 v18, 0xff7fffff
	v_mov_b32_e32 v26, v6
	s_branch .LBB267_14
.LBB267_12:                             ;   in Loop: Header=BB267_14 Depth=1
	s_or_b64 exec, exec, s[46:47]
.LBB267_13:                             ;   in Loop: Header=BB267_14 Depth=1
	s_or_b64 exec, exec, s[10:11]
	v_add_u32_e32 v26, 2, v26
	v_cmp_le_i32_e64 s[0:1], s54, v26
	v_lshl_add_u64 v[10:11], v[10:11], 0, 8
	v_add_u32_e32 v20, 32, v20
	s_or_b64 s[44:45], s[0:1], s[44:45]
	v_add_u32_e32 v21, 0x80, v21
	s_andn2_b64 exec, exec, s[44:45]
	s_cbranch_execz .LBB267_243
.LBB267_14:                             ; =>This Inner Loop Header: Depth=1
	s_waitcnt lgkmcnt(0)
	v_sub_u32_e32 v12, 0, v20
	v_max_i32_e32 v12, v20, v12
	v_mul_hi_u32 v13, v12, s52
	v_mul_lo_u32 v27, v13, s35
	v_sub_u32_e32 v12, v12, v27
	v_add_u32_e32 v27, 1, v13
	v_cmp_le_u32_e64 s[0:1], s35, v12
	v_ashrrev_i32_e32 v2, 31, v20
	v_xor_b32_e32 v2, s53, v2
	v_cndmask_b32_e64 v13, v13, v27, s[0:1]
	v_subrev_u32_e32 v27, s35, v12
	v_cndmask_b32_e64 v12, v12, v27, s[0:1]
	v_add_u32_e32 v27, 1, v13
	v_cmp_le_u32_e64 s[0:1], s35, v12
	s_nop 1
	v_cndmask_b32_e64 v12, v13, v27, s[0:1]
	v_xor_b32_e32 v12, v12, v2
	v_sub_u32_e32 v2, v12, v2
	v_add_u32_e32 v12, s42, v2
	v_sub_u32_e32 v27, 0, v12
	v_ashrrev_i32_e32 v13, 31, v12
	v_max_i32_e32 v12, v12, v27
	v_mul_hi_u32 v27, v12, v19
	v_mul_lo_u32 v27, v27, s58
	v_sub_u32_e32 v12, v12, v27
	v_subrev_u32_e32 v27, s58, v12
	v_cmp_le_u32_e64 s[0:1], s58, v12
	v_cmp_ge_i32_e64 s[10:11], s57, v2
	s_nop 0
	v_cndmask_b32_e64 v12, v12, v27, s[0:1]
	v_subrev_u32_e32 v27, s58, v12
	v_cmp_le_u32_e64 s[0:1], s58, v12
	s_nop 1
	v_cndmask_b32_e64 v12, v12, v27, s[0:1]
	v_xor_b32_e32 v12, v12, v13
	v_sub_u32_e32 v12, v12, v13
	v_cmp_ne_u32_e64 s[0:1], 0, v12
	s_and_b64 s[0:1], s[0:1], s[10:11]
	s_and_b64 s[46:47], vcc, s[0:1]
	s_and_saveexec_b64 s[10:11], s[46:47]
	s_cbranch_execz .LBB267_16
; %bb.15:                               ;   in Loop: Header=BB267_14 Depth=1
	ds_write_b32 v21, v23
.LBB267_16:                             ;   in Loop: Header=BB267_14 Depth=1
	s_or_b64 exec, exec, s[10:11]
	s_xor_b64 s[0:1], s[0:1], -1
	s_and_saveexec_b64 s[10:11], s[0:1]
	s_cbranch_execz .LBB267_13
; %bb.17:                               ;   in Loop: Header=BB267_14 Depth=1
	global_load_dword v2, v[10:11], off
                                        ; implicit-def: $sgpr50
	s_waitcnt vmcnt(0)
	v_mad_i64_i32 v[12:13], s[0:1], v2, s59, v[4:5]
	v_lshl_add_u64 v[12:13], v[12:13], 0, v[8:9]
	global_load_ushort v2, v[12:13], off
	global_load_dword v27, v3, s[12:13]
	s_mov_b64 s[0:1], 0
	s_waitcnt vmcnt(1)
	v_cmp_gt_i16_sdwa s[46:47], v2, s60 src0_sel:BYTE_0 src1_sel:DWORD
	s_and_saveexec_b64 s[48:49], s[46:47]
	s_xor_b64 s[46:47], exec, s[48:49]
	s_cbranch_execnz .LBB267_131
; %bb.18:                               ;   in Loop: Header=BB267_14 Depth=1
	s_or_saveexec_b64 s[46:47], s[46:47]
	v_mov_b32_e32 v28, s50
	s_xor_b64 exec, exec, s[46:47]
	s_cbranch_execnz .LBB267_134
.LBB267_19:                             ;   in Loop: Header=BB267_14 Depth=1
	s_or_b64 exec, exec, s[46:47]
	v_and_b32_e32 v2, 0xffff, v2
	s_and_saveexec_b64 s[46:47], s[0:1]
	s_cbranch_execz .LBB267_21
.LBB267_20:                             ;   in Loop: Header=BB267_14 Depth=1
	v_and_b32_e32 v30, 7, v2
	v_ffbh_u32_e32 v28, v30
	v_min_u32_e32 v32, 32, v28
	v_subrev_u32_e32 v28, 28, v32
	v_bfe_u32 v31, v2, 3, 4
	v_lshlrev_b64 v[28:29], v28, v[2:3]
	v_sub_u32_e32 v29, 29, v32
	v_cmp_eq_u32_e64 s[0:1], 0, v31
	v_and_b32_e32 v28, 7, v28
	s_nop 0
	v_cndmask_b32_e64 v29, v31, v29, s[0:1]
	v_cndmask_b32_e64 v28, v30, v28, s[0:1]
	v_lshlrev_b32_e32 v30, 8, v2
	v_lshl_add_u32 v29, v29, 10, v24
	v_and_or_b32 v29, v30, s62, v29
	v_lshl_or_b32 v28, v28, 7, v29
	v_cvt_f32_f16_e32 v28, v28
.LBB267_21:                             ;   in Loop: Header=BB267_14 Depth=1
	s_or_b64 exec, exec, s[46:47]
	v_lshrrev_b16_e32 v2, 8, v2
	v_cmp_lt_i16_e64 s[0:1], s60, v2
	s_mov_b64 s[46:47], 0
                                        ; implicit-def: $sgpr63
	s_and_saveexec_b64 s[48:49], s[0:1]
	s_xor_b64 s[48:49], exec, s[48:49]
	s_cbranch_execnz .LBB267_135
; %bb.22:                               ;   in Loop: Header=BB267_14 Depth=1
	s_or_saveexec_b64 s[48:49], s[48:49]
	v_mov_b32_e32 v29, s63
	s_xor_b64 exec, exec, s[48:49]
	s_cbranch_execnz .LBB267_138
.LBB267_23:                             ;   in Loop: Header=BB267_14 Depth=1
	s_or_b64 exec, exec, s[48:49]
	s_and_saveexec_b64 s[48:49], s[46:47]
	s_cbranch_execz .LBB267_25
.LBB267_24:                             ;   in Loop: Header=BB267_14 Depth=1
	v_and_b32_e32 v29, 7, v2
	v_ffbh_u32_e32 v30, v29
	v_min_u32_e32 v33, 32, v30
	v_subrev_u32_e32 v30, 28, v33
	v_bfe_u32 v32, v2, 3, 4
	v_lshlrev_b64 v[30:31], v30, v[2:3]
	v_sub_u32_e32 v31, 29, v33
	v_cmp_eq_u32_e64 s[0:1], 0, v32
	v_and_b32_e32 v30, 7, v30
	v_lshlrev_b32_e32 v2, 8, v2
	v_cndmask_b32_e64 v31, v32, v31, s[0:1]
	v_cndmask_b32_e64 v29, v29, v30, s[0:1]
	v_lshl_add_u32 v30, v31, 10, v24
	v_and_or_b32 v2, v2, s62, v30
	v_lshl_or_b32 v2, v29, 7, v2
	v_cvt_f32_f16_e32 v29, v2
.LBB267_25:                             ;   in Loop: Header=BB267_14 Depth=1
	s_or_b64 exec, exec, s[48:49]
	global_load_ushort v2, v[12:13], off offset:8
	s_mov_b64 s[0:1], 0
                                        ; implicit-def: $sgpr50
	s_waitcnt vmcnt(0)
	v_cmp_gt_i16_sdwa s[46:47], v2, s60 src0_sel:BYTE_0 src1_sel:DWORD
	s_and_saveexec_b64 s[48:49], s[46:47]
	s_xor_b64 s[46:47], exec, s[48:49]
	s_cbranch_execnz .LBB267_139
; %bb.26:                               ;   in Loop: Header=BB267_14 Depth=1
	s_or_saveexec_b64 s[46:47], s[46:47]
	v_mov_b32_e32 v30, s50
	s_xor_b64 exec, exec, s[46:47]
	s_cbranch_execnz .LBB267_142
.LBB267_27:                             ;   in Loop: Header=BB267_14 Depth=1
	s_or_b64 exec, exec, s[46:47]
	v_and_b32_e32 v2, 0xffff, v2
	s_and_saveexec_b64 s[46:47], s[0:1]
	s_cbranch_execz .LBB267_29
.LBB267_28:                             ;   in Loop: Header=BB267_14 Depth=1
	v_and_b32_e32 v32, 7, v2
	v_ffbh_u32_e32 v30, v32
	v_min_u32_e32 v34, 32, v30
	v_subrev_u32_e32 v30, 28, v34
	v_bfe_u32 v33, v2, 3, 4
	v_lshlrev_b64 v[30:31], v30, v[2:3]
	v_sub_u32_e32 v31, 29, v34
	v_cmp_eq_u32_e64 s[0:1], 0, v33
	v_and_b32_e32 v30, 7, v30
	s_nop 0
	v_cndmask_b32_e64 v31, v33, v31, s[0:1]
	v_cndmask_b32_e64 v30, v32, v30, s[0:1]
	v_lshlrev_b32_e32 v32, 8, v2
	v_lshl_add_u32 v31, v31, 10, v24
	v_and_or_b32 v31, v32, s62, v31
	v_lshl_or_b32 v30, v30, 7, v31
	v_cvt_f32_f16_e32 v30, v30
.LBB267_29:                             ;   in Loop: Header=BB267_14 Depth=1
	s_or_b64 exec, exec, s[46:47]
	v_lshrrev_b16_e32 v2, 8, v2
	v_cmp_lt_i16_e64 s[0:1], s60, v2
	s_mov_b64 s[46:47], 0
                                        ; implicit-def: $sgpr63
	s_and_saveexec_b64 s[48:49], s[0:1]
	s_xor_b64 s[48:49], exec, s[48:49]
	s_cbranch_execnz .LBB267_143
; %bb.30:                               ;   in Loop: Header=BB267_14 Depth=1
	s_or_saveexec_b64 s[48:49], s[48:49]
	v_mov_b32_e32 v31, s63
	s_xor_b64 exec, exec, s[48:49]
	s_cbranch_execnz .LBB267_146
.LBB267_31:                             ;   in Loop: Header=BB267_14 Depth=1
	s_or_b64 exec, exec, s[48:49]
	s_and_saveexec_b64 s[48:49], s[46:47]
	s_cbranch_execz .LBB267_33
.LBB267_32:                             ;   in Loop: Header=BB267_14 Depth=1
	v_and_b32_e32 v31, 7, v2
	v_ffbh_u32_e32 v32, v31
	v_min_u32_e32 v35, 32, v32
	v_subrev_u32_e32 v32, 28, v35
	v_bfe_u32 v34, v2, 3, 4
	v_lshlrev_b64 v[32:33], v32, v[2:3]
	v_sub_u32_e32 v33, 29, v35
	v_cmp_eq_u32_e64 s[0:1], 0, v34
	v_and_b32_e32 v32, 7, v32
	v_lshlrev_b32_e32 v2, 8, v2
	v_cndmask_b32_e64 v33, v34, v33, s[0:1]
	v_cndmask_b32_e64 v31, v31, v32, s[0:1]
	v_lshl_add_u32 v32, v33, 10, v24
	v_and_or_b32 v2, v2, s62, v32
	v_lshl_or_b32 v2, v31, 7, v2
	v_cvt_f32_f16_e32 v31, v2
.LBB267_33:                             ;   in Loop: Header=BB267_14 Depth=1
	s_or_b64 exec, exec, s[48:49]
	global_load_ushort v2, v[12:13], off offset:256
	s_mov_b64 s[0:1], 0
                                        ; implicit-def: $sgpr50
	s_waitcnt vmcnt(0)
	v_cmp_gt_i16_sdwa s[46:47], v2, s60 src0_sel:BYTE_0 src1_sel:DWORD
	s_and_saveexec_b64 s[48:49], s[46:47]
	s_xor_b64 s[46:47], exec, s[48:49]
	s_cbranch_execnz .LBB267_147
; %bb.34:                               ;   in Loop: Header=BB267_14 Depth=1
	s_or_saveexec_b64 s[46:47], s[46:47]
	v_mov_b32_e32 v32, s50
	s_xor_b64 exec, exec, s[46:47]
	s_cbranch_execnz .LBB267_150
.LBB267_35:                             ;   in Loop: Header=BB267_14 Depth=1
	s_or_b64 exec, exec, s[46:47]
	v_and_b32_e32 v2, 0xffff, v2
	s_and_saveexec_b64 s[46:47], s[0:1]
	s_cbranch_execz .LBB267_37
.LBB267_36:                             ;   in Loop: Header=BB267_14 Depth=1
	v_and_b32_e32 v34, 7, v2
	v_ffbh_u32_e32 v32, v34
	v_min_u32_e32 v36, 32, v32
	v_subrev_u32_e32 v32, 28, v36
	v_bfe_u32 v35, v2, 3, 4
	v_lshlrev_b64 v[32:33], v32, v[2:3]
	v_sub_u32_e32 v33, 29, v36
	v_cmp_eq_u32_e64 s[0:1], 0, v35
	v_and_b32_e32 v32, 7, v32
	s_nop 0
	v_cndmask_b32_e64 v33, v35, v33, s[0:1]
	v_cndmask_b32_e64 v32, v34, v32, s[0:1]
	v_lshlrev_b32_e32 v34, 8, v2
	v_lshl_add_u32 v33, v33, 10, v24
	v_and_or_b32 v33, v34, s62, v33
	v_lshl_or_b32 v32, v32, 7, v33
	v_cvt_f32_f16_e32 v32, v32
.LBB267_37:                             ;   in Loop: Header=BB267_14 Depth=1
	s_or_b64 exec, exec, s[46:47]
	v_lshrrev_b16_e32 v2, 8, v2
	v_cmp_lt_i16_e64 s[0:1], s60, v2
	s_mov_b64 s[46:47], 0
                                        ; implicit-def: $sgpr63
	s_and_saveexec_b64 s[48:49], s[0:1]
	s_xor_b64 s[48:49], exec, s[48:49]
	s_cbranch_execnz .LBB267_151
; %bb.38:                               ;   in Loop: Header=BB267_14 Depth=1
	s_or_saveexec_b64 s[48:49], s[48:49]
	v_mov_b32_e32 v33, s63
	s_xor_b64 exec, exec, s[48:49]
	s_cbranch_execnz .LBB267_154
.LBB267_39:                             ;   in Loop: Header=BB267_14 Depth=1
	s_or_b64 exec, exec, s[48:49]
	s_and_saveexec_b64 s[48:49], s[46:47]
	s_cbranch_execz .LBB267_41
.LBB267_40:                             ;   in Loop: Header=BB267_14 Depth=1
	v_and_b32_e32 v33, 7, v2
	v_ffbh_u32_e32 v34, v33
	v_min_u32_e32 v37, 32, v34
	v_subrev_u32_e32 v34, 28, v37
	v_bfe_u32 v36, v2, 3, 4
	v_lshlrev_b64 v[34:35], v34, v[2:3]
	v_sub_u32_e32 v35, 29, v37
	v_cmp_eq_u32_e64 s[0:1], 0, v36
	v_and_b32_e32 v34, 7, v34
	v_lshlrev_b32_e32 v2, 8, v2
	v_cndmask_b32_e64 v35, v36, v35, s[0:1]
	v_cndmask_b32_e64 v33, v33, v34, s[0:1]
	v_lshl_add_u32 v34, v35, 10, v24
	v_and_or_b32 v2, v2, s62, v34
	v_lshl_or_b32 v2, v33, 7, v2
	v_cvt_f32_f16_e32 v33, v2
.LBB267_41:                             ;   in Loop: Header=BB267_14 Depth=1
	s_or_b64 exec, exec, s[48:49]
	global_load_ushort v2, v[12:13], off offset:264
	s_mov_b64 s[0:1], 0
                                        ; implicit-def: $sgpr50
	s_waitcnt vmcnt(0)
	v_cmp_gt_i16_sdwa s[46:47], v2, s60 src0_sel:BYTE_0 src1_sel:DWORD
	s_and_saveexec_b64 s[48:49], s[46:47]
	s_xor_b64 s[46:47], exec, s[48:49]
	s_cbranch_execnz .LBB267_155
; %bb.42:                               ;   in Loop: Header=BB267_14 Depth=1
	s_or_saveexec_b64 s[46:47], s[46:47]
	v_mov_b32_e32 v34, s50
	s_xor_b64 exec, exec, s[46:47]
	s_cbranch_execnz .LBB267_158
.LBB267_43:                             ;   in Loop: Header=BB267_14 Depth=1
	s_or_b64 exec, exec, s[46:47]
	v_and_b32_e32 v2, 0xffff, v2
	s_and_saveexec_b64 s[46:47], s[0:1]
	s_cbranch_execz .LBB267_45
.LBB267_44:                             ;   in Loop: Header=BB267_14 Depth=1
	v_and_b32_e32 v36, 7, v2
	v_ffbh_u32_e32 v34, v36
	v_min_u32_e32 v38, 32, v34
	v_subrev_u32_e32 v34, 28, v38
	v_bfe_u32 v37, v2, 3, 4
	v_lshlrev_b64 v[34:35], v34, v[2:3]
	v_sub_u32_e32 v35, 29, v38
	v_cmp_eq_u32_e64 s[0:1], 0, v37
	v_and_b32_e32 v34, 7, v34
	s_nop 0
	v_cndmask_b32_e64 v35, v37, v35, s[0:1]
	v_cndmask_b32_e64 v34, v36, v34, s[0:1]
	v_lshlrev_b32_e32 v36, 8, v2
	v_lshl_add_u32 v35, v35, 10, v24
	v_and_or_b32 v35, v36, s62, v35
	v_lshl_or_b32 v34, v34, 7, v35
	v_cvt_f32_f16_e32 v34, v34
.LBB267_45:                             ;   in Loop: Header=BB267_14 Depth=1
	s_or_b64 exec, exec, s[46:47]
	v_lshrrev_b16_e32 v2, 8, v2
	v_cmp_lt_i16_e64 s[0:1], s60, v2
	s_mov_b64 s[46:47], 0
                                        ; implicit-def: $sgpr63
	s_and_saveexec_b64 s[48:49], s[0:1]
	s_xor_b64 s[48:49], exec, s[48:49]
	s_cbranch_execnz .LBB267_159
; %bb.46:                               ;   in Loop: Header=BB267_14 Depth=1
	s_or_saveexec_b64 s[48:49], s[48:49]
	v_mov_b32_e32 v35, s63
	s_xor_b64 exec, exec, s[48:49]
	s_cbranch_execnz .LBB267_162
.LBB267_47:                             ;   in Loop: Header=BB267_14 Depth=1
	s_or_b64 exec, exec, s[48:49]
	s_and_saveexec_b64 s[48:49], s[46:47]
	s_cbranch_execz .LBB267_49
.LBB267_48:                             ;   in Loop: Header=BB267_14 Depth=1
	v_and_b32_e32 v35, 7, v2
	v_ffbh_u32_e32 v36, v35
	v_min_u32_e32 v39, 32, v36
	v_subrev_u32_e32 v36, 28, v39
	v_bfe_u32 v38, v2, 3, 4
	v_lshlrev_b64 v[36:37], v36, v[2:3]
	v_sub_u32_e32 v37, 29, v39
	v_cmp_eq_u32_e64 s[0:1], 0, v38
	v_and_b32_e32 v36, 7, v36
	v_lshlrev_b32_e32 v2, 8, v2
	v_cndmask_b32_e64 v37, v38, v37, s[0:1]
	v_cndmask_b32_e64 v35, v35, v36, s[0:1]
	v_lshl_add_u32 v36, v37, 10, v24
	v_and_or_b32 v2, v2, s62, v36
	v_lshl_or_b32 v2, v35, 7, v2
	v_cvt_f32_f16_e32 v35, v2
.LBB267_49:                             ;   in Loop: Header=BB267_14 Depth=1
	s_or_b64 exec, exec, s[48:49]
	global_load_ushort v2, v[12:13], off offset:512
	s_mov_b64 s[0:1], 0
                                        ; implicit-def: $sgpr50
	s_waitcnt vmcnt(0)
	v_cmp_gt_i16_sdwa s[46:47], v2, s60 src0_sel:BYTE_0 src1_sel:DWORD
	s_and_saveexec_b64 s[48:49], s[46:47]
	s_xor_b64 s[46:47], exec, s[48:49]
	s_cbranch_execnz .LBB267_163
; %bb.50:                               ;   in Loop: Header=BB267_14 Depth=1
	s_or_saveexec_b64 s[46:47], s[46:47]
	v_mov_b32_e32 v36, s50
	s_xor_b64 exec, exec, s[46:47]
	s_cbranch_execnz .LBB267_166
.LBB267_51:                             ;   in Loop: Header=BB267_14 Depth=1
	s_or_b64 exec, exec, s[46:47]
	v_and_b32_e32 v2, 0xffff, v2
	s_and_saveexec_b64 s[46:47], s[0:1]
	s_cbranch_execz .LBB267_53
.LBB267_52:                             ;   in Loop: Header=BB267_14 Depth=1
	v_and_b32_e32 v38, 7, v2
	v_ffbh_u32_e32 v36, v38
	v_min_u32_e32 v40, 32, v36
	v_subrev_u32_e32 v36, 28, v40
	v_bfe_u32 v39, v2, 3, 4
	v_lshlrev_b64 v[36:37], v36, v[2:3]
	v_sub_u32_e32 v37, 29, v40
	v_cmp_eq_u32_e64 s[0:1], 0, v39
	v_and_b32_e32 v36, 7, v36
	s_nop 0
	v_cndmask_b32_e64 v37, v39, v37, s[0:1]
	v_cndmask_b32_e64 v36, v38, v36, s[0:1]
	v_lshlrev_b32_e32 v38, 8, v2
	v_lshl_add_u32 v37, v37, 10, v24
	v_and_or_b32 v37, v38, s62, v37
	v_lshl_or_b32 v36, v36, 7, v37
	v_cvt_f32_f16_e32 v36, v36
.LBB267_53:                             ;   in Loop: Header=BB267_14 Depth=1
	s_or_b64 exec, exec, s[46:47]
	v_lshrrev_b16_e32 v2, 8, v2
	v_cmp_lt_i16_e64 s[0:1], s60, v2
	s_mov_b64 s[46:47], 0
                                        ; implicit-def: $sgpr63
	s_and_saveexec_b64 s[48:49], s[0:1]
	s_xor_b64 s[48:49], exec, s[48:49]
	s_cbranch_execnz .LBB267_167
; %bb.54:                               ;   in Loop: Header=BB267_14 Depth=1
	s_or_saveexec_b64 s[48:49], s[48:49]
	v_mov_b32_e32 v37, s63
	s_xor_b64 exec, exec, s[48:49]
	s_cbranch_execnz .LBB267_170
.LBB267_55:                             ;   in Loop: Header=BB267_14 Depth=1
	s_or_b64 exec, exec, s[48:49]
	s_and_saveexec_b64 s[48:49], s[46:47]
	s_cbranch_execz .LBB267_57
.LBB267_56:                             ;   in Loop: Header=BB267_14 Depth=1
	v_and_b32_e32 v37, 7, v2
	v_ffbh_u32_e32 v38, v37
	v_min_u32_e32 v41, 32, v38
	v_subrev_u32_e32 v38, 28, v41
	v_bfe_u32 v40, v2, 3, 4
	v_lshlrev_b64 v[38:39], v38, v[2:3]
	v_sub_u32_e32 v39, 29, v41
	v_cmp_eq_u32_e64 s[0:1], 0, v40
	v_and_b32_e32 v38, 7, v38
	v_lshlrev_b32_e32 v2, 8, v2
	v_cndmask_b32_e64 v39, v40, v39, s[0:1]
	v_cndmask_b32_e64 v37, v37, v38, s[0:1]
	v_lshl_add_u32 v38, v39, 10, v24
	v_and_or_b32 v2, v2, s62, v38
	v_lshl_or_b32 v2, v37, 7, v2
	v_cvt_f32_f16_e32 v37, v2
.LBB267_57:                             ;   in Loop: Header=BB267_14 Depth=1
	s_or_b64 exec, exec, s[48:49]
	global_load_ushort v2, v[12:13], off offset:520
	s_mov_b64 s[0:1], 0
                                        ; implicit-def: $sgpr50
	s_waitcnt vmcnt(0)
	v_cmp_gt_i16_sdwa s[46:47], v2, s60 src0_sel:BYTE_0 src1_sel:DWORD
	s_and_saveexec_b64 s[48:49], s[46:47]
	s_xor_b64 s[46:47], exec, s[48:49]
	s_cbranch_execnz .LBB267_171
; %bb.58:                               ;   in Loop: Header=BB267_14 Depth=1
	s_or_saveexec_b64 s[46:47], s[46:47]
	v_mov_b32_e32 v38, s50
	s_xor_b64 exec, exec, s[46:47]
	s_cbranch_execnz .LBB267_174
.LBB267_59:                             ;   in Loop: Header=BB267_14 Depth=1
	s_or_b64 exec, exec, s[46:47]
	v_and_b32_e32 v2, 0xffff, v2
	s_and_saveexec_b64 s[46:47], s[0:1]
	s_cbranch_execz .LBB267_61
.LBB267_60:                             ;   in Loop: Header=BB267_14 Depth=1
	v_and_b32_e32 v40, 7, v2
	v_ffbh_u32_e32 v38, v40
	v_min_u32_e32 v42, 32, v38
	v_subrev_u32_e32 v38, 28, v42
	v_bfe_u32 v41, v2, 3, 4
	v_lshlrev_b64 v[38:39], v38, v[2:3]
	v_sub_u32_e32 v39, 29, v42
	v_cmp_eq_u32_e64 s[0:1], 0, v41
	v_and_b32_e32 v38, 7, v38
	s_nop 0
	v_cndmask_b32_e64 v39, v41, v39, s[0:1]
	v_cndmask_b32_e64 v38, v40, v38, s[0:1]
	v_lshlrev_b32_e32 v40, 8, v2
	v_lshl_add_u32 v39, v39, 10, v24
	v_and_or_b32 v39, v40, s62, v39
	v_lshl_or_b32 v38, v38, 7, v39
	v_cvt_f32_f16_e32 v38, v38
.LBB267_61:                             ;   in Loop: Header=BB267_14 Depth=1
	s_or_b64 exec, exec, s[46:47]
	v_lshrrev_b16_e32 v2, 8, v2
	v_cmp_lt_i16_e64 s[0:1], s60, v2
	s_mov_b64 s[46:47], 0
                                        ; implicit-def: $sgpr63
	s_and_saveexec_b64 s[48:49], s[0:1]
	s_xor_b64 s[48:49], exec, s[48:49]
	s_cbranch_execnz .LBB267_175
; %bb.62:                               ;   in Loop: Header=BB267_14 Depth=1
	s_or_saveexec_b64 s[48:49], s[48:49]
	v_mov_b32_e32 v39, s63
	s_xor_b64 exec, exec, s[48:49]
	s_cbranch_execnz .LBB267_178
.LBB267_63:                             ;   in Loop: Header=BB267_14 Depth=1
	s_or_b64 exec, exec, s[48:49]
	s_and_saveexec_b64 s[48:49], s[46:47]
	s_cbranch_execz .LBB267_65
.LBB267_64:                             ;   in Loop: Header=BB267_14 Depth=1
	v_and_b32_e32 v39, 7, v2
	v_ffbh_u32_e32 v40, v39
	v_min_u32_e32 v43, 32, v40
	v_subrev_u32_e32 v40, 28, v43
	v_bfe_u32 v42, v2, 3, 4
	v_lshlrev_b64 v[40:41], v40, v[2:3]
	v_sub_u32_e32 v41, 29, v43
	v_cmp_eq_u32_e64 s[0:1], 0, v42
	v_and_b32_e32 v40, 7, v40
	v_lshlrev_b32_e32 v2, 8, v2
	v_cndmask_b32_e64 v41, v42, v41, s[0:1]
	v_cndmask_b32_e64 v39, v39, v40, s[0:1]
	v_lshl_add_u32 v40, v41, 10, v24
	v_and_or_b32 v2, v2, s62, v40
	v_lshl_or_b32 v2, v39, 7, v2
	v_cvt_f32_f16_e32 v39, v2
.LBB267_65:                             ;   in Loop: Header=BB267_14 Depth=1
	s_or_b64 exec, exec, s[48:49]
	global_load_ushort v2, v[12:13], off offset:768
	s_mov_b64 s[0:1], 0
                                        ; implicit-def: $sgpr50
	s_waitcnt vmcnt(0)
	v_cmp_gt_i16_sdwa s[46:47], v2, s60 src0_sel:BYTE_0 src1_sel:DWORD
	s_and_saveexec_b64 s[48:49], s[46:47]
	s_xor_b64 s[46:47], exec, s[48:49]
	s_cbranch_execnz .LBB267_179
; %bb.66:                               ;   in Loop: Header=BB267_14 Depth=1
	s_or_saveexec_b64 s[46:47], s[46:47]
	v_mov_b32_e32 v40, s50
	s_xor_b64 exec, exec, s[46:47]
	s_cbranch_execnz .LBB267_182
.LBB267_67:                             ;   in Loop: Header=BB267_14 Depth=1
	s_or_b64 exec, exec, s[46:47]
	v_and_b32_e32 v2, 0xffff, v2
	s_and_saveexec_b64 s[46:47], s[0:1]
	s_cbranch_execz .LBB267_69
.LBB267_68:                             ;   in Loop: Header=BB267_14 Depth=1
	v_and_b32_e32 v42, 7, v2
	v_ffbh_u32_e32 v40, v42
	v_min_u32_e32 v44, 32, v40
	v_subrev_u32_e32 v40, 28, v44
	v_bfe_u32 v43, v2, 3, 4
	v_lshlrev_b64 v[40:41], v40, v[2:3]
	v_sub_u32_e32 v41, 29, v44
	v_cmp_eq_u32_e64 s[0:1], 0, v43
	v_and_b32_e32 v40, 7, v40
	s_nop 0
	v_cndmask_b32_e64 v41, v43, v41, s[0:1]
	v_cndmask_b32_e64 v40, v42, v40, s[0:1]
	v_lshlrev_b32_e32 v42, 8, v2
	v_lshl_add_u32 v41, v41, 10, v24
	v_and_or_b32 v41, v42, s62, v41
	v_lshl_or_b32 v40, v40, 7, v41
	v_cvt_f32_f16_e32 v40, v40
.LBB267_69:                             ;   in Loop: Header=BB267_14 Depth=1
	s_or_b64 exec, exec, s[46:47]
	v_lshrrev_b16_e32 v2, 8, v2
	v_cmp_lt_i16_e64 s[0:1], s60, v2
	s_mov_b64 s[46:47], 0
                                        ; implicit-def: $sgpr63
	s_and_saveexec_b64 s[48:49], s[0:1]
	s_xor_b64 s[48:49], exec, s[48:49]
	s_cbranch_execnz .LBB267_183
; %bb.70:                               ;   in Loop: Header=BB267_14 Depth=1
	s_or_saveexec_b64 s[48:49], s[48:49]
	v_mov_b32_e32 v41, s63
	s_xor_b64 exec, exec, s[48:49]
	s_cbranch_execnz .LBB267_186
.LBB267_71:                             ;   in Loop: Header=BB267_14 Depth=1
	s_or_b64 exec, exec, s[48:49]
	s_and_saveexec_b64 s[48:49], s[46:47]
	s_cbranch_execz .LBB267_73
.LBB267_72:                             ;   in Loop: Header=BB267_14 Depth=1
	v_and_b32_e32 v41, 7, v2
	v_ffbh_u32_e32 v42, v41
	v_min_u32_e32 v45, 32, v42
	v_subrev_u32_e32 v42, 28, v45
	v_bfe_u32 v44, v2, 3, 4
	v_lshlrev_b64 v[42:43], v42, v[2:3]
	v_sub_u32_e32 v43, 29, v45
	v_cmp_eq_u32_e64 s[0:1], 0, v44
	v_and_b32_e32 v42, 7, v42
	v_lshlrev_b32_e32 v2, 8, v2
	v_cndmask_b32_e64 v43, v44, v43, s[0:1]
	v_cndmask_b32_e64 v41, v41, v42, s[0:1]
	v_lshl_add_u32 v42, v43, 10, v24
	v_and_or_b32 v2, v2, s62, v42
	v_lshl_or_b32 v2, v41, 7, v2
	v_cvt_f32_f16_e32 v41, v2
.LBB267_73:                             ;   in Loop: Header=BB267_14 Depth=1
	s_or_b64 exec, exec, s[48:49]
	global_load_ushort v2, v[12:13], off offset:776
	s_mov_b64 s[0:1], 0
                                        ; implicit-def: $sgpr50
	s_waitcnt vmcnt(0)
	v_cmp_gt_i16_sdwa s[46:47], v2, s60 src0_sel:BYTE_0 src1_sel:DWORD
	s_and_saveexec_b64 s[48:49], s[46:47]
	s_xor_b64 s[46:47], exec, s[48:49]
	s_cbranch_execnz .LBB267_187
; %bb.74:                               ;   in Loop: Header=BB267_14 Depth=1
	s_or_saveexec_b64 s[46:47], s[46:47]
	v_mov_b32_e32 v42, s50
	s_xor_b64 exec, exec, s[46:47]
	s_cbranch_execnz .LBB267_190
.LBB267_75:                             ;   in Loop: Header=BB267_14 Depth=1
	s_or_b64 exec, exec, s[46:47]
	v_and_b32_e32 v2, 0xffff, v2
	s_and_saveexec_b64 s[46:47], s[0:1]
	s_cbranch_execz .LBB267_77
.LBB267_76:                             ;   in Loop: Header=BB267_14 Depth=1
	v_and_b32_e32 v44, 7, v2
	v_ffbh_u32_e32 v42, v44
	v_min_u32_e32 v46, 32, v42
	v_subrev_u32_e32 v42, 28, v46
	v_bfe_u32 v45, v2, 3, 4
	v_lshlrev_b64 v[42:43], v42, v[2:3]
	v_sub_u32_e32 v43, 29, v46
	v_cmp_eq_u32_e64 s[0:1], 0, v45
	v_and_b32_e32 v42, 7, v42
	s_nop 0
	v_cndmask_b32_e64 v43, v45, v43, s[0:1]
	v_cndmask_b32_e64 v42, v44, v42, s[0:1]
	v_lshlrev_b32_e32 v44, 8, v2
	v_lshl_add_u32 v43, v43, 10, v24
	v_and_or_b32 v43, v44, s62, v43
	v_lshl_or_b32 v42, v42, 7, v43
	v_cvt_f32_f16_e32 v42, v42
.LBB267_77:                             ;   in Loop: Header=BB267_14 Depth=1
	s_or_b64 exec, exec, s[46:47]
	v_lshrrev_b16_e32 v2, 8, v2
	v_cmp_lt_i16_e64 s[0:1], s60, v2
	s_mov_b64 s[46:47], 0
                                        ; implicit-def: $sgpr63
	s_and_saveexec_b64 s[48:49], s[0:1]
	s_xor_b64 s[48:49], exec, s[48:49]
	s_cbranch_execnz .LBB267_191
; %bb.78:                               ;   in Loop: Header=BB267_14 Depth=1
	s_or_saveexec_b64 s[48:49], s[48:49]
	v_mov_b32_e32 v43, s63
	s_xor_b64 exec, exec, s[48:49]
	s_cbranch_execnz .LBB267_194
.LBB267_79:                             ;   in Loop: Header=BB267_14 Depth=1
	s_or_b64 exec, exec, s[48:49]
	s_and_saveexec_b64 s[48:49], s[46:47]
	s_cbranch_execz .LBB267_81
.LBB267_80:                             ;   in Loop: Header=BB267_14 Depth=1
	v_and_b32_e32 v43, 7, v2
	v_ffbh_u32_e32 v44, v43
	v_min_u32_e32 v47, 32, v44
	v_subrev_u32_e32 v44, 28, v47
	v_bfe_u32 v46, v2, 3, 4
	v_lshlrev_b64 v[44:45], v44, v[2:3]
	v_sub_u32_e32 v45, 29, v47
	v_cmp_eq_u32_e64 s[0:1], 0, v46
	v_and_b32_e32 v44, 7, v44
	v_lshlrev_b32_e32 v2, 8, v2
	v_cndmask_b32_e64 v45, v46, v45, s[0:1]
	v_cndmask_b32_e64 v43, v43, v44, s[0:1]
	v_lshl_add_u32 v44, v45, 10, v24
	v_and_or_b32 v2, v2, s62, v44
	v_lshl_or_b32 v2, v43, 7, v2
	v_cvt_f32_f16_e32 v43, v2
.LBB267_81:                             ;   in Loop: Header=BB267_14 Depth=1
	s_or_b64 exec, exec, s[48:49]
	global_load_ushort v2, v[12:13], off offset:1024
	s_mov_b64 s[0:1], 0
                                        ; implicit-def: $sgpr50
	s_waitcnt vmcnt(0)
	v_cmp_gt_i16_sdwa s[46:47], v2, s60 src0_sel:BYTE_0 src1_sel:DWORD
	s_and_saveexec_b64 s[48:49], s[46:47]
	s_xor_b64 s[46:47], exec, s[48:49]
	s_cbranch_execnz .LBB267_195
; %bb.82:                               ;   in Loop: Header=BB267_14 Depth=1
	s_or_saveexec_b64 s[46:47], s[46:47]
	v_mov_b32_e32 v44, s50
	s_xor_b64 exec, exec, s[46:47]
	s_cbranch_execnz .LBB267_198
.LBB267_83:                             ;   in Loop: Header=BB267_14 Depth=1
	s_or_b64 exec, exec, s[46:47]
	v_and_b32_e32 v2, 0xffff, v2
	s_and_saveexec_b64 s[46:47], s[0:1]
	s_cbranch_execz .LBB267_85
.LBB267_84:                             ;   in Loop: Header=BB267_14 Depth=1
	v_and_b32_e32 v46, 7, v2
	v_ffbh_u32_e32 v44, v46
	v_min_u32_e32 v48, 32, v44
	v_subrev_u32_e32 v44, 28, v48
	v_bfe_u32 v47, v2, 3, 4
	v_lshlrev_b64 v[44:45], v44, v[2:3]
	v_sub_u32_e32 v45, 29, v48
	v_cmp_eq_u32_e64 s[0:1], 0, v47
	v_and_b32_e32 v44, 7, v44
	s_nop 0
	v_cndmask_b32_e64 v45, v47, v45, s[0:1]
	v_cndmask_b32_e64 v44, v46, v44, s[0:1]
	v_lshlrev_b32_e32 v46, 8, v2
	v_lshl_add_u32 v45, v45, 10, v24
	v_and_or_b32 v45, v46, s62, v45
	v_lshl_or_b32 v44, v44, 7, v45
	v_cvt_f32_f16_e32 v44, v44
.LBB267_85:                             ;   in Loop: Header=BB267_14 Depth=1
	s_or_b64 exec, exec, s[46:47]
	v_lshrrev_b16_e32 v2, 8, v2
	v_cmp_lt_i16_e64 s[0:1], s60, v2
	s_mov_b64 s[46:47], 0
                                        ; implicit-def: $sgpr63
	s_and_saveexec_b64 s[48:49], s[0:1]
	s_xor_b64 s[48:49], exec, s[48:49]
	s_cbranch_execnz .LBB267_199
; %bb.86:                               ;   in Loop: Header=BB267_14 Depth=1
	s_or_saveexec_b64 s[48:49], s[48:49]
	v_mov_b32_e32 v45, s63
	s_xor_b64 exec, exec, s[48:49]
	s_cbranch_execnz .LBB267_202
.LBB267_87:                             ;   in Loop: Header=BB267_14 Depth=1
	s_or_b64 exec, exec, s[48:49]
	s_and_saveexec_b64 s[48:49], s[46:47]
	s_cbranch_execz .LBB267_89
.LBB267_88:                             ;   in Loop: Header=BB267_14 Depth=1
	v_and_b32_e32 v45, 7, v2
	v_ffbh_u32_e32 v46, v45
	v_min_u32_e32 v49, 32, v46
	v_subrev_u32_e32 v46, 28, v49
	v_bfe_u32 v48, v2, 3, 4
	v_lshlrev_b64 v[46:47], v46, v[2:3]
	v_sub_u32_e32 v47, 29, v49
	v_cmp_eq_u32_e64 s[0:1], 0, v48
	v_and_b32_e32 v46, 7, v46
	v_lshlrev_b32_e32 v2, 8, v2
	v_cndmask_b32_e64 v47, v48, v47, s[0:1]
	v_cndmask_b32_e64 v45, v45, v46, s[0:1]
	v_lshl_add_u32 v46, v47, 10, v24
	v_and_or_b32 v2, v2, s62, v46
	v_lshl_or_b32 v2, v45, 7, v2
	v_cvt_f32_f16_e32 v45, v2
.LBB267_89:                             ;   in Loop: Header=BB267_14 Depth=1
	s_or_b64 exec, exec, s[48:49]
	global_load_ushort v2, v[12:13], off offset:1032
	s_mov_b64 s[0:1], 0
                                        ; implicit-def: $sgpr50
	s_waitcnt vmcnt(0)
	v_cmp_gt_i16_sdwa s[46:47], v2, s60 src0_sel:BYTE_0 src1_sel:DWORD
	s_and_saveexec_b64 s[48:49], s[46:47]
	s_xor_b64 s[46:47], exec, s[48:49]
	s_cbranch_execnz .LBB267_203
; %bb.90:                               ;   in Loop: Header=BB267_14 Depth=1
	s_or_saveexec_b64 s[46:47], s[46:47]
	v_mov_b32_e32 v46, s50
	s_xor_b64 exec, exec, s[46:47]
	s_cbranch_execnz .LBB267_206
.LBB267_91:                             ;   in Loop: Header=BB267_14 Depth=1
	s_or_b64 exec, exec, s[46:47]
	v_and_b32_e32 v2, 0xffff, v2
	s_and_saveexec_b64 s[46:47], s[0:1]
	s_cbranch_execz .LBB267_93
.LBB267_92:                             ;   in Loop: Header=BB267_14 Depth=1
	v_and_b32_e32 v48, 7, v2
	v_ffbh_u32_e32 v46, v48
	v_min_u32_e32 v50, 32, v46
	v_subrev_u32_e32 v46, 28, v50
	v_bfe_u32 v49, v2, 3, 4
	v_lshlrev_b64 v[46:47], v46, v[2:3]
	v_sub_u32_e32 v47, 29, v50
	v_cmp_eq_u32_e64 s[0:1], 0, v49
	v_and_b32_e32 v46, 7, v46
	s_nop 0
	v_cndmask_b32_e64 v47, v49, v47, s[0:1]
	v_cndmask_b32_e64 v46, v48, v46, s[0:1]
	v_lshlrev_b32_e32 v48, 8, v2
	v_lshl_add_u32 v47, v47, 10, v24
	v_and_or_b32 v47, v48, s62, v47
	v_lshl_or_b32 v46, v46, 7, v47
	v_cvt_f32_f16_e32 v46, v46
.LBB267_93:                             ;   in Loop: Header=BB267_14 Depth=1
	s_or_b64 exec, exec, s[46:47]
	v_lshrrev_b16_e32 v2, 8, v2
	v_cmp_lt_i16_e64 s[0:1], s60, v2
	s_mov_b64 s[46:47], 0
                                        ; implicit-def: $sgpr63
	s_and_saveexec_b64 s[48:49], s[0:1]
	s_xor_b64 s[48:49], exec, s[48:49]
	s_cbranch_execnz .LBB267_207
; %bb.94:                               ;   in Loop: Header=BB267_14 Depth=1
	s_or_saveexec_b64 s[48:49], s[48:49]
	v_mov_b32_e32 v47, s63
	s_xor_b64 exec, exec, s[48:49]
	s_cbranch_execnz .LBB267_210
.LBB267_95:                             ;   in Loop: Header=BB267_14 Depth=1
	s_or_b64 exec, exec, s[48:49]
	s_and_saveexec_b64 s[48:49], s[46:47]
	s_cbranch_execz .LBB267_97
.LBB267_96:                             ;   in Loop: Header=BB267_14 Depth=1
	v_and_b32_e32 v47, 7, v2
	v_ffbh_u32_e32 v48, v47
	v_min_u32_e32 v51, 32, v48
	v_subrev_u32_e32 v48, 28, v51
	v_bfe_u32 v50, v2, 3, 4
	v_lshlrev_b64 v[48:49], v48, v[2:3]
	v_sub_u32_e32 v49, 29, v51
	v_cmp_eq_u32_e64 s[0:1], 0, v50
	v_and_b32_e32 v48, 7, v48
	v_lshlrev_b32_e32 v2, 8, v2
	v_cndmask_b32_e64 v49, v50, v49, s[0:1]
	v_cndmask_b32_e64 v47, v47, v48, s[0:1]
	v_lshl_add_u32 v48, v49, 10, v24
	v_and_or_b32 v2, v2, s62, v48
	v_lshl_or_b32 v2, v47, 7, v2
	v_cvt_f32_f16_e32 v47, v2
.LBB267_97:                             ;   in Loop: Header=BB267_14 Depth=1
	s_or_b64 exec, exec, s[48:49]
	global_load_ushort v2, v[12:13], off offset:1280
	s_mov_b64 s[0:1], 0
                                        ; implicit-def: $sgpr50
	s_waitcnt vmcnt(0)
	v_cmp_gt_i16_sdwa s[46:47], v2, s60 src0_sel:BYTE_0 src1_sel:DWORD
	s_and_saveexec_b64 s[48:49], s[46:47]
	s_xor_b64 s[46:47], exec, s[48:49]
	s_cbranch_execnz .LBB267_211
; %bb.98:                               ;   in Loop: Header=BB267_14 Depth=1
	s_or_saveexec_b64 s[46:47], s[46:47]
	v_mov_b32_e32 v48, s50
	s_xor_b64 exec, exec, s[46:47]
	s_cbranch_execnz .LBB267_214
.LBB267_99:                             ;   in Loop: Header=BB267_14 Depth=1
	s_or_b64 exec, exec, s[46:47]
	v_and_b32_e32 v2, 0xffff, v2
	s_and_saveexec_b64 s[46:47], s[0:1]
	s_cbranch_execz .LBB267_101
.LBB267_100:                            ;   in Loop: Header=BB267_14 Depth=1
	v_and_b32_e32 v50, 7, v2
	v_ffbh_u32_e32 v48, v50
	v_min_u32_e32 v52, 32, v48
	v_subrev_u32_e32 v48, 28, v52
	v_bfe_u32 v51, v2, 3, 4
	v_lshlrev_b64 v[48:49], v48, v[2:3]
	v_sub_u32_e32 v49, 29, v52
	v_cmp_eq_u32_e64 s[0:1], 0, v51
	v_and_b32_e32 v48, 7, v48
	s_nop 0
	v_cndmask_b32_e64 v49, v51, v49, s[0:1]
	v_cndmask_b32_e64 v48, v50, v48, s[0:1]
	v_lshlrev_b32_e32 v50, 8, v2
	v_lshl_add_u32 v49, v49, 10, v24
	v_and_or_b32 v49, v50, s62, v49
	v_lshl_or_b32 v48, v48, 7, v49
	v_cvt_f32_f16_e32 v48, v48
.LBB267_101:                            ;   in Loop: Header=BB267_14 Depth=1
	s_or_b64 exec, exec, s[46:47]
	v_lshrrev_b16_e32 v2, 8, v2
	v_cmp_lt_i16_e64 s[0:1], s60, v2
	s_mov_b64 s[46:47], 0
                                        ; implicit-def: $sgpr63
	s_and_saveexec_b64 s[48:49], s[0:1]
	s_xor_b64 s[48:49], exec, s[48:49]
	s_cbranch_execnz .LBB267_215
; %bb.102:                              ;   in Loop: Header=BB267_14 Depth=1
	s_or_saveexec_b64 s[48:49], s[48:49]
	v_mov_b32_e32 v49, s63
	s_xor_b64 exec, exec, s[48:49]
	s_cbranch_execnz .LBB267_218
.LBB267_103:                            ;   in Loop: Header=BB267_14 Depth=1
	s_or_b64 exec, exec, s[48:49]
	s_and_saveexec_b64 s[48:49], s[46:47]
	s_cbranch_execz .LBB267_105
.LBB267_104:                            ;   in Loop: Header=BB267_14 Depth=1
	v_and_b32_e32 v49, 7, v2
	v_ffbh_u32_e32 v50, v49
	v_min_u32_e32 v53, 32, v50
	v_subrev_u32_e32 v50, 28, v53
	v_bfe_u32 v52, v2, 3, 4
	v_lshlrev_b64 v[50:51], v50, v[2:3]
	v_sub_u32_e32 v51, 29, v53
	v_cmp_eq_u32_e64 s[0:1], 0, v52
	v_and_b32_e32 v50, 7, v50
	v_lshlrev_b32_e32 v2, 8, v2
	v_cndmask_b32_e64 v51, v52, v51, s[0:1]
	v_cndmask_b32_e64 v49, v49, v50, s[0:1]
	v_lshl_add_u32 v50, v51, 10, v24
	v_and_or_b32 v2, v2, s62, v50
	v_lshl_or_b32 v2, v49, 7, v2
	v_cvt_f32_f16_e32 v49, v2
.LBB267_105:                            ;   in Loop: Header=BB267_14 Depth=1
	s_or_b64 exec, exec, s[48:49]
	global_load_ushort v2, v[12:13], off offset:1288
	s_mov_b64 s[0:1], 0
                                        ; implicit-def: $sgpr50
	s_waitcnt vmcnt(0)
	v_cmp_gt_i16_sdwa s[46:47], v2, s60 src0_sel:BYTE_0 src1_sel:DWORD
	s_and_saveexec_b64 s[48:49], s[46:47]
	s_xor_b64 s[46:47], exec, s[48:49]
	s_cbranch_execnz .LBB267_219
; %bb.106:                              ;   in Loop: Header=BB267_14 Depth=1
	s_or_saveexec_b64 s[46:47], s[46:47]
	v_mov_b32_e32 v50, s50
	s_xor_b64 exec, exec, s[46:47]
	s_cbranch_execnz .LBB267_222
.LBB267_107:                            ;   in Loop: Header=BB267_14 Depth=1
	s_or_b64 exec, exec, s[46:47]
	v_and_b32_e32 v2, 0xffff, v2
	s_and_saveexec_b64 s[46:47], s[0:1]
	s_cbranch_execz .LBB267_109
.LBB267_108:                            ;   in Loop: Header=BB267_14 Depth=1
	v_and_b32_e32 v52, 7, v2
	v_ffbh_u32_e32 v50, v52
	v_min_u32_e32 v54, 32, v50
	v_subrev_u32_e32 v50, 28, v54
	v_bfe_u32 v53, v2, 3, 4
	v_lshlrev_b64 v[50:51], v50, v[2:3]
	v_sub_u32_e32 v51, 29, v54
	v_cmp_eq_u32_e64 s[0:1], 0, v53
	v_and_b32_e32 v50, 7, v50
	s_nop 0
	v_cndmask_b32_e64 v51, v53, v51, s[0:1]
	v_cndmask_b32_e64 v50, v52, v50, s[0:1]
	v_lshlrev_b32_e32 v52, 8, v2
	v_lshl_add_u32 v51, v51, 10, v24
	v_and_or_b32 v51, v52, s62, v51
	v_lshl_or_b32 v50, v50, 7, v51
	v_cvt_f32_f16_e32 v50, v50
.LBB267_109:                            ;   in Loop: Header=BB267_14 Depth=1
	s_or_b64 exec, exec, s[46:47]
	v_lshrrev_b16_e32 v2, 8, v2
	v_cmp_lt_i16_e64 s[0:1], s60, v2
	s_mov_b64 s[46:47], 0
                                        ; implicit-def: $sgpr63
	s_and_saveexec_b64 s[48:49], s[0:1]
	s_xor_b64 s[48:49], exec, s[48:49]
	s_cbranch_execnz .LBB267_223
; %bb.110:                              ;   in Loop: Header=BB267_14 Depth=1
	s_or_saveexec_b64 s[48:49], s[48:49]
	v_mov_b32_e32 v51, s63
	s_xor_b64 exec, exec, s[48:49]
	s_cbranch_execnz .LBB267_226
.LBB267_111:                            ;   in Loop: Header=BB267_14 Depth=1
	s_or_b64 exec, exec, s[48:49]
	s_and_saveexec_b64 s[48:49], s[46:47]
	s_cbranch_execz .LBB267_113
.LBB267_112:                            ;   in Loop: Header=BB267_14 Depth=1
	v_and_b32_e32 v51, 7, v2
	v_ffbh_u32_e32 v52, v51
	v_min_u32_e32 v55, 32, v52
	v_subrev_u32_e32 v52, 28, v55
	v_bfe_u32 v54, v2, 3, 4
	v_lshlrev_b64 v[52:53], v52, v[2:3]
	v_sub_u32_e32 v53, 29, v55
	v_cmp_eq_u32_e64 s[0:1], 0, v54
	v_and_b32_e32 v52, 7, v52
	v_lshlrev_b32_e32 v2, 8, v2
	v_cndmask_b32_e64 v53, v54, v53, s[0:1]
	v_cndmask_b32_e64 v51, v51, v52, s[0:1]
	v_lshl_add_u32 v52, v53, 10, v24
	v_and_or_b32 v2, v2, s62, v52
	v_lshl_or_b32 v2, v51, 7, v2
	v_cvt_f32_f16_e32 v51, v2
.LBB267_113:                            ;   in Loop: Header=BB267_14 Depth=1
	s_or_b64 exec, exec, s[48:49]
	global_load_ushort v2, v[12:13], off offset:1536
	s_mov_b64 s[0:1], 0
                                        ; implicit-def: $sgpr50
	s_waitcnt vmcnt(0)
	v_cmp_gt_i16_sdwa s[46:47], v2, s60 src0_sel:BYTE_0 src1_sel:DWORD
	s_and_saveexec_b64 s[48:49], s[46:47]
	s_xor_b64 s[46:47], exec, s[48:49]
	s_cbranch_execnz .LBB267_227
; %bb.114:                              ;   in Loop: Header=BB267_14 Depth=1
	s_or_saveexec_b64 s[46:47], s[46:47]
	v_mov_b32_e32 v52, s50
	s_xor_b64 exec, exec, s[46:47]
	s_cbranch_execnz .LBB267_230
.LBB267_115:                            ;   in Loop: Header=BB267_14 Depth=1
	s_or_b64 exec, exec, s[46:47]
	v_and_b32_e32 v2, 0xffff, v2
	s_and_saveexec_b64 s[46:47], s[0:1]
	s_cbranch_execz .LBB267_117
.LBB267_116:                            ;   in Loop: Header=BB267_14 Depth=1
	v_and_b32_e32 v54, 7, v2
	v_ffbh_u32_e32 v52, v54
	v_min_u32_e32 v56, 32, v52
	v_subrev_u32_e32 v52, 28, v56
	v_bfe_u32 v55, v2, 3, 4
	v_lshlrev_b64 v[52:53], v52, v[2:3]
	v_sub_u32_e32 v53, 29, v56
	v_cmp_eq_u32_e64 s[0:1], 0, v55
	v_and_b32_e32 v52, 7, v52
	s_nop 0
	v_cndmask_b32_e64 v53, v55, v53, s[0:1]
	v_cndmask_b32_e64 v52, v54, v52, s[0:1]
	v_lshlrev_b32_e32 v54, 8, v2
	v_lshl_add_u32 v53, v53, 10, v24
	v_and_or_b32 v53, v54, s62, v53
	v_lshl_or_b32 v52, v52, 7, v53
	v_cvt_f32_f16_e32 v52, v52
.LBB267_117:                            ;   in Loop: Header=BB267_14 Depth=1
	s_or_b64 exec, exec, s[46:47]
	v_lshrrev_b16_e32 v2, 8, v2
	v_cmp_lt_i16_e64 s[0:1], s60, v2
	s_mov_b64 s[46:47], 0
                                        ; implicit-def: $sgpr63
	s_and_saveexec_b64 s[48:49], s[0:1]
	s_xor_b64 s[48:49], exec, s[48:49]
	s_cbranch_execnz .LBB267_231
; %bb.118:                              ;   in Loop: Header=BB267_14 Depth=1
	s_or_saveexec_b64 s[48:49], s[48:49]
	v_mov_b32_e32 v53, s63
	s_xor_b64 exec, exec, s[48:49]
	s_cbranch_execnz .LBB267_234
.LBB267_119:                            ;   in Loop: Header=BB267_14 Depth=1
	s_or_b64 exec, exec, s[48:49]
	s_and_saveexec_b64 s[48:49], s[46:47]
	s_cbranch_execz .LBB267_121
.LBB267_120:                            ;   in Loop: Header=BB267_14 Depth=1
	v_and_b32_e32 v53, 7, v2
	v_ffbh_u32_e32 v54, v53
	v_min_u32_e32 v57, 32, v54
	v_subrev_u32_e32 v54, 28, v57
	v_bfe_u32 v56, v2, 3, 4
	v_lshlrev_b64 v[54:55], v54, v[2:3]
	v_sub_u32_e32 v55, 29, v57
	v_cmp_eq_u32_e64 s[0:1], 0, v56
	v_and_b32_e32 v54, 7, v54
	v_lshlrev_b32_e32 v2, 8, v2
	v_cndmask_b32_e64 v55, v56, v55, s[0:1]
	v_cndmask_b32_e64 v53, v53, v54, s[0:1]
	v_lshl_add_u32 v54, v55, 10, v24
	v_and_or_b32 v2, v2, s62, v54
	v_lshl_or_b32 v2, v53, 7, v2
	v_cvt_f32_f16_e32 v53, v2
.LBB267_121:                            ;   in Loop: Header=BB267_14 Depth=1
	s_or_b64 exec, exec, s[48:49]
	global_load_ushort v2, v[12:13], off offset:1544
	s_mov_b64 s[0:1], 0
                                        ; implicit-def: $sgpr50
	s_waitcnt vmcnt(0)
	v_cmp_gt_i16_sdwa s[46:47], v2, s60 src0_sel:BYTE_0 src1_sel:DWORD
	s_and_saveexec_b64 s[48:49], s[46:47]
	s_xor_b64 s[46:47], exec, s[48:49]
	s_cbranch_execnz .LBB267_235
; %bb.122:                              ;   in Loop: Header=BB267_14 Depth=1
	s_or_saveexec_b64 s[46:47], s[46:47]
	v_mov_b32_e32 v12, s50
	s_xor_b64 exec, exec, s[46:47]
	s_cbranch_execnz .LBB267_238
.LBB267_123:                            ;   in Loop: Header=BB267_14 Depth=1
	s_or_b64 exec, exec, s[46:47]
	v_and_b32_e32 v2, 0xffff, v2
	s_and_saveexec_b64 s[46:47], s[0:1]
	s_cbranch_execz .LBB267_125
.LBB267_124:                            ;   in Loop: Header=BB267_14 Depth=1
	v_and_b32_e32 v54, 7, v2
	v_ffbh_u32_e32 v12, v54
	v_min_u32_e32 v56, 32, v12
	v_subrev_u32_e32 v12, 28, v56
	v_bfe_u32 v55, v2, 3, 4
	v_lshlrev_b64 v[12:13], v12, v[2:3]
	v_sub_u32_e32 v13, 29, v56
	v_cmp_eq_u32_e64 s[0:1], 0, v55
	v_and_b32_e32 v12, 7, v12
	s_nop 0
	v_cndmask_b32_e64 v13, v55, v13, s[0:1]
	v_cndmask_b32_e64 v12, v54, v12, s[0:1]
	v_lshlrev_b32_e32 v54, 8, v2
	v_lshl_add_u32 v13, v13, 10, v24
	v_and_or_b32 v13, v54, s62, v13
	v_lshl_or_b32 v12, v12, 7, v13
	v_cvt_f32_f16_e32 v12, v12
.LBB267_125:                            ;   in Loop: Header=BB267_14 Depth=1
	s_or_b64 exec, exec, s[46:47]
	v_lshrrev_b16_e32 v2, 8, v2
	v_cmp_lt_i16_e64 s[0:1], s60, v2
	s_mov_b64 s[46:47], 0
                                        ; implicit-def: $sgpr63
	s_and_saveexec_b64 s[48:49], s[0:1]
	s_xor_b64 s[48:49], exec, s[48:49]
	s_cbranch_execnz .LBB267_239
; %bb.126:                              ;   in Loop: Header=BB267_14 Depth=1
	s_or_saveexec_b64 s[48:49], s[48:49]
	v_mov_b32_e32 v13, s63
	s_xor_b64 exec, exec, s[48:49]
	s_cbranch_execnz .LBB267_242
.LBB267_127:                            ;   in Loop: Header=BB267_14 Depth=1
	s_or_b64 exec, exec, s[48:49]
	s_and_saveexec_b64 s[48:49], s[46:47]
	s_cbranch_execz .LBB267_129
.LBB267_128:                            ;   in Loop: Header=BB267_14 Depth=1
	v_and_b32_e32 v13, 7, v2
	v_ffbh_u32_e32 v54, v13
	v_min_u32_e32 v57, 32, v54
	v_subrev_u32_e32 v54, 28, v57
	v_bfe_u32 v56, v2, 3, 4
	v_lshlrev_b64 v[54:55], v54, v[2:3]
	v_sub_u32_e32 v55, 29, v57
	v_cmp_eq_u32_e64 s[0:1], 0, v56
	v_and_b32_e32 v54, 7, v54
	v_lshlrev_b32_e32 v2, 8, v2
	v_cndmask_b32_e64 v55, v56, v55, s[0:1]
	v_cndmask_b32_e64 v13, v13, v54, s[0:1]
	v_lshl_add_u32 v54, v55, 10, v24
	v_and_or_b32 v2, v2, s62, v54
	v_lshl_or_b32 v2, v13, 7, v2
	v_cvt_f32_f16_e32 v13, v2
.LBB267_129:                            ;   in Loop: Header=BB267_14 Depth=1
	s_or_b64 exec, exec, s[48:49]
	ds_read_b32 v2, v17
	v_fma_mixlo_f16 v28, v27, v28, 0
	v_fma_mixlo_f16 v29, v27, v29, 0
	v_and_b32_e32 v28, 0xffff, v28
	v_and_b32_e32 v29, 0xffff, v29
	s_waitcnt lgkmcnt(0)
	v_lshrrev_b32_e32 v54, 16, v2
	v_and_b32_e32 v2, 0xffff, v2
	;;#ASMSTART
	v_cvt_f32_f16 v2, v2;
	;;#ASMEND
	;;#ASMSTART
	v_cvt_f32_f16 v54, v54;
	;;#ASMEND
	;;#ASMSTART
	v_cvt_f32_f16 v28, v28;
	;;#ASMEND
	;;#ASMSTART
	v_cvt_f32_f16 v29, v29;
	;;#ASMEND
	ds_read_b32 v55, v17 offset:4
	v_fma_mixlo_f16 v30, v27, v30, 0
	v_fma_mixlo_f16 v31, v27, v31, 0
	v_and_b32_e32 v30, 0xffff, v30
	v_and_b32_e32 v31, 0xffff, v31
	s_waitcnt lgkmcnt(0)
	v_lshrrev_b32_e32 v56, 16, v55
	v_and_b32_e32 v55, 0xffff, v55
	;;#ASMSTART
	v_cvt_f32_f16 v55, v55;
	;;#ASMEND
	;;#ASMSTART
	v_cvt_f32_f16 v56, v56;
	;;#ASMEND
	;;#ASMSTART
	v_cvt_f32_f16 v30, v30;
	;;#ASMEND
	;;#ASMSTART
	v_cvt_f32_f16 v31, v31;
	;;#ASMEND
	ds_read_b32 v57, v17 offset:8
	;; [unrolled: 20-line block ×7, first 2 shown]
	v_fma_mixlo_f16 v52, v27, v52, 0
	v_fma_mixlo_f16 v53, v27, v53, 0
	;; [unrolled: 1-line block ×14, first 2 shown]
	v_mul_f32_e32 v27, v55, v30
	v_fmac_f32_e32 v27, v2, v28
	s_waitcnt lgkmcnt(0)
	v_lshrrev_b32_e32 v2, 16, v67
	v_and_b32_e32 v28, 0xffff, v67
	v_and_b32_e32 v30, 0xffff, v42
	;; [unrolled: 1-line block ×3, first 2 shown]
	;;#ASMSTART
	v_cvt_f32_f16 v28, v28;
	;;#ASMEND
	;;#ASMSTART
	v_cvt_f32_f16 v2, v2;
	;;#ASMEND
	;; [unrolled: 3-line block ×4, first 2 shown]
	ds_read_b32 v43, v17 offset:32
	v_mul_f32_e32 v31, v56, v31
	v_fmac_f32_e32 v31, v54, v29
	v_fmac_f32_e32 v27, v57, v32
	v_fmac_f32_e32 v31, v58, v33
	s_waitcnt lgkmcnt(0)
	v_lshrrev_b32_e32 v29, 16, v43
	v_and_b32_e32 v32, 0xffff, v43
	v_and_b32_e32 v33, 0xffff, v44
	v_and_b32_e32 v43, 0xffff, v45
	;;#ASMSTART
	v_cvt_f32_f16 v32, v32;
	;;#ASMEND
	;;#ASMSTART
	v_cvt_f32_f16 v29, v29;
	;;#ASMEND
	;;#ASMSTART
	v_cvt_f32_f16 v33, v33;
	;;#ASMEND
	;;#ASMSTART
	v_cvt_f32_f16 v43, v43;
	;;#ASMEND
	ds_read_b32 v44, v17 offset:36
	v_fmac_f32_e32 v27, v59, v34
	v_fmac_f32_e32 v31, v60, v35
	v_fmac_f32_e32 v27, v61, v36
	v_fmac_f32_e32 v31, v62, v37
	s_waitcnt lgkmcnt(0)
	v_lshrrev_b32_e32 v34, 16, v44
	v_and_b32_e32 v35, 0xffff, v44
	v_and_b32_e32 v36, 0xffff, v46
	v_and_b32_e32 v37, 0xffff, v47
	;;#ASMSTART
	v_cvt_f32_f16 v35, v35;
	;;#ASMEND
	;;#ASMSTART
	v_cvt_f32_f16 v34, v34;
	;;#ASMEND
	;;#ASMSTART
	v_cvt_f32_f16 v36, v36;
	;;#ASMEND
	;;#ASMSTART
	v_cvt_f32_f16 v37, v37;
	;;#ASMEND
	ds_read_b32 v44, v17 offset:40
	v_fmac_f32_e32 v27, v63, v38
	;; [unrolled: 22-line block ×3, first 2 shown]
	v_fmac_f32_e32 v27, v28, v30
	v_fmac_f32_e32 v31, v29, v43
	v_and_b32_e32 v29, 0xffff, v50
	s_waitcnt lgkmcnt(0)
	v_lshrrev_b32_e32 v2, 16, v44
	v_and_b32_e32 v28, 0xffff, v44
	v_and_b32_e32 v30, 0xffff, v51
	v_fmac_f32_e32 v27, v32, v33
	;;#ASMSTART
	v_cvt_f32_f16 v28, v28;
	;;#ASMEND
	;;#ASMSTART
	v_cvt_f32_f16 v2, v2;
	;;#ASMEND
	;; [unrolled: 3-line block ×4, first 2 shown]
	ds_read_b32 v32, v17 offset:48
	v_fmac_f32_e32 v27, v35, v36
	v_fmac_f32_e32 v31, v34, v37
	v_and_b32_e32 v34, 0xffff, v52
	v_and_b32_e32 v35, 0xffff, v53
	s_waitcnt lgkmcnt(0)
	v_lshrrev_b32_e32 v33, 16, v32
	v_and_b32_e32 v32, 0xffff, v32
	;;#ASMSTART
	v_cvt_f32_f16 v32, v32;
	;;#ASMEND
	;;#ASMSTART
	v_cvt_f32_f16 v33, v33;
	;;#ASMEND
	;; [unrolled: 3-line block ×4, first 2 shown]
	ds_read_b32 v36, v17 offset:52
	v_fmac_f32_e32 v27, v39, v40
	v_fmac_f32_e32 v31, v38, v41
	;; [unrolled: 1-line block ×4, first 2 shown]
	s_waitcnt lgkmcnt(0)
	v_lshrrev_b32_e32 v2, 16, v36
	v_and_b32_e32 v28, 0xffff, v36
	v_and_b32_e32 v12, 0xffff, v12
	v_fmac_f32_e32 v27, v32, v34
	;;#ASMSTART
	v_cvt_f32_f16 v28, v28;
	;;#ASMEND
	;;#ASMSTART
	v_cvt_f32_f16 v2, v2;
	;;#ASMEND
	;; [unrolled: 3-line block ×3, first 2 shown]
	v_and_b32_e32 v13, 0xffff, v13
	v_fmac_f32_e32 v31, v33, v35
	;;#ASMSTART
	v_cvt_f32_f16 v13, v13;
	;;#ASMEND
	v_fmac_f32_e32 v27, v28, v12
	v_and_b32_e32 v12, 64, v25
	v_fmac_f32_e32 v31, v2, v13
	v_add_u32_e32 v12, 64, v12
	v_xor_b32_e32 v13, 2, v25
	v_cmp_lt_i32_e64 s[0:1], v13, v12
	v_add_f32_e32 v2, v27, v31
	s_nop 0
	v_cndmask_b32_e64 v13, v25, v13, s[0:1]
	v_lshlrev_b32_e32 v13, 2, v13
	ds_bpermute_b32 v13, v13, v2
	s_waitcnt lgkmcnt(0)
	v_add_f32_e32 v2, v2, v13
	v_xor_b32_e32 v13, 1, v25
	v_cmp_lt_i32_e64 s[0:1], v13, v12
	s_nop 1
	v_cndmask_b32_e64 v12, v25, v13, s[0:1]
	v_lshlrev_b32_e32 v12, 2, v12
	ds_bpermute_b32 v12, v12, v2
	s_and_saveexec_b64 s[46:47], vcc
	s_cbranch_execz .LBB267_12
; %bb.130:                              ;   in Loop: Header=BB267_14 Depth=1
	v_add_u32_e32 v13, v22, v20
	v_cvt_f32_i32_e32 v13, v13
	s_waitcnt lgkmcnt(0)
	v_add_f32_e32 v2, v2, v12
	v_add_u32_e32 v27, v15, v20
	v_cmp_gt_i32_e64 s[0:1], s33, v27
	v_mul_f32_e32 v12, s56, v13
	v_cndmask_b32_e64 v12, 0, v12, s[6:7]
	v_fmac_f32_e32 v12, s43, v2
	v_cndmask_b32_e64 v2, 0, v12, s[0:1]
	ds_write_b32 v21, v2
	v_max_f32_e32 v2, v18, v18
	v_max_f32_e32 v2, v2, v12
	v_cndmask_b32_e64 v18, v18, v2, s[0:1]
	s_branch .LBB267_12
.LBB267_131:                            ;   in Loop: Header=BB267_14 Depth=1
	v_cmp_eq_u16_sdwa s[64:65], v2, s61 src0_sel:BYTE_0 src1_sel:DWORD
	s_mov_b64 s[0:1], -1
                                        ; implicit-def: $sgpr50
	s_and_saveexec_b64 s[48:49], s[64:65]
; %bb.132:                              ;   in Loop: Header=BB267_14 Depth=1
	s_mov_b32 s50, 0x7fc02000
	s_xor_b64 s[0:1], exec, -1
; %bb.133:                              ;   in Loop: Header=BB267_14 Depth=1
	s_or_b64 exec, exec, s[48:49]
	s_and_b64 s[0:1], s[0:1], exec
	s_or_saveexec_b64 s[46:47], s[46:47]
	v_mov_b32_e32 v28, s50
	s_xor_b64 exec, exec, s[46:47]
	s_cbranch_execz .LBB267_19
.LBB267_134:                            ;   in Loop: Header=BB267_14 Depth=1
	v_cmp_ne_u16_sdwa s[48:49], v2, v3 src0_sel:BYTE_0 src1_sel:DWORD
	s_andn2_b64 s[0:1], s[0:1], exec
	s_and_b64 s[48:49], s[48:49], exec
	v_mov_b32_e32 v28, 0
	s_or_b64 s[0:1], s[0:1], s[48:49]
	s_or_b64 exec, exec, s[46:47]
	v_and_b32_e32 v2, 0xffff, v2
	s_and_saveexec_b64 s[46:47], s[0:1]
	s_cbranch_execnz .LBB267_20
	s_branch .LBB267_21
.LBB267_135:                            ;   in Loop: Header=BB267_14 Depth=1
	v_cmp_eq_u16_e64 s[0:1], s61, v2
	s_mov_b64 s[46:47], -1
                                        ; implicit-def: $sgpr63
	s_and_saveexec_b64 s[50:51], s[0:1]
; %bb.136:                              ;   in Loop: Header=BB267_14 Depth=1
	s_mov_b32 s63, 0x7fc02000
	s_xor_b64 s[46:47], exec, -1
; %bb.137:                              ;   in Loop: Header=BB267_14 Depth=1
	s_or_b64 exec, exec, s[50:51]
	s_and_b64 s[46:47], s[46:47], exec
	s_or_saveexec_b64 s[48:49], s[48:49]
	v_mov_b32_e32 v29, s63
	s_xor_b64 exec, exec, s[48:49]
	s_cbranch_execz .LBB267_23
.LBB267_138:                            ;   in Loop: Header=BB267_14 Depth=1
	v_cmp_ne_u16_e64 s[0:1], 0, v2
	s_andn2_b64 s[46:47], s[46:47], exec
	s_and_b64 s[0:1], s[0:1], exec
	v_mov_b32_e32 v29, 0
	s_or_b64 s[46:47], s[46:47], s[0:1]
	s_or_b64 exec, exec, s[48:49]
	s_and_saveexec_b64 s[48:49], s[46:47]
	s_cbranch_execnz .LBB267_24
	s_branch .LBB267_25
.LBB267_139:                            ;   in Loop: Header=BB267_14 Depth=1
	v_cmp_eq_u16_sdwa s[64:65], v2, s61 src0_sel:BYTE_0 src1_sel:DWORD
	s_mov_b64 s[0:1], -1
                                        ; implicit-def: $sgpr50
	s_and_saveexec_b64 s[48:49], s[64:65]
; %bb.140:                              ;   in Loop: Header=BB267_14 Depth=1
	s_mov_b32 s50, 0x7fc02000
	s_xor_b64 s[0:1], exec, -1
; %bb.141:                              ;   in Loop: Header=BB267_14 Depth=1
	s_or_b64 exec, exec, s[48:49]
	s_and_b64 s[0:1], s[0:1], exec
	s_or_saveexec_b64 s[46:47], s[46:47]
	v_mov_b32_e32 v30, s50
	s_xor_b64 exec, exec, s[46:47]
	s_cbranch_execz .LBB267_27
.LBB267_142:                            ;   in Loop: Header=BB267_14 Depth=1
	v_cmp_ne_u16_sdwa s[48:49], v2, v3 src0_sel:BYTE_0 src1_sel:DWORD
	s_andn2_b64 s[0:1], s[0:1], exec
	s_and_b64 s[48:49], s[48:49], exec
	v_mov_b32_e32 v30, 0
	s_or_b64 s[0:1], s[0:1], s[48:49]
	s_or_b64 exec, exec, s[46:47]
	v_and_b32_e32 v2, 0xffff, v2
	s_and_saveexec_b64 s[46:47], s[0:1]
	s_cbranch_execnz .LBB267_28
	s_branch .LBB267_29
.LBB267_143:                            ;   in Loop: Header=BB267_14 Depth=1
	v_cmp_eq_u16_e64 s[0:1], s61, v2
	s_mov_b64 s[46:47], -1
                                        ; implicit-def: $sgpr63
	s_and_saveexec_b64 s[50:51], s[0:1]
; %bb.144:                              ;   in Loop: Header=BB267_14 Depth=1
	s_mov_b32 s63, 0x7fc02000
	s_xor_b64 s[46:47], exec, -1
; %bb.145:                              ;   in Loop: Header=BB267_14 Depth=1
	s_or_b64 exec, exec, s[50:51]
	s_and_b64 s[46:47], s[46:47], exec
	s_or_saveexec_b64 s[48:49], s[48:49]
	v_mov_b32_e32 v31, s63
	s_xor_b64 exec, exec, s[48:49]
	s_cbranch_execz .LBB267_31
.LBB267_146:                            ;   in Loop: Header=BB267_14 Depth=1
	v_cmp_ne_u16_e64 s[0:1], 0, v2
	s_andn2_b64 s[46:47], s[46:47], exec
	s_and_b64 s[0:1], s[0:1], exec
	v_mov_b32_e32 v31, 0
	s_or_b64 s[46:47], s[46:47], s[0:1]
	s_or_b64 exec, exec, s[48:49]
	s_and_saveexec_b64 s[48:49], s[46:47]
	s_cbranch_execnz .LBB267_32
	s_branch .LBB267_33
.LBB267_147:                            ;   in Loop: Header=BB267_14 Depth=1
	v_cmp_eq_u16_sdwa s[64:65], v2, s61 src0_sel:BYTE_0 src1_sel:DWORD
	s_mov_b64 s[0:1], -1
                                        ; implicit-def: $sgpr50
	s_and_saveexec_b64 s[48:49], s[64:65]
; %bb.148:                              ;   in Loop: Header=BB267_14 Depth=1
	s_mov_b32 s50, 0x7fc02000
	s_xor_b64 s[0:1], exec, -1
; %bb.149:                              ;   in Loop: Header=BB267_14 Depth=1
	s_or_b64 exec, exec, s[48:49]
	s_and_b64 s[0:1], s[0:1], exec
	s_or_saveexec_b64 s[46:47], s[46:47]
	v_mov_b32_e32 v32, s50
	s_xor_b64 exec, exec, s[46:47]
	s_cbranch_execz .LBB267_35
.LBB267_150:                            ;   in Loop: Header=BB267_14 Depth=1
	v_cmp_ne_u16_sdwa s[48:49], v2, v3 src0_sel:BYTE_0 src1_sel:DWORD
	s_andn2_b64 s[0:1], s[0:1], exec
	s_and_b64 s[48:49], s[48:49], exec
	v_mov_b32_e32 v32, 0
	s_or_b64 s[0:1], s[0:1], s[48:49]
	s_or_b64 exec, exec, s[46:47]
	v_and_b32_e32 v2, 0xffff, v2
	s_and_saveexec_b64 s[46:47], s[0:1]
	s_cbranch_execnz .LBB267_36
	s_branch .LBB267_37
.LBB267_151:                            ;   in Loop: Header=BB267_14 Depth=1
	v_cmp_eq_u16_e64 s[0:1], s61, v2
	s_mov_b64 s[46:47], -1
                                        ; implicit-def: $sgpr63
	s_and_saveexec_b64 s[50:51], s[0:1]
; %bb.152:                              ;   in Loop: Header=BB267_14 Depth=1
	s_mov_b32 s63, 0x7fc02000
	s_xor_b64 s[46:47], exec, -1
; %bb.153:                              ;   in Loop: Header=BB267_14 Depth=1
	s_or_b64 exec, exec, s[50:51]
	s_and_b64 s[46:47], s[46:47], exec
	s_or_saveexec_b64 s[48:49], s[48:49]
	v_mov_b32_e32 v33, s63
	s_xor_b64 exec, exec, s[48:49]
	s_cbranch_execz .LBB267_39
.LBB267_154:                            ;   in Loop: Header=BB267_14 Depth=1
	v_cmp_ne_u16_e64 s[0:1], 0, v2
	s_andn2_b64 s[46:47], s[46:47], exec
	s_and_b64 s[0:1], s[0:1], exec
	v_mov_b32_e32 v33, 0
	s_or_b64 s[46:47], s[46:47], s[0:1]
	s_or_b64 exec, exec, s[48:49]
	s_and_saveexec_b64 s[48:49], s[46:47]
	s_cbranch_execnz .LBB267_40
	s_branch .LBB267_41
.LBB267_155:                            ;   in Loop: Header=BB267_14 Depth=1
	v_cmp_eq_u16_sdwa s[64:65], v2, s61 src0_sel:BYTE_0 src1_sel:DWORD
	s_mov_b64 s[0:1], -1
                                        ; implicit-def: $sgpr50
	s_and_saveexec_b64 s[48:49], s[64:65]
; %bb.156:                              ;   in Loop: Header=BB267_14 Depth=1
	s_mov_b32 s50, 0x7fc02000
	s_xor_b64 s[0:1], exec, -1
; %bb.157:                              ;   in Loop: Header=BB267_14 Depth=1
	s_or_b64 exec, exec, s[48:49]
	s_and_b64 s[0:1], s[0:1], exec
	s_or_saveexec_b64 s[46:47], s[46:47]
	v_mov_b32_e32 v34, s50
	s_xor_b64 exec, exec, s[46:47]
	s_cbranch_execz .LBB267_43
.LBB267_158:                            ;   in Loop: Header=BB267_14 Depth=1
	v_cmp_ne_u16_sdwa s[48:49], v2, v3 src0_sel:BYTE_0 src1_sel:DWORD
	s_andn2_b64 s[0:1], s[0:1], exec
	s_and_b64 s[48:49], s[48:49], exec
	v_mov_b32_e32 v34, 0
	s_or_b64 s[0:1], s[0:1], s[48:49]
	s_or_b64 exec, exec, s[46:47]
	v_and_b32_e32 v2, 0xffff, v2
	s_and_saveexec_b64 s[46:47], s[0:1]
	s_cbranch_execnz .LBB267_44
	s_branch .LBB267_45
.LBB267_159:                            ;   in Loop: Header=BB267_14 Depth=1
	v_cmp_eq_u16_e64 s[0:1], s61, v2
	s_mov_b64 s[46:47], -1
                                        ; implicit-def: $sgpr63
	s_and_saveexec_b64 s[50:51], s[0:1]
; %bb.160:                              ;   in Loop: Header=BB267_14 Depth=1
	s_mov_b32 s63, 0x7fc02000
	s_xor_b64 s[46:47], exec, -1
; %bb.161:                              ;   in Loop: Header=BB267_14 Depth=1
	s_or_b64 exec, exec, s[50:51]
	s_and_b64 s[46:47], s[46:47], exec
	s_or_saveexec_b64 s[48:49], s[48:49]
	v_mov_b32_e32 v35, s63
	s_xor_b64 exec, exec, s[48:49]
	s_cbranch_execz .LBB267_47
.LBB267_162:                            ;   in Loop: Header=BB267_14 Depth=1
	v_cmp_ne_u16_e64 s[0:1], 0, v2
	s_andn2_b64 s[46:47], s[46:47], exec
	s_and_b64 s[0:1], s[0:1], exec
	v_mov_b32_e32 v35, 0
	s_or_b64 s[46:47], s[46:47], s[0:1]
	s_or_b64 exec, exec, s[48:49]
	s_and_saveexec_b64 s[48:49], s[46:47]
	s_cbranch_execnz .LBB267_48
	s_branch .LBB267_49
.LBB267_163:                            ;   in Loop: Header=BB267_14 Depth=1
	v_cmp_eq_u16_sdwa s[64:65], v2, s61 src0_sel:BYTE_0 src1_sel:DWORD
	s_mov_b64 s[0:1], -1
                                        ; implicit-def: $sgpr50
	s_and_saveexec_b64 s[48:49], s[64:65]
; %bb.164:                              ;   in Loop: Header=BB267_14 Depth=1
	s_mov_b32 s50, 0x7fc02000
	s_xor_b64 s[0:1], exec, -1
; %bb.165:                              ;   in Loop: Header=BB267_14 Depth=1
	s_or_b64 exec, exec, s[48:49]
	s_and_b64 s[0:1], s[0:1], exec
	s_or_saveexec_b64 s[46:47], s[46:47]
	v_mov_b32_e32 v36, s50
	s_xor_b64 exec, exec, s[46:47]
	s_cbranch_execz .LBB267_51
.LBB267_166:                            ;   in Loop: Header=BB267_14 Depth=1
	v_cmp_ne_u16_sdwa s[48:49], v2, v3 src0_sel:BYTE_0 src1_sel:DWORD
	s_andn2_b64 s[0:1], s[0:1], exec
	s_and_b64 s[48:49], s[48:49], exec
	v_mov_b32_e32 v36, 0
	s_or_b64 s[0:1], s[0:1], s[48:49]
	s_or_b64 exec, exec, s[46:47]
	v_and_b32_e32 v2, 0xffff, v2
	s_and_saveexec_b64 s[46:47], s[0:1]
	s_cbranch_execnz .LBB267_52
	s_branch .LBB267_53
.LBB267_167:                            ;   in Loop: Header=BB267_14 Depth=1
	v_cmp_eq_u16_e64 s[0:1], s61, v2
	s_mov_b64 s[46:47], -1
                                        ; implicit-def: $sgpr63
	s_and_saveexec_b64 s[50:51], s[0:1]
; %bb.168:                              ;   in Loop: Header=BB267_14 Depth=1
	s_mov_b32 s63, 0x7fc02000
	s_xor_b64 s[46:47], exec, -1
; %bb.169:                              ;   in Loop: Header=BB267_14 Depth=1
	s_or_b64 exec, exec, s[50:51]
	s_and_b64 s[46:47], s[46:47], exec
	s_or_saveexec_b64 s[48:49], s[48:49]
	v_mov_b32_e32 v37, s63
	s_xor_b64 exec, exec, s[48:49]
	s_cbranch_execz .LBB267_55
.LBB267_170:                            ;   in Loop: Header=BB267_14 Depth=1
	v_cmp_ne_u16_e64 s[0:1], 0, v2
	s_andn2_b64 s[46:47], s[46:47], exec
	s_and_b64 s[0:1], s[0:1], exec
	v_mov_b32_e32 v37, 0
	s_or_b64 s[46:47], s[46:47], s[0:1]
	s_or_b64 exec, exec, s[48:49]
	s_and_saveexec_b64 s[48:49], s[46:47]
	s_cbranch_execnz .LBB267_56
	s_branch .LBB267_57
.LBB267_171:                            ;   in Loop: Header=BB267_14 Depth=1
	v_cmp_eq_u16_sdwa s[64:65], v2, s61 src0_sel:BYTE_0 src1_sel:DWORD
	s_mov_b64 s[0:1], -1
                                        ; implicit-def: $sgpr50
	s_and_saveexec_b64 s[48:49], s[64:65]
; %bb.172:                              ;   in Loop: Header=BB267_14 Depth=1
	s_mov_b32 s50, 0x7fc02000
	s_xor_b64 s[0:1], exec, -1
; %bb.173:                              ;   in Loop: Header=BB267_14 Depth=1
	s_or_b64 exec, exec, s[48:49]
	s_and_b64 s[0:1], s[0:1], exec
	s_or_saveexec_b64 s[46:47], s[46:47]
	v_mov_b32_e32 v38, s50
	s_xor_b64 exec, exec, s[46:47]
	s_cbranch_execz .LBB267_59
.LBB267_174:                            ;   in Loop: Header=BB267_14 Depth=1
	v_cmp_ne_u16_sdwa s[48:49], v2, v3 src0_sel:BYTE_0 src1_sel:DWORD
	s_andn2_b64 s[0:1], s[0:1], exec
	s_and_b64 s[48:49], s[48:49], exec
	v_mov_b32_e32 v38, 0
	s_or_b64 s[0:1], s[0:1], s[48:49]
	s_or_b64 exec, exec, s[46:47]
	v_and_b32_e32 v2, 0xffff, v2
	s_and_saveexec_b64 s[46:47], s[0:1]
	s_cbranch_execnz .LBB267_60
	s_branch .LBB267_61
.LBB267_175:                            ;   in Loop: Header=BB267_14 Depth=1
	v_cmp_eq_u16_e64 s[0:1], s61, v2
	s_mov_b64 s[46:47], -1
                                        ; implicit-def: $sgpr63
	s_and_saveexec_b64 s[50:51], s[0:1]
; %bb.176:                              ;   in Loop: Header=BB267_14 Depth=1
	s_mov_b32 s63, 0x7fc02000
	s_xor_b64 s[46:47], exec, -1
; %bb.177:                              ;   in Loop: Header=BB267_14 Depth=1
	s_or_b64 exec, exec, s[50:51]
	s_and_b64 s[46:47], s[46:47], exec
	s_or_saveexec_b64 s[48:49], s[48:49]
	v_mov_b32_e32 v39, s63
	s_xor_b64 exec, exec, s[48:49]
	s_cbranch_execz .LBB267_63
.LBB267_178:                            ;   in Loop: Header=BB267_14 Depth=1
	v_cmp_ne_u16_e64 s[0:1], 0, v2
	s_andn2_b64 s[46:47], s[46:47], exec
	s_and_b64 s[0:1], s[0:1], exec
	v_mov_b32_e32 v39, 0
	s_or_b64 s[46:47], s[46:47], s[0:1]
	s_or_b64 exec, exec, s[48:49]
	s_and_saveexec_b64 s[48:49], s[46:47]
	s_cbranch_execnz .LBB267_64
	s_branch .LBB267_65
.LBB267_179:                            ;   in Loop: Header=BB267_14 Depth=1
	v_cmp_eq_u16_sdwa s[64:65], v2, s61 src0_sel:BYTE_0 src1_sel:DWORD
	s_mov_b64 s[0:1], -1
                                        ; implicit-def: $sgpr50
	s_and_saveexec_b64 s[48:49], s[64:65]
; %bb.180:                              ;   in Loop: Header=BB267_14 Depth=1
	s_mov_b32 s50, 0x7fc02000
	s_xor_b64 s[0:1], exec, -1
; %bb.181:                              ;   in Loop: Header=BB267_14 Depth=1
	s_or_b64 exec, exec, s[48:49]
	s_and_b64 s[0:1], s[0:1], exec
	s_or_saveexec_b64 s[46:47], s[46:47]
	v_mov_b32_e32 v40, s50
	s_xor_b64 exec, exec, s[46:47]
	s_cbranch_execz .LBB267_67
.LBB267_182:                            ;   in Loop: Header=BB267_14 Depth=1
	v_cmp_ne_u16_sdwa s[48:49], v2, v3 src0_sel:BYTE_0 src1_sel:DWORD
	s_andn2_b64 s[0:1], s[0:1], exec
	s_and_b64 s[48:49], s[48:49], exec
	v_mov_b32_e32 v40, 0
	s_or_b64 s[0:1], s[0:1], s[48:49]
	s_or_b64 exec, exec, s[46:47]
	v_and_b32_e32 v2, 0xffff, v2
	s_and_saveexec_b64 s[46:47], s[0:1]
	s_cbranch_execnz .LBB267_68
	s_branch .LBB267_69
.LBB267_183:                            ;   in Loop: Header=BB267_14 Depth=1
	v_cmp_eq_u16_e64 s[0:1], s61, v2
	s_mov_b64 s[46:47], -1
                                        ; implicit-def: $sgpr63
	s_and_saveexec_b64 s[50:51], s[0:1]
; %bb.184:                              ;   in Loop: Header=BB267_14 Depth=1
	s_mov_b32 s63, 0x7fc02000
	s_xor_b64 s[46:47], exec, -1
; %bb.185:                              ;   in Loop: Header=BB267_14 Depth=1
	s_or_b64 exec, exec, s[50:51]
	s_and_b64 s[46:47], s[46:47], exec
	s_or_saveexec_b64 s[48:49], s[48:49]
	v_mov_b32_e32 v41, s63
	s_xor_b64 exec, exec, s[48:49]
	s_cbranch_execz .LBB267_71
.LBB267_186:                            ;   in Loop: Header=BB267_14 Depth=1
	v_cmp_ne_u16_e64 s[0:1], 0, v2
	s_andn2_b64 s[46:47], s[46:47], exec
	s_and_b64 s[0:1], s[0:1], exec
	v_mov_b32_e32 v41, 0
	s_or_b64 s[46:47], s[46:47], s[0:1]
	s_or_b64 exec, exec, s[48:49]
	s_and_saveexec_b64 s[48:49], s[46:47]
	s_cbranch_execnz .LBB267_72
	s_branch .LBB267_73
.LBB267_187:                            ;   in Loop: Header=BB267_14 Depth=1
	v_cmp_eq_u16_sdwa s[64:65], v2, s61 src0_sel:BYTE_0 src1_sel:DWORD
	s_mov_b64 s[0:1], -1
                                        ; implicit-def: $sgpr50
	s_and_saveexec_b64 s[48:49], s[64:65]
; %bb.188:                              ;   in Loop: Header=BB267_14 Depth=1
	s_mov_b32 s50, 0x7fc02000
	s_xor_b64 s[0:1], exec, -1
; %bb.189:                              ;   in Loop: Header=BB267_14 Depth=1
	s_or_b64 exec, exec, s[48:49]
	s_and_b64 s[0:1], s[0:1], exec
	s_or_saveexec_b64 s[46:47], s[46:47]
	v_mov_b32_e32 v42, s50
	s_xor_b64 exec, exec, s[46:47]
	s_cbranch_execz .LBB267_75
.LBB267_190:                            ;   in Loop: Header=BB267_14 Depth=1
	v_cmp_ne_u16_sdwa s[48:49], v2, v3 src0_sel:BYTE_0 src1_sel:DWORD
	s_andn2_b64 s[0:1], s[0:1], exec
	s_and_b64 s[48:49], s[48:49], exec
	v_mov_b32_e32 v42, 0
	s_or_b64 s[0:1], s[0:1], s[48:49]
	s_or_b64 exec, exec, s[46:47]
	v_and_b32_e32 v2, 0xffff, v2
	s_and_saveexec_b64 s[46:47], s[0:1]
	s_cbranch_execnz .LBB267_76
	s_branch .LBB267_77
.LBB267_191:                            ;   in Loop: Header=BB267_14 Depth=1
	v_cmp_eq_u16_e64 s[0:1], s61, v2
	s_mov_b64 s[46:47], -1
                                        ; implicit-def: $sgpr63
	s_and_saveexec_b64 s[50:51], s[0:1]
; %bb.192:                              ;   in Loop: Header=BB267_14 Depth=1
	s_mov_b32 s63, 0x7fc02000
	s_xor_b64 s[46:47], exec, -1
; %bb.193:                              ;   in Loop: Header=BB267_14 Depth=1
	s_or_b64 exec, exec, s[50:51]
	s_and_b64 s[46:47], s[46:47], exec
	s_or_saveexec_b64 s[48:49], s[48:49]
	v_mov_b32_e32 v43, s63
	s_xor_b64 exec, exec, s[48:49]
	s_cbranch_execz .LBB267_79
.LBB267_194:                            ;   in Loop: Header=BB267_14 Depth=1
	v_cmp_ne_u16_e64 s[0:1], 0, v2
	s_andn2_b64 s[46:47], s[46:47], exec
	s_and_b64 s[0:1], s[0:1], exec
	v_mov_b32_e32 v43, 0
	s_or_b64 s[46:47], s[46:47], s[0:1]
	s_or_b64 exec, exec, s[48:49]
	s_and_saveexec_b64 s[48:49], s[46:47]
	s_cbranch_execnz .LBB267_80
	s_branch .LBB267_81
.LBB267_195:                            ;   in Loop: Header=BB267_14 Depth=1
	v_cmp_eq_u16_sdwa s[64:65], v2, s61 src0_sel:BYTE_0 src1_sel:DWORD
	s_mov_b64 s[0:1], -1
                                        ; implicit-def: $sgpr50
	s_and_saveexec_b64 s[48:49], s[64:65]
; %bb.196:                              ;   in Loop: Header=BB267_14 Depth=1
	s_mov_b32 s50, 0x7fc02000
	s_xor_b64 s[0:1], exec, -1
; %bb.197:                              ;   in Loop: Header=BB267_14 Depth=1
	s_or_b64 exec, exec, s[48:49]
	s_and_b64 s[0:1], s[0:1], exec
	s_or_saveexec_b64 s[46:47], s[46:47]
	v_mov_b32_e32 v44, s50
	s_xor_b64 exec, exec, s[46:47]
	s_cbranch_execz .LBB267_83
.LBB267_198:                            ;   in Loop: Header=BB267_14 Depth=1
	v_cmp_ne_u16_sdwa s[48:49], v2, v3 src0_sel:BYTE_0 src1_sel:DWORD
	s_andn2_b64 s[0:1], s[0:1], exec
	s_and_b64 s[48:49], s[48:49], exec
	v_mov_b32_e32 v44, 0
	s_or_b64 s[0:1], s[0:1], s[48:49]
	s_or_b64 exec, exec, s[46:47]
	v_and_b32_e32 v2, 0xffff, v2
	s_and_saveexec_b64 s[46:47], s[0:1]
	s_cbranch_execnz .LBB267_84
	s_branch .LBB267_85
.LBB267_199:                            ;   in Loop: Header=BB267_14 Depth=1
	v_cmp_eq_u16_e64 s[0:1], s61, v2
	s_mov_b64 s[46:47], -1
                                        ; implicit-def: $sgpr63
	s_and_saveexec_b64 s[50:51], s[0:1]
; %bb.200:                              ;   in Loop: Header=BB267_14 Depth=1
	s_mov_b32 s63, 0x7fc02000
	s_xor_b64 s[46:47], exec, -1
; %bb.201:                              ;   in Loop: Header=BB267_14 Depth=1
	s_or_b64 exec, exec, s[50:51]
	s_and_b64 s[46:47], s[46:47], exec
	s_or_saveexec_b64 s[48:49], s[48:49]
	v_mov_b32_e32 v45, s63
	s_xor_b64 exec, exec, s[48:49]
	s_cbranch_execz .LBB267_87
.LBB267_202:                            ;   in Loop: Header=BB267_14 Depth=1
	v_cmp_ne_u16_e64 s[0:1], 0, v2
	s_andn2_b64 s[46:47], s[46:47], exec
	s_and_b64 s[0:1], s[0:1], exec
	v_mov_b32_e32 v45, 0
	s_or_b64 s[46:47], s[46:47], s[0:1]
	s_or_b64 exec, exec, s[48:49]
	s_and_saveexec_b64 s[48:49], s[46:47]
	s_cbranch_execnz .LBB267_88
	s_branch .LBB267_89
.LBB267_203:                            ;   in Loop: Header=BB267_14 Depth=1
	v_cmp_eq_u16_sdwa s[64:65], v2, s61 src0_sel:BYTE_0 src1_sel:DWORD
	s_mov_b64 s[0:1], -1
                                        ; implicit-def: $sgpr50
	s_and_saveexec_b64 s[48:49], s[64:65]
; %bb.204:                              ;   in Loop: Header=BB267_14 Depth=1
	s_mov_b32 s50, 0x7fc02000
	s_xor_b64 s[0:1], exec, -1
; %bb.205:                              ;   in Loop: Header=BB267_14 Depth=1
	s_or_b64 exec, exec, s[48:49]
	s_and_b64 s[0:1], s[0:1], exec
	s_or_saveexec_b64 s[46:47], s[46:47]
	v_mov_b32_e32 v46, s50
	s_xor_b64 exec, exec, s[46:47]
	s_cbranch_execz .LBB267_91
.LBB267_206:                            ;   in Loop: Header=BB267_14 Depth=1
	v_cmp_ne_u16_sdwa s[48:49], v2, v3 src0_sel:BYTE_0 src1_sel:DWORD
	s_andn2_b64 s[0:1], s[0:1], exec
	s_and_b64 s[48:49], s[48:49], exec
	v_mov_b32_e32 v46, 0
	s_or_b64 s[0:1], s[0:1], s[48:49]
	s_or_b64 exec, exec, s[46:47]
	v_and_b32_e32 v2, 0xffff, v2
	s_and_saveexec_b64 s[46:47], s[0:1]
	s_cbranch_execnz .LBB267_92
	s_branch .LBB267_93
.LBB267_207:                            ;   in Loop: Header=BB267_14 Depth=1
	v_cmp_eq_u16_e64 s[0:1], s61, v2
	s_mov_b64 s[46:47], -1
                                        ; implicit-def: $sgpr63
	s_and_saveexec_b64 s[50:51], s[0:1]
; %bb.208:                              ;   in Loop: Header=BB267_14 Depth=1
	s_mov_b32 s63, 0x7fc02000
	s_xor_b64 s[46:47], exec, -1
; %bb.209:                              ;   in Loop: Header=BB267_14 Depth=1
	s_or_b64 exec, exec, s[50:51]
	s_and_b64 s[46:47], s[46:47], exec
	s_or_saveexec_b64 s[48:49], s[48:49]
	v_mov_b32_e32 v47, s63
	s_xor_b64 exec, exec, s[48:49]
	s_cbranch_execz .LBB267_95
.LBB267_210:                            ;   in Loop: Header=BB267_14 Depth=1
	v_cmp_ne_u16_e64 s[0:1], 0, v2
	s_andn2_b64 s[46:47], s[46:47], exec
	s_and_b64 s[0:1], s[0:1], exec
	v_mov_b32_e32 v47, 0
	s_or_b64 s[46:47], s[46:47], s[0:1]
	s_or_b64 exec, exec, s[48:49]
	s_and_saveexec_b64 s[48:49], s[46:47]
	s_cbranch_execnz .LBB267_96
	s_branch .LBB267_97
.LBB267_211:                            ;   in Loop: Header=BB267_14 Depth=1
	v_cmp_eq_u16_sdwa s[64:65], v2, s61 src0_sel:BYTE_0 src1_sel:DWORD
	s_mov_b64 s[0:1], -1
                                        ; implicit-def: $sgpr50
	s_and_saveexec_b64 s[48:49], s[64:65]
; %bb.212:                              ;   in Loop: Header=BB267_14 Depth=1
	s_mov_b32 s50, 0x7fc02000
	s_xor_b64 s[0:1], exec, -1
; %bb.213:                              ;   in Loop: Header=BB267_14 Depth=1
	s_or_b64 exec, exec, s[48:49]
	s_and_b64 s[0:1], s[0:1], exec
	s_or_saveexec_b64 s[46:47], s[46:47]
	v_mov_b32_e32 v48, s50
	s_xor_b64 exec, exec, s[46:47]
	s_cbranch_execz .LBB267_99
.LBB267_214:                            ;   in Loop: Header=BB267_14 Depth=1
	v_cmp_ne_u16_sdwa s[48:49], v2, v3 src0_sel:BYTE_0 src1_sel:DWORD
	s_andn2_b64 s[0:1], s[0:1], exec
	s_and_b64 s[48:49], s[48:49], exec
	v_mov_b32_e32 v48, 0
	s_or_b64 s[0:1], s[0:1], s[48:49]
	s_or_b64 exec, exec, s[46:47]
	v_and_b32_e32 v2, 0xffff, v2
	s_and_saveexec_b64 s[46:47], s[0:1]
	s_cbranch_execnz .LBB267_100
	s_branch .LBB267_101
.LBB267_215:                            ;   in Loop: Header=BB267_14 Depth=1
	v_cmp_eq_u16_e64 s[0:1], s61, v2
	s_mov_b64 s[46:47], -1
                                        ; implicit-def: $sgpr63
	s_and_saveexec_b64 s[50:51], s[0:1]
; %bb.216:                              ;   in Loop: Header=BB267_14 Depth=1
	s_mov_b32 s63, 0x7fc02000
	s_xor_b64 s[46:47], exec, -1
; %bb.217:                              ;   in Loop: Header=BB267_14 Depth=1
	s_or_b64 exec, exec, s[50:51]
	s_and_b64 s[46:47], s[46:47], exec
	s_or_saveexec_b64 s[48:49], s[48:49]
	v_mov_b32_e32 v49, s63
	s_xor_b64 exec, exec, s[48:49]
	s_cbranch_execz .LBB267_103
.LBB267_218:                            ;   in Loop: Header=BB267_14 Depth=1
	v_cmp_ne_u16_e64 s[0:1], 0, v2
	s_andn2_b64 s[46:47], s[46:47], exec
	s_and_b64 s[0:1], s[0:1], exec
	v_mov_b32_e32 v49, 0
	s_or_b64 s[46:47], s[46:47], s[0:1]
	s_or_b64 exec, exec, s[48:49]
	s_and_saveexec_b64 s[48:49], s[46:47]
	s_cbranch_execnz .LBB267_104
	s_branch .LBB267_105
.LBB267_219:                            ;   in Loop: Header=BB267_14 Depth=1
	v_cmp_eq_u16_sdwa s[64:65], v2, s61 src0_sel:BYTE_0 src1_sel:DWORD
	s_mov_b64 s[0:1], -1
                                        ; implicit-def: $sgpr50
	s_and_saveexec_b64 s[48:49], s[64:65]
; %bb.220:                              ;   in Loop: Header=BB267_14 Depth=1
	s_mov_b32 s50, 0x7fc02000
	s_xor_b64 s[0:1], exec, -1
; %bb.221:                              ;   in Loop: Header=BB267_14 Depth=1
	s_or_b64 exec, exec, s[48:49]
	s_and_b64 s[0:1], s[0:1], exec
	s_or_saveexec_b64 s[46:47], s[46:47]
	v_mov_b32_e32 v50, s50
	s_xor_b64 exec, exec, s[46:47]
	s_cbranch_execz .LBB267_107
.LBB267_222:                            ;   in Loop: Header=BB267_14 Depth=1
	v_cmp_ne_u16_sdwa s[48:49], v2, v3 src0_sel:BYTE_0 src1_sel:DWORD
	s_andn2_b64 s[0:1], s[0:1], exec
	s_and_b64 s[48:49], s[48:49], exec
	v_mov_b32_e32 v50, 0
	s_or_b64 s[0:1], s[0:1], s[48:49]
	s_or_b64 exec, exec, s[46:47]
	v_and_b32_e32 v2, 0xffff, v2
	s_and_saveexec_b64 s[46:47], s[0:1]
	s_cbranch_execnz .LBB267_108
	s_branch .LBB267_109
.LBB267_223:                            ;   in Loop: Header=BB267_14 Depth=1
	v_cmp_eq_u16_e64 s[0:1], s61, v2
	s_mov_b64 s[46:47], -1
                                        ; implicit-def: $sgpr63
	s_and_saveexec_b64 s[50:51], s[0:1]
; %bb.224:                              ;   in Loop: Header=BB267_14 Depth=1
	s_mov_b32 s63, 0x7fc02000
	s_xor_b64 s[46:47], exec, -1
; %bb.225:                              ;   in Loop: Header=BB267_14 Depth=1
	s_or_b64 exec, exec, s[50:51]
	s_and_b64 s[46:47], s[46:47], exec
	s_or_saveexec_b64 s[48:49], s[48:49]
	v_mov_b32_e32 v51, s63
	s_xor_b64 exec, exec, s[48:49]
	s_cbranch_execz .LBB267_111
.LBB267_226:                            ;   in Loop: Header=BB267_14 Depth=1
	v_cmp_ne_u16_e64 s[0:1], 0, v2
	s_andn2_b64 s[46:47], s[46:47], exec
	s_and_b64 s[0:1], s[0:1], exec
	v_mov_b32_e32 v51, 0
	s_or_b64 s[46:47], s[46:47], s[0:1]
	s_or_b64 exec, exec, s[48:49]
	s_and_saveexec_b64 s[48:49], s[46:47]
	s_cbranch_execnz .LBB267_112
	s_branch .LBB267_113
.LBB267_227:                            ;   in Loop: Header=BB267_14 Depth=1
	v_cmp_eq_u16_sdwa s[64:65], v2, s61 src0_sel:BYTE_0 src1_sel:DWORD
	s_mov_b64 s[0:1], -1
                                        ; implicit-def: $sgpr50
	s_and_saveexec_b64 s[48:49], s[64:65]
; %bb.228:                              ;   in Loop: Header=BB267_14 Depth=1
	s_mov_b32 s50, 0x7fc02000
	s_xor_b64 s[0:1], exec, -1
; %bb.229:                              ;   in Loop: Header=BB267_14 Depth=1
	s_or_b64 exec, exec, s[48:49]
	s_and_b64 s[0:1], s[0:1], exec
	s_or_saveexec_b64 s[46:47], s[46:47]
	v_mov_b32_e32 v52, s50
	s_xor_b64 exec, exec, s[46:47]
	s_cbranch_execz .LBB267_115
.LBB267_230:                            ;   in Loop: Header=BB267_14 Depth=1
	v_cmp_ne_u16_sdwa s[48:49], v2, v3 src0_sel:BYTE_0 src1_sel:DWORD
	s_andn2_b64 s[0:1], s[0:1], exec
	s_and_b64 s[48:49], s[48:49], exec
	v_mov_b32_e32 v52, 0
	s_or_b64 s[0:1], s[0:1], s[48:49]
	s_or_b64 exec, exec, s[46:47]
	v_and_b32_e32 v2, 0xffff, v2
	s_and_saveexec_b64 s[46:47], s[0:1]
	s_cbranch_execnz .LBB267_116
	s_branch .LBB267_117
.LBB267_231:                            ;   in Loop: Header=BB267_14 Depth=1
	v_cmp_eq_u16_e64 s[0:1], s61, v2
	s_mov_b64 s[46:47], -1
                                        ; implicit-def: $sgpr63
	s_and_saveexec_b64 s[50:51], s[0:1]
; %bb.232:                              ;   in Loop: Header=BB267_14 Depth=1
	s_mov_b32 s63, 0x7fc02000
	s_xor_b64 s[46:47], exec, -1
; %bb.233:                              ;   in Loop: Header=BB267_14 Depth=1
	s_or_b64 exec, exec, s[50:51]
	s_and_b64 s[46:47], s[46:47], exec
	s_or_saveexec_b64 s[48:49], s[48:49]
	v_mov_b32_e32 v53, s63
	s_xor_b64 exec, exec, s[48:49]
	s_cbranch_execz .LBB267_119
.LBB267_234:                            ;   in Loop: Header=BB267_14 Depth=1
	v_cmp_ne_u16_e64 s[0:1], 0, v2
	s_andn2_b64 s[46:47], s[46:47], exec
	s_and_b64 s[0:1], s[0:1], exec
	v_mov_b32_e32 v53, 0
	s_or_b64 s[46:47], s[46:47], s[0:1]
	s_or_b64 exec, exec, s[48:49]
	s_and_saveexec_b64 s[48:49], s[46:47]
	s_cbranch_execnz .LBB267_120
	s_branch .LBB267_121
.LBB267_235:                            ;   in Loop: Header=BB267_14 Depth=1
	v_cmp_eq_u16_sdwa s[64:65], v2, s61 src0_sel:BYTE_0 src1_sel:DWORD
	s_mov_b64 s[0:1], -1
                                        ; implicit-def: $sgpr50
	s_and_saveexec_b64 s[48:49], s[64:65]
; %bb.236:                              ;   in Loop: Header=BB267_14 Depth=1
	s_mov_b32 s50, 0x7fc02000
	s_xor_b64 s[0:1], exec, -1
; %bb.237:                              ;   in Loop: Header=BB267_14 Depth=1
	s_or_b64 exec, exec, s[48:49]
	s_and_b64 s[0:1], s[0:1], exec
	s_or_saveexec_b64 s[46:47], s[46:47]
	v_mov_b32_e32 v12, s50
	s_xor_b64 exec, exec, s[46:47]
	s_cbranch_execz .LBB267_123
.LBB267_238:                            ;   in Loop: Header=BB267_14 Depth=1
	v_cmp_ne_u16_sdwa s[48:49], v2, v3 src0_sel:BYTE_0 src1_sel:DWORD
	s_andn2_b64 s[0:1], s[0:1], exec
	s_and_b64 s[48:49], s[48:49], exec
	v_mov_b32_e32 v12, 0
	s_or_b64 s[0:1], s[0:1], s[48:49]
	s_or_b64 exec, exec, s[46:47]
	v_and_b32_e32 v2, 0xffff, v2
	s_and_saveexec_b64 s[46:47], s[0:1]
	s_cbranch_execnz .LBB267_124
	s_branch .LBB267_125
.LBB267_239:                            ;   in Loop: Header=BB267_14 Depth=1
	v_cmp_eq_u16_e64 s[0:1], s61, v2
	s_mov_b64 s[46:47], -1
                                        ; implicit-def: $sgpr63
	s_and_saveexec_b64 s[50:51], s[0:1]
; %bb.240:                              ;   in Loop: Header=BB267_14 Depth=1
	s_mov_b32 s63, 0x7fc02000
	s_xor_b64 s[46:47], exec, -1
; %bb.241:                              ;   in Loop: Header=BB267_14 Depth=1
	s_or_b64 exec, exec, s[50:51]
	s_and_b64 s[46:47], s[46:47], exec
	s_or_saveexec_b64 s[48:49], s[48:49]
	v_mov_b32_e32 v13, s63
	s_xor_b64 exec, exec, s[48:49]
	s_cbranch_execz .LBB267_127
.LBB267_242:                            ;   in Loop: Header=BB267_14 Depth=1
	v_cmp_ne_u16_e64 s[0:1], 0, v2
	s_andn2_b64 s[46:47], s[46:47], exec
	s_and_b64 s[0:1], s[0:1], exec
	v_mov_b32_e32 v13, 0
	s_or_b64 s[46:47], s[46:47], s[0:1]
	s_or_b64 exec, exec, s[48:49]
	s_and_saveexec_b64 s[48:49], s[46:47]
	s_cbranch_execnz .LBB267_128
	s_branch .LBB267_129
.LBB267_243:
	s_or_b64 exec, exec, s[44:45]
.LBB267_244:
	s_or_b64 exec, exec, s[18:19]
	v_mbcnt_hi_u32_b32 v2, -1, v14
	v_and_b32_e32 v3, 64, v2
	v_add_u32_e32 v3, 64, v3
	v_xor_b32_e32 v4, 32, v2
	v_cmp_lt_i32_e32 vcc, v4, v3
	v_xor_b32_e32 v9, 16, v2
	v_max_f32_e32 v5, v18, v18
	v_cndmask_b32_e32 v4, v2, v4, vcc
	v_lshlrev_b32_e32 v8, 2, v4
	ds_bpermute_b32 v4, v8, v18
	v_cmp_lt_i32_e32 vcc, v9, v3
	v_xor_b32_e32 v10, 8, v2
	s_waitcnt lgkmcnt(0)
	v_max_f32_e32 v4, v4, v4
	v_max_f32_e32 v4, v5, v4
	v_cndmask_b32_e32 v5, v2, v9, vcc
	v_lshlrev_b32_e32 v9, 2, v5
	ds_bpermute_b32 v5, v9, v4
	v_cmp_lt_i32_e32 vcc, v10, v3
	s_waitcnt lgkmcnt(0)
	v_max_f32_e32 v5, v5, v5
	v_max_f32_e32 v4, v4, v5
	v_cndmask_b32_e32 v5, v2, v10, vcc
	v_lshlrev_b32_e32 v12, 2, v5
	ds_bpermute_b32 v5, v12, v4
	v_xor_b32_e32 v10, 4, v2
	v_cmp_lt_i32_e32 vcc, v10, v3
	s_waitcnt lgkmcnt(0)
	v_max_f32_e32 v5, v5, v5
	v_max_f32_e32 v5, v4, v5
	v_cndmask_b32_e32 v4, v2, v10, vcc
	v_lshlrev_b32_e32 v13, 2, v4
	ds_bpermute_b32 v11, v13, v5
	v_and_b32_e32 v4, 63, v0
	v_cmp_eq_u32_e32 vcc, 0, v4
	v_lshlrev_b32_e32 v10, 2, v16
	s_and_saveexec_b64 s[0:1], vcc
	s_cbranch_execz .LBB267_246
; %bb.245:
	s_waitcnt lgkmcnt(0)
	v_max_f32_e32 v11, v11, v11
	v_max_f32_e32 v5, v5, v5
	v_max_f32_e32 v5, v5, v11
	ds_write_b32 v10, v5 offset:224
.LBB267_246:
	s_or_b64 exec, exec, s[0:1]
	v_cmp_gt_u32_e64 s[0:1], 2, v4
	v_mov_b32_e32 v5, 0xff7fffff
	s_waitcnt lgkmcnt(0)
	v_lshlrev_b32_e32 v11, 2, v4
	s_barrier
	s_and_saveexec_b64 s[6:7], s[0:1]
	s_cbranch_execz .LBB267_248
; %bb.247:
	ds_read_b32 v5, v11 offset:224
.LBB267_248:
	s_or_b64 exec, exec, s[6:7]
	v_xor_b32_e32 v14, 1, v2
	v_cmp_lt_i32_e64 s[6:7], v14, v3
	v_mov_b32_e32 v15, 0
	s_nop 0
	v_cndmask_b32_e64 v14, v2, v14, s[6:7]
	v_lshlrev_b32_e32 v28, 2, v14
	s_waitcnt lgkmcnt(0)
	ds_bpermute_b32 v14, v28, v5
	v_max_f32_e32 v5, v5, v5
	s_sub_i32 s6, s54, s23
	s_lshl_b32 s6, s6, 4
	s_add_i32 s6, s6, s55
	s_waitcnt lgkmcnt(0)
	v_max_f32_e32 v14, v14, v14
	v_max_f32_e32 v5, v5, v14
	v_lshlrev_b32_e32 v14, 2, v2
	v_and_b32_e32 v14, 0x100, v14
	ds_bpermute_b32 v5, v14, v5
	s_min_i32 s43, s6, s33
	s_sub_i32 s23, s43, s55
	v_cmp_gt_i32_e64 s[6:7], s23, v0
	s_and_saveexec_b64 s[12:13], s[6:7]
	s_cbranch_execz .LBB267_252
; %bb.249:
	v_mov_b32_e32 v15, 0xf0
	v_lshl_add_u32 v17, v0, 2, v15
	s_mov_b64 s[18:19], 0
	v_mov_b32_e32 v15, 0
	v_mov_b32_e32 v18, v0
.LBB267_250:                            ; =>This Inner Loop Header: Depth=1
	ds_read_b32 v19, v17
	v_add_u32_e32 v18, 0x80, v18
	v_cmp_le_i32_e64 s[10:11], s23, v18
	s_or_b64 s[18:19], s[10:11], s[18:19]
	s_waitcnt lgkmcnt(0)
	v_sub_f32_e32 v19, v19, v5
	v_mul_f32_e32 v19, 0x3fb8aa3b, v19
	v_exp_f32_e32 v19, v19
	ds_write_b32 v17, v19
	v_add_f32_e32 v15, v15, v19
	v_add_u32_e32 v17, 0x200, v17
	s_andn2_b64 exec, exec, s[18:19]
	s_cbranch_execnz .LBB267_250
; %bb.251:
	s_or_b64 exec, exec, s[18:19]
.LBB267_252:
	s_or_b64 exec, exec, s[12:13]
	ds_bpermute_b32 v8, v8, v15
	s_waitcnt lgkmcnt(0)
	v_add_f32_e32 v8, v15, v8
	ds_bpermute_b32 v9, v9, v8
	s_waitcnt lgkmcnt(0)
	v_add_f32_e32 v8, v8, v9
	ds_bpermute_b32 v9, v12, v8
	v_xor_b32_e32 v12, 2, v2
	v_cmp_lt_i32_e64 s[10:11], v12, v3
	s_waitcnt lgkmcnt(0)
	v_add_f32_e32 v8, v8, v9
	ds_bpermute_b32 v9, v13, v8
	v_cndmask_b32_e64 v2, v2, v12, s[10:11]
	v_lshlrev_b32_e32 v2, 2, v2
	s_waitcnt lgkmcnt(0)
	v_add_f32_e32 v3, v8, v9
	ds_bpermute_b32 v2, v2, v3
	s_waitcnt lgkmcnt(0)
	v_add_f32_e32 v2, v3, v2
	ds_bpermute_b32 v3, v28, v2
	s_waitcnt lgkmcnt(0)
	v_add_f32_e32 v2, v2, v3
	s_and_saveexec_b64 s[10:11], vcc
	s_cbranch_execz .LBB267_254
; %bb.253:
	ds_write_b32 v10, v2 offset:232
.LBB267_254:
	s_or_b64 exec, exec, s[10:11]
	s_waitcnt lgkmcnt(0)
	s_barrier
	s_and_saveexec_b64 s[10:11], s[0:1]
	s_cbranch_execz .LBB267_256
; %bb.255:
	ds_read_b32 v2, v11 offset:232
.LBB267_256:
	s_or_b64 exec, exec, s[10:11]
	s_waitcnt lgkmcnt(0)
	ds_bpermute_b32 v3, v28, v2
	s_waitcnt lgkmcnt(0)
	v_add_f32_e32 v2, v2, v3
	ds_bpermute_b32 v8, v14, v2
	s_and_saveexec_b64 s[0:1], s[6:7]
	s_cbranch_execz .LBB267_269
; %bb.257:
	s_waitcnt lgkmcnt(0)
	v_add_f32_e32 v2, 0x358637bd, v8
	v_div_scale_f32 v3, s[6:7], v2, v2, 1.0
	v_rcp_f32_e32 v9, v3
	v_div_scale_f32 v10, vcc, 1.0, v2, 1.0
	s_movk_i32 s6, 0x7f
	v_fma_f32 v11, -v3, v9, 1.0
	v_fmac_f32_e32 v9, v11, v9
	v_mul_f32_e32 v11, v10, v9
	v_fma_f32 v12, -v3, v11, v10
	v_fmac_f32_e32 v11, v12, v9
	v_fma_f32 v3, -v3, v11, v10
	v_div_fmas_f32 v3, v3, v9, v11
	v_div_fixup_f32 v2, v3, v2, 1.0
	v_xad_u32 v3, v0, -1, s43
	v_subrev_u32_e32 v9, s55, v3
	v_cmp_lt_u32_e32 vcc, s6, v9
	s_mov_b64 s[10:11], -1
	v_mov_b32_e32 v3, v0
	s_and_saveexec_b64 s[6:7], vcc
	s_cbranch_execz .LBB267_266
; %bb.258:
	v_lshrrev_b32_e32 v9, 7, v9
	v_add_u32_e32 v11, -1, v9
	v_lshrrev_b32_e32 v10, 1, v11
	v_mov_b32_e32 v3, v2
	v_add_u32_e32 v10, 1, v10
	v_cmp_lt_u32_e32 vcc, 13, v11
	v_mov_b32_e32 v13, 0
	s_and_saveexec_b64 s[10:11], vcc
	s_cbranch_execz .LBB267_262
; %bb.259:
	v_mov_b32_e32 v12, 0xf0
	v_and_b32_e32 v11, -8, v10
	v_lshl_add_u32 v12, v0, 2, v12
	s_mov_b32 s18, 0
	s_mov_b64 s[12:13], 0
.LBB267_260:                            ; =>This Inner Loop Header: Depth=1
	ds_read2st64_b32 v[14:15], v12 offset1:2
	ds_read2st64_b32 v[18:19], v12 offset0:4 offset1:6
	ds_read2st64_b32 v[20:21], v12 offset0:8 offset1:10
	;; [unrolled: 1-line block ×3, first 2 shown]
	v_add_u32_e32 v11, -8, v11
	s_waitcnt lgkmcnt(3)
	v_pk_mul_f32 v[14:15], v[2:3], v[14:15]
	s_waitcnt lgkmcnt(2)
	v_pk_mul_f32 v[18:19], v[2:3], v[18:19]
	ds_write2st64_b32 v12, v14, v15 offset1:2
	ds_write2st64_b32 v12, v18, v19 offset0:4 offset1:6
	ds_read2st64_b32 v[18:19], v12 offset0:16 offset1:18
	s_waitcnt lgkmcnt(4)
	v_pk_mul_f32 v[14:15], v[2:3], v[20:21]
	ds_write2st64_b32 v12, v14, v15 offset0:8 offset1:10
	s_waitcnt lgkmcnt(4)
	v_pk_mul_f32 v[14:15], v[2:3], v[22:23]
	ds_write2st64_b32 v12, v14, v15 offset0:12 offset1:14
	ds_read2st64_b32 v[14:15], v12 offset0:20 offset1:22
	s_waitcnt lgkmcnt(3)
	v_pk_mul_f32 v[18:19], v[2:3], v[18:19]
	ds_read2st64_b32 v[20:21], v12 offset0:24 offset1:26
	ds_write2st64_b32 v12, v18, v19 offset0:16 offset1:18
	ds_read2st64_b32 v[18:19], v12 offset0:28 offset1:30
	s_waitcnt lgkmcnt(3)
	v_pk_mul_f32 v[14:15], v[2:3], v[14:15]
	ds_write2st64_b32 v12, v14, v15 offset0:20 offset1:22
	s_waitcnt lgkmcnt(3)
	v_pk_mul_f32 v[14:15], v[2:3], v[20:21]
	ds_write2st64_b32 v12, v14, v15 offset0:24 offset1:26
	s_waitcnt lgkmcnt(2)
	v_pk_mul_f32 v[14:15], v[2:3], v[18:19]
	s_add_i32 s18, s18, 16
	v_cmp_eq_u32_e32 vcc, 0, v11
	ds_write2st64_b32 v12, v14, v15 offset0:28 offset1:30
	v_add_u32_e32 v12, 0x2000, v12
	s_or_b64 s[12:13], vcc, s[12:13]
	v_mov_b32_e32 v13, s18
	s_andn2_b64 exec, exec, s[12:13]
	s_cbranch_execnz .LBB267_260
; %bb.261:
	s_or_b64 exec, exec, s[12:13]
.LBB267_262:
	s_or_b64 exec, exec, s[10:11]
	v_and_b32_e32 v10, 7, v10
	v_cmp_ne_u32_e32 vcc, 0, v10
	s_and_saveexec_b64 s[10:11], vcc
	s_cbranch_execz .LBB267_265
; %bb.263:
	v_lshlrev_b32_e32 v11, 9, v13
	v_lshlrev_b32_e32 v12, 2, v0
	s_movk_i32 s12, 0xf0
	v_add3_u32 v11, v11, v12, s12
	s_mov_b64 s[12:13], 0
.LBB267_264:                            ; =>This Inner Loop Header: Depth=1
	ds_read2st64_b32 v[12:13], v11 offset1:2
	v_add_u32_e32 v10, -1, v10
	v_cmp_eq_u32_e32 vcc, 0, v10
	s_or_b64 s[12:13], vcc, s[12:13]
	s_waitcnt lgkmcnt(0)
	v_pk_mul_f32 v[12:13], v[2:3], v[12:13]
	ds_write2st64_b32 v11, v12, v13 offset1:2
	v_add_u32_e32 v11, 0x400, v11
	s_andn2_b64 exec, exec, s[12:13]
	s_cbranch_execnz .LBB267_264
.LBB267_265:
	s_or_b64 exec, exec, s[10:11]
	v_add_u32_e32 v9, 1, v9
	v_and_b32_e32 v10, 0x3fffffe, v9
	v_cmp_ne_u32_e32 vcc, v9, v10
	v_lshl_add_u32 v3, v10, 7, v0
	s_orn2_b64 s[10:11], vcc, exec
.LBB267_266:
	s_or_b64 exec, exec, s[6:7]
	s_and_b64 exec, exec, s[10:11]
	s_cbranch_execz .LBB267_269
; %bb.267:
	v_mov_b32_e32 v9, 0xf0
	v_lshl_add_u32 v9, v3, 2, v9
	s_mov_b64 s[6:7], 0
.LBB267_268:                            ; =>This Inner Loop Header: Depth=1
	ds_read_b32 v10, v9
	v_add_u32_e32 v3, 0x80, v3
	v_cmp_le_i32_e32 vcc, s23, v3
	s_or_b64 s[6:7], vcc, s[6:7]
	s_waitcnt lgkmcnt(0)
	v_mul_f32_e32 v10, v2, v10
	ds_write_b32 v9, v10
	v_add_u32_e32 v9, 0x200, v9
	s_andn2_b64 exec, exec, s[6:7]
	s_cbranch_execnz .LBB267_268
.LBB267_269:
	s_or_b64 exec, exec, s[0:1]
	s_mul_i32 s0, s29, s34
	v_cmp_eq_u32_e32 vcc, 0, v0
	s_mul_i32 s6, s0, s5
	s_waitcnt lgkmcnt(0)
	s_barrier
	s_and_saveexec_b64 s[0:1], vcc
	s_cbranch_execz .LBB267_271
; %bb.270:
	s_ashr_i32 s7, s6, 31
	s_lshl_b64 s[10:11], s[6:7], 2
	s_add_u32 s5, s26, s10
	s_mul_i32 s12, s29, s2
	s_addc_u32 s7, s27, s11
	s_ashr_i32 s13, s12, 31
	s_lshl_b64 s[12:13], s[12:13], 2
	s_add_u32 s2, s5, s12
	s_addc_u32 s7, s7, s13
	s_ashr_i32 s5, s4, 31
	s_lshl_b64 s[18:19], s[4:5], 2
	s_add_u32 s26, s2, s18
	s_addc_u32 s27, s7, s19
	s_add_u32 s2, s24, s10
	s_addc_u32 s5, s25, s11
	;; [unrolled: 2-line block ×3, first 2 shown]
	s_add_u32 s10, s2, s18
	v_mov_b32_e32 v2, 0
	s_addc_u32 s11, s5, s19
	global_store_dword v2, v5, s[26:27]
	global_store_dword v2, v8, s[10:11]
.LBB267_271:
	s_or_b64 exec, exec, s[0:1]
	s_mov_b32 s0, 0
	v_mov_b32_e32 v5, 0
	v_lshrrev_b32_e32 v30, 1, v4
	v_and_b32_e32 v29, 1, v0
	v_mov_b32_e32 v4, 0
	v_mov_b32_e32 v3, 0
	;; [unrolled: 1-line block ×3, first 2 shown]
	s_and_saveexec_b64 s[10:11], s[8:9]
	s_cbranch_execz .LBB267_543
; %bb.272:
	s_sub_i32 s5, s16, s21
	s_ashr_i32 s1, s20, 31
	s_add_u32 s8, s40, s20
	v_lshlrev_b32_e32 v2, 3, v0
	s_addc_u32 s9, s41, s1
	s_abs_i32 s27, s22
	v_and_b32_e32 v31, 8, v2
	v_cvt_f32_u32_e32 v2, s27
	v_or_b32_e32 v3, 0x60, v30
	s_movk_i32 s1, 0x70
	v_cmp_gt_u32_e32 vcc, s1, v3
	v_rcp_iflag_f32_e32 v2, v2
	s_sub_i32 s1, 0, s27
	s_add_i32 s26, s3, -1
	v_lshl_or_b32 v12, v3, 4, v31
	v_mul_f32_e32 v2, 0x4f7ffffe, v2
	v_cvt_u32_f32_e32 v2, v2
	s_lshl_b64 s[2:3], s[38:39], 2
	s_add_u32 s2, s36, s2
	s_addc_u32 s3, s37, s3
	v_mul_lo_u32 v3, s1, v2
	v_mul_hi_u32 v3, v2, v3
	v_add_u32_e32 v32, v2, v3
	v_lshlrev_b32_e32 v2, 5, v29
	v_lshl_add_u64 v[14:15], v[6:7], 2, s[2:3]
	v_lshl_or_b32 v2, v16, 6, v2
	s_mov_b32 s2, s0
	s_mov_b32 s3, s0
	v_mov_b32_e32 v11, 0
	v_add_u32_e32 v7, 0xf0, v2
	s_mov_b32 s1, s0
	v_mov_b64_e32 v[4:5], s[2:3]
	s_mov_b32 s7, s17
	v_lshl_or_b32 v8, v30, 4, v31
	v_mov_b32_e32 v9, v11
	v_mov_b32_e32 v13, v11
	s_mov_b32 s34, s33
	s_mov_b64 s[12:13], 0
	v_mov_b64_e32 v[2:3], s[0:1]
	s_movk_i32 s36, 0x7f
	s_movk_i32 s37, 0x80
	s_mov_b32 s38, 0x8000
	s_movk_i32 s39, 0x380
	s_mov_b32 s40, 0x3020706
	s_mov_b32 s41, 0x1000504
	s_mov_b32 s43, 0x5040100
	v_mov_b32_e32 v33, 0x1c00
	s_branch .LBB267_276
.LBB267_273:                            ;   in Loop: Header=BB267_276 Depth=1
	s_or_b64 exec, exec, s[2:3]
	;;#ASMSTART
	v_pk_mul_f16 v18, v38, v19;

	;;#ASMEND
	;;#ASMSTART
	v_pk_mul_f16 v10, v37, v10;

	;;#ASMEND
	;; [unrolled: 4-line block ×4, first 2 shown]
	s_nop 0
	;;#ASMSTART
	v_pk_add_f16 v10, v18, v10;

	;;#ASMEND
	s_nop 0
	;;#ASMSTART
	v_pk_add_f16 v10, v10, v17;

	;;#ASMEND
	;; [unrolled: 5-line block ×3, first 2 shown]
	s_nop 0
	v_lshrrev_b32_e32 v16, 16, v10
	v_and_b32_e32 v10, 0xffff, v10
	;;#ASMSTART
	v_cvt_f32_f16 v10, v10;
	;;#ASMEND
	;;#ASMSTART
	v_cvt_f32_f16 v16, v16;
	;;#ASMEND
	s_nop 0
	v_add_f32_e32 v10, v10, v16
	v_add_f32_e32 v5, v5, v10
.LBB267_274:                            ;   in Loop: Header=BB267_276 Depth=1
	s_or_b64 exec, exec, s[18:19]
.LBB267_275:                            ;   in Loop: Header=BB267_276 Depth=1
	s_or_b64 exec, exec, s[16:17]
	v_add_u32_e32 v6, 2, v6
	v_cmp_le_i32_e64 s[0:1], s54, v6
	v_lshl_add_u64 v[14:15], v[14:15], 0, 8
	v_add_u32_e32 v1, 32, v1
	s_or_b64 s[12:13], s[0:1], s[12:13]
	v_add_u32_e32 v7, 0x80, v7
	s_andn2_b64 exec, exec, s[12:13]
	s_cbranch_execz .LBB267_542
.LBB267_276:                            ; =>This Inner Loop Header: Depth=1
	v_sub_u32_e32 v16, 0, v1
	v_max_i32_e32 v16, v1, v16
	v_mul_hi_u32 v17, v16, s52
	v_mul_lo_u32 v18, v17, s35
	v_sub_u32_e32 v16, v16, v18
	v_add_u32_e32 v18, 1, v17
	v_cmp_le_u32_e64 s[0:1], s35, v16
	v_ashrrev_i32_e32 v10, 31, v1
	v_xor_b32_e32 v10, s53, v10
	v_cndmask_b32_e64 v17, v17, v18, s[0:1]
	v_subrev_u32_e32 v18, s35, v16
	v_cndmask_b32_e64 v16, v16, v18, s[0:1]
	v_add_u32_e32 v18, 1, v17
	v_cmp_le_u32_e64 s[0:1], s35, v16
	s_nop 1
	v_cndmask_b32_e64 v16, v17, v18, s[0:1]
	v_xor_b32_e32 v16, v16, v10
	v_sub_u32_e32 v10, v16, v10
	v_add_u32_e32 v16, s42, v10
	v_sub_u32_e32 v18, 0, v16
	v_ashrrev_i32_e32 v17, 31, v16
	v_max_i32_e32 v16, v16, v18
	v_mul_hi_u32 v18, v16, v32
	v_mul_lo_u32 v18, v18, s27
	v_sub_u32_e32 v16, v16, v18
	v_subrev_u32_e32 v18, s27, v16
	v_cmp_le_u32_e64 s[0:1], s27, v16
	v_cmp_lt_i32_e64 s[2:3], s5, v10
	s_nop 0
	v_cndmask_b32_e64 v16, v16, v18, s[0:1]
	v_subrev_u32_e32 v18, s27, v16
	v_cmp_le_u32_e64 s[0:1], s27, v16
	s_nop 1
	v_cndmask_b32_e64 v16, v16, v18, s[0:1]
	v_xor_b32_e32 v16, v16, v17
	v_sub_u32_e32 v16, v16, v17
	v_cmp_eq_u32_e64 s[0:1], 0, v16
	s_or_b64 s[0:1], s[0:1], s[2:3]
	s_and_saveexec_b64 s[16:17], s[0:1]
	s_cbranch_execz .LBB267_275
; %bb.277:                              ;   in Loop: Header=BB267_276 Depth=1
	ds_read2_b64 v[16:19], v7 offset1:1
	ds_read2_b64 v[22:25], v7 offset0:2 offset1:3
                                        ; implicit-def: $sgpr20
	s_waitcnt lgkmcnt(1)
	;;#ASMSTART
	v_cvt_f16_f32 v21, v16;

	;;#ASMEND
	;;#ASMSTART
	v_cvt_f16_f32 v35, v17;

	;;#ASMEND
	;;#ASMSTART
	v_cvt_f16_f32 v36, v18;

	;;#ASMEND
	;;#ASMSTART
	v_cvt_f16_f32 v37, v19;

	;;#ASMEND
	s_waitcnt lgkmcnt(0)
	;;#ASMSTART
	v_cvt_f16_f32 v39, v22;

	;;#ASMEND
	;;#ASMSTART
	v_cvt_f16_f32 v40, v23;

	;;#ASMEND
	;; [unrolled: 4-line block ×4, first 2 shown]
	global_load_dword v10, v[14:15], off
	v_mov_b64_e32 v[16:17], s[8:9]
	s_waitcnt vmcnt(0)
	v_mad_i64_i32 v[16:17], s[0:1], v10, s7, v[16:17]
	v_lshl_add_u64 v[18:19], v[16:17], 0, v[8:9]
	global_load_dwordx2 v[22:23], v[18:19], off
	global_load_dword v20, v11, s[14:15]
	s_mov_b64 s[0:1], 0
	s_waitcnt vmcnt(1)
	v_cmp_gt_i16_sdwa s[2:3], v22, s36 src0_sel:BYTE_0 src1_sel:DWORD
	s_and_saveexec_b64 s[18:19], s[2:3]
	s_xor_b64 s[2:3], exec, s[18:19]
	s_cbranch_execnz .LBB267_414
; %bb.278:                              ;   in Loop: Header=BB267_276 Depth=1
	s_or_saveexec_b64 s[2:3], s[2:3]
	v_mov_b32_e32 v24, s20
	s_xor_b64 exec, exec, s[2:3]
	s_cbranch_execnz .LBB267_417
.LBB267_279:                            ;   in Loop: Header=BB267_276 Depth=1
	s_or_b64 exec, exec, s[2:3]
	s_and_saveexec_b64 s[2:3], s[0:1]
	s_cbranch_execz .LBB267_281
.LBB267_280:                            ;   in Loop: Header=BB267_276 Depth=1
	v_and_b32_e32 v10, 7, v22
	v_ffbh_u32_e32 v10, v10
	v_bfe_u32 v24, v22, 3, 4
	v_min_u32_e32 v10, 32, v10
	v_subrev_u32_e32 v25, 28, v10
	v_sub_u32_e32 v10, 29, v10
	v_cmp_eq_u32_e64 s[0:1], 0, v24
	s_nop 1
	v_cndmask_b32_e64 v10, v24, v10, s[0:1]
	v_cndmask_b32_e64 v24, 0, v25, s[0:1]
	v_lshlrev_b64 v[24:25], v24, v[22:23]
	v_lshlrev_b32_e32 v25, 8, v22
	v_lshl_add_u32 v10, v10, 10, v33
	v_lshlrev_b32_e32 v24, 7, v24
	v_and_or_b32 v10, v25, s38, v10
	v_and_or_b32 v10, v24, s39, v10
	v_cvt_f32_f16_e32 v24, v10
.LBB267_281:                            ;   in Loop: Header=BB267_276 Depth=1
	s_or_b64 exec, exec, s[2:3]
	v_lshrrev_b16_e32 v10, 8, v22
	v_cmp_lt_i16_e64 s[0:1], s36, v10
	s_mov_b64 s[2:3], 0
                                        ; implicit-def: $sgpr22
	s_and_saveexec_b64 s[18:19], s[0:1]
	s_xor_b64 s[18:19], exec, s[18:19]
	s_cbranch_execnz .LBB267_418
; %bb.282:                              ;   in Loop: Header=BB267_276 Depth=1
	s_or_saveexec_b64 s[18:19], s[18:19]
	v_mov_b32_e32 v26, s22
	s_xor_b64 exec, exec, s[18:19]
	s_cbranch_execnz .LBB267_421
.LBB267_283:                            ;   in Loop: Header=BB267_276 Depth=1
	s_or_b64 exec, exec, s[18:19]
	s_and_saveexec_b64 s[18:19], s[2:3]
	s_cbranch_execz .LBB267_285
.LBB267_284:                            ;   in Loop: Header=BB267_276 Depth=1
	v_and_b32_e32 v25, 7, v10
	v_ffbh_u32_e32 v26, v25
	v_min_u32_e32 v38, 32, v26
	v_subrev_u32_e32 v26, 28, v38
	v_bfe_u32 v34, v10, 3, 4
	v_lshlrev_b64 v[26:27], v26, v[10:11]
	v_sub_u32_e32 v27, 29, v38
	v_cmp_eq_u32_e64 s[0:1], 0, v34
	v_and_b32_e32 v26, 7, v26
	v_lshlrev_b32_e32 v10, 8, v10
	v_cndmask_b32_e64 v27, v34, v27, s[0:1]
	v_cndmask_b32_e64 v25, v25, v26, s[0:1]
	v_lshl_add_u32 v26, v27, 10, v33
	v_and_or_b32 v10, v10, s38, v26
	v_lshl_or_b32 v10, v25, 7, v10
	v_cvt_f32_f16_e32 v26, v10
.LBB267_285:                            ;   in Loop: Header=BB267_276 Depth=1
	s_or_b64 exec, exec, s[18:19]
	v_lshrrev_b32_e32 v10, 16, v22
	v_cmp_gt_i16_sdwa s[2:3], v10, s36 src0_sel:BYTE_0 src1_sel:DWORD
	s_mov_b64 s[0:1], 0
                                        ; implicit-def: $sgpr20
	s_and_saveexec_b64 s[18:19], s[2:3]
	s_xor_b64 s[2:3], exec, s[18:19]
	s_cbranch_execnz .LBB267_422
; %bb.286:                              ;   in Loop: Header=BB267_276 Depth=1
	s_or_saveexec_b64 s[2:3], s[2:3]
	v_mov_b32_e32 v25, s20
	s_xor_b64 exec, exec, s[2:3]
	s_cbranch_execnz .LBB267_425
.LBB267_287:                            ;   in Loop: Header=BB267_276 Depth=1
	s_or_b64 exec, exec, s[2:3]
	s_and_saveexec_b64 s[2:3], s[0:1]
	s_cbranch_execz .LBB267_289
.LBB267_288:                            ;   in Loop: Header=BB267_276 Depth=1
	v_bfe_u32 v25, v22, 16, 3
	v_ffbh_u32_e32 v34, v25
	v_bfe_u32 v27, v22, 19, 4
	v_min_u32_e32 v34, 32, v34
	v_subrev_u32_e32 v38, 28, v34
	v_sub_u32_e32 v34, 29, v34
	v_cmp_eq_u32_e64 s[0:1], 0, v27
	v_lshlrev_b64 v[44:45], v38, v[10:11]
	v_and_b32_e32 v38, 7, v44
	v_cndmask_b32_e64 v27, v27, v34, s[0:1]
	v_lshlrev_b32_e32 v10, 8, v10
	v_lshl_add_u32 v27, v27, 10, v33
	v_cndmask_b32_e64 v25, v25, v38, s[0:1]
	v_and_or_b32 v10, v10, s38, v27
	v_lshl_or_b32 v10, v25, 7, v10
	v_cvt_f32_f16_e32 v25, v10
.LBB267_289:                            ;   in Loop: Header=BB267_276 Depth=1
	s_or_b64 exec, exec, s[2:3]
	v_lshrrev_b32_e32 v10, 24, v22
	v_cmp_lt_i16_e64 s[0:1], s36, v10
	s_mov_b64 s[2:3], 0
                                        ; implicit-def: $sgpr22
	s_and_saveexec_b64 s[18:19], s[0:1]
	s_xor_b64 s[18:19], exec, s[18:19]
	s_cbranch_execnz .LBB267_426
; %bb.290:                              ;   in Loop: Header=BB267_276 Depth=1
	s_or_saveexec_b64 s[18:19], s[18:19]
	v_mov_b32_e32 v27, s22
	s_xor_b64 exec, exec, s[18:19]
	s_cbranch_execnz .LBB267_429
.LBB267_291:                            ;   in Loop: Header=BB267_276 Depth=1
	s_or_b64 exec, exec, s[18:19]
	s_and_saveexec_b64 s[18:19], s[2:3]
	s_cbranch_execz .LBB267_293
.LBB267_292:                            ;   in Loop: Header=BB267_276 Depth=1
	v_bfe_u32 v27, v22, 24, 3
	v_ffbh_u32_e32 v34, v27
	v_bfe_u32 v22, v22, 27, 4
	v_min_u32_e32 v34, 32, v34
	v_subrev_u32_e32 v38, 28, v34
	v_sub_u32_e32 v34, 29, v34
	v_cmp_eq_u32_e64 s[0:1], 0, v22
	v_lshlrev_b64 v[44:45], v38, v[10:11]
	v_and_b32_e32 v38, 7, v44
	v_cndmask_b32_e64 v22, v22, v34, s[0:1]
	v_lshlrev_b32_e32 v10, 8, v10
	v_lshl_add_u32 v22, v22, 10, v33
	v_cndmask_b32_e64 v27, v27, v38, s[0:1]
	v_and_or_b32 v10, v10, s38, v22
	v_lshl_or_b32 v10, v27, 7, v10
	v_cvt_f32_f16_e32 v27, v10
.LBB267_293:                            ;   in Loop: Header=BB267_276 Depth=1
	s_or_b64 exec, exec, s[18:19]
	v_cmp_gt_i16_sdwa s[2:3], v23, s36 src0_sel:BYTE_0 src1_sel:DWORD
	s_mov_b64 s[0:1], 0
                                        ; implicit-def: $sgpr20
	s_and_saveexec_b64 s[18:19], s[2:3]
	s_xor_b64 s[2:3], exec, s[18:19]
	s_cbranch_execnz .LBB267_430
; %bb.294:                              ;   in Loop: Header=BB267_276 Depth=1
	s_or_saveexec_b64 s[2:3], s[2:3]
	v_mov_b32_e32 v22, s20
	s_xor_b64 exec, exec, s[2:3]
	s_cbranch_execnz .LBB267_433
.LBB267_295:                            ;   in Loop: Header=BB267_276 Depth=1
	s_or_b64 exec, exec, s[2:3]
	v_mov_b32_e32 v10, v23
	s_and_saveexec_b64 s[2:3], s[0:1]
	s_cbranch_execz .LBB267_297
.LBB267_296:                            ;   in Loop: Header=BB267_276 Depth=1
	v_and_b32_e32 v22, 7, v23
	v_ffbh_u32_e32 v22, v22
	v_bfe_u32 v34, v23, 3, 4
	v_min_u32_e32 v22, 32, v22
	v_subrev_u32_e32 v38, 28, v22
	v_sub_u32_e32 v22, 29, v22
	v_cmp_eq_u32_e64 s[0:1], 0, v34
	s_nop 1
	v_cndmask_b32_e64 v22, v34, v22, s[0:1]
	v_cndmask_b32_e64 v34, 0, v38, s[0:1]
	v_lshlrev_b64 v[44:45], v34, v[10:11]
	v_lshlrev_b32_e32 v38, 8, v23
	v_lshl_add_u32 v22, v22, 10, v33
	v_lshlrev_b32_e32 v34, 7, v44
	v_and_or_b32 v22, v38, s38, v22
	v_and_or_b32 v22, v34, s39, v22
	v_cvt_f32_f16_e32 v22, v22
.LBB267_297:                            ;   in Loop: Header=BB267_276 Depth=1
	s_or_b64 exec, exec, s[2:3]
	v_lshrrev_b16_e32 v10, 8, v10
	v_cmp_lt_i16_e64 s[0:1], s36, v10
	s_mov_b64 s[2:3], 0
                                        ; implicit-def: $sgpr22
	s_and_saveexec_b64 s[18:19], s[0:1]
	s_xor_b64 s[18:19], exec, s[18:19]
	s_cbranch_execnz .LBB267_434
; %bb.298:                              ;   in Loop: Header=BB267_276 Depth=1
	s_or_saveexec_b64 s[18:19], s[18:19]
	v_mov_b32_e32 v38, s22
	s_xor_b64 exec, exec, s[18:19]
	s_cbranch_execnz .LBB267_437
.LBB267_299:                            ;   in Loop: Header=BB267_276 Depth=1
	s_or_b64 exec, exec, s[18:19]
	s_and_saveexec_b64 s[18:19], s[2:3]
	s_cbranch_execz .LBB267_301
.LBB267_300:                            ;   in Loop: Header=BB267_276 Depth=1
	v_and_b32_e32 v34, 7, v10
	v_ffbh_u32_e32 v43, v34
	v_bfe_u32 v38, v10, 3, 4
	v_min_u32_e32 v43, 32, v43
	v_subrev_u32_e32 v44, 28, v43
	v_sub_u32_e32 v43, 29, v43
	v_cmp_eq_u32_e64 s[0:1], 0, v38
	v_lshlrev_b64 v[44:45], v44, v[10:11]
	v_and_b32_e32 v44, 7, v44
	v_cndmask_b32_e64 v38, v38, v43, s[0:1]
	v_lshlrev_b32_e32 v10, 8, v10
	v_lshl_add_u32 v38, v38, 10, v33
	v_cndmask_b32_e64 v34, v34, v44, s[0:1]
	v_and_or_b32 v10, v10, s38, v38
	v_lshl_or_b32 v10, v34, 7, v10
	v_cvt_f32_f16_e32 v38, v10
.LBB267_301:                            ;   in Loop: Header=BB267_276 Depth=1
	s_or_b64 exec, exec, s[18:19]
	v_lshrrev_b32_e32 v10, 16, v23
	v_cmp_gt_i16_sdwa s[2:3], v10, s36 src0_sel:BYTE_0 src1_sel:DWORD
	s_mov_b64 s[0:1], 0
                                        ; implicit-def: $sgpr20
	s_and_saveexec_b64 s[18:19], s[2:3]
	s_xor_b64 s[2:3], exec, s[18:19]
	s_cbranch_execnz .LBB267_438
; %bb.302:                              ;   in Loop: Header=BB267_276 Depth=1
	s_or_saveexec_b64 s[2:3], s[2:3]
	v_mov_b32_e32 v43, s20
	s_xor_b64 exec, exec, s[2:3]
	s_cbranch_execnz .LBB267_441
.LBB267_303:                            ;   in Loop: Header=BB267_276 Depth=1
	s_or_b64 exec, exec, s[2:3]
	s_and_saveexec_b64 s[2:3], s[0:1]
	s_cbranch_execz .LBB267_305
.LBB267_304:                            ;   in Loop: Header=BB267_276 Depth=1
	v_bfe_u32 v34, v23, 16, 3
	v_ffbh_u32_e32 v44, v34
	v_min_u32_e32 v46, 32, v44
	v_subrev_u32_e32 v44, 28, v46
	v_bfe_u32 v43, v23, 19, 4
	v_lshlrev_b64 v[44:45], v44, v[10:11]
	v_sub_u32_e32 v45, 29, v46
	v_cmp_eq_u32_e64 s[0:1], 0, v43
	v_and_b32_e32 v44, 7, v44
	v_lshlrev_b32_e32 v10, 8, v10
	v_cndmask_b32_e64 v43, v43, v45, s[0:1]
	v_lshl_add_u32 v43, v43, 10, v33
	v_cndmask_b32_e64 v34, v34, v44, s[0:1]
	v_and_or_b32 v10, v10, s38, v43
	v_lshl_or_b32 v10, v34, 7, v10
	v_cvt_f32_f16_e32 v43, v10
.LBB267_305:                            ;   in Loop: Header=BB267_276 Depth=1
	s_or_b64 exec, exec, s[2:3]
	v_lshrrev_b32_e32 v10, 24, v23
	v_cmp_lt_i16_e64 s[0:1], s36, v10
	s_mov_b64 s[2:3], 0
                                        ; implicit-def: $sgpr22
	s_and_saveexec_b64 s[18:19], s[0:1]
	s_xor_b64 s[18:19], exec, s[18:19]
	s_cbranch_execnz .LBB267_442
; %bb.306:                              ;   in Loop: Header=BB267_276 Depth=1
	s_or_saveexec_b64 s[18:19], s[18:19]
	v_mov_b32_e32 v44, s22
	s_xor_b64 exec, exec, s[18:19]
	s_cbranch_execnz .LBB267_445
.LBB267_307:                            ;   in Loop: Header=BB267_276 Depth=1
	s_or_b64 exec, exec, s[18:19]
	s_and_saveexec_b64 s[18:19], s[2:3]
	s_cbranch_execz .LBB267_309
.LBB267_308:                            ;   in Loop: Header=BB267_276 Depth=1
	v_bfe_u32 v34, v23, 24, 3
	v_ffbh_u32_e32 v44, v34
	v_min_u32_e32 v46, 32, v44
	v_subrev_u32_e32 v44, 28, v46
	v_bfe_u32 v23, v23, 27, 4
	v_lshlrev_b64 v[44:45], v44, v[10:11]
	v_sub_u32_e32 v45, 29, v46
	v_cmp_eq_u32_e64 s[0:1], 0, v23
	v_and_b32_e32 v44, 7, v44
	v_lshlrev_b32_e32 v10, 8, v10
	v_cndmask_b32_e64 v23, v23, v45, s[0:1]
	v_lshl_add_u32 v23, v23, 10, v33
	v_cndmask_b32_e64 v34, v34, v44, s[0:1]
	v_and_or_b32 v10, v10, s38, v23
	v_lshl_or_b32 v10, v34, 7, v10
	v_cvt_f32_f16_e32 v44, v10
.LBB267_309:                            ;   in Loop: Header=BB267_276 Depth=1
	s_or_b64 exec, exec, s[18:19]
	s_waitcnt vmcnt(0)
	v_pk_mul_f32 v[26:27], v[20:21], v[26:27] op_sel_hi:[0,1]
	v_pk_mul_f32 v[24:25], v[20:21], v[24:25] op_sel_hi:[0,1]
	v_cvt_f16_f32_e32 v10, v27
	v_cvt_f16_f32_e32 v23, v26
	;; [unrolled: 1-line block ×4, first 2 shown]
	v_fma_mixlo_f16 v22, v20, v22, 0
	v_pack_b32_f16 v23, v23, v10
	v_add_u32_e32 v34, v31, v1
	v_pack_b32_f16 v24, v24, v25
	v_perm_b32 v10, v24, v23, s40
	v_perm_b32 v23, v24, v23, s41
	v_fma_mixlo_f16 v24, v20, v38, 0
	v_lshlrev_b32_e32 v24, 16, v24
	v_or_b32_sdwa v22, v24, v22 dst_sel:DWORD dst_unused:UNUSED_PAD src0_sel:DWORD src1_sel:WORD_0
	v_fma_mixlo_f16 v24, v20, v43, 0
	v_fma_mixlo_f16 v20, v20, v44, 0
	v_lshlrev_b32_e32 v20, 16, v20
	v_cmp_eq_u32_e64 s[0:1], s26, v6
	v_or_b32_sdwa v20, v20, v24 dst_sel:DWORD dst_unused:UNUSED_PAD src0_sel:DWORD src1_sel:WORD_0
	s_and_saveexec_b64 s[18:19], s[0:1]
	s_cbranch_execz .LBB267_311
; %bb.310:                              ;   in Loop: Header=BB267_276 Depth=1
	v_add_u32_e32 v25, 1, v34
	v_lshrrev_b32_e32 v26, 16, v23
	v_cmp_gt_i32_e64 s[2:3], s34, v25
	v_lshrrev_b32_e32 v27, 16, v10
	v_lshrrev_b32_e32 v20, 16, v20
	v_cndmask_b32_e64 v25, 0, v26, s[2:3]
	v_cmp_gt_i32_e64 s[2:3], s33, v34
	v_or_b32_e32 v26, 2, v34
	s_nop 0
	v_cndmask_b32_e64 v23, 0, v23, s[2:3]
	v_perm_b32 v23, v25, v23, s43
	v_or_b32_e32 v25, 3, v34
	v_cmp_gt_i32_e64 s[2:3], s34, v25
	s_nop 1
	v_cndmask_b32_e64 v25, 0, v27, s[2:3]
	v_cmp_gt_i32_e64 s[2:3], s33, v26
	v_or_b32_e32 v26, 4, v34
	v_lshrrev_b32_e32 v27, 16, v22
	v_cndmask_b32_e64 v10, 0, v10, s[2:3]
	v_perm_b32 v10, v25, v10, s43
	v_or_b32_e32 v25, 5, v34
	v_cmp_gt_i32_e64 s[2:3], s34, v25
	s_nop 1
	v_cndmask_b32_e64 v25, 0, v27, s[2:3]
	v_cmp_gt_i32_e64 s[2:3], s33, v26
	v_or_b32_e32 v26, 6, v34
	s_nop 0
	v_cndmask_b32_e64 v22, 0, v22, s[2:3]
	v_perm_b32 v22, v25, v22, s43
	v_or_b32_e32 v25, 7, v34
	v_cmp_gt_i32_e64 s[2:3], s34, v25
	s_nop 1
	v_cndmask_b32_e64 v20, 0, v20, s[2:3]
	v_cmp_gt_i32_e64 s[2:3], s33, v26
	s_nop 1
	v_cndmask_b32_e64 v24, 0, v24, s[2:3]
	v_perm_b32 v20, v20, v24, s43
.LBB267_311:                            ;   in Loop: Header=BB267_276 Depth=1
	s_or_b64 exec, exec, s[18:19]
	v_and_b32_e32 v21, 0xffff, v21
	v_lshl_or_b32 v38, v35, 16, v21
	v_and_b32_e32 v21, 0xffff, v36
	v_lshl_or_b32 v37, v37, 16, v21
	;; [unrolled: 2-line block ×4, first 2 shown]
	;;#ASMSTART
	v_pk_mul_f16 v21, v38, v23;

	;;#ASMEND
	;;#ASMSTART
	v_pk_mul_f16 v10, v37, v10;

	;;#ASMEND
	;; [unrolled: 4-line block ×4, first 2 shown]
	s_mov_b64 s[2:3], 0
	;;#ASMSTART
	v_pk_add_f16 v10, v21, v10;

	;;#ASMEND
                                        ; implicit-def: $sgpr22
	s_nop 0
	;;#ASMSTART
	v_pk_add_f16 v10, v10, v22;

	;;#ASMEND
	s_nop 0
	;;#ASMSTART
	v_pk_add_f16 v10, v10, v20;

	;;#ASMEND
	s_nop 0
	v_lshrrev_b32_e32 v20, 16, v10
	v_and_b32_e32 v10, 0xffff, v10
	;;#ASMSTART
	v_cvt_f32_f16 v21, v10;
	;;#ASMEND
	;;#ASMSTART
	v_cvt_f32_f16 v39, v20;
	;;#ASMEND
	global_load_dwordx2 v[22:23], v[18:19], off offset:512
	global_load_dword v20, v11, s[14:15]
	s_waitcnt vmcnt(1)
	v_cmp_gt_i16_sdwa s[18:19], v22, s36 src0_sel:BYTE_0 src1_sel:DWORD
	s_and_saveexec_b64 s[20:21], s[18:19]
	s_xor_b64 s[18:19], exec, s[20:21]
	s_cbranch_execnz .LBB267_446
; %bb.312:                              ;   in Loop: Header=BB267_276 Depth=1
	s_or_saveexec_b64 s[18:19], s[18:19]
	v_mov_b32_e32 v24, s22
	s_xor_b64 exec, exec, s[18:19]
	s_cbranch_execnz .LBB267_449
.LBB267_313:                            ;   in Loop: Header=BB267_276 Depth=1
	s_or_b64 exec, exec, s[18:19]
	s_and_saveexec_b64 s[18:19], s[2:3]
	s_cbranch_execz .LBB267_315
.LBB267_314:                            ;   in Loop: Header=BB267_276 Depth=1
	v_and_b32_e32 v10, 7, v22
	v_ffbh_u32_e32 v10, v10
	v_bfe_u32 v24, v22, 3, 4
	v_min_u32_e32 v10, 32, v10
	v_subrev_u32_e32 v25, 28, v10
	v_sub_u32_e32 v10, 29, v10
	v_cmp_eq_u32_e64 s[2:3], 0, v24
	s_nop 1
	v_cndmask_b32_e64 v10, v24, v10, s[2:3]
	v_cndmask_b32_e64 v24, 0, v25, s[2:3]
	v_lshlrev_b64 v[24:25], v24, v[22:23]
	v_lshlrev_b32_e32 v25, 8, v22
	v_lshl_add_u32 v10, v10, 10, v33
	v_lshlrev_b32_e32 v24, 7, v24
	v_and_or_b32 v10, v25, s38, v10
	v_and_or_b32 v10, v24, s39, v10
	v_cvt_f32_f16_e32 v24, v10
.LBB267_315:                            ;   in Loop: Header=BB267_276 Depth=1
	s_or_b64 exec, exec, s[18:19]
	v_lshrrev_b16_e32 v10, 8, v22
	v_cmp_lt_i16_e64 s[2:3], s36, v10
	s_mov_b64 s[18:19], 0
                                        ; implicit-def: $sgpr24
	s_and_saveexec_b64 s[20:21], s[2:3]
	s_xor_b64 s[20:21], exec, s[20:21]
	s_cbranch_execnz .LBB267_450
; %bb.316:                              ;   in Loop: Header=BB267_276 Depth=1
	s_or_saveexec_b64 s[20:21], s[20:21]
	v_mov_b32_e32 v26, s24
	s_xor_b64 exec, exec, s[20:21]
	s_cbranch_execnz .LBB267_453
.LBB267_317:                            ;   in Loop: Header=BB267_276 Depth=1
	s_or_b64 exec, exec, s[20:21]
	s_and_saveexec_b64 s[20:21], s[18:19]
	s_cbranch_execz .LBB267_319
.LBB267_318:                            ;   in Loop: Header=BB267_276 Depth=1
	v_and_b32_e32 v25, 7, v10
	v_ffbh_u32_e32 v26, v25
	v_min_u32_e32 v41, 32, v26
	v_subrev_u32_e32 v26, 28, v41
	v_bfe_u32 v40, v10, 3, 4
	v_lshlrev_b64 v[26:27], v26, v[10:11]
	v_sub_u32_e32 v27, 29, v41
	v_cmp_eq_u32_e64 s[2:3], 0, v40
	v_and_b32_e32 v26, 7, v26
	v_lshlrev_b32_e32 v10, 8, v10
	v_cndmask_b32_e64 v27, v40, v27, s[2:3]
	v_cndmask_b32_e64 v25, v25, v26, s[2:3]
	v_lshl_add_u32 v26, v27, 10, v33
	v_and_or_b32 v10, v10, s38, v26
	v_lshl_or_b32 v10, v25, 7, v10
	v_cvt_f32_f16_e32 v26, v10
.LBB267_319:                            ;   in Loop: Header=BB267_276 Depth=1
	s_or_b64 exec, exec, s[20:21]
	v_lshrrev_b32_e32 v10, 16, v22
	v_cmp_gt_i16_sdwa s[18:19], v10, s36 src0_sel:BYTE_0 src1_sel:DWORD
	s_mov_b64 s[2:3], 0
                                        ; implicit-def: $sgpr22
	s_and_saveexec_b64 s[20:21], s[18:19]
	s_xor_b64 s[18:19], exec, s[20:21]
	s_cbranch_execnz .LBB267_454
; %bb.320:                              ;   in Loop: Header=BB267_276 Depth=1
	s_or_saveexec_b64 s[18:19], s[18:19]
	v_mov_b32_e32 v25, s22
	s_xor_b64 exec, exec, s[18:19]
	s_cbranch_execnz .LBB267_457
.LBB267_321:                            ;   in Loop: Header=BB267_276 Depth=1
	s_or_b64 exec, exec, s[18:19]
	s_and_saveexec_b64 s[18:19], s[2:3]
	s_cbranch_execz .LBB267_323
.LBB267_322:                            ;   in Loop: Header=BB267_276 Depth=1
	v_bfe_u32 v25, v22, 16, 3
	v_ffbh_u32_e32 v40, v25
	v_min_u32_e32 v42, 32, v40
	v_subrev_u32_e32 v40, 28, v42
	v_bfe_u32 v27, v22, 19, 4
	v_lshlrev_b64 v[40:41], v40, v[10:11]
	v_sub_u32_e32 v41, 29, v42
	v_cmp_eq_u32_e64 s[2:3], 0, v27
	v_and_b32_e32 v40, 7, v40
	v_lshlrev_b32_e32 v10, 8, v10
	v_cndmask_b32_e64 v27, v27, v41, s[2:3]
	v_lshl_add_u32 v27, v27, 10, v33
	v_cndmask_b32_e64 v25, v25, v40, s[2:3]
	v_and_or_b32 v10, v10, s38, v27
	v_lshl_or_b32 v10, v25, 7, v10
	v_cvt_f32_f16_e32 v25, v10
.LBB267_323:                            ;   in Loop: Header=BB267_276 Depth=1
	s_or_b64 exec, exec, s[18:19]
	v_lshrrev_b32_e32 v10, 24, v22
	v_cmp_lt_i16_e64 s[2:3], s36, v10
	s_mov_b64 s[18:19], 0
                                        ; implicit-def: $sgpr24
	s_and_saveexec_b64 s[20:21], s[2:3]
	s_xor_b64 s[20:21], exec, s[20:21]
	s_cbranch_execnz .LBB267_458
; %bb.324:                              ;   in Loop: Header=BB267_276 Depth=1
	s_or_saveexec_b64 s[20:21], s[20:21]
	v_mov_b32_e32 v27, s24
	s_xor_b64 exec, exec, s[20:21]
	s_cbranch_execnz .LBB267_461
.LBB267_325:                            ;   in Loop: Header=BB267_276 Depth=1
	s_or_b64 exec, exec, s[20:21]
	s_and_saveexec_b64 s[20:21], s[18:19]
	s_cbranch_execz .LBB267_327
.LBB267_326:                            ;   in Loop: Header=BB267_276 Depth=1
	v_bfe_u32 v27, v22, 24, 3
	v_ffbh_u32_e32 v40, v27
	v_min_u32_e32 v42, 32, v40
	v_subrev_u32_e32 v40, 28, v42
	v_bfe_u32 v22, v22, 27, 4
	v_lshlrev_b64 v[40:41], v40, v[10:11]
	v_sub_u32_e32 v41, 29, v42
	v_cmp_eq_u32_e64 s[2:3], 0, v22
	v_and_b32_e32 v40, 7, v40
	v_lshlrev_b32_e32 v10, 8, v10
	v_cndmask_b32_e64 v22, v22, v41, s[2:3]
	v_lshl_add_u32 v22, v22, 10, v33
	v_cndmask_b32_e64 v27, v27, v40, s[2:3]
	v_and_or_b32 v10, v10, s38, v22
	v_lshl_or_b32 v10, v27, 7, v10
	v_cvt_f32_f16_e32 v27, v10
.LBB267_327:                            ;   in Loop: Header=BB267_276 Depth=1
	s_or_b64 exec, exec, s[20:21]
	v_cmp_gt_i16_sdwa s[18:19], v23, s36 src0_sel:BYTE_0 src1_sel:DWORD
	s_mov_b64 s[2:3], 0
                                        ; implicit-def: $sgpr22
	s_and_saveexec_b64 s[20:21], s[18:19]
	s_xor_b64 s[18:19], exec, s[20:21]
	s_cbranch_execnz .LBB267_462
; %bb.328:                              ;   in Loop: Header=BB267_276 Depth=1
	s_or_saveexec_b64 s[18:19], s[18:19]
	v_mov_b32_e32 v22, s22
	s_xor_b64 exec, exec, s[18:19]
	s_cbranch_execnz .LBB267_465
.LBB267_329:                            ;   in Loop: Header=BB267_276 Depth=1
	s_or_b64 exec, exec, s[18:19]
	v_mov_b32_e32 v10, v23
	s_and_saveexec_b64 s[18:19], s[2:3]
	s_cbranch_execz .LBB267_331
.LBB267_330:                            ;   in Loop: Header=BB267_276 Depth=1
	v_and_b32_e32 v22, 7, v23
	v_ffbh_u32_e32 v22, v22
	v_bfe_u32 v40, v23, 3, 4
	v_min_u32_e32 v22, 32, v22
	v_subrev_u32_e32 v41, 28, v22
	v_sub_u32_e32 v22, 29, v22
	v_cmp_eq_u32_e64 s[2:3], 0, v40
	s_nop 1
	v_cndmask_b32_e64 v22, v40, v22, s[2:3]
	v_cndmask_b32_e64 v40, 0, v41, s[2:3]
	v_lshlrev_b64 v[40:41], v40, v[10:11]
	v_lshlrev_b32_e32 v41, 8, v23
	v_lshl_add_u32 v22, v22, 10, v33
	v_lshlrev_b32_e32 v40, 7, v40
	v_and_or_b32 v22, v41, s38, v22
	v_and_or_b32 v22, v40, s39, v22
	v_cvt_f32_f16_e32 v22, v22
.LBB267_331:                            ;   in Loop: Header=BB267_276 Depth=1
	s_or_b64 exec, exec, s[18:19]
	v_lshrrev_b16_e32 v10, 8, v10
	v_cmp_lt_i16_e64 s[2:3], s36, v10
	s_mov_b64 s[18:19], 0
                                        ; implicit-def: $sgpr24
	s_and_saveexec_b64 s[20:21], s[2:3]
	s_xor_b64 s[20:21], exec, s[20:21]
	s_cbranch_execnz .LBB267_466
; %bb.332:                              ;   in Loop: Header=BB267_276 Depth=1
	s_or_saveexec_b64 s[20:21], s[20:21]
	v_mov_b32_e32 v40, s24
	s_xor_b64 exec, exec, s[20:21]
	s_cbranch_execnz .LBB267_469
.LBB267_333:                            ;   in Loop: Header=BB267_276 Depth=1
	s_or_b64 exec, exec, s[20:21]
	s_and_saveexec_b64 s[20:21], s[18:19]
	s_cbranch_execz .LBB267_335
.LBB267_334:                            ;   in Loop: Header=BB267_276 Depth=1
	v_and_b32_e32 v42, 7, v10
	v_ffbh_u32_e32 v40, v42
	v_min_u32_e32 v44, 32, v40
	v_subrev_u32_e32 v40, 28, v44
	v_bfe_u32 v43, v10, 3, 4
	v_lshlrev_b64 v[40:41], v40, v[10:11]
	v_sub_u32_e32 v41, 29, v44
	v_cmp_eq_u32_e64 s[2:3], 0, v43
	v_and_b32_e32 v40, 7, v40
	v_lshlrev_b32_e32 v10, 8, v10
	v_cndmask_b32_e64 v41, v43, v41, s[2:3]
	v_lshl_add_u32 v41, v41, 10, v33
	v_cndmask_b32_e64 v40, v42, v40, s[2:3]
	v_and_or_b32 v10, v10, s38, v41
	v_lshl_or_b32 v10, v40, 7, v10
	v_cvt_f32_f16_e32 v40, v10
.LBB267_335:                            ;   in Loop: Header=BB267_276 Depth=1
	s_or_b64 exec, exec, s[20:21]
	v_lshrrev_b32_e32 v10, 16, v23
	v_cmp_gt_i16_sdwa s[18:19], v10, s36 src0_sel:BYTE_0 src1_sel:DWORD
	s_mov_b64 s[2:3], 0
                                        ; implicit-def: $sgpr22
	s_and_saveexec_b64 s[20:21], s[18:19]
	s_xor_b64 s[18:19], exec, s[20:21]
	s_cbranch_execnz .LBB267_470
; %bb.336:                              ;   in Loop: Header=BB267_276 Depth=1
	s_or_saveexec_b64 s[18:19], s[18:19]
	v_mov_b32_e32 v41, s22
	s_xor_b64 exec, exec, s[18:19]
	s_cbranch_execnz .LBB267_473
.LBB267_337:                            ;   in Loop: Header=BB267_276 Depth=1
	s_or_b64 exec, exec, s[18:19]
	s_and_saveexec_b64 s[18:19], s[2:3]
	s_cbranch_execz .LBB267_339
.LBB267_338:                            ;   in Loop: Header=BB267_276 Depth=1
	v_bfe_u32 v41, v23, 16, 3
	v_ffbh_u32_e32 v42, v41
	v_min_u32_e32 v45, 32, v42
	v_subrev_u32_e32 v42, 28, v45
	v_bfe_u32 v44, v23, 19, 4
	v_lshlrev_b64 v[42:43], v42, v[10:11]
	v_sub_u32_e32 v43, 29, v45
	v_cmp_eq_u32_e64 s[2:3], 0, v44
	v_and_b32_e32 v42, 7, v42
	v_lshlrev_b32_e32 v10, 8, v10
	v_cndmask_b32_e64 v43, v44, v43, s[2:3]
	v_cndmask_b32_e64 v41, v41, v42, s[2:3]
	v_lshl_add_u32 v42, v43, 10, v33
	v_and_or_b32 v10, v10, s38, v42
	v_lshl_or_b32 v10, v41, 7, v10
	v_cvt_f32_f16_e32 v41, v10
.LBB267_339:                            ;   in Loop: Header=BB267_276 Depth=1
	s_or_b64 exec, exec, s[18:19]
	v_lshrrev_b32_e32 v10, 24, v23
	v_cmp_lt_i16_e64 s[2:3], s36, v10
	s_mov_b64 s[18:19], 0
                                        ; implicit-def: $sgpr24
	s_and_saveexec_b64 s[20:21], s[2:3]
	s_xor_b64 s[20:21], exec, s[20:21]
	s_cbranch_execnz .LBB267_474
; %bb.340:                              ;   in Loop: Header=BB267_276 Depth=1
	s_or_saveexec_b64 s[20:21], s[20:21]
	v_mov_b32_e32 v42, s24
	s_xor_b64 exec, exec, s[20:21]
	s_cbranch_execnz .LBB267_477
.LBB267_341:                            ;   in Loop: Header=BB267_276 Depth=1
	s_or_b64 exec, exec, s[20:21]
	s_and_saveexec_b64 s[20:21], s[18:19]
	s_cbranch_execz .LBB267_343
.LBB267_342:                            ;   in Loop: Header=BB267_276 Depth=1
	v_bfe_u32 v44, v23, 24, 3
	v_ffbh_u32_e32 v42, v44
	v_min_u32_e32 v45, 32, v42
	v_subrev_u32_e32 v42, 28, v45
	v_bfe_u32 v23, v23, 27, 4
	v_lshlrev_b64 v[42:43], v42, v[10:11]
	v_sub_u32_e32 v43, 29, v45
	v_cmp_eq_u32_e64 s[2:3], 0, v23
	v_and_b32_e32 v42, 7, v42
	v_lshlrev_b32_e32 v10, 8, v10
	v_cndmask_b32_e64 v23, v23, v43, s[2:3]
	v_lshl_add_u32 v23, v23, 10, v33
	v_cndmask_b32_e64 v42, v44, v42, s[2:3]
	v_and_or_b32 v10, v10, s38, v23
	v_lshl_or_b32 v10, v42, 7, v10
	v_cvt_f32_f16_e32 v42, v10
.LBB267_343:                            ;   in Loop: Header=BB267_276 Depth=1
	s_or_b64 exec, exec, s[20:21]
	s_waitcnt vmcnt(0)
	v_pk_mul_f32 v[26:27], v[20:21], v[26:27] op_sel_hi:[0,1]
	v_pk_mul_f32 v[24:25], v[20:21], v[24:25] op_sel_hi:[0,1]
	v_cvt_f16_f32_e32 v10, v27
	v_cvt_f16_f32_e32 v23, v26
	;; [unrolled: 1-line block ×4, first 2 shown]
	v_fma_mixlo_f16 v22, v20, v22, 0
	v_pack_b32_f16 v23, v23, v10
	v_pack_b32_f16 v24, v24, v25
	v_perm_b32 v10, v24, v23, s40
	v_perm_b32 v23, v24, v23, s41
	v_fma_mixlo_f16 v24, v20, v40, 0
	v_lshlrev_b32_e32 v24, 16, v24
	v_or_b32_sdwa v22, v24, v22 dst_sel:DWORD dst_unused:UNUSED_PAD src0_sel:DWORD src1_sel:WORD_0
	v_fma_mixlo_f16 v24, v20, v41, 0
	v_fma_mixlo_f16 v20, v20, v42, 0
	v_lshlrev_b32_e32 v20, 16, v20
	v_or_b32_sdwa v20, v20, v24 dst_sel:DWORD dst_unused:UNUSED_PAD src0_sel:DWORD src1_sel:WORD_0
	s_and_saveexec_b64 s[18:19], s[0:1]
	s_cbranch_execz .LBB267_345
; %bb.344:                              ;   in Loop: Header=BB267_276 Depth=1
	v_add_u32_e32 v25, 1, v34
	v_lshrrev_b32_e32 v26, 16, v23
	v_cmp_gt_i32_e64 s[2:3], s34, v25
	v_lshrrev_b32_e32 v27, 16, v10
	v_lshrrev_b32_e32 v20, 16, v20
	v_cndmask_b32_e64 v25, 0, v26, s[2:3]
	v_cmp_gt_i32_e64 s[2:3], s33, v34
	v_or_b32_e32 v26, 2, v34
	s_nop 0
	v_cndmask_b32_e64 v23, 0, v23, s[2:3]
	v_perm_b32 v23, v25, v23, s43
	v_or_b32_e32 v25, 3, v34
	v_cmp_gt_i32_e64 s[2:3], s34, v25
	s_nop 1
	v_cndmask_b32_e64 v25, 0, v27, s[2:3]
	v_cmp_gt_i32_e64 s[2:3], s33, v26
	v_or_b32_e32 v26, 4, v34
	v_lshrrev_b32_e32 v27, 16, v22
	v_cndmask_b32_e64 v10, 0, v10, s[2:3]
	v_perm_b32 v10, v25, v10, s43
	v_or_b32_e32 v25, 5, v34
	v_cmp_gt_i32_e64 s[2:3], s34, v25
	s_nop 1
	v_cndmask_b32_e64 v25, 0, v27, s[2:3]
	v_cmp_gt_i32_e64 s[2:3], s33, v26
	v_or_b32_e32 v26, 6, v34
	s_nop 0
	v_cndmask_b32_e64 v22, 0, v22, s[2:3]
	v_perm_b32 v22, v25, v22, s43
	v_or_b32_e32 v25, 7, v34
	v_cmp_gt_i32_e64 s[2:3], s34, v25
	s_nop 1
	v_cndmask_b32_e64 v20, 0, v20, s[2:3]
	v_cmp_gt_i32_e64 s[2:3], s33, v26
	s_nop 1
	v_cndmask_b32_e64 v24, 0, v24, s[2:3]
	v_perm_b32 v20, v20, v24, s43
.LBB267_345:                            ;   in Loop: Header=BB267_276 Depth=1
	s_or_b64 exec, exec, s[18:19]
	;;#ASMSTART
	v_pk_mul_f16 v23, v38, v23;

	;;#ASMEND
	;;#ASMSTART
	v_pk_mul_f16 v10, v37, v10;

	;;#ASMEND
	;; [unrolled: 4-line block ×4, first 2 shown]
	s_mov_b64 s[2:3], 0
	;;#ASMSTART
	v_pk_add_f16 v10, v23, v10;

	;;#ASMEND
                                        ; implicit-def: $sgpr22
	s_nop 0
	;;#ASMSTART
	v_pk_add_f16 v10, v10, v22;

	;;#ASMEND
	s_nop 0
	;;#ASMSTART
	v_pk_add_f16 v10, v10, v20;

	;;#ASMEND
	s_nop 0
	v_lshrrev_b32_e32 v20, 16, v10
	v_and_b32_e32 v10, 0xffff, v10
	;;#ASMSTART
	v_cvt_f32_f16 v26, v10;
	;;#ASMEND
	;;#ASMSTART
	v_cvt_f32_f16 v27, v20;
	;;#ASMEND
	global_load_dwordx2 v[22:23], v[18:19], off offset:1024
	global_load_dword v20, v11, s[14:15]
	s_waitcnt vmcnt(1)
	v_cmp_gt_i16_sdwa s[18:19], v22, s36 src0_sel:BYTE_0 src1_sel:DWORD
	s_and_saveexec_b64 s[20:21], s[18:19]
	s_xor_b64 s[18:19], exec, s[20:21]
	s_cbranch_execnz .LBB267_478
; %bb.346:                              ;   in Loop: Header=BB267_276 Depth=1
	s_or_saveexec_b64 s[18:19], s[18:19]
	v_mov_b32_e32 v18, s22
	s_xor_b64 exec, exec, s[18:19]
	s_cbranch_execnz .LBB267_481
.LBB267_347:                            ;   in Loop: Header=BB267_276 Depth=1
	s_or_b64 exec, exec, s[18:19]
	s_and_saveexec_b64 s[18:19], s[2:3]
	s_cbranch_execz .LBB267_349
.LBB267_348:                            ;   in Loop: Header=BB267_276 Depth=1
	v_and_b32_e32 v10, 7, v22
	v_ffbh_u32_e32 v10, v10
	v_bfe_u32 v18, v22, 3, 4
	v_min_u32_e32 v10, 32, v10
	v_subrev_u32_e32 v19, 28, v10
	v_sub_u32_e32 v10, 29, v10
	v_cmp_eq_u32_e64 s[2:3], 0, v18
	s_nop 1
	v_cndmask_b32_e64 v10, v18, v10, s[2:3]
	v_cndmask_b32_e64 v18, 0, v19, s[2:3]
	v_lshlrev_b64 v[18:19], v18, v[22:23]
	v_lshlrev_b32_e32 v19, 8, v22
	v_lshl_add_u32 v10, v10, 10, v33
	v_lshlrev_b32_e32 v18, 7, v18
	v_and_or_b32 v10, v19, s38, v10
	v_and_or_b32 v10, v18, s39, v10
	v_cvt_f32_f16_e32 v18, v10
.LBB267_349:                            ;   in Loop: Header=BB267_276 Depth=1
	s_or_b64 exec, exec, s[18:19]
	v_lshrrev_b16_e32 v10, 8, v22
	v_cmp_lt_i16_e64 s[2:3], s36, v10
	s_mov_b64 s[18:19], 0
                                        ; implicit-def: $sgpr24
	s_and_saveexec_b64 s[20:21], s[2:3]
	s_xor_b64 s[20:21], exec, s[20:21]
	s_cbranch_execnz .LBB267_482
; %bb.350:                              ;   in Loop: Header=BB267_276 Depth=1
	s_or_saveexec_b64 s[20:21], s[20:21]
	v_mov_b32_e32 v24, s24
	s_xor_b64 exec, exec, s[20:21]
	s_cbranch_execnz .LBB267_485
.LBB267_351:                            ;   in Loop: Header=BB267_276 Depth=1
	s_or_b64 exec, exec, s[20:21]
	s_and_saveexec_b64 s[20:21], s[18:19]
	s_cbranch_execz .LBB267_353
.LBB267_352:                            ;   in Loop: Header=BB267_276 Depth=1
	v_and_b32_e32 v19, 7, v10
	v_ffbh_u32_e32 v24, v19
	v_min_u32_e32 v41, 32, v24
	v_subrev_u32_e32 v24, 28, v41
	v_bfe_u32 v40, v10, 3, 4
	v_lshlrev_b64 v[24:25], v24, v[10:11]
	v_sub_u32_e32 v25, 29, v41
	v_cmp_eq_u32_e64 s[2:3], 0, v40
	v_and_b32_e32 v24, 7, v24
	v_lshlrev_b32_e32 v10, 8, v10
	v_cndmask_b32_e64 v25, v40, v25, s[2:3]
	v_cndmask_b32_e64 v19, v19, v24, s[2:3]
	v_lshl_add_u32 v24, v25, 10, v33
	v_and_or_b32 v10, v10, s38, v24
	v_lshl_or_b32 v10, v19, 7, v10
	v_cvt_f32_f16_e32 v24, v10
.LBB267_353:                            ;   in Loop: Header=BB267_276 Depth=1
	s_or_b64 exec, exec, s[20:21]
	v_lshrrev_b32_e32 v10, 16, v22
	v_cmp_gt_i16_sdwa s[18:19], v10, s36 src0_sel:BYTE_0 src1_sel:DWORD
	s_mov_b64 s[2:3], 0
                                        ; implicit-def: $sgpr22
	s_and_saveexec_b64 s[20:21], s[18:19]
	s_xor_b64 s[18:19], exec, s[20:21]
	s_cbranch_execnz .LBB267_486
; %bb.354:                              ;   in Loop: Header=BB267_276 Depth=1
	s_or_saveexec_b64 s[18:19], s[18:19]
	v_mov_b32_e32 v19, s22
	s_xor_b64 exec, exec, s[18:19]
	s_cbranch_execnz .LBB267_489
.LBB267_355:                            ;   in Loop: Header=BB267_276 Depth=1
	s_or_b64 exec, exec, s[18:19]
	s_and_saveexec_b64 s[18:19], s[2:3]
	s_cbranch_execz .LBB267_357
.LBB267_356:                            ;   in Loop: Header=BB267_276 Depth=1
	v_bfe_u32 v19, v22, 16, 3
	v_ffbh_u32_e32 v40, v19
	v_min_u32_e32 v42, 32, v40
	v_subrev_u32_e32 v40, 28, v42
	v_bfe_u32 v25, v22, 19, 4
	v_lshlrev_b64 v[40:41], v40, v[10:11]
	v_sub_u32_e32 v41, 29, v42
	v_cmp_eq_u32_e64 s[2:3], 0, v25
	v_and_b32_e32 v40, 7, v40
	v_lshlrev_b32_e32 v10, 8, v10
	v_cndmask_b32_e64 v25, v25, v41, s[2:3]
	v_lshl_add_u32 v25, v25, 10, v33
	v_cndmask_b32_e64 v19, v19, v40, s[2:3]
	v_and_or_b32 v10, v10, s38, v25
	v_lshl_or_b32 v10, v19, 7, v10
	v_cvt_f32_f16_e32 v19, v10
.LBB267_357:                            ;   in Loop: Header=BB267_276 Depth=1
	s_or_b64 exec, exec, s[18:19]
	v_lshrrev_b32_e32 v10, 24, v22
	v_cmp_lt_i16_e64 s[2:3], s36, v10
	s_mov_b64 s[18:19], 0
                                        ; implicit-def: $sgpr24
	s_and_saveexec_b64 s[20:21], s[2:3]
	s_xor_b64 s[20:21], exec, s[20:21]
	s_cbranch_execnz .LBB267_490
; %bb.358:                              ;   in Loop: Header=BB267_276 Depth=1
	s_or_saveexec_b64 s[20:21], s[20:21]
	v_mov_b32_e32 v25, s24
	s_xor_b64 exec, exec, s[20:21]
	s_cbranch_execnz .LBB267_493
.LBB267_359:                            ;   in Loop: Header=BB267_276 Depth=1
	s_or_b64 exec, exec, s[20:21]
	s_and_saveexec_b64 s[20:21], s[18:19]
	s_cbranch_execz .LBB267_361
.LBB267_360:                            ;   in Loop: Header=BB267_276 Depth=1
	v_bfe_u32 v25, v22, 24, 3
	v_ffbh_u32_e32 v40, v25
	v_min_u32_e32 v42, 32, v40
	v_subrev_u32_e32 v40, 28, v42
	v_bfe_u32 v22, v22, 27, 4
	v_lshlrev_b64 v[40:41], v40, v[10:11]
	v_sub_u32_e32 v41, 29, v42
	v_cmp_eq_u32_e64 s[2:3], 0, v22
	v_and_b32_e32 v40, 7, v40
	v_lshlrev_b32_e32 v10, 8, v10
	v_cndmask_b32_e64 v22, v22, v41, s[2:3]
	v_lshl_add_u32 v22, v22, 10, v33
	v_cndmask_b32_e64 v25, v25, v40, s[2:3]
	v_and_or_b32 v10, v10, s38, v22
	v_lshl_or_b32 v10, v25, 7, v10
	v_cvt_f32_f16_e32 v25, v10
.LBB267_361:                            ;   in Loop: Header=BB267_276 Depth=1
	s_or_b64 exec, exec, s[20:21]
	v_cmp_gt_i16_sdwa s[18:19], v23, s36 src0_sel:BYTE_0 src1_sel:DWORD
	s_mov_b64 s[2:3], 0
                                        ; implicit-def: $sgpr22
	s_and_saveexec_b64 s[20:21], s[18:19]
	s_xor_b64 s[18:19], exec, s[20:21]
	s_cbranch_execnz .LBB267_494
; %bb.362:                              ;   in Loop: Header=BB267_276 Depth=1
	s_or_saveexec_b64 s[18:19], s[18:19]
	v_mov_b32_e32 v22, s22
	s_xor_b64 exec, exec, s[18:19]
	s_cbranch_execnz .LBB267_497
.LBB267_363:                            ;   in Loop: Header=BB267_276 Depth=1
	s_or_b64 exec, exec, s[18:19]
	v_mov_b32_e32 v10, v23
	s_and_saveexec_b64 s[18:19], s[2:3]
	s_cbranch_execz .LBB267_365
.LBB267_364:                            ;   in Loop: Header=BB267_276 Depth=1
	v_and_b32_e32 v22, 7, v23
	v_ffbh_u32_e32 v22, v22
	v_bfe_u32 v40, v23, 3, 4
	v_min_u32_e32 v22, 32, v22
	v_subrev_u32_e32 v41, 28, v22
	v_sub_u32_e32 v22, 29, v22
	v_cmp_eq_u32_e64 s[2:3], 0, v40
	s_nop 1
	v_cndmask_b32_e64 v22, v40, v22, s[2:3]
	v_cndmask_b32_e64 v40, 0, v41, s[2:3]
	v_lshlrev_b64 v[40:41], v40, v[10:11]
	v_lshlrev_b32_e32 v41, 8, v23
	v_lshl_add_u32 v22, v22, 10, v33
	v_lshlrev_b32_e32 v40, 7, v40
	v_and_or_b32 v22, v41, s38, v22
	v_and_or_b32 v22, v40, s39, v22
	v_cvt_f32_f16_e32 v22, v22
.LBB267_365:                            ;   in Loop: Header=BB267_276 Depth=1
	s_or_b64 exec, exec, s[18:19]
	v_lshrrev_b16_e32 v10, 8, v10
	v_cmp_lt_i16_e64 s[2:3], s36, v10
	s_mov_b64 s[18:19], 0
                                        ; implicit-def: $sgpr24
	s_and_saveexec_b64 s[20:21], s[2:3]
	s_xor_b64 s[20:21], exec, s[20:21]
	s_cbranch_execnz .LBB267_498
; %bb.366:                              ;   in Loop: Header=BB267_276 Depth=1
	s_or_saveexec_b64 s[20:21], s[20:21]
	v_mov_b32_e32 v40, s24
	s_xor_b64 exec, exec, s[20:21]
	s_cbranch_execnz .LBB267_501
.LBB267_367:                            ;   in Loop: Header=BB267_276 Depth=1
	s_or_b64 exec, exec, s[20:21]
	s_and_saveexec_b64 s[20:21], s[18:19]
	s_cbranch_execz .LBB267_369
.LBB267_368:                            ;   in Loop: Header=BB267_276 Depth=1
	v_and_b32_e32 v42, 7, v10
	v_ffbh_u32_e32 v40, v42
	v_min_u32_e32 v44, 32, v40
	v_subrev_u32_e32 v40, 28, v44
	v_bfe_u32 v43, v10, 3, 4
	v_lshlrev_b64 v[40:41], v40, v[10:11]
	v_sub_u32_e32 v41, 29, v44
	v_cmp_eq_u32_e64 s[2:3], 0, v43
	v_and_b32_e32 v40, 7, v40
	v_lshlrev_b32_e32 v10, 8, v10
	v_cndmask_b32_e64 v41, v43, v41, s[2:3]
	v_lshl_add_u32 v41, v41, 10, v33
	v_cndmask_b32_e64 v40, v42, v40, s[2:3]
	v_and_or_b32 v10, v10, s38, v41
	v_lshl_or_b32 v10, v40, 7, v10
	v_cvt_f32_f16_e32 v40, v10
.LBB267_369:                            ;   in Loop: Header=BB267_276 Depth=1
	s_or_b64 exec, exec, s[20:21]
	v_lshrrev_b32_e32 v10, 16, v23
	v_cmp_gt_i16_sdwa s[18:19], v10, s36 src0_sel:BYTE_0 src1_sel:DWORD
	s_mov_b64 s[2:3], 0
                                        ; implicit-def: $sgpr22
	s_and_saveexec_b64 s[20:21], s[18:19]
	s_xor_b64 s[18:19], exec, s[20:21]
	s_cbranch_execnz .LBB267_502
; %bb.370:                              ;   in Loop: Header=BB267_276 Depth=1
	s_or_saveexec_b64 s[18:19], s[18:19]
	v_mov_b32_e32 v41, s22
	s_xor_b64 exec, exec, s[18:19]
	s_cbranch_execnz .LBB267_505
.LBB267_371:                            ;   in Loop: Header=BB267_276 Depth=1
	s_or_b64 exec, exec, s[18:19]
	s_and_saveexec_b64 s[18:19], s[2:3]
	s_cbranch_execz .LBB267_373
.LBB267_372:                            ;   in Loop: Header=BB267_276 Depth=1
	v_bfe_u32 v41, v23, 16, 3
	v_ffbh_u32_e32 v42, v41
	v_min_u32_e32 v45, 32, v42
	v_subrev_u32_e32 v42, 28, v45
	v_bfe_u32 v44, v23, 19, 4
	v_lshlrev_b64 v[42:43], v42, v[10:11]
	v_sub_u32_e32 v43, 29, v45
	v_cmp_eq_u32_e64 s[2:3], 0, v44
	v_and_b32_e32 v42, 7, v42
	v_lshlrev_b32_e32 v10, 8, v10
	v_cndmask_b32_e64 v43, v44, v43, s[2:3]
	v_cndmask_b32_e64 v41, v41, v42, s[2:3]
	v_lshl_add_u32 v42, v43, 10, v33
	v_and_or_b32 v10, v10, s38, v42
	v_lshl_or_b32 v10, v41, 7, v10
	v_cvt_f32_f16_e32 v41, v10
.LBB267_373:                            ;   in Loop: Header=BB267_276 Depth=1
	s_or_b64 exec, exec, s[18:19]
	v_lshrrev_b32_e32 v10, 24, v23
	v_cmp_lt_i16_e64 s[2:3], s36, v10
	s_mov_b64 s[18:19], 0
                                        ; implicit-def: $sgpr24
	s_and_saveexec_b64 s[20:21], s[2:3]
	s_xor_b64 s[20:21], exec, s[20:21]
	s_cbranch_execnz .LBB267_506
; %bb.374:                              ;   in Loop: Header=BB267_276 Depth=1
	s_or_saveexec_b64 s[20:21], s[20:21]
	v_mov_b32_e32 v42, s24
	s_xor_b64 exec, exec, s[20:21]
	s_cbranch_execnz .LBB267_509
.LBB267_375:                            ;   in Loop: Header=BB267_276 Depth=1
	s_or_b64 exec, exec, s[20:21]
	s_and_saveexec_b64 s[20:21], s[18:19]
	s_cbranch_execz .LBB267_377
.LBB267_376:                            ;   in Loop: Header=BB267_276 Depth=1
	v_bfe_u32 v44, v23, 24, 3
	v_ffbh_u32_e32 v42, v44
	v_min_u32_e32 v45, 32, v42
	v_subrev_u32_e32 v42, 28, v45
	v_bfe_u32 v23, v23, 27, 4
	v_lshlrev_b64 v[42:43], v42, v[10:11]
	v_sub_u32_e32 v43, 29, v45
	v_cmp_eq_u32_e64 s[2:3], 0, v23
	v_and_b32_e32 v42, 7, v42
	v_lshlrev_b32_e32 v10, 8, v10
	v_cndmask_b32_e64 v23, v23, v43, s[2:3]
	v_lshl_add_u32 v23, v23, 10, v33
	v_cndmask_b32_e64 v42, v44, v42, s[2:3]
	v_and_or_b32 v10, v10, s38, v23
	v_lshl_or_b32 v10, v42, 7, v10
	v_cvt_f32_f16_e32 v42, v10
.LBB267_377:                            ;   in Loop: Header=BB267_276 Depth=1
	s_or_b64 exec, exec, s[20:21]
	s_waitcnt vmcnt(0)
	v_pk_mul_f32 v[18:19], v[20:21], v[18:19] op_sel_hi:[0,1]
	v_cvt_f16_f32_e32 v19, v19
	v_cvt_f16_f32_e32 v18, v18
	v_pk_mul_f32 v[24:25], v[20:21], v[24:25] op_sel_hi:[0,1]
	v_cvt_f16_f32_e32 v10, v25
	v_cvt_f16_f32_e32 v23, v24
	v_pack_b32_f16 v18, v18, v19
	v_fma_mixlo_f16 v19, v20, v40, 0
	v_lshlrev_b32_e32 v19, 16, v19
	v_fma_mixlo_f16 v22, v20, v22, 0
	v_or_b32_sdwa v19, v19, v22 dst_sel:DWORD dst_unused:UNUSED_PAD src0_sel:DWORD src1_sel:WORD_0
	v_fma_mixlo_f16 v22, v20, v41, 0
	v_fma_mixlo_f16 v20, v20, v42, 0
	v_pack_b32_f16 v23, v23, v10
	v_lshlrev_b32_e32 v20, 16, v20
	v_perm_b32 v10, v18, v23, s40
	v_perm_b32 v18, v18, v23, s41
	v_or_b32_sdwa v20, v20, v22 dst_sel:DWORD dst_unused:UNUSED_PAD src0_sel:DWORD src1_sel:WORD_0
	s_and_saveexec_b64 s[18:19], s[0:1]
	s_cbranch_execz .LBB267_379
; %bb.378:                              ;   in Loop: Header=BB267_276 Depth=1
	v_add_u32_e32 v23, 1, v34
	v_lshrrev_b32_e32 v24, 16, v18
	v_cmp_gt_i32_e64 s[2:3], s34, v23
	v_lshrrev_b32_e32 v25, 16, v10
	v_lshrrev_b32_e32 v20, 16, v20
	v_cndmask_b32_e64 v23, 0, v24, s[2:3]
	v_cmp_gt_i32_e64 s[2:3], s33, v34
	v_or_b32_e32 v24, 2, v34
	s_nop 0
	v_cndmask_b32_e64 v18, 0, v18, s[2:3]
	v_perm_b32 v18, v23, v18, s43
	v_or_b32_e32 v23, 3, v34
	v_cmp_gt_i32_e64 s[2:3], s34, v23
	s_nop 1
	v_cndmask_b32_e64 v23, 0, v25, s[2:3]
	v_cmp_gt_i32_e64 s[2:3], s33, v24
	v_or_b32_e32 v24, 4, v34
	v_lshrrev_b32_e32 v25, 16, v19
	v_cndmask_b32_e64 v10, 0, v10, s[2:3]
	v_perm_b32 v10, v23, v10, s43
	v_or_b32_e32 v23, 5, v34
	v_cmp_gt_i32_e64 s[2:3], s34, v23
	s_nop 1
	v_cndmask_b32_e64 v23, 0, v25, s[2:3]
	v_cmp_gt_i32_e64 s[2:3], s33, v24
	v_or_b32_e32 v24, 6, v34
	s_nop 0
	v_cndmask_b32_e64 v19, 0, v19, s[2:3]
	v_perm_b32 v19, v23, v19, s43
	v_or_b32_e32 v23, 7, v34
	v_cmp_gt_i32_e64 s[2:3], s34, v23
	s_nop 1
	v_cndmask_b32_e64 v20, 0, v20, s[2:3]
	v_cmp_gt_i32_e64 s[2:3], s33, v24
	s_nop 1
	v_cndmask_b32_e64 v22, 0, v22, s[2:3]
	v_perm_b32 v20, v20, v22, s43
.LBB267_379:                            ;   in Loop: Header=BB267_276 Depth=1
	s_or_b64 exec, exec, s[18:19]
	;;#ASMSTART
	v_pk_mul_f16 v18, v38, v18;

	;;#ASMEND
	;;#ASMSTART
	v_pk_mul_f16 v10, v37, v10;

	;;#ASMEND
	;; [unrolled: 4-line block ×4, first 2 shown]
	v_add_f32_e32 v21, v21, v39
	;;#ASMSTART
	v_pk_add_f16 v10, v18, v10;

	;;#ASMEND
	v_add_f32_e32 v2, v2, v21
	;;#ASMSTART
	v_pk_add_f16 v10, v10, v19;

	;;#ASMEND
	;; [unrolled: 5-line block ×3, first 2 shown]
	v_add_f32_e32 v3, v3, v21
	v_lshrrev_b32_e32 v18, 16, v10
	v_and_b32_e32 v10, 0xffff, v10
	;;#ASMSTART
	v_cvt_f32_f16 v10, v10;
	;;#ASMEND
	;;#ASMSTART
	v_cvt_f32_f16 v18, v18;
	;;#ASMEND
	s_nop 0
	v_add_f32_e32 v10, v10, v18
	v_add_f32_e32 v4, v4, v10
	s_and_saveexec_b64 s[18:19], vcc
	s_cbranch_execz .LBB267_274
; %bb.380:                              ;   in Loop: Header=BB267_276 Depth=1
	v_lshl_add_u64 v[20:21], v[16:17], 0, v[12:13]
	global_load_dwordx2 v[18:19], v[20:21], off
	global_load_dword v16, v11, s[14:15]
	s_mov_b64 s[2:3], 0
                                        ; implicit-def: $sgpr24
	s_waitcnt vmcnt(1)
	v_cmp_gt_i16_sdwa s[20:21], v18, s36 src0_sel:BYTE_0 src1_sel:DWORD
	s_and_saveexec_b64 s[22:23], s[20:21]
	s_xor_b64 s[20:21], exec, s[22:23]
	s_cbranch_execnz .LBB267_510
; %bb.381:                              ;   in Loop: Header=BB267_276 Depth=1
	s_or_saveexec_b64 s[20:21], s[20:21]
	v_mov_b32_e32 v20, s24
	s_xor_b64 exec, exec, s[20:21]
	s_cbranch_execnz .LBB267_513
.LBB267_382:                            ;   in Loop: Header=BB267_276 Depth=1
	s_or_b64 exec, exec, s[20:21]
	s_and_saveexec_b64 s[20:21], s[2:3]
	s_cbranch_execz .LBB267_384
.LBB267_383:                            ;   in Loop: Header=BB267_276 Depth=1
	v_and_b32_e32 v10, 7, v18
	v_ffbh_u32_e32 v10, v10
	v_bfe_u32 v17, v18, 3, 4
	v_min_u32_e32 v10, 32, v10
	v_subrev_u32_e32 v20, 28, v10
	v_sub_u32_e32 v10, 29, v10
	v_cmp_eq_u32_e64 s[2:3], 0, v17
	s_nop 1
	v_cndmask_b32_e64 v10, v17, v10, s[2:3]
	v_cndmask_b32_e64 v17, 0, v20, s[2:3]
	v_lshlrev_b64 v[20:21], v17, v[18:19]
	v_lshlrev_b32_e32 v17, 7, v20
	v_lshlrev_b32_e32 v20, 8, v18
	v_lshl_add_u32 v10, v10, 10, v33
	v_and_or_b32 v10, v20, s38, v10
	v_and_or_b32 v10, v17, s39, v10
	v_cvt_f32_f16_e32 v20, v10
.LBB267_384:                            ;   in Loop: Header=BB267_276 Depth=1
	s_or_b64 exec, exec, s[20:21]
	v_lshrrev_b16_e32 v10, 8, v18
	v_cmp_lt_i16_e64 s[2:3], s36, v10
	s_mov_b64 s[20:21], 0
                                        ; implicit-def: $sgpr44
	s_and_saveexec_b64 s[22:23], s[2:3]
	s_xor_b64 s[22:23], exec, s[22:23]
	s_cbranch_execnz .LBB267_514
; %bb.385:                              ;   in Loop: Header=BB267_276 Depth=1
	s_or_saveexec_b64 s[22:23], s[22:23]
	v_mov_b32_e32 v22, s44
	s_xor_b64 exec, exec, s[22:23]
	s_cbranch_execnz .LBB267_517
.LBB267_386:                            ;   in Loop: Header=BB267_276 Depth=1
	s_or_b64 exec, exec, s[22:23]
	s_and_saveexec_b64 s[22:23], s[20:21]
	s_cbranch_execz .LBB267_388
.LBB267_387:                            ;   in Loop: Header=BB267_276 Depth=1
	v_and_b32_e32 v17, 7, v10
	v_ffbh_u32_e32 v22, v17
	v_min_u32_e32 v24, 32, v22
	v_subrev_u32_e32 v22, 28, v24
	v_bfe_u32 v21, v10, 3, 4
	v_lshlrev_b64 v[22:23], v22, v[10:11]
	v_sub_u32_e32 v23, 29, v24
	v_cmp_eq_u32_e64 s[2:3], 0, v21
	v_and_b32_e32 v22, 7, v22
	v_lshlrev_b32_e32 v10, 8, v10
	v_cndmask_b32_e64 v21, v21, v23, s[2:3]
	v_lshl_add_u32 v21, v21, 10, v33
	v_cndmask_b32_e64 v17, v17, v22, s[2:3]
	v_and_or_b32 v10, v10, s38, v21
	v_lshl_or_b32 v10, v17, 7, v10
	v_cvt_f32_f16_e32 v22, v10
.LBB267_388:                            ;   in Loop: Header=BB267_276 Depth=1
	s_or_b64 exec, exec, s[22:23]
	v_lshrrev_b32_e32 v10, 16, v18
	v_cmp_gt_i16_sdwa s[20:21], v10, s36 src0_sel:BYTE_0 src1_sel:DWORD
	s_mov_b64 s[2:3], 0
                                        ; implicit-def: $sgpr24
	s_and_saveexec_b64 s[22:23], s[20:21]
	s_xor_b64 s[20:21], exec, s[22:23]
	s_cbranch_execnz .LBB267_518
; %bb.389:                              ;   in Loop: Header=BB267_276 Depth=1
	s_or_saveexec_b64 s[20:21], s[20:21]
	v_mov_b32_e32 v21, s24
	s_xor_b64 exec, exec, s[20:21]
	s_cbranch_execnz .LBB267_521
.LBB267_390:                            ;   in Loop: Header=BB267_276 Depth=1
	s_or_b64 exec, exec, s[20:21]
	s_and_saveexec_b64 s[20:21], s[2:3]
	s_cbranch_execz .LBB267_392
.LBB267_391:                            ;   in Loop: Header=BB267_276 Depth=1
	v_bfe_u32 v17, v18, 16, 3
	v_ffbh_u32_e32 v23, v17
	v_bfe_u32 v21, v18, 19, 4
	v_min_u32_e32 v23, 32, v23
	v_subrev_u32_e32 v24, 28, v23
	v_sub_u32_e32 v23, 29, v23
	v_cmp_eq_u32_e64 s[2:3], 0, v21
	v_lshlrev_b64 v[24:25], v24, v[10:11]
	v_and_b32_e32 v24, 7, v24
	v_cndmask_b32_e64 v21, v21, v23, s[2:3]
	v_lshlrev_b32_e32 v10, 8, v10
	v_lshl_add_u32 v21, v21, 10, v33
	v_cndmask_b32_e64 v17, v17, v24, s[2:3]
	v_and_or_b32 v10, v10, s38, v21
	v_lshl_or_b32 v10, v17, 7, v10
	v_cvt_f32_f16_e32 v21, v10
.LBB267_392:                            ;   in Loop: Header=BB267_276 Depth=1
	s_or_b64 exec, exec, s[20:21]
	v_lshrrev_b32_e32 v10, 24, v18
	v_cmp_lt_i16_e64 s[2:3], s36, v10
	s_mov_b64 s[20:21], 0
                                        ; implicit-def: $sgpr44
	s_and_saveexec_b64 s[22:23], s[2:3]
	s_xor_b64 s[22:23], exec, s[22:23]
	s_cbranch_execnz .LBB267_522
; %bb.393:                              ;   in Loop: Header=BB267_276 Depth=1
	s_or_saveexec_b64 s[22:23], s[22:23]
	v_mov_b32_e32 v23, s44
	s_xor_b64 exec, exec, s[22:23]
	s_cbranch_execnz .LBB267_525
.LBB267_394:                            ;   in Loop: Header=BB267_276 Depth=1
	s_or_b64 exec, exec, s[22:23]
	s_and_saveexec_b64 s[22:23], s[20:21]
	s_cbranch_execz .LBB267_396
.LBB267_395:                            ;   in Loop: Header=BB267_276 Depth=1
	v_bfe_u32 v17, v18, 24, 3
	v_ffbh_u32_e32 v23, v17
	v_bfe_u32 v18, v18, 27, 4
	v_min_u32_e32 v23, 32, v23
	v_subrev_u32_e32 v24, 28, v23
	v_sub_u32_e32 v23, 29, v23
	v_cmp_eq_u32_e64 s[2:3], 0, v18
	v_lshlrev_b64 v[24:25], v24, v[10:11]
	v_and_b32_e32 v24, 7, v24
	v_cndmask_b32_e64 v18, v18, v23, s[2:3]
	v_lshlrev_b32_e32 v10, 8, v10
	v_lshl_add_u32 v18, v18, 10, v33
	v_cndmask_b32_e64 v17, v17, v24, s[2:3]
	v_and_or_b32 v10, v10, s38, v18
	v_lshl_or_b32 v10, v17, 7, v10
	v_cvt_f32_f16_e32 v23, v10
.LBB267_396:                            ;   in Loop: Header=BB267_276 Depth=1
	s_or_b64 exec, exec, s[22:23]
	v_cmp_gt_i16_sdwa s[20:21], v19, s36 src0_sel:BYTE_0 src1_sel:DWORD
	s_mov_b64 s[2:3], 0
                                        ; implicit-def: $sgpr24
	s_and_saveexec_b64 s[22:23], s[20:21]
	s_xor_b64 s[20:21], exec, s[22:23]
	s_cbranch_execnz .LBB267_526
; %bb.397:                              ;   in Loop: Header=BB267_276 Depth=1
	s_or_saveexec_b64 s[20:21], s[20:21]
	v_mov_b32_e32 v17, s24
	s_xor_b64 exec, exec, s[20:21]
	s_cbranch_execnz .LBB267_529
.LBB267_398:                            ;   in Loop: Header=BB267_276 Depth=1
	s_or_b64 exec, exec, s[20:21]
	v_mov_b32_e32 v10, v19
	s_and_saveexec_b64 s[20:21], s[2:3]
	s_cbranch_execz .LBB267_400
.LBB267_399:                            ;   in Loop: Header=BB267_276 Depth=1
	v_and_b32_e32 v17, 7, v19
	v_ffbh_u32_e32 v17, v17
	v_bfe_u32 v18, v19, 3, 4
	v_min_u32_e32 v17, 32, v17
	v_subrev_u32_e32 v24, 28, v17
	v_sub_u32_e32 v17, 29, v17
	v_cmp_eq_u32_e64 s[2:3], 0, v18
	s_nop 1
	v_cndmask_b32_e64 v17, v18, v17, s[2:3]
	v_cndmask_b32_e64 v18, 0, v24, s[2:3]
	v_lshlrev_b64 v[24:25], v18, v[10:11]
	v_lshlrev_b32_e32 v18, 7, v24
	v_lshlrev_b32_e32 v24, 8, v19
	v_lshl_add_u32 v17, v17, 10, v33
	v_and_or_b32 v17, v24, s38, v17
	v_and_or_b32 v17, v18, s39, v17
	v_cvt_f32_f16_e32 v17, v17
.LBB267_400:                            ;   in Loop: Header=BB267_276 Depth=1
	s_or_b64 exec, exec, s[20:21]
	v_lshrrev_b16_e32 v10, 8, v10
	v_cmp_lt_i16_e64 s[2:3], s36, v10
	s_mov_b64 s[20:21], 0
                                        ; implicit-def: $sgpr44
	s_and_saveexec_b64 s[22:23], s[2:3]
	s_xor_b64 s[22:23], exec, s[22:23]
	s_cbranch_execnz .LBB267_530
; %bb.401:                              ;   in Loop: Header=BB267_276 Depth=1
	s_or_saveexec_b64 s[22:23], s[22:23]
	v_mov_b32_e32 v18, s44
	s_xor_b64 exec, exec, s[22:23]
	s_cbranch_execnz .LBB267_533
.LBB267_402:                            ;   in Loop: Header=BB267_276 Depth=1
	s_or_b64 exec, exec, s[22:23]
	s_and_saveexec_b64 s[22:23], s[20:21]
	s_cbranch_execz .LBB267_404
.LBB267_403:                            ;   in Loop: Header=BB267_276 Depth=1
	v_and_b32_e32 v18, 7, v10
	v_ffbh_u32_e32 v24, v18
	v_min_u32_e32 v27, 32, v24
	v_subrev_u32_e32 v24, 28, v27
	v_bfe_u32 v26, v10, 3, 4
	v_lshlrev_b64 v[24:25], v24, v[10:11]
	v_sub_u32_e32 v25, 29, v27
	v_cmp_eq_u32_e64 s[2:3], 0, v26
	v_and_b32_e32 v24, 7, v24
	v_lshlrev_b32_e32 v10, 8, v10
	v_cndmask_b32_e64 v25, v26, v25, s[2:3]
	v_cndmask_b32_e64 v18, v18, v24, s[2:3]
	v_lshl_add_u32 v24, v25, 10, v33
	v_and_or_b32 v10, v10, s38, v24
	v_lshl_or_b32 v10, v18, 7, v10
	v_cvt_f32_f16_e32 v18, v10
.LBB267_404:                            ;   in Loop: Header=BB267_276 Depth=1
	s_or_b64 exec, exec, s[22:23]
	v_lshrrev_b32_e32 v10, 16, v19
	v_cmp_gt_i16_sdwa s[20:21], v10, s36 src0_sel:BYTE_0 src1_sel:DWORD
	s_mov_b64 s[2:3], 0
                                        ; implicit-def: $sgpr24
	s_and_saveexec_b64 s[22:23], s[20:21]
	s_xor_b64 s[20:21], exec, s[22:23]
	s_cbranch_execnz .LBB267_534
; %bb.405:                              ;   in Loop: Header=BB267_276 Depth=1
	s_or_saveexec_b64 s[20:21], s[20:21]
	v_mov_b32_e32 v24, s24
	s_xor_b64 exec, exec, s[20:21]
	s_cbranch_execnz .LBB267_537
.LBB267_406:                            ;   in Loop: Header=BB267_276 Depth=1
	s_or_b64 exec, exec, s[20:21]
	s_and_saveexec_b64 s[20:21], s[2:3]
	s_cbranch_execz .LBB267_408
.LBB267_407:                            ;   in Loop: Header=BB267_276 Depth=1
	v_bfe_u32 v26, v19, 16, 3
	v_ffbh_u32_e32 v24, v26
	v_min_u32_e32 v39, 32, v24
	v_subrev_u32_e32 v24, 28, v39
	v_bfe_u32 v27, v19, 19, 4
	v_lshlrev_b64 v[24:25], v24, v[10:11]
	v_sub_u32_e32 v25, 29, v39
	v_cmp_eq_u32_e64 s[2:3], 0, v27
	v_and_b32_e32 v24, 7, v24
	v_lshlrev_b32_e32 v10, 8, v10
	v_cndmask_b32_e64 v25, v27, v25, s[2:3]
	v_lshl_add_u32 v25, v25, 10, v33
	v_cndmask_b32_e64 v24, v26, v24, s[2:3]
	v_and_or_b32 v10, v10, s38, v25
	v_lshl_or_b32 v10, v24, 7, v10
	v_cvt_f32_f16_e32 v24, v10
.LBB267_408:                            ;   in Loop: Header=BB267_276 Depth=1
	s_or_b64 exec, exec, s[20:21]
	v_lshrrev_b32_e32 v10, 24, v19
	v_cmp_lt_i16_e64 s[2:3], s36, v10
	s_mov_b64 s[20:21], 0
                                        ; implicit-def: $sgpr44
	s_and_saveexec_b64 s[22:23], s[2:3]
	s_xor_b64 s[22:23], exec, s[22:23]
	s_cbranch_execnz .LBB267_538
; %bb.409:                              ;   in Loop: Header=BB267_276 Depth=1
	s_or_saveexec_b64 s[22:23], s[22:23]
	v_mov_b32_e32 v25, s44
	s_xor_b64 exec, exec, s[22:23]
	s_cbranch_execnz .LBB267_541
.LBB267_410:                            ;   in Loop: Header=BB267_276 Depth=1
	s_or_b64 exec, exec, s[22:23]
	s_and_saveexec_b64 s[22:23], s[20:21]
	s_cbranch_execz .LBB267_412
.LBB267_411:                            ;   in Loop: Header=BB267_276 Depth=1
	v_bfe_u32 v25, v19, 24, 3
	v_ffbh_u32_e32 v26, v25
	v_min_u32_e32 v39, 32, v26
	v_subrev_u32_e32 v26, 28, v39
	v_bfe_u32 v19, v19, 27, 4
	v_lshlrev_b64 v[26:27], v26, v[10:11]
	v_sub_u32_e32 v27, 29, v39
	v_cmp_eq_u32_e64 s[2:3], 0, v19
	v_and_b32_e32 v26, 7, v26
	v_lshlrev_b32_e32 v10, 8, v10
	v_cndmask_b32_e64 v19, v19, v27, s[2:3]
	v_lshl_add_u32 v19, v19, 10, v33
	v_cndmask_b32_e64 v25, v25, v26, s[2:3]
	v_and_or_b32 v10, v10, s38, v19
	v_lshl_or_b32 v10, v25, 7, v10
	v_cvt_f32_f16_e32 v25, v10
.LBB267_412:                            ;   in Loop: Header=BB267_276 Depth=1
	s_or_b64 exec, exec, s[22:23]
	s_waitcnt vmcnt(0)
	v_pk_mul_f32 v[22:23], v[16:17], v[22:23] op_sel_hi:[0,1]
	v_pk_mul_f32 v[20:21], v[16:17], v[20:21] op_sel_hi:[0,1]
	v_cvt_f16_f32_e32 v10, v23
	v_cvt_f16_f32_e32 v19, v22
	;; [unrolled: 1-line block ×4, first 2 shown]
	v_fma_mixlo_f16 v18, v16, v18, 0
	v_lshlrev_b32_e32 v18, 16, v18
	v_fma_mixlo_f16 v17, v16, v17, 0
	v_or_b32_sdwa v17, v18, v17 dst_sel:DWORD dst_unused:UNUSED_PAD src0_sel:DWORD src1_sel:WORD_0
	v_fma_mixlo_f16 v18, v16, v24, 0
	v_fma_mixlo_f16 v16, v16, v25, 0
	v_pack_b32_f16 v19, v19, v10
	v_pack_b32_f16 v20, v20, v21
	v_lshlrev_b32_e32 v16, 16, v16
	v_perm_b32 v10, v20, v19, s40
	v_perm_b32 v19, v20, v19, s41
	v_or_b32_sdwa v16, v16, v18 dst_sel:DWORD dst_unused:UNUSED_PAD src0_sel:DWORD src1_sel:WORD_0
	s_and_saveexec_b64 s[2:3], s[0:1]
	s_cbranch_execz .LBB267_273
; %bb.413:                              ;   in Loop: Header=BB267_276 Depth=1
	v_add_u32_e32 v20, 1, v34
	v_lshrrev_b32_e32 v21, 16, v19
	v_cmp_gt_i32_e64 s[0:1], s34, v20
	v_lshrrev_b32_e32 v22, 16, v10
	v_lshrrev_b32_e32 v16, 16, v16
	v_cndmask_b32_e64 v20, 0, v21, s[0:1]
	v_cmp_gt_i32_e64 s[0:1], s33, v34
	v_or_b32_e32 v21, 2, v34
	s_nop 0
	v_cndmask_b32_e64 v19, 0, v19, s[0:1]
	v_perm_b32 v19, v20, v19, s43
	v_or_b32_e32 v20, 3, v34
	v_cmp_gt_i32_e64 s[0:1], s34, v20
	s_nop 1
	v_cndmask_b32_e64 v20, 0, v22, s[0:1]
	v_cmp_gt_i32_e64 s[0:1], s33, v21
	v_or_b32_e32 v21, 4, v34
	v_lshrrev_b32_e32 v22, 16, v17
	v_cndmask_b32_e64 v10, 0, v10, s[0:1]
	v_perm_b32 v10, v20, v10, s43
	v_or_b32_e32 v20, 5, v34
	v_cmp_gt_i32_e64 s[0:1], s34, v20
	s_nop 1
	v_cndmask_b32_e64 v20, 0, v22, s[0:1]
	v_cmp_gt_i32_e64 s[0:1], s33, v21
	v_or_b32_e32 v21, 6, v34
	s_nop 0
	v_cndmask_b32_e64 v17, 0, v17, s[0:1]
	v_perm_b32 v17, v20, v17, s43
	v_or_b32_e32 v20, 7, v34
	v_cmp_gt_i32_e64 s[0:1], s34, v20
	s_nop 1
	v_cndmask_b32_e64 v16, 0, v16, s[0:1]
	v_cmp_gt_i32_e64 s[0:1], s33, v21
	s_nop 1
	v_cndmask_b32_e64 v18, 0, v18, s[0:1]
	v_perm_b32 v16, v16, v18, s43
	s_branch .LBB267_273
.LBB267_414:                            ;   in Loop: Header=BB267_276 Depth=1
	v_cmp_eq_u16_sdwa s[22:23], v22, s37 src0_sel:BYTE_0 src1_sel:DWORD
	s_mov_b64 s[0:1], -1
                                        ; implicit-def: $sgpr20
	s_and_saveexec_b64 s[18:19], s[22:23]
; %bb.415:                              ;   in Loop: Header=BB267_276 Depth=1
	s_mov_b32 s20, 0x7fc02000
	s_xor_b64 s[0:1], exec, -1
; %bb.416:                              ;   in Loop: Header=BB267_276 Depth=1
	s_or_b64 exec, exec, s[18:19]
	s_and_b64 s[0:1], s[0:1], exec
	s_or_saveexec_b64 s[2:3], s[2:3]
	v_mov_b32_e32 v24, s20
	s_xor_b64 exec, exec, s[2:3]
	s_cbranch_execz .LBB267_279
.LBB267_417:                            ;   in Loop: Header=BB267_276 Depth=1
	v_cmp_ne_u16_sdwa s[18:19], v22, v11 src0_sel:BYTE_0 src1_sel:DWORD
	s_andn2_b64 s[0:1], s[0:1], exec
	s_and_b64 s[18:19], s[18:19], exec
	v_mov_b32_e32 v24, 0
	s_or_b64 s[0:1], s[0:1], s[18:19]
	s_or_b64 exec, exec, s[2:3]
	s_and_saveexec_b64 s[2:3], s[0:1]
	s_cbranch_execnz .LBB267_280
	s_branch .LBB267_281
.LBB267_418:                            ;   in Loop: Header=BB267_276 Depth=1
	v_cmp_eq_u16_e64 s[0:1], s37, v10
	s_mov_b64 s[2:3], -1
                                        ; implicit-def: $sgpr22
	s_and_saveexec_b64 s[20:21], s[0:1]
; %bb.419:                              ;   in Loop: Header=BB267_276 Depth=1
	s_mov_b32 s22, 0x7fc02000
	s_xor_b64 s[2:3], exec, -1
; %bb.420:                              ;   in Loop: Header=BB267_276 Depth=1
	s_or_b64 exec, exec, s[20:21]
	s_and_b64 s[2:3], s[2:3], exec
	s_or_saveexec_b64 s[18:19], s[18:19]
	v_mov_b32_e32 v26, s22
	s_xor_b64 exec, exec, s[18:19]
	s_cbranch_execz .LBB267_283
.LBB267_421:                            ;   in Loop: Header=BB267_276 Depth=1
	v_cmp_ne_u16_e64 s[0:1], 0, v10
	s_andn2_b64 s[2:3], s[2:3], exec
	s_and_b64 s[0:1], s[0:1], exec
	v_mov_b32_e32 v26, 0
	s_or_b64 s[2:3], s[2:3], s[0:1]
	s_or_b64 exec, exec, s[18:19]
	s_and_saveexec_b64 s[18:19], s[2:3]
	s_cbranch_execnz .LBB267_284
	s_branch .LBB267_285
.LBB267_422:                            ;   in Loop: Header=BB267_276 Depth=1
	v_cmp_eq_u16_sdwa s[22:23], v10, s37 src0_sel:BYTE_0 src1_sel:DWORD
	s_mov_b64 s[0:1], -1
                                        ; implicit-def: $sgpr20
	s_and_saveexec_b64 s[18:19], s[22:23]
; %bb.423:                              ;   in Loop: Header=BB267_276 Depth=1
	s_mov_b32 s20, 0x7fc02000
	s_xor_b64 s[0:1], exec, -1
; %bb.424:                              ;   in Loop: Header=BB267_276 Depth=1
	s_or_b64 exec, exec, s[18:19]
	s_and_b64 s[0:1], s[0:1], exec
	s_or_saveexec_b64 s[2:3], s[2:3]
	v_mov_b32_e32 v25, s20
	s_xor_b64 exec, exec, s[2:3]
	s_cbranch_execz .LBB267_287
.LBB267_425:                            ;   in Loop: Header=BB267_276 Depth=1
	v_cmp_ne_u16_sdwa s[18:19], v10, v11 src0_sel:BYTE_0 src1_sel:DWORD
	s_andn2_b64 s[0:1], s[0:1], exec
	s_and_b64 s[18:19], s[18:19], exec
	v_mov_b32_e32 v25, 0
	s_or_b64 s[0:1], s[0:1], s[18:19]
	s_or_b64 exec, exec, s[2:3]
	s_and_saveexec_b64 s[2:3], s[0:1]
	s_cbranch_execnz .LBB267_288
	s_branch .LBB267_289
.LBB267_426:                            ;   in Loop: Header=BB267_276 Depth=1
	v_cmp_eq_u16_e64 s[0:1], s37, v10
	s_mov_b64 s[2:3], -1
                                        ; implicit-def: $sgpr22
	s_and_saveexec_b64 s[20:21], s[0:1]
; %bb.427:                              ;   in Loop: Header=BB267_276 Depth=1
	s_mov_b32 s22, 0x7fc02000
	s_xor_b64 s[2:3], exec, -1
; %bb.428:                              ;   in Loop: Header=BB267_276 Depth=1
	s_or_b64 exec, exec, s[20:21]
	s_and_b64 s[2:3], s[2:3], exec
	s_or_saveexec_b64 s[18:19], s[18:19]
	v_mov_b32_e32 v27, s22
	s_xor_b64 exec, exec, s[18:19]
	s_cbranch_execz .LBB267_291
.LBB267_429:                            ;   in Loop: Header=BB267_276 Depth=1
	v_cmp_ne_u16_e64 s[0:1], 0, v10
	s_andn2_b64 s[2:3], s[2:3], exec
	s_and_b64 s[0:1], s[0:1], exec
	v_mov_b32_e32 v27, 0
	s_or_b64 s[2:3], s[2:3], s[0:1]
	s_or_b64 exec, exec, s[18:19]
	s_and_saveexec_b64 s[18:19], s[2:3]
	s_cbranch_execnz .LBB267_292
	s_branch .LBB267_293
.LBB267_430:                            ;   in Loop: Header=BB267_276 Depth=1
	v_cmp_eq_u16_sdwa s[22:23], v23, s37 src0_sel:BYTE_0 src1_sel:DWORD
	s_mov_b64 s[0:1], -1
                                        ; implicit-def: $sgpr20
	s_and_saveexec_b64 s[18:19], s[22:23]
; %bb.431:                              ;   in Loop: Header=BB267_276 Depth=1
	s_mov_b32 s20, 0x7fc02000
	s_xor_b64 s[0:1], exec, -1
; %bb.432:                              ;   in Loop: Header=BB267_276 Depth=1
	s_or_b64 exec, exec, s[18:19]
	s_and_b64 s[0:1], s[0:1], exec
	s_or_saveexec_b64 s[2:3], s[2:3]
	v_mov_b32_e32 v22, s20
	s_xor_b64 exec, exec, s[2:3]
	s_cbranch_execz .LBB267_295
.LBB267_433:                            ;   in Loop: Header=BB267_276 Depth=1
	v_cmp_ne_u16_sdwa s[18:19], v23, v11 src0_sel:BYTE_0 src1_sel:DWORD
	s_andn2_b64 s[0:1], s[0:1], exec
	s_and_b64 s[18:19], s[18:19], exec
	v_mov_b32_e32 v22, 0
	s_or_b64 s[0:1], s[0:1], s[18:19]
	s_or_b64 exec, exec, s[2:3]
	v_mov_b32_e32 v10, v23
	s_and_saveexec_b64 s[2:3], s[0:1]
	s_cbranch_execnz .LBB267_296
	s_branch .LBB267_297
.LBB267_434:                            ;   in Loop: Header=BB267_276 Depth=1
	v_cmp_eq_u16_e64 s[0:1], s37, v10
	s_mov_b64 s[2:3], -1
                                        ; implicit-def: $sgpr22
	s_and_saveexec_b64 s[20:21], s[0:1]
; %bb.435:                              ;   in Loop: Header=BB267_276 Depth=1
	s_mov_b32 s22, 0x7fc02000
	s_xor_b64 s[2:3], exec, -1
; %bb.436:                              ;   in Loop: Header=BB267_276 Depth=1
	s_or_b64 exec, exec, s[20:21]
	s_and_b64 s[2:3], s[2:3], exec
	s_or_saveexec_b64 s[18:19], s[18:19]
	v_mov_b32_e32 v38, s22
	s_xor_b64 exec, exec, s[18:19]
	s_cbranch_execz .LBB267_299
.LBB267_437:                            ;   in Loop: Header=BB267_276 Depth=1
	v_cmp_ne_u16_e64 s[0:1], 0, v10
	s_andn2_b64 s[2:3], s[2:3], exec
	s_and_b64 s[0:1], s[0:1], exec
	v_mov_b32_e32 v38, 0
	s_or_b64 s[2:3], s[2:3], s[0:1]
	s_or_b64 exec, exec, s[18:19]
	s_and_saveexec_b64 s[18:19], s[2:3]
	s_cbranch_execnz .LBB267_300
	s_branch .LBB267_301
.LBB267_438:                            ;   in Loop: Header=BB267_276 Depth=1
	v_cmp_eq_u16_sdwa s[22:23], v10, s37 src0_sel:BYTE_0 src1_sel:DWORD
	s_mov_b64 s[0:1], -1
                                        ; implicit-def: $sgpr20
	s_and_saveexec_b64 s[18:19], s[22:23]
; %bb.439:                              ;   in Loop: Header=BB267_276 Depth=1
	s_mov_b32 s20, 0x7fc02000
	s_xor_b64 s[0:1], exec, -1
; %bb.440:                              ;   in Loop: Header=BB267_276 Depth=1
	s_or_b64 exec, exec, s[18:19]
	s_and_b64 s[0:1], s[0:1], exec
	s_or_saveexec_b64 s[2:3], s[2:3]
	v_mov_b32_e32 v43, s20
	s_xor_b64 exec, exec, s[2:3]
	s_cbranch_execz .LBB267_303
.LBB267_441:                            ;   in Loop: Header=BB267_276 Depth=1
	v_cmp_ne_u16_sdwa s[18:19], v10, v11 src0_sel:BYTE_0 src1_sel:DWORD
	s_andn2_b64 s[0:1], s[0:1], exec
	s_and_b64 s[18:19], s[18:19], exec
	v_mov_b32_e32 v43, 0
	s_or_b64 s[0:1], s[0:1], s[18:19]
	s_or_b64 exec, exec, s[2:3]
	s_and_saveexec_b64 s[2:3], s[0:1]
	s_cbranch_execnz .LBB267_304
	s_branch .LBB267_305
.LBB267_442:                            ;   in Loop: Header=BB267_276 Depth=1
	v_cmp_eq_u16_e64 s[0:1], s37, v10
	s_mov_b64 s[2:3], -1
                                        ; implicit-def: $sgpr22
	s_and_saveexec_b64 s[20:21], s[0:1]
; %bb.443:                              ;   in Loop: Header=BB267_276 Depth=1
	s_mov_b32 s22, 0x7fc02000
	s_xor_b64 s[2:3], exec, -1
; %bb.444:                              ;   in Loop: Header=BB267_276 Depth=1
	s_or_b64 exec, exec, s[20:21]
	s_and_b64 s[2:3], s[2:3], exec
	s_or_saveexec_b64 s[18:19], s[18:19]
	v_mov_b32_e32 v44, s22
	s_xor_b64 exec, exec, s[18:19]
	s_cbranch_execz .LBB267_307
.LBB267_445:                            ;   in Loop: Header=BB267_276 Depth=1
	v_cmp_ne_u16_e64 s[0:1], 0, v10
	s_andn2_b64 s[2:3], s[2:3], exec
	s_and_b64 s[0:1], s[0:1], exec
	v_mov_b32_e32 v44, 0
	s_or_b64 s[2:3], s[2:3], s[0:1]
	s_or_b64 exec, exec, s[18:19]
	s_and_saveexec_b64 s[18:19], s[2:3]
	s_cbranch_execnz .LBB267_308
	s_branch .LBB267_309
.LBB267_446:                            ;   in Loop: Header=BB267_276 Depth=1
	v_cmp_eq_u16_sdwa s[24:25], v22, s37 src0_sel:BYTE_0 src1_sel:DWORD
	s_mov_b64 s[2:3], -1
                                        ; implicit-def: $sgpr22
	s_and_saveexec_b64 s[20:21], s[24:25]
; %bb.447:                              ;   in Loop: Header=BB267_276 Depth=1
	s_mov_b32 s22, 0x7fc02000
	s_xor_b64 s[2:3], exec, -1
; %bb.448:                              ;   in Loop: Header=BB267_276 Depth=1
	s_or_b64 exec, exec, s[20:21]
	s_and_b64 s[2:3], s[2:3], exec
	s_or_saveexec_b64 s[18:19], s[18:19]
	v_mov_b32_e32 v24, s22
	s_xor_b64 exec, exec, s[18:19]
	s_cbranch_execz .LBB267_313
.LBB267_449:                            ;   in Loop: Header=BB267_276 Depth=1
	v_cmp_ne_u16_sdwa s[20:21], v22, v11 src0_sel:BYTE_0 src1_sel:DWORD
	s_andn2_b64 s[2:3], s[2:3], exec
	s_and_b64 s[20:21], s[20:21], exec
	v_mov_b32_e32 v24, 0
	s_or_b64 s[2:3], s[2:3], s[20:21]
	s_or_b64 exec, exec, s[18:19]
	s_and_saveexec_b64 s[18:19], s[2:3]
	s_cbranch_execnz .LBB267_314
	s_branch .LBB267_315
.LBB267_450:                            ;   in Loop: Header=BB267_276 Depth=1
	v_cmp_eq_u16_e64 s[2:3], s37, v10
	s_mov_b64 s[18:19], -1
                                        ; implicit-def: $sgpr24
	s_and_saveexec_b64 s[22:23], s[2:3]
; %bb.451:                              ;   in Loop: Header=BB267_276 Depth=1
	s_mov_b32 s24, 0x7fc02000
	s_xor_b64 s[18:19], exec, -1
; %bb.452:                              ;   in Loop: Header=BB267_276 Depth=1
	s_or_b64 exec, exec, s[22:23]
	s_and_b64 s[18:19], s[18:19], exec
	s_or_saveexec_b64 s[20:21], s[20:21]
	v_mov_b32_e32 v26, s24
	s_xor_b64 exec, exec, s[20:21]
	s_cbranch_execz .LBB267_317
.LBB267_453:                            ;   in Loop: Header=BB267_276 Depth=1
	v_cmp_ne_u16_e64 s[2:3], 0, v10
	s_andn2_b64 s[18:19], s[18:19], exec
	s_and_b64 s[2:3], s[2:3], exec
	v_mov_b32_e32 v26, 0
	s_or_b64 s[18:19], s[18:19], s[2:3]
	s_or_b64 exec, exec, s[20:21]
	s_and_saveexec_b64 s[20:21], s[18:19]
	s_cbranch_execnz .LBB267_318
	s_branch .LBB267_319
.LBB267_454:                            ;   in Loop: Header=BB267_276 Depth=1
	v_cmp_eq_u16_sdwa s[24:25], v10, s37 src0_sel:BYTE_0 src1_sel:DWORD
	s_mov_b64 s[2:3], -1
                                        ; implicit-def: $sgpr22
	s_and_saveexec_b64 s[20:21], s[24:25]
; %bb.455:                              ;   in Loop: Header=BB267_276 Depth=1
	s_mov_b32 s22, 0x7fc02000
	s_xor_b64 s[2:3], exec, -1
; %bb.456:                              ;   in Loop: Header=BB267_276 Depth=1
	s_or_b64 exec, exec, s[20:21]
	s_and_b64 s[2:3], s[2:3], exec
	s_or_saveexec_b64 s[18:19], s[18:19]
	v_mov_b32_e32 v25, s22
	s_xor_b64 exec, exec, s[18:19]
	s_cbranch_execz .LBB267_321
.LBB267_457:                            ;   in Loop: Header=BB267_276 Depth=1
	v_cmp_ne_u16_sdwa s[20:21], v10, v11 src0_sel:BYTE_0 src1_sel:DWORD
	s_andn2_b64 s[2:3], s[2:3], exec
	s_and_b64 s[20:21], s[20:21], exec
	v_mov_b32_e32 v25, 0
	s_or_b64 s[2:3], s[2:3], s[20:21]
	s_or_b64 exec, exec, s[18:19]
	s_and_saveexec_b64 s[18:19], s[2:3]
	s_cbranch_execnz .LBB267_322
	s_branch .LBB267_323
.LBB267_458:                            ;   in Loop: Header=BB267_276 Depth=1
	v_cmp_eq_u16_e64 s[2:3], s37, v10
	s_mov_b64 s[18:19], -1
                                        ; implicit-def: $sgpr24
	s_and_saveexec_b64 s[22:23], s[2:3]
; %bb.459:                              ;   in Loop: Header=BB267_276 Depth=1
	s_mov_b32 s24, 0x7fc02000
	s_xor_b64 s[18:19], exec, -1
; %bb.460:                              ;   in Loop: Header=BB267_276 Depth=1
	s_or_b64 exec, exec, s[22:23]
	s_and_b64 s[18:19], s[18:19], exec
	s_or_saveexec_b64 s[20:21], s[20:21]
	v_mov_b32_e32 v27, s24
	s_xor_b64 exec, exec, s[20:21]
	s_cbranch_execz .LBB267_325
.LBB267_461:                            ;   in Loop: Header=BB267_276 Depth=1
	v_cmp_ne_u16_e64 s[2:3], 0, v10
	s_andn2_b64 s[18:19], s[18:19], exec
	s_and_b64 s[2:3], s[2:3], exec
	v_mov_b32_e32 v27, 0
	s_or_b64 s[18:19], s[18:19], s[2:3]
	s_or_b64 exec, exec, s[20:21]
	s_and_saveexec_b64 s[20:21], s[18:19]
	s_cbranch_execnz .LBB267_326
	s_branch .LBB267_327
.LBB267_462:                            ;   in Loop: Header=BB267_276 Depth=1
	v_cmp_eq_u16_sdwa s[24:25], v23, s37 src0_sel:BYTE_0 src1_sel:DWORD
	s_mov_b64 s[2:3], -1
                                        ; implicit-def: $sgpr22
	s_and_saveexec_b64 s[20:21], s[24:25]
; %bb.463:                              ;   in Loop: Header=BB267_276 Depth=1
	s_mov_b32 s22, 0x7fc02000
	s_xor_b64 s[2:3], exec, -1
; %bb.464:                              ;   in Loop: Header=BB267_276 Depth=1
	s_or_b64 exec, exec, s[20:21]
	s_and_b64 s[2:3], s[2:3], exec
	s_or_saveexec_b64 s[18:19], s[18:19]
	v_mov_b32_e32 v22, s22
	s_xor_b64 exec, exec, s[18:19]
	s_cbranch_execz .LBB267_329
.LBB267_465:                            ;   in Loop: Header=BB267_276 Depth=1
	v_cmp_ne_u16_sdwa s[20:21], v23, v11 src0_sel:BYTE_0 src1_sel:DWORD
	s_andn2_b64 s[2:3], s[2:3], exec
	s_and_b64 s[20:21], s[20:21], exec
	v_mov_b32_e32 v22, 0
	s_or_b64 s[2:3], s[2:3], s[20:21]
	s_or_b64 exec, exec, s[18:19]
	v_mov_b32_e32 v10, v23
	s_and_saveexec_b64 s[18:19], s[2:3]
	s_cbranch_execnz .LBB267_330
	s_branch .LBB267_331
.LBB267_466:                            ;   in Loop: Header=BB267_276 Depth=1
	v_cmp_eq_u16_e64 s[2:3], s37, v10
	s_mov_b64 s[18:19], -1
                                        ; implicit-def: $sgpr24
	s_and_saveexec_b64 s[22:23], s[2:3]
; %bb.467:                              ;   in Loop: Header=BB267_276 Depth=1
	s_mov_b32 s24, 0x7fc02000
	s_xor_b64 s[18:19], exec, -1
; %bb.468:                              ;   in Loop: Header=BB267_276 Depth=1
	s_or_b64 exec, exec, s[22:23]
	s_and_b64 s[18:19], s[18:19], exec
	s_or_saveexec_b64 s[20:21], s[20:21]
	v_mov_b32_e32 v40, s24
	s_xor_b64 exec, exec, s[20:21]
	s_cbranch_execz .LBB267_333
.LBB267_469:                            ;   in Loop: Header=BB267_276 Depth=1
	v_cmp_ne_u16_e64 s[2:3], 0, v10
	s_andn2_b64 s[18:19], s[18:19], exec
	s_and_b64 s[2:3], s[2:3], exec
	v_mov_b32_e32 v40, 0
	s_or_b64 s[18:19], s[18:19], s[2:3]
	s_or_b64 exec, exec, s[20:21]
	s_and_saveexec_b64 s[20:21], s[18:19]
	s_cbranch_execnz .LBB267_334
	s_branch .LBB267_335
.LBB267_470:                            ;   in Loop: Header=BB267_276 Depth=1
	v_cmp_eq_u16_sdwa s[24:25], v10, s37 src0_sel:BYTE_0 src1_sel:DWORD
	s_mov_b64 s[2:3], -1
                                        ; implicit-def: $sgpr22
	s_and_saveexec_b64 s[20:21], s[24:25]
; %bb.471:                              ;   in Loop: Header=BB267_276 Depth=1
	s_mov_b32 s22, 0x7fc02000
	s_xor_b64 s[2:3], exec, -1
; %bb.472:                              ;   in Loop: Header=BB267_276 Depth=1
	s_or_b64 exec, exec, s[20:21]
	s_and_b64 s[2:3], s[2:3], exec
	s_or_saveexec_b64 s[18:19], s[18:19]
	v_mov_b32_e32 v41, s22
	s_xor_b64 exec, exec, s[18:19]
	s_cbranch_execz .LBB267_337
.LBB267_473:                            ;   in Loop: Header=BB267_276 Depth=1
	v_cmp_ne_u16_sdwa s[20:21], v10, v11 src0_sel:BYTE_0 src1_sel:DWORD
	s_andn2_b64 s[2:3], s[2:3], exec
	s_and_b64 s[20:21], s[20:21], exec
	v_mov_b32_e32 v41, 0
	s_or_b64 s[2:3], s[2:3], s[20:21]
	s_or_b64 exec, exec, s[18:19]
	s_and_saveexec_b64 s[18:19], s[2:3]
	s_cbranch_execnz .LBB267_338
	s_branch .LBB267_339
.LBB267_474:                            ;   in Loop: Header=BB267_276 Depth=1
	v_cmp_eq_u16_e64 s[2:3], s37, v10
	s_mov_b64 s[18:19], -1
                                        ; implicit-def: $sgpr24
	s_and_saveexec_b64 s[22:23], s[2:3]
; %bb.475:                              ;   in Loop: Header=BB267_276 Depth=1
	s_mov_b32 s24, 0x7fc02000
	s_xor_b64 s[18:19], exec, -1
; %bb.476:                              ;   in Loop: Header=BB267_276 Depth=1
	s_or_b64 exec, exec, s[22:23]
	s_and_b64 s[18:19], s[18:19], exec
	s_or_saveexec_b64 s[20:21], s[20:21]
	v_mov_b32_e32 v42, s24
	s_xor_b64 exec, exec, s[20:21]
	s_cbranch_execz .LBB267_341
.LBB267_477:                            ;   in Loop: Header=BB267_276 Depth=1
	v_cmp_ne_u16_e64 s[2:3], 0, v10
	s_andn2_b64 s[18:19], s[18:19], exec
	s_and_b64 s[2:3], s[2:3], exec
	v_mov_b32_e32 v42, 0
	s_or_b64 s[18:19], s[18:19], s[2:3]
	s_or_b64 exec, exec, s[20:21]
	s_and_saveexec_b64 s[20:21], s[18:19]
	s_cbranch_execnz .LBB267_342
	s_branch .LBB267_343
.LBB267_478:                            ;   in Loop: Header=BB267_276 Depth=1
	v_cmp_eq_u16_sdwa s[24:25], v22, s37 src0_sel:BYTE_0 src1_sel:DWORD
	s_mov_b64 s[2:3], -1
                                        ; implicit-def: $sgpr22
	s_and_saveexec_b64 s[20:21], s[24:25]
; %bb.479:                              ;   in Loop: Header=BB267_276 Depth=1
	s_mov_b32 s22, 0x7fc02000
	s_xor_b64 s[2:3], exec, -1
; %bb.480:                              ;   in Loop: Header=BB267_276 Depth=1
	s_or_b64 exec, exec, s[20:21]
	s_and_b64 s[2:3], s[2:3], exec
	s_or_saveexec_b64 s[18:19], s[18:19]
	v_mov_b32_e32 v18, s22
	s_xor_b64 exec, exec, s[18:19]
	s_cbranch_execz .LBB267_347
.LBB267_481:                            ;   in Loop: Header=BB267_276 Depth=1
	v_cmp_ne_u16_sdwa s[20:21], v22, v11 src0_sel:BYTE_0 src1_sel:DWORD
	s_andn2_b64 s[2:3], s[2:3], exec
	s_and_b64 s[20:21], s[20:21], exec
	v_mov_b32_e32 v18, 0
	s_or_b64 s[2:3], s[2:3], s[20:21]
	s_or_b64 exec, exec, s[18:19]
	s_and_saveexec_b64 s[18:19], s[2:3]
	s_cbranch_execnz .LBB267_348
	s_branch .LBB267_349
.LBB267_482:                            ;   in Loop: Header=BB267_276 Depth=1
	v_cmp_eq_u16_e64 s[2:3], s37, v10
	s_mov_b64 s[18:19], -1
                                        ; implicit-def: $sgpr24
	s_and_saveexec_b64 s[22:23], s[2:3]
; %bb.483:                              ;   in Loop: Header=BB267_276 Depth=1
	s_mov_b32 s24, 0x7fc02000
	s_xor_b64 s[18:19], exec, -1
; %bb.484:                              ;   in Loop: Header=BB267_276 Depth=1
	s_or_b64 exec, exec, s[22:23]
	s_and_b64 s[18:19], s[18:19], exec
	s_or_saveexec_b64 s[20:21], s[20:21]
	v_mov_b32_e32 v24, s24
	s_xor_b64 exec, exec, s[20:21]
	s_cbranch_execz .LBB267_351
.LBB267_485:                            ;   in Loop: Header=BB267_276 Depth=1
	v_cmp_ne_u16_e64 s[2:3], 0, v10
	s_andn2_b64 s[18:19], s[18:19], exec
	s_and_b64 s[2:3], s[2:3], exec
	v_mov_b32_e32 v24, 0
	s_or_b64 s[18:19], s[18:19], s[2:3]
	s_or_b64 exec, exec, s[20:21]
	s_and_saveexec_b64 s[20:21], s[18:19]
	s_cbranch_execnz .LBB267_352
	s_branch .LBB267_353
.LBB267_486:                            ;   in Loop: Header=BB267_276 Depth=1
	v_cmp_eq_u16_sdwa s[24:25], v10, s37 src0_sel:BYTE_0 src1_sel:DWORD
	s_mov_b64 s[2:3], -1
                                        ; implicit-def: $sgpr22
	s_and_saveexec_b64 s[20:21], s[24:25]
; %bb.487:                              ;   in Loop: Header=BB267_276 Depth=1
	s_mov_b32 s22, 0x7fc02000
	s_xor_b64 s[2:3], exec, -1
; %bb.488:                              ;   in Loop: Header=BB267_276 Depth=1
	s_or_b64 exec, exec, s[20:21]
	s_and_b64 s[2:3], s[2:3], exec
	s_or_saveexec_b64 s[18:19], s[18:19]
	v_mov_b32_e32 v19, s22
	s_xor_b64 exec, exec, s[18:19]
	s_cbranch_execz .LBB267_355
.LBB267_489:                            ;   in Loop: Header=BB267_276 Depth=1
	v_cmp_ne_u16_sdwa s[20:21], v10, v11 src0_sel:BYTE_0 src1_sel:DWORD
	s_andn2_b64 s[2:3], s[2:3], exec
	s_and_b64 s[20:21], s[20:21], exec
	v_mov_b32_e32 v19, 0
	s_or_b64 s[2:3], s[2:3], s[20:21]
	s_or_b64 exec, exec, s[18:19]
	s_and_saveexec_b64 s[18:19], s[2:3]
	s_cbranch_execnz .LBB267_356
	s_branch .LBB267_357
.LBB267_490:                            ;   in Loop: Header=BB267_276 Depth=1
	v_cmp_eq_u16_e64 s[2:3], s37, v10
	s_mov_b64 s[18:19], -1
                                        ; implicit-def: $sgpr24
	s_and_saveexec_b64 s[22:23], s[2:3]
; %bb.491:                              ;   in Loop: Header=BB267_276 Depth=1
	s_mov_b32 s24, 0x7fc02000
	s_xor_b64 s[18:19], exec, -1
; %bb.492:                              ;   in Loop: Header=BB267_276 Depth=1
	s_or_b64 exec, exec, s[22:23]
	s_and_b64 s[18:19], s[18:19], exec
	s_or_saveexec_b64 s[20:21], s[20:21]
	v_mov_b32_e32 v25, s24
	s_xor_b64 exec, exec, s[20:21]
	s_cbranch_execz .LBB267_359
.LBB267_493:                            ;   in Loop: Header=BB267_276 Depth=1
	v_cmp_ne_u16_e64 s[2:3], 0, v10
	s_andn2_b64 s[18:19], s[18:19], exec
	s_and_b64 s[2:3], s[2:3], exec
	v_mov_b32_e32 v25, 0
	s_or_b64 s[18:19], s[18:19], s[2:3]
	s_or_b64 exec, exec, s[20:21]
	s_and_saveexec_b64 s[20:21], s[18:19]
	s_cbranch_execnz .LBB267_360
	s_branch .LBB267_361
.LBB267_494:                            ;   in Loop: Header=BB267_276 Depth=1
	v_cmp_eq_u16_sdwa s[24:25], v23, s37 src0_sel:BYTE_0 src1_sel:DWORD
	s_mov_b64 s[2:3], -1
                                        ; implicit-def: $sgpr22
	s_and_saveexec_b64 s[20:21], s[24:25]
; %bb.495:                              ;   in Loop: Header=BB267_276 Depth=1
	s_mov_b32 s22, 0x7fc02000
	s_xor_b64 s[2:3], exec, -1
; %bb.496:                              ;   in Loop: Header=BB267_276 Depth=1
	s_or_b64 exec, exec, s[20:21]
	s_and_b64 s[2:3], s[2:3], exec
	s_or_saveexec_b64 s[18:19], s[18:19]
	v_mov_b32_e32 v22, s22
	s_xor_b64 exec, exec, s[18:19]
	s_cbranch_execz .LBB267_363
.LBB267_497:                            ;   in Loop: Header=BB267_276 Depth=1
	v_cmp_ne_u16_sdwa s[20:21], v23, v11 src0_sel:BYTE_0 src1_sel:DWORD
	s_andn2_b64 s[2:3], s[2:3], exec
	s_and_b64 s[20:21], s[20:21], exec
	v_mov_b32_e32 v22, 0
	s_or_b64 s[2:3], s[2:3], s[20:21]
	s_or_b64 exec, exec, s[18:19]
	v_mov_b32_e32 v10, v23
	s_and_saveexec_b64 s[18:19], s[2:3]
	s_cbranch_execnz .LBB267_364
	s_branch .LBB267_365
.LBB267_498:                            ;   in Loop: Header=BB267_276 Depth=1
	v_cmp_eq_u16_e64 s[2:3], s37, v10
	s_mov_b64 s[18:19], -1
                                        ; implicit-def: $sgpr24
	s_and_saveexec_b64 s[22:23], s[2:3]
; %bb.499:                              ;   in Loop: Header=BB267_276 Depth=1
	s_mov_b32 s24, 0x7fc02000
	s_xor_b64 s[18:19], exec, -1
; %bb.500:                              ;   in Loop: Header=BB267_276 Depth=1
	s_or_b64 exec, exec, s[22:23]
	s_and_b64 s[18:19], s[18:19], exec
	s_or_saveexec_b64 s[20:21], s[20:21]
	v_mov_b32_e32 v40, s24
	s_xor_b64 exec, exec, s[20:21]
	s_cbranch_execz .LBB267_367
.LBB267_501:                            ;   in Loop: Header=BB267_276 Depth=1
	v_cmp_ne_u16_e64 s[2:3], 0, v10
	s_andn2_b64 s[18:19], s[18:19], exec
	s_and_b64 s[2:3], s[2:3], exec
	v_mov_b32_e32 v40, 0
	s_or_b64 s[18:19], s[18:19], s[2:3]
	s_or_b64 exec, exec, s[20:21]
	s_and_saveexec_b64 s[20:21], s[18:19]
	s_cbranch_execnz .LBB267_368
	s_branch .LBB267_369
.LBB267_502:                            ;   in Loop: Header=BB267_276 Depth=1
	v_cmp_eq_u16_sdwa s[24:25], v10, s37 src0_sel:BYTE_0 src1_sel:DWORD
	s_mov_b64 s[2:3], -1
                                        ; implicit-def: $sgpr22
	s_and_saveexec_b64 s[20:21], s[24:25]
; %bb.503:                              ;   in Loop: Header=BB267_276 Depth=1
	s_mov_b32 s22, 0x7fc02000
	s_xor_b64 s[2:3], exec, -1
; %bb.504:                              ;   in Loop: Header=BB267_276 Depth=1
	s_or_b64 exec, exec, s[20:21]
	s_and_b64 s[2:3], s[2:3], exec
	s_or_saveexec_b64 s[18:19], s[18:19]
	v_mov_b32_e32 v41, s22
	s_xor_b64 exec, exec, s[18:19]
	s_cbranch_execz .LBB267_371
.LBB267_505:                            ;   in Loop: Header=BB267_276 Depth=1
	v_cmp_ne_u16_sdwa s[20:21], v10, v11 src0_sel:BYTE_0 src1_sel:DWORD
	s_andn2_b64 s[2:3], s[2:3], exec
	s_and_b64 s[20:21], s[20:21], exec
	v_mov_b32_e32 v41, 0
	s_or_b64 s[2:3], s[2:3], s[20:21]
	s_or_b64 exec, exec, s[18:19]
	s_and_saveexec_b64 s[18:19], s[2:3]
	s_cbranch_execnz .LBB267_372
	s_branch .LBB267_373
.LBB267_506:                            ;   in Loop: Header=BB267_276 Depth=1
	v_cmp_eq_u16_e64 s[2:3], s37, v10
	s_mov_b64 s[18:19], -1
                                        ; implicit-def: $sgpr24
	s_and_saveexec_b64 s[22:23], s[2:3]
; %bb.507:                              ;   in Loop: Header=BB267_276 Depth=1
	s_mov_b32 s24, 0x7fc02000
	s_xor_b64 s[18:19], exec, -1
; %bb.508:                              ;   in Loop: Header=BB267_276 Depth=1
	s_or_b64 exec, exec, s[22:23]
	s_and_b64 s[18:19], s[18:19], exec
	s_or_saveexec_b64 s[20:21], s[20:21]
	v_mov_b32_e32 v42, s24
	s_xor_b64 exec, exec, s[20:21]
	s_cbranch_execz .LBB267_375
.LBB267_509:                            ;   in Loop: Header=BB267_276 Depth=1
	v_cmp_ne_u16_e64 s[2:3], 0, v10
	s_andn2_b64 s[18:19], s[18:19], exec
	s_and_b64 s[2:3], s[2:3], exec
	v_mov_b32_e32 v42, 0
	s_or_b64 s[18:19], s[18:19], s[2:3]
	s_or_b64 exec, exec, s[20:21]
	s_and_saveexec_b64 s[20:21], s[18:19]
	s_cbranch_execnz .LBB267_376
	s_branch .LBB267_377
.LBB267_510:                            ;   in Loop: Header=BB267_276 Depth=1
	v_cmp_eq_u16_sdwa s[44:45], v18, s37 src0_sel:BYTE_0 src1_sel:DWORD
	s_mov_b64 s[2:3], -1
                                        ; implicit-def: $sgpr24
	s_and_saveexec_b64 s[22:23], s[44:45]
; %bb.511:                              ;   in Loop: Header=BB267_276 Depth=1
	s_mov_b32 s24, 0x7fc02000
	s_xor_b64 s[2:3], exec, -1
; %bb.512:                              ;   in Loop: Header=BB267_276 Depth=1
	s_or_b64 exec, exec, s[22:23]
	s_and_b64 s[2:3], s[2:3], exec
	s_or_saveexec_b64 s[20:21], s[20:21]
	v_mov_b32_e32 v20, s24
	s_xor_b64 exec, exec, s[20:21]
	s_cbranch_execz .LBB267_382
.LBB267_513:                            ;   in Loop: Header=BB267_276 Depth=1
	v_cmp_ne_u16_sdwa s[22:23], v18, v11 src0_sel:BYTE_0 src1_sel:DWORD
	s_andn2_b64 s[2:3], s[2:3], exec
	s_and_b64 s[22:23], s[22:23], exec
	v_mov_b32_e32 v20, 0
	s_or_b64 s[2:3], s[2:3], s[22:23]
	s_or_b64 exec, exec, s[20:21]
	s_and_saveexec_b64 s[20:21], s[2:3]
	s_cbranch_execnz .LBB267_383
	s_branch .LBB267_384
.LBB267_514:                            ;   in Loop: Header=BB267_276 Depth=1
	v_cmp_eq_u16_e64 s[2:3], s37, v10
	s_mov_b64 s[20:21], -1
                                        ; implicit-def: $sgpr44
	s_and_saveexec_b64 s[24:25], s[2:3]
; %bb.515:                              ;   in Loop: Header=BB267_276 Depth=1
	s_mov_b32 s44, 0x7fc02000
	s_xor_b64 s[20:21], exec, -1
; %bb.516:                              ;   in Loop: Header=BB267_276 Depth=1
	s_or_b64 exec, exec, s[24:25]
	s_and_b64 s[20:21], s[20:21], exec
	s_or_saveexec_b64 s[22:23], s[22:23]
	v_mov_b32_e32 v22, s44
	s_xor_b64 exec, exec, s[22:23]
	s_cbranch_execz .LBB267_386
.LBB267_517:                            ;   in Loop: Header=BB267_276 Depth=1
	v_cmp_ne_u16_e64 s[2:3], 0, v10
	s_andn2_b64 s[20:21], s[20:21], exec
	s_and_b64 s[2:3], s[2:3], exec
	v_mov_b32_e32 v22, 0
	s_or_b64 s[20:21], s[20:21], s[2:3]
	s_or_b64 exec, exec, s[22:23]
	s_and_saveexec_b64 s[22:23], s[20:21]
	s_cbranch_execnz .LBB267_387
	s_branch .LBB267_388
.LBB267_518:                            ;   in Loop: Header=BB267_276 Depth=1
	v_cmp_eq_u16_sdwa s[44:45], v10, s37 src0_sel:BYTE_0 src1_sel:DWORD
	s_mov_b64 s[2:3], -1
                                        ; implicit-def: $sgpr24
	s_and_saveexec_b64 s[22:23], s[44:45]
; %bb.519:                              ;   in Loop: Header=BB267_276 Depth=1
	s_mov_b32 s24, 0x7fc02000
	s_xor_b64 s[2:3], exec, -1
; %bb.520:                              ;   in Loop: Header=BB267_276 Depth=1
	s_or_b64 exec, exec, s[22:23]
	s_and_b64 s[2:3], s[2:3], exec
	s_or_saveexec_b64 s[20:21], s[20:21]
	v_mov_b32_e32 v21, s24
	s_xor_b64 exec, exec, s[20:21]
	s_cbranch_execz .LBB267_390
.LBB267_521:                            ;   in Loop: Header=BB267_276 Depth=1
	v_cmp_ne_u16_sdwa s[22:23], v10, v11 src0_sel:BYTE_0 src1_sel:DWORD
	s_andn2_b64 s[2:3], s[2:3], exec
	s_and_b64 s[22:23], s[22:23], exec
	v_mov_b32_e32 v21, 0
	s_or_b64 s[2:3], s[2:3], s[22:23]
	s_or_b64 exec, exec, s[20:21]
	s_and_saveexec_b64 s[20:21], s[2:3]
	s_cbranch_execnz .LBB267_391
	s_branch .LBB267_392
.LBB267_522:                            ;   in Loop: Header=BB267_276 Depth=1
	v_cmp_eq_u16_e64 s[2:3], s37, v10
	s_mov_b64 s[20:21], -1
                                        ; implicit-def: $sgpr44
	s_and_saveexec_b64 s[24:25], s[2:3]
; %bb.523:                              ;   in Loop: Header=BB267_276 Depth=1
	s_mov_b32 s44, 0x7fc02000
	s_xor_b64 s[20:21], exec, -1
; %bb.524:                              ;   in Loop: Header=BB267_276 Depth=1
	s_or_b64 exec, exec, s[24:25]
	s_and_b64 s[20:21], s[20:21], exec
	s_or_saveexec_b64 s[22:23], s[22:23]
	v_mov_b32_e32 v23, s44
	s_xor_b64 exec, exec, s[22:23]
	s_cbranch_execz .LBB267_394
.LBB267_525:                            ;   in Loop: Header=BB267_276 Depth=1
	v_cmp_ne_u16_e64 s[2:3], 0, v10
	s_andn2_b64 s[20:21], s[20:21], exec
	s_and_b64 s[2:3], s[2:3], exec
	v_mov_b32_e32 v23, 0
	s_or_b64 s[20:21], s[20:21], s[2:3]
	s_or_b64 exec, exec, s[22:23]
	s_and_saveexec_b64 s[22:23], s[20:21]
	s_cbranch_execnz .LBB267_395
	s_branch .LBB267_396
.LBB267_526:                            ;   in Loop: Header=BB267_276 Depth=1
	v_cmp_eq_u16_sdwa s[44:45], v19, s37 src0_sel:BYTE_0 src1_sel:DWORD
	s_mov_b64 s[2:3], -1
                                        ; implicit-def: $sgpr24
	s_and_saveexec_b64 s[22:23], s[44:45]
; %bb.527:                              ;   in Loop: Header=BB267_276 Depth=1
	s_mov_b32 s24, 0x7fc02000
	s_xor_b64 s[2:3], exec, -1
; %bb.528:                              ;   in Loop: Header=BB267_276 Depth=1
	s_or_b64 exec, exec, s[22:23]
	s_and_b64 s[2:3], s[2:3], exec
	s_or_saveexec_b64 s[20:21], s[20:21]
	v_mov_b32_e32 v17, s24
	s_xor_b64 exec, exec, s[20:21]
	s_cbranch_execz .LBB267_398
.LBB267_529:                            ;   in Loop: Header=BB267_276 Depth=1
	v_cmp_ne_u16_sdwa s[22:23], v19, v11 src0_sel:BYTE_0 src1_sel:DWORD
	s_andn2_b64 s[2:3], s[2:3], exec
	s_and_b64 s[22:23], s[22:23], exec
	v_mov_b32_e32 v17, 0
	s_or_b64 s[2:3], s[2:3], s[22:23]
	s_or_b64 exec, exec, s[20:21]
	v_mov_b32_e32 v10, v19
	s_and_saveexec_b64 s[20:21], s[2:3]
	s_cbranch_execnz .LBB267_399
	s_branch .LBB267_400
.LBB267_530:                            ;   in Loop: Header=BB267_276 Depth=1
	v_cmp_eq_u16_e64 s[2:3], s37, v10
	s_mov_b64 s[20:21], -1
                                        ; implicit-def: $sgpr44
	s_and_saveexec_b64 s[24:25], s[2:3]
; %bb.531:                              ;   in Loop: Header=BB267_276 Depth=1
	s_mov_b32 s44, 0x7fc02000
	s_xor_b64 s[20:21], exec, -1
; %bb.532:                              ;   in Loop: Header=BB267_276 Depth=1
	s_or_b64 exec, exec, s[24:25]
	s_and_b64 s[20:21], s[20:21], exec
	s_or_saveexec_b64 s[22:23], s[22:23]
	v_mov_b32_e32 v18, s44
	s_xor_b64 exec, exec, s[22:23]
	s_cbranch_execz .LBB267_402
.LBB267_533:                            ;   in Loop: Header=BB267_276 Depth=1
	v_cmp_ne_u16_e64 s[2:3], 0, v10
	s_andn2_b64 s[20:21], s[20:21], exec
	s_and_b64 s[2:3], s[2:3], exec
	v_mov_b32_e32 v18, 0
	s_or_b64 s[20:21], s[20:21], s[2:3]
	s_or_b64 exec, exec, s[22:23]
	s_and_saveexec_b64 s[22:23], s[20:21]
	s_cbranch_execnz .LBB267_403
	s_branch .LBB267_404
.LBB267_534:                            ;   in Loop: Header=BB267_276 Depth=1
	v_cmp_eq_u16_sdwa s[44:45], v10, s37 src0_sel:BYTE_0 src1_sel:DWORD
	s_mov_b64 s[2:3], -1
                                        ; implicit-def: $sgpr24
	s_and_saveexec_b64 s[22:23], s[44:45]
; %bb.535:                              ;   in Loop: Header=BB267_276 Depth=1
	s_mov_b32 s24, 0x7fc02000
	s_xor_b64 s[2:3], exec, -1
; %bb.536:                              ;   in Loop: Header=BB267_276 Depth=1
	s_or_b64 exec, exec, s[22:23]
	s_and_b64 s[2:3], s[2:3], exec
	s_or_saveexec_b64 s[20:21], s[20:21]
	v_mov_b32_e32 v24, s24
	s_xor_b64 exec, exec, s[20:21]
	s_cbranch_execz .LBB267_406
.LBB267_537:                            ;   in Loop: Header=BB267_276 Depth=1
	v_cmp_ne_u16_sdwa s[22:23], v10, v11 src0_sel:BYTE_0 src1_sel:DWORD
	s_andn2_b64 s[2:3], s[2:3], exec
	s_and_b64 s[22:23], s[22:23], exec
	v_mov_b32_e32 v24, 0
	s_or_b64 s[2:3], s[2:3], s[22:23]
	s_or_b64 exec, exec, s[20:21]
	s_and_saveexec_b64 s[20:21], s[2:3]
	s_cbranch_execnz .LBB267_407
	s_branch .LBB267_408
.LBB267_538:                            ;   in Loop: Header=BB267_276 Depth=1
	v_cmp_eq_u16_e64 s[2:3], s37, v10
	s_mov_b64 s[20:21], -1
                                        ; implicit-def: $sgpr44
	s_and_saveexec_b64 s[24:25], s[2:3]
; %bb.539:                              ;   in Loop: Header=BB267_276 Depth=1
	s_mov_b32 s44, 0x7fc02000
	s_xor_b64 s[20:21], exec, -1
; %bb.540:                              ;   in Loop: Header=BB267_276 Depth=1
	s_or_b64 exec, exec, s[24:25]
	s_and_b64 s[20:21], s[20:21], exec
	s_or_saveexec_b64 s[22:23], s[22:23]
	v_mov_b32_e32 v25, s44
	s_xor_b64 exec, exec, s[22:23]
	s_cbranch_execz .LBB267_410
.LBB267_541:                            ;   in Loop: Header=BB267_276 Depth=1
	v_cmp_ne_u16_e64 s[2:3], 0, v10
	s_andn2_b64 s[20:21], s[20:21], exec
	s_and_b64 s[2:3], s[2:3], exec
	v_mov_b32_e32 v25, 0
	s_or_b64 s[20:21], s[20:21], s[2:3]
	s_or_b64 exec, exec, s[22:23]
	s_and_saveexec_b64 s[22:23], s[20:21]
	s_cbranch_execnz .LBB267_411
	s_branch .LBB267_412
.LBB267_542:
	s_or_b64 exec, exec, s[12:13]
.LBB267_543:
	s_or_b64 exec, exec, s[10:11]
	ds_bpermute_b32 v6, v28, v2
	ds_bpermute_b32 v7, v28, v3
	;; [unrolled: 1-line block ×4, first 2 shown]
	v_and_b32_e32 v1, 0x3c0, v0
	v_cmp_eq_u32_e32 vcc, 64, v1
	s_waitcnt lgkmcnt(2)
	v_pk_add_f32 v[6:7], v[2:3], v[6:7]
	s_waitcnt lgkmcnt(0)
	v_pk_add_f32 v[2:3], v[4:5], v[8:9]
	s_barrier
	s_and_saveexec_b64 s[2:3], vcc
	s_cbranch_execz .LBB267_548
; %bb.544:
	v_cmp_eq_u32_e32 vcc, 0, v29
	s_and_saveexec_b64 s[0:1], vcc
	s_cbranch_execz .LBB267_546
; %bb.545:
	v_mov_b32_e32 v1, 0xf0
	v_lshl_add_u32 v1, v30, 2, v1
	ds_write2_b32 v1, v6, v7 offset1:32
	ds_write_b32 v1, v2 offset:256
.LBB267_546:
	s_or_b64 exec, exec, s[0:1]
	v_or_b32_e32 v1, 0x60, v30
	s_movk_i32 s0, 0x70
	v_cmp_gt_u32_e64 s[0:1], s0, v1
	s_and_b64 s[0:1], vcc, s[0:1]
	s_and_b64 exec, exec, s[0:1]
	s_cbranch_execz .LBB267_548
; %bb.547:
	v_mov_b32_e32 v1, 0xf0
	v_lshl_add_u32 v1, v30, 2, v1
	ds_write_b32 v1, v3 offset:384
.LBB267_548:
	s_or_b64 exec, exec, s[2:3]
	v_cmp_gt_u32_e32 vcc, 64, v0
	v_lshrrev_b32_e32 v0, 1, v0
	s_waitcnt lgkmcnt(0)
	s_barrier
	s_and_saveexec_b64 s[8:9], vcc
	s_cbranch_execz .LBB267_556
; %bb.549:
	v_cmp_eq_u32_e64 s[0:1], 0, v29
	s_and_saveexec_b64 s[2:3], s[0:1]
	s_cbranch_execnz .LBB267_562
; %bb.550:
	s_or_b64 exec, exec, s[2:3]
	s_and_saveexec_b64 s[2:3], s[0:1]
	s_cbranch_execnz .LBB267_563
.LBB267_551:
	s_or_b64 exec, exec, s[2:3]
	s_and_saveexec_b64 s[2:3], s[0:1]
	s_cbranch_execz .LBB267_553
.LBB267_552:
	v_mov_b32_e32 v1, 0xf0
	v_lshl_add_u32 v1, v0, 2, v1
	ds_read_b32 v1, v1 offset:256
	s_waitcnt lgkmcnt(0)
	v_add_f32_e32 v2, v2, v1
.LBB267_553:
	s_or_b64 exec, exec, s[2:3]
	v_or_b32_e32 v1, 0x60, v0
	s_movk_i32 s2, 0x70
	v_cmp_gt_u32_e64 s[2:3], s2, v1
	s_and_b64 s[2:3], s[0:1], s[2:3]
	s_and_saveexec_b64 s[0:1], s[2:3]
	s_cbranch_execz .LBB267_555
; %bb.554:
	v_mov_b32_e32 v1, 0xf0
	v_lshl_add_u32 v1, v0, 2, v1
	ds_read_b32 v1, v1 offset:384
	s_waitcnt lgkmcnt(0)
	v_add_f32_e32 v3, v3, v1
.LBB267_555:
	s_or_b64 exec, exec, s[0:1]
.LBB267_556:
	s_or_b64 exec, exec, s[8:9]
	s_barrier
	s_and_saveexec_b64 s[0:1], vcc
	s_cbranch_execz .LBB267_561
; %bb.557:
	s_mul_i32 s0, s6, 0x70
	s_ashr_i32 s1, s0, 31
	s_lshl_b64 s[0:1], s[0:1], 1
	s_add_u32 s2, s30, s0
	s_mul_i32 s0, s29, s28
	s_addc_u32 s3, s31, s1
	s_ashr_i32 s1, s0, 31
	s_lshl_b64 s[0:1], s[0:1], 1
	s_add_u32 s2, s2, s0
	s_mul_i32 s0, s4, 0x70
	s_addc_u32 s3, s3, s1
	s_ashr_i32 s1, s0, 31
	s_lshl_b64 s[0:1], s[0:1], 1
	s_add_u32 s2, s2, s0
	s_movk_i32 s5, 0x70
	s_addc_u32 s3, s3, s1
	v_cmp_eq_u32_e32 vcc, 0, v29
	v_lshlrev_b32_e32 v1, 1, v0
	s_and_saveexec_b64 s[0:1], vcc
	s_cbranch_execz .LBB267_559
; %bb.558:
	;;#ASMSTART
	v_cvt_f16_f32 v4, v6;

	;;#ASMEND
	global_store_short v1, v4, s[2:3]
	;;#ASMSTART
	v_cvt_f16_f32 v4, v7;

	;;#ASMEND
	global_store_short v1, v4, s[2:3] offset:64
	;;#ASMSTART
	v_cvt_f16_f32 v2, v2;

	;;#ASMEND
	global_store_short v1, v2, s[2:3] offset:128
.LBB267_559:
	s_or_b64 exec, exec, s[0:1]
	v_or_b32_e32 v0, 0x60, v0
	v_cmp_gt_u32_e64 s[0:1], s5, v0
	s_and_b64 s[0:1], vcc, s[0:1]
	s_and_b64 exec, exec, s[0:1]
	s_cbranch_execz .LBB267_561
; %bb.560:
	;;#ASMSTART
	v_cvt_f16_f32 v0, v3;

	;;#ASMEND
	global_store_short v1, v0, s[2:3] offset:192
.LBB267_561:
	s_endpgm
.LBB267_562:
	v_mov_b32_e32 v1, 0xf0
	v_lshl_add_u32 v1, v0, 2, v1
	ds_read_b32 v1, v1
	s_waitcnt lgkmcnt(0)
	v_add_f32_e32 v6, v6, v1
	s_or_b64 exec, exec, s[2:3]
	s_and_saveexec_b64 s[2:3], s[0:1]
	s_cbranch_execz .LBB267_551
.LBB267_563:
	v_mov_b32_e32 v1, 0xf0
	v_lshl_add_u32 v1, v0, 2, v1
	ds_read_b32 v1, v1 offset:128
	s_waitcnt lgkmcnt(0)
	v_add_f32_e32 v7, v7, v1
	s_or_b64 exec, exec, s[2:3]
	s_and_saveexec_b64 s[2:3], s[0:1]
	s_cbranch_execnz .LBB267_552
	s_branch .LBB267_553
	.section	.rodata,"a",@progbits
	.p2align	6, 0x0
	.amdhsa_kernel _ZN4vllm25paged_attention_v2_kernelIthLi112ELi16ELi128ELNS_18Fp8KVCacheDataTypeE1ELb1ELi512EEEvPfS2_PT_PKS3_PKT0_S9_ifPKiSB_iPKfiiiSD_SD_iiiii
		.amdhsa_group_segment_fixed_size 240
		.amdhsa_private_segment_fixed_size 0
		.amdhsa_kernarg_size 400
		.amdhsa_user_sgpr_count 2
		.amdhsa_user_sgpr_dispatch_ptr 0
		.amdhsa_user_sgpr_queue_ptr 0
		.amdhsa_user_sgpr_kernarg_segment_ptr 1
		.amdhsa_user_sgpr_dispatch_id 0
		.amdhsa_user_sgpr_kernarg_preload_length 0
		.amdhsa_user_sgpr_kernarg_preload_offset 0
		.amdhsa_user_sgpr_private_segment_size 0
		.amdhsa_uses_dynamic_stack 0
		.amdhsa_enable_private_segment 0
		.amdhsa_system_sgpr_workgroup_id_x 1
		.amdhsa_system_sgpr_workgroup_id_y 1
		.amdhsa_system_sgpr_workgroup_id_z 1
		.amdhsa_system_sgpr_workgroup_info 0
		.amdhsa_system_vgpr_workitem_id 0
		.amdhsa_next_free_vgpr 68
		.amdhsa_next_free_sgpr 66
		.amdhsa_accum_offset 68
		.amdhsa_reserve_vcc 1
		.amdhsa_float_round_mode_32 0
		.amdhsa_float_round_mode_16_64 0
		.amdhsa_float_denorm_mode_32 3
		.amdhsa_float_denorm_mode_16_64 3
		.amdhsa_dx10_clamp 1
		.amdhsa_ieee_mode 1
		.amdhsa_fp16_overflow 0
		.amdhsa_tg_split 0
		.amdhsa_exception_fp_ieee_invalid_op 0
		.amdhsa_exception_fp_denorm_src 0
		.amdhsa_exception_fp_ieee_div_zero 0
		.amdhsa_exception_fp_ieee_overflow 0
		.amdhsa_exception_fp_ieee_underflow 0
		.amdhsa_exception_fp_ieee_inexact 0
		.amdhsa_exception_int_div_zero 0
	.end_amdhsa_kernel
	.section	.text._ZN4vllm25paged_attention_v2_kernelIthLi112ELi16ELi128ELNS_18Fp8KVCacheDataTypeE1ELb1ELi512EEEvPfS2_PT_PKS3_PKT0_S9_ifPKiSB_iPKfiiiSD_SD_iiiii,"axG",@progbits,_ZN4vllm25paged_attention_v2_kernelIthLi112ELi16ELi128ELNS_18Fp8KVCacheDataTypeE1ELb1ELi512EEEvPfS2_PT_PKS3_PKT0_S9_ifPKiSB_iPKfiiiSD_SD_iiiii,comdat
.Lfunc_end267:
	.size	_ZN4vllm25paged_attention_v2_kernelIthLi112ELi16ELi128ELNS_18Fp8KVCacheDataTypeE1ELb1ELi512EEEvPfS2_PT_PKS3_PKT0_S9_ifPKiSB_iPKfiiiSD_SD_iiiii, .Lfunc_end267-_ZN4vllm25paged_attention_v2_kernelIthLi112ELi16ELi128ELNS_18Fp8KVCacheDataTypeE1ELb1ELi512EEEvPfS2_PT_PKS3_PKT0_S9_ifPKiSB_iPKfiiiSD_SD_iiiii
                                        ; -- End function
	.section	.AMDGPU.csdata,"",@progbits
; Kernel info:
; codeLenInByte = 23188
; NumSgprs: 72
; NumVgprs: 68
; NumAgprs: 0
; TotalNumVgprs: 68
; ScratchSize: 0
; MemoryBound: 0
; FloatMode: 240
; IeeeMode: 1
; LDSByteSize: 240 bytes/workgroup (compile time only)
; SGPRBlocks: 8
; VGPRBlocks: 8
; NumSGPRsForWavesPerEU: 72
; NumVGPRsForWavesPerEU: 68
; AccumOffset: 68
; Occupancy: 7
; WaveLimiterHint : 1
; COMPUTE_PGM_RSRC2:SCRATCH_EN: 0
; COMPUTE_PGM_RSRC2:USER_SGPR: 2
; COMPUTE_PGM_RSRC2:TRAP_HANDLER: 0
; COMPUTE_PGM_RSRC2:TGID_X_EN: 1
; COMPUTE_PGM_RSRC2:TGID_Y_EN: 1
; COMPUTE_PGM_RSRC2:TGID_Z_EN: 1
; COMPUTE_PGM_RSRC2:TIDIG_COMP_CNT: 0
; COMPUTE_PGM_RSRC3_GFX90A:ACCUM_OFFSET: 16
; COMPUTE_PGM_RSRC3_GFX90A:TG_SPLIT: 0
	.section	.text._ZN4vllm25paged_attention_v2_kernelIthLi120ELi16ELi128ELNS_18Fp8KVCacheDataTypeE1ELb1ELi512EEEvPfS2_PT_PKS3_PKT0_S9_ifPKiSB_iPKfiiiSD_SD_iiiii,"axG",@progbits,_ZN4vllm25paged_attention_v2_kernelIthLi120ELi16ELi128ELNS_18Fp8KVCacheDataTypeE1ELb1ELi512EEEvPfS2_PT_PKS3_PKT0_S9_ifPKiSB_iPKfiiiSD_SD_iiiii,comdat
	.protected	_ZN4vllm25paged_attention_v2_kernelIthLi120ELi16ELi128ELNS_18Fp8KVCacheDataTypeE1ELb1ELi512EEEvPfS2_PT_PKS3_PKT0_S9_ifPKiSB_iPKfiiiSD_SD_iiiii ; -- Begin function _ZN4vllm25paged_attention_v2_kernelIthLi120ELi16ELi128ELNS_18Fp8KVCacheDataTypeE1ELb1ELi512EEEvPfS2_PT_PKS3_PKT0_S9_ifPKiSB_iPKfiiiSD_SD_iiiii
	.globl	_ZN4vllm25paged_attention_v2_kernelIthLi120ELi16ELi128ELNS_18Fp8KVCacheDataTypeE1ELb1ELi512EEEvPfS2_PT_PKS3_PKT0_S9_ifPKiSB_iPKfiiiSD_SD_iiiii
	.p2align	8
	.type	_ZN4vllm25paged_attention_v2_kernelIthLi120ELi16ELi128ELNS_18Fp8KVCacheDataTypeE1ELb1ELi512EEEvPfS2_PT_PKS3_PKT0_S9_ifPKiSB_iPKfiiiSD_SD_iiiii,@function
_ZN4vllm25paged_attention_v2_kernelIthLi120ELi16ELi128ELNS_18Fp8KVCacheDataTypeE1ELb1ELi512EEEvPfS2_PT_PKS3_PKT0_S9_ifPKiSB_iPKfiiiSD_SD_iiiii: ; @_ZN4vllm25paged_attention_v2_kernelIthLi120ELi16ELi128ELNS_18Fp8KVCacheDataTypeE1ELb1ELi512EEEvPfS2_PT_PKS3_PKT0_S9_ifPKiSB_iPKfiiiSD_SD_iiiii
; %bb.0:
	s_load_dwordx2 s[6:7], s[0:1], 0x40
	s_mov_b32 s34, s3
	s_ashr_i32 s35, s3, 31
	s_lshl_b64 s[8:9], s[34:35], 2
	s_waitcnt lgkmcnt(0)
	s_add_u32 s6, s6, s8
	s_addc_u32 s7, s7, s9
	s_load_dword s33, s[6:7], 0x0
	s_lshl_b32 s55, s4, 9
	s_waitcnt lgkmcnt(0)
	s_cmp_ge_i32 s55, s33
	s_cbranch_scc1 .LBB268_577
; %bb.1:
	s_load_dword s5, s[0:1], 0x90
	s_load_dwordx2 s[42:43], s[0:1], 0x30
	s_mov_b32 s56, 0
	s_waitcnt lgkmcnt(0)
	s_abs_i32 s7, s5
	s_abs_i32 s3, s42
	v_cvt_f32_u32_e32 v1, s3
	s_sub_i32 s8, 0, s3
	s_xor_b32 s6, s5, s42
	s_ashr_i32 s6, s6, 31
	v_rcp_iflag_f32_e32 v1, v1
	s_nop 0
	v_mul_f32_e32 v1, 0x4f7ffffe, v1
	v_cvt_u32_f32_e32 v1, v1
	s_nop 0
	v_readfirstlane_b32 s9, v1
	s_mul_i32 s8, s8, s9
	s_mul_hi_u32 s8, s9, s8
	s_add_i32 s9, s9, s8
	s_mul_hi_u32 s8, s7, s9
	s_mul_i32 s9, s8, s3
	s_sub_i32 s7, s7, s9
	s_add_i32 s10, s8, 1
	s_sub_i32 s9, s7, s3
	s_cmp_ge_u32 s7, s3
	s_cselect_b32 s8, s10, s8
	s_cselect_b32 s7, s9, s7
	s_add_i32 s9, s8, 1
	s_cmp_ge_u32 s7, s3
	s_cselect_b32 s3, s9, s8
	s_xor_b32 s3, s3, s6
	s_sub_i32 s11, s3, s6
	s_abs_i32 s8, s11
	v_cvt_f32_u32_e32 v1, s8
	s_load_dwordx2 s[6:7], s[0:1], 0x50
	s_sub_i32 s3, 0, s8
	s_abs_i32 s9, s2
	v_rcp_iflag_f32_e32 v1, v1
	s_nop 0
	v_mul_f32_e32 v1, 0x4f7ffffe, v1
	v_cvt_u32_f32_e32 v1, v1
	s_nop 0
	v_readfirstlane_b32 s10, v1
	s_mul_i32 s3, s3, s10
	s_mul_hi_u32 s3, s10, s3
	s_add_i32 s10, s10, s3
	s_waitcnt lgkmcnt(0)
	s_cmp_eq_u64 s[6:7], 0
	s_mul_hi_u32 s10, s9, s10
	s_cbranch_scc1 .LBB268_3
; %bb.2:
	s_ashr_i32 s3, s2, 31
	s_lshl_b64 s[12:13], s[2:3], 2
	s_add_u32 s6, s6, s12
	s_addc_u32 s7, s7, s13
	s_load_dword s56, s[6:7], 0x0
.LBB268_3:
	s_load_dwordx4 s[16:19], s[0:1], 0x58
	s_ashr_i32 s3, s2, 31
	s_ashr_i32 s11, s11, 31
	v_and_b32_e32 v9, 3, v0
	s_mul_i32 s28, s2, 0x78
	v_cmp_gt_u32_e32 vcc, 60, v0
	s_and_saveexec_b64 s[6:7], vcc
	s_cbranch_execz .LBB268_5
; %bb.4:
	s_load_dwordx2 s[12:13], s[0:1], 0x18
	s_waitcnt lgkmcnt(0)
	s_mul_i32 s14, s34, s16
	s_ashr_i32 s15, s14, 31
	s_lshl_b64 s[14:15], s[14:15], 1
	v_lshlrev_b32_e32 v1, 2, v0
	s_add_u32 s14, s12, s14
	s_addc_u32 s15, s13, s15
	s_ashr_i32 s29, s28, 31
	s_lshl_b64 s[12:13], s[28:29], 1
	s_add_u32 s12, s14, s12
	s_addc_u32 s13, s15, s13
	global_load_dword v1, v1, s[12:13]
	v_and_b32_e32 v2, 0x3fc, v0
	v_mad_u32_u24 v2, v9, 60, v2
	s_waitcnt vmcnt(0)
	ds_write_b32 v2, v1
.LBB268_5:
	s_or_b64 exec, exec, s[6:7]
	s_mul_i32 s6, s10, s8
	s_sub_i32 s6, s9, s6
	s_xor_b32 s3, s3, s11
	s_add_i32 s7, s10, 1
	s_sub_i32 s9, s6, s8
	s_load_dwordx4 s[20:23], s[0:1], 0x78
	s_cmp_ge_u32 s6, s8
	s_cselect_b32 s7, s7, s10
	s_cselect_b32 s6, s9, s6
	s_add_i32 s9, s7, 1
	s_cmp_ge_u32 s6, s8
	s_cselect_b32 s6, s9, s7
	s_load_dword s9, s[0:1], 0x88
	s_waitcnt lgkmcnt(0)
	s_abs_i32 s35, s23
	v_cvt_f32_u32_e32 v1, s35
	s_xor_b32 s6, s6, s3
	s_sub_i32 s10, s6, s3
	s_sub_i32 s6, 0, s35
	v_rcp_iflag_f32_e32 v1, v1
	s_add_i32 s11, s33, -1
	s_abs_i32 s3, s11
	v_mul_f32_e32 v1, 0x4f7ffffe, v1
	v_cvt_u32_f32_e32 v1, v1
	s_barrier
	v_readfirstlane_b32 s52, v1
	s_mul_i32 s6, s6, s52
	s_mul_hi_u32 s6, s52, s6
	s_add_i32 s52, s52, s6
	s_cmp_lt_i32 s9, 0
	s_mul_hi_u32 s8, s3, s52
	s_cbranch_scc0 .LBB268_7
; %bb.6:
	s_mul_i32 s6, s20, s42
	s_add_i32 s6, s10, s6
	s_mul_i32 s6, s6, s9
	s_sub_i32 s42, 1, s6
	s_mov_b64 s[6:7], 0
	s_branch .LBB268_8
.LBB268_7:
	s_mov_b64 s[6:7], -1
                                        ; implicit-def: $sgpr42
.LBB268_8:
	s_load_dwordx2 s[36:37], s[0:1], 0x38
	s_ashr_i32 s11, s11, 31
	s_andn2_b64 vcc, exec, s[6:7]
	s_ashr_i32 s53, s23, 31
	s_cbranch_vccnz .LBB268_10
; %bb.9:
	s_mul_i32 s6, s5, s20
	s_add_i32 s6, s6, s2
	s_mul_i32 s6, s6, s9
	s_add_i32 s42, s6, 1
.LBB268_10:
	s_load_dwordx2 s[40:41], s[0:1], 0x28
	s_load_dword s6, s[0:1], 0x48
	s_load_dwordx4 s[24:27], s[0:1], 0x0
	s_load_dwordx2 s[30:31], s[0:1], 0x10
	s_load_dword s29, s[0:1], 0x98
	s_load_dwordx4 s[12:15], s[0:1], 0x68
	s_mul_i32 s7, s8, s35
	s_waitcnt lgkmcnt(0)
	s_mul_i32 s38, s34, s6
	s_sub_i32 s3, s3, s7
	s_ashr_i32 s39, s38, 31
	s_xor_b32 s6, s11, s53
	s_add_i32 s7, s8, 1
	s_sub_i32 s9, s3, s35
	s_cmp_ge_u32 s3, s35
	s_cselect_b32 s7, s7, s8
	s_cselect_b32 s3, s9, s3
	s_add_i32 s8, s7, 1
	s_cmp_ge_u32 s3, s35
	s_cselect_b32 s3, s8, s7
	s_xor_b32 s3, s3, s6
	s_sub_i32 s16, s3, s6
	s_add_i32 s3, s33, 15
	s_ashr_i32 s6, s3, 31
	s_lshr_b32 s6, s6, 28
	s_add_i32 s3, s3, s6
	s_lshl_b32 s23, s4, 5
	s_ashr_i32 s3, s3, 4
	s_add_i32 s6, s23, 32
	v_lshrrev_b32_e32 v16, 6, v0
	s_min_i32 s54, s6, s3
	v_or_b32_e32 v6, s23, v16
	v_cmp_gt_i32_e64 s[8:9], s54, v6
	v_mov_b32_e32 v18, 0xff7fffff
	s_mul_i32 s20, s10, s18
	v_ashrrev_i32_e32 v7, 31, v6
	v_lshl_add_u32 v1, v16, 4, s55
	v_mbcnt_lo_u32_b32 v14, -1, 0
	s_and_saveexec_b64 s[18:19], s[8:9]
	s_cbranch_execz .LBB268_260
; %bb.11:
	s_load_dwordx2 s[0:1], s[0:1], 0x20
	s_sub_i32 s57, s16, s21
	s_ashr_i32 s6, s20, 31
	v_bfe_u32 v15, v0, 2, 4
	v_lshlrev_b32_e32 v2, 4, v15
	s_waitcnt lgkmcnt(0)
	s_add_u32 s0, s0, s20
	s_addc_u32 s1, s1, s6
	s_abs_i32 s58, s22
	v_cvt_f32_u32_e32 v4, s58
	v_mov_b32_e32 v3, 0
	v_cmp_eq_u32_e32 vcc, 0, v9
	s_mov_b32 s59, s17
	v_rcp_iflag_f32_e32 v10, v4
	v_lshl_add_u64 v[4:5], s[0:1], 0, v[2:3]
	s_sub_i32 s0, 0, s58
	v_lshlrev_b32_e32 v8, 1, v9
	v_mul_f32_e32 v2, 0x4f7ffffe, v10
	v_cvt_u32_f32_e32 v2, v2
	v_mul_u32_u24_e32 v17, 60, v9
	v_cmp_neq_f32_e64 s[6:7], s56, 0
	v_mov_b32_e32 v9, v3
	v_mul_lo_u32 v10, s0, v2
	v_mul_hi_u32 v10, v2, v10
	v_add_u32_e32 v19, v2, v10
	s_lshl_b64 s[0:1], s[38:39], 2
	v_lshlrev_b32_e32 v2, 2, v15
	s_add_u32 s0, s36, s0
	v_lshl_or_b32 v2, v16, 6, v2
	s_addc_u32 s1, s37, s1
	v_add_u32_e32 v21, 0x100, v2
	v_subrev_u32_e32 v2, s33, v15
	v_lshl_add_u64 v[10:11], v[6:7], 2, s[0:1]
	v_lshl_add_u32 v20, v16, 4, s55
	v_add_u32_e32 v22, 1, v2
	s_mov_b64 s[44:45], 0
	v_mov_b32_e32 v23, 0xff7fffff
	s_movk_i32 s60, 0x7f
	s_movk_i32 s61, 0x80
	s_mov_b32 s62, 0x8000
	v_mov_b32_e32 v24, 0x1c00
	v_mbcnt_hi_u32_b32 v25, -1, v14
	v_mov_b32_e32 v18, 0xff7fffff
	v_mov_b32_e32 v26, v6
	s_branch .LBB268_14
.LBB268_12:                             ;   in Loop: Header=BB268_14 Depth=1
	s_or_b64 exec, exec, s[46:47]
.LBB268_13:                             ;   in Loop: Header=BB268_14 Depth=1
	s_or_b64 exec, exec, s[10:11]
	v_add_u32_e32 v26, 2, v26
	v_cmp_le_i32_e64 s[0:1], s54, v26
	v_lshl_add_u64 v[10:11], v[10:11], 0, 8
	v_add_u32_e32 v20, 32, v20
	s_or_b64 s[44:45], s[0:1], s[44:45]
	v_add_u32_e32 v21, 0x80, v21
	s_andn2_b64 exec, exec, s[44:45]
	s_cbranch_execz .LBB268_259
.LBB268_14:                             ; =>This Inner Loop Header: Depth=1
	s_waitcnt lgkmcnt(0)
	v_sub_u32_e32 v12, 0, v20
	v_max_i32_e32 v12, v20, v12
	v_mul_hi_u32 v13, v12, s52
	v_mul_lo_u32 v27, v13, s35
	v_sub_u32_e32 v12, v12, v27
	v_add_u32_e32 v27, 1, v13
	v_cmp_le_u32_e64 s[0:1], s35, v12
	v_ashrrev_i32_e32 v2, 31, v20
	v_xor_b32_e32 v2, s53, v2
	v_cndmask_b32_e64 v13, v13, v27, s[0:1]
	v_subrev_u32_e32 v27, s35, v12
	v_cndmask_b32_e64 v12, v12, v27, s[0:1]
	v_add_u32_e32 v27, 1, v13
	v_cmp_le_u32_e64 s[0:1], s35, v12
	s_nop 1
	v_cndmask_b32_e64 v12, v13, v27, s[0:1]
	v_xor_b32_e32 v12, v12, v2
	v_sub_u32_e32 v2, v12, v2
	v_add_u32_e32 v12, s42, v2
	v_sub_u32_e32 v27, 0, v12
	v_ashrrev_i32_e32 v13, 31, v12
	v_max_i32_e32 v12, v12, v27
	v_mul_hi_u32 v27, v12, v19
	v_mul_lo_u32 v27, v27, s58
	v_sub_u32_e32 v12, v12, v27
	v_subrev_u32_e32 v27, s58, v12
	v_cmp_le_u32_e64 s[0:1], s58, v12
	v_cmp_ge_i32_e64 s[10:11], s57, v2
	s_nop 0
	v_cndmask_b32_e64 v12, v12, v27, s[0:1]
	v_subrev_u32_e32 v27, s58, v12
	v_cmp_le_u32_e64 s[0:1], s58, v12
	s_nop 1
	v_cndmask_b32_e64 v12, v12, v27, s[0:1]
	v_xor_b32_e32 v12, v12, v13
	v_sub_u32_e32 v12, v12, v13
	v_cmp_ne_u32_e64 s[0:1], 0, v12
	s_and_b64 s[0:1], s[0:1], s[10:11]
	s_and_b64 s[46:47], vcc, s[0:1]
	s_and_saveexec_b64 s[10:11], s[46:47]
	s_cbranch_execz .LBB268_16
; %bb.15:                               ;   in Loop: Header=BB268_14 Depth=1
	ds_write_b32 v21, v23
.LBB268_16:                             ;   in Loop: Header=BB268_14 Depth=1
	s_or_b64 exec, exec, s[10:11]
	s_xor_b64 s[0:1], s[0:1], -1
	s_and_saveexec_b64 s[10:11], s[0:1]
	s_cbranch_execz .LBB268_13
; %bb.17:                               ;   in Loop: Header=BB268_14 Depth=1
	global_load_dword v2, v[10:11], off
                                        ; implicit-def: $sgpr50
	s_waitcnt vmcnt(0)
	v_mad_i64_i32 v[12:13], s[0:1], v2, s59, v[4:5]
	v_lshl_add_u64 v[12:13], v[12:13], 0, v[8:9]
	global_load_ushort v2, v[12:13], off
	global_load_dword v27, v3, s[12:13]
	s_mov_b64 s[0:1], 0
	s_waitcnt vmcnt(1)
	v_cmp_gt_i16_sdwa s[46:47], v2, s60 src0_sel:BYTE_0 src1_sel:DWORD
	s_and_saveexec_b64 s[48:49], s[46:47]
	s_xor_b64 s[46:47], exec, s[48:49]
	s_cbranch_execnz .LBB268_139
; %bb.18:                               ;   in Loop: Header=BB268_14 Depth=1
	s_or_saveexec_b64 s[46:47], s[46:47]
	v_mov_b32_e32 v28, s50
	s_xor_b64 exec, exec, s[46:47]
	s_cbranch_execnz .LBB268_142
.LBB268_19:                             ;   in Loop: Header=BB268_14 Depth=1
	s_or_b64 exec, exec, s[46:47]
	v_and_b32_e32 v2, 0xffff, v2
	s_and_saveexec_b64 s[46:47], s[0:1]
	s_cbranch_execz .LBB268_21
.LBB268_20:                             ;   in Loop: Header=BB268_14 Depth=1
	v_and_b32_e32 v30, 7, v2
	v_ffbh_u32_e32 v28, v30
	v_min_u32_e32 v32, 32, v28
	v_subrev_u32_e32 v28, 28, v32
	v_bfe_u32 v31, v2, 3, 4
	v_lshlrev_b64 v[28:29], v28, v[2:3]
	v_sub_u32_e32 v29, 29, v32
	v_cmp_eq_u32_e64 s[0:1], 0, v31
	v_and_b32_e32 v28, 7, v28
	s_nop 0
	v_cndmask_b32_e64 v29, v31, v29, s[0:1]
	v_cndmask_b32_e64 v28, v30, v28, s[0:1]
	v_lshlrev_b32_e32 v30, 8, v2
	v_lshl_add_u32 v29, v29, 10, v24
	v_and_or_b32 v29, v30, s62, v29
	v_lshl_or_b32 v28, v28, 7, v29
	v_cvt_f32_f16_e32 v28, v28
.LBB268_21:                             ;   in Loop: Header=BB268_14 Depth=1
	s_or_b64 exec, exec, s[46:47]
	v_lshrrev_b16_e32 v2, 8, v2
	v_cmp_lt_i16_e64 s[0:1], s60, v2
	s_mov_b64 s[46:47], 0
                                        ; implicit-def: $sgpr63
	s_and_saveexec_b64 s[48:49], s[0:1]
	s_xor_b64 s[48:49], exec, s[48:49]
	s_cbranch_execnz .LBB268_143
; %bb.22:                               ;   in Loop: Header=BB268_14 Depth=1
	s_or_saveexec_b64 s[48:49], s[48:49]
	v_mov_b32_e32 v29, s63
	s_xor_b64 exec, exec, s[48:49]
	s_cbranch_execnz .LBB268_146
.LBB268_23:                             ;   in Loop: Header=BB268_14 Depth=1
	s_or_b64 exec, exec, s[48:49]
	s_and_saveexec_b64 s[48:49], s[46:47]
	s_cbranch_execz .LBB268_25
.LBB268_24:                             ;   in Loop: Header=BB268_14 Depth=1
	v_and_b32_e32 v29, 7, v2
	v_ffbh_u32_e32 v30, v29
	v_min_u32_e32 v33, 32, v30
	v_subrev_u32_e32 v30, 28, v33
	v_bfe_u32 v32, v2, 3, 4
	v_lshlrev_b64 v[30:31], v30, v[2:3]
	v_sub_u32_e32 v31, 29, v33
	v_cmp_eq_u32_e64 s[0:1], 0, v32
	v_and_b32_e32 v30, 7, v30
	v_lshlrev_b32_e32 v2, 8, v2
	v_cndmask_b32_e64 v31, v32, v31, s[0:1]
	v_cndmask_b32_e64 v29, v29, v30, s[0:1]
	v_lshl_add_u32 v30, v31, 10, v24
	v_and_or_b32 v2, v2, s62, v30
	v_lshl_or_b32 v2, v29, 7, v2
	v_cvt_f32_f16_e32 v29, v2
.LBB268_25:                             ;   in Loop: Header=BB268_14 Depth=1
	s_or_b64 exec, exec, s[48:49]
	global_load_ushort v2, v[12:13], off offset:8
	s_mov_b64 s[0:1], 0
                                        ; implicit-def: $sgpr50
	s_waitcnt vmcnt(0)
	v_cmp_gt_i16_sdwa s[46:47], v2, s60 src0_sel:BYTE_0 src1_sel:DWORD
	s_and_saveexec_b64 s[48:49], s[46:47]
	s_xor_b64 s[46:47], exec, s[48:49]
	s_cbranch_execnz .LBB268_147
; %bb.26:                               ;   in Loop: Header=BB268_14 Depth=1
	s_or_saveexec_b64 s[46:47], s[46:47]
	v_mov_b32_e32 v30, s50
	s_xor_b64 exec, exec, s[46:47]
	s_cbranch_execnz .LBB268_150
.LBB268_27:                             ;   in Loop: Header=BB268_14 Depth=1
	s_or_b64 exec, exec, s[46:47]
	v_and_b32_e32 v2, 0xffff, v2
	s_and_saveexec_b64 s[46:47], s[0:1]
	s_cbranch_execz .LBB268_29
.LBB268_28:                             ;   in Loop: Header=BB268_14 Depth=1
	v_and_b32_e32 v32, 7, v2
	v_ffbh_u32_e32 v30, v32
	v_min_u32_e32 v34, 32, v30
	v_subrev_u32_e32 v30, 28, v34
	v_bfe_u32 v33, v2, 3, 4
	v_lshlrev_b64 v[30:31], v30, v[2:3]
	v_sub_u32_e32 v31, 29, v34
	v_cmp_eq_u32_e64 s[0:1], 0, v33
	v_and_b32_e32 v30, 7, v30
	s_nop 0
	v_cndmask_b32_e64 v31, v33, v31, s[0:1]
	v_cndmask_b32_e64 v30, v32, v30, s[0:1]
	v_lshlrev_b32_e32 v32, 8, v2
	v_lshl_add_u32 v31, v31, 10, v24
	v_and_or_b32 v31, v32, s62, v31
	v_lshl_or_b32 v30, v30, 7, v31
	v_cvt_f32_f16_e32 v30, v30
.LBB268_29:                             ;   in Loop: Header=BB268_14 Depth=1
	s_or_b64 exec, exec, s[46:47]
	v_lshrrev_b16_e32 v2, 8, v2
	v_cmp_lt_i16_e64 s[0:1], s60, v2
	s_mov_b64 s[46:47], 0
                                        ; implicit-def: $sgpr63
	s_and_saveexec_b64 s[48:49], s[0:1]
	s_xor_b64 s[48:49], exec, s[48:49]
	s_cbranch_execnz .LBB268_151
; %bb.30:                               ;   in Loop: Header=BB268_14 Depth=1
	s_or_saveexec_b64 s[48:49], s[48:49]
	v_mov_b32_e32 v31, s63
	s_xor_b64 exec, exec, s[48:49]
	s_cbranch_execnz .LBB268_154
.LBB268_31:                             ;   in Loop: Header=BB268_14 Depth=1
	s_or_b64 exec, exec, s[48:49]
	s_and_saveexec_b64 s[48:49], s[46:47]
	s_cbranch_execz .LBB268_33
.LBB268_32:                             ;   in Loop: Header=BB268_14 Depth=1
	v_and_b32_e32 v31, 7, v2
	v_ffbh_u32_e32 v32, v31
	v_min_u32_e32 v35, 32, v32
	v_subrev_u32_e32 v32, 28, v35
	v_bfe_u32 v34, v2, 3, 4
	v_lshlrev_b64 v[32:33], v32, v[2:3]
	v_sub_u32_e32 v33, 29, v35
	v_cmp_eq_u32_e64 s[0:1], 0, v34
	v_and_b32_e32 v32, 7, v32
	v_lshlrev_b32_e32 v2, 8, v2
	v_cndmask_b32_e64 v33, v34, v33, s[0:1]
	v_cndmask_b32_e64 v31, v31, v32, s[0:1]
	v_lshl_add_u32 v32, v33, 10, v24
	v_and_or_b32 v2, v2, s62, v32
	v_lshl_or_b32 v2, v31, 7, v2
	v_cvt_f32_f16_e32 v31, v2
.LBB268_33:                             ;   in Loop: Header=BB268_14 Depth=1
	s_or_b64 exec, exec, s[48:49]
	global_load_ushort v2, v[12:13], off offset:256
	s_mov_b64 s[0:1], 0
                                        ; implicit-def: $sgpr50
	s_waitcnt vmcnt(0)
	v_cmp_gt_i16_sdwa s[46:47], v2, s60 src0_sel:BYTE_0 src1_sel:DWORD
	s_and_saveexec_b64 s[48:49], s[46:47]
	s_xor_b64 s[46:47], exec, s[48:49]
	s_cbranch_execnz .LBB268_155
; %bb.34:                               ;   in Loop: Header=BB268_14 Depth=1
	s_or_saveexec_b64 s[46:47], s[46:47]
	v_mov_b32_e32 v32, s50
	s_xor_b64 exec, exec, s[46:47]
	s_cbranch_execnz .LBB268_158
.LBB268_35:                             ;   in Loop: Header=BB268_14 Depth=1
	s_or_b64 exec, exec, s[46:47]
	v_and_b32_e32 v2, 0xffff, v2
	s_and_saveexec_b64 s[46:47], s[0:1]
	s_cbranch_execz .LBB268_37
.LBB268_36:                             ;   in Loop: Header=BB268_14 Depth=1
	v_and_b32_e32 v34, 7, v2
	v_ffbh_u32_e32 v32, v34
	v_min_u32_e32 v36, 32, v32
	v_subrev_u32_e32 v32, 28, v36
	v_bfe_u32 v35, v2, 3, 4
	v_lshlrev_b64 v[32:33], v32, v[2:3]
	v_sub_u32_e32 v33, 29, v36
	v_cmp_eq_u32_e64 s[0:1], 0, v35
	v_and_b32_e32 v32, 7, v32
	s_nop 0
	v_cndmask_b32_e64 v33, v35, v33, s[0:1]
	v_cndmask_b32_e64 v32, v34, v32, s[0:1]
	v_lshlrev_b32_e32 v34, 8, v2
	v_lshl_add_u32 v33, v33, 10, v24
	v_and_or_b32 v33, v34, s62, v33
	v_lshl_or_b32 v32, v32, 7, v33
	v_cvt_f32_f16_e32 v32, v32
.LBB268_37:                             ;   in Loop: Header=BB268_14 Depth=1
	s_or_b64 exec, exec, s[46:47]
	v_lshrrev_b16_e32 v2, 8, v2
	v_cmp_lt_i16_e64 s[0:1], s60, v2
	s_mov_b64 s[46:47], 0
                                        ; implicit-def: $sgpr63
	s_and_saveexec_b64 s[48:49], s[0:1]
	s_xor_b64 s[48:49], exec, s[48:49]
	s_cbranch_execnz .LBB268_159
; %bb.38:                               ;   in Loop: Header=BB268_14 Depth=1
	s_or_saveexec_b64 s[48:49], s[48:49]
	v_mov_b32_e32 v33, s63
	s_xor_b64 exec, exec, s[48:49]
	s_cbranch_execnz .LBB268_162
.LBB268_39:                             ;   in Loop: Header=BB268_14 Depth=1
	s_or_b64 exec, exec, s[48:49]
	s_and_saveexec_b64 s[48:49], s[46:47]
	s_cbranch_execz .LBB268_41
.LBB268_40:                             ;   in Loop: Header=BB268_14 Depth=1
	v_and_b32_e32 v33, 7, v2
	v_ffbh_u32_e32 v34, v33
	v_min_u32_e32 v37, 32, v34
	v_subrev_u32_e32 v34, 28, v37
	v_bfe_u32 v36, v2, 3, 4
	v_lshlrev_b64 v[34:35], v34, v[2:3]
	v_sub_u32_e32 v35, 29, v37
	v_cmp_eq_u32_e64 s[0:1], 0, v36
	v_and_b32_e32 v34, 7, v34
	v_lshlrev_b32_e32 v2, 8, v2
	v_cndmask_b32_e64 v35, v36, v35, s[0:1]
	v_cndmask_b32_e64 v33, v33, v34, s[0:1]
	v_lshl_add_u32 v34, v35, 10, v24
	v_and_or_b32 v2, v2, s62, v34
	v_lshl_or_b32 v2, v33, 7, v2
	v_cvt_f32_f16_e32 v33, v2
.LBB268_41:                             ;   in Loop: Header=BB268_14 Depth=1
	s_or_b64 exec, exec, s[48:49]
	global_load_ushort v2, v[12:13], off offset:264
	s_mov_b64 s[0:1], 0
                                        ; implicit-def: $sgpr50
	s_waitcnt vmcnt(0)
	v_cmp_gt_i16_sdwa s[46:47], v2, s60 src0_sel:BYTE_0 src1_sel:DWORD
	s_and_saveexec_b64 s[48:49], s[46:47]
	s_xor_b64 s[46:47], exec, s[48:49]
	s_cbranch_execnz .LBB268_163
; %bb.42:                               ;   in Loop: Header=BB268_14 Depth=1
	s_or_saveexec_b64 s[46:47], s[46:47]
	v_mov_b32_e32 v34, s50
	s_xor_b64 exec, exec, s[46:47]
	s_cbranch_execnz .LBB268_166
.LBB268_43:                             ;   in Loop: Header=BB268_14 Depth=1
	s_or_b64 exec, exec, s[46:47]
	v_and_b32_e32 v2, 0xffff, v2
	s_and_saveexec_b64 s[46:47], s[0:1]
	s_cbranch_execz .LBB268_45
.LBB268_44:                             ;   in Loop: Header=BB268_14 Depth=1
	v_and_b32_e32 v36, 7, v2
	v_ffbh_u32_e32 v34, v36
	v_min_u32_e32 v38, 32, v34
	v_subrev_u32_e32 v34, 28, v38
	v_bfe_u32 v37, v2, 3, 4
	v_lshlrev_b64 v[34:35], v34, v[2:3]
	v_sub_u32_e32 v35, 29, v38
	v_cmp_eq_u32_e64 s[0:1], 0, v37
	v_and_b32_e32 v34, 7, v34
	s_nop 0
	v_cndmask_b32_e64 v35, v37, v35, s[0:1]
	v_cndmask_b32_e64 v34, v36, v34, s[0:1]
	v_lshlrev_b32_e32 v36, 8, v2
	v_lshl_add_u32 v35, v35, 10, v24
	v_and_or_b32 v35, v36, s62, v35
	v_lshl_or_b32 v34, v34, 7, v35
	v_cvt_f32_f16_e32 v34, v34
.LBB268_45:                             ;   in Loop: Header=BB268_14 Depth=1
	s_or_b64 exec, exec, s[46:47]
	v_lshrrev_b16_e32 v2, 8, v2
	v_cmp_lt_i16_e64 s[0:1], s60, v2
	s_mov_b64 s[46:47], 0
                                        ; implicit-def: $sgpr63
	s_and_saveexec_b64 s[48:49], s[0:1]
	s_xor_b64 s[48:49], exec, s[48:49]
	s_cbranch_execnz .LBB268_167
; %bb.46:                               ;   in Loop: Header=BB268_14 Depth=1
	s_or_saveexec_b64 s[48:49], s[48:49]
	v_mov_b32_e32 v35, s63
	s_xor_b64 exec, exec, s[48:49]
	s_cbranch_execnz .LBB268_170
.LBB268_47:                             ;   in Loop: Header=BB268_14 Depth=1
	s_or_b64 exec, exec, s[48:49]
	s_and_saveexec_b64 s[48:49], s[46:47]
	s_cbranch_execz .LBB268_49
.LBB268_48:                             ;   in Loop: Header=BB268_14 Depth=1
	v_and_b32_e32 v35, 7, v2
	v_ffbh_u32_e32 v36, v35
	v_min_u32_e32 v39, 32, v36
	v_subrev_u32_e32 v36, 28, v39
	v_bfe_u32 v38, v2, 3, 4
	v_lshlrev_b64 v[36:37], v36, v[2:3]
	v_sub_u32_e32 v37, 29, v39
	v_cmp_eq_u32_e64 s[0:1], 0, v38
	v_and_b32_e32 v36, 7, v36
	v_lshlrev_b32_e32 v2, 8, v2
	v_cndmask_b32_e64 v37, v38, v37, s[0:1]
	v_cndmask_b32_e64 v35, v35, v36, s[0:1]
	v_lshl_add_u32 v36, v37, 10, v24
	v_and_or_b32 v2, v2, s62, v36
	v_lshl_or_b32 v2, v35, 7, v2
	v_cvt_f32_f16_e32 v35, v2
.LBB268_49:                             ;   in Loop: Header=BB268_14 Depth=1
	s_or_b64 exec, exec, s[48:49]
	global_load_ushort v2, v[12:13], off offset:512
	s_mov_b64 s[0:1], 0
                                        ; implicit-def: $sgpr50
	s_waitcnt vmcnt(0)
	v_cmp_gt_i16_sdwa s[46:47], v2, s60 src0_sel:BYTE_0 src1_sel:DWORD
	s_and_saveexec_b64 s[48:49], s[46:47]
	s_xor_b64 s[46:47], exec, s[48:49]
	s_cbranch_execnz .LBB268_171
; %bb.50:                               ;   in Loop: Header=BB268_14 Depth=1
	s_or_saveexec_b64 s[46:47], s[46:47]
	v_mov_b32_e32 v36, s50
	s_xor_b64 exec, exec, s[46:47]
	s_cbranch_execnz .LBB268_174
.LBB268_51:                             ;   in Loop: Header=BB268_14 Depth=1
	s_or_b64 exec, exec, s[46:47]
	v_and_b32_e32 v2, 0xffff, v2
	s_and_saveexec_b64 s[46:47], s[0:1]
	s_cbranch_execz .LBB268_53
.LBB268_52:                             ;   in Loop: Header=BB268_14 Depth=1
	v_and_b32_e32 v38, 7, v2
	v_ffbh_u32_e32 v36, v38
	v_min_u32_e32 v40, 32, v36
	v_subrev_u32_e32 v36, 28, v40
	v_bfe_u32 v39, v2, 3, 4
	v_lshlrev_b64 v[36:37], v36, v[2:3]
	v_sub_u32_e32 v37, 29, v40
	v_cmp_eq_u32_e64 s[0:1], 0, v39
	v_and_b32_e32 v36, 7, v36
	s_nop 0
	v_cndmask_b32_e64 v37, v39, v37, s[0:1]
	v_cndmask_b32_e64 v36, v38, v36, s[0:1]
	v_lshlrev_b32_e32 v38, 8, v2
	v_lshl_add_u32 v37, v37, 10, v24
	v_and_or_b32 v37, v38, s62, v37
	v_lshl_or_b32 v36, v36, 7, v37
	v_cvt_f32_f16_e32 v36, v36
.LBB268_53:                             ;   in Loop: Header=BB268_14 Depth=1
	s_or_b64 exec, exec, s[46:47]
	v_lshrrev_b16_e32 v2, 8, v2
	v_cmp_lt_i16_e64 s[0:1], s60, v2
	s_mov_b64 s[46:47], 0
                                        ; implicit-def: $sgpr63
	s_and_saveexec_b64 s[48:49], s[0:1]
	s_xor_b64 s[48:49], exec, s[48:49]
	s_cbranch_execnz .LBB268_175
; %bb.54:                               ;   in Loop: Header=BB268_14 Depth=1
	s_or_saveexec_b64 s[48:49], s[48:49]
	v_mov_b32_e32 v37, s63
	s_xor_b64 exec, exec, s[48:49]
	s_cbranch_execnz .LBB268_178
.LBB268_55:                             ;   in Loop: Header=BB268_14 Depth=1
	s_or_b64 exec, exec, s[48:49]
	s_and_saveexec_b64 s[48:49], s[46:47]
	s_cbranch_execz .LBB268_57
.LBB268_56:                             ;   in Loop: Header=BB268_14 Depth=1
	v_and_b32_e32 v37, 7, v2
	v_ffbh_u32_e32 v38, v37
	v_min_u32_e32 v41, 32, v38
	v_subrev_u32_e32 v38, 28, v41
	v_bfe_u32 v40, v2, 3, 4
	v_lshlrev_b64 v[38:39], v38, v[2:3]
	v_sub_u32_e32 v39, 29, v41
	v_cmp_eq_u32_e64 s[0:1], 0, v40
	v_and_b32_e32 v38, 7, v38
	v_lshlrev_b32_e32 v2, 8, v2
	v_cndmask_b32_e64 v39, v40, v39, s[0:1]
	v_cndmask_b32_e64 v37, v37, v38, s[0:1]
	v_lshl_add_u32 v38, v39, 10, v24
	v_and_or_b32 v2, v2, s62, v38
	v_lshl_or_b32 v2, v37, 7, v2
	v_cvt_f32_f16_e32 v37, v2
.LBB268_57:                             ;   in Loop: Header=BB268_14 Depth=1
	s_or_b64 exec, exec, s[48:49]
	global_load_ushort v2, v[12:13], off offset:520
	s_mov_b64 s[0:1], 0
                                        ; implicit-def: $sgpr50
	s_waitcnt vmcnt(0)
	v_cmp_gt_i16_sdwa s[46:47], v2, s60 src0_sel:BYTE_0 src1_sel:DWORD
	s_and_saveexec_b64 s[48:49], s[46:47]
	s_xor_b64 s[46:47], exec, s[48:49]
	s_cbranch_execnz .LBB268_179
; %bb.58:                               ;   in Loop: Header=BB268_14 Depth=1
	s_or_saveexec_b64 s[46:47], s[46:47]
	v_mov_b32_e32 v38, s50
	s_xor_b64 exec, exec, s[46:47]
	s_cbranch_execnz .LBB268_182
.LBB268_59:                             ;   in Loop: Header=BB268_14 Depth=1
	s_or_b64 exec, exec, s[46:47]
	v_and_b32_e32 v2, 0xffff, v2
	s_and_saveexec_b64 s[46:47], s[0:1]
	s_cbranch_execz .LBB268_61
.LBB268_60:                             ;   in Loop: Header=BB268_14 Depth=1
	v_and_b32_e32 v40, 7, v2
	v_ffbh_u32_e32 v38, v40
	v_min_u32_e32 v42, 32, v38
	v_subrev_u32_e32 v38, 28, v42
	v_bfe_u32 v41, v2, 3, 4
	v_lshlrev_b64 v[38:39], v38, v[2:3]
	v_sub_u32_e32 v39, 29, v42
	v_cmp_eq_u32_e64 s[0:1], 0, v41
	v_and_b32_e32 v38, 7, v38
	s_nop 0
	v_cndmask_b32_e64 v39, v41, v39, s[0:1]
	v_cndmask_b32_e64 v38, v40, v38, s[0:1]
	v_lshlrev_b32_e32 v40, 8, v2
	v_lshl_add_u32 v39, v39, 10, v24
	v_and_or_b32 v39, v40, s62, v39
	v_lshl_or_b32 v38, v38, 7, v39
	v_cvt_f32_f16_e32 v38, v38
.LBB268_61:                             ;   in Loop: Header=BB268_14 Depth=1
	s_or_b64 exec, exec, s[46:47]
	v_lshrrev_b16_e32 v2, 8, v2
	v_cmp_lt_i16_e64 s[0:1], s60, v2
	s_mov_b64 s[46:47], 0
                                        ; implicit-def: $sgpr63
	s_and_saveexec_b64 s[48:49], s[0:1]
	s_xor_b64 s[48:49], exec, s[48:49]
	s_cbranch_execnz .LBB268_183
; %bb.62:                               ;   in Loop: Header=BB268_14 Depth=1
	s_or_saveexec_b64 s[48:49], s[48:49]
	v_mov_b32_e32 v39, s63
	s_xor_b64 exec, exec, s[48:49]
	s_cbranch_execnz .LBB268_186
.LBB268_63:                             ;   in Loop: Header=BB268_14 Depth=1
	s_or_b64 exec, exec, s[48:49]
	s_and_saveexec_b64 s[48:49], s[46:47]
	s_cbranch_execz .LBB268_65
.LBB268_64:                             ;   in Loop: Header=BB268_14 Depth=1
	v_and_b32_e32 v39, 7, v2
	v_ffbh_u32_e32 v40, v39
	v_min_u32_e32 v43, 32, v40
	v_subrev_u32_e32 v40, 28, v43
	v_bfe_u32 v42, v2, 3, 4
	v_lshlrev_b64 v[40:41], v40, v[2:3]
	v_sub_u32_e32 v41, 29, v43
	v_cmp_eq_u32_e64 s[0:1], 0, v42
	v_and_b32_e32 v40, 7, v40
	v_lshlrev_b32_e32 v2, 8, v2
	v_cndmask_b32_e64 v41, v42, v41, s[0:1]
	v_cndmask_b32_e64 v39, v39, v40, s[0:1]
	v_lshl_add_u32 v40, v41, 10, v24
	v_and_or_b32 v2, v2, s62, v40
	v_lshl_or_b32 v2, v39, 7, v2
	v_cvt_f32_f16_e32 v39, v2
.LBB268_65:                             ;   in Loop: Header=BB268_14 Depth=1
	s_or_b64 exec, exec, s[48:49]
	global_load_ushort v2, v[12:13], off offset:768
	s_mov_b64 s[0:1], 0
                                        ; implicit-def: $sgpr50
	s_waitcnt vmcnt(0)
	v_cmp_gt_i16_sdwa s[46:47], v2, s60 src0_sel:BYTE_0 src1_sel:DWORD
	s_and_saveexec_b64 s[48:49], s[46:47]
	s_xor_b64 s[46:47], exec, s[48:49]
	s_cbranch_execnz .LBB268_187
; %bb.66:                               ;   in Loop: Header=BB268_14 Depth=1
	s_or_saveexec_b64 s[46:47], s[46:47]
	v_mov_b32_e32 v40, s50
	s_xor_b64 exec, exec, s[46:47]
	s_cbranch_execnz .LBB268_190
.LBB268_67:                             ;   in Loop: Header=BB268_14 Depth=1
	s_or_b64 exec, exec, s[46:47]
	v_and_b32_e32 v2, 0xffff, v2
	s_and_saveexec_b64 s[46:47], s[0:1]
	s_cbranch_execz .LBB268_69
.LBB268_68:                             ;   in Loop: Header=BB268_14 Depth=1
	v_and_b32_e32 v42, 7, v2
	v_ffbh_u32_e32 v40, v42
	v_min_u32_e32 v44, 32, v40
	v_subrev_u32_e32 v40, 28, v44
	v_bfe_u32 v43, v2, 3, 4
	v_lshlrev_b64 v[40:41], v40, v[2:3]
	v_sub_u32_e32 v41, 29, v44
	v_cmp_eq_u32_e64 s[0:1], 0, v43
	v_and_b32_e32 v40, 7, v40
	s_nop 0
	v_cndmask_b32_e64 v41, v43, v41, s[0:1]
	v_cndmask_b32_e64 v40, v42, v40, s[0:1]
	v_lshlrev_b32_e32 v42, 8, v2
	v_lshl_add_u32 v41, v41, 10, v24
	v_and_or_b32 v41, v42, s62, v41
	v_lshl_or_b32 v40, v40, 7, v41
	v_cvt_f32_f16_e32 v40, v40
.LBB268_69:                             ;   in Loop: Header=BB268_14 Depth=1
	s_or_b64 exec, exec, s[46:47]
	v_lshrrev_b16_e32 v2, 8, v2
	v_cmp_lt_i16_e64 s[0:1], s60, v2
	s_mov_b64 s[46:47], 0
                                        ; implicit-def: $sgpr63
	s_and_saveexec_b64 s[48:49], s[0:1]
	s_xor_b64 s[48:49], exec, s[48:49]
	s_cbranch_execnz .LBB268_191
; %bb.70:                               ;   in Loop: Header=BB268_14 Depth=1
	s_or_saveexec_b64 s[48:49], s[48:49]
	v_mov_b32_e32 v41, s63
	s_xor_b64 exec, exec, s[48:49]
	s_cbranch_execnz .LBB268_194
.LBB268_71:                             ;   in Loop: Header=BB268_14 Depth=1
	s_or_b64 exec, exec, s[48:49]
	s_and_saveexec_b64 s[48:49], s[46:47]
	s_cbranch_execz .LBB268_73
.LBB268_72:                             ;   in Loop: Header=BB268_14 Depth=1
	v_and_b32_e32 v41, 7, v2
	v_ffbh_u32_e32 v42, v41
	v_min_u32_e32 v45, 32, v42
	v_subrev_u32_e32 v42, 28, v45
	v_bfe_u32 v44, v2, 3, 4
	v_lshlrev_b64 v[42:43], v42, v[2:3]
	v_sub_u32_e32 v43, 29, v45
	v_cmp_eq_u32_e64 s[0:1], 0, v44
	v_and_b32_e32 v42, 7, v42
	v_lshlrev_b32_e32 v2, 8, v2
	v_cndmask_b32_e64 v43, v44, v43, s[0:1]
	v_cndmask_b32_e64 v41, v41, v42, s[0:1]
	v_lshl_add_u32 v42, v43, 10, v24
	v_and_or_b32 v2, v2, s62, v42
	v_lshl_or_b32 v2, v41, 7, v2
	v_cvt_f32_f16_e32 v41, v2
.LBB268_73:                             ;   in Loop: Header=BB268_14 Depth=1
	s_or_b64 exec, exec, s[48:49]
	global_load_ushort v2, v[12:13], off offset:776
	s_mov_b64 s[0:1], 0
                                        ; implicit-def: $sgpr50
	s_waitcnt vmcnt(0)
	v_cmp_gt_i16_sdwa s[46:47], v2, s60 src0_sel:BYTE_0 src1_sel:DWORD
	s_and_saveexec_b64 s[48:49], s[46:47]
	s_xor_b64 s[46:47], exec, s[48:49]
	s_cbranch_execnz .LBB268_195
; %bb.74:                               ;   in Loop: Header=BB268_14 Depth=1
	s_or_saveexec_b64 s[46:47], s[46:47]
	v_mov_b32_e32 v42, s50
	s_xor_b64 exec, exec, s[46:47]
	s_cbranch_execnz .LBB268_198
.LBB268_75:                             ;   in Loop: Header=BB268_14 Depth=1
	s_or_b64 exec, exec, s[46:47]
	v_and_b32_e32 v2, 0xffff, v2
	s_and_saveexec_b64 s[46:47], s[0:1]
	s_cbranch_execz .LBB268_77
.LBB268_76:                             ;   in Loop: Header=BB268_14 Depth=1
	v_and_b32_e32 v44, 7, v2
	v_ffbh_u32_e32 v42, v44
	v_min_u32_e32 v46, 32, v42
	v_subrev_u32_e32 v42, 28, v46
	v_bfe_u32 v45, v2, 3, 4
	v_lshlrev_b64 v[42:43], v42, v[2:3]
	v_sub_u32_e32 v43, 29, v46
	v_cmp_eq_u32_e64 s[0:1], 0, v45
	v_and_b32_e32 v42, 7, v42
	s_nop 0
	v_cndmask_b32_e64 v43, v45, v43, s[0:1]
	v_cndmask_b32_e64 v42, v44, v42, s[0:1]
	v_lshlrev_b32_e32 v44, 8, v2
	v_lshl_add_u32 v43, v43, 10, v24
	v_and_or_b32 v43, v44, s62, v43
	v_lshl_or_b32 v42, v42, 7, v43
	v_cvt_f32_f16_e32 v42, v42
.LBB268_77:                             ;   in Loop: Header=BB268_14 Depth=1
	s_or_b64 exec, exec, s[46:47]
	v_lshrrev_b16_e32 v2, 8, v2
	v_cmp_lt_i16_e64 s[0:1], s60, v2
	s_mov_b64 s[46:47], 0
                                        ; implicit-def: $sgpr63
	s_and_saveexec_b64 s[48:49], s[0:1]
	s_xor_b64 s[48:49], exec, s[48:49]
	s_cbranch_execnz .LBB268_199
; %bb.78:                               ;   in Loop: Header=BB268_14 Depth=1
	s_or_saveexec_b64 s[48:49], s[48:49]
	v_mov_b32_e32 v43, s63
	s_xor_b64 exec, exec, s[48:49]
	s_cbranch_execnz .LBB268_202
.LBB268_79:                             ;   in Loop: Header=BB268_14 Depth=1
	s_or_b64 exec, exec, s[48:49]
	s_and_saveexec_b64 s[48:49], s[46:47]
	s_cbranch_execz .LBB268_81
.LBB268_80:                             ;   in Loop: Header=BB268_14 Depth=1
	v_and_b32_e32 v43, 7, v2
	v_ffbh_u32_e32 v44, v43
	v_min_u32_e32 v47, 32, v44
	v_subrev_u32_e32 v44, 28, v47
	v_bfe_u32 v46, v2, 3, 4
	v_lshlrev_b64 v[44:45], v44, v[2:3]
	v_sub_u32_e32 v45, 29, v47
	v_cmp_eq_u32_e64 s[0:1], 0, v46
	v_and_b32_e32 v44, 7, v44
	v_lshlrev_b32_e32 v2, 8, v2
	v_cndmask_b32_e64 v45, v46, v45, s[0:1]
	v_cndmask_b32_e64 v43, v43, v44, s[0:1]
	v_lshl_add_u32 v44, v45, 10, v24
	v_and_or_b32 v2, v2, s62, v44
	v_lshl_or_b32 v2, v43, 7, v2
	v_cvt_f32_f16_e32 v43, v2
.LBB268_81:                             ;   in Loop: Header=BB268_14 Depth=1
	s_or_b64 exec, exec, s[48:49]
	global_load_ushort v2, v[12:13], off offset:1024
	s_mov_b64 s[0:1], 0
                                        ; implicit-def: $sgpr50
	s_waitcnt vmcnt(0)
	v_cmp_gt_i16_sdwa s[46:47], v2, s60 src0_sel:BYTE_0 src1_sel:DWORD
	s_and_saveexec_b64 s[48:49], s[46:47]
	s_xor_b64 s[46:47], exec, s[48:49]
	s_cbranch_execnz .LBB268_203
; %bb.82:                               ;   in Loop: Header=BB268_14 Depth=1
	s_or_saveexec_b64 s[46:47], s[46:47]
	v_mov_b32_e32 v44, s50
	s_xor_b64 exec, exec, s[46:47]
	s_cbranch_execnz .LBB268_206
.LBB268_83:                             ;   in Loop: Header=BB268_14 Depth=1
	s_or_b64 exec, exec, s[46:47]
	v_and_b32_e32 v2, 0xffff, v2
	s_and_saveexec_b64 s[46:47], s[0:1]
	s_cbranch_execz .LBB268_85
.LBB268_84:                             ;   in Loop: Header=BB268_14 Depth=1
	v_and_b32_e32 v46, 7, v2
	v_ffbh_u32_e32 v44, v46
	v_min_u32_e32 v48, 32, v44
	v_subrev_u32_e32 v44, 28, v48
	v_bfe_u32 v47, v2, 3, 4
	v_lshlrev_b64 v[44:45], v44, v[2:3]
	v_sub_u32_e32 v45, 29, v48
	v_cmp_eq_u32_e64 s[0:1], 0, v47
	v_and_b32_e32 v44, 7, v44
	s_nop 0
	v_cndmask_b32_e64 v45, v47, v45, s[0:1]
	v_cndmask_b32_e64 v44, v46, v44, s[0:1]
	v_lshlrev_b32_e32 v46, 8, v2
	v_lshl_add_u32 v45, v45, 10, v24
	v_and_or_b32 v45, v46, s62, v45
	v_lshl_or_b32 v44, v44, 7, v45
	v_cvt_f32_f16_e32 v44, v44
.LBB268_85:                             ;   in Loop: Header=BB268_14 Depth=1
	s_or_b64 exec, exec, s[46:47]
	v_lshrrev_b16_e32 v2, 8, v2
	v_cmp_lt_i16_e64 s[0:1], s60, v2
	s_mov_b64 s[46:47], 0
                                        ; implicit-def: $sgpr63
	s_and_saveexec_b64 s[48:49], s[0:1]
	s_xor_b64 s[48:49], exec, s[48:49]
	s_cbranch_execnz .LBB268_207
; %bb.86:                               ;   in Loop: Header=BB268_14 Depth=1
	s_or_saveexec_b64 s[48:49], s[48:49]
	v_mov_b32_e32 v45, s63
	s_xor_b64 exec, exec, s[48:49]
	s_cbranch_execnz .LBB268_210
.LBB268_87:                             ;   in Loop: Header=BB268_14 Depth=1
	s_or_b64 exec, exec, s[48:49]
	s_and_saveexec_b64 s[48:49], s[46:47]
	s_cbranch_execz .LBB268_89
.LBB268_88:                             ;   in Loop: Header=BB268_14 Depth=1
	v_and_b32_e32 v45, 7, v2
	v_ffbh_u32_e32 v46, v45
	v_min_u32_e32 v49, 32, v46
	v_subrev_u32_e32 v46, 28, v49
	v_bfe_u32 v48, v2, 3, 4
	v_lshlrev_b64 v[46:47], v46, v[2:3]
	v_sub_u32_e32 v47, 29, v49
	v_cmp_eq_u32_e64 s[0:1], 0, v48
	v_and_b32_e32 v46, 7, v46
	v_lshlrev_b32_e32 v2, 8, v2
	v_cndmask_b32_e64 v47, v48, v47, s[0:1]
	v_cndmask_b32_e64 v45, v45, v46, s[0:1]
	v_lshl_add_u32 v46, v47, 10, v24
	v_and_or_b32 v2, v2, s62, v46
	v_lshl_or_b32 v2, v45, 7, v2
	v_cvt_f32_f16_e32 v45, v2
.LBB268_89:                             ;   in Loop: Header=BB268_14 Depth=1
	s_or_b64 exec, exec, s[48:49]
	global_load_ushort v2, v[12:13], off offset:1032
	s_mov_b64 s[0:1], 0
                                        ; implicit-def: $sgpr50
	s_waitcnt vmcnt(0)
	v_cmp_gt_i16_sdwa s[46:47], v2, s60 src0_sel:BYTE_0 src1_sel:DWORD
	s_and_saveexec_b64 s[48:49], s[46:47]
	s_xor_b64 s[46:47], exec, s[48:49]
	s_cbranch_execnz .LBB268_211
; %bb.90:                               ;   in Loop: Header=BB268_14 Depth=1
	s_or_saveexec_b64 s[46:47], s[46:47]
	v_mov_b32_e32 v46, s50
	s_xor_b64 exec, exec, s[46:47]
	s_cbranch_execnz .LBB268_214
.LBB268_91:                             ;   in Loop: Header=BB268_14 Depth=1
	s_or_b64 exec, exec, s[46:47]
	v_and_b32_e32 v2, 0xffff, v2
	s_and_saveexec_b64 s[46:47], s[0:1]
	s_cbranch_execz .LBB268_93
.LBB268_92:                             ;   in Loop: Header=BB268_14 Depth=1
	v_and_b32_e32 v48, 7, v2
	v_ffbh_u32_e32 v46, v48
	v_min_u32_e32 v50, 32, v46
	v_subrev_u32_e32 v46, 28, v50
	v_bfe_u32 v49, v2, 3, 4
	v_lshlrev_b64 v[46:47], v46, v[2:3]
	v_sub_u32_e32 v47, 29, v50
	v_cmp_eq_u32_e64 s[0:1], 0, v49
	v_and_b32_e32 v46, 7, v46
	s_nop 0
	v_cndmask_b32_e64 v47, v49, v47, s[0:1]
	v_cndmask_b32_e64 v46, v48, v46, s[0:1]
	v_lshlrev_b32_e32 v48, 8, v2
	v_lshl_add_u32 v47, v47, 10, v24
	v_and_or_b32 v47, v48, s62, v47
	v_lshl_or_b32 v46, v46, 7, v47
	v_cvt_f32_f16_e32 v46, v46
.LBB268_93:                             ;   in Loop: Header=BB268_14 Depth=1
	s_or_b64 exec, exec, s[46:47]
	v_lshrrev_b16_e32 v2, 8, v2
	v_cmp_lt_i16_e64 s[0:1], s60, v2
	s_mov_b64 s[46:47], 0
                                        ; implicit-def: $sgpr63
	s_and_saveexec_b64 s[48:49], s[0:1]
	s_xor_b64 s[48:49], exec, s[48:49]
	s_cbranch_execnz .LBB268_215
; %bb.94:                               ;   in Loop: Header=BB268_14 Depth=1
	s_or_saveexec_b64 s[48:49], s[48:49]
	v_mov_b32_e32 v47, s63
	s_xor_b64 exec, exec, s[48:49]
	s_cbranch_execnz .LBB268_218
.LBB268_95:                             ;   in Loop: Header=BB268_14 Depth=1
	s_or_b64 exec, exec, s[48:49]
	s_and_saveexec_b64 s[48:49], s[46:47]
	s_cbranch_execz .LBB268_97
.LBB268_96:                             ;   in Loop: Header=BB268_14 Depth=1
	v_and_b32_e32 v47, 7, v2
	v_ffbh_u32_e32 v48, v47
	v_min_u32_e32 v51, 32, v48
	v_subrev_u32_e32 v48, 28, v51
	v_bfe_u32 v50, v2, 3, 4
	v_lshlrev_b64 v[48:49], v48, v[2:3]
	v_sub_u32_e32 v49, 29, v51
	v_cmp_eq_u32_e64 s[0:1], 0, v50
	v_and_b32_e32 v48, 7, v48
	v_lshlrev_b32_e32 v2, 8, v2
	v_cndmask_b32_e64 v49, v50, v49, s[0:1]
	v_cndmask_b32_e64 v47, v47, v48, s[0:1]
	v_lshl_add_u32 v48, v49, 10, v24
	v_and_or_b32 v2, v2, s62, v48
	v_lshl_or_b32 v2, v47, 7, v2
	v_cvt_f32_f16_e32 v47, v2
.LBB268_97:                             ;   in Loop: Header=BB268_14 Depth=1
	s_or_b64 exec, exec, s[48:49]
	global_load_ushort v2, v[12:13], off offset:1280
	s_mov_b64 s[0:1], 0
                                        ; implicit-def: $sgpr50
	s_waitcnt vmcnt(0)
	v_cmp_gt_i16_sdwa s[46:47], v2, s60 src0_sel:BYTE_0 src1_sel:DWORD
	s_and_saveexec_b64 s[48:49], s[46:47]
	s_xor_b64 s[46:47], exec, s[48:49]
	s_cbranch_execnz .LBB268_219
; %bb.98:                               ;   in Loop: Header=BB268_14 Depth=1
	s_or_saveexec_b64 s[46:47], s[46:47]
	v_mov_b32_e32 v48, s50
	s_xor_b64 exec, exec, s[46:47]
	s_cbranch_execnz .LBB268_222
.LBB268_99:                             ;   in Loop: Header=BB268_14 Depth=1
	s_or_b64 exec, exec, s[46:47]
	v_and_b32_e32 v2, 0xffff, v2
	s_and_saveexec_b64 s[46:47], s[0:1]
	s_cbranch_execz .LBB268_101
.LBB268_100:                            ;   in Loop: Header=BB268_14 Depth=1
	v_and_b32_e32 v50, 7, v2
	v_ffbh_u32_e32 v48, v50
	v_min_u32_e32 v52, 32, v48
	v_subrev_u32_e32 v48, 28, v52
	v_bfe_u32 v51, v2, 3, 4
	v_lshlrev_b64 v[48:49], v48, v[2:3]
	v_sub_u32_e32 v49, 29, v52
	v_cmp_eq_u32_e64 s[0:1], 0, v51
	v_and_b32_e32 v48, 7, v48
	s_nop 0
	v_cndmask_b32_e64 v49, v51, v49, s[0:1]
	v_cndmask_b32_e64 v48, v50, v48, s[0:1]
	v_lshlrev_b32_e32 v50, 8, v2
	v_lshl_add_u32 v49, v49, 10, v24
	v_and_or_b32 v49, v50, s62, v49
	v_lshl_or_b32 v48, v48, 7, v49
	v_cvt_f32_f16_e32 v48, v48
.LBB268_101:                            ;   in Loop: Header=BB268_14 Depth=1
	s_or_b64 exec, exec, s[46:47]
	v_lshrrev_b16_e32 v2, 8, v2
	v_cmp_lt_i16_e64 s[0:1], s60, v2
	s_mov_b64 s[46:47], 0
                                        ; implicit-def: $sgpr63
	s_and_saveexec_b64 s[48:49], s[0:1]
	s_xor_b64 s[48:49], exec, s[48:49]
	s_cbranch_execnz .LBB268_223
; %bb.102:                              ;   in Loop: Header=BB268_14 Depth=1
	s_or_saveexec_b64 s[48:49], s[48:49]
	v_mov_b32_e32 v49, s63
	s_xor_b64 exec, exec, s[48:49]
	s_cbranch_execnz .LBB268_226
.LBB268_103:                            ;   in Loop: Header=BB268_14 Depth=1
	s_or_b64 exec, exec, s[48:49]
	s_and_saveexec_b64 s[48:49], s[46:47]
	s_cbranch_execz .LBB268_105
.LBB268_104:                            ;   in Loop: Header=BB268_14 Depth=1
	v_and_b32_e32 v49, 7, v2
	v_ffbh_u32_e32 v50, v49
	v_min_u32_e32 v53, 32, v50
	v_subrev_u32_e32 v50, 28, v53
	v_bfe_u32 v52, v2, 3, 4
	v_lshlrev_b64 v[50:51], v50, v[2:3]
	v_sub_u32_e32 v51, 29, v53
	v_cmp_eq_u32_e64 s[0:1], 0, v52
	v_and_b32_e32 v50, 7, v50
	v_lshlrev_b32_e32 v2, 8, v2
	v_cndmask_b32_e64 v51, v52, v51, s[0:1]
	v_cndmask_b32_e64 v49, v49, v50, s[0:1]
	v_lshl_add_u32 v50, v51, 10, v24
	v_and_or_b32 v2, v2, s62, v50
	v_lshl_or_b32 v2, v49, 7, v2
	v_cvt_f32_f16_e32 v49, v2
.LBB268_105:                            ;   in Loop: Header=BB268_14 Depth=1
	s_or_b64 exec, exec, s[48:49]
	global_load_ushort v2, v[12:13], off offset:1288
	s_mov_b64 s[0:1], 0
                                        ; implicit-def: $sgpr50
	s_waitcnt vmcnt(0)
	v_cmp_gt_i16_sdwa s[46:47], v2, s60 src0_sel:BYTE_0 src1_sel:DWORD
	s_and_saveexec_b64 s[48:49], s[46:47]
	s_xor_b64 s[46:47], exec, s[48:49]
	s_cbranch_execnz .LBB268_227
; %bb.106:                              ;   in Loop: Header=BB268_14 Depth=1
	s_or_saveexec_b64 s[46:47], s[46:47]
	v_mov_b32_e32 v50, s50
	s_xor_b64 exec, exec, s[46:47]
	s_cbranch_execnz .LBB268_230
.LBB268_107:                            ;   in Loop: Header=BB268_14 Depth=1
	s_or_b64 exec, exec, s[46:47]
	v_and_b32_e32 v2, 0xffff, v2
	s_and_saveexec_b64 s[46:47], s[0:1]
	s_cbranch_execz .LBB268_109
.LBB268_108:                            ;   in Loop: Header=BB268_14 Depth=1
	v_and_b32_e32 v52, 7, v2
	v_ffbh_u32_e32 v50, v52
	v_min_u32_e32 v54, 32, v50
	v_subrev_u32_e32 v50, 28, v54
	v_bfe_u32 v53, v2, 3, 4
	v_lshlrev_b64 v[50:51], v50, v[2:3]
	v_sub_u32_e32 v51, 29, v54
	v_cmp_eq_u32_e64 s[0:1], 0, v53
	v_and_b32_e32 v50, 7, v50
	s_nop 0
	v_cndmask_b32_e64 v51, v53, v51, s[0:1]
	v_cndmask_b32_e64 v50, v52, v50, s[0:1]
	v_lshlrev_b32_e32 v52, 8, v2
	v_lshl_add_u32 v51, v51, 10, v24
	v_and_or_b32 v51, v52, s62, v51
	v_lshl_or_b32 v50, v50, 7, v51
	v_cvt_f32_f16_e32 v50, v50
.LBB268_109:                            ;   in Loop: Header=BB268_14 Depth=1
	s_or_b64 exec, exec, s[46:47]
	v_lshrrev_b16_e32 v2, 8, v2
	v_cmp_lt_i16_e64 s[0:1], s60, v2
	s_mov_b64 s[46:47], 0
                                        ; implicit-def: $sgpr63
	s_and_saveexec_b64 s[48:49], s[0:1]
	s_xor_b64 s[48:49], exec, s[48:49]
	s_cbranch_execnz .LBB268_231
; %bb.110:                              ;   in Loop: Header=BB268_14 Depth=1
	s_or_saveexec_b64 s[48:49], s[48:49]
	v_mov_b32_e32 v51, s63
	s_xor_b64 exec, exec, s[48:49]
	s_cbranch_execnz .LBB268_234
.LBB268_111:                            ;   in Loop: Header=BB268_14 Depth=1
	s_or_b64 exec, exec, s[48:49]
	s_and_saveexec_b64 s[48:49], s[46:47]
	s_cbranch_execz .LBB268_113
.LBB268_112:                            ;   in Loop: Header=BB268_14 Depth=1
	v_and_b32_e32 v51, 7, v2
	v_ffbh_u32_e32 v52, v51
	v_min_u32_e32 v55, 32, v52
	v_subrev_u32_e32 v52, 28, v55
	v_bfe_u32 v54, v2, 3, 4
	v_lshlrev_b64 v[52:53], v52, v[2:3]
	v_sub_u32_e32 v53, 29, v55
	v_cmp_eq_u32_e64 s[0:1], 0, v54
	v_and_b32_e32 v52, 7, v52
	v_lshlrev_b32_e32 v2, 8, v2
	v_cndmask_b32_e64 v53, v54, v53, s[0:1]
	v_cndmask_b32_e64 v51, v51, v52, s[0:1]
	v_lshl_add_u32 v52, v53, 10, v24
	v_and_or_b32 v2, v2, s62, v52
	v_lshl_or_b32 v2, v51, 7, v2
	v_cvt_f32_f16_e32 v51, v2
.LBB268_113:                            ;   in Loop: Header=BB268_14 Depth=1
	s_or_b64 exec, exec, s[48:49]
	global_load_ushort v2, v[12:13], off offset:1536
	s_mov_b64 s[0:1], 0
                                        ; implicit-def: $sgpr50
	s_waitcnt vmcnt(0)
	v_cmp_gt_i16_sdwa s[46:47], v2, s60 src0_sel:BYTE_0 src1_sel:DWORD
	s_and_saveexec_b64 s[48:49], s[46:47]
	s_xor_b64 s[46:47], exec, s[48:49]
	s_cbranch_execnz .LBB268_235
; %bb.114:                              ;   in Loop: Header=BB268_14 Depth=1
	s_or_saveexec_b64 s[46:47], s[46:47]
	v_mov_b32_e32 v52, s50
	s_xor_b64 exec, exec, s[46:47]
	s_cbranch_execnz .LBB268_238
.LBB268_115:                            ;   in Loop: Header=BB268_14 Depth=1
	s_or_b64 exec, exec, s[46:47]
	v_and_b32_e32 v2, 0xffff, v2
	s_and_saveexec_b64 s[46:47], s[0:1]
	s_cbranch_execz .LBB268_117
.LBB268_116:                            ;   in Loop: Header=BB268_14 Depth=1
	v_and_b32_e32 v54, 7, v2
	v_ffbh_u32_e32 v52, v54
	v_min_u32_e32 v56, 32, v52
	v_subrev_u32_e32 v52, 28, v56
	v_bfe_u32 v55, v2, 3, 4
	v_lshlrev_b64 v[52:53], v52, v[2:3]
	v_sub_u32_e32 v53, 29, v56
	v_cmp_eq_u32_e64 s[0:1], 0, v55
	v_and_b32_e32 v52, 7, v52
	s_nop 0
	v_cndmask_b32_e64 v53, v55, v53, s[0:1]
	v_cndmask_b32_e64 v52, v54, v52, s[0:1]
	v_lshlrev_b32_e32 v54, 8, v2
	v_lshl_add_u32 v53, v53, 10, v24
	v_and_or_b32 v53, v54, s62, v53
	v_lshl_or_b32 v52, v52, 7, v53
	v_cvt_f32_f16_e32 v52, v52
.LBB268_117:                            ;   in Loop: Header=BB268_14 Depth=1
	s_or_b64 exec, exec, s[46:47]
	v_lshrrev_b16_e32 v2, 8, v2
	v_cmp_lt_i16_e64 s[0:1], s60, v2
	s_mov_b64 s[46:47], 0
                                        ; implicit-def: $sgpr63
	s_and_saveexec_b64 s[48:49], s[0:1]
	s_xor_b64 s[48:49], exec, s[48:49]
	s_cbranch_execnz .LBB268_239
; %bb.118:                              ;   in Loop: Header=BB268_14 Depth=1
	s_or_saveexec_b64 s[48:49], s[48:49]
	v_mov_b32_e32 v53, s63
	s_xor_b64 exec, exec, s[48:49]
	s_cbranch_execnz .LBB268_242
.LBB268_119:                            ;   in Loop: Header=BB268_14 Depth=1
	s_or_b64 exec, exec, s[48:49]
	s_and_saveexec_b64 s[48:49], s[46:47]
	s_cbranch_execz .LBB268_121
.LBB268_120:                            ;   in Loop: Header=BB268_14 Depth=1
	v_and_b32_e32 v53, 7, v2
	v_ffbh_u32_e32 v54, v53
	v_min_u32_e32 v57, 32, v54
	v_subrev_u32_e32 v54, 28, v57
	v_bfe_u32 v56, v2, 3, 4
	v_lshlrev_b64 v[54:55], v54, v[2:3]
	v_sub_u32_e32 v55, 29, v57
	v_cmp_eq_u32_e64 s[0:1], 0, v56
	v_and_b32_e32 v54, 7, v54
	v_lshlrev_b32_e32 v2, 8, v2
	v_cndmask_b32_e64 v55, v56, v55, s[0:1]
	v_cndmask_b32_e64 v53, v53, v54, s[0:1]
	v_lshl_add_u32 v54, v55, 10, v24
	v_and_or_b32 v2, v2, s62, v54
	v_lshl_or_b32 v2, v53, 7, v2
	v_cvt_f32_f16_e32 v53, v2
.LBB268_121:                            ;   in Loop: Header=BB268_14 Depth=1
	s_or_b64 exec, exec, s[48:49]
	global_load_ushort v2, v[12:13], off offset:1544
	s_mov_b64 s[0:1], 0
                                        ; implicit-def: $sgpr50
	s_waitcnt vmcnt(0)
	v_cmp_gt_i16_sdwa s[46:47], v2, s60 src0_sel:BYTE_0 src1_sel:DWORD
	s_and_saveexec_b64 s[48:49], s[46:47]
	s_xor_b64 s[46:47], exec, s[48:49]
	s_cbranch_execnz .LBB268_243
; %bb.122:                              ;   in Loop: Header=BB268_14 Depth=1
	s_or_saveexec_b64 s[46:47], s[46:47]
	v_mov_b32_e32 v54, s50
	s_xor_b64 exec, exec, s[46:47]
	s_cbranch_execnz .LBB268_246
.LBB268_123:                            ;   in Loop: Header=BB268_14 Depth=1
	s_or_b64 exec, exec, s[46:47]
	v_and_b32_e32 v2, 0xffff, v2
	s_and_saveexec_b64 s[46:47], s[0:1]
	s_cbranch_execz .LBB268_125
.LBB268_124:                            ;   in Loop: Header=BB268_14 Depth=1
	v_and_b32_e32 v56, 7, v2
	v_ffbh_u32_e32 v54, v56
	v_min_u32_e32 v58, 32, v54
	v_subrev_u32_e32 v54, 28, v58
	v_bfe_u32 v57, v2, 3, 4
	v_lshlrev_b64 v[54:55], v54, v[2:3]
	v_sub_u32_e32 v55, 29, v58
	v_cmp_eq_u32_e64 s[0:1], 0, v57
	v_and_b32_e32 v54, 7, v54
	s_nop 0
	v_cndmask_b32_e64 v55, v57, v55, s[0:1]
	v_cndmask_b32_e64 v54, v56, v54, s[0:1]
	v_lshlrev_b32_e32 v56, 8, v2
	v_lshl_add_u32 v55, v55, 10, v24
	v_and_or_b32 v55, v56, s62, v55
	v_lshl_or_b32 v54, v54, 7, v55
	v_cvt_f32_f16_e32 v54, v54
.LBB268_125:                            ;   in Loop: Header=BB268_14 Depth=1
	s_or_b64 exec, exec, s[46:47]
	v_lshrrev_b16_e32 v2, 8, v2
	v_cmp_lt_i16_e64 s[0:1], s60, v2
	s_mov_b64 s[46:47], 0
                                        ; implicit-def: $sgpr63
	s_and_saveexec_b64 s[48:49], s[0:1]
	s_xor_b64 s[48:49], exec, s[48:49]
	s_cbranch_execnz .LBB268_247
; %bb.126:                              ;   in Loop: Header=BB268_14 Depth=1
	s_or_saveexec_b64 s[48:49], s[48:49]
	v_mov_b32_e32 v55, s63
	s_xor_b64 exec, exec, s[48:49]
	s_cbranch_execnz .LBB268_250
.LBB268_127:                            ;   in Loop: Header=BB268_14 Depth=1
	s_or_b64 exec, exec, s[48:49]
	s_and_saveexec_b64 s[48:49], s[46:47]
	s_cbranch_execz .LBB268_129
.LBB268_128:                            ;   in Loop: Header=BB268_14 Depth=1
	v_and_b32_e32 v55, 7, v2
	v_ffbh_u32_e32 v56, v55
	v_min_u32_e32 v59, 32, v56
	v_subrev_u32_e32 v56, 28, v59
	v_bfe_u32 v58, v2, 3, 4
	v_lshlrev_b64 v[56:57], v56, v[2:3]
	v_sub_u32_e32 v57, 29, v59
	v_cmp_eq_u32_e64 s[0:1], 0, v58
	v_and_b32_e32 v56, 7, v56
	v_lshlrev_b32_e32 v2, 8, v2
	v_cndmask_b32_e64 v57, v58, v57, s[0:1]
	v_cndmask_b32_e64 v55, v55, v56, s[0:1]
	v_lshl_add_u32 v56, v57, 10, v24
	v_and_or_b32 v2, v2, s62, v56
	v_lshl_or_b32 v2, v55, 7, v2
	v_cvt_f32_f16_e32 v55, v2
.LBB268_129:                            ;   in Loop: Header=BB268_14 Depth=1
	s_or_b64 exec, exec, s[48:49]
	global_load_ushort v2, v[12:13], off offset:1792
	s_mov_b64 s[0:1], 0
                                        ; implicit-def: $sgpr50
	s_waitcnt vmcnt(0)
	v_cmp_gt_i16_sdwa s[46:47], v2, s60 src0_sel:BYTE_0 src1_sel:DWORD
	s_and_saveexec_b64 s[48:49], s[46:47]
	s_xor_b64 s[46:47], exec, s[48:49]
	s_cbranch_execnz .LBB268_251
; %bb.130:                              ;   in Loop: Header=BB268_14 Depth=1
	s_or_saveexec_b64 s[46:47], s[46:47]
	v_mov_b32_e32 v12, s50
	s_xor_b64 exec, exec, s[46:47]
	s_cbranch_execnz .LBB268_254
.LBB268_131:                            ;   in Loop: Header=BB268_14 Depth=1
	s_or_b64 exec, exec, s[46:47]
	v_and_b32_e32 v2, 0xffff, v2
	s_and_saveexec_b64 s[46:47], s[0:1]
	s_cbranch_execz .LBB268_133
.LBB268_132:                            ;   in Loop: Header=BB268_14 Depth=1
	v_and_b32_e32 v56, 7, v2
	v_ffbh_u32_e32 v12, v56
	v_min_u32_e32 v58, 32, v12
	v_subrev_u32_e32 v12, 28, v58
	v_bfe_u32 v57, v2, 3, 4
	v_lshlrev_b64 v[12:13], v12, v[2:3]
	v_sub_u32_e32 v13, 29, v58
	v_cmp_eq_u32_e64 s[0:1], 0, v57
	v_and_b32_e32 v12, 7, v12
	s_nop 0
	v_cndmask_b32_e64 v13, v57, v13, s[0:1]
	v_cndmask_b32_e64 v12, v56, v12, s[0:1]
	v_lshlrev_b32_e32 v56, 8, v2
	v_lshl_add_u32 v13, v13, 10, v24
	v_and_or_b32 v13, v56, s62, v13
	v_lshl_or_b32 v12, v12, 7, v13
	v_cvt_f32_f16_e32 v12, v12
.LBB268_133:                            ;   in Loop: Header=BB268_14 Depth=1
	s_or_b64 exec, exec, s[46:47]
	v_lshrrev_b16_e32 v2, 8, v2
	v_cmp_lt_i16_e64 s[0:1], s60, v2
	s_mov_b64 s[46:47], 0
                                        ; implicit-def: $sgpr63
	s_and_saveexec_b64 s[48:49], s[0:1]
	s_xor_b64 s[48:49], exec, s[48:49]
	s_cbranch_execnz .LBB268_255
; %bb.134:                              ;   in Loop: Header=BB268_14 Depth=1
	s_or_saveexec_b64 s[48:49], s[48:49]
	v_mov_b32_e32 v13, s63
	s_xor_b64 exec, exec, s[48:49]
	s_cbranch_execnz .LBB268_258
.LBB268_135:                            ;   in Loop: Header=BB268_14 Depth=1
	s_or_b64 exec, exec, s[48:49]
	s_and_saveexec_b64 s[48:49], s[46:47]
	s_cbranch_execz .LBB268_137
.LBB268_136:                            ;   in Loop: Header=BB268_14 Depth=1
	v_and_b32_e32 v13, 7, v2
	v_ffbh_u32_e32 v56, v13
	v_min_u32_e32 v59, 32, v56
	v_subrev_u32_e32 v56, 28, v59
	v_bfe_u32 v58, v2, 3, 4
	v_lshlrev_b64 v[56:57], v56, v[2:3]
	v_sub_u32_e32 v57, 29, v59
	v_cmp_eq_u32_e64 s[0:1], 0, v58
	v_and_b32_e32 v56, 7, v56
	v_lshlrev_b32_e32 v2, 8, v2
	v_cndmask_b32_e64 v57, v58, v57, s[0:1]
	v_cndmask_b32_e64 v13, v13, v56, s[0:1]
	v_lshl_add_u32 v56, v57, 10, v24
	v_and_or_b32 v2, v2, s62, v56
	v_lshl_or_b32 v2, v13, 7, v2
	v_cvt_f32_f16_e32 v13, v2
.LBB268_137:                            ;   in Loop: Header=BB268_14 Depth=1
	s_or_b64 exec, exec, s[48:49]
	ds_read_b32 v2, v17
	v_fma_mixlo_f16 v28, v27, v28, 0
	v_fma_mixlo_f16 v29, v27, v29, 0
	v_and_b32_e32 v28, 0xffff, v28
	v_and_b32_e32 v29, 0xffff, v29
	s_waitcnt lgkmcnt(0)
	v_lshrrev_b32_e32 v56, 16, v2
	v_and_b32_e32 v2, 0xffff, v2
	;;#ASMSTART
	v_cvt_f32_f16 v2, v2;
	;;#ASMEND
	;;#ASMSTART
	v_cvt_f32_f16 v56, v56;
	;;#ASMEND
	;;#ASMSTART
	v_cvt_f32_f16 v28, v28;
	;;#ASMEND
	;;#ASMSTART
	v_cvt_f32_f16 v29, v29;
	;;#ASMEND
	ds_read_b32 v57, v17 offset:4
	v_fma_mixlo_f16 v30, v27, v30, 0
	v_fma_mixlo_f16 v31, v27, v31, 0
	v_and_b32_e32 v30, 0xffff, v30
	v_and_b32_e32 v31, 0xffff, v31
	s_waitcnt lgkmcnt(0)
	v_lshrrev_b32_e32 v58, 16, v57
	v_and_b32_e32 v57, 0xffff, v57
	;;#ASMSTART
	v_cvt_f32_f16 v57, v57;
	;;#ASMEND
	;;#ASMSTART
	v_cvt_f32_f16 v58, v58;
	;;#ASMEND
	;;#ASMSTART
	v_cvt_f32_f16 v30, v30;
	;;#ASMEND
	;;#ASMSTART
	v_cvt_f32_f16 v31, v31;
	;;#ASMEND
	ds_read_b32 v59, v17 offset:8
	;; [unrolled: 20-line block ×7, first 2 shown]
	v_fma_mixlo_f16 v42, v27, v42, 0
	v_fma_mixlo_f16 v43, v27, v43, 0
	;; [unrolled: 1-line block ×16, first 2 shown]
	s_waitcnt lgkmcnt(0)
	v_lshrrev_b32_e32 v27, 16, v69
	v_and_b32_e32 v69, 0xffff, v69
	v_and_b32_e32 v42, 0xffff, v42
	;; [unrolled: 1-line block ×3, first 2 shown]
	;;#ASMSTART
	v_cvt_f32_f16 v69, v69;
	;;#ASMEND
	;;#ASMSTART
	v_cvt_f32_f16 v27, v27;
	;;#ASMEND
	;; [unrolled: 3-line block ×4, first 2 shown]
	ds_read_b32 v70, v17 offset:32
	v_mul_f32_e32 v30, v57, v30
	v_fmac_f32_e32 v30, v2, v28
	v_mul_f32_e32 v2, v58, v31
	v_fmac_f32_e32 v2, v56, v29
	s_waitcnt lgkmcnt(0)
	v_lshrrev_b32_e32 v28, 16, v70
	v_and_b32_e32 v29, 0xffff, v70
	v_and_b32_e32 v31, 0xffff, v44
	v_and_b32_e32 v44, 0xffff, v45
	;;#ASMSTART
	v_cvt_f32_f16 v29, v29;
	;;#ASMEND
	;;#ASMSTART
	v_cvt_f32_f16 v28, v28;
	;;#ASMEND
	;;#ASMSTART
	v_cvt_f32_f16 v31, v31;
	;;#ASMEND
	;;#ASMSTART
	v_cvt_f32_f16 v44, v44;
	;;#ASMEND
	ds_read_b32 v45, v17 offset:36
	v_fmac_f32_e32 v30, v59, v32
	v_fmac_f32_e32 v2, v60, v33
	v_fmac_f32_e32 v30, v61, v34
	v_fmac_f32_e32 v2, v62, v35
	s_waitcnt lgkmcnt(0)
	v_lshrrev_b32_e32 v32, 16, v45
	v_and_b32_e32 v33, 0xffff, v45
	v_and_b32_e32 v34, 0xffff, v46
	v_and_b32_e32 v35, 0xffff, v47
	;;#ASMSTART
	v_cvt_f32_f16 v33, v33;
	;;#ASMEND
	;;#ASMSTART
	v_cvt_f32_f16 v32, v32;
	;;#ASMEND
	;;#ASMSTART
	v_cvt_f32_f16 v34, v34;
	;;#ASMEND
	;;#ASMSTART
	v_cvt_f32_f16 v35, v35;
	;;#ASMEND
	ds_read_b32 v45, v17 offset:40
	v_fmac_f32_e32 v30, v63, v36
	v_fmac_f32_e32 v2, v64, v37
	v_fmac_f32_e32 v30, v65, v38
	;; [unrolled: 22-line block ×4, first 2 shown]
	v_and_b32_e32 v31, 0xffff, v52
	s_waitcnt lgkmcnt(0)
	v_lshrrev_b32_e32 v28, 16, v43
	v_and_b32_e32 v29, 0xffff, v43
	v_and_b32_e32 v32, 0xffff, v53
	v_fmac_f32_e32 v30, v33, v34
	;;#ASMSTART
	v_cvt_f32_f16 v29, v29;
	;;#ASMEND
	;;#ASMSTART
	v_cvt_f32_f16 v28, v28;
	;;#ASMEND
	;; [unrolled: 3-line block ×4, first 2 shown]
	ds_read_b32 v33, v17 offset:52
	v_fmac_f32_e32 v2, v36, v39
	v_fmac_f32_e32 v2, v27, v42
	v_and_b32_e32 v34, 0xffff, v54
	v_and_b32_e32 v35, 0xffff, v55
	s_waitcnt lgkmcnt(0)
	v_lshrrev_b32_e32 v27, 16, v33
	v_and_b32_e32 v33, 0xffff, v33
	;;#ASMSTART
	v_cvt_f32_f16 v33, v33;
	;;#ASMEND
	;;#ASMSTART
	v_cvt_f32_f16 v27, v27;
	;;#ASMEND
	;;#ASMSTART
	v_cvt_f32_f16 v34, v34;
	;;#ASMEND
	;;#ASMSTART
	v_cvt_f32_f16 v35, v35;
	;;#ASMEND
	ds_read_b32 v36, v17 offset:56
	v_fmac_f32_e32 v30, v37, v38
	v_fmac_f32_e32 v30, v40, v41
	;; [unrolled: 1-line block ×5, first 2 shown]
	s_waitcnt lgkmcnt(0)
	v_lshrrev_b32_e32 v27, 16, v36
	v_and_b32_e32 v28, 0xffff, v36
	v_and_b32_e32 v12, 0xffff, v12
	v_fmac_f32_e32 v30, v33, v34
	;;#ASMSTART
	v_cvt_f32_f16 v28, v28;
	;;#ASMEND
	;;#ASMSTART
	v_cvt_f32_f16 v27, v27;
	;;#ASMEND
	;; [unrolled: 3-line block ×3, first 2 shown]
	v_and_b32_e32 v13, 0xffff, v13
	;;#ASMSTART
	v_cvt_f32_f16 v13, v13;
	;;#ASMEND
	v_fmac_f32_e32 v30, v28, v12
	v_and_b32_e32 v12, 64, v25
	v_fmac_f32_e32 v2, v27, v13
	v_add_u32_e32 v12, 64, v12
	v_xor_b32_e32 v13, 2, v25
	v_cmp_lt_i32_e64 s[0:1], v13, v12
	v_add_f32_e32 v2, v30, v2
	s_nop 0
	v_cndmask_b32_e64 v13, v25, v13, s[0:1]
	v_lshlrev_b32_e32 v13, 2, v13
	ds_bpermute_b32 v13, v13, v2
	s_waitcnt lgkmcnt(0)
	v_add_f32_e32 v2, v2, v13
	v_xor_b32_e32 v13, 1, v25
	v_cmp_lt_i32_e64 s[0:1], v13, v12
	s_nop 1
	v_cndmask_b32_e64 v12, v25, v13, s[0:1]
	v_lshlrev_b32_e32 v12, 2, v12
	ds_bpermute_b32 v12, v12, v2
	s_and_saveexec_b64 s[46:47], vcc
	s_cbranch_execz .LBB268_12
; %bb.138:                              ;   in Loop: Header=BB268_14 Depth=1
	v_add_u32_e32 v13, v22, v20
	v_cvt_f32_i32_e32 v13, v13
	s_waitcnt lgkmcnt(0)
	v_add_f32_e32 v2, v2, v12
	v_add_u32_e32 v27, v15, v20
	v_cmp_gt_i32_e64 s[0:1], s33, v27
	v_mul_f32_e32 v12, s56, v13
	v_cndmask_b32_e64 v12, 0, v12, s[6:7]
	v_fmac_f32_e32 v12, s43, v2
	v_cndmask_b32_e64 v2, 0, v12, s[0:1]
	ds_write_b32 v21, v2
	v_max_f32_e32 v2, v18, v18
	v_max_f32_e32 v2, v2, v12
	v_cndmask_b32_e64 v18, v18, v2, s[0:1]
	s_branch .LBB268_12
.LBB268_139:                            ;   in Loop: Header=BB268_14 Depth=1
	v_cmp_eq_u16_sdwa s[64:65], v2, s61 src0_sel:BYTE_0 src1_sel:DWORD
	s_mov_b64 s[0:1], -1
                                        ; implicit-def: $sgpr50
	s_and_saveexec_b64 s[48:49], s[64:65]
; %bb.140:                              ;   in Loop: Header=BB268_14 Depth=1
	s_mov_b32 s50, 0x7fc02000
	s_xor_b64 s[0:1], exec, -1
; %bb.141:                              ;   in Loop: Header=BB268_14 Depth=1
	s_or_b64 exec, exec, s[48:49]
	s_and_b64 s[0:1], s[0:1], exec
	s_or_saveexec_b64 s[46:47], s[46:47]
	v_mov_b32_e32 v28, s50
	s_xor_b64 exec, exec, s[46:47]
	s_cbranch_execz .LBB268_19
.LBB268_142:                            ;   in Loop: Header=BB268_14 Depth=1
	v_cmp_ne_u16_sdwa s[48:49], v2, v3 src0_sel:BYTE_0 src1_sel:DWORD
	s_andn2_b64 s[0:1], s[0:1], exec
	s_and_b64 s[48:49], s[48:49], exec
	v_mov_b32_e32 v28, 0
	s_or_b64 s[0:1], s[0:1], s[48:49]
	s_or_b64 exec, exec, s[46:47]
	v_and_b32_e32 v2, 0xffff, v2
	s_and_saveexec_b64 s[46:47], s[0:1]
	s_cbranch_execnz .LBB268_20
	s_branch .LBB268_21
.LBB268_143:                            ;   in Loop: Header=BB268_14 Depth=1
	v_cmp_eq_u16_e64 s[0:1], s61, v2
	s_mov_b64 s[46:47], -1
                                        ; implicit-def: $sgpr63
	s_and_saveexec_b64 s[50:51], s[0:1]
; %bb.144:                              ;   in Loop: Header=BB268_14 Depth=1
	s_mov_b32 s63, 0x7fc02000
	s_xor_b64 s[46:47], exec, -1
; %bb.145:                              ;   in Loop: Header=BB268_14 Depth=1
	s_or_b64 exec, exec, s[50:51]
	s_and_b64 s[46:47], s[46:47], exec
	s_or_saveexec_b64 s[48:49], s[48:49]
	v_mov_b32_e32 v29, s63
	s_xor_b64 exec, exec, s[48:49]
	s_cbranch_execz .LBB268_23
.LBB268_146:                            ;   in Loop: Header=BB268_14 Depth=1
	v_cmp_ne_u16_e64 s[0:1], 0, v2
	s_andn2_b64 s[46:47], s[46:47], exec
	s_and_b64 s[0:1], s[0:1], exec
	v_mov_b32_e32 v29, 0
	s_or_b64 s[46:47], s[46:47], s[0:1]
	s_or_b64 exec, exec, s[48:49]
	s_and_saveexec_b64 s[48:49], s[46:47]
	s_cbranch_execnz .LBB268_24
	s_branch .LBB268_25
.LBB268_147:                            ;   in Loop: Header=BB268_14 Depth=1
	v_cmp_eq_u16_sdwa s[64:65], v2, s61 src0_sel:BYTE_0 src1_sel:DWORD
	s_mov_b64 s[0:1], -1
                                        ; implicit-def: $sgpr50
	s_and_saveexec_b64 s[48:49], s[64:65]
; %bb.148:                              ;   in Loop: Header=BB268_14 Depth=1
	s_mov_b32 s50, 0x7fc02000
	s_xor_b64 s[0:1], exec, -1
; %bb.149:                              ;   in Loop: Header=BB268_14 Depth=1
	s_or_b64 exec, exec, s[48:49]
	s_and_b64 s[0:1], s[0:1], exec
	s_or_saveexec_b64 s[46:47], s[46:47]
	v_mov_b32_e32 v30, s50
	s_xor_b64 exec, exec, s[46:47]
	s_cbranch_execz .LBB268_27
.LBB268_150:                            ;   in Loop: Header=BB268_14 Depth=1
	v_cmp_ne_u16_sdwa s[48:49], v2, v3 src0_sel:BYTE_0 src1_sel:DWORD
	s_andn2_b64 s[0:1], s[0:1], exec
	s_and_b64 s[48:49], s[48:49], exec
	v_mov_b32_e32 v30, 0
	s_or_b64 s[0:1], s[0:1], s[48:49]
	s_or_b64 exec, exec, s[46:47]
	v_and_b32_e32 v2, 0xffff, v2
	s_and_saveexec_b64 s[46:47], s[0:1]
	s_cbranch_execnz .LBB268_28
	s_branch .LBB268_29
.LBB268_151:                            ;   in Loop: Header=BB268_14 Depth=1
	v_cmp_eq_u16_e64 s[0:1], s61, v2
	s_mov_b64 s[46:47], -1
                                        ; implicit-def: $sgpr63
	s_and_saveexec_b64 s[50:51], s[0:1]
; %bb.152:                              ;   in Loop: Header=BB268_14 Depth=1
	s_mov_b32 s63, 0x7fc02000
	s_xor_b64 s[46:47], exec, -1
; %bb.153:                              ;   in Loop: Header=BB268_14 Depth=1
	s_or_b64 exec, exec, s[50:51]
	s_and_b64 s[46:47], s[46:47], exec
	s_or_saveexec_b64 s[48:49], s[48:49]
	v_mov_b32_e32 v31, s63
	s_xor_b64 exec, exec, s[48:49]
	s_cbranch_execz .LBB268_31
.LBB268_154:                            ;   in Loop: Header=BB268_14 Depth=1
	v_cmp_ne_u16_e64 s[0:1], 0, v2
	s_andn2_b64 s[46:47], s[46:47], exec
	s_and_b64 s[0:1], s[0:1], exec
	v_mov_b32_e32 v31, 0
	s_or_b64 s[46:47], s[46:47], s[0:1]
	s_or_b64 exec, exec, s[48:49]
	s_and_saveexec_b64 s[48:49], s[46:47]
	s_cbranch_execnz .LBB268_32
	s_branch .LBB268_33
.LBB268_155:                            ;   in Loop: Header=BB268_14 Depth=1
	v_cmp_eq_u16_sdwa s[64:65], v2, s61 src0_sel:BYTE_0 src1_sel:DWORD
	s_mov_b64 s[0:1], -1
                                        ; implicit-def: $sgpr50
	s_and_saveexec_b64 s[48:49], s[64:65]
; %bb.156:                              ;   in Loop: Header=BB268_14 Depth=1
	s_mov_b32 s50, 0x7fc02000
	s_xor_b64 s[0:1], exec, -1
; %bb.157:                              ;   in Loop: Header=BB268_14 Depth=1
	s_or_b64 exec, exec, s[48:49]
	s_and_b64 s[0:1], s[0:1], exec
	s_or_saveexec_b64 s[46:47], s[46:47]
	v_mov_b32_e32 v32, s50
	s_xor_b64 exec, exec, s[46:47]
	s_cbranch_execz .LBB268_35
.LBB268_158:                            ;   in Loop: Header=BB268_14 Depth=1
	v_cmp_ne_u16_sdwa s[48:49], v2, v3 src0_sel:BYTE_0 src1_sel:DWORD
	s_andn2_b64 s[0:1], s[0:1], exec
	s_and_b64 s[48:49], s[48:49], exec
	v_mov_b32_e32 v32, 0
	s_or_b64 s[0:1], s[0:1], s[48:49]
	s_or_b64 exec, exec, s[46:47]
	v_and_b32_e32 v2, 0xffff, v2
	s_and_saveexec_b64 s[46:47], s[0:1]
	s_cbranch_execnz .LBB268_36
	s_branch .LBB268_37
.LBB268_159:                            ;   in Loop: Header=BB268_14 Depth=1
	v_cmp_eq_u16_e64 s[0:1], s61, v2
	s_mov_b64 s[46:47], -1
                                        ; implicit-def: $sgpr63
	s_and_saveexec_b64 s[50:51], s[0:1]
; %bb.160:                              ;   in Loop: Header=BB268_14 Depth=1
	s_mov_b32 s63, 0x7fc02000
	s_xor_b64 s[46:47], exec, -1
; %bb.161:                              ;   in Loop: Header=BB268_14 Depth=1
	s_or_b64 exec, exec, s[50:51]
	s_and_b64 s[46:47], s[46:47], exec
	s_or_saveexec_b64 s[48:49], s[48:49]
	v_mov_b32_e32 v33, s63
	s_xor_b64 exec, exec, s[48:49]
	s_cbranch_execz .LBB268_39
.LBB268_162:                            ;   in Loop: Header=BB268_14 Depth=1
	v_cmp_ne_u16_e64 s[0:1], 0, v2
	s_andn2_b64 s[46:47], s[46:47], exec
	s_and_b64 s[0:1], s[0:1], exec
	v_mov_b32_e32 v33, 0
	s_or_b64 s[46:47], s[46:47], s[0:1]
	s_or_b64 exec, exec, s[48:49]
	s_and_saveexec_b64 s[48:49], s[46:47]
	s_cbranch_execnz .LBB268_40
	s_branch .LBB268_41
.LBB268_163:                            ;   in Loop: Header=BB268_14 Depth=1
	v_cmp_eq_u16_sdwa s[64:65], v2, s61 src0_sel:BYTE_0 src1_sel:DWORD
	s_mov_b64 s[0:1], -1
                                        ; implicit-def: $sgpr50
	s_and_saveexec_b64 s[48:49], s[64:65]
; %bb.164:                              ;   in Loop: Header=BB268_14 Depth=1
	s_mov_b32 s50, 0x7fc02000
	s_xor_b64 s[0:1], exec, -1
; %bb.165:                              ;   in Loop: Header=BB268_14 Depth=1
	s_or_b64 exec, exec, s[48:49]
	s_and_b64 s[0:1], s[0:1], exec
	s_or_saveexec_b64 s[46:47], s[46:47]
	v_mov_b32_e32 v34, s50
	s_xor_b64 exec, exec, s[46:47]
	s_cbranch_execz .LBB268_43
.LBB268_166:                            ;   in Loop: Header=BB268_14 Depth=1
	v_cmp_ne_u16_sdwa s[48:49], v2, v3 src0_sel:BYTE_0 src1_sel:DWORD
	s_andn2_b64 s[0:1], s[0:1], exec
	s_and_b64 s[48:49], s[48:49], exec
	v_mov_b32_e32 v34, 0
	s_or_b64 s[0:1], s[0:1], s[48:49]
	s_or_b64 exec, exec, s[46:47]
	v_and_b32_e32 v2, 0xffff, v2
	s_and_saveexec_b64 s[46:47], s[0:1]
	s_cbranch_execnz .LBB268_44
	s_branch .LBB268_45
.LBB268_167:                            ;   in Loop: Header=BB268_14 Depth=1
	v_cmp_eq_u16_e64 s[0:1], s61, v2
	s_mov_b64 s[46:47], -1
                                        ; implicit-def: $sgpr63
	s_and_saveexec_b64 s[50:51], s[0:1]
; %bb.168:                              ;   in Loop: Header=BB268_14 Depth=1
	s_mov_b32 s63, 0x7fc02000
	s_xor_b64 s[46:47], exec, -1
; %bb.169:                              ;   in Loop: Header=BB268_14 Depth=1
	s_or_b64 exec, exec, s[50:51]
	s_and_b64 s[46:47], s[46:47], exec
	s_or_saveexec_b64 s[48:49], s[48:49]
	v_mov_b32_e32 v35, s63
	s_xor_b64 exec, exec, s[48:49]
	s_cbranch_execz .LBB268_47
.LBB268_170:                            ;   in Loop: Header=BB268_14 Depth=1
	v_cmp_ne_u16_e64 s[0:1], 0, v2
	s_andn2_b64 s[46:47], s[46:47], exec
	s_and_b64 s[0:1], s[0:1], exec
	v_mov_b32_e32 v35, 0
	s_or_b64 s[46:47], s[46:47], s[0:1]
	s_or_b64 exec, exec, s[48:49]
	s_and_saveexec_b64 s[48:49], s[46:47]
	s_cbranch_execnz .LBB268_48
	s_branch .LBB268_49
.LBB268_171:                            ;   in Loop: Header=BB268_14 Depth=1
	v_cmp_eq_u16_sdwa s[64:65], v2, s61 src0_sel:BYTE_0 src1_sel:DWORD
	s_mov_b64 s[0:1], -1
                                        ; implicit-def: $sgpr50
	s_and_saveexec_b64 s[48:49], s[64:65]
; %bb.172:                              ;   in Loop: Header=BB268_14 Depth=1
	s_mov_b32 s50, 0x7fc02000
	s_xor_b64 s[0:1], exec, -1
; %bb.173:                              ;   in Loop: Header=BB268_14 Depth=1
	s_or_b64 exec, exec, s[48:49]
	s_and_b64 s[0:1], s[0:1], exec
	s_or_saveexec_b64 s[46:47], s[46:47]
	v_mov_b32_e32 v36, s50
	s_xor_b64 exec, exec, s[46:47]
	s_cbranch_execz .LBB268_51
.LBB268_174:                            ;   in Loop: Header=BB268_14 Depth=1
	v_cmp_ne_u16_sdwa s[48:49], v2, v3 src0_sel:BYTE_0 src1_sel:DWORD
	s_andn2_b64 s[0:1], s[0:1], exec
	s_and_b64 s[48:49], s[48:49], exec
	v_mov_b32_e32 v36, 0
	s_or_b64 s[0:1], s[0:1], s[48:49]
	s_or_b64 exec, exec, s[46:47]
	v_and_b32_e32 v2, 0xffff, v2
	s_and_saveexec_b64 s[46:47], s[0:1]
	s_cbranch_execnz .LBB268_52
	s_branch .LBB268_53
.LBB268_175:                            ;   in Loop: Header=BB268_14 Depth=1
	v_cmp_eq_u16_e64 s[0:1], s61, v2
	s_mov_b64 s[46:47], -1
                                        ; implicit-def: $sgpr63
	s_and_saveexec_b64 s[50:51], s[0:1]
; %bb.176:                              ;   in Loop: Header=BB268_14 Depth=1
	s_mov_b32 s63, 0x7fc02000
	s_xor_b64 s[46:47], exec, -1
; %bb.177:                              ;   in Loop: Header=BB268_14 Depth=1
	s_or_b64 exec, exec, s[50:51]
	s_and_b64 s[46:47], s[46:47], exec
	s_or_saveexec_b64 s[48:49], s[48:49]
	v_mov_b32_e32 v37, s63
	s_xor_b64 exec, exec, s[48:49]
	s_cbranch_execz .LBB268_55
.LBB268_178:                            ;   in Loop: Header=BB268_14 Depth=1
	v_cmp_ne_u16_e64 s[0:1], 0, v2
	s_andn2_b64 s[46:47], s[46:47], exec
	s_and_b64 s[0:1], s[0:1], exec
	v_mov_b32_e32 v37, 0
	s_or_b64 s[46:47], s[46:47], s[0:1]
	s_or_b64 exec, exec, s[48:49]
	s_and_saveexec_b64 s[48:49], s[46:47]
	s_cbranch_execnz .LBB268_56
	s_branch .LBB268_57
.LBB268_179:                            ;   in Loop: Header=BB268_14 Depth=1
	v_cmp_eq_u16_sdwa s[64:65], v2, s61 src0_sel:BYTE_0 src1_sel:DWORD
	s_mov_b64 s[0:1], -1
                                        ; implicit-def: $sgpr50
	s_and_saveexec_b64 s[48:49], s[64:65]
; %bb.180:                              ;   in Loop: Header=BB268_14 Depth=1
	s_mov_b32 s50, 0x7fc02000
	s_xor_b64 s[0:1], exec, -1
; %bb.181:                              ;   in Loop: Header=BB268_14 Depth=1
	s_or_b64 exec, exec, s[48:49]
	s_and_b64 s[0:1], s[0:1], exec
	s_or_saveexec_b64 s[46:47], s[46:47]
	v_mov_b32_e32 v38, s50
	s_xor_b64 exec, exec, s[46:47]
	s_cbranch_execz .LBB268_59
.LBB268_182:                            ;   in Loop: Header=BB268_14 Depth=1
	v_cmp_ne_u16_sdwa s[48:49], v2, v3 src0_sel:BYTE_0 src1_sel:DWORD
	s_andn2_b64 s[0:1], s[0:1], exec
	s_and_b64 s[48:49], s[48:49], exec
	v_mov_b32_e32 v38, 0
	s_or_b64 s[0:1], s[0:1], s[48:49]
	s_or_b64 exec, exec, s[46:47]
	v_and_b32_e32 v2, 0xffff, v2
	s_and_saveexec_b64 s[46:47], s[0:1]
	s_cbranch_execnz .LBB268_60
	s_branch .LBB268_61
.LBB268_183:                            ;   in Loop: Header=BB268_14 Depth=1
	v_cmp_eq_u16_e64 s[0:1], s61, v2
	s_mov_b64 s[46:47], -1
                                        ; implicit-def: $sgpr63
	s_and_saveexec_b64 s[50:51], s[0:1]
; %bb.184:                              ;   in Loop: Header=BB268_14 Depth=1
	s_mov_b32 s63, 0x7fc02000
	s_xor_b64 s[46:47], exec, -1
; %bb.185:                              ;   in Loop: Header=BB268_14 Depth=1
	s_or_b64 exec, exec, s[50:51]
	s_and_b64 s[46:47], s[46:47], exec
	s_or_saveexec_b64 s[48:49], s[48:49]
	v_mov_b32_e32 v39, s63
	s_xor_b64 exec, exec, s[48:49]
	s_cbranch_execz .LBB268_63
.LBB268_186:                            ;   in Loop: Header=BB268_14 Depth=1
	v_cmp_ne_u16_e64 s[0:1], 0, v2
	s_andn2_b64 s[46:47], s[46:47], exec
	s_and_b64 s[0:1], s[0:1], exec
	v_mov_b32_e32 v39, 0
	s_or_b64 s[46:47], s[46:47], s[0:1]
	s_or_b64 exec, exec, s[48:49]
	s_and_saveexec_b64 s[48:49], s[46:47]
	s_cbranch_execnz .LBB268_64
	s_branch .LBB268_65
.LBB268_187:                            ;   in Loop: Header=BB268_14 Depth=1
	v_cmp_eq_u16_sdwa s[64:65], v2, s61 src0_sel:BYTE_0 src1_sel:DWORD
	s_mov_b64 s[0:1], -1
                                        ; implicit-def: $sgpr50
	s_and_saveexec_b64 s[48:49], s[64:65]
; %bb.188:                              ;   in Loop: Header=BB268_14 Depth=1
	s_mov_b32 s50, 0x7fc02000
	s_xor_b64 s[0:1], exec, -1
; %bb.189:                              ;   in Loop: Header=BB268_14 Depth=1
	s_or_b64 exec, exec, s[48:49]
	s_and_b64 s[0:1], s[0:1], exec
	s_or_saveexec_b64 s[46:47], s[46:47]
	v_mov_b32_e32 v40, s50
	s_xor_b64 exec, exec, s[46:47]
	s_cbranch_execz .LBB268_67
.LBB268_190:                            ;   in Loop: Header=BB268_14 Depth=1
	v_cmp_ne_u16_sdwa s[48:49], v2, v3 src0_sel:BYTE_0 src1_sel:DWORD
	s_andn2_b64 s[0:1], s[0:1], exec
	s_and_b64 s[48:49], s[48:49], exec
	v_mov_b32_e32 v40, 0
	s_or_b64 s[0:1], s[0:1], s[48:49]
	s_or_b64 exec, exec, s[46:47]
	v_and_b32_e32 v2, 0xffff, v2
	s_and_saveexec_b64 s[46:47], s[0:1]
	s_cbranch_execnz .LBB268_68
	s_branch .LBB268_69
.LBB268_191:                            ;   in Loop: Header=BB268_14 Depth=1
	v_cmp_eq_u16_e64 s[0:1], s61, v2
	s_mov_b64 s[46:47], -1
                                        ; implicit-def: $sgpr63
	s_and_saveexec_b64 s[50:51], s[0:1]
; %bb.192:                              ;   in Loop: Header=BB268_14 Depth=1
	s_mov_b32 s63, 0x7fc02000
	s_xor_b64 s[46:47], exec, -1
; %bb.193:                              ;   in Loop: Header=BB268_14 Depth=1
	s_or_b64 exec, exec, s[50:51]
	s_and_b64 s[46:47], s[46:47], exec
	s_or_saveexec_b64 s[48:49], s[48:49]
	v_mov_b32_e32 v41, s63
	s_xor_b64 exec, exec, s[48:49]
	s_cbranch_execz .LBB268_71
.LBB268_194:                            ;   in Loop: Header=BB268_14 Depth=1
	v_cmp_ne_u16_e64 s[0:1], 0, v2
	s_andn2_b64 s[46:47], s[46:47], exec
	s_and_b64 s[0:1], s[0:1], exec
	v_mov_b32_e32 v41, 0
	s_or_b64 s[46:47], s[46:47], s[0:1]
	s_or_b64 exec, exec, s[48:49]
	s_and_saveexec_b64 s[48:49], s[46:47]
	s_cbranch_execnz .LBB268_72
	s_branch .LBB268_73
.LBB268_195:                            ;   in Loop: Header=BB268_14 Depth=1
	v_cmp_eq_u16_sdwa s[64:65], v2, s61 src0_sel:BYTE_0 src1_sel:DWORD
	s_mov_b64 s[0:1], -1
                                        ; implicit-def: $sgpr50
	s_and_saveexec_b64 s[48:49], s[64:65]
; %bb.196:                              ;   in Loop: Header=BB268_14 Depth=1
	s_mov_b32 s50, 0x7fc02000
	s_xor_b64 s[0:1], exec, -1
; %bb.197:                              ;   in Loop: Header=BB268_14 Depth=1
	s_or_b64 exec, exec, s[48:49]
	s_and_b64 s[0:1], s[0:1], exec
	s_or_saveexec_b64 s[46:47], s[46:47]
	v_mov_b32_e32 v42, s50
	s_xor_b64 exec, exec, s[46:47]
	s_cbranch_execz .LBB268_75
.LBB268_198:                            ;   in Loop: Header=BB268_14 Depth=1
	v_cmp_ne_u16_sdwa s[48:49], v2, v3 src0_sel:BYTE_0 src1_sel:DWORD
	s_andn2_b64 s[0:1], s[0:1], exec
	s_and_b64 s[48:49], s[48:49], exec
	v_mov_b32_e32 v42, 0
	s_or_b64 s[0:1], s[0:1], s[48:49]
	s_or_b64 exec, exec, s[46:47]
	v_and_b32_e32 v2, 0xffff, v2
	s_and_saveexec_b64 s[46:47], s[0:1]
	s_cbranch_execnz .LBB268_76
	s_branch .LBB268_77
.LBB268_199:                            ;   in Loop: Header=BB268_14 Depth=1
	v_cmp_eq_u16_e64 s[0:1], s61, v2
	s_mov_b64 s[46:47], -1
                                        ; implicit-def: $sgpr63
	s_and_saveexec_b64 s[50:51], s[0:1]
; %bb.200:                              ;   in Loop: Header=BB268_14 Depth=1
	s_mov_b32 s63, 0x7fc02000
	s_xor_b64 s[46:47], exec, -1
; %bb.201:                              ;   in Loop: Header=BB268_14 Depth=1
	s_or_b64 exec, exec, s[50:51]
	s_and_b64 s[46:47], s[46:47], exec
	s_or_saveexec_b64 s[48:49], s[48:49]
	v_mov_b32_e32 v43, s63
	s_xor_b64 exec, exec, s[48:49]
	s_cbranch_execz .LBB268_79
.LBB268_202:                            ;   in Loop: Header=BB268_14 Depth=1
	v_cmp_ne_u16_e64 s[0:1], 0, v2
	s_andn2_b64 s[46:47], s[46:47], exec
	s_and_b64 s[0:1], s[0:1], exec
	v_mov_b32_e32 v43, 0
	s_or_b64 s[46:47], s[46:47], s[0:1]
	s_or_b64 exec, exec, s[48:49]
	s_and_saveexec_b64 s[48:49], s[46:47]
	s_cbranch_execnz .LBB268_80
	s_branch .LBB268_81
.LBB268_203:                            ;   in Loop: Header=BB268_14 Depth=1
	v_cmp_eq_u16_sdwa s[64:65], v2, s61 src0_sel:BYTE_0 src1_sel:DWORD
	s_mov_b64 s[0:1], -1
                                        ; implicit-def: $sgpr50
	s_and_saveexec_b64 s[48:49], s[64:65]
; %bb.204:                              ;   in Loop: Header=BB268_14 Depth=1
	s_mov_b32 s50, 0x7fc02000
	s_xor_b64 s[0:1], exec, -1
; %bb.205:                              ;   in Loop: Header=BB268_14 Depth=1
	s_or_b64 exec, exec, s[48:49]
	s_and_b64 s[0:1], s[0:1], exec
	s_or_saveexec_b64 s[46:47], s[46:47]
	v_mov_b32_e32 v44, s50
	s_xor_b64 exec, exec, s[46:47]
	s_cbranch_execz .LBB268_83
.LBB268_206:                            ;   in Loop: Header=BB268_14 Depth=1
	v_cmp_ne_u16_sdwa s[48:49], v2, v3 src0_sel:BYTE_0 src1_sel:DWORD
	s_andn2_b64 s[0:1], s[0:1], exec
	s_and_b64 s[48:49], s[48:49], exec
	v_mov_b32_e32 v44, 0
	s_or_b64 s[0:1], s[0:1], s[48:49]
	s_or_b64 exec, exec, s[46:47]
	v_and_b32_e32 v2, 0xffff, v2
	s_and_saveexec_b64 s[46:47], s[0:1]
	s_cbranch_execnz .LBB268_84
	s_branch .LBB268_85
.LBB268_207:                            ;   in Loop: Header=BB268_14 Depth=1
	v_cmp_eq_u16_e64 s[0:1], s61, v2
	s_mov_b64 s[46:47], -1
                                        ; implicit-def: $sgpr63
	s_and_saveexec_b64 s[50:51], s[0:1]
; %bb.208:                              ;   in Loop: Header=BB268_14 Depth=1
	s_mov_b32 s63, 0x7fc02000
	s_xor_b64 s[46:47], exec, -1
; %bb.209:                              ;   in Loop: Header=BB268_14 Depth=1
	s_or_b64 exec, exec, s[50:51]
	s_and_b64 s[46:47], s[46:47], exec
	s_or_saveexec_b64 s[48:49], s[48:49]
	v_mov_b32_e32 v45, s63
	s_xor_b64 exec, exec, s[48:49]
	s_cbranch_execz .LBB268_87
.LBB268_210:                            ;   in Loop: Header=BB268_14 Depth=1
	v_cmp_ne_u16_e64 s[0:1], 0, v2
	s_andn2_b64 s[46:47], s[46:47], exec
	s_and_b64 s[0:1], s[0:1], exec
	v_mov_b32_e32 v45, 0
	s_or_b64 s[46:47], s[46:47], s[0:1]
	s_or_b64 exec, exec, s[48:49]
	s_and_saveexec_b64 s[48:49], s[46:47]
	s_cbranch_execnz .LBB268_88
	s_branch .LBB268_89
.LBB268_211:                            ;   in Loop: Header=BB268_14 Depth=1
	v_cmp_eq_u16_sdwa s[64:65], v2, s61 src0_sel:BYTE_0 src1_sel:DWORD
	s_mov_b64 s[0:1], -1
                                        ; implicit-def: $sgpr50
	s_and_saveexec_b64 s[48:49], s[64:65]
; %bb.212:                              ;   in Loop: Header=BB268_14 Depth=1
	s_mov_b32 s50, 0x7fc02000
	s_xor_b64 s[0:1], exec, -1
; %bb.213:                              ;   in Loop: Header=BB268_14 Depth=1
	s_or_b64 exec, exec, s[48:49]
	s_and_b64 s[0:1], s[0:1], exec
	s_or_saveexec_b64 s[46:47], s[46:47]
	v_mov_b32_e32 v46, s50
	s_xor_b64 exec, exec, s[46:47]
	s_cbranch_execz .LBB268_91
.LBB268_214:                            ;   in Loop: Header=BB268_14 Depth=1
	v_cmp_ne_u16_sdwa s[48:49], v2, v3 src0_sel:BYTE_0 src1_sel:DWORD
	s_andn2_b64 s[0:1], s[0:1], exec
	s_and_b64 s[48:49], s[48:49], exec
	v_mov_b32_e32 v46, 0
	s_or_b64 s[0:1], s[0:1], s[48:49]
	s_or_b64 exec, exec, s[46:47]
	v_and_b32_e32 v2, 0xffff, v2
	s_and_saveexec_b64 s[46:47], s[0:1]
	s_cbranch_execnz .LBB268_92
	s_branch .LBB268_93
.LBB268_215:                            ;   in Loop: Header=BB268_14 Depth=1
	v_cmp_eq_u16_e64 s[0:1], s61, v2
	s_mov_b64 s[46:47], -1
                                        ; implicit-def: $sgpr63
	s_and_saveexec_b64 s[50:51], s[0:1]
; %bb.216:                              ;   in Loop: Header=BB268_14 Depth=1
	s_mov_b32 s63, 0x7fc02000
	s_xor_b64 s[46:47], exec, -1
; %bb.217:                              ;   in Loop: Header=BB268_14 Depth=1
	s_or_b64 exec, exec, s[50:51]
	s_and_b64 s[46:47], s[46:47], exec
	s_or_saveexec_b64 s[48:49], s[48:49]
	v_mov_b32_e32 v47, s63
	s_xor_b64 exec, exec, s[48:49]
	s_cbranch_execz .LBB268_95
.LBB268_218:                            ;   in Loop: Header=BB268_14 Depth=1
	v_cmp_ne_u16_e64 s[0:1], 0, v2
	s_andn2_b64 s[46:47], s[46:47], exec
	s_and_b64 s[0:1], s[0:1], exec
	v_mov_b32_e32 v47, 0
	s_or_b64 s[46:47], s[46:47], s[0:1]
	s_or_b64 exec, exec, s[48:49]
	s_and_saveexec_b64 s[48:49], s[46:47]
	s_cbranch_execnz .LBB268_96
	s_branch .LBB268_97
.LBB268_219:                            ;   in Loop: Header=BB268_14 Depth=1
	v_cmp_eq_u16_sdwa s[64:65], v2, s61 src0_sel:BYTE_0 src1_sel:DWORD
	s_mov_b64 s[0:1], -1
                                        ; implicit-def: $sgpr50
	s_and_saveexec_b64 s[48:49], s[64:65]
; %bb.220:                              ;   in Loop: Header=BB268_14 Depth=1
	s_mov_b32 s50, 0x7fc02000
	s_xor_b64 s[0:1], exec, -1
; %bb.221:                              ;   in Loop: Header=BB268_14 Depth=1
	s_or_b64 exec, exec, s[48:49]
	s_and_b64 s[0:1], s[0:1], exec
	s_or_saveexec_b64 s[46:47], s[46:47]
	v_mov_b32_e32 v48, s50
	s_xor_b64 exec, exec, s[46:47]
	s_cbranch_execz .LBB268_99
.LBB268_222:                            ;   in Loop: Header=BB268_14 Depth=1
	v_cmp_ne_u16_sdwa s[48:49], v2, v3 src0_sel:BYTE_0 src1_sel:DWORD
	s_andn2_b64 s[0:1], s[0:1], exec
	s_and_b64 s[48:49], s[48:49], exec
	v_mov_b32_e32 v48, 0
	s_or_b64 s[0:1], s[0:1], s[48:49]
	s_or_b64 exec, exec, s[46:47]
	v_and_b32_e32 v2, 0xffff, v2
	s_and_saveexec_b64 s[46:47], s[0:1]
	s_cbranch_execnz .LBB268_100
	s_branch .LBB268_101
.LBB268_223:                            ;   in Loop: Header=BB268_14 Depth=1
	v_cmp_eq_u16_e64 s[0:1], s61, v2
	s_mov_b64 s[46:47], -1
                                        ; implicit-def: $sgpr63
	s_and_saveexec_b64 s[50:51], s[0:1]
; %bb.224:                              ;   in Loop: Header=BB268_14 Depth=1
	s_mov_b32 s63, 0x7fc02000
	s_xor_b64 s[46:47], exec, -1
; %bb.225:                              ;   in Loop: Header=BB268_14 Depth=1
	s_or_b64 exec, exec, s[50:51]
	s_and_b64 s[46:47], s[46:47], exec
	s_or_saveexec_b64 s[48:49], s[48:49]
	v_mov_b32_e32 v49, s63
	s_xor_b64 exec, exec, s[48:49]
	s_cbranch_execz .LBB268_103
.LBB268_226:                            ;   in Loop: Header=BB268_14 Depth=1
	v_cmp_ne_u16_e64 s[0:1], 0, v2
	s_andn2_b64 s[46:47], s[46:47], exec
	s_and_b64 s[0:1], s[0:1], exec
	v_mov_b32_e32 v49, 0
	s_or_b64 s[46:47], s[46:47], s[0:1]
	s_or_b64 exec, exec, s[48:49]
	s_and_saveexec_b64 s[48:49], s[46:47]
	s_cbranch_execnz .LBB268_104
	s_branch .LBB268_105
.LBB268_227:                            ;   in Loop: Header=BB268_14 Depth=1
	v_cmp_eq_u16_sdwa s[64:65], v2, s61 src0_sel:BYTE_0 src1_sel:DWORD
	s_mov_b64 s[0:1], -1
                                        ; implicit-def: $sgpr50
	s_and_saveexec_b64 s[48:49], s[64:65]
; %bb.228:                              ;   in Loop: Header=BB268_14 Depth=1
	s_mov_b32 s50, 0x7fc02000
	s_xor_b64 s[0:1], exec, -1
; %bb.229:                              ;   in Loop: Header=BB268_14 Depth=1
	s_or_b64 exec, exec, s[48:49]
	s_and_b64 s[0:1], s[0:1], exec
	s_or_saveexec_b64 s[46:47], s[46:47]
	v_mov_b32_e32 v50, s50
	s_xor_b64 exec, exec, s[46:47]
	s_cbranch_execz .LBB268_107
.LBB268_230:                            ;   in Loop: Header=BB268_14 Depth=1
	v_cmp_ne_u16_sdwa s[48:49], v2, v3 src0_sel:BYTE_0 src1_sel:DWORD
	s_andn2_b64 s[0:1], s[0:1], exec
	s_and_b64 s[48:49], s[48:49], exec
	v_mov_b32_e32 v50, 0
	s_or_b64 s[0:1], s[0:1], s[48:49]
	s_or_b64 exec, exec, s[46:47]
	v_and_b32_e32 v2, 0xffff, v2
	s_and_saveexec_b64 s[46:47], s[0:1]
	s_cbranch_execnz .LBB268_108
	s_branch .LBB268_109
.LBB268_231:                            ;   in Loop: Header=BB268_14 Depth=1
	v_cmp_eq_u16_e64 s[0:1], s61, v2
	s_mov_b64 s[46:47], -1
                                        ; implicit-def: $sgpr63
	s_and_saveexec_b64 s[50:51], s[0:1]
; %bb.232:                              ;   in Loop: Header=BB268_14 Depth=1
	s_mov_b32 s63, 0x7fc02000
	s_xor_b64 s[46:47], exec, -1
; %bb.233:                              ;   in Loop: Header=BB268_14 Depth=1
	s_or_b64 exec, exec, s[50:51]
	s_and_b64 s[46:47], s[46:47], exec
	s_or_saveexec_b64 s[48:49], s[48:49]
	v_mov_b32_e32 v51, s63
	s_xor_b64 exec, exec, s[48:49]
	s_cbranch_execz .LBB268_111
.LBB268_234:                            ;   in Loop: Header=BB268_14 Depth=1
	v_cmp_ne_u16_e64 s[0:1], 0, v2
	s_andn2_b64 s[46:47], s[46:47], exec
	s_and_b64 s[0:1], s[0:1], exec
	v_mov_b32_e32 v51, 0
	s_or_b64 s[46:47], s[46:47], s[0:1]
	s_or_b64 exec, exec, s[48:49]
	s_and_saveexec_b64 s[48:49], s[46:47]
	s_cbranch_execnz .LBB268_112
	s_branch .LBB268_113
.LBB268_235:                            ;   in Loop: Header=BB268_14 Depth=1
	v_cmp_eq_u16_sdwa s[64:65], v2, s61 src0_sel:BYTE_0 src1_sel:DWORD
	s_mov_b64 s[0:1], -1
                                        ; implicit-def: $sgpr50
	s_and_saveexec_b64 s[48:49], s[64:65]
; %bb.236:                              ;   in Loop: Header=BB268_14 Depth=1
	s_mov_b32 s50, 0x7fc02000
	s_xor_b64 s[0:1], exec, -1
; %bb.237:                              ;   in Loop: Header=BB268_14 Depth=1
	s_or_b64 exec, exec, s[48:49]
	s_and_b64 s[0:1], s[0:1], exec
	s_or_saveexec_b64 s[46:47], s[46:47]
	v_mov_b32_e32 v52, s50
	s_xor_b64 exec, exec, s[46:47]
	s_cbranch_execz .LBB268_115
.LBB268_238:                            ;   in Loop: Header=BB268_14 Depth=1
	v_cmp_ne_u16_sdwa s[48:49], v2, v3 src0_sel:BYTE_0 src1_sel:DWORD
	s_andn2_b64 s[0:1], s[0:1], exec
	s_and_b64 s[48:49], s[48:49], exec
	v_mov_b32_e32 v52, 0
	s_or_b64 s[0:1], s[0:1], s[48:49]
	s_or_b64 exec, exec, s[46:47]
	v_and_b32_e32 v2, 0xffff, v2
	s_and_saveexec_b64 s[46:47], s[0:1]
	s_cbranch_execnz .LBB268_116
	s_branch .LBB268_117
.LBB268_239:                            ;   in Loop: Header=BB268_14 Depth=1
	v_cmp_eq_u16_e64 s[0:1], s61, v2
	s_mov_b64 s[46:47], -1
                                        ; implicit-def: $sgpr63
	s_and_saveexec_b64 s[50:51], s[0:1]
; %bb.240:                              ;   in Loop: Header=BB268_14 Depth=1
	s_mov_b32 s63, 0x7fc02000
	s_xor_b64 s[46:47], exec, -1
; %bb.241:                              ;   in Loop: Header=BB268_14 Depth=1
	s_or_b64 exec, exec, s[50:51]
	s_and_b64 s[46:47], s[46:47], exec
	s_or_saveexec_b64 s[48:49], s[48:49]
	v_mov_b32_e32 v53, s63
	s_xor_b64 exec, exec, s[48:49]
	s_cbranch_execz .LBB268_119
.LBB268_242:                            ;   in Loop: Header=BB268_14 Depth=1
	v_cmp_ne_u16_e64 s[0:1], 0, v2
	s_andn2_b64 s[46:47], s[46:47], exec
	s_and_b64 s[0:1], s[0:1], exec
	v_mov_b32_e32 v53, 0
	s_or_b64 s[46:47], s[46:47], s[0:1]
	s_or_b64 exec, exec, s[48:49]
	s_and_saveexec_b64 s[48:49], s[46:47]
	s_cbranch_execnz .LBB268_120
	s_branch .LBB268_121
.LBB268_243:                            ;   in Loop: Header=BB268_14 Depth=1
	v_cmp_eq_u16_sdwa s[64:65], v2, s61 src0_sel:BYTE_0 src1_sel:DWORD
	s_mov_b64 s[0:1], -1
                                        ; implicit-def: $sgpr50
	s_and_saveexec_b64 s[48:49], s[64:65]
; %bb.244:                              ;   in Loop: Header=BB268_14 Depth=1
	s_mov_b32 s50, 0x7fc02000
	s_xor_b64 s[0:1], exec, -1
; %bb.245:                              ;   in Loop: Header=BB268_14 Depth=1
	s_or_b64 exec, exec, s[48:49]
	s_and_b64 s[0:1], s[0:1], exec
	s_or_saveexec_b64 s[46:47], s[46:47]
	v_mov_b32_e32 v54, s50
	s_xor_b64 exec, exec, s[46:47]
	s_cbranch_execz .LBB268_123
.LBB268_246:                            ;   in Loop: Header=BB268_14 Depth=1
	v_cmp_ne_u16_sdwa s[48:49], v2, v3 src0_sel:BYTE_0 src1_sel:DWORD
	s_andn2_b64 s[0:1], s[0:1], exec
	s_and_b64 s[48:49], s[48:49], exec
	v_mov_b32_e32 v54, 0
	s_or_b64 s[0:1], s[0:1], s[48:49]
	s_or_b64 exec, exec, s[46:47]
	v_and_b32_e32 v2, 0xffff, v2
	s_and_saveexec_b64 s[46:47], s[0:1]
	s_cbranch_execnz .LBB268_124
	s_branch .LBB268_125
.LBB268_247:                            ;   in Loop: Header=BB268_14 Depth=1
	v_cmp_eq_u16_e64 s[0:1], s61, v2
	s_mov_b64 s[46:47], -1
                                        ; implicit-def: $sgpr63
	s_and_saveexec_b64 s[50:51], s[0:1]
; %bb.248:                              ;   in Loop: Header=BB268_14 Depth=1
	s_mov_b32 s63, 0x7fc02000
	s_xor_b64 s[46:47], exec, -1
; %bb.249:                              ;   in Loop: Header=BB268_14 Depth=1
	s_or_b64 exec, exec, s[50:51]
	s_and_b64 s[46:47], s[46:47], exec
	s_or_saveexec_b64 s[48:49], s[48:49]
	v_mov_b32_e32 v55, s63
	s_xor_b64 exec, exec, s[48:49]
	s_cbranch_execz .LBB268_127
.LBB268_250:                            ;   in Loop: Header=BB268_14 Depth=1
	v_cmp_ne_u16_e64 s[0:1], 0, v2
	s_andn2_b64 s[46:47], s[46:47], exec
	s_and_b64 s[0:1], s[0:1], exec
	v_mov_b32_e32 v55, 0
	s_or_b64 s[46:47], s[46:47], s[0:1]
	s_or_b64 exec, exec, s[48:49]
	s_and_saveexec_b64 s[48:49], s[46:47]
	s_cbranch_execnz .LBB268_128
	s_branch .LBB268_129
.LBB268_251:                            ;   in Loop: Header=BB268_14 Depth=1
	v_cmp_eq_u16_sdwa s[64:65], v2, s61 src0_sel:BYTE_0 src1_sel:DWORD
	s_mov_b64 s[0:1], -1
                                        ; implicit-def: $sgpr50
	s_and_saveexec_b64 s[48:49], s[64:65]
; %bb.252:                              ;   in Loop: Header=BB268_14 Depth=1
	s_mov_b32 s50, 0x7fc02000
	s_xor_b64 s[0:1], exec, -1
; %bb.253:                              ;   in Loop: Header=BB268_14 Depth=1
	s_or_b64 exec, exec, s[48:49]
	s_and_b64 s[0:1], s[0:1], exec
	s_or_saveexec_b64 s[46:47], s[46:47]
	v_mov_b32_e32 v12, s50
	s_xor_b64 exec, exec, s[46:47]
	s_cbranch_execz .LBB268_131
.LBB268_254:                            ;   in Loop: Header=BB268_14 Depth=1
	v_cmp_ne_u16_sdwa s[48:49], v2, v3 src0_sel:BYTE_0 src1_sel:DWORD
	s_andn2_b64 s[0:1], s[0:1], exec
	s_and_b64 s[48:49], s[48:49], exec
	v_mov_b32_e32 v12, 0
	s_or_b64 s[0:1], s[0:1], s[48:49]
	s_or_b64 exec, exec, s[46:47]
	v_and_b32_e32 v2, 0xffff, v2
	s_and_saveexec_b64 s[46:47], s[0:1]
	s_cbranch_execnz .LBB268_132
	s_branch .LBB268_133
.LBB268_255:                            ;   in Loop: Header=BB268_14 Depth=1
	v_cmp_eq_u16_e64 s[0:1], s61, v2
	s_mov_b64 s[46:47], -1
                                        ; implicit-def: $sgpr63
	s_and_saveexec_b64 s[50:51], s[0:1]
; %bb.256:                              ;   in Loop: Header=BB268_14 Depth=1
	s_mov_b32 s63, 0x7fc02000
	s_xor_b64 s[46:47], exec, -1
; %bb.257:                              ;   in Loop: Header=BB268_14 Depth=1
	s_or_b64 exec, exec, s[50:51]
	s_and_b64 s[46:47], s[46:47], exec
	s_or_saveexec_b64 s[48:49], s[48:49]
	v_mov_b32_e32 v13, s63
	s_xor_b64 exec, exec, s[48:49]
	s_cbranch_execz .LBB268_135
.LBB268_258:                            ;   in Loop: Header=BB268_14 Depth=1
	v_cmp_ne_u16_e64 s[0:1], 0, v2
	s_andn2_b64 s[46:47], s[46:47], exec
	s_and_b64 s[0:1], s[0:1], exec
	v_mov_b32_e32 v13, 0
	s_or_b64 s[46:47], s[46:47], s[0:1]
	s_or_b64 exec, exec, s[48:49]
	s_and_saveexec_b64 s[48:49], s[46:47]
	s_cbranch_execnz .LBB268_136
	s_branch .LBB268_137
.LBB268_259:
	s_or_b64 exec, exec, s[44:45]
.LBB268_260:
	s_or_b64 exec, exec, s[18:19]
	v_mbcnt_hi_u32_b32 v2, -1, v14
	v_and_b32_e32 v3, 64, v2
	v_add_u32_e32 v3, 64, v3
	v_xor_b32_e32 v4, 32, v2
	v_cmp_lt_i32_e32 vcc, v4, v3
	v_xor_b32_e32 v9, 16, v2
	v_max_f32_e32 v5, v18, v18
	v_cndmask_b32_e32 v4, v2, v4, vcc
	v_lshlrev_b32_e32 v8, 2, v4
	ds_bpermute_b32 v4, v8, v18
	v_cmp_lt_i32_e32 vcc, v9, v3
	v_xor_b32_e32 v10, 8, v2
	s_waitcnt lgkmcnt(0)
	v_max_f32_e32 v4, v4, v4
	v_max_f32_e32 v4, v5, v4
	v_cndmask_b32_e32 v5, v2, v9, vcc
	v_lshlrev_b32_e32 v9, 2, v5
	ds_bpermute_b32 v5, v9, v4
	v_cmp_lt_i32_e32 vcc, v10, v3
	s_waitcnt lgkmcnt(0)
	v_max_f32_e32 v5, v5, v5
	v_max_f32_e32 v4, v4, v5
	v_cndmask_b32_e32 v5, v2, v10, vcc
	v_lshlrev_b32_e32 v12, 2, v5
	ds_bpermute_b32 v5, v12, v4
	v_xor_b32_e32 v10, 4, v2
	v_cmp_lt_i32_e32 vcc, v10, v3
	s_waitcnt lgkmcnt(0)
	v_max_f32_e32 v5, v5, v5
	v_max_f32_e32 v5, v4, v5
	v_cndmask_b32_e32 v4, v2, v10, vcc
	v_lshlrev_b32_e32 v13, 2, v4
	ds_bpermute_b32 v11, v13, v5
	v_and_b32_e32 v4, 63, v0
	v_cmp_eq_u32_e32 vcc, 0, v4
	v_lshlrev_b32_e32 v10, 2, v16
	s_and_saveexec_b64 s[0:1], vcc
	s_cbranch_execz .LBB268_262
; %bb.261:
	s_waitcnt lgkmcnt(0)
	v_max_f32_e32 v11, v11, v11
	v_max_f32_e32 v5, v5, v5
	v_max_f32_e32 v5, v5, v11
	ds_write_b32 v10, v5 offset:240
.LBB268_262:
	s_or_b64 exec, exec, s[0:1]
	v_cmp_gt_u32_e64 s[0:1], 2, v4
	v_mov_b32_e32 v5, 0xff7fffff
	s_waitcnt lgkmcnt(0)
	v_lshlrev_b32_e32 v11, 2, v4
	s_barrier
	s_and_saveexec_b64 s[6:7], s[0:1]
	s_cbranch_execz .LBB268_264
; %bb.263:
	ds_read_b32 v5, v11 offset:240
.LBB268_264:
	s_or_b64 exec, exec, s[6:7]
	v_xor_b32_e32 v14, 1, v2
	v_cmp_lt_i32_e64 s[6:7], v14, v3
	v_mov_b32_e32 v15, 0
	s_nop 0
	v_cndmask_b32_e64 v14, v2, v14, s[6:7]
	v_lshlrev_b32_e32 v28, 2, v14
	s_waitcnt lgkmcnt(0)
	ds_bpermute_b32 v14, v28, v5
	v_max_f32_e32 v5, v5, v5
	s_sub_i32 s6, s54, s23
	s_lshl_b32 s6, s6, 4
	s_add_i32 s6, s6, s55
	s_waitcnt lgkmcnt(0)
	v_max_f32_e32 v14, v14, v14
	v_max_f32_e32 v5, v5, v14
	v_lshlrev_b32_e32 v14, 2, v2
	v_and_b32_e32 v14, 0x100, v14
	ds_bpermute_b32 v5, v14, v5
	s_min_i32 s43, s6, s33
	s_sub_i32 s23, s43, s55
	v_cmp_gt_i32_e64 s[6:7], s23, v0
	s_and_saveexec_b64 s[12:13], s[6:7]
	s_cbranch_execz .LBB268_268
; %bb.265:
	v_mov_b32_e32 v15, 0x100
	v_lshl_add_u32 v17, v0, 2, v15
	s_mov_b64 s[18:19], 0
	v_mov_b32_e32 v15, 0
	v_mov_b32_e32 v18, v0
.LBB268_266:                            ; =>This Inner Loop Header: Depth=1
	ds_read_b32 v19, v17
	v_add_u32_e32 v18, 0x80, v18
	v_cmp_le_i32_e64 s[10:11], s23, v18
	s_or_b64 s[18:19], s[10:11], s[18:19]
	s_waitcnt lgkmcnt(0)
	v_sub_f32_e32 v19, v19, v5
	v_mul_f32_e32 v19, 0x3fb8aa3b, v19
	v_exp_f32_e32 v19, v19
	ds_write_b32 v17, v19
	v_add_f32_e32 v15, v15, v19
	v_add_u32_e32 v17, 0x200, v17
	s_andn2_b64 exec, exec, s[18:19]
	s_cbranch_execnz .LBB268_266
; %bb.267:
	s_or_b64 exec, exec, s[18:19]
.LBB268_268:
	s_or_b64 exec, exec, s[12:13]
	ds_bpermute_b32 v8, v8, v15
	s_waitcnt lgkmcnt(0)
	v_add_f32_e32 v8, v15, v8
	ds_bpermute_b32 v9, v9, v8
	s_waitcnt lgkmcnt(0)
	v_add_f32_e32 v8, v8, v9
	ds_bpermute_b32 v9, v12, v8
	v_xor_b32_e32 v12, 2, v2
	v_cmp_lt_i32_e64 s[10:11], v12, v3
	s_waitcnt lgkmcnt(0)
	v_add_f32_e32 v8, v8, v9
	ds_bpermute_b32 v9, v13, v8
	v_cndmask_b32_e64 v2, v2, v12, s[10:11]
	v_lshlrev_b32_e32 v2, 2, v2
	s_waitcnt lgkmcnt(0)
	v_add_f32_e32 v3, v8, v9
	ds_bpermute_b32 v2, v2, v3
	s_waitcnt lgkmcnt(0)
	v_add_f32_e32 v2, v3, v2
	ds_bpermute_b32 v3, v28, v2
	s_waitcnt lgkmcnt(0)
	v_add_f32_e32 v2, v2, v3
	s_and_saveexec_b64 s[10:11], vcc
	s_cbranch_execz .LBB268_270
; %bb.269:
	ds_write_b32 v10, v2 offset:248
.LBB268_270:
	s_or_b64 exec, exec, s[10:11]
	s_waitcnt lgkmcnt(0)
	s_barrier
	s_and_saveexec_b64 s[10:11], s[0:1]
	s_cbranch_execz .LBB268_272
; %bb.271:
	ds_read_b32 v2, v11 offset:248
.LBB268_272:
	s_or_b64 exec, exec, s[10:11]
	s_waitcnt lgkmcnt(0)
	ds_bpermute_b32 v3, v28, v2
	s_waitcnt lgkmcnt(0)
	v_add_f32_e32 v2, v2, v3
	ds_bpermute_b32 v8, v14, v2
	s_and_saveexec_b64 s[0:1], s[6:7]
	s_cbranch_execz .LBB268_285
; %bb.273:
	s_waitcnt lgkmcnt(0)
	v_add_f32_e32 v2, 0x358637bd, v8
	v_div_scale_f32 v3, s[6:7], v2, v2, 1.0
	v_rcp_f32_e32 v9, v3
	v_div_scale_f32 v10, vcc, 1.0, v2, 1.0
	s_movk_i32 s6, 0x7f
	v_fma_f32 v11, -v3, v9, 1.0
	v_fmac_f32_e32 v9, v11, v9
	v_mul_f32_e32 v11, v10, v9
	v_fma_f32 v12, -v3, v11, v10
	v_fmac_f32_e32 v11, v12, v9
	v_fma_f32 v3, -v3, v11, v10
	v_div_fmas_f32 v3, v3, v9, v11
	v_div_fixup_f32 v2, v3, v2, 1.0
	v_xad_u32 v3, v0, -1, s43
	v_subrev_u32_e32 v9, s55, v3
	v_cmp_lt_u32_e32 vcc, s6, v9
	s_mov_b64 s[10:11], -1
	v_mov_b32_e32 v3, v0
	s_and_saveexec_b64 s[6:7], vcc
	s_cbranch_execz .LBB268_282
; %bb.274:
	v_lshrrev_b32_e32 v9, 7, v9
	v_add_u32_e32 v11, -1, v9
	v_lshrrev_b32_e32 v10, 1, v11
	v_mov_b32_e32 v3, v2
	v_add_u32_e32 v10, 1, v10
	v_cmp_lt_u32_e32 vcc, 13, v11
	v_mov_b32_e32 v13, 0
	s_and_saveexec_b64 s[10:11], vcc
	s_cbranch_execz .LBB268_278
; %bb.275:
	v_mov_b32_e32 v12, 0x100
	v_and_b32_e32 v11, -8, v10
	v_lshl_add_u32 v12, v0, 2, v12
	s_mov_b32 s18, 0
	s_mov_b64 s[12:13], 0
.LBB268_276:                            ; =>This Inner Loop Header: Depth=1
	ds_read2st64_b32 v[14:15], v12 offset1:2
	ds_read2st64_b32 v[18:19], v12 offset0:4 offset1:6
	ds_read2st64_b32 v[20:21], v12 offset0:8 offset1:10
	;; [unrolled: 1-line block ×3, first 2 shown]
	v_add_u32_e32 v11, -8, v11
	s_waitcnt lgkmcnt(3)
	v_pk_mul_f32 v[14:15], v[2:3], v[14:15]
	s_waitcnt lgkmcnt(2)
	v_pk_mul_f32 v[18:19], v[2:3], v[18:19]
	ds_write2st64_b32 v12, v14, v15 offset1:2
	ds_write2st64_b32 v12, v18, v19 offset0:4 offset1:6
	ds_read2st64_b32 v[18:19], v12 offset0:16 offset1:18
	s_waitcnt lgkmcnt(4)
	v_pk_mul_f32 v[14:15], v[2:3], v[20:21]
	ds_write2st64_b32 v12, v14, v15 offset0:8 offset1:10
	s_waitcnt lgkmcnt(4)
	v_pk_mul_f32 v[14:15], v[2:3], v[22:23]
	ds_write2st64_b32 v12, v14, v15 offset0:12 offset1:14
	ds_read2st64_b32 v[14:15], v12 offset0:20 offset1:22
	s_waitcnt lgkmcnt(3)
	v_pk_mul_f32 v[18:19], v[2:3], v[18:19]
	ds_read2st64_b32 v[20:21], v12 offset0:24 offset1:26
	ds_write2st64_b32 v12, v18, v19 offset0:16 offset1:18
	ds_read2st64_b32 v[18:19], v12 offset0:28 offset1:30
	s_waitcnt lgkmcnt(3)
	v_pk_mul_f32 v[14:15], v[2:3], v[14:15]
	ds_write2st64_b32 v12, v14, v15 offset0:20 offset1:22
	s_waitcnt lgkmcnt(3)
	v_pk_mul_f32 v[14:15], v[2:3], v[20:21]
	ds_write2st64_b32 v12, v14, v15 offset0:24 offset1:26
	s_waitcnt lgkmcnt(2)
	v_pk_mul_f32 v[14:15], v[2:3], v[18:19]
	s_add_i32 s18, s18, 16
	v_cmp_eq_u32_e32 vcc, 0, v11
	ds_write2st64_b32 v12, v14, v15 offset0:28 offset1:30
	v_add_u32_e32 v12, 0x2000, v12
	s_or_b64 s[12:13], vcc, s[12:13]
	v_mov_b32_e32 v13, s18
	s_andn2_b64 exec, exec, s[12:13]
	s_cbranch_execnz .LBB268_276
; %bb.277:
	s_or_b64 exec, exec, s[12:13]
.LBB268_278:
	s_or_b64 exec, exec, s[10:11]
	v_and_b32_e32 v10, 7, v10
	v_cmp_ne_u32_e32 vcc, 0, v10
	s_and_saveexec_b64 s[10:11], vcc
	s_cbranch_execz .LBB268_281
; %bb.279:
	v_lshlrev_b32_e32 v11, 9, v13
	v_lshlrev_b32_e32 v12, 2, v0
	s_movk_i32 s12, 0x100
	v_add3_u32 v11, v11, v12, s12
	s_mov_b64 s[12:13], 0
.LBB268_280:                            ; =>This Inner Loop Header: Depth=1
	ds_read2st64_b32 v[12:13], v11 offset1:2
	v_add_u32_e32 v10, -1, v10
	v_cmp_eq_u32_e32 vcc, 0, v10
	s_or_b64 s[12:13], vcc, s[12:13]
	s_waitcnt lgkmcnt(0)
	v_pk_mul_f32 v[12:13], v[2:3], v[12:13]
	ds_write2st64_b32 v11, v12, v13 offset1:2
	v_add_u32_e32 v11, 0x400, v11
	s_andn2_b64 exec, exec, s[12:13]
	s_cbranch_execnz .LBB268_280
.LBB268_281:
	s_or_b64 exec, exec, s[10:11]
	v_add_u32_e32 v9, 1, v9
	v_and_b32_e32 v10, 0x3fffffe, v9
	v_cmp_ne_u32_e32 vcc, v9, v10
	v_lshl_add_u32 v3, v10, 7, v0
	s_orn2_b64 s[10:11], vcc, exec
.LBB268_282:
	s_or_b64 exec, exec, s[6:7]
	s_and_b64 exec, exec, s[10:11]
	s_cbranch_execz .LBB268_285
; %bb.283:
	v_mov_b32_e32 v9, 0x100
	v_lshl_add_u32 v9, v3, 2, v9
	s_mov_b64 s[6:7], 0
.LBB268_284:                            ; =>This Inner Loop Header: Depth=1
	ds_read_b32 v10, v9
	v_add_u32_e32 v3, 0x80, v3
	v_cmp_le_i32_e32 vcc, s23, v3
	s_or_b64 s[6:7], vcc, s[6:7]
	s_waitcnt lgkmcnt(0)
	v_mul_f32_e32 v10, v2, v10
	ds_write_b32 v9, v10
	v_add_u32_e32 v9, 0x200, v9
	s_andn2_b64 exec, exec, s[6:7]
	s_cbranch_execnz .LBB268_284
.LBB268_285:
	s_or_b64 exec, exec, s[0:1]
	s_mul_i32 s0, s29, s34
	v_cmp_eq_u32_e32 vcc, 0, v0
	s_mul_i32 s6, s0, s5
	s_waitcnt lgkmcnt(0)
	s_barrier
	s_and_saveexec_b64 s[0:1], vcc
	s_cbranch_execz .LBB268_287
; %bb.286:
	s_ashr_i32 s7, s6, 31
	s_lshl_b64 s[10:11], s[6:7], 2
	s_add_u32 s5, s26, s10
	s_mul_i32 s12, s29, s2
	s_addc_u32 s7, s27, s11
	s_ashr_i32 s13, s12, 31
	s_lshl_b64 s[12:13], s[12:13], 2
	s_add_u32 s2, s5, s12
	s_addc_u32 s7, s7, s13
	s_ashr_i32 s5, s4, 31
	s_lshl_b64 s[18:19], s[4:5], 2
	s_add_u32 s26, s2, s18
	s_addc_u32 s27, s7, s19
	s_add_u32 s2, s24, s10
	s_addc_u32 s5, s25, s11
	;; [unrolled: 2-line block ×3, first 2 shown]
	s_add_u32 s10, s2, s18
	v_mov_b32_e32 v2, 0
	s_addc_u32 s11, s5, s19
	global_store_dword v2, v5, s[26:27]
	global_store_dword v2, v8, s[10:11]
.LBB268_287:
	s_or_b64 exec, exec, s[0:1]
	s_mov_b32 s0, 0
	v_mov_b32_e32 v5, 0
	v_lshrrev_b32_e32 v30, 1, v4
	v_and_b32_e32 v29, 1, v0
	v_mov_b32_e32 v4, 0
	v_mov_b32_e32 v3, 0
	;; [unrolled: 1-line block ×3, first 2 shown]
	s_and_saveexec_b64 s[10:11], s[8:9]
	s_cbranch_execz .LBB268_559
; %bb.288:
	s_sub_i32 s5, s16, s21
	s_ashr_i32 s1, s20, 31
	s_add_u32 s8, s40, s20
	v_lshlrev_b32_e32 v2, 3, v0
	s_addc_u32 s9, s41, s1
	s_abs_i32 s27, s22
	v_and_b32_e32 v31, 8, v2
	v_cvt_f32_u32_e32 v2, s27
	v_or_b32_e32 v3, 0x60, v30
	s_movk_i32 s1, 0x78
	v_cmp_gt_u32_e32 vcc, s1, v3
	v_rcp_iflag_f32_e32 v2, v2
	s_sub_i32 s1, 0, s27
	s_add_i32 s26, s3, -1
	v_lshl_or_b32 v12, v3, 4, v31
	v_mul_f32_e32 v2, 0x4f7ffffe, v2
	v_cvt_u32_f32_e32 v2, v2
	s_lshl_b64 s[2:3], s[38:39], 2
	s_add_u32 s2, s36, s2
	s_addc_u32 s3, s37, s3
	v_mul_lo_u32 v3, s1, v2
	v_mul_hi_u32 v3, v2, v3
	v_add_u32_e32 v32, v2, v3
	v_lshlrev_b32_e32 v2, 5, v29
	v_lshl_add_u64 v[14:15], v[6:7], 2, s[2:3]
	v_lshl_or_b32 v2, v16, 6, v2
	s_mov_b32 s2, s0
	s_mov_b32 s3, s0
	v_mov_b32_e32 v11, 0
	v_add_u32_e32 v7, 0x100, v2
	s_mov_b32 s1, s0
	v_mov_b64_e32 v[4:5], s[2:3]
	s_mov_b32 s7, s17
	v_lshl_or_b32 v8, v30, 4, v31
	v_mov_b32_e32 v9, v11
	v_mov_b32_e32 v13, v11
	s_mov_b32 s34, s33
	s_mov_b64 s[12:13], 0
	v_mov_b64_e32 v[2:3], s[0:1]
	s_movk_i32 s36, 0x7f
	s_movk_i32 s37, 0x80
	s_mov_b32 s38, 0x8000
	s_movk_i32 s39, 0x380
	s_mov_b32 s40, 0x3020706
	s_mov_b32 s41, 0x1000504
	;; [unrolled: 1-line block ×3, first 2 shown]
	v_mov_b32_e32 v33, 0x1c00
	s_branch .LBB268_292
.LBB268_289:                            ;   in Loop: Header=BB268_292 Depth=1
	s_or_b64 exec, exec, s[2:3]
	;;#ASMSTART
	v_pk_mul_f16 v18, v38, v19;

	;;#ASMEND
	;;#ASMSTART
	v_pk_mul_f16 v10, v37, v10;

	;;#ASMEND
	;; [unrolled: 4-line block ×4, first 2 shown]
	s_nop 0
	;;#ASMSTART
	v_pk_add_f16 v10, v18, v10;

	;;#ASMEND
	s_nop 0
	;;#ASMSTART
	v_pk_add_f16 v10, v10, v17;

	;;#ASMEND
	;; [unrolled: 5-line block ×3, first 2 shown]
	s_nop 0
	v_lshrrev_b32_e32 v16, 16, v10
	v_and_b32_e32 v10, 0xffff, v10
	;;#ASMSTART
	v_cvt_f32_f16 v10, v10;
	;;#ASMEND
	;;#ASMSTART
	v_cvt_f32_f16 v16, v16;
	;;#ASMEND
	s_nop 0
	v_add_f32_e32 v10, v10, v16
	v_add_f32_e32 v5, v5, v10
.LBB268_290:                            ;   in Loop: Header=BB268_292 Depth=1
	s_or_b64 exec, exec, s[18:19]
.LBB268_291:                            ;   in Loop: Header=BB268_292 Depth=1
	s_or_b64 exec, exec, s[16:17]
	v_add_u32_e32 v6, 2, v6
	v_cmp_le_i32_e64 s[0:1], s54, v6
	v_lshl_add_u64 v[14:15], v[14:15], 0, 8
	v_add_u32_e32 v1, 32, v1
	s_or_b64 s[12:13], s[0:1], s[12:13]
	v_add_u32_e32 v7, 0x80, v7
	s_andn2_b64 exec, exec, s[12:13]
	s_cbranch_execz .LBB268_558
.LBB268_292:                            ; =>This Inner Loop Header: Depth=1
	v_sub_u32_e32 v16, 0, v1
	v_max_i32_e32 v16, v1, v16
	v_mul_hi_u32 v17, v16, s52
	v_mul_lo_u32 v18, v17, s35
	v_sub_u32_e32 v16, v16, v18
	v_add_u32_e32 v18, 1, v17
	v_cmp_le_u32_e64 s[0:1], s35, v16
	v_ashrrev_i32_e32 v10, 31, v1
	v_xor_b32_e32 v10, s53, v10
	v_cndmask_b32_e64 v17, v17, v18, s[0:1]
	v_subrev_u32_e32 v18, s35, v16
	v_cndmask_b32_e64 v16, v16, v18, s[0:1]
	v_add_u32_e32 v18, 1, v17
	v_cmp_le_u32_e64 s[0:1], s35, v16
	s_nop 1
	v_cndmask_b32_e64 v16, v17, v18, s[0:1]
	v_xor_b32_e32 v16, v16, v10
	v_sub_u32_e32 v10, v16, v10
	v_add_u32_e32 v16, s42, v10
	v_sub_u32_e32 v18, 0, v16
	v_ashrrev_i32_e32 v17, 31, v16
	v_max_i32_e32 v16, v16, v18
	v_mul_hi_u32 v18, v16, v32
	v_mul_lo_u32 v18, v18, s27
	v_sub_u32_e32 v16, v16, v18
	v_subrev_u32_e32 v18, s27, v16
	v_cmp_le_u32_e64 s[0:1], s27, v16
	v_cmp_lt_i32_e64 s[2:3], s5, v10
	s_nop 0
	v_cndmask_b32_e64 v16, v16, v18, s[0:1]
	v_subrev_u32_e32 v18, s27, v16
	v_cmp_le_u32_e64 s[0:1], s27, v16
	s_nop 1
	v_cndmask_b32_e64 v16, v16, v18, s[0:1]
	v_xor_b32_e32 v16, v16, v17
	v_sub_u32_e32 v16, v16, v17
	v_cmp_eq_u32_e64 s[0:1], 0, v16
	s_or_b64 s[0:1], s[0:1], s[2:3]
	s_and_saveexec_b64 s[16:17], s[0:1]
	s_cbranch_execz .LBB268_291
; %bb.293:                              ;   in Loop: Header=BB268_292 Depth=1
	ds_read2_b64 v[16:19], v7 offset1:1
	ds_read2_b64 v[22:25], v7 offset0:2 offset1:3
                                        ; implicit-def: $sgpr20
	s_waitcnt lgkmcnt(1)
	;;#ASMSTART
	v_cvt_f16_f32 v21, v16;

	;;#ASMEND
	;;#ASMSTART
	v_cvt_f16_f32 v35, v17;

	;;#ASMEND
	;; [unrolled: 4-line block ×4, first 2 shown]
	s_waitcnt lgkmcnt(0)
	;;#ASMSTART
	v_cvt_f16_f32 v39, v22;

	;;#ASMEND
	;;#ASMSTART
	v_cvt_f16_f32 v40, v23;

	;;#ASMEND
	;; [unrolled: 4-line block ×4, first 2 shown]
	global_load_dword v10, v[14:15], off
	v_mov_b64_e32 v[16:17], s[8:9]
	s_waitcnt vmcnt(0)
	v_mad_i64_i32 v[16:17], s[0:1], v10, s7, v[16:17]
	v_lshl_add_u64 v[18:19], v[16:17], 0, v[8:9]
	global_load_dwordx2 v[22:23], v[18:19], off
	global_load_dword v20, v11, s[14:15]
	s_mov_b64 s[0:1], 0
	s_waitcnt vmcnt(1)
	v_cmp_gt_i16_sdwa s[2:3], v22, s36 src0_sel:BYTE_0 src1_sel:DWORD
	s_and_saveexec_b64 s[18:19], s[2:3]
	s_xor_b64 s[2:3], exec, s[18:19]
	s_cbranch_execnz .LBB268_430
; %bb.294:                              ;   in Loop: Header=BB268_292 Depth=1
	s_or_saveexec_b64 s[2:3], s[2:3]
	v_mov_b32_e32 v24, s20
	s_xor_b64 exec, exec, s[2:3]
	s_cbranch_execnz .LBB268_433
.LBB268_295:                            ;   in Loop: Header=BB268_292 Depth=1
	s_or_b64 exec, exec, s[2:3]
	s_and_saveexec_b64 s[2:3], s[0:1]
	s_cbranch_execz .LBB268_297
.LBB268_296:                            ;   in Loop: Header=BB268_292 Depth=1
	v_and_b32_e32 v10, 7, v22
	v_ffbh_u32_e32 v10, v10
	v_bfe_u32 v24, v22, 3, 4
	v_min_u32_e32 v10, 32, v10
	v_subrev_u32_e32 v25, 28, v10
	v_sub_u32_e32 v10, 29, v10
	v_cmp_eq_u32_e64 s[0:1], 0, v24
	s_nop 1
	v_cndmask_b32_e64 v10, v24, v10, s[0:1]
	v_cndmask_b32_e64 v24, 0, v25, s[0:1]
	v_lshlrev_b64 v[24:25], v24, v[22:23]
	v_lshlrev_b32_e32 v25, 8, v22
	v_lshl_add_u32 v10, v10, 10, v33
	v_lshlrev_b32_e32 v24, 7, v24
	v_and_or_b32 v10, v25, s38, v10
	v_and_or_b32 v10, v24, s39, v10
	v_cvt_f32_f16_e32 v24, v10
.LBB268_297:                            ;   in Loop: Header=BB268_292 Depth=1
	s_or_b64 exec, exec, s[2:3]
	v_lshrrev_b16_e32 v10, 8, v22
	v_cmp_lt_i16_e64 s[0:1], s36, v10
	s_mov_b64 s[2:3], 0
                                        ; implicit-def: $sgpr22
	s_and_saveexec_b64 s[18:19], s[0:1]
	s_xor_b64 s[18:19], exec, s[18:19]
	s_cbranch_execnz .LBB268_434
; %bb.298:                              ;   in Loop: Header=BB268_292 Depth=1
	s_or_saveexec_b64 s[18:19], s[18:19]
	v_mov_b32_e32 v26, s22
	s_xor_b64 exec, exec, s[18:19]
	s_cbranch_execnz .LBB268_437
.LBB268_299:                            ;   in Loop: Header=BB268_292 Depth=1
	s_or_b64 exec, exec, s[18:19]
	s_and_saveexec_b64 s[18:19], s[2:3]
	s_cbranch_execz .LBB268_301
.LBB268_300:                            ;   in Loop: Header=BB268_292 Depth=1
	v_and_b32_e32 v25, 7, v10
	v_ffbh_u32_e32 v26, v25
	v_min_u32_e32 v38, 32, v26
	v_subrev_u32_e32 v26, 28, v38
	v_bfe_u32 v34, v10, 3, 4
	v_lshlrev_b64 v[26:27], v26, v[10:11]
	v_sub_u32_e32 v27, 29, v38
	v_cmp_eq_u32_e64 s[0:1], 0, v34
	v_and_b32_e32 v26, 7, v26
	v_lshlrev_b32_e32 v10, 8, v10
	v_cndmask_b32_e64 v27, v34, v27, s[0:1]
	v_cndmask_b32_e64 v25, v25, v26, s[0:1]
	v_lshl_add_u32 v26, v27, 10, v33
	v_and_or_b32 v10, v10, s38, v26
	v_lshl_or_b32 v10, v25, 7, v10
	v_cvt_f32_f16_e32 v26, v10
.LBB268_301:                            ;   in Loop: Header=BB268_292 Depth=1
	s_or_b64 exec, exec, s[18:19]
	v_lshrrev_b32_e32 v10, 16, v22
	v_cmp_gt_i16_sdwa s[2:3], v10, s36 src0_sel:BYTE_0 src1_sel:DWORD
	s_mov_b64 s[0:1], 0
                                        ; implicit-def: $sgpr20
	s_and_saveexec_b64 s[18:19], s[2:3]
	s_xor_b64 s[2:3], exec, s[18:19]
	s_cbranch_execnz .LBB268_438
; %bb.302:                              ;   in Loop: Header=BB268_292 Depth=1
	s_or_saveexec_b64 s[2:3], s[2:3]
	v_mov_b32_e32 v25, s20
	s_xor_b64 exec, exec, s[2:3]
	s_cbranch_execnz .LBB268_441
.LBB268_303:                            ;   in Loop: Header=BB268_292 Depth=1
	s_or_b64 exec, exec, s[2:3]
	s_and_saveexec_b64 s[2:3], s[0:1]
	s_cbranch_execz .LBB268_305
.LBB268_304:                            ;   in Loop: Header=BB268_292 Depth=1
	v_bfe_u32 v25, v22, 16, 3
	v_ffbh_u32_e32 v34, v25
	v_bfe_u32 v27, v22, 19, 4
	v_min_u32_e32 v34, 32, v34
	v_subrev_u32_e32 v38, 28, v34
	v_sub_u32_e32 v34, 29, v34
	v_cmp_eq_u32_e64 s[0:1], 0, v27
	v_lshlrev_b64 v[44:45], v38, v[10:11]
	v_and_b32_e32 v38, 7, v44
	v_cndmask_b32_e64 v27, v27, v34, s[0:1]
	v_lshlrev_b32_e32 v10, 8, v10
	v_lshl_add_u32 v27, v27, 10, v33
	v_cndmask_b32_e64 v25, v25, v38, s[0:1]
	v_and_or_b32 v10, v10, s38, v27
	v_lshl_or_b32 v10, v25, 7, v10
	v_cvt_f32_f16_e32 v25, v10
.LBB268_305:                            ;   in Loop: Header=BB268_292 Depth=1
	s_or_b64 exec, exec, s[2:3]
	v_lshrrev_b32_e32 v10, 24, v22
	v_cmp_lt_i16_e64 s[0:1], s36, v10
	s_mov_b64 s[2:3], 0
                                        ; implicit-def: $sgpr22
	s_and_saveexec_b64 s[18:19], s[0:1]
	s_xor_b64 s[18:19], exec, s[18:19]
	s_cbranch_execnz .LBB268_442
; %bb.306:                              ;   in Loop: Header=BB268_292 Depth=1
	s_or_saveexec_b64 s[18:19], s[18:19]
	v_mov_b32_e32 v27, s22
	s_xor_b64 exec, exec, s[18:19]
	s_cbranch_execnz .LBB268_445
.LBB268_307:                            ;   in Loop: Header=BB268_292 Depth=1
	s_or_b64 exec, exec, s[18:19]
	s_and_saveexec_b64 s[18:19], s[2:3]
	s_cbranch_execz .LBB268_309
.LBB268_308:                            ;   in Loop: Header=BB268_292 Depth=1
	v_bfe_u32 v27, v22, 24, 3
	v_ffbh_u32_e32 v34, v27
	v_bfe_u32 v22, v22, 27, 4
	v_min_u32_e32 v34, 32, v34
	v_subrev_u32_e32 v38, 28, v34
	v_sub_u32_e32 v34, 29, v34
	v_cmp_eq_u32_e64 s[0:1], 0, v22
	v_lshlrev_b64 v[44:45], v38, v[10:11]
	v_and_b32_e32 v38, 7, v44
	v_cndmask_b32_e64 v22, v22, v34, s[0:1]
	v_lshlrev_b32_e32 v10, 8, v10
	v_lshl_add_u32 v22, v22, 10, v33
	v_cndmask_b32_e64 v27, v27, v38, s[0:1]
	v_and_or_b32 v10, v10, s38, v22
	v_lshl_or_b32 v10, v27, 7, v10
	v_cvt_f32_f16_e32 v27, v10
.LBB268_309:                            ;   in Loop: Header=BB268_292 Depth=1
	s_or_b64 exec, exec, s[18:19]
	v_cmp_gt_i16_sdwa s[2:3], v23, s36 src0_sel:BYTE_0 src1_sel:DWORD
	s_mov_b64 s[0:1], 0
                                        ; implicit-def: $sgpr20
	s_and_saveexec_b64 s[18:19], s[2:3]
	s_xor_b64 s[2:3], exec, s[18:19]
	s_cbranch_execnz .LBB268_446
; %bb.310:                              ;   in Loop: Header=BB268_292 Depth=1
	s_or_saveexec_b64 s[2:3], s[2:3]
	v_mov_b32_e32 v22, s20
	s_xor_b64 exec, exec, s[2:3]
	s_cbranch_execnz .LBB268_449
.LBB268_311:                            ;   in Loop: Header=BB268_292 Depth=1
	s_or_b64 exec, exec, s[2:3]
	v_mov_b32_e32 v10, v23
	s_and_saveexec_b64 s[2:3], s[0:1]
	s_cbranch_execz .LBB268_313
.LBB268_312:                            ;   in Loop: Header=BB268_292 Depth=1
	v_and_b32_e32 v22, 7, v23
	v_ffbh_u32_e32 v22, v22
	v_bfe_u32 v34, v23, 3, 4
	v_min_u32_e32 v22, 32, v22
	v_subrev_u32_e32 v38, 28, v22
	v_sub_u32_e32 v22, 29, v22
	v_cmp_eq_u32_e64 s[0:1], 0, v34
	s_nop 1
	v_cndmask_b32_e64 v22, v34, v22, s[0:1]
	v_cndmask_b32_e64 v34, 0, v38, s[0:1]
	v_lshlrev_b64 v[44:45], v34, v[10:11]
	v_lshlrev_b32_e32 v38, 8, v23
	v_lshl_add_u32 v22, v22, 10, v33
	v_lshlrev_b32_e32 v34, 7, v44
	v_and_or_b32 v22, v38, s38, v22
	v_and_or_b32 v22, v34, s39, v22
	v_cvt_f32_f16_e32 v22, v22
.LBB268_313:                            ;   in Loop: Header=BB268_292 Depth=1
	s_or_b64 exec, exec, s[2:3]
	v_lshrrev_b16_e32 v10, 8, v10
	v_cmp_lt_i16_e64 s[0:1], s36, v10
	s_mov_b64 s[2:3], 0
                                        ; implicit-def: $sgpr22
	s_and_saveexec_b64 s[18:19], s[0:1]
	s_xor_b64 s[18:19], exec, s[18:19]
	s_cbranch_execnz .LBB268_450
; %bb.314:                              ;   in Loop: Header=BB268_292 Depth=1
	s_or_saveexec_b64 s[18:19], s[18:19]
	v_mov_b32_e32 v38, s22
	s_xor_b64 exec, exec, s[18:19]
	s_cbranch_execnz .LBB268_453
.LBB268_315:                            ;   in Loop: Header=BB268_292 Depth=1
	s_or_b64 exec, exec, s[18:19]
	s_and_saveexec_b64 s[18:19], s[2:3]
	s_cbranch_execz .LBB268_317
.LBB268_316:                            ;   in Loop: Header=BB268_292 Depth=1
	v_and_b32_e32 v34, 7, v10
	v_ffbh_u32_e32 v43, v34
	v_bfe_u32 v38, v10, 3, 4
	v_min_u32_e32 v43, 32, v43
	v_subrev_u32_e32 v44, 28, v43
	v_sub_u32_e32 v43, 29, v43
	v_cmp_eq_u32_e64 s[0:1], 0, v38
	v_lshlrev_b64 v[44:45], v44, v[10:11]
	v_and_b32_e32 v44, 7, v44
	v_cndmask_b32_e64 v38, v38, v43, s[0:1]
	v_lshlrev_b32_e32 v10, 8, v10
	v_lshl_add_u32 v38, v38, 10, v33
	v_cndmask_b32_e64 v34, v34, v44, s[0:1]
	v_and_or_b32 v10, v10, s38, v38
	v_lshl_or_b32 v10, v34, 7, v10
	v_cvt_f32_f16_e32 v38, v10
.LBB268_317:                            ;   in Loop: Header=BB268_292 Depth=1
	s_or_b64 exec, exec, s[18:19]
	v_lshrrev_b32_e32 v10, 16, v23
	v_cmp_gt_i16_sdwa s[2:3], v10, s36 src0_sel:BYTE_0 src1_sel:DWORD
	s_mov_b64 s[0:1], 0
                                        ; implicit-def: $sgpr20
	s_and_saveexec_b64 s[18:19], s[2:3]
	s_xor_b64 s[2:3], exec, s[18:19]
	s_cbranch_execnz .LBB268_454
; %bb.318:                              ;   in Loop: Header=BB268_292 Depth=1
	s_or_saveexec_b64 s[2:3], s[2:3]
	v_mov_b32_e32 v43, s20
	s_xor_b64 exec, exec, s[2:3]
	s_cbranch_execnz .LBB268_457
.LBB268_319:                            ;   in Loop: Header=BB268_292 Depth=1
	s_or_b64 exec, exec, s[2:3]
	s_and_saveexec_b64 s[2:3], s[0:1]
	s_cbranch_execz .LBB268_321
.LBB268_320:                            ;   in Loop: Header=BB268_292 Depth=1
	v_bfe_u32 v34, v23, 16, 3
	v_ffbh_u32_e32 v44, v34
	v_min_u32_e32 v46, 32, v44
	v_subrev_u32_e32 v44, 28, v46
	v_bfe_u32 v43, v23, 19, 4
	v_lshlrev_b64 v[44:45], v44, v[10:11]
	v_sub_u32_e32 v45, 29, v46
	v_cmp_eq_u32_e64 s[0:1], 0, v43
	v_and_b32_e32 v44, 7, v44
	v_lshlrev_b32_e32 v10, 8, v10
	v_cndmask_b32_e64 v43, v43, v45, s[0:1]
	v_lshl_add_u32 v43, v43, 10, v33
	v_cndmask_b32_e64 v34, v34, v44, s[0:1]
	v_and_or_b32 v10, v10, s38, v43
	v_lshl_or_b32 v10, v34, 7, v10
	v_cvt_f32_f16_e32 v43, v10
.LBB268_321:                            ;   in Loop: Header=BB268_292 Depth=1
	s_or_b64 exec, exec, s[2:3]
	v_lshrrev_b32_e32 v10, 24, v23
	v_cmp_lt_i16_e64 s[0:1], s36, v10
	s_mov_b64 s[2:3], 0
                                        ; implicit-def: $sgpr22
	s_and_saveexec_b64 s[18:19], s[0:1]
	s_xor_b64 s[18:19], exec, s[18:19]
	s_cbranch_execnz .LBB268_458
; %bb.322:                              ;   in Loop: Header=BB268_292 Depth=1
	s_or_saveexec_b64 s[18:19], s[18:19]
	v_mov_b32_e32 v44, s22
	s_xor_b64 exec, exec, s[18:19]
	s_cbranch_execnz .LBB268_461
.LBB268_323:                            ;   in Loop: Header=BB268_292 Depth=1
	s_or_b64 exec, exec, s[18:19]
	s_and_saveexec_b64 s[18:19], s[2:3]
	s_cbranch_execz .LBB268_325
.LBB268_324:                            ;   in Loop: Header=BB268_292 Depth=1
	v_bfe_u32 v34, v23, 24, 3
	v_ffbh_u32_e32 v44, v34
	v_min_u32_e32 v46, 32, v44
	v_subrev_u32_e32 v44, 28, v46
	v_bfe_u32 v23, v23, 27, 4
	v_lshlrev_b64 v[44:45], v44, v[10:11]
	v_sub_u32_e32 v45, 29, v46
	v_cmp_eq_u32_e64 s[0:1], 0, v23
	v_and_b32_e32 v44, 7, v44
	v_lshlrev_b32_e32 v10, 8, v10
	v_cndmask_b32_e64 v23, v23, v45, s[0:1]
	v_lshl_add_u32 v23, v23, 10, v33
	v_cndmask_b32_e64 v34, v34, v44, s[0:1]
	v_and_or_b32 v10, v10, s38, v23
	v_lshl_or_b32 v10, v34, 7, v10
	v_cvt_f32_f16_e32 v44, v10
.LBB268_325:                            ;   in Loop: Header=BB268_292 Depth=1
	s_or_b64 exec, exec, s[18:19]
	s_waitcnt vmcnt(0)
	v_pk_mul_f32 v[26:27], v[20:21], v[26:27] op_sel_hi:[0,1]
	v_pk_mul_f32 v[24:25], v[20:21], v[24:25] op_sel_hi:[0,1]
	v_cvt_f16_f32_e32 v10, v27
	v_cvt_f16_f32_e32 v23, v26
	;; [unrolled: 1-line block ×4, first 2 shown]
	v_fma_mixlo_f16 v22, v20, v22, 0
	v_pack_b32_f16 v23, v23, v10
	v_add_u32_e32 v34, v31, v1
	v_pack_b32_f16 v24, v24, v25
	v_perm_b32 v10, v24, v23, s40
	v_perm_b32 v23, v24, v23, s41
	v_fma_mixlo_f16 v24, v20, v38, 0
	v_lshlrev_b32_e32 v24, 16, v24
	v_or_b32_sdwa v22, v24, v22 dst_sel:DWORD dst_unused:UNUSED_PAD src0_sel:DWORD src1_sel:WORD_0
	v_fma_mixlo_f16 v24, v20, v43, 0
	v_fma_mixlo_f16 v20, v20, v44, 0
	v_lshlrev_b32_e32 v20, 16, v20
	v_cmp_eq_u32_e64 s[0:1], s26, v6
	v_or_b32_sdwa v20, v20, v24 dst_sel:DWORD dst_unused:UNUSED_PAD src0_sel:DWORD src1_sel:WORD_0
	s_and_saveexec_b64 s[18:19], s[0:1]
	s_cbranch_execz .LBB268_327
; %bb.326:                              ;   in Loop: Header=BB268_292 Depth=1
	v_add_u32_e32 v25, 1, v34
	v_lshrrev_b32_e32 v26, 16, v23
	v_cmp_gt_i32_e64 s[2:3], s34, v25
	v_lshrrev_b32_e32 v27, 16, v10
	v_lshrrev_b32_e32 v20, 16, v20
	v_cndmask_b32_e64 v25, 0, v26, s[2:3]
	v_cmp_gt_i32_e64 s[2:3], s33, v34
	v_or_b32_e32 v26, 2, v34
	s_nop 0
	v_cndmask_b32_e64 v23, 0, v23, s[2:3]
	v_perm_b32 v23, v25, v23, s43
	v_or_b32_e32 v25, 3, v34
	v_cmp_gt_i32_e64 s[2:3], s34, v25
	s_nop 1
	v_cndmask_b32_e64 v25, 0, v27, s[2:3]
	v_cmp_gt_i32_e64 s[2:3], s33, v26
	v_or_b32_e32 v26, 4, v34
	v_lshrrev_b32_e32 v27, 16, v22
	v_cndmask_b32_e64 v10, 0, v10, s[2:3]
	v_perm_b32 v10, v25, v10, s43
	v_or_b32_e32 v25, 5, v34
	v_cmp_gt_i32_e64 s[2:3], s34, v25
	s_nop 1
	v_cndmask_b32_e64 v25, 0, v27, s[2:3]
	v_cmp_gt_i32_e64 s[2:3], s33, v26
	v_or_b32_e32 v26, 6, v34
	s_nop 0
	v_cndmask_b32_e64 v22, 0, v22, s[2:3]
	v_perm_b32 v22, v25, v22, s43
	v_or_b32_e32 v25, 7, v34
	v_cmp_gt_i32_e64 s[2:3], s34, v25
	s_nop 1
	v_cndmask_b32_e64 v20, 0, v20, s[2:3]
	v_cmp_gt_i32_e64 s[2:3], s33, v26
	s_nop 1
	v_cndmask_b32_e64 v24, 0, v24, s[2:3]
	v_perm_b32 v20, v20, v24, s43
.LBB268_327:                            ;   in Loop: Header=BB268_292 Depth=1
	s_or_b64 exec, exec, s[18:19]
	v_and_b32_e32 v21, 0xffff, v21
	v_lshl_or_b32 v38, v35, 16, v21
	v_and_b32_e32 v21, 0xffff, v36
	v_lshl_or_b32 v37, v37, 16, v21
	;; [unrolled: 2-line block ×4, first 2 shown]
	;;#ASMSTART
	v_pk_mul_f16 v21, v38, v23;

	;;#ASMEND
	;;#ASMSTART
	v_pk_mul_f16 v10, v37, v10;

	;;#ASMEND
	;; [unrolled: 4-line block ×4, first 2 shown]
	s_mov_b64 s[2:3], 0
	;;#ASMSTART
	v_pk_add_f16 v10, v21, v10;

	;;#ASMEND
                                        ; implicit-def: $sgpr22
	s_nop 0
	;;#ASMSTART
	v_pk_add_f16 v10, v10, v22;

	;;#ASMEND
	s_nop 0
	;;#ASMSTART
	v_pk_add_f16 v10, v10, v20;

	;;#ASMEND
	s_nop 0
	v_lshrrev_b32_e32 v20, 16, v10
	v_and_b32_e32 v10, 0xffff, v10
	;;#ASMSTART
	v_cvt_f32_f16 v21, v10;
	;;#ASMEND
	;;#ASMSTART
	v_cvt_f32_f16 v39, v20;
	;;#ASMEND
	global_load_dwordx2 v[22:23], v[18:19], off offset:512
	global_load_dword v20, v11, s[14:15]
	s_waitcnt vmcnt(1)
	v_cmp_gt_i16_sdwa s[18:19], v22, s36 src0_sel:BYTE_0 src1_sel:DWORD
	s_and_saveexec_b64 s[20:21], s[18:19]
	s_xor_b64 s[18:19], exec, s[20:21]
	s_cbranch_execnz .LBB268_462
; %bb.328:                              ;   in Loop: Header=BB268_292 Depth=1
	s_or_saveexec_b64 s[18:19], s[18:19]
	v_mov_b32_e32 v24, s22
	s_xor_b64 exec, exec, s[18:19]
	s_cbranch_execnz .LBB268_465
.LBB268_329:                            ;   in Loop: Header=BB268_292 Depth=1
	s_or_b64 exec, exec, s[18:19]
	s_and_saveexec_b64 s[18:19], s[2:3]
	s_cbranch_execz .LBB268_331
.LBB268_330:                            ;   in Loop: Header=BB268_292 Depth=1
	v_and_b32_e32 v10, 7, v22
	v_ffbh_u32_e32 v10, v10
	v_bfe_u32 v24, v22, 3, 4
	v_min_u32_e32 v10, 32, v10
	v_subrev_u32_e32 v25, 28, v10
	v_sub_u32_e32 v10, 29, v10
	v_cmp_eq_u32_e64 s[2:3], 0, v24
	s_nop 1
	v_cndmask_b32_e64 v10, v24, v10, s[2:3]
	v_cndmask_b32_e64 v24, 0, v25, s[2:3]
	v_lshlrev_b64 v[24:25], v24, v[22:23]
	v_lshlrev_b32_e32 v25, 8, v22
	v_lshl_add_u32 v10, v10, 10, v33
	v_lshlrev_b32_e32 v24, 7, v24
	v_and_or_b32 v10, v25, s38, v10
	v_and_or_b32 v10, v24, s39, v10
	v_cvt_f32_f16_e32 v24, v10
.LBB268_331:                            ;   in Loop: Header=BB268_292 Depth=1
	s_or_b64 exec, exec, s[18:19]
	v_lshrrev_b16_e32 v10, 8, v22
	v_cmp_lt_i16_e64 s[2:3], s36, v10
	s_mov_b64 s[18:19], 0
                                        ; implicit-def: $sgpr24
	s_and_saveexec_b64 s[20:21], s[2:3]
	s_xor_b64 s[20:21], exec, s[20:21]
	s_cbranch_execnz .LBB268_466
; %bb.332:                              ;   in Loop: Header=BB268_292 Depth=1
	s_or_saveexec_b64 s[20:21], s[20:21]
	v_mov_b32_e32 v26, s24
	s_xor_b64 exec, exec, s[20:21]
	s_cbranch_execnz .LBB268_469
.LBB268_333:                            ;   in Loop: Header=BB268_292 Depth=1
	s_or_b64 exec, exec, s[20:21]
	s_and_saveexec_b64 s[20:21], s[18:19]
	s_cbranch_execz .LBB268_335
.LBB268_334:                            ;   in Loop: Header=BB268_292 Depth=1
	v_and_b32_e32 v25, 7, v10
	v_ffbh_u32_e32 v26, v25
	v_min_u32_e32 v41, 32, v26
	v_subrev_u32_e32 v26, 28, v41
	v_bfe_u32 v40, v10, 3, 4
	v_lshlrev_b64 v[26:27], v26, v[10:11]
	v_sub_u32_e32 v27, 29, v41
	v_cmp_eq_u32_e64 s[2:3], 0, v40
	v_and_b32_e32 v26, 7, v26
	v_lshlrev_b32_e32 v10, 8, v10
	v_cndmask_b32_e64 v27, v40, v27, s[2:3]
	v_cndmask_b32_e64 v25, v25, v26, s[2:3]
	v_lshl_add_u32 v26, v27, 10, v33
	v_and_or_b32 v10, v10, s38, v26
	v_lshl_or_b32 v10, v25, 7, v10
	v_cvt_f32_f16_e32 v26, v10
.LBB268_335:                            ;   in Loop: Header=BB268_292 Depth=1
	s_or_b64 exec, exec, s[20:21]
	v_lshrrev_b32_e32 v10, 16, v22
	v_cmp_gt_i16_sdwa s[18:19], v10, s36 src0_sel:BYTE_0 src1_sel:DWORD
	s_mov_b64 s[2:3], 0
                                        ; implicit-def: $sgpr22
	s_and_saveexec_b64 s[20:21], s[18:19]
	s_xor_b64 s[18:19], exec, s[20:21]
	s_cbranch_execnz .LBB268_470
; %bb.336:                              ;   in Loop: Header=BB268_292 Depth=1
	s_or_saveexec_b64 s[18:19], s[18:19]
	v_mov_b32_e32 v25, s22
	s_xor_b64 exec, exec, s[18:19]
	s_cbranch_execnz .LBB268_473
.LBB268_337:                            ;   in Loop: Header=BB268_292 Depth=1
	s_or_b64 exec, exec, s[18:19]
	s_and_saveexec_b64 s[18:19], s[2:3]
	s_cbranch_execz .LBB268_339
.LBB268_338:                            ;   in Loop: Header=BB268_292 Depth=1
	v_bfe_u32 v25, v22, 16, 3
	v_ffbh_u32_e32 v40, v25
	v_min_u32_e32 v42, 32, v40
	v_subrev_u32_e32 v40, 28, v42
	v_bfe_u32 v27, v22, 19, 4
	v_lshlrev_b64 v[40:41], v40, v[10:11]
	v_sub_u32_e32 v41, 29, v42
	v_cmp_eq_u32_e64 s[2:3], 0, v27
	v_and_b32_e32 v40, 7, v40
	v_lshlrev_b32_e32 v10, 8, v10
	v_cndmask_b32_e64 v27, v27, v41, s[2:3]
	v_lshl_add_u32 v27, v27, 10, v33
	v_cndmask_b32_e64 v25, v25, v40, s[2:3]
	v_and_or_b32 v10, v10, s38, v27
	v_lshl_or_b32 v10, v25, 7, v10
	v_cvt_f32_f16_e32 v25, v10
.LBB268_339:                            ;   in Loop: Header=BB268_292 Depth=1
	s_or_b64 exec, exec, s[18:19]
	v_lshrrev_b32_e32 v10, 24, v22
	v_cmp_lt_i16_e64 s[2:3], s36, v10
	s_mov_b64 s[18:19], 0
                                        ; implicit-def: $sgpr24
	s_and_saveexec_b64 s[20:21], s[2:3]
	s_xor_b64 s[20:21], exec, s[20:21]
	s_cbranch_execnz .LBB268_474
; %bb.340:                              ;   in Loop: Header=BB268_292 Depth=1
	s_or_saveexec_b64 s[20:21], s[20:21]
	v_mov_b32_e32 v27, s24
	s_xor_b64 exec, exec, s[20:21]
	s_cbranch_execnz .LBB268_477
.LBB268_341:                            ;   in Loop: Header=BB268_292 Depth=1
	s_or_b64 exec, exec, s[20:21]
	s_and_saveexec_b64 s[20:21], s[18:19]
	s_cbranch_execz .LBB268_343
.LBB268_342:                            ;   in Loop: Header=BB268_292 Depth=1
	v_bfe_u32 v27, v22, 24, 3
	v_ffbh_u32_e32 v40, v27
	v_min_u32_e32 v42, 32, v40
	v_subrev_u32_e32 v40, 28, v42
	v_bfe_u32 v22, v22, 27, 4
	v_lshlrev_b64 v[40:41], v40, v[10:11]
	v_sub_u32_e32 v41, 29, v42
	v_cmp_eq_u32_e64 s[2:3], 0, v22
	v_and_b32_e32 v40, 7, v40
	v_lshlrev_b32_e32 v10, 8, v10
	v_cndmask_b32_e64 v22, v22, v41, s[2:3]
	v_lshl_add_u32 v22, v22, 10, v33
	v_cndmask_b32_e64 v27, v27, v40, s[2:3]
	v_and_or_b32 v10, v10, s38, v22
	v_lshl_or_b32 v10, v27, 7, v10
	v_cvt_f32_f16_e32 v27, v10
.LBB268_343:                            ;   in Loop: Header=BB268_292 Depth=1
	s_or_b64 exec, exec, s[20:21]
	v_cmp_gt_i16_sdwa s[18:19], v23, s36 src0_sel:BYTE_0 src1_sel:DWORD
	s_mov_b64 s[2:3], 0
                                        ; implicit-def: $sgpr22
	s_and_saveexec_b64 s[20:21], s[18:19]
	s_xor_b64 s[18:19], exec, s[20:21]
	s_cbranch_execnz .LBB268_478
; %bb.344:                              ;   in Loop: Header=BB268_292 Depth=1
	s_or_saveexec_b64 s[18:19], s[18:19]
	v_mov_b32_e32 v22, s22
	s_xor_b64 exec, exec, s[18:19]
	s_cbranch_execnz .LBB268_481
.LBB268_345:                            ;   in Loop: Header=BB268_292 Depth=1
	s_or_b64 exec, exec, s[18:19]
	v_mov_b32_e32 v10, v23
	s_and_saveexec_b64 s[18:19], s[2:3]
	s_cbranch_execz .LBB268_347
.LBB268_346:                            ;   in Loop: Header=BB268_292 Depth=1
	v_and_b32_e32 v22, 7, v23
	v_ffbh_u32_e32 v22, v22
	v_bfe_u32 v40, v23, 3, 4
	v_min_u32_e32 v22, 32, v22
	v_subrev_u32_e32 v41, 28, v22
	v_sub_u32_e32 v22, 29, v22
	v_cmp_eq_u32_e64 s[2:3], 0, v40
	s_nop 1
	v_cndmask_b32_e64 v22, v40, v22, s[2:3]
	v_cndmask_b32_e64 v40, 0, v41, s[2:3]
	v_lshlrev_b64 v[40:41], v40, v[10:11]
	v_lshlrev_b32_e32 v41, 8, v23
	v_lshl_add_u32 v22, v22, 10, v33
	v_lshlrev_b32_e32 v40, 7, v40
	v_and_or_b32 v22, v41, s38, v22
	v_and_or_b32 v22, v40, s39, v22
	v_cvt_f32_f16_e32 v22, v22
.LBB268_347:                            ;   in Loop: Header=BB268_292 Depth=1
	s_or_b64 exec, exec, s[18:19]
	v_lshrrev_b16_e32 v10, 8, v10
	v_cmp_lt_i16_e64 s[2:3], s36, v10
	s_mov_b64 s[18:19], 0
                                        ; implicit-def: $sgpr24
	s_and_saveexec_b64 s[20:21], s[2:3]
	s_xor_b64 s[20:21], exec, s[20:21]
	s_cbranch_execnz .LBB268_482
; %bb.348:                              ;   in Loop: Header=BB268_292 Depth=1
	s_or_saveexec_b64 s[20:21], s[20:21]
	v_mov_b32_e32 v40, s24
	s_xor_b64 exec, exec, s[20:21]
	s_cbranch_execnz .LBB268_485
.LBB268_349:                            ;   in Loop: Header=BB268_292 Depth=1
	s_or_b64 exec, exec, s[20:21]
	s_and_saveexec_b64 s[20:21], s[18:19]
	s_cbranch_execz .LBB268_351
.LBB268_350:                            ;   in Loop: Header=BB268_292 Depth=1
	v_and_b32_e32 v42, 7, v10
	v_ffbh_u32_e32 v40, v42
	v_min_u32_e32 v44, 32, v40
	v_subrev_u32_e32 v40, 28, v44
	v_bfe_u32 v43, v10, 3, 4
	v_lshlrev_b64 v[40:41], v40, v[10:11]
	v_sub_u32_e32 v41, 29, v44
	v_cmp_eq_u32_e64 s[2:3], 0, v43
	v_and_b32_e32 v40, 7, v40
	v_lshlrev_b32_e32 v10, 8, v10
	v_cndmask_b32_e64 v41, v43, v41, s[2:3]
	v_lshl_add_u32 v41, v41, 10, v33
	v_cndmask_b32_e64 v40, v42, v40, s[2:3]
	v_and_or_b32 v10, v10, s38, v41
	v_lshl_or_b32 v10, v40, 7, v10
	v_cvt_f32_f16_e32 v40, v10
.LBB268_351:                            ;   in Loop: Header=BB268_292 Depth=1
	s_or_b64 exec, exec, s[20:21]
	v_lshrrev_b32_e32 v10, 16, v23
	v_cmp_gt_i16_sdwa s[18:19], v10, s36 src0_sel:BYTE_0 src1_sel:DWORD
	s_mov_b64 s[2:3], 0
                                        ; implicit-def: $sgpr22
	s_and_saveexec_b64 s[20:21], s[18:19]
	s_xor_b64 s[18:19], exec, s[20:21]
	s_cbranch_execnz .LBB268_486
; %bb.352:                              ;   in Loop: Header=BB268_292 Depth=1
	s_or_saveexec_b64 s[18:19], s[18:19]
	v_mov_b32_e32 v41, s22
	s_xor_b64 exec, exec, s[18:19]
	s_cbranch_execnz .LBB268_489
.LBB268_353:                            ;   in Loop: Header=BB268_292 Depth=1
	s_or_b64 exec, exec, s[18:19]
	s_and_saveexec_b64 s[18:19], s[2:3]
	s_cbranch_execz .LBB268_355
.LBB268_354:                            ;   in Loop: Header=BB268_292 Depth=1
	v_bfe_u32 v41, v23, 16, 3
	v_ffbh_u32_e32 v42, v41
	v_min_u32_e32 v45, 32, v42
	v_subrev_u32_e32 v42, 28, v45
	v_bfe_u32 v44, v23, 19, 4
	v_lshlrev_b64 v[42:43], v42, v[10:11]
	v_sub_u32_e32 v43, 29, v45
	v_cmp_eq_u32_e64 s[2:3], 0, v44
	v_and_b32_e32 v42, 7, v42
	v_lshlrev_b32_e32 v10, 8, v10
	v_cndmask_b32_e64 v43, v44, v43, s[2:3]
	v_cndmask_b32_e64 v41, v41, v42, s[2:3]
	v_lshl_add_u32 v42, v43, 10, v33
	v_and_or_b32 v10, v10, s38, v42
	v_lshl_or_b32 v10, v41, 7, v10
	v_cvt_f32_f16_e32 v41, v10
.LBB268_355:                            ;   in Loop: Header=BB268_292 Depth=1
	s_or_b64 exec, exec, s[18:19]
	v_lshrrev_b32_e32 v10, 24, v23
	v_cmp_lt_i16_e64 s[2:3], s36, v10
	s_mov_b64 s[18:19], 0
                                        ; implicit-def: $sgpr24
	s_and_saveexec_b64 s[20:21], s[2:3]
	s_xor_b64 s[20:21], exec, s[20:21]
	s_cbranch_execnz .LBB268_490
; %bb.356:                              ;   in Loop: Header=BB268_292 Depth=1
	s_or_saveexec_b64 s[20:21], s[20:21]
	v_mov_b32_e32 v42, s24
	s_xor_b64 exec, exec, s[20:21]
	s_cbranch_execnz .LBB268_493
.LBB268_357:                            ;   in Loop: Header=BB268_292 Depth=1
	s_or_b64 exec, exec, s[20:21]
	s_and_saveexec_b64 s[20:21], s[18:19]
	s_cbranch_execz .LBB268_359
.LBB268_358:                            ;   in Loop: Header=BB268_292 Depth=1
	v_bfe_u32 v44, v23, 24, 3
	v_ffbh_u32_e32 v42, v44
	v_min_u32_e32 v45, 32, v42
	v_subrev_u32_e32 v42, 28, v45
	v_bfe_u32 v23, v23, 27, 4
	v_lshlrev_b64 v[42:43], v42, v[10:11]
	v_sub_u32_e32 v43, 29, v45
	v_cmp_eq_u32_e64 s[2:3], 0, v23
	v_and_b32_e32 v42, 7, v42
	v_lshlrev_b32_e32 v10, 8, v10
	v_cndmask_b32_e64 v23, v23, v43, s[2:3]
	v_lshl_add_u32 v23, v23, 10, v33
	v_cndmask_b32_e64 v42, v44, v42, s[2:3]
	v_and_or_b32 v10, v10, s38, v23
	v_lshl_or_b32 v10, v42, 7, v10
	v_cvt_f32_f16_e32 v42, v10
.LBB268_359:                            ;   in Loop: Header=BB268_292 Depth=1
	s_or_b64 exec, exec, s[20:21]
	s_waitcnt vmcnt(0)
	v_pk_mul_f32 v[26:27], v[20:21], v[26:27] op_sel_hi:[0,1]
	v_pk_mul_f32 v[24:25], v[20:21], v[24:25] op_sel_hi:[0,1]
	v_cvt_f16_f32_e32 v10, v27
	v_cvt_f16_f32_e32 v23, v26
	;; [unrolled: 1-line block ×4, first 2 shown]
	v_fma_mixlo_f16 v22, v20, v22, 0
	v_pack_b32_f16 v23, v23, v10
	v_pack_b32_f16 v24, v24, v25
	v_perm_b32 v10, v24, v23, s40
	v_perm_b32 v23, v24, v23, s41
	v_fma_mixlo_f16 v24, v20, v40, 0
	v_lshlrev_b32_e32 v24, 16, v24
	v_or_b32_sdwa v22, v24, v22 dst_sel:DWORD dst_unused:UNUSED_PAD src0_sel:DWORD src1_sel:WORD_0
	v_fma_mixlo_f16 v24, v20, v41, 0
	v_fma_mixlo_f16 v20, v20, v42, 0
	v_lshlrev_b32_e32 v20, 16, v20
	v_or_b32_sdwa v20, v20, v24 dst_sel:DWORD dst_unused:UNUSED_PAD src0_sel:DWORD src1_sel:WORD_0
	s_and_saveexec_b64 s[18:19], s[0:1]
	s_cbranch_execz .LBB268_361
; %bb.360:                              ;   in Loop: Header=BB268_292 Depth=1
	v_add_u32_e32 v25, 1, v34
	v_lshrrev_b32_e32 v26, 16, v23
	v_cmp_gt_i32_e64 s[2:3], s34, v25
	v_lshrrev_b32_e32 v27, 16, v10
	v_lshrrev_b32_e32 v20, 16, v20
	v_cndmask_b32_e64 v25, 0, v26, s[2:3]
	v_cmp_gt_i32_e64 s[2:3], s33, v34
	v_or_b32_e32 v26, 2, v34
	s_nop 0
	v_cndmask_b32_e64 v23, 0, v23, s[2:3]
	v_perm_b32 v23, v25, v23, s43
	v_or_b32_e32 v25, 3, v34
	v_cmp_gt_i32_e64 s[2:3], s34, v25
	s_nop 1
	v_cndmask_b32_e64 v25, 0, v27, s[2:3]
	v_cmp_gt_i32_e64 s[2:3], s33, v26
	v_or_b32_e32 v26, 4, v34
	v_lshrrev_b32_e32 v27, 16, v22
	v_cndmask_b32_e64 v10, 0, v10, s[2:3]
	v_perm_b32 v10, v25, v10, s43
	v_or_b32_e32 v25, 5, v34
	v_cmp_gt_i32_e64 s[2:3], s34, v25
	s_nop 1
	v_cndmask_b32_e64 v25, 0, v27, s[2:3]
	v_cmp_gt_i32_e64 s[2:3], s33, v26
	v_or_b32_e32 v26, 6, v34
	s_nop 0
	v_cndmask_b32_e64 v22, 0, v22, s[2:3]
	v_perm_b32 v22, v25, v22, s43
	v_or_b32_e32 v25, 7, v34
	v_cmp_gt_i32_e64 s[2:3], s34, v25
	s_nop 1
	v_cndmask_b32_e64 v20, 0, v20, s[2:3]
	v_cmp_gt_i32_e64 s[2:3], s33, v26
	s_nop 1
	v_cndmask_b32_e64 v24, 0, v24, s[2:3]
	v_perm_b32 v20, v20, v24, s43
.LBB268_361:                            ;   in Loop: Header=BB268_292 Depth=1
	s_or_b64 exec, exec, s[18:19]
	;;#ASMSTART
	v_pk_mul_f16 v23, v38, v23;

	;;#ASMEND
	;;#ASMSTART
	v_pk_mul_f16 v10, v37, v10;

	;;#ASMEND
	;; [unrolled: 4-line block ×4, first 2 shown]
	s_mov_b64 s[2:3], 0
	;;#ASMSTART
	v_pk_add_f16 v10, v23, v10;

	;;#ASMEND
                                        ; implicit-def: $sgpr22
	s_nop 0
	;;#ASMSTART
	v_pk_add_f16 v10, v10, v22;

	;;#ASMEND
	s_nop 0
	;;#ASMSTART
	v_pk_add_f16 v10, v10, v20;

	;;#ASMEND
	s_nop 0
	v_lshrrev_b32_e32 v20, 16, v10
	v_and_b32_e32 v10, 0xffff, v10
	;;#ASMSTART
	v_cvt_f32_f16 v26, v10;
	;;#ASMEND
	;;#ASMSTART
	v_cvt_f32_f16 v27, v20;
	;;#ASMEND
	global_load_dwordx2 v[22:23], v[18:19], off offset:1024
	global_load_dword v20, v11, s[14:15]
	s_waitcnt vmcnt(1)
	v_cmp_gt_i16_sdwa s[18:19], v22, s36 src0_sel:BYTE_0 src1_sel:DWORD
	s_and_saveexec_b64 s[20:21], s[18:19]
	s_xor_b64 s[18:19], exec, s[20:21]
	s_cbranch_execnz .LBB268_494
; %bb.362:                              ;   in Loop: Header=BB268_292 Depth=1
	s_or_saveexec_b64 s[18:19], s[18:19]
	v_mov_b32_e32 v18, s22
	s_xor_b64 exec, exec, s[18:19]
	s_cbranch_execnz .LBB268_497
.LBB268_363:                            ;   in Loop: Header=BB268_292 Depth=1
	s_or_b64 exec, exec, s[18:19]
	s_and_saveexec_b64 s[18:19], s[2:3]
	s_cbranch_execz .LBB268_365
.LBB268_364:                            ;   in Loop: Header=BB268_292 Depth=1
	v_and_b32_e32 v10, 7, v22
	v_ffbh_u32_e32 v10, v10
	v_bfe_u32 v18, v22, 3, 4
	v_min_u32_e32 v10, 32, v10
	v_subrev_u32_e32 v19, 28, v10
	v_sub_u32_e32 v10, 29, v10
	v_cmp_eq_u32_e64 s[2:3], 0, v18
	s_nop 1
	v_cndmask_b32_e64 v10, v18, v10, s[2:3]
	v_cndmask_b32_e64 v18, 0, v19, s[2:3]
	v_lshlrev_b64 v[18:19], v18, v[22:23]
	v_lshlrev_b32_e32 v19, 8, v22
	v_lshl_add_u32 v10, v10, 10, v33
	v_lshlrev_b32_e32 v18, 7, v18
	v_and_or_b32 v10, v19, s38, v10
	v_and_or_b32 v10, v18, s39, v10
	v_cvt_f32_f16_e32 v18, v10
.LBB268_365:                            ;   in Loop: Header=BB268_292 Depth=1
	s_or_b64 exec, exec, s[18:19]
	v_lshrrev_b16_e32 v10, 8, v22
	v_cmp_lt_i16_e64 s[2:3], s36, v10
	s_mov_b64 s[18:19], 0
                                        ; implicit-def: $sgpr24
	s_and_saveexec_b64 s[20:21], s[2:3]
	s_xor_b64 s[20:21], exec, s[20:21]
	s_cbranch_execnz .LBB268_498
; %bb.366:                              ;   in Loop: Header=BB268_292 Depth=1
	s_or_saveexec_b64 s[20:21], s[20:21]
	v_mov_b32_e32 v24, s24
	s_xor_b64 exec, exec, s[20:21]
	s_cbranch_execnz .LBB268_501
.LBB268_367:                            ;   in Loop: Header=BB268_292 Depth=1
	s_or_b64 exec, exec, s[20:21]
	s_and_saveexec_b64 s[20:21], s[18:19]
	s_cbranch_execz .LBB268_369
.LBB268_368:                            ;   in Loop: Header=BB268_292 Depth=1
	v_and_b32_e32 v19, 7, v10
	v_ffbh_u32_e32 v24, v19
	v_min_u32_e32 v41, 32, v24
	v_subrev_u32_e32 v24, 28, v41
	v_bfe_u32 v40, v10, 3, 4
	v_lshlrev_b64 v[24:25], v24, v[10:11]
	v_sub_u32_e32 v25, 29, v41
	v_cmp_eq_u32_e64 s[2:3], 0, v40
	v_and_b32_e32 v24, 7, v24
	v_lshlrev_b32_e32 v10, 8, v10
	v_cndmask_b32_e64 v25, v40, v25, s[2:3]
	v_cndmask_b32_e64 v19, v19, v24, s[2:3]
	v_lshl_add_u32 v24, v25, 10, v33
	v_and_or_b32 v10, v10, s38, v24
	v_lshl_or_b32 v10, v19, 7, v10
	v_cvt_f32_f16_e32 v24, v10
.LBB268_369:                            ;   in Loop: Header=BB268_292 Depth=1
	s_or_b64 exec, exec, s[20:21]
	v_lshrrev_b32_e32 v10, 16, v22
	v_cmp_gt_i16_sdwa s[18:19], v10, s36 src0_sel:BYTE_0 src1_sel:DWORD
	s_mov_b64 s[2:3], 0
                                        ; implicit-def: $sgpr22
	s_and_saveexec_b64 s[20:21], s[18:19]
	s_xor_b64 s[18:19], exec, s[20:21]
	s_cbranch_execnz .LBB268_502
; %bb.370:                              ;   in Loop: Header=BB268_292 Depth=1
	s_or_saveexec_b64 s[18:19], s[18:19]
	v_mov_b32_e32 v19, s22
	s_xor_b64 exec, exec, s[18:19]
	s_cbranch_execnz .LBB268_505
.LBB268_371:                            ;   in Loop: Header=BB268_292 Depth=1
	s_or_b64 exec, exec, s[18:19]
	s_and_saveexec_b64 s[18:19], s[2:3]
	s_cbranch_execz .LBB268_373
.LBB268_372:                            ;   in Loop: Header=BB268_292 Depth=1
	v_bfe_u32 v19, v22, 16, 3
	v_ffbh_u32_e32 v40, v19
	v_min_u32_e32 v42, 32, v40
	v_subrev_u32_e32 v40, 28, v42
	v_bfe_u32 v25, v22, 19, 4
	v_lshlrev_b64 v[40:41], v40, v[10:11]
	v_sub_u32_e32 v41, 29, v42
	v_cmp_eq_u32_e64 s[2:3], 0, v25
	v_and_b32_e32 v40, 7, v40
	v_lshlrev_b32_e32 v10, 8, v10
	v_cndmask_b32_e64 v25, v25, v41, s[2:3]
	v_lshl_add_u32 v25, v25, 10, v33
	v_cndmask_b32_e64 v19, v19, v40, s[2:3]
	v_and_or_b32 v10, v10, s38, v25
	v_lshl_or_b32 v10, v19, 7, v10
	v_cvt_f32_f16_e32 v19, v10
.LBB268_373:                            ;   in Loop: Header=BB268_292 Depth=1
	s_or_b64 exec, exec, s[18:19]
	v_lshrrev_b32_e32 v10, 24, v22
	v_cmp_lt_i16_e64 s[2:3], s36, v10
	s_mov_b64 s[18:19], 0
                                        ; implicit-def: $sgpr24
	s_and_saveexec_b64 s[20:21], s[2:3]
	s_xor_b64 s[20:21], exec, s[20:21]
	s_cbranch_execnz .LBB268_506
; %bb.374:                              ;   in Loop: Header=BB268_292 Depth=1
	s_or_saveexec_b64 s[20:21], s[20:21]
	v_mov_b32_e32 v25, s24
	s_xor_b64 exec, exec, s[20:21]
	s_cbranch_execnz .LBB268_509
.LBB268_375:                            ;   in Loop: Header=BB268_292 Depth=1
	s_or_b64 exec, exec, s[20:21]
	s_and_saveexec_b64 s[20:21], s[18:19]
	s_cbranch_execz .LBB268_377
.LBB268_376:                            ;   in Loop: Header=BB268_292 Depth=1
	v_bfe_u32 v25, v22, 24, 3
	v_ffbh_u32_e32 v40, v25
	v_min_u32_e32 v42, 32, v40
	v_subrev_u32_e32 v40, 28, v42
	v_bfe_u32 v22, v22, 27, 4
	v_lshlrev_b64 v[40:41], v40, v[10:11]
	v_sub_u32_e32 v41, 29, v42
	v_cmp_eq_u32_e64 s[2:3], 0, v22
	v_and_b32_e32 v40, 7, v40
	v_lshlrev_b32_e32 v10, 8, v10
	v_cndmask_b32_e64 v22, v22, v41, s[2:3]
	v_lshl_add_u32 v22, v22, 10, v33
	v_cndmask_b32_e64 v25, v25, v40, s[2:3]
	v_and_or_b32 v10, v10, s38, v22
	v_lshl_or_b32 v10, v25, 7, v10
	v_cvt_f32_f16_e32 v25, v10
.LBB268_377:                            ;   in Loop: Header=BB268_292 Depth=1
	s_or_b64 exec, exec, s[20:21]
	v_cmp_gt_i16_sdwa s[18:19], v23, s36 src0_sel:BYTE_0 src1_sel:DWORD
	s_mov_b64 s[2:3], 0
                                        ; implicit-def: $sgpr22
	s_and_saveexec_b64 s[20:21], s[18:19]
	s_xor_b64 s[18:19], exec, s[20:21]
	s_cbranch_execnz .LBB268_510
; %bb.378:                              ;   in Loop: Header=BB268_292 Depth=1
	s_or_saveexec_b64 s[18:19], s[18:19]
	v_mov_b32_e32 v22, s22
	s_xor_b64 exec, exec, s[18:19]
	s_cbranch_execnz .LBB268_513
.LBB268_379:                            ;   in Loop: Header=BB268_292 Depth=1
	s_or_b64 exec, exec, s[18:19]
	v_mov_b32_e32 v10, v23
	s_and_saveexec_b64 s[18:19], s[2:3]
	s_cbranch_execz .LBB268_381
.LBB268_380:                            ;   in Loop: Header=BB268_292 Depth=1
	v_and_b32_e32 v22, 7, v23
	v_ffbh_u32_e32 v22, v22
	v_bfe_u32 v40, v23, 3, 4
	v_min_u32_e32 v22, 32, v22
	v_subrev_u32_e32 v41, 28, v22
	v_sub_u32_e32 v22, 29, v22
	v_cmp_eq_u32_e64 s[2:3], 0, v40
	s_nop 1
	v_cndmask_b32_e64 v22, v40, v22, s[2:3]
	v_cndmask_b32_e64 v40, 0, v41, s[2:3]
	v_lshlrev_b64 v[40:41], v40, v[10:11]
	v_lshlrev_b32_e32 v41, 8, v23
	v_lshl_add_u32 v22, v22, 10, v33
	v_lshlrev_b32_e32 v40, 7, v40
	v_and_or_b32 v22, v41, s38, v22
	v_and_or_b32 v22, v40, s39, v22
	v_cvt_f32_f16_e32 v22, v22
.LBB268_381:                            ;   in Loop: Header=BB268_292 Depth=1
	s_or_b64 exec, exec, s[18:19]
	v_lshrrev_b16_e32 v10, 8, v10
	v_cmp_lt_i16_e64 s[2:3], s36, v10
	s_mov_b64 s[18:19], 0
                                        ; implicit-def: $sgpr24
	s_and_saveexec_b64 s[20:21], s[2:3]
	s_xor_b64 s[20:21], exec, s[20:21]
	s_cbranch_execnz .LBB268_514
; %bb.382:                              ;   in Loop: Header=BB268_292 Depth=1
	s_or_saveexec_b64 s[20:21], s[20:21]
	v_mov_b32_e32 v40, s24
	s_xor_b64 exec, exec, s[20:21]
	s_cbranch_execnz .LBB268_517
.LBB268_383:                            ;   in Loop: Header=BB268_292 Depth=1
	s_or_b64 exec, exec, s[20:21]
	s_and_saveexec_b64 s[20:21], s[18:19]
	s_cbranch_execz .LBB268_385
.LBB268_384:                            ;   in Loop: Header=BB268_292 Depth=1
	v_and_b32_e32 v42, 7, v10
	v_ffbh_u32_e32 v40, v42
	v_min_u32_e32 v44, 32, v40
	v_subrev_u32_e32 v40, 28, v44
	v_bfe_u32 v43, v10, 3, 4
	v_lshlrev_b64 v[40:41], v40, v[10:11]
	v_sub_u32_e32 v41, 29, v44
	v_cmp_eq_u32_e64 s[2:3], 0, v43
	v_and_b32_e32 v40, 7, v40
	v_lshlrev_b32_e32 v10, 8, v10
	v_cndmask_b32_e64 v41, v43, v41, s[2:3]
	v_lshl_add_u32 v41, v41, 10, v33
	v_cndmask_b32_e64 v40, v42, v40, s[2:3]
	v_and_or_b32 v10, v10, s38, v41
	v_lshl_or_b32 v10, v40, 7, v10
	v_cvt_f32_f16_e32 v40, v10
.LBB268_385:                            ;   in Loop: Header=BB268_292 Depth=1
	s_or_b64 exec, exec, s[20:21]
	v_lshrrev_b32_e32 v10, 16, v23
	v_cmp_gt_i16_sdwa s[18:19], v10, s36 src0_sel:BYTE_0 src1_sel:DWORD
	s_mov_b64 s[2:3], 0
                                        ; implicit-def: $sgpr22
	s_and_saveexec_b64 s[20:21], s[18:19]
	s_xor_b64 s[18:19], exec, s[20:21]
	s_cbranch_execnz .LBB268_518
; %bb.386:                              ;   in Loop: Header=BB268_292 Depth=1
	s_or_saveexec_b64 s[18:19], s[18:19]
	v_mov_b32_e32 v41, s22
	s_xor_b64 exec, exec, s[18:19]
	s_cbranch_execnz .LBB268_521
.LBB268_387:                            ;   in Loop: Header=BB268_292 Depth=1
	s_or_b64 exec, exec, s[18:19]
	s_and_saveexec_b64 s[18:19], s[2:3]
	s_cbranch_execz .LBB268_389
.LBB268_388:                            ;   in Loop: Header=BB268_292 Depth=1
	v_bfe_u32 v41, v23, 16, 3
	v_ffbh_u32_e32 v42, v41
	v_min_u32_e32 v45, 32, v42
	v_subrev_u32_e32 v42, 28, v45
	v_bfe_u32 v44, v23, 19, 4
	v_lshlrev_b64 v[42:43], v42, v[10:11]
	v_sub_u32_e32 v43, 29, v45
	v_cmp_eq_u32_e64 s[2:3], 0, v44
	v_and_b32_e32 v42, 7, v42
	v_lshlrev_b32_e32 v10, 8, v10
	v_cndmask_b32_e64 v43, v44, v43, s[2:3]
	v_cndmask_b32_e64 v41, v41, v42, s[2:3]
	v_lshl_add_u32 v42, v43, 10, v33
	v_and_or_b32 v10, v10, s38, v42
	v_lshl_or_b32 v10, v41, 7, v10
	v_cvt_f32_f16_e32 v41, v10
.LBB268_389:                            ;   in Loop: Header=BB268_292 Depth=1
	s_or_b64 exec, exec, s[18:19]
	v_lshrrev_b32_e32 v10, 24, v23
	v_cmp_lt_i16_e64 s[2:3], s36, v10
	s_mov_b64 s[18:19], 0
                                        ; implicit-def: $sgpr24
	s_and_saveexec_b64 s[20:21], s[2:3]
	s_xor_b64 s[20:21], exec, s[20:21]
	s_cbranch_execnz .LBB268_522
; %bb.390:                              ;   in Loop: Header=BB268_292 Depth=1
	s_or_saveexec_b64 s[20:21], s[20:21]
	v_mov_b32_e32 v42, s24
	s_xor_b64 exec, exec, s[20:21]
	s_cbranch_execnz .LBB268_525
.LBB268_391:                            ;   in Loop: Header=BB268_292 Depth=1
	s_or_b64 exec, exec, s[20:21]
	s_and_saveexec_b64 s[20:21], s[18:19]
	s_cbranch_execz .LBB268_393
.LBB268_392:                            ;   in Loop: Header=BB268_292 Depth=1
	v_bfe_u32 v44, v23, 24, 3
	v_ffbh_u32_e32 v42, v44
	v_min_u32_e32 v45, 32, v42
	v_subrev_u32_e32 v42, 28, v45
	v_bfe_u32 v23, v23, 27, 4
	v_lshlrev_b64 v[42:43], v42, v[10:11]
	v_sub_u32_e32 v43, 29, v45
	v_cmp_eq_u32_e64 s[2:3], 0, v23
	v_and_b32_e32 v42, 7, v42
	v_lshlrev_b32_e32 v10, 8, v10
	v_cndmask_b32_e64 v23, v23, v43, s[2:3]
	v_lshl_add_u32 v23, v23, 10, v33
	v_cndmask_b32_e64 v42, v44, v42, s[2:3]
	v_and_or_b32 v10, v10, s38, v23
	v_lshl_or_b32 v10, v42, 7, v10
	v_cvt_f32_f16_e32 v42, v10
.LBB268_393:                            ;   in Loop: Header=BB268_292 Depth=1
	s_or_b64 exec, exec, s[20:21]
	s_waitcnt vmcnt(0)
	v_pk_mul_f32 v[18:19], v[20:21], v[18:19] op_sel_hi:[0,1]
	v_cvt_f16_f32_e32 v19, v19
	v_cvt_f16_f32_e32 v18, v18
	v_pk_mul_f32 v[24:25], v[20:21], v[24:25] op_sel_hi:[0,1]
	v_cvt_f16_f32_e32 v10, v25
	v_cvt_f16_f32_e32 v23, v24
	v_pack_b32_f16 v18, v18, v19
	v_fma_mixlo_f16 v19, v20, v40, 0
	v_lshlrev_b32_e32 v19, 16, v19
	v_fma_mixlo_f16 v22, v20, v22, 0
	v_or_b32_sdwa v19, v19, v22 dst_sel:DWORD dst_unused:UNUSED_PAD src0_sel:DWORD src1_sel:WORD_0
	v_fma_mixlo_f16 v22, v20, v41, 0
	v_fma_mixlo_f16 v20, v20, v42, 0
	v_pack_b32_f16 v23, v23, v10
	v_lshlrev_b32_e32 v20, 16, v20
	v_perm_b32 v10, v18, v23, s40
	v_perm_b32 v18, v18, v23, s41
	v_or_b32_sdwa v20, v20, v22 dst_sel:DWORD dst_unused:UNUSED_PAD src0_sel:DWORD src1_sel:WORD_0
	s_and_saveexec_b64 s[18:19], s[0:1]
	s_cbranch_execz .LBB268_395
; %bb.394:                              ;   in Loop: Header=BB268_292 Depth=1
	v_add_u32_e32 v23, 1, v34
	v_lshrrev_b32_e32 v24, 16, v18
	v_cmp_gt_i32_e64 s[2:3], s34, v23
	v_lshrrev_b32_e32 v25, 16, v10
	v_lshrrev_b32_e32 v20, 16, v20
	v_cndmask_b32_e64 v23, 0, v24, s[2:3]
	v_cmp_gt_i32_e64 s[2:3], s33, v34
	v_or_b32_e32 v24, 2, v34
	s_nop 0
	v_cndmask_b32_e64 v18, 0, v18, s[2:3]
	v_perm_b32 v18, v23, v18, s43
	v_or_b32_e32 v23, 3, v34
	v_cmp_gt_i32_e64 s[2:3], s34, v23
	s_nop 1
	v_cndmask_b32_e64 v23, 0, v25, s[2:3]
	v_cmp_gt_i32_e64 s[2:3], s33, v24
	v_or_b32_e32 v24, 4, v34
	v_lshrrev_b32_e32 v25, 16, v19
	v_cndmask_b32_e64 v10, 0, v10, s[2:3]
	v_perm_b32 v10, v23, v10, s43
	v_or_b32_e32 v23, 5, v34
	v_cmp_gt_i32_e64 s[2:3], s34, v23
	s_nop 1
	v_cndmask_b32_e64 v23, 0, v25, s[2:3]
	v_cmp_gt_i32_e64 s[2:3], s33, v24
	v_or_b32_e32 v24, 6, v34
	s_nop 0
	v_cndmask_b32_e64 v19, 0, v19, s[2:3]
	v_perm_b32 v19, v23, v19, s43
	v_or_b32_e32 v23, 7, v34
	v_cmp_gt_i32_e64 s[2:3], s34, v23
	s_nop 1
	v_cndmask_b32_e64 v20, 0, v20, s[2:3]
	v_cmp_gt_i32_e64 s[2:3], s33, v24
	s_nop 1
	v_cndmask_b32_e64 v22, 0, v22, s[2:3]
	v_perm_b32 v20, v20, v22, s43
.LBB268_395:                            ;   in Loop: Header=BB268_292 Depth=1
	s_or_b64 exec, exec, s[18:19]
	;;#ASMSTART
	v_pk_mul_f16 v18, v38, v18;

	;;#ASMEND
	;;#ASMSTART
	v_pk_mul_f16 v10, v37, v10;

	;;#ASMEND
	;; [unrolled: 4-line block ×4, first 2 shown]
	v_add_f32_e32 v21, v21, v39
	;;#ASMSTART
	v_pk_add_f16 v10, v18, v10;

	;;#ASMEND
	v_add_f32_e32 v2, v2, v21
	;;#ASMSTART
	v_pk_add_f16 v10, v10, v19;

	;;#ASMEND
	;; [unrolled: 5-line block ×3, first 2 shown]
	v_add_f32_e32 v3, v3, v21
	v_lshrrev_b32_e32 v18, 16, v10
	v_and_b32_e32 v10, 0xffff, v10
	;;#ASMSTART
	v_cvt_f32_f16 v10, v10;
	;;#ASMEND
	;;#ASMSTART
	v_cvt_f32_f16 v18, v18;
	;;#ASMEND
	s_nop 0
	v_add_f32_e32 v10, v10, v18
	v_add_f32_e32 v4, v4, v10
	s_and_saveexec_b64 s[18:19], vcc
	s_cbranch_execz .LBB268_290
; %bb.396:                              ;   in Loop: Header=BB268_292 Depth=1
	v_lshl_add_u64 v[20:21], v[16:17], 0, v[12:13]
	global_load_dwordx2 v[18:19], v[20:21], off
	global_load_dword v16, v11, s[14:15]
	s_mov_b64 s[2:3], 0
                                        ; implicit-def: $sgpr24
	s_waitcnt vmcnt(1)
	v_cmp_gt_i16_sdwa s[20:21], v18, s36 src0_sel:BYTE_0 src1_sel:DWORD
	s_and_saveexec_b64 s[22:23], s[20:21]
	s_xor_b64 s[20:21], exec, s[22:23]
	s_cbranch_execnz .LBB268_526
; %bb.397:                              ;   in Loop: Header=BB268_292 Depth=1
	s_or_saveexec_b64 s[20:21], s[20:21]
	v_mov_b32_e32 v20, s24
	s_xor_b64 exec, exec, s[20:21]
	s_cbranch_execnz .LBB268_529
.LBB268_398:                            ;   in Loop: Header=BB268_292 Depth=1
	s_or_b64 exec, exec, s[20:21]
	s_and_saveexec_b64 s[20:21], s[2:3]
	s_cbranch_execz .LBB268_400
.LBB268_399:                            ;   in Loop: Header=BB268_292 Depth=1
	v_and_b32_e32 v10, 7, v18
	v_ffbh_u32_e32 v10, v10
	v_bfe_u32 v17, v18, 3, 4
	v_min_u32_e32 v10, 32, v10
	v_subrev_u32_e32 v20, 28, v10
	v_sub_u32_e32 v10, 29, v10
	v_cmp_eq_u32_e64 s[2:3], 0, v17
	s_nop 1
	v_cndmask_b32_e64 v10, v17, v10, s[2:3]
	v_cndmask_b32_e64 v17, 0, v20, s[2:3]
	v_lshlrev_b64 v[20:21], v17, v[18:19]
	v_lshlrev_b32_e32 v17, 7, v20
	v_lshlrev_b32_e32 v20, 8, v18
	v_lshl_add_u32 v10, v10, 10, v33
	v_and_or_b32 v10, v20, s38, v10
	v_and_or_b32 v10, v17, s39, v10
	v_cvt_f32_f16_e32 v20, v10
.LBB268_400:                            ;   in Loop: Header=BB268_292 Depth=1
	s_or_b64 exec, exec, s[20:21]
	v_lshrrev_b16_e32 v10, 8, v18
	v_cmp_lt_i16_e64 s[2:3], s36, v10
	s_mov_b64 s[20:21], 0
                                        ; implicit-def: $sgpr44
	s_and_saveexec_b64 s[22:23], s[2:3]
	s_xor_b64 s[22:23], exec, s[22:23]
	s_cbranch_execnz .LBB268_530
; %bb.401:                              ;   in Loop: Header=BB268_292 Depth=1
	s_or_saveexec_b64 s[22:23], s[22:23]
	v_mov_b32_e32 v22, s44
	s_xor_b64 exec, exec, s[22:23]
	s_cbranch_execnz .LBB268_533
.LBB268_402:                            ;   in Loop: Header=BB268_292 Depth=1
	s_or_b64 exec, exec, s[22:23]
	s_and_saveexec_b64 s[22:23], s[20:21]
	s_cbranch_execz .LBB268_404
.LBB268_403:                            ;   in Loop: Header=BB268_292 Depth=1
	v_and_b32_e32 v17, 7, v10
	v_ffbh_u32_e32 v22, v17
	v_min_u32_e32 v24, 32, v22
	v_subrev_u32_e32 v22, 28, v24
	v_bfe_u32 v21, v10, 3, 4
	v_lshlrev_b64 v[22:23], v22, v[10:11]
	v_sub_u32_e32 v23, 29, v24
	v_cmp_eq_u32_e64 s[2:3], 0, v21
	v_and_b32_e32 v22, 7, v22
	v_lshlrev_b32_e32 v10, 8, v10
	v_cndmask_b32_e64 v21, v21, v23, s[2:3]
	v_lshl_add_u32 v21, v21, 10, v33
	v_cndmask_b32_e64 v17, v17, v22, s[2:3]
	v_and_or_b32 v10, v10, s38, v21
	v_lshl_or_b32 v10, v17, 7, v10
	v_cvt_f32_f16_e32 v22, v10
.LBB268_404:                            ;   in Loop: Header=BB268_292 Depth=1
	s_or_b64 exec, exec, s[22:23]
	v_lshrrev_b32_e32 v10, 16, v18
	v_cmp_gt_i16_sdwa s[20:21], v10, s36 src0_sel:BYTE_0 src1_sel:DWORD
	s_mov_b64 s[2:3], 0
                                        ; implicit-def: $sgpr24
	s_and_saveexec_b64 s[22:23], s[20:21]
	s_xor_b64 s[20:21], exec, s[22:23]
	s_cbranch_execnz .LBB268_534
; %bb.405:                              ;   in Loop: Header=BB268_292 Depth=1
	s_or_saveexec_b64 s[20:21], s[20:21]
	v_mov_b32_e32 v21, s24
	s_xor_b64 exec, exec, s[20:21]
	s_cbranch_execnz .LBB268_537
.LBB268_406:                            ;   in Loop: Header=BB268_292 Depth=1
	s_or_b64 exec, exec, s[20:21]
	s_and_saveexec_b64 s[20:21], s[2:3]
	s_cbranch_execz .LBB268_408
.LBB268_407:                            ;   in Loop: Header=BB268_292 Depth=1
	v_bfe_u32 v17, v18, 16, 3
	v_ffbh_u32_e32 v23, v17
	v_bfe_u32 v21, v18, 19, 4
	v_min_u32_e32 v23, 32, v23
	v_subrev_u32_e32 v24, 28, v23
	v_sub_u32_e32 v23, 29, v23
	v_cmp_eq_u32_e64 s[2:3], 0, v21
	v_lshlrev_b64 v[24:25], v24, v[10:11]
	v_and_b32_e32 v24, 7, v24
	v_cndmask_b32_e64 v21, v21, v23, s[2:3]
	v_lshlrev_b32_e32 v10, 8, v10
	v_lshl_add_u32 v21, v21, 10, v33
	v_cndmask_b32_e64 v17, v17, v24, s[2:3]
	v_and_or_b32 v10, v10, s38, v21
	v_lshl_or_b32 v10, v17, 7, v10
	v_cvt_f32_f16_e32 v21, v10
.LBB268_408:                            ;   in Loop: Header=BB268_292 Depth=1
	s_or_b64 exec, exec, s[20:21]
	v_lshrrev_b32_e32 v10, 24, v18
	v_cmp_lt_i16_e64 s[2:3], s36, v10
	s_mov_b64 s[20:21], 0
                                        ; implicit-def: $sgpr44
	s_and_saveexec_b64 s[22:23], s[2:3]
	s_xor_b64 s[22:23], exec, s[22:23]
	s_cbranch_execnz .LBB268_538
; %bb.409:                              ;   in Loop: Header=BB268_292 Depth=1
	s_or_saveexec_b64 s[22:23], s[22:23]
	v_mov_b32_e32 v23, s44
	s_xor_b64 exec, exec, s[22:23]
	s_cbranch_execnz .LBB268_541
.LBB268_410:                            ;   in Loop: Header=BB268_292 Depth=1
	s_or_b64 exec, exec, s[22:23]
	s_and_saveexec_b64 s[22:23], s[20:21]
	s_cbranch_execz .LBB268_412
.LBB268_411:                            ;   in Loop: Header=BB268_292 Depth=1
	v_bfe_u32 v17, v18, 24, 3
	v_ffbh_u32_e32 v23, v17
	v_bfe_u32 v18, v18, 27, 4
	v_min_u32_e32 v23, 32, v23
	v_subrev_u32_e32 v24, 28, v23
	v_sub_u32_e32 v23, 29, v23
	v_cmp_eq_u32_e64 s[2:3], 0, v18
	v_lshlrev_b64 v[24:25], v24, v[10:11]
	v_and_b32_e32 v24, 7, v24
	v_cndmask_b32_e64 v18, v18, v23, s[2:3]
	v_lshlrev_b32_e32 v10, 8, v10
	v_lshl_add_u32 v18, v18, 10, v33
	v_cndmask_b32_e64 v17, v17, v24, s[2:3]
	v_and_or_b32 v10, v10, s38, v18
	v_lshl_or_b32 v10, v17, 7, v10
	v_cvt_f32_f16_e32 v23, v10
.LBB268_412:                            ;   in Loop: Header=BB268_292 Depth=1
	s_or_b64 exec, exec, s[22:23]
	v_cmp_gt_i16_sdwa s[20:21], v19, s36 src0_sel:BYTE_0 src1_sel:DWORD
	s_mov_b64 s[2:3], 0
                                        ; implicit-def: $sgpr24
	s_and_saveexec_b64 s[22:23], s[20:21]
	s_xor_b64 s[20:21], exec, s[22:23]
	s_cbranch_execnz .LBB268_542
; %bb.413:                              ;   in Loop: Header=BB268_292 Depth=1
	s_or_saveexec_b64 s[20:21], s[20:21]
	v_mov_b32_e32 v17, s24
	s_xor_b64 exec, exec, s[20:21]
	s_cbranch_execnz .LBB268_545
.LBB268_414:                            ;   in Loop: Header=BB268_292 Depth=1
	s_or_b64 exec, exec, s[20:21]
	v_mov_b32_e32 v10, v19
	s_and_saveexec_b64 s[20:21], s[2:3]
	s_cbranch_execz .LBB268_416
.LBB268_415:                            ;   in Loop: Header=BB268_292 Depth=1
	v_and_b32_e32 v17, 7, v19
	v_ffbh_u32_e32 v17, v17
	v_bfe_u32 v18, v19, 3, 4
	v_min_u32_e32 v17, 32, v17
	v_subrev_u32_e32 v24, 28, v17
	v_sub_u32_e32 v17, 29, v17
	v_cmp_eq_u32_e64 s[2:3], 0, v18
	s_nop 1
	v_cndmask_b32_e64 v17, v18, v17, s[2:3]
	v_cndmask_b32_e64 v18, 0, v24, s[2:3]
	v_lshlrev_b64 v[24:25], v18, v[10:11]
	v_lshlrev_b32_e32 v18, 7, v24
	v_lshlrev_b32_e32 v24, 8, v19
	v_lshl_add_u32 v17, v17, 10, v33
	v_and_or_b32 v17, v24, s38, v17
	v_and_or_b32 v17, v18, s39, v17
	v_cvt_f32_f16_e32 v17, v17
.LBB268_416:                            ;   in Loop: Header=BB268_292 Depth=1
	s_or_b64 exec, exec, s[20:21]
	v_lshrrev_b16_e32 v10, 8, v10
	v_cmp_lt_i16_e64 s[2:3], s36, v10
	s_mov_b64 s[20:21], 0
                                        ; implicit-def: $sgpr44
	s_and_saveexec_b64 s[22:23], s[2:3]
	s_xor_b64 s[22:23], exec, s[22:23]
	s_cbranch_execnz .LBB268_546
; %bb.417:                              ;   in Loop: Header=BB268_292 Depth=1
	s_or_saveexec_b64 s[22:23], s[22:23]
	v_mov_b32_e32 v18, s44
	s_xor_b64 exec, exec, s[22:23]
	s_cbranch_execnz .LBB268_549
.LBB268_418:                            ;   in Loop: Header=BB268_292 Depth=1
	s_or_b64 exec, exec, s[22:23]
	s_and_saveexec_b64 s[22:23], s[20:21]
	s_cbranch_execz .LBB268_420
.LBB268_419:                            ;   in Loop: Header=BB268_292 Depth=1
	v_and_b32_e32 v18, 7, v10
	v_ffbh_u32_e32 v24, v18
	v_min_u32_e32 v27, 32, v24
	v_subrev_u32_e32 v24, 28, v27
	v_bfe_u32 v26, v10, 3, 4
	v_lshlrev_b64 v[24:25], v24, v[10:11]
	v_sub_u32_e32 v25, 29, v27
	v_cmp_eq_u32_e64 s[2:3], 0, v26
	v_and_b32_e32 v24, 7, v24
	v_lshlrev_b32_e32 v10, 8, v10
	v_cndmask_b32_e64 v25, v26, v25, s[2:3]
	v_cndmask_b32_e64 v18, v18, v24, s[2:3]
	v_lshl_add_u32 v24, v25, 10, v33
	v_and_or_b32 v10, v10, s38, v24
	v_lshl_or_b32 v10, v18, 7, v10
	v_cvt_f32_f16_e32 v18, v10
.LBB268_420:                            ;   in Loop: Header=BB268_292 Depth=1
	s_or_b64 exec, exec, s[22:23]
	v_lshrrev_b32_e32 v10, 16, v19
	v_cmp_gt_i16_sdwa s[20:21], v10, s36 src0_sel:BYTE_0 src1_sel:DWORD
	s_mov_b64 s[2:3], 0
                                        ; implicit-def: $sgpr24
	s_and_saveexec_b64 s[22:23], s[20:21]
	s_xor_b64 s[20:21], exec, s[22:23]
	s_cbranch_execnz .LBB268_550
; %bb.421:                              ;   in Loop: Header=BB268_292 Depth=1
	s_or_saveexec_b64 s[20:21], s[20:21]
	v_mov_b32_e32 v24, s24
	s_xor_b64 exec, exec, s[20:21]
	s_cbranch_execnz .LBB268_553
.LBB268_422:                            ;   in Loop: Header=BB268_292 Depth=1
	s_or_b64 exec, exec, s[20:21]
	s_and_saveexec_b64 s[20:21], s[2:3]
	s_cbranch_execz .LBB268_424
.LBB268_423:                            ;   in Loop: Header=BB268_292 Depth=1
	v_bfe_u32 v26, v19, 16, 3
	v_ffbh_u32_e32 v24, v26
	v_min_u32_e32 v39, 32, v24
	v_subrev_u32_e32 v24, 28, v39
	v_bfe_u32 v27, v19, 19, 4
	v_lshlrev_b64 v[24:25], v24, v[10:11]
	v_sub_u32_e32 v25, 29, v39
	v_cmp_eq_u32_e64 s[2:3], 0, v27
	v_and_b32_e32 v24, 7, v24
	v_lshlrev_b32_e32 v10, 8, v10
	v_cndmask_b32_e64 v25, v27, v25, s[2:3]
	v_lshl_add_u32 v25, v25, 10, v33
	v_cndmask_b32_e64 v24, v26, v24, s[2:3]
	v_and_or_b32 v10, v10, s38, v25
	v_lshl_or_b32 v10, v24, 7, v10
	v_cvt_f32_f16_e32 v24, v10
.LBB268_424:                            ;   in Loop: Header=BB268_292 Depth=1
	s_or_b64 exec, exec, s[20:21]
	v_lshrrev_b32_e32 v10, 24, v19
	v_cmp_lt_i16_e64 s[2:3], s36, v10
	s_mov_b64 s[20:21], 0
                                        ; implicit-def: $sgpr44
	s_and_saveexec_b64 s[22:23], s[2:3]
	s_xor_b64 s[22:23], exec, s[22:23]
	s_cbranch_execnz .LBB268_554
; %bb.425:                              ;   in Loop: Header=BB268_292 Depth=1
	s_or_saveexec_b64 s[22:23], s[22:23]
	v_mov_b32_e32 v25, s44
	s_xor_b64 exec, exec, s[22:23]
	s_cbranch_execnz .LBB268_557
.LBB268_426:                            ;   in Loop: Header=BB268_292 Depth=1
	s_or_b64 exec, exec, s[22:23]
	s_and_saveexec_b64 s[22:23], s[20:21]
	s_cbranch_execz .LBB268_428
.LBB268_427:                            ;   in Loop: Header=BB268_292 Depth=1
	v_bfe_u32 v25, v19, 24, 3
	v_ffbh_u32_e32 v26, v25
	v_min_u32_e32 v39, 32, v26
	v_subrev_u32_e32 v26, 28, v39
	v_bfe_u32 v19, v19, 27, 4
	v_lshlrev_b64 v[26:27], v26, v[10:11]
	v_sub_u32_e32 v27, 29, v39
	v_cmp_eq_u32_e64 s[2:3], 0, v19
	v_and_b32_e32 v26, 7, v26
	v_lshlrev_b32_e32 v10, 8, v10
	v_cndmask_b32_e64 v19, v19, v27, s[2:3]
	v_lshl_add_u32 v19, v19, 10, v33
	v_cndmask_b32_e64 v25, v25, v26, s[2:3]
	v_and_or_b32 v10, v10, s38, v19
	v_lshl_or_b32 v10, v25, 7, v10
	v_cvt_f32_f16_e32 v25, v10
.LBB268_428:                            ;   in Loop: Header=BB268_292 Depth=1
	s_or_b64 exec, exec, s[22:23]
	s_waitcnt vmcnt(0)
	v_pk_mul_f32 v[22:23], v[16:17], v[22:23] op_sel_hi:[0,1]
	v_pk_mul_f32 v[20:21], v[16:17], v[20:21] op_sel_hi:[0,1]
	v_cvt_f16_f32_e32 v10, v23
	v_cvt_f16_f32_e32 v19, v22
	;; [unrolled: 1-line block ×4, first 2 shown]
	v_fma_mixlo_f16 v18, v16, v18, 0
	v_lshlrev_b32_e32 v18, 16, v18
	v_fma_mixlo_f16 v17, v16, v17, 0
	v_or_b32_sdwa v17, v18, v17 dst_sel:DWORD dst_unused:UNUSED_PAD src0_sel:DWORD src1_sel:WORD_0
	v_fma_mixlo_f16 v18, v16, v24, 0
	v_fma_mixlo_f16 v16, v16, v25, 0
	v_pack_b32_f16 v19, v19, v10
	v_pack_b32_f16 v20, v20, v21
	v_lshlrev_b32_e32 v16, 16, v16
	v_perm_b32 v10, v20, v19, s40
	v_perm_b32 v19, v20, v19, s41
	v_or_b32_sdwa v16, v16, v18 dst_sel:DWORD dst_unused:UNUSED_PAD src0_sel:DWORD src1_sel:WORD_0
	s_and_saveexec_b64 s[2:3], s[0:1]
	s_cbranch_execz .LBB268_289
; %bb.429:                              ;   in Loop: Header=BB268_292 Depth=1
	v_add_u32_e32 v20, 1, v34
	v_lshrrev_b32_e32 v21, 16, v19
	v_cmp_gt_i32_e64 s[0:1], s34, v20
	v_lshrrev_b32_e32 v22, 16, v10
	v_lshrrev_b32_e32 v16, 16, v16
	v_cndmask_b32_e64 v20, 0, v21, s[0:1]
	v_cmp_gt_i32_e64 s[0:1], s33, v34
	v_or_b32_e32 v21, 2, v34
	s_nop 0
	v_cndmask_b32_e64 v19, 0, v19, s[0:1]
	v_perm_b32 v19, v20, v19, s43
	v_or_b32_e32 v20, 3, v34
	v_cmp_gt_i32_e64 s[0:1], s34, v20
	s_nop 1
	v_cndmask_b32_e64 v20, 0, v22, s[0:1]
	v_cmp_gt_i32_e64 s[0:1], s33, v21
	v_or_b32_e32 v21, 4, v34
	v_lshrrev_b32_e32 v22, 16, v17
	v_cndmask_b32_e64 v10, 0, v10, s[0:1]
	v_perm_b32 v10, v20, v10, s43
	v_or_b32_e32 v20, 5, v34
	v_cmp_gt_i32_e64 s[0:1], s34, v20
	s_nop 1
	v_cndmask_b32_e64 v20, 0, v22, s[0:1]
	v_cmp_gt_i32_e64 s[0:1], s33, v21
	v_or_b32_e32 v21, 6, v34
	s_nop 0
	v_cndmask_b32_e64 v17, 0, v17, s[0:1]
	v_perm_b32 v17, v20, v17, s43
	v_or_b32_e32 v20, 7, v34
	v_cmp_gt_i32_e64 s[0:1], s34, v20
	s_nop 1
	v_cndmask_b32_e64 v16, 0, v16, s[0:1]
	v_cmp_gt_i32_e64 s[0:1], s33, v21
	s_nop 1
	v_cndmask_b32_e64 v18, 0, v18, s[0:1]
	v_perm_b32 v16, v16, v18, s43
	s_branch .LBB268_289
.LBB268_430:                            ;   in Loop: Header=BB268_292 Depth=1
	v_cmp_eq_u16_sdwa s[22:23], v22, s37 src0_sel:BYTE_0 src1_sel:DWORD
	s_mov_b64 s[0:1], -1
                                        ; implicit-def: $sgpr20
	s_and_saveexec_b64 s[18:19], s[22:23]
; %bb.431:                              ;   in Loop: Header=BB268_292 Depth=1
	s_mov_b32 s20, 0x7fc02000
	s_xor_b64 s[0:1], exec, -1
; %bb.432:                              ;   in Loop: Header=BB268_292 Depth=1
	s_or_b64 exec, exec, s[18:19]
	s_and_b64 s[0:1], s[0:1], exec
	s_or_saveexec_b64 s[2:3], s[2:3]
	v_mov_b32_e32 v24, s20
	s_xor_b64 exec, exec, s[2:3]
	s_cbranch_execz .LBB268_295
.LBB268_433:                            ;   in Loop: Header=BB268_292 Depth=1
	v_cmp_ne_u16_sdwa s[18:19], v22, v11 src0_sel:BYTE_0 src1_sel:DWORD
	s_andn2_b64 s[0:1], s[0:1], exec
	s_and_b64 s[18:19], s[18:19], exec
	v_mov_b32_e32 v24, 0
	s_or_b64 s[0:1], s[0:1], s[18:19]
	s_or_b64 exec, exec, s[2:3]
	s_and_saveexec_b64 s[2:3], s[0:1]
	s_cbranch_execnz .LBB268_296
	s_branch .LBB268_297
.LBB268_434:                            ;   in Loop: Header=BB268_292 Depth=1
	v_cmp_eq_u16_e64 s[0:1], s37, v10
	s_mov_b64 s[2:3], -1
                                        ; implicit-def: $sgpr22
	s_and_saveexec_b64 s[20:21], s[0:1]
; %bb.435:                              ;   in Loop: Header=BB268_292 Depth=1
	s_mov_b32 s22, 0x7fc02000
	s_xor_b64 s[2:3], exec, -1
; %bb.436:                              ;   in Loop: Header=BB268_292 Depth=1
	s_or_b64 exec, exec, s[20:21]
	s_and_b64 s[2:3], s[2:3], exec
	s_or_saveexec_b64 s[18:19], s[18:19]
	v_mov_b32_e32 v26, s22
	s_xor_b64 exec, exec, s[18:19]
	s_cbranch_execz .LBB268_299
.LBB268_437:                            ;   in Loop: Header=BB268_292 Depth=1
	v_cmp_ne_u16_e64 s[0:1], 0, v10
	s_andn2_b64 s[2:3], s[2:3], exec
	s_and_b64 s[0:1], s[0:1], exec
	v_mov_b32_e32 v26, 0
	s_or_b64 s[2:3], s[2:3], s[0:1]
	s_or_b64 exec, exec, s[18:19]
	s_and_saveexec_b64 s[18:19], s[2:3]
	s_cbranch_execnz .LBB268_300
	s_branch .LBB268_301
.LBB268_438:                            ;   in Loop: Header=BB268_292 Depth=1
	v_cmp_eq_u16_sdwa s[22:23], v10, s37 src0_sel:BYTE_0 src1_sel:DWORD
	s_mov_b64 s[0:1], -1
                                        ; implicit-def: $sgpr20
	s_and_saveexec_b64 s[18:19], s[22:23]
; %bb.439:                              ;   in Loop: Header=BB268_292 Depth=1
	s_mov_b32 s20, 0x7fc02000
	s_xor_b64 s[0:1], exec, -1
; %bb.440:                              ;   in Loop: Header=BB268_292 Depth=1
	s_or_b64 exec, exec, s[18:19]
	s_and_b64 s[0:1], s[0:1], exec
	s_or_saveexec_b64 s[2:3], s[2:3]
	v_mov_b32_e32 v25, s20
	s_xor_b64 exec, exec, s[2:3]
	s_cbranch_execz .LBB268_303
.LBB268_441:                            ;   in Loop: Header=BB268_292 Depth=1
	v_cmp_ne_u16_sdwa s[18:19], v10, v11 src0_sel:BYTE_0 src1_sel:DWORD
	s_andn2_b64 s[0:1], s[0:1], exec
	s_and_b64 s[18:19], s[18:19], exec
	v_mov_b32_e32 v25, 0
	s_or_b64 s[0:1], s[0:1], s[18:19]
	s_or_b64 exec, exec, s[2:3]
	s_and_saveexec_b64 s[2:3], s[0:1]
	s_cbranch_execnz .LBB268_304
	s_branch .LBB268_305
.LBB268_442:                            ;   in Loop: Header=BB268_292 Depth=1
	v_cmp_eq_u16_e64 s[0:1], s37, v10
	s_mov_b64 s[2:3], -1
                                        ; implicit-def: $sgpr22
	s_and_saveexec_b64 s[20:21], s[0:1]
; %bb.443:                              ;   in Loop: Header=BB268_292 Depth=1
	s_mov_b32 s22, 0x7fc02000
	s_xor_b64 s[2:3], exec, -1
; %bb.444:                              ;   in Loop: Header=BB268_292 Depth=1
	s_or_b64 exec, exec, s[20:21]
	s_and_b64 s[2:3], s[2:3], exec
	s_or_saveexec_b64 s[18:19], s[18:19]
	v_mov_b32_e32 v27, s22
	s_xor_b64 exec, exec, s[18:19]
	s_cbranch_execz .LBB268_307
.LBB268_445:                            ;   in Loop: Header=BB268_292 Depth=1
	v_cmp_ne_u16_e64 s[0:1], 0, v10
	s_andn2_b64 s[2:3], s[2:3], exec
	s_and_b64 s[0:1], s[0:1], exec
	v_mov_b32_e32 v27, 0
	s_or_b64 s[2:3], s[2:3], s[0:1]
	s_or_b64 exec, exec, s[18:19]
	s_and_saveexec_b64 s[18:19], s[2:3]
	s_cbranch_execnz .LBB268_308
	s_branch .LBB268_309
.LBB268_446:                            ;   in Loop: Header=BB268_292 Depth=1
	v_cmp_eq_u16_sdwa s[22:23], v23, s37 src0_sel:BYTE_0 src1_sel:DWORD
	s_mov_b64 s[0:1], -1
                                        ; implicit-def: $sgpr20
	s_and_saveexec_b64 s[18:19], s[22:23]
; %bb.447:                              ;   in Loop: Header=BB268_292 Depth=1
	s_mov_b32 s20, 0x7fc02000
	s_xor_b64 s[0:1], exec, -1
; %bb.448:                              ;   in Loop: Header=BB268_292 Depth=1
	s_or_b64 exec, exec, s[18:19]
	s_and_b64 s[0:1], s[0:1], exec
	s_or_saveexec_b64 s[2:3], s[2:3]
	v_mov_b32_e32 v22, s20
	s_xor_b64 exec, exec, s[2:3]
	s_cbranch_execz .LBB268_311
.LBB268_449:                            ;   in Loop: Header=BB268_292 Depth=1
	v_cmp_ne_u16_sdwa s[18:19], v23, v11 src0_sel:BYTE_0 src1_sel:DWORD
	s_andn2_b64 s[0:1], s[0:1], exec
	s_and_b64 s[18:19], s[18:19], exec
	v_mov_b32_e32 v22, 0
	s_or_b64 s[0:1], s[0:1], s[18:19]
	s_or_b64 exec, exec, s[2:3]
	v_mov_b32_e32 v10, v23
	s_and_saveexec_b64 s[2:3], s[0:1]
	s_cbranch_execnz .LBB268_312
	s_branch .LBB268_313
.LBB268_450:                            ;   in Loop: Header=BB268_292 Depth=1
	v_cmp_eq_u16_e64 s[0:1], s37, v10
	s_mov_b64 s[2:3], -1
                                        ; implicit-def: $sgpr22
	s_and_saveexec_b64 s[20:21], s[0:1]
; %bb.451:                              ;   in Loop: Header=BB268_292 Depth=1
	s_mov_b32 s22, 0x7fc02000
	s_xor_b64 s[2:3], exec, -1
; %bb.452:                              ;   in Loop: Header=BB268_292 Depth=1
	s_or_b64 exec, exec, s[20:21]
	s_and_b64 s[2:3], s[2:3], exec
	s_or_saveexec_b64 s[18:19], s[18:19]
	v_mov_b32_e32 v38, s22
	s_xor_b64 exec, exec, s[18:19]
	s_cbranch_execz .LBB268_315
.LBB268_453:                            ;   in Loop: Header=BB268_292 Depth=1
	v_cmp_ne_u16_e64 s[0:1], 0, v10
	s_andn2_b64 s[2:3], s[2:3], exec
	s_and_b64 s[0:1], s[0:1], exec
	v_mov_b32_e32 v38, 0
	s_or_b64 s[2:3], s[2:3], s[0:1]
	s_or_b64 exec, exec, s[18:19]
	s_and_saveexec_b64 s[18:19], s[2:3]
	s_cbranch_execnz .LBB268_316
	s_branch .LBB268_317
.LBB268_454:                            ;   in Loop: Header=BB268_292 Depth=1
	v_cmp_eq_u16_sdwa s[22:23], v10, s37 src0_sel:BYTE_0 src1_sel:DWORD
	s_mov_b64 s[0:1], -1
                                        ; implicit-def: $sgpr20
	s_and_saveexec_b64 s[18:19], s[22:23]
; %bb.455:                              ;   in Loop: Header=BB268_292 Depth=1
	s_mov_b32 s20, 0x7fc02000
	s_xor_b64 s[0:1], exec, -1
; %bb.456:                              ;   in Loop: Header=BB268_292 Depth=1
	s_or_b64 exec, exec, s[18:19]
	s_and_b64 s[0:1], s[0:1], exec
	s_or_saveexec_b64 s[2:3], s[2:3]
	v_mov_b32_e32 v43, s20
	s_xor_b64 exec, exec, s[2:3]
	s_cbranch_execz .LBB268_319
.LBB268_457:                            ;   in Loop: Header=BB268_292 Depth=1
	v_cmp_ne_u16_sdwa s[18:19], v10, v11 src0_sel:BYTE_0 src1_sel:DWORD
	s_andn2_b64 s[0:1], s[0:1], exec
	s_and_b64 s[18:19], s[18:19], exec
	v_mov_b32_e32 v43, 0
	s_or_b64 s[0:1], s[0:1], s[18:19]
	s_or_b64 exec, exec, s[2:3]
	s_and_saveexec_b64 s[2:3], s[0:1]
	s_cbranch_execnz .LBB268_320
	s_branch .LBB268_321
.LBB268_458:                            ;   in Loop: Header=BB268_292 Depth=1
	v_cmp_eq_u16_e64 s[0:1], s37, v10
	s_mov_b64 s[2:3], -1
                                        ; implicit-def: $sgpr22
	s_and_saveexec_b64 s[20:21], s[0:1]
; %bb.459:                              ;   in Loop: Header=BB268_292 Depth=1
	s_mov_b32 s22, 0x7fc02000
	s_xor_b64 s[2:3], exec, -1
; %bb.460:                              ;   in Loop: Header=BB268_292 Depth=1
	s_or_b64 exec, exec, s[20:21]
	s_and_b64 s[2:3], s[2:3], exec
	s_or_saveexec_b64 s[18:19], s[18:19]
	v_mov_b32_e32 v44, s22
	s_xor_b64 exec, exec, s[18:19]
	s_cbranch_execz .LBB268_323
.LBB268_461:                            ;   in Loop: Header=BB268_292 Depth=1
	v_cmp_ne_u16_e64 s[0:1], 0, v10
	s_andn2_b64 s[2:3], s[2:3], exec
	s_and_b64 s[0:1], s[0:1], exec
	v_mov_b32_e32 v44, 0
	s_or_b64 s[2:3], s[2:3], s[0:1]
	s_or_b64 exec, exec, s[18:19]
	s_and_saveexec_b64 s[18:19], s[2:3]
	s_cbranch_execnz .LBB268_324
	s_branch .LBB268_325
.LBB268_462:                            ;   in Loop: Header=BB268_292 Depth=1
	v_cmp_eq_u16_sdwa s[24:25], v22, s37 src0_sel:BYTE_0 src1_sel:DWORD
	s_mov_b64 s[2:3], -1
                                        ; implicit-def: $sgpr22
	s_and_saveexec_b64 s[20:21], s[24:25]
; %bb.463:                              ;   in Loop: Header=BB268_292 Depth=1
	s_mov_b32 s22, 0x7fc02000
	s_xor_b64 s[2:3], exec, -1
; %bb.464:                              ;   in Loop: Header=BB268_292 Depth=1
	s_or_b64 exec, exec, s[20:21]
	s_and_b64 s[2:3], s[2:3], exec
	s_or_saveexec_b64 s[18:19], s[18:19]
	v_mov_b32_e32 v24, s22
	s_xor_b64 exec, exec, s[18:19]
	s_cbranch_execz .LBB268_329
.LBB268_465:                            ;   in Loop: Header=BB268_292 Depth=1
	v_cmp_ne_u16_sdwa s[20:21], v22, v11 src0_sel:BYTE_0 src1_sel:DWORD
	s_andn2_b64 s[2:3], s[2:3], exec
	s_and_b64 s[20:21], s[20:21], exec
	v_mov_b32_e32 v24, 0
	s_or_b64 s[2:3], s[2:3], s[20:21]
	s_or_b64 exec, exec, s[18:19]
	s_and_saveexec_b64 s[18:19], s[2:3]
	s_cbranch_execnz .LBB268_330
	s_branch .LBB268_331
.LBB268_466:                            ;   in Loop: Header=BB268_292 Depth=1
	v_cmp_eq_u16_e64 s[2:3], s37, v10
	s_mov_b64 s[18:19], -1
                                        ; implicit-def: $sgpr24
	s_and_saveexec_b64 s[22:23], s[2:3]
; %bb.467:                              ;   in Loop: Header=BB268_292 Depth=1
	s_mov_b32 s24, 0x7fc02000
	s_xor_b64 s[18:19], exec, -1
; %bb.468:                              ;   in Loop: Header=BB268_292 Depth=1
	s_or_b64 exec, exec, s[22:23]
	s_and_b64 s[18:19], s[18:19], exec
	s_or_saveexec_b64 s[20:21], s[20:21]
	v_mov_b32_e32 v26, s24
	s_xor_b64 exec, exec, s[20:21]
	s_cbranch_execz .LBB268_333
.LBB268_469:                            ;   in Loop: Header=BB268_292 Depth=1
	v_cmp_ne_u16_e64 s[2:3], 0, v10
	s_andn2_b64 s[18:19], s[18:19], exec
	s_and_b64 s[2:3], s[2:3], exec
	v_mov_b32_e32 v26, 0
	s_or_b64 s[18:19], s[18:19], s[2:3]
	s_or_b64 exec, exec, s[20:21]
	s_and_saveexec_b64 s[20:21], s[18:19]
	s_cbranch_execnz .LBB268_334
	s_branch .LBB268_335
.LBB268_470:                            ;   in Loop: Header=BB268_292 Depth=1
	v_cmp_eq_u16_sdwa s[24:25], v10, s37 src0_sel:BYTE_0 src1_sel:DWORD
	s_mov_b64 s[2:3], -1
                                        ; implicit-def: $sgpr22
	s_and_saveexec_b64 s[20:21], s[24:25]
; %bb.471:                              ;   in Loop: Header=BB268_292 Depth=1
	s_mov_b32 s22, 0x7fc02000
	s_xor_b64 s[2:3], exec, -1
; %bb.472:                              ;   in Loop: Header=BB268_292 Depth=1
	s_or_b64 exec, exec, s[20:21]
	s_and_b64 s[2:3], s[2:3], exec
	s_or_saveexec_b64 s[18:19], s[18:19]
	v_mov_b32_e32 v25, s22
	s_xor_b64 exec, exec, s[18:19]
	s_cbranch_execz .LBB268_337
.LBB268_473:                            ;   in Loop: Header=BB268_292 Depth=1
	v_cmp_ne_u16_sdwa s[20:21], v10, v11 src0_sel:BYTE_0 src1_sel:DWORD
	s_andn2_b64 s[2:3], s[2:3], exec
	s_and_b64 s[20:21], s[20:21], exec
	v_mov_b32_e32 v25, 0
	s_or_b64 s[2:3], s[2:3], s[20:21]
	s_or_b64 exec, exec, s[18:19]
	s_and_saveexec_b64 s[18:19], s[2:3]
	s_cbranch_execnz .LBB268_338
	s_branch .LBB268_339
.LBB268_474:                            ;   in Loop: Header=BB268_292 Depth=1
	v_cmp_eq_u16_e64 s[2:3], s37, v10
	s_mov_b64 s[18:19], -1
                                        ; implicit-def: $sgpr24
	s_and_saveexec_b64 s[22:23], s[2:3]
; %bb.475:                              ;   in Loop: Header=BB268_292 Depth=1
	s_mov_b32 s24, 0x7fc02000
	s_xor_b64 s[18:19], exec, -1
; %bb.476:                              ;   in Loop: Header=BB268_292 Depth=1
	s_or_b64 exec, exec, s[22:23]
	s_and_b64 s[18:19], s[18:19], exec
	s_or_saveexec_b64 s[20:21], s[20:21]
	v_mov_b32_e32 v27, s24
	s_xor_b64 exec, exec, s[20:21]
	s_cbranch_execz .LBB268_341
.LBB268_477:                            ;   in Loop: Header=BB268_292 Depth=1
	v_cmp_ne_u16_e64 s[2:3], 0, v10
	s_andn2_b64 s[18:19], s[18:19], exec
	s_and_b64 s[2:3], s[2:3], exec
	v_mov_b32_e32 v27, 0
	s_or_b64 s[18:19], s[18:19], s[2:3]
	s_or_b64 exec, exec, s[20:21]
	s_and_saveexec_b64 s[20:21], s[18:19]
	s_cbranch_execnz .LBB268_342
	s_branch .LBB268_343
.LBB268_478:                            ;   in Loop: Header=BB268_292 Depth=1
	v_cmp_eq_u16_sdwa s[24:25], v23, s37 src0_sel:BYTE_0 src1_sel:DWORD
	s_mov_b64 s[2:3], -1
                                        ; implicit-def: $sgpr22
	s_and_saveexec_b64 s[20:21], s[24:25]
; %bb.479:                              ;   in Loop: Header=BB268_292 Depth=1
	s_mov_b32 s22, 0x7fc02000
	s_xor_b64 s[2:3], exec, -1
; %bb.480:                              ;   in Loop: Header=BB268_292 Depth=1
	s_or_b64 exec, exec, s[20:21]
	s_and_b64 s[2:3], s[2:3], exec
	s_or_saveexec_b64 s[18:19], s[18:19]
	v_mov_b32_e32 v22, s22
	s_xor_b64 exec, exec, s[18:19]
	s_cbranch_execz .LBB268_345
.LBB268_481:                            ;   in Loop: Header=BB268_292 Depth=1
	v_cmp_ne_u16_sdwa s[20:21], v23, v11 src0_sel:BYTE_0 src1_sel:DWORD
	s_andn2_b64 s[2:3], s[2:3], exec
	s_and_b64 s[20:21], s[20:21], exec
	v_mov_b32_e32 v22, 0
	s_or_b64 s[2:3], s[2:3], s[20:21]
	s_or_b64 exec, exec, s[18:19]
	v_mov_b32_e32 v10, v23
	s_and_saveexec_b64 s[18:19], s[2:3]
	s_cbranch_execnz .LBB268_346
	s_branch .LBB268_347
.LBB268_482:                            ;   in Loop: Header=BB268_292 Depth=1
	v_cmp_eq_u16_e64 s[2:3], s37, v10
	s_mov_b64 s[18:19], -1
                                        ; implicit-def: $sgpr24
	s_and_saveexec_b64 s[22:23], s[2:3]
; %bb.483:                              ;   in Loop: Header=BB268_292 Depth=1
	s_mov_b32 s24, 0x7fc02000
	s_xor_b64 s[18:19], exec, -1
; %bb.484:                              ;   in Loop: Header=BB268_292 Depth=1
	s_or_b64 exec, exec, s[22:23]
	s_and_b64 s[18:19], s[18:19], exec
	s_or_saveexec_b64 s[20:21], s[20:21]
	v_mov_b32_e32 v40, s24
	s_xor_b64 exec, exec, s[20:21]
	s_cbranch_execz .LBB268_349
.LBB268_485:                            ;   in Loop: Header=BB268_292 Depth=1
	v_cmp_ne_u16_e64 s[2:3], 0, v10
	s_andn2_b64 s[18:19], s[18:19], exec
	s_and_b64 s[2:3], s[2:3], exec
	v_mov_b32_e32 v40, 0
	s_or_b64 s[18:19], s[18:19], s[2:3]
	s_or_b64 exec, exec, s[20:21]
	s_and_saveexec_b64 s[20:21], s[18:19]
	s_cbranch_execnz .LBB268_350
	s_branch .LBB268_351
.LBB268_486:                            ;   in Loop: Header=BB268_292 Depth=1
	v_cmp_eq_u16_sdwa s[24:25], v10, s37 src0_sel:BYTE_0 src1_sel:DWORD
	s_mov_b64 s[2:3], -1
                                        ; implicit-def: $sgpr22
	s_and_saveexec_b64 s[20:21], s[24:25]
; %bb.487:                              ;   in Loop: Header=BB268_292 Depth=1
	s_mov_b32 s22, 0x7fc02000
	s_xor_b64 s[2:3], exec, -1
; %bb.488:                              ;   in Loop: Header=BB268_292 Depth=1
	s_or_b64 exec, exec, s[20:21]
	s_and_b64 s[2:3], s[2:3], exec
	s_or_saveexec_b64 s[18:19], s[18:19]
	v_mov_b32_e32 v41, s22
	s_xor_b64 exec, exec, s[18:19]
	s_cbranch_execz .LBB268_353
.LBB268_489:                            ;   in Loop: Header=BB268_292 Depth=1
	v_cmp_ne_u16_sdwa s[20:21], v10, v11 src0_sel:BYTE_0 src1_sel:DWORD
	s_andn2_b64 s[2:3], s[2:3], exec
	s_and_b64 s[20:21], s[20:21], exec
	v_mov_b32_e32 v41, 0
	s_or_b64 s[2:3], s[2:3], s[20:21]
	s_or_b64 exec, exec, s[18:19]
	s_and_saveexec_b64 s[18:19], s[2:3]
	s_cbranch_execnz .LBB268_354
	s_branch .LBB268_355
.LBB268_490:                            ;   in Loop: Header=BB268_292 Depth=1
	v_cmp_eq_u16_e64 s[2:3], s37, v10
	s_mov_b64 s[18:19], -1
                                        ; implicit-def: $sgpr24
	s_and_saveexec_b64 s[22:23], s[2:3]
; %bb.491:                              ;   in Loop: Header=BB268_292 Depth=1
	s_mov_b32 s24, 0x7fc02000
	s_xor_b64 s[18:19], exec, -1
; %bb.492:                              ;   in Loop: Header=BB268_292 Depth=1
	s_or_b64 exec, exec, s[22:23]
	s_and_b64 s[18:19], s[18:19], exec
	s_or_saveexec_b64 s[20:21], s[20:21]
	v_mov_b32_e32 v42, s24
	s_xor_b64 exec, exec, s[20:21]
	s_cbranch_execz .LBB268_357
.LBB268_493:                            ;   in Loop: Header=BB268_292 Depth=1
	v_cmp_ne_u16_e64 s[2:3], 0, v10
	s_andn2_b64 s[18:19], s[18:19], exec
	s_and_b64 s[2:3], s[2:3], exec
	v_mov_b32_e32 v42, 0
	s_or_b64 s[18:19], s[18:19], s[2:3]
	s_or_b64 exec, exec, s[20:21]
	s_and_saveexec_b64 s[20:21], s[18:19]
	s_cbranch_execnz .LBB268_358
	s_branch .LBB268_359
.LBB268_494:                            ;   in Loop: Header=BB268_292 Depth=1
	v_cmp_eq_u16_sdwa s[24:25], v22, s37 src0_sel:BYTE_0 src1_sel:DWORD
	s_mov_b64 s[2:3], -1
                                        ; implicit-def: $sgpr22
	s_and_saveexec_b64 s[20:21], s[24:25]
; %bb.495:                              ;   in Loop: Header=BB268_292 Depth=1
	s_mov_b32 s22, 0x7fc02000
	s_xor_b64 s[2:3], exec, -1
; %bb.496:                              ;   in Loop: Header=BB268_292 Depth=1
	s_or_b64 exec, exec, s[20:21]
	s_and_b64 s[2:3], s[2:3], exec
	s_or_saveexec_b64 s[18:19], s[18:19]
	v_mov_b32_e32 v18, s22
	s_xor_b64 exec, exec, s[18:19]
	s_cbranch_execz .LBB268_363
.LBB268_497:                            ;   in Loop: Header=BB268_292 Depth=1
	v_cmp_ne_u16_sdwa s[20:21], v22, v11 src0_sel:BYTE_0 src1_sel:DWORD
	s_andn2_b64 s[2:3], s[2:3], exec
	s_and_b64 s[20:21], s[20:21], exec
	v_mov_b32_e32 v18, 0
	s_or_b64 s[2:3], s[2:3], s[20:21]
	s_or_b64 exec, exec, s[18:19]
	s_and_saveexec_b64 s[18:19], s[2:3]
	s_cbranch_execnz .LBB268_364
	s_branch .LBB268_365
.LBB268_498:                            ;   in Loop: Header=BB268_292 Depth=1
	v_cmp_eq_u16_e64 s[2:3], s37, v10
	s_mov_b64 s[18:19], -1
                                        ; implicit-def: $sgpr24
	s_and_saveexec_b64 s[22:23], s[2:3]
; %bb.499:                              ;   in Loop: Header=BB268_292 Depth=1
	s_mov_b32 s24, 0x7fc02000
	s_xor_b64 s[18:19], exec, -1
; %bb.500:                              ;   in Loop: Header=BB268_292 Depth=1
	s_or_b64 exec, exec, s[22:23]
	s_and_b64 s[18:19], s[18:19], exec
	s_or_saveexec_b64 s[20:21], s[20:21]
	v_mov_b32_e32 v24, s24
	s_xor_b64 exec, exec, s[20:21]
	s_cbranch_execz .LBB268_367
.LBB268_501:                            ;   in Loop: Header=BB268_292 Depth=1
	v_cmp_ne_u16_e64 s[2:3], 0, v10
	s_andn2_b64 s[18:19], s[18:19], exec
	s_and_b64 s[2:3], s[2:3], exec
	v_mov_b32_e32 v24, 0
	s_or_b64 s[18:19], s[18:19], s[2:3]
	s_or_b64 exec, exec, s[20:21]
	s_and_saveexec_b64 s[20:21], s[18:19]
	s_cbranch_execnz .LBB268_368
	s_branch .LBB268_369
.LBB268_502:                            ;   in Loop: Header=BB268_292 Depth=1
	v_cmp_eq_u16_sdwa s[24:25], v10, s37 src0_sel:BYTE_0 src1_sel:DWORD
	s_mov_b64 s[2:3], -1
                                        ; implicit-def: $sgpr22
	s_and_saveexec_b64 s[20:21], s[24:25]
; %bb.503:                              ;   in Loop: Header=BB268_292 Depth=1
	s_mov_b32 s22, 0x7fc02000
	s_xor_b64 s[2:3], exec, -1
; %bb.504:                              ;   in Loop: Header=BB268_292 Depth=1
	s_or_b64 exec, exec, s[20:21]
	s_and_b64 s[2:3], s[2:3], exec
	s_or_saveexec_b64 s[18:19], s[18:19]
	v_mov_b32_e32 v19, s22
	s_xor_b64 exec, exec, s[18:19]
	s_cbranch_execz .LBB268_371
.LBB268_505:                            ;   in Loop: Header=BB268_292 Depth=1
	v_cmp_ne_u16_sdwa s[20:21], v10, v11 src0_sel:BYTE_0 src1_sel:DWORD
	s_andn2_b64 s[2:3], s[2:3], exec
	s_and_b64 s[20:21], s[20:21], exec
	v_mov_b32_e32 v19, 0
	s_or_b64 s[2:3], s[2:3], s[20:21]
	s_or_b64 exec, exec, s[18:19]
	s_and_saveexec_b64 s[18:19], s[2:3]
	s_cbranch_execnz .LBB268_372
	s_branch .LBB268_373
.LBB268_506:                            ;   in Loop: Header=BB268_292 Depth=1
	v_cmp_eq_u16_e64 s[2:3], s37, v10
	s_mov_b64 s[18:19], -1
                                        ; implicit-def: $sgpr24
	s_and_saveexec_b64 s[22:23], s[2:3]
; %bb.507:                              ;   in Loop: Header=BB268_292 Depth=1
	s_mov_b32 s24, 0x7fc02000
	s_xor_b64 s[18:19], exec, -1
; %bb.508:                              ;   in Loop: Header=BB268_292 Depth=1
	s_or_b64 exec, exec, s[22:23]
	s_and_b64 s[18:19], s[18:19], exec
	s_or_saveexec_b64 s[20:21], s[20:21]
	v_mov_b32_e32 v25, s24
	s_xor_b64 exec, exec, s[20:21]
	s_cbranch_execz .LBB268_375
.LBB268_509:                            ;   in Loop: Header=BB268_292 Depth=1
	v_cmp_ne_u16_e64 s[2:3], 0, v10
	s_andn2_b64 s[18:19], s[18:19], exec
	s_and_b64 s[2:3], s[2:3], exec
	v_mov_b32_e32 v25, 0
	s_or_b64 s[18:19], s[18:19], s[2:3]
	s_or_b64 exec, exec, s[20:21]
	s_and_saveexec_b64 s[20:21], s[18:19]
	s_cbranch_execnz .LBB268_376
	s_branch .LBB268_377
.LBB268_510:                            ;   in Loop: Header=BB268_292 Depth=1
	v_cmp_eq_u16_sdwa s[24:25], v23, s37 src0_sel:BYTE_0 src1_sel:DWORD
	s_mov_b64 s[2:3], -1
                                        ; implicit-def: $sgpr22
	s_and_saveexec_b64 s[20:21], s[24:25]
; %bb.511:                              ;   in Loop: Header=BB268_292 Depth=1
	s_mov_b32 s22, 0x7fc02000
	s_xor_b64 s[2:3], exec, -1
; %bb.512:                              ;   in Loop: Header=BB268_292 Depth=1
	s_or_b64 exec, exec, s[20:21]
	s_and_b64 s[2:3], s[2:3], exec
	s_or_saveexec_b64 s[18:19], s[18:19]
	v_mov_b32_e32 v22, s22
	s_xor_b64 exec, exec, s[18:19]
	s_cbranch_execz .LBB268_379
.LBB268_513:                            ;   in Loop: Header=BB268_292 Depth=1
	v_cmp_ne_u16_sdwa s[20:21], v23, v11 src0_sel:BYTE_0 src1_sel:DWORD
	s_andn2_b64 s[2:3], s[2:3], exec
	s_and_b64 s[20:21], s[20:21], exec
	v_mov_b32_e32 v22, 0
	s_or_b64 s[2:3], s[2:3], s[20:21]
	s_or_b64 exec, exec, s[18:19]
	v_mov_b32_e32 v10, v23
	s_and_saveexec_b64 s[18:19], s[2:3]
	s_cbranch_execnz .LBB268_380
	s_branch .LBB268_381
.LBB268_514:                            ;   in Loop: Header=BB268_292 Depth=1
	v_cmp_eq_u16_e64 s[2:3], s37, v10
	s_mov_b64 s[18:19], -1
                                        ; implicit-def: $sgpr24
	s_and_saveexec_b64 s[22:23], s[2:3]
; %bb.515:                              ;   in Loop: Header=BB268_292 Depth=1
	s_mov_b32 s24, 0x7fc02000
	s_xor_b64 s[18:19], exec, -1
; %bb.516:                              ;   in Loop: Header=BB268_292 Depth=1
	s_or_b64 exec, exec, s[22:23]
	s_and_b64 s[18:19], s[18:19], exec
	s_or_saveexec_b64 s[20:21], s[20:21]
	v_mov_b32_e32 v40, s24
	s_xor_b64 exec, exec, s[20:21]
	s_cbranch_execz .LBB268_383
.LBB268_517:                            ;   in Loop: Header=BB268_292 Depth=1
	v_cmp_ne_u16_e64 s[2:3], 0, v10
	s_andn2_b64 s[18:19], s[18:19], exec
	s_and_b64 s[2:3], s[2:3], exec
	v_mov_b32_e32 v40, 0
	s_or_b64 s[18:19], s[18:19], s[2:3]
	s_or_b64 exec, exec, s[20:21]
	s_and_saveexec_b64 s[20:21], s[18:19]
	s_cbranch_execnz .LBB268_384
	s_branch .LBB268_385
.LBB268_518:                            ;   in Loop: Header=BB268_292 Depth=1
	v_cmp_eq_u16_sdwa s[24:25], v10, s37 src0_sel:BYTE_0 src1_sel:DWORD
	s_mov_b64 s[2:3], -1
                                        ; implicit-def: $sgpr22
	s_and_saveexec_b64 s[20:21], s[24:25]
; %bb.519:                              ;   in Loop: Header=BB268_292 Depth=1
	s_mov_b32 s22, 0x7fc02000
	s_xor_b64 s[2:3], exec, -1
; %bb.520:                              ;   in Loop: Header=BB268_292 Depth=1
	s_or_b64 exec, exec, s[20:21]
	s_and_b64 s[2:3], s[2:3], exec
	s_or_saveexec_b64 s[18:19], s[18:19]
	v_mov_b32_e32 v41, s22
	s_xor_b64 exec, exec, s[18:19]
	s_cbranch_execz .LBB268_387
.LBB268_521:                            ;   in Loop: Header=BB268_292 Depth=1
	v_cmp_ne_u16_sdwa s[20:21], v10, v11 src0_sel:BYTE_0 src1_sel:DWORD
	s_andn2_b64 s[2:3], s[2:3], exec
	s_and_b64 s[20:21], s[20:21], exec
	v_mov_b32_e32 v41, 0
	s_or_b64 s[2:3], s[2:3], s[20:21]
	s_or_b64 exec, exec, s[18:19]
	s_and_saveexec_b64 s[18:19], s[2:3]
	s_cbranch_execnz .LBB268_388
	s_branch .LBB268_389
.LBB268_522:                            ;   in Loop: Header=BB268_292 Depth=1
	v_cmp_eq_u16_e64 s[2:3], s37, v10
	s_mov_b64 s[18:19], -1
                                        ; implicit-def: $sgpr24
	s_and_saveexec_b64 s[22:23], s[2:3]
; %bb.523:                              ;   in Loop: Header=BB268_292 Depth=1
	s_mov_b32 s24, 0x7fc02000
	s_xor_b64 s[18:19], exec, -1
; %bb.524:                              ;   in Loop: Header=BB268_292 Depth=1
	s_or_b64 exec, exec, s[22:23]
	s_and_b64 s[18:19], s[18:19], exec
	s_or_saveexec_b64 s[20:21], s[20:21]
	v_mov_b32_e32 v42, s24
	s_xor_b64 exec, exec, s[20:21]
	s_cbranch_execz .LBB268_391
.LBB268_525:                            ;   in Loop: Header=BB268_292 Depth=1
	v_cmp_ne_u16_e64 s[2:3], 0, v10
	s_andn2_b64 s[18:19], s[18:19], exec
	s_and_b64 s[2:3], s[2:3], exec
	v_mov_b32_e32 v42, 0
	s_or_b64 s[18:19], s[18:19], s[2:3]
	s_or_b64 exec, exec, s[20:21]
	s_and_saveexec_b64 s[20:21], s[18:19]
	s_cbranch_execnz .LBB268_392
	s_branch .LBB268_393
.LBB268_526:                            ;   in Loop: Header=BB268_292 Depth=1
	v_cmp_eq_u16_sdwa s[44:45], v18, s37 src0_sel:BYTE_0 src1_sel:DWORD
	s_mov_b64 s[2:3], -1
                                        ; implicit-def: $sgpr24
	s_and_saveexec_b64 s[22:23], s[44:45]
; %bb.527:                              ;   in Loop: Header=BB268_292 Depth=1
	s_mov_b32 s24, 0x7fc02000
	s_xor_b64 s[2:3], exec, -1
; %bb.528:                              ;   in Loop: Header=BB268_292 Depth=1
	s_or_b64 exec, exec, s[22:23]
	s_and_b64 s[2:3], s[2:3], exec
	s_or_saveexec_b64 s[20:21], s[20:21]
	v_mov_b32_e32 v20, s24
	s_xor_b64 exec, exec, s[20:21]
	s_cbranch_execz .LBB268_398
.LBB268_529:                            ;   in Loop: Header=BB268_292 Depth=1
	v_cmp_ne_u16_sdwa s[22:23], v18, v11 src0_sel:BYTE_0 src1_sel:DWORD
	s_andn2_b64 s[2:3], s[2:3], exec
	s_and_b64 s[22:23], s[22:23], exec
	v_mov_b32_e32 v20, 0
	s_or_b64 s[2:3], s[2:3], s[22:23]
	s_or_b64 exec, exec, s[20:21]
	s_and_saveexec_b64 s[20:21], s[2:3]
	s_cbranch_execnz .LBB268_399
	s_branch .LBB268_400
.LBB268_530:                            ;   in Loop: Header=BB268_292 Depth=1
	v_cmp_eq_u16_e64 s[2:3], s37, v10
	s_mov_b64 s[20:21], -1
                                        ; implicit-def: $sgpr44
	s_and_saveexec_b64 s[24:25], s[2:3]
; %bb.531:                              ;   in Loop: Header=BB268_292 Depth=1
	s_mov_b32 s44, 0x7fc02000
	s_xor_b64 s[20:21], exec, -1
; %bb.532:                              ;   in Loop: Header=BB268_292 Depth=1
	s_or_b64 exec, exec, s[24:25]
	s_and_b64 s[20:21], s[20:21], exec
	s_or_saveexec_b64 s[22:23], s[22:23]
	v_mov_b32_e32 v22, s44
	s_xor_b64 exec, exec, s[22:23]
	s_cbranch_execz .LBB268_402
.LBB268_533:                            ;   in Loop: Header=BB268_292 Depth=1
	v_cmp_ne_u16_e64 s[2:3], 0, v10
	s_andn2_b64 s[20:21], s[20:21], exec
	s_and_b64 s[2:3], s[2:3], exec
	v_mov_b32_e32 v22, 0
	s_or_b64 s[20:21], s[20:21], s[2:3]
	s_or_b64 exec, exec, s[22:23]
	s_and_saveexec_b64 s[22:23], s[20:21]
	s_cbranch_execnz .LBB268_403
	s_branch .LBB268_404
.LBB268_534:                            ;   in Loop: Header=BB268_292 Depth=1
	v_cmp_eq_u16_sdwa s[44:45], v10, s37 src0_sel:BYTE_0 src1_sel:DWORD
	s_mov_b64 s[2:3], -1
                                        ; implicit-def: $sgpr24
	s_and_saveexec_b64 s[22:23], s[44:45]
; %bb.535:                              ;   in Loop: Header=BB268_292 Depth=1
	s_mov_b32 s24, 0x7fc02000
	s_xor_b64 s[2:3], exec, -1
; %bb.536:                              ;   in Loop: Header=BB268_292 Depth=1
	s_or_b64 exec, exec, s[22:23]
	s_and_b64 s[2:3], s[2:3], exec
	s_or_saveexec_b64 s[20:21], s[20:21]
	v_mov_b32_e32 v21, s24
	s_xor_b64 exec, exec, s[20:21]
	s_cbranch_execz .LBB268_406
.LBB268_537:                            ;   in Loop: Header=BB268_292 Depth=1
	v_cmp_ne_u16_sdwa s[22:23], v10, v11 src0_sel:BYTE_0 src1_sel:DWORD
	s_andn2_b64 s[2:3], s[2:3], exec
	s_and_b64 s[22:23], s[22:23], exec
	v_mov_b32_e32 v21, 0
	s_or_b64 s[2:3], s[2:3], s[22:23]
	s_or_b64 exec, exec, s[20:21]
	s_and_saveexec_b64 s[20:21], s[2:3]
	s_cbranch_execnz .LBB268_407
	s_branch .LBB268_408
.LBB268_538:                            ;   in Loop: Header=BB268_292 Depth=1
	v_cmp_eq_u16_e64 s[2:3], s37, v10
	s_mov_b64 s[20:21], -1
                                        ; implicit-def: $sgpr44
	s_and_saveexec_b64 s[24:25], s[2:3]
; %bb.539:                              ;   in Loop: Header=BB268_292 Depth=1
	s_mov_b32 s44, 0x7fc02000
	s_xor_b64 s[20:21], exec, -1
; %bb.540:                              ;   in Loop: Header=BB268_292 Depth=1
	s_or_b64 exec, exec, s[24:25]
	s_and_b64 s[20:21], s[20:21], exec
	s_or_saveexec_b64 s[22:23], s[22:23]
	v_mov_b32_e32 v23, s44
	s_xor_b64 exec, exec, s[22:23]
	s_cbranch_execz .LBB268_410
.LBB268_541:                            ;   in Loop: Header=BB268_292 Depth=1
	v_cmp_ne_u16_e64 s[2:3], 0, v10
	s_andn2_b64 s[20:21], s[20:21], exec
	s_and_b64 s[2:3], s[2:3], exec
	v_mov_b32_e32 v23, 0
	s_or_b64 s[20:21], s[20:21], s[2:3]
	s_or_b64 exec, exec, s[22:23]
	s_and_saveexec_b64 s[22:23], s[20:21]
	s_cbranch_execnz .LBB268_411
	s_branch .LBB268_412
.LBB268_542:                            ;   in Loop: Header=BB268_292 Depth=1
	v_cmp_eq_u16_sdwa s[44:45], v19, s37 src0_sel:BYTE_0 src1_sel:DWORD
	s_mov_b64 s[2:3], -1
                                        ; implicit-def: $sgpr24
	s_and_saveexec_b64 s[22:23], s[44:45]
; %bb.543:                              ;   in Loop: Header=BB268_292 Depth=1
	s_mov_b32 s24, 0x7fc02000
	s_xor_b64 s[2:3], exec, -1
; %bb.544:                              ;   in Loop: Header=BB268_292 Depth=1
	s_or_b64 exec, exec, s[22:23]
	s_and_b64 s[2:3], s[2:3], exec
	s_or_saveexec_b64 s[20:21], s[20:21]
	v_mov_b32_e32 v17, s24
	s_xor_b64 exec, exec, s[20:21]
	s_cbranch_execz .LBB268_414
.LBB268_545:                            ;   in Loop: Header=BB268_292 Depth=1
	v_cmp_ne_u16_sdwa s[22:23], v19, v11 src0_sel:BYTE_0 src1_sel:DWORD
	s_andn2_b64 s[2:3], s[2:3], exec
	s_and_b64 s[22:23], s[22:23], exec
	v_mov_b32_e32 v17, 0
	s_or_b64 s[2:3], s[2:3], s[22:23]
	s_or_b64 exec, exec, s[20:21]
	v_mov_b32_e32 v10, v19
	s_and_saveexec_b64 s[20:21], s[2:3]
	s_cbranch_execnz .LBB268_415
	s_branch .LBB268_416
.LBB268_546:                            ;   in Loop: Header=BB268_292 Depth=1
	v_cmp_eq_u16_e64 s[2:3], s37, v10
	s_mov_b64 s[20:21], -1
                                        ; implicit-def: $sgpr44
	s_and_saveexec_b64 s[24:25], s[2:3]
; %bb.547:                              ;   in Loop: Header=BB268_292 Depth=1
	s_mov_b32 s44, 0x7fc02000
	s_xor_b64 s[20:21], exec, -1
; %bb.548:                              ;   in Loop: Header=BB268_292 Depth=1
	s_or_b64 exec, exec, s[24:25]
	s_and_b64 s[20:21], s[20:21], exec
	s_or_saveexec_b64 s[22:23], s[22:23]
	v_mov_b32_e32 v18, s44
	s_xor_b64 exec, exec, s[22:23]
	s_cbranch_execz .LBB268_418
.LBB268_549:                            ;   in Loop: Header=BB268_292 Depth=1
	v_cmp_ne_u16_e64 s[2:3], 0, v10
	s_andn2_b64 s[20:21], s[20:21], exec
	s_and_b64 s[2:3], s[2:3], exec
	v_mov_b32_e32 v18, 0
	s_or_b64 s[20:21], s[20:21], s[2:3]
	s_or_b64 exec, exec, s[22:23]
	s_and_saveexec_b64 s[22:23], s[20:21]
	s_cbranch_execnz .LBB268_419
	s_branch .LBB268_420
.LBB268_550:                            ;   in Loop: Header=BB268_292 Depth=1
	v_cmp_eq_u16_sdwa s[44:45], v10, s37 src0_sel:BYTE_0 src1_sel:DWORD
	s_mov_b64 s[2:3], -1
                                        ; implicit-def: $sgpr24
	s_and_saveexec_b64 s[22:23], s[44:45]
; %bb.551:                              ;   in Loop: Header=BB268_292 Depth=1
	s_mov_b32 s24, 0x7fc02000
	s_xor_b64 s[2:3], exec, -1
; %bb.552:                              ;   in Loop: Header=BB268_292 Depth=1
	s_or_b64 exec, exec, s[22:23]
	s_and_b64 s[2:3], s[2:3], exec
	s_or_saveexec_b64 s[20:21], s[20:21]
	v_mov_b32_e32 v24, s24
	s_xor_b64 exec, exec, s[20:21]
	s_cbranch_execz .LBB268_422
.LBB268_553:                            ;   in Loop: Header=BB268_292 Depth=1
	v_cmp_ne_u16_sdwa s[22:23], v10, v11 src0_sel:BYTE_0 src1_sel:DWORD
	s_andn2_b64 s[2:3], s[2:3], exec
	s_and_b64 s[22:23], s[22:23], exec
	v_mov_b32_e32 v24, 0
	s_or_b64 s[2:3], s[2:3], s[22:23]
	s_or_b64 exec, exec, s[20:21]
	s_and_saveexec_b64 s[20:21], s[2:3]
	s_cbranch_execnz .LBB268_423
	s_branch .LBB268_424
.LBB268_554:                            ;   in Loop: Header=BB268_292 Depth=1
	v_cmp_eq_u16_e64 s[2:3], s37, v10
	s_mov_b64 s[20:21], -1
                                        ; implicit-def: $sgpr44
	s_and_saveexec_b64 s[24:25], s[2:3]
; %bb.555:                              ;   in Loop: Header=BB268_292 Depth=1
	s_mov_b32 s44, 0x7fc02000
	s_xor_b64 s[20:21], exec, -1
; %bb.556:                              ;   in Loop: Header=BB268_292 Depth=1
	s_or_b64 exec, exec, s[24:25]
	s_and_b64 s[20:21], s[20:21], exec
	s_or_saveexec_b64 s[22:23], s[22:23]
	v_mov_b32_e32 v25, s44
	s_xor_b64 exec, exec, s[22:23]
	s_cbranch_execz .LBB268_426
.LBB268_557:                            ;   in Loop: Header=BB268_292 Depth=1
	v_cmp_ne_u16_e64 s[2:3], 0, v10
	s_andn2_b64 s[20:21], s[20:21], exec
	s_and_b64 s[2:3], s[2:3], exec
	v_mov_b32_e32 v25, 0
	s_or_b64 s[20:21], s[20:21], s[2:3]
	s_or_b64 exec, exec, s[22:23]
	s_and_saveexec_b64 s[22:23], s[20:21]
	s_cbranch_execnz .LBB268_427
	s_branch .LBB268_428
.LBB268_558:
	s_or_b64 exec, exec, s[12:13]
.LBB268_559:
	s_or_b64 exec, exec, s[10:11]
	ds_bpermute_b32 v6, v28, v2
	ds_bpermute_b32 v7, v28, v3
	;; [unrolled: 1-line block ×4, first 2 shown]
	v_and_b32_e32 v1, 0x3c0, v0
	v_cmp_eq_u32_e32 vcc, 64, v1
	s_waitcnt lgkmcnt(2)
	v_pk_add_f32 v[6:7], v[2:3], v[6:7]
	s_waitcnt lgkmcnt(0)
	v_pk_add_f32 v[2:3], v[4:5], v[8:9]
	s_barrier
	s_and_saveexec_b64 s[2:3], vcc
	s_cbranch_execz .LBB268_564
; %bb.560:
	v_cmp_eq_u32_e32 vcc, 0, v29
	s_and_saveexec_b64 s[0:1], vcc
	s_cbranch_execz .LBB268_562
; %bb.561:
	v_mov_b32_e32 v1, 0x100
	v_lshl_add_u32 v1, v30, 2, v1
	ds_write2_b32 v1, v6, v7 offset1:32
	ds_write_b32 v1, v2 offset:256
.LBB268_562:
	s_or_b64 exec, exec, s[0:1]
	v_or_b32_e32 v1, 0x60, v30
	s_movk_i32 s0, 0x78
	v_cmp_gt_u32_e64 s[0:1], s0, v1
	s_and_b64 s[0:1], vcc, s[0:1]
	s_and_b64 exec, exec, s[0:1]
	s_cbranch_execz .LBB268_564
; %bb.563:
	v_mov_b32_e32 v1, 0x100
	v_lshl_add_u32 v1, v30, 2, v1
	ds_write_b32 v1, v3 offset:384
.LBB268_564:
	s_or_b64 exec, exec, s[2:3]
	v_cmp_gt_u32_e32 vcc, 64, v0
	v_lshrrev_b32_e32 v0, 1, v0
	s_waitcnt lgkmcnt(0)
	s_barrier
	s_and_saveexec_b64 s[8:9], vcc
	s_cbranch_execz .LBB268_572
; %bb.565:
	v_cmp_eq_u32_e64 s[0:1], 0, v29
	s_and_saveexec_b64 s[2:3], s[0:1]
	s_cbranch_execnz .LBB268_578
; %bb.566:
	s_or_b64 exec, exec, s[2:3]
	s_and_saveexec_b64 s[2:3], s[0:1]
	s_cbranch_execnz .LBB268_579
.LBB268_567:
	s_or_b64 exec, exec, s[2:3]
	s_and_saveexec_b64 s[2:3], s[0:1]
	s_cbranch_execz .LBB268_569
.LBB268_568:
	v_mov_b32_e32 v1, 0x100
	v_lshl_add_u32 v1, v0, 2, v1
	ds_read_b32 v1, v1 offset:256
	s_waitcnt lgkmcnt(0)
	v_add_f32_e32 v2, v2, v1
.LBB268_569:
	s_or_b64 exec, exec, s[2:3]
	v_or_b32_e32 v1, 0x60, v0
	s_movk_i32 s2, 0x78
	v_cmp_gt_u32_e64 s[2:3], s2, v1
	s_and_b64 s[2:3], s[0:1], s[2:3]
	s_and_saveexec_b64 s[0:1], s[2:3]
	s_cbranch_execz .LBB268_571
; %bb.570:
	v_mov_b32_e32 v1, 0x100
	v_lshl_add_u32 v1, v0, 2, v1
	ds_read_b32 v1, v1 offset:384
	s_waitcnt lgkmcnt(0)
	v_add_f32_e32 v3, v3, v1
.LBB268_571:
	s_or_b64 exec, exec, s[0:1]
.LBB268_572:
	s_or_b64 exec, exec, s[8:9]
	s_barrier
	s_and_saveexec_b64 s[0:1], vcc
	s_cbranch_execz .LBB268_577
; %bb.573:
	s_mul_i32 s0, s6, 0x78
	s_ashr_i32 s1, s0, 31
	s_lshl_b64 s[0:1], s[0:1], 1
	s_add_u32 s2, s30, s0
	s_mul_i32 s0, s29, s28
	s_addc_u32 s3, s31, s1
	s_ashr_i32 s1, s0, 31
	s_lshl_b64 s[0:1], s[0:1], 1
	s_add_u32 s2, s2, s0
	s_mul_i32 s0, s4, 0x78
	s_addc_u32 s3, s3, s1
	s_ashr_i32 s1, s0, 31
	s_lshl_b64 s[0:1], s[0:1], 1
	s_add_u32 s2, s2, s0
	s_movk_i32 s5, 0x78
	s_addc_u32 s3, s3, s1
	v_cmp_eq_u32_e32 vcc, 0, v29
	v_lshlrev_b32_e32 v1, 1, v0
	s_and_saveexec_b64 s[0:1], vcc
	s_cbranch_execz .LBB268_575
; %bb.574:
	;;#ASMSTART
	v_cvt_f16_f32 v4, v6;

	;;#ASMEND
	global_store_short v1, v4, s[2:3]
	;;#ASMSTART
	v_cvt_f16_f32 v4, v7;

	;;#ASMEND
	global_store_short v1, v4, s[2:3] offset:64
	;;#ASMSTART
	v_cvt_f16_f32 v2, v2;

	;;#ASMEND
	global_store_short v1, v2, s[2:3] offset:128
.LBB268_575:
	s_or_b64 exec, exec, s[0:1]
	v_or_b32_e32 v0, 0x60, v0
	v_cmp_gt_u32_e64 s[0:1], s5, v0
	s_and_b64 s[0:1], vcc, s[0:1]
	s_and_b64 exec, exec, s[0:1]
	s_cbranch_execz .LBB268_577
; %bb.576:
	;;#ASMSTART
	v_cvt_f16_f32 v0, v3;

	;;#ASMEND
	global_store_short v1, v0, s[2:3] offset:192
.LBB268_577:
	s_endpgm
.LBB268_578:
	v_mov_b32_e32 v1, 0x100
	v_lshl_add_u32 v1, v0, 2, v1
	ds_read_b32 v1, v1
	s_waitcnt lgkmcnt(0)
	v_add_f32_e32 v6, v6, v1
	s_or_b64 exec, exec, s[2:3]
	s_and_saveexec_b64 s[2:3], s[0:1]
	s_cbranch_execz .LBB268_567
.LBB268_579:
	v_mov_b32_e32 v1, 0x100
	v_lshl_add_u32 v1, v0, 2, v1
	ds_read_b32 v1, v1 offset:128
	s_waitcnt lgkmcnt(0)
	v_add_f32_e32 v7, v7, v1
	s_or_b64 exec, exec, s[2:3]
	s_and_saveexec_b64 s[2:3], s[0:1]
	s_cbranch_execnz .LBB268_568
	s_branch .LBB268_569
	.section	.rodata,"a",@progbits
	.p2align	6, 0x0
	.amdhsa_kernel _ZN4vllm25paged_attention_v2_kernelIthLi120ELi16ELi128ELNS_18Fp8KVCacheDataTypeE1ELb1ELi512EEEvPfS2_PT_PKS3_PKT0_S9_ifPKiSB_iPKfiiiSD_SD_iiiii
		.amdhsa_group_segment_fixed_size 256
		.amdhsa_private_segment_fixed_size 0
		.amdhsa_kernarg_size 400
		.amdhsa_user_sgpr_count 2
		.amdhsa_user_sgpr_dispatch_ptr 0
		.amdhsa_user_sgpr_queue_ptr 0
		.amdhsa_user_sgpr_kernarg_segment_ptr 1
		.amdhsa_user_sgpr_dispatch_id 0
		.amdhsa_user_sgpr_kernarg_preload_length 0
		.amdhsa_user_sgpr_kernarg_preload_offset 0
		.amdhsa_user_sgpr_private_segment_size 0
		.amdhsa_uses_dynamic_stack 0
		.amdhsa_enable_private_segment 0
		.amdhsa_system_sgpr_workgroup_id_x 1
		.amdhsa_system_sgpr_workgroup_id_y 1
		.amdhsa_system_sgpr_workgroup_id_z 1
		.amdhsa_system_sgpr_workgroup_info 0
		.amdhsa_system_vgpr_workitem_id 0
		.amdhsa_next_free_vgpr 71
		.amdhsa_next_free_sgpr 66
		.amdhsa_accum_offset 72
		.amdhsa_reserve_vcc 1
		.amdhsa_float_round_mode_32 0
		.amdhsa_float_round_mode_16_64 0
		.amdhsa_float_denorm_mode_32 3
		.amdhsa_float_denorm_mode_16_64 3
		.amdhsa_dx10_clamp 1
		.amdhsa_ieee_mode 1
		.amdhsa_fp16_overflow 0
		.amdhsa_tg_split 0
		.amdhsa_exception_fp_ieee_invalid_op 0
		.amdhsa_exception_fp_denorm_src 0
		.amdhsa_exception_fp_ieee_div_zero 0
		.amdhsa_exception_fp_ieee_overflow 0
		.amdhsa_exception_fp_ieee_underflow 0
		.amdhsa_exception_fp_ieee_inexact 0
		.amdhsa_exception_int_div_zero 0
	.end_amdhsa_kernel
	.section	.text._ZN4vllm25paged_attention_v2_kernelIthLi120ELi16ELi128ELNS_18Fp8KVCacheDataTypeE1ELb1ELi512EEEvPfS2_PT_PKS3_PKT0_S9_ifPKiSB_iPKfiiiSD_SD_iiiii,"axG",@progbits,_ZN4vllm25paged_attention_v2_kernelIthLi120ELi16ELi128ELNS_18Fp8KVCacheDataTypeE1ELb1ELi512EEEvPfS2_PT_PKS3_PKT0_S9_ifPKiSB_iPKfiiiSD_SD_iiiii,comdat
.Lfunc_end268:
	.size	_ZN4vllm25paged_attention_v2_kernelIthLi120ELi16ELi128ELNS_18Fp8KVCacheDataTypeE1ELb1ELi512EEEvPfS2_PT_PKS3_PKT0_S9_ifPKiSB_iPKfiiiSD_SD_iiiii, .Lfunc_end268-_ZN4vllm25paged_attention_v2_kernelIthLi120ELi16ELi128ELNS_18Fp8KVCacheDataTypeE1ELb1ELi512EEEvPfS2_PT_PKS3_PKT0_S9_ifPKiSB_iPKfiiiSD_SD_iiiii
                                        ; -- End function
	.section	.AMDGPU.csdata,"",@progbits
; Kernel info:
; codeLenInByte = 23808
; NumSgprs: 72
; NumVgprs: 71
; NumAgprs: 0
; TotalNumVgprs: 71
; ScratchSize: 0
; MemoryBound: 0
; FloatMode: 240
; IeeeMode: 1
; LDSByteSize: 256 bytes/workgroup (compile time only)
; SGPRBlocks: 8
; VGPRBlocks: 8
; NumSGPRsForWavesPerEU: 72
; NumVGPRsForWavesPerEU: 71
; AccumOffset: 72
; Occupancy: 7
; WaveLimiterHint : 1
; COMPUTE_PGM_RSRC2:SCRATCH_EN: 0
; COMPUTE_PGM_RSRC2:USER_SGPR: 2
; COMPUTE_PGM_RSRC2:TRAP_HANDLER: 0
; COMPUTE_PGM_RSRC2:TGID_X_EN: 1
; COMPUTE_PGM_RSRC2:TGID_Y_EN: 1
; COMPUTE_PGM_RSRC2:TGID_Z_EN: 1
; COMPUTE_PGM_RSRC2:TIDIG_COMP_CNT: 0
; COMPUTE_PGM_RSRC3_GFX90A:ACCUM_OFFSET: 17
; COMPUTE_PGM_RSRC3_GFX90A:TG_SPLIT: 0
	.section	.text._ZN4vllm25paged_attention_v2_kernelIthLi128ELi16ELi128ELNS_18Fp8KVCacheDataTypeE1ELb1ELi512EEEvPfS2_PT_PKS3_PKT0_S9_ifPKiSB_iPKfiiiSD_SD_iiiii,"axG",@progbits,_ZN4vllm25paged_attention_v2_kernelIthLi128ELi16ELi128ELNS_18Fp8KVCacheDataTypeE1ELb1ELi512EEEvPfS2_PT_PKS3_PKT0_S9_ifPKiSB_iPKfiiiSD_SD_iiiii,comdat
	.protected	_ZN4vllm25paged_attention_v2_kernelIthLi128ELi16ELi128ELNS_18Fp8KVCacheDataTypeE1ELb1ELi512EEEvPfS2_PT_PKS3_PKT0_S9_ifPKiSB_iPKfiiiSD_SD_iiiii ; -- Begin function _ZN4vllm25paged_attention_v2_kernelIthLi128ELi16ELi128ELNS_18Fp8KVCacheDataTypeE1ELb1ELi512EEEvPfS2_PT_PKS3_PKT0_S9_ifPKiSB_iPKfiiiSD_SD_iiiii
	.globl	_ZN4vllm25paged_attention_v2_kernelIthLi128ELi16ELi128ELNS_18Fp8KVCacheDataTypeE1ELb1ELi512EEEvPfS2_PT_PKS3_PKT0_S9_ifPKiSB_iPKfiiiSD_SD_iiiii
	.p2align	8
	.type	_ZN4vllm25paged_attention_v2_kernelIthLi128ELi16ELi128ELNS_18Fp8KVCacheDataTypeE1ELb1ELi512EEEvPfS2_PT_PKS3_PKT0_S9_ifPKiSB_iPKfiiiSD_SD_iiiii,@function
_ZN4vllm25paged_attention_v2_kernelIthLi128ELi16ELi128ELNS_18Fp8KVCacheDataTypeE1ELb1ELi512EEEvPfS2_PT_PKS3_PKT0_S9_ifPKiSB_iPKfiiiSD_SD_iiiii: ; @_ZN4vllm25paged_attention_v2_kernelIthLi128ELi16ELi128ELNS_18Fp8KVCacheDataTypeE1ELb1ELi512EEEvPfS2_PT_PKS3_PKT0_S9_ifPKiSB_iPKfiiiSD_SD_iiiii
; %bb.0:
	s_load_dwordx2 s[6:7], s[0:1], 0x40
	s_mov_b32 s36, s3
	s_ashr_i32 s37, s3, 31
	s_lshl_b64 s[8:9], s[36:37], 2
	s_waitcnt lgkmcnt(0)
	s_add_u32 s6, s6, s8
	s_addc_u32 s7, s7, s9
	s_load_dword s33, s[6:7], 0x0
	s_lshl_b32 s56, s4, 9
	s_waitcnt lgkmcnt(0)
	s_cmp_ge_i32 s56, s33
	s_cbranch_scc1 .LBB269_584
; %bb.1:
	s_load_dword s5, s[0:1], 0x90
	s_load_dwordx2 s[44:45], s[0:1], 0x30
	s_mov_b32 s57, 0
	s_waitcnt lgkmcnt(0)
	s_abs_i32 s7, s5
	s_abs_i32 s3, s44
	v_cvt_f32_u32_e32 v1, s3
	s_sub_i32 s8, 0, s3
	s_xor_b32 s6, s5, s44
	s_ashr_i32 s6, s6, 31
	v_rcp_iflag_f32_e32 v1, v1
	s_nop 0
	v_mul_f32_e32 v1, 0x4f7ffffe, v1
	v_cvt_u32_f32_e32 v1, v1
	s_nop 0
	v_readfirstlane_b32 s9, v1
	s_mul_i32 s8, s8, s9
	s_mul_hi_u32 s8, s9, s8
	s_add_i32 s9, s9, s8
	s_mul_hi_u32 s8, s7, s9
	s_mul_i32 s9, s8, s3
	s_sub_i32 s7, s7, s9
	s_add_i32 s10, s8, 1
	s_sub_i32 s9, s7, s3
	s_cmp_ge_u32 s7, s3
	s_cselect_b32 s8, s10, s8
	s_cselect_b32 s7, s9, s7
	s_add_i32 s9, s8, 1
	s_cmp_ge_u32 s7, s3
	s_cselect_b32 s3, s9, s8
	s_xor_b32 s3, s3, s6
	s_sub_i32 s10, s3, s6
	s_abs_i32 s8, s10
	v_cvt_f32_u32_e32 v1, s8
	s_load_dwordx2 s[6:7], s[0:1], 0x50
	s_sub_i32 s3, 0, s8
	s_abs_i32 s9, s2
	v_rcp_iflag_f32_e32 v1, v1
	s_nop 0
	v_mul_f32_e32 v1, 0x4f7ffffe, v1
	v_cvt_u32_f32_e32 v1, v1
	s_nop 0
	v_readfirstlane_b32 s11, v1
	s_mul_i32 s3, s3, s11
	s_mul_hi_u32 s3, s11, s3
	s_add_i32 s11, s11, s3
	s_waitcnt lgkmcnt(0)
	s_cmp_eq_u64 s[6:7], 0
	s_mul_hi_u32 s12, s9, s11
	s_cbranch_scc1 .LBB269_3
; %bb.2:
	s_ashr_i32 s3, s2, 31
	s_lshl_b64 s[14:15], s[2:3], 2
	s_add_u32 s6, s6, s14
	s_addc_u32 s7, s7, s15
	s_load_dword s57, s[6:7], 0x0
.LBB269_3:
	s_load_dwordx4 s[20:23], s[0:1], 0x58
	s_ashr_i32 s3, s2, 31
	s_ashr_i32 s13, s10, 31
	v_and_b32_e32 v9, 3, v0
	s_lshl_b32 s14, s2, 7
	v_cmp_gt_u32_e64 s[10:11], 64, v0
	s_and_saveexec_b64 s[6:7], s[10:11]
	s_cbranch_execz .LBB269_5
; %bb.4:
	s_load_dwordx2 s[16:17], s[0:1], 0x18
	s_waitcnt lgkmcnt(0)
	s_mul_i32 s18, s36, s20
	s_ashr_i32 s19, s18, 31
	s_lshl_b64 s[18:19], s[18:19], 1
	v_lshlrev_b32_e32 v1, 2, v0
	s_add_u32 s18, s16, s18
	s_addc_u32 s19, s17, s19
	s_ashr_i32 s15, s14, 31
	s_lshl_b64 s[16:17], s[14:15], 1
	s_add_u32 s16, s18, s16
	s_addc_u32 s17, s19, s17
	global_load_dword v1, v1, s[16:17]
	v_and_b32_e32 v2, 0x3fc, v0
	v_lshl_add_u32 v2, v9, 6, v2
	s_waitcnt vmcnt(0)
	ds_write_b32 v2, v1
.LBB269_5:
	s_or_b64 exec, exec, s[6:7]
	s_mul_i32 s6, s12, s8
	s_sub_i32 s6, s9, s6
	s_xor_b32 s3, s3, s13
	s_add_i32 s7, s12, 1
	s_sub_i32 s9, s6, s8
	s_load_dwordx4 s[24:27], s[0:1], 0x78
	s_cmp_ge_u32 s6, s8
	s_cselect_b32 s7, s7, s12
	s_cselect_b32 s6, s9, s6
	s_add_i32 s9, s7, 1
	s_cmp_ge_u32 s6, s8
	s_cselect_b32 s6, s9, s7
	s_load_dword s9, s[0:1], 0x88
	s_waitcnt lgkmcnt(0)
	s_abs_i32 s37, s27
	v_cvt_f32_u32_e32 v1, s37
	s_xor_b32 s6, s6, s3
	s_sub_i32 s55, s6, s3
	s_sub_i32 s6, 0, s37
	v_rcp_iflag_f32_e32 v1, v1
	s_add_i32 s12, s33, -1
	s_abs_i32 s3, s12
	v_mul_f32_e32 v1, 0x4f7ffffe, v1
	v_cvt_u32_f32_e32 v1, v1
	s_barrier
	v_readfirstlane_b32 s54, v1
	s_mul_i32 s6, s6, s54
	s_mul_hi_u32 s6, s54, s6
	s_add_i32 s54, s54, s6
	s_cmp_lt_i32 s9, 0
	s_mul_hi_u32 s8, s3, s54
	s_cbranch_scc0 .LBB269_7
; %bb.6:
	s_mul_i32 s6, s24, s44
	s_add_i32 s6, s55, s6
	s_mul_i32 s6, s6, s9
	s_sub_i32 s44, 1, s6
	s_mov_b64 s[6:7], 0
	s_branch .LBB269_8
.LBB269_7:
	s_mov_b64 s[6:7], -1
                                        ; implicit-def: $sgpr44
.LBB269_8:
	s_load_dwordx2 s[38:39], s[0:1], 0x38
	s_ashr_i32 s12, s12, 31
	s_andn2_b64 vcc, exec, s[6:7]
	s_ashr_i32 s27, s27, 31
	s_cbranch_vccnz .LBB269_10
; %bb.9:
	s_mul_i32 s6, s5, s24
	s_add_i32 s6, s6, s2
	s_mul_i32 s6, s6, s9
	s_add_i32 s44, s6, 1
.LBB269_10:
	s_load_dwordx2 s[42:43], s[0:1], 0x28
	s_load_dword s6, s[0:1], 0x48
	s_load_dwordx4 s[28:31], s[0:1], 0x0
	s_load_dwordx2 s[34:35], s[0:1], 0x10
	s_load_dword s15, s[0:1], 0x98
	s_load_dwordx4 s[16:19], s[0:1], 0x68
	s_mul_i32 s7, s8, s37
	s_waitcnt lgkmcnt(0)
	s_mul_i32 s40, s36, s6
	s_sub_i32 s3, s3, s7
	s_ashr_i32 s41, s40, 31
	s_xor_b32 s6, s12, s27
	s_add_i32 s7, s8, 1
	s_sub_i32 s9, s3, s37
	s_cmp_ge_u32 s3, s37
	s_cselect_b32 s7, s7, s8
	s_cselect_b32 s3, s9, s3
	s_add_i32 s8, s7, 1
	s_cmp_ge_u32 s3, s37
	s_cselect_b32 s3, s8, s7
	s_xor_b32 s3, s3, s6
	s_sub_i32 s20, s3, s6
	s_add_i32 s3, s33, 15
	s_ashr_i32 s6, s3, 31
	s_lshr_b32 s6, s6, 28
	s_add_i32 s3, s3, s6
	s_lshl_b32 s58, s4, 5
	s_ashr_i32 s3, s3, 4
	s_add_i32 s6, s58, 32
	v_lshrrev_b32_e32 v14, 6, v0
	s_min_i32 s24, s6, s3
	v_or_b32_e32 v6, s58, v14
	v_cmp_gt_i32_e64 s[6:7], s24, v6
	v_mov_b32_e32 v18, 0xff7fffff
	s_mul_i32 s55, s55, s22
	v_ashrrev_i32_e32 v7, 31, v6
	v_lshl_add_u32 v1, v14, 4, s56
	v_mbcnt_lo_u32_b32 v15, -1, 0
	s_and_saveexec_b64 s[22:23], s[6:7]
	s_cbranch_execz .LBB269_276
; %bb.11:
	s_load_dwordx2 s[0:1], s[0:1], 0x20
	s_sub_i32 s59, s20, s25
	s_ashr_i32 s8, s55, 31
	v_bfe_u32 v16, v0, 2, 4
	v_lshlrev_b32_e32 v2, 4, v16
	s_waitcnt lgkmcnt(0)
	s_add_u32 s0, s0, s55
	s_addc_u32 s1, s1, s8
	s_abs_i32 s60, s26
	v_cvt_f32_u32_e32 v4, s60
	v_mov_b32_e32 v3, 0
	v_cmp_eq_u32_e32 vcc, 0, v9
	s_mov_b32 s61, s21
	v_rcp_iflag_f32_e32 v10, v4
	v_lshl_add_u64 v[4:5], s[0:1], 0, v[2:3]
	s_sub_i32 s0, 0, s60
	v_lshlrev_b32_e32 v8, 1, v9
	v_mul_f32_e32 v2, 0x4f7ffffe, v10
	v_cvt_u32_f32_e32 v2, v2
	v_lshlrev_b32_e32 v17, 6, v9
	v_cmp_neq_f32_e64 s[8:9], s57, 0
	v_mov_b32_e32 v9, v3
	v_mul_lo_u32 v10, s0, v2
	v_mul_hi_u32 v10, v2, v10
	v_add_u32_e32 v19, v2, v10
	s_lshl_b64 s[0:1], s[40:41], 2
	v_lshlrev_b32_e32 v2, 2, v16
	s_add_u32 s0, s38, s0
	v_lshl_or_b32 v2, v14, 6, v2
	s_addc_u32 s1, s39, s1
	v_add_u32_e32 v21, 0x110, v2
	v_subrev_u32_e32 v2, s33, v16
	v_lshl_add_u64 v[10:11], v[6:7], 2, s[0:1]
	v_lshl_add_u32 v20, v14, 4, s56
	v_add_u32_e32 v22, 1, v2
	s_mov_b64 s[46:47], 0
	v_mov_b32_e32 v23, 0xff7fffff
	s_movk_i32 s62, 0x7f
	s_movk_i32 s63, 0x80
	s_mov_b32 s64, 0x8000
	v_mov_b32_e32 v24, 0x1c00
	v_mbcnt_hi_u32_b32 v25, -1, v15
	v_mov_b32_e32 v18, 0xff7fffff
	v_mov_b32_e32 v26, v6
	s_branch .LBB269_14
.LBB269_12:                             ;   in Loop: Header=BB269_14 Depth=1
	s_or_b64 exec, exec, s[48:49]
.LBB269_13:                             ;   in Loop: Header=BB269_14 Depth=1
	s_or_b64 exec, exec, s[12:13]
	v_add_u32_e32 v26, 2, v26
	v_cmp_le_i32_e64 s[0:1], s24, v26
	v_lshl_add_u64 v[10:11], v[10:11], 0, 8
	v_add_u32_e32 v20, 32, v20
	s_or_b64 s[46:47], s[0:1], s[46:47]
	v_add_u32_e32 v21, 0x80, v21
	s_andn2_b64 exec, exec, s[46:47]
	s_cbranch_execz .LBB269_275
.LBB269_14:                             ; =>This Inner Loop Header: Depth=1
	s_waitcnt lgkmcnt(0)
	v_sub_u32_e32 v12, 0, v20
	v_max_i32_e32 v12, v20, v12
	v_mul_hi_u32 v13, v12, s54
	v_mul_lo_u32 v27, v13, s37
	v_sub_u32_e32 v12, v12, v27
	v_add_u32_e32 v27, 1, v13
	v_cmp_le_u32_e64 s[0:1], s37, v12
	v_ashrrev_i32_e32 v2, 31, v20
	v_xor_b32_e32 v2, s27, v2
	v_cndmask_b32_e64 v13, v13, v27, s[0:1]
	v_subrev_u32_e32 v27, s37, v12
	v_cndmask_b32_e64 v12, v12, v27, s[0:1]
	v_add_u32_e32 v27, 1, v13
	v_cmp_le_u32_e64 s[0:1], s37, v12
	s_nop 1
	v_cndmask_b32_e64 v12, v13, v27, s[0:1]
	v_xor_b32_e32 v12, v12, v2
	v_sub_u32_e32 v2, v12, v2
	v_add_u32_e32 v12, s44, v2
	v_sub_u32_e32 v27, 0, v12
	v_ashrrev_i32_e32 v13, 31, v12
	v_max_i32_e32 v12, v12, v27
	v_mul_hi_u32 v27, v12, v19
	v_mul_lo_u32 v27, v27, s60
	v_sub_u32_e32 v12, v12, v27
	v_subrev_u32_e32 v27, s60, v12
	v_cmp_le_u32_e64 s[0:1], s60, v12
	v_cmp_ge_i32_e64 s[12:13], s59, v2
	s_nop 0
	v_cndmask_b32_e64 v12, v12, v27, s[0:1]
	v_subrev_u32_e32 v27, s60, v12
	v_cmp_le_u32_e64 s[0:1], s60, v12
	s_nop 1
	v_cndmask_b32_e64 v12, v12, v27, s[0:1]
	v_xor_b32_e32 v12, v12, v13
	v_sub_u32_e32 v12, v12, v13
	v_cmp_ne_u32_e64 s[0:1], 0, v12
	s_and_b64 s[0:1], s[0:1], s[12:13]
	s_and_b64 s[48:49], vcc, s[0:1]
	s_and_saveexec_b64 s[12:13], s[48:49]
	s_cbranch_execz .LBB269_16
; %bb.15:                               ;   in Loop: Header=BB269_14 Depth=1
	ds_write_b32 v21, v23
.LBB269_16:                             ;   in Loop: Header=BB269_14 Depth=1
	s_or_b64 exec, exec, s[12:13]
	s_xor_b64 s[0:1], s[0:1], -1
	s_and_saveexec_b64 s[12:13], s[0:1]
	s_cbranch_execz .LBB269_13
; %bb.17:                               ;   in Loop: Header=BB269_14 Depth=1
	global_load_dword v2, v[10:11], off
                                        ; implicit-def: $sgpr52
	s_waitcnt vmcnt(0)
	v_mad_i64_i32 v[12:13], s[0:1], v2, s61, v[4:5]
	v_lshl_add_u64 v[12:13], v[12:13], 0, v[8:9]
	global_load_ushort v2, v[12:13], off
	global_load_dword v27, v3, s[16:17]
	s_mov_b64 s[0:1], 0
	s_waitcnt vmcnt(1)
	v_cmp_gt_i16_sdwa s[48:49], v2, s62 src0_sel:BYTE_0 src1_sel:DWORD
	s_and_saveexec_b64 s[50:51], s[48:49]
	s_xor_b64 s[48:49], exec, s[50:51]
	s_cbranch_execnz .LBB269_147
; %bb.18:                               ;   in Loop: Header=BB269_14 Depth=1
	s_or_saveexec_b64 s[48:49], s[48:49]
	v_mov_b32_e32 v28, s52
	s_xor_b64 exec, exec, s[48:49]
	s_cbranch_execnz .LBB269_150
.LBB269_19:                             ;   in Loop: Header=BB269_14 Depth=1
	s_or_b64 exec, exec, s[48:49]
	v_and_b32_e32 v2, 0xffff, v2
	s_and_saveexec_b64 s[48:49], s[0:1]
	s_cbranch_execz .LBB269_21
.LBB269_20:                             ;   in Loop: Header=BB269_14 Depth=1
	v_and_b32_e32 v30, 7, v2
	v_ffbh_u32_e32 v28, v30
	v_min_u32_e32 v32, 32, v28
	v_subrev_u32_e32 v28, 28, v32
	v_bfe_u32 v31, v2, 3, 4
	v_lshlrev_b64 v[28:29], v28, v[2:3]
	v_sub_u32_e32 v29, 29, v32
	v_cmp_eq_u32_e64 s[0:1], 0, v31
	v_and_b32_e32 v28, 7, v28
	s_nop 0
	v_cndmask_b32_e64 v29, v31, v29, s[0:1]
	v_cndmask_b32_e64 v28, v30, v28, s[0:1]
	v_lshlrev_b32_e32 v30, 8, v2
	v_lshl_add_u32 v29, v29, 10, v24
	v_and_or_b32 v29, v30, s64, v29
	v_lshl_or_b32 v28, v28, 7, v29
	v_cvt_f32_f16_e32 v28, v28
.LBB269_21:                             ;   in Loop: Header=BB269_14 Depth=1
	s_or_b64 exec, exec, s[48:49]
	v_lshrrev_b16_e32 v2, 8, v2
	v_cmp_lt_i16_e64 s[0:1], s62, v2
	s_mov_b64 s[48:49], 0
                                        ; implicit-def: $sgpr65
	s_and_saveexec_b64 s[50:51], s[0:1]
	s_xor_b64 s[50:51], exec, s[50:51]
	s_cbranch_execnz .LBB269_151
; %bb.22:                               ;   in Loop: Header=BB269_14 Depth=1
	s_or_saveexec_b64 s[50:51], s[50:51]
	v_mov_b32_e32 v29, s65
	s_xor_b64 exec, exec, s[50:51]
	s_cbranch_execnz .LBB269_154
.LBB269_23:                             ;   in Loop: Header=BB269_14 Depth=1
	s_or_b64 exec, exec, s[50:51]
	s_and_saveexec_b64 s[50:51], s[48:49]
	s_cbranch_execz .LBB269_25
.LBB269_24:                             ;   in Loop: Header=BB269_14 Depth=1
	v_and_b32_e32 v29, 7, v2
	v_ffbh_u32_e32 v30, v29
	v_min_u32_e32 v33, 32, v30
	v_subrev_u32_e32 v30, 28, v33
	v_bfe_u32 v32, v2, 3, 4
	v_lshlrev_b64 v[30:31], v30, v[2:3]
	v_sub_u32_e32 v31, 29, v33
	v_cmp_eq_u32_e64 s[0:1], 0, v32
	v_and_b32_e32 v30, 7, v30
	v_lshlrev_b32_e32 v2, 8, v2
	v_cndmask_b32_e64 v31, v32, v31, s[0:1]
	v_cndmask_b32_e64 v29, v29, v30, s[0:1]
	v_lshl_add_u32 v30, v31, 10, v24
	v_and_or_b32 v2, v2, s64, v30
	v_lshl_or_b32 v2, v29, 7, v2
	v_cvt_f32_f16_e32 v29, v2
.LBB269_25:                             ;   in Loop: Header=BB269_14 Depth=1
	s_or_b64 exec, exec, s[50:51]
	global_load_ushort v2, v[12:13], off offset:8
	s_mov_b64 s[0:1], 0
                                        ; implicit-def: $sgpr52
	s_waitcnt vmcnt(0)
	v_cmp_gt_i16_sdwa s[48:49], v2, s62 src0_sel:BYTE_0 src1_sel:DWORD
	s_and_saveexec_b64 s[50:51], s[48:49]
	s_xor_b64 s[48:49], exec, s[50:51]
	s_cbranch_execnz .LBB269_155
; %bb.26:                               ;   in Loop: Header=BB269_14 Depth=1
	s_or_saveexec_b64 s[48:49], s[48:49]
	v_mov_b32_e32 v30, s52
	s_xor_b64 exec, exec, s[48:49]
	s_cbranch_execnz .LBB269_158
.LBB269_27:                             ;   in Loop: Header=BB269_14 Depth=1
	s_or_b64 exec, exec, s[48:49]
	v_and_b32_e32 v2, 0xffff, v2
	s_and_saveexec_b64 s[48:49], s[0:1]
	s_cbranch_execz .LBB269_29
.LBB269_28:                             ;   in Loop: Header=BB269_14 Depth=1
	v_and_b32_e32 v32, 7, v2
	v_ffbh_u32_e32 v30, v32
	v_min_u32_e32 v34, 32, v30
	v_subrev_u32_e32 v30, 28, v34
	v_bfe_u32 v33, v2, 3, 4
	v_lshlrev_b64 v[30:31], v30, v[2:3]
	v_sub_u32_e32 v31, 29, v34
	v_cmp_eq_u32_e64 s[0:1], 0, v33
	v_and_b32_e32 v30, 7, v30
	s_nop 0
	v_cndmask_b32_e64 v31, v33, v31, s[0:1]
	v_cndmask_b32_e64 v30, v32, v30, s[0:1]
	v_lshlrev_b32_e32 v32, 8, v2
	v_lshl_add_u32 v31, v31, 10, v24
	v_and_or_b32 v31, v32, s64, v31
	v_lshl_or_b32 v30, v30, 7, v31
	v_cvt_f32_f16_e32 v30, v30
.LBB269_29:                             ;   in Loop: Header=BB269_14 Depth=1
	s_or_b64 exec, exec, s[48:49]
	v_lshrrev_b16_e32 v2, 8, v2
	v_cmp_lt_i16_e64 s[0:1], s62, v2
	s_mov_b64 s[48:49], 0
                                        ; implicit-def: $sgpr65
	s_and_saveexec_b64 s[50:51], s[0:1]
	s_xor_b64 s[50:51], exec, s[50:51]
	s_cbranch_execnz .LBB269_159
; %bb.30:                               ;   in Loop: Header=BB269_14 Depth=1
	s_or_saveexec_b64 s[50:51], s[50:51]
	v_mov_b32_e32 v31, s65
	s_xor_b64 exec, exec, s[50:51]
	s_cbranch_execnz .LBB269_162
.LBB269_31:                             ;   in Loop: Header=BB269_14 Depth=1
	s_or_b64 exec, exec, s[50:51]
	s_and_saveexec_b64 s[50:51], s[48:49]
	s_cbranch_execz .LBB269_33
.LBB269_32:                             ;   in Loop: Header=BB269_14 Depth=1
	v_and_b32_e32 v31, 7, v2
	v_ffbh_u32_e32 v32, v31
	v_min_u32_e32 v35, 32, v32
	v_subrev_u32_e32 v32, 28, v35
	v_bfe_u32 v34, v2, 3, 4
	v_lshlrev_b64 v[32:33], v32, v[2:3]
	v_sub_u32_e32 v33, 29, v35
	v_cmp_eq_u32_e64 s[0:1], 0, v34
	v_and_b32_e32 v32, 7, v32
	v_lshlrev_b32_e32 v2, 8, v2
	v_cndmask_b32_e64 v33, v34, v33, s[0:1]
	v_cndmask_b32_e64 v31, v31, v32, s[0:1]
	v_lshl_add_u32 v32, v33, 10, v24
	v_and_or_b32 v2, v2, s64, v32
	v_lshl_or_b32 v2, v31, 7, v2
	v_cvt_f32_f16_e32 v31, v2
.LBB269_33:                             ;   in Loop: Header=BB269_14 Depth=1
	s_or_b64 exec, exec, s[50:51]
	global_load_ushort v2, v[12:13], off offset:256
	s_mov_b64 s[0:1], 0
                                        ; implicit-def: $sgpr52
	s_waitcnt vmcnt(0)
	v_cmp_gt_i16_sdwa s[48:49], v2, s62 src0_sel:BYTE_0 src1_sel:DWORD
	s_and_saveexec_b64 s[50:51], s[48:49]
	s_xor_b64 s[48:49], exec, s[50:51]
	s_cbranch_execnz .LBB269_163
; %bb.34:                               ;   in Loop: Header=BB269_14 Depth=1
	s_or_saveexec_b64 s[48:49], s[48:49]
	v_mov_b32_e32 v32, s52
	s_xor_b64 exec, exec, s[48:49]
	s_cbranch_execnz .LBB269_166
.LBB269_35:                             ;   in Loop: Header=BB269_14 Depth=1
	s_or_b64 exec, exec, s[48:49]
	v_and_b32_e32 v2, 0xffff, v2
	s_and_saveexec_b64 s[48:49], s[0:1]
	s_cbranch_execz .LBB269_37
.LBB269_36:                             ;   in Loop: Header=BB269_14 Depth=1
	v_and_b32_e32 v34, 7, v2
	v_ffbh_u32_e32 v32, v34
	v_min_u32_e32 v36, 32, v32
	v_subrev_u32_e32 v32, 28, v36
	v_bfe_u32 v35, v2, 3, 4
	v_lshlrev_b64 v[32:33], v32, v[2:3]
	v_sub_u32_e32 v33, 29, v36
	v_cmp_eq_u32_e64 s[0:1], 0, v35
	v_and_b32_e32 v32, 7, v32
	s_nop 0
	v_cndmask_b32_e64 v33, v35, v33, s[0:1]
	v_cndmask_b32_e64 v32, v34, v32, s[0:1]
	v_lshlrev_b32_e32 v34, 8, v2
	v_lshl_add_u32 v33, v33, 10, v24
	v_and_or_b32 v33, v34, s64, v33
	v_lshl_or_b32 v32, v32, 7, v33
	v_cvt_f32_f16_e32 v32, v32
.LBB269_37:                             ;   in Loop: Header=BB269_14 Depth=1
	s_or_b64 exec, exec, s[48:49]
	v_lshrrev_b16_e32 v2, 8, v2
	v_cmp_lt_i16_e64 s[0:1], s62, v2
	s_mov_b64 s[48:49], 0
                                        ; implicit-def: $sgpr65
	s_and_saveexec_b64 s[50:51], s[0:1]
	s_xor_b64 s[50:51], exec, s[50:51]
	s_cbranch_execnz .LBB269_167
; %bb.38:                               ;   in Loop: Header=BB269_14 Depth=1
	s_or_saveexec_b64 s[50:51], s[50:51]
	v_mov_b32_e32 v33, s65
	s_xor_b64 exec, exec, s[50:51]
	s_cbranch_execnz .LBB269_170
.LBB269_39:                             ;   in Loop: Header=BB269_14 Depth=1
	s_or_b64 exec, exec, s[50:51]
	s_and_saveexec_b64 s[50:51], s[48:49]
	s_cbranch_execz .LBB269_41
.LBB269_40:                             ;   in Loop: Header=BB269_14 Depth=1
	v_and_b32_e32 v33, 7, v2
	v_ffbh_u32_e32 v34, v33
	v_min_u32_e32 v37, 32, v34
	v_subrev_u32_e32 v34, 28, v37
	v_bfe_u32 v36, v2, 3, 4
	v_lshlrev_b64 v[34:35], v34, v[2:3]
	v_sub_u32_e32 v35, 29, v37
	v_cmp_eq_u32_e64 s[0:1], 0, v36
	v_and_b32_e32 v34, 7, v34
	v_lshlrev_b32_e32 v2, 8, v2
	v_cndmask_b32_e64 v35, v36, v35, s[0:1]
	v_cndmask_b32_e64 v33, v33, v34, s[0:1]
	v_lshl_add_u32 v34, v35, 10, v24
	v_and_or_b32 v2, v2, s64, v34
	v_lshl_or_b32 v2, v33, 7, v2
	v_cvt_f32_f16_e32 v33, v2
.LBB269_41:                             ;   in Loop: Header=BB269_14 Depth=1
	s_or_b64 exec, exec, s[50:51]
	global_load_ushort v2, v[12:13], off offset:264
	s_mov_b64 s[0:1], 0
                                        ; implicit-def: $sgpr52
	s_waitcnt vmcnt(0)
	v_cmp_gt_i16_sdwa s[48:49], v2, s62 src0_sel:BYTE_0 src1_sel:DWORD
	s_and_saveexec_b64 s[50:51], s[48:49]
	s_xor_b64 s[48:49], exec, s[50:51]
	s_cbranch_execnz .LBB269_171
; %bb.42:                               ;   in Loop: Header=BB269_14 Depth=1
	s_or_saveexec_b64 s[48:49], s[48:49]
	v_mov_b32_e32 v34, s52
	s_xor_b64 exec, exec, s[48:49]
	s_cbranch_execnz .LBB269_174
.LBB269_43:                             ;   in Loop: Header=BB269_14 Depth=1
	s_or_b64 exec, exec, s[48:49]
	v_and_b32_e32 v2, 0xffff, v2
	s_and_saveexec_b64 s[48:49], s[0:1]
	s_cbranch_execz .LBB269_45
.LBB269_44:                             ;   in Loop: Header=BB269_14 Depth=1
	v_and_b32_e32 v36, 7, v2
	v_ffbh_u32_e32 v34, v36
	v_min_u32_e32 v38, 32, v34
	v_subrev_u32_e32 v34, 28, v38
	v_bfe_u32 v37, v2, 3, 4
	v_lshlrev_b64 v[34:35], v34, v[2:3]
	v_sub_u32_e32 v35, 29, v38
	v_cmp_eq_u32_e64 s[0:1], 0, v37
	v_and_b32_e32 v34, 7, v34
	s_nop 0
	v_cndmask_b32_e64 v35, v37, v35, s[0:1]
	v_cndmask_b32_e64 v34, v36, v34, s[0:1]
	v_lshlrev_b32_e32 v36, 8, v2
	v_lshl_add_u32 v35, v35, 10, v24
	v_and_or_b32 v35, v36, s64, v35
	v_lshl_or_b32 v34, v34, 7, v35
	v_cvt_f32_f16_e32 v34, v34
.LBB269_45:                             ;   in Loop: Header=BB269_14 Depth=1
	s_or_b64 exec, exec, s[48:49]
	v_lshrrev_b16_e32 v2, 8, v2
	v_cmp_lt_i16_e64 s[0:1], s62, v2
	s_mov_b64 s[48:49], 0
                                        ; implicit-def: $sgpr65
	s_and_saveexec_b64 s[50:51], s[0:1]
	s_xor_b64 s[50:51], exec, s[50:51]
	s_cbranch_execnz .LBB269_175
; %bb.46:                               ;   in Loop: Header=BB269_14 Depth=1
	s_or_saveexec_b64 s[50:51], s[50:51]
	v_mov_b32_e32 v35, s65
	s_xor_b64 exec, exec, s[50:51]
	s_cbranch_execnz .LBB269_178
.LBB269_47:                             ;   in Loop: Header=BB269_14 Depth=1
	s_or_b64 exec, exec, s[50:51]
	s_and_saveexec_b64 s[50:51], s[48:49]
	s_cbranch_execz .LBB269_49
.LBB269_48:                             ;   in Loop: Header=BB269_14 Depth=1
	v_and_b32_e32 v35, 7, v2
	v_ffbh_u32_e32 v36, v35
	v_min_u32_e32 v39, 32, v36
	v_subrev_u32_e32 v36, 28, v39
	v_bfe_u32 v38, v2, 3, 4
	v_lshlrev_b64 v[36:37], v36, v[2:3]
	v_sub_u32_e32 v37, 29, v39
	v_cmp_eq_u32_e64 s[0:1], 0, v38
	v_and_b32_e32 v36, 7, v36
	v_lshlrev_b32_e32 v2, 8, v2
	v_cndmask_b32_e64 v37, v38, v37, s[0:1]
	v_cndmask_b32_e64 v35, v35, v36, s[0:1]
	v_lshl_add_u32 v36, v37, 10, v24
	v_and_or_b32 v2, v2, s64, v36
	v_lshl_or_b32 v2, v35, 7, v2
	v_cvt_f32_f16_e32 v35, v2
.LBB269_49:                             ;   in Loop: Header=BB269_14 Depth=1
	s_or_b64 exec, exec, s[50:51]
	global_load_ushort v2, v[12:13], off offset:512
	s_mov_b64 s[0:1], 0
                                        ; implicit-def: $sgpr52
	s_waitcnt vmcnt(0)
	v_cmp_gt_i16_sdwa s[48:49], v2, s62 src0_sel:BYTE_0 src1_sel:DWORD
	s_and_saveexec_b64 s[50:51], s[48:49]
	s_xor_b64 s[48:49], exec, s[50:51]
	s_cbranch_execnz .LBB269_179
; %bb.50:                               ;   in Loop: Header=BB269_14 Depth=1
	s_or_saveexec_b64 s[48:49], s[48:49]
	v_mov_b32_e32 v36, s52
	s_xor_b64 exec, exec, s[48:49]
	s_cbranch_execnz .LBB269_182
.LBB269_51:                             ;   in Loop: Header=BB269_14 Depth=1
	s_or_b64 exec, exec, s[48:49]
	v_and_b32_e32 v2, 0xffff, v2
	s_and_saveexec_b64 s[48:49], s[0:1]
	s_cbranch_execz .LBB269_53
.LBB269_52:                             ;   in Loop: Header=BB269_14 Depth=1
	v_and_b32_e32 v38, 7, v2
	v_ffbh_u32_e32 v36, v38
	v_min_u32_e32 v40, 32, v36
	v_subrev_u32_e32 v36, 28, v40
	v_bfe_u32 v39, v2, 3, 4
	v_lshlrev_b64 v[36:37], v36, v[2:3]
	v_sub_u32_e32 v37, 29, v40
	v_cmp_eq_u32_e64 s[0:1], 0, v39
	v_and_b32_e32 v36, 7, v36
	s_nop 0
	v_cndmask_b32_e64 v37, v39, v37, s[0:1]
	v_cndmask_b32_e64 v36, v38, v36, s[0:1]
	v_lshlrev_b32_e32 v38, 8, v2
	v_lshl_add_u32 v37, v37, 10, v24
	v_and_or_b32 v37, v38, s64, v37
	v_lshl_or_b32 v36, v36, 7, v37
	v_cvt_f32_f16_e32 v36, v36
.LBB269_53:                             ;   in Loop: Header=BB269_14 Depth=1
	s_or_b64 exec, exec, s[48:49]
	v_lshrrev_b16_e32 v2, 8, v2
	v_cmp_lt_i16_e64 s[0:1], s62, v2
	s_mov_b64 s[48:49], 0
                                        ; implicit-def: $sgpr65
	s_and_saveexec_b64 s[50:51], s[0:1]
	s_xor_b64 s[50:51], exec, s[50:51]
	s_cbranch_execnz .LBB269_183
; %bb.54:                               ;   in Loop: Header=BB269_14 Depth=1
	s_or_saveexec_b64 s[50:51], s[50:51]
	v_mov_b32_e32 v37, s65
	s_xor_b64 exec, exec, s[50:51]
	s_cbranch_execnz .LBB269_186
.LBB269_55:                             ;   in Loop: Header=BB269_14 Depth=1
	s_or_b64 exec, exec, s[50:51]
	s_and_saveexec_b64 s[50:51], s[48:49]
	s_cbranch_execz .LBB269_57
.LBB269_56:                             ;   in Loop: Header=BB269_14 Depth=1
	v_and_b32_e32 v37, 7, v2
	v_ffbh_u32_e32 v38, v37
	v_min_u32_e32 v41, 32, v38
	v_subrev_u32_e32 v38, 28, v41
	v_bfe_u32 v40, v2, 3, 4
	v_lshlrev_b64 v[38:39], v38, v[2:3]
	v_sub_u32_e32 v39, 29, v41
	v_cmp_eq_u32_e64 s[0:1], 0, v40
	v_and_b32_e32 v38, 7, v38
	v_lshlrev_b32_e32 v2, 8, v2
	v_cndmask_b32_e64 v39, v40, v39, s[0:1]
	v_cndmask_b32_e64 v37, v37, v38, s[0:1]
	v_lshl_add_u32 v38, v39, 10, v24
	v_and_or_b32 v2, v2, s64, v38
	v_lshl_or_b32 v2, v37, 7, v2
	v_cvt_f32_f16_e32 v37, v2
.LBB269_57:                             ;   in Loop: Header=BB269_14 Depth=1
	s_or_b64 exec, exec, s[50:51]
	global_load_ushort v2, v[12:13], off offset:520
	s_mov_b64 s[0:1], 0
                                        ; implicit-def: $sgpr52
	s_waitcnt vmcnt(0)
	v_cmp_gt_i16_sdwa s[48:49], v2, s62 src0_sel:BYTE_0 src1_sel:DWORD
	s_and_saveexec_b64 s[50:51], s[48:49]
	s_xor_b64 s[48:49], exec, s[50:51]
	s_cbranch_execnz .LBB269_187
; %bb.58:                               ;   in Loop: Header=BB269_14 Depth=1
	s_or_saveexec_b64 s[48:49], s[48:49]
	v_mov_b32_e32 v38, s52
	s_xor_b64 exec, exec, s[48:49]
	s_cbranch_execnz .LBB269_190
.LBB269_59:                             ;   in Loop: Header=BB269_14 Depth=1
	s_or_b64 exec, exec, s[48:49]
	v_and_b32_e32 v2, 0xffff, v2
	s_and_saveexec_b64 s[48:49], s[0:1]
	s_cbranch_execz .LBB269_61
.LBB269_60:                             ;   in Loop: Header=BB269_14 Depth=1
	v_and_b32_e32 v40, 7, v2
	v_ffbh_u32_e32 v38, v40
	v_min_u32_e32 v42, 32, v38
	v_subrev_u32_e32 v38, 28, v42
	v_bfe_u32 v41, v2, 3, 4
	v_lshlrev_b64 v[38:39], v38, v[2:3]
	v_sub_u32_e32 v39, 29, v42
	v_cmp_eq_u32_e64 s[0:1], 0, v41
	v_and_b32_e32 v38, 7, v38
	s_nop 0
	v_cndmask_b32_e64 v39, v41, v39, s[0:1]
	v_cndmask_b32_e64 v38, v40, v38, s[0:1]
	v_lshlrev_b32_e32 v40, 8, v2
	v_lshl_add_u32 v39, v39, 10, v24
	v_and_or_b32 v39, v40, s64, v39
	v_lshl_or_b32 v38, v38, 7, v39
	v_cvt_f32_f16_e32 v38, v38
.LBB269_61:                             ;   in Loop: Header=BB269_14 Depth=1
	s_or_b64 exec, exec, s[48:49]
	v_lshrrev_b16_e32 v2, 8, v2
	v_cmp_lt_i16_e64 s[0:1], s62, v2
	s_mov_b64 s[48:49], 0
                                        ; implicit-def: $sgpr65
	s_and_saveexec_b64 s[50:51], s[0:1]
	s_xor_b64 s[50:51], exec, s[50:51]
	s_cbranch_execnz .LBB269_191
; %bb.62:                               ;   in Loop: Header=BB269_14 Depth=1
	s_or_saveexec_b64 s[50:51], s[50:51]
	v_mov_b32_e32 v39, s65
	s_xor_b64 exec, exec, s[50:51]
	s_cbranch_execnz .LBB269_194
.LBB269_63:                             ;   in Loop: Header=BB269_14 Depth=1
	s_or_b64 exec, exec, s[50:51]
	s_and_saveexec_b64 s[50:51], s[48:49]
	s_cbranch_execz .LBB269_65
.LBB269_64:                             ;   in Loop: Header=BB269_14 Depth=1
	v_and_b32_e32 v39, 7, v2
	v_ffbh_u32_e32 v40, v39
	v_min_u32_e32 v43, 32, v40
	v_subrev_u32_e32 v40, 28, v43
	v_bfe_u32 v42, v2, 3, 4
	v_lshlrev_b64 v[40:41], v40, v[2:3]
	v_sub_u32_e32 v41, 29, v43
	v_cmp_eq_u32_e64 s[0:1], 0, v42
	v_and_b32_e32 v40, 7, v40
	v_lshlrev_b32_e32 v2, 8, v2
	v_cndmask_b32_e64 v41, v42, v41, s[0:1]
	v_cndmask_b32_e64 v39, v39, v40, s[0:1]
	v_lshl_add_u32 v40, v41, 10, v24
	v_and_or_b32 v2, v2, s64, v40
	v_lshl_or_b32 v2, v39, 7, v2
	v_cvt_f32_f16_e32 v39, v2
.LBB269_65:                             ;   in Loop: Header=BB269_14 Depth=1
	s_or_b64 exec, exec, s[50:51]
	global_load_ushort v2, v[12:13], off offset:768
	s_mov_b64 s[0:1], 0
                                        ; implicit-def: $sgpr52
	s_waitcnt vmcnt(0)
	v_cmp_gt_i16_sdwa s[48:49], v2, s62 src0_sel:BYTE_0 src1_sel:DWORD
	s_and_saveexec_b64 s[50:51], s[48:49]
	s_xor_b64 s[48:49], exec, s[50:51]
	s_cbranch_execnz .LBB269_195
; %bb.66:                               ;   in Loop: Header=BB269_14 Depth=1
	s_or_saveexec_b64 s[48:49], s[48:49]
	v_mov_b32_e32 v40, s52
	s_xor_b64 exec, exec, s[48:49]
	s_cbranch_execnz .LBB269_198
.LBB269_67:                             ;   in Loop: Header=BB269_14 Depth=1
	s_or_b64 exec, exec, s[48:49]
	v_and_b32_e32 v2, 0xffff, v2
	s_and_saveexec_b64 s[48:49], s[0:1]
	s_cbranch_execz .LBB269_69
.LBB269_68:                             ;   in Loop: Header=BB269_14 Depth=1
	v_and_b32_e32 v42, 7, v2
	v_ffbh_u32_e32 v40, v42
	v_min_u32_e32 v44, 32, v40
	v_subrev_u32_e32 v40, 28, v44
	v_bfe_u32 v43, v2, 3, 4
	v_lshlrev_b64 v[40:41], v40, v[2:3]
	v_sub_u32_e32 v41, 29, v44
	v_cmp_eq_u32_e64 s[0:1], 0, v43
	v_and_b32_e32 v40, 7, v40
	s_nop 0
	v_cndmask_b32_e64 v41, v43, v41, s[0:1]
	v_cndmask_b32_e64 v40, v42, v40, s[0:1]
	v_lshlrev_b32_e32 v42, 8, v2
	v_lshl_add_u32 v41, v41, 10, v24
	v_and_or_b32 v41, v42, s64, v41
	v_lshl_or_b32 v40, v40, 7, v41
	v_cvt_f32_f16_e32 v40, v40
.LBB269_69:                             ;   in Loop: Header=BB269_14 Depth=1
	s_or_b64 exec, exec, s[48:49]
	v_lshrrev_b16_e32 v2, 8, v2
	v_cmp_lt_i16_e64 s[0:1], s62, v2
	s_mov_b64 s[48:49], 0
                                        ; implicit-def: $sgpr65
	s_and_saveexec_b64 s[50:51], s[0:1]
	s_xor_b64 s[50:51], exec, s[50:51]
	s_cbranch_execnz .LBB269_199
; %bb.70:                               ;   in Loop: Header=BB269_14 Depth=1
	s_or_saveexec_b64 s[50:51], s[50:51]
	v_mov_b32_e32 v41, s65
	s_xor_b64 exec, exec, s[50:51]
	s_cbranch_execnz .LBB269_202
.LBB269_71:                             ;   in Loop: Header=BB269_14 Depth=1
	s_or_b64 exec, exec, s[50:51]
	s_and_saveexec_b64 s[50:51], s[48:49]
	s_cbranch_execz .LBB269_73
.LBB269_72:                             ;   in Loop: Header=BB269_14 Depth=1
	v_and_b32_e32 v41, 7, v2
	v_ffbh_u32_e32 v42, v41
	v_min_u32_e32 v45, 32, v42
	v_subrev_u32_e32 v42, 28, v45
	v_bfe_u32 v44, v2, 3, 4
	v_lshlrev_b64 v[42:43], v42, v[2:3]
	v_sub_u32_e32 v43, 29, v45
	v_cmp_eq_u32_e64 s[0:1], 0, v44
	v_and_b32_e32 v42, 7, v42
	v_lshlrev_b32_e32 v2, 8, v2
	v_cndmask_b32_e64 v43, v44, v43, s[0:1]
	v_cndmask_b32_e64 v41, v41, v42, s[0:1]
	v_lshl_add_u32 v42, v43, 10, v24
	v_and_or_b32 v2, v2, s64, v42
	v_lshl_or_b32 v2, v41, 7, v2
	v_cvt_f32_f16_e32 v41, v2
.LBB269_73:                             ;   in Loop: Header=BB269_14 Depth=1
	s_or_b64 exec, exec, s[50:51]
	global_load_ushort v2, v[12:13], off offset:776
	s_mov_b64 s[0:1], 0
                                        ; implicit-def: $sgpr52
	s_waitcnt vmcnt(0)
	v_cmp_gt_i16_sdwa s[48:49], v2, s62 src0_sel:BYTE_0 src1_sel:DWORD
	s_and_saveexec_b64 s[50:51], s[48:49]
	s_xor_b64 s[48:49], exec, s[50:51]
	s_cbranch_execnz .LBB269_203
; %bb.74:                               ;   in Loop: Header=BB269_14 Depth=1
	s_or_saveexec_b64 s[48:49], s[48:49]
	v_mov_b32_e32 v42, s52
	s_xor_b64 exec, exec, s[48:49]
	s_cbranch_execnz .LBB269_206
.LBB269_75:                             ;   in Loop: Header=BB269_14 Depth=1
	s_or_b64 exec, exec, s[48:49]
	v_and_b32_e32 v2, 0xffff, v2
	s_and_saveexec_b64 s[48:49], s[0:1]
	s_cbranch_execz .LBB269_77
.LBB269_76:                             ;   in Loop: Header=BB269_14 Depth=1
	v_and_b32_e32 v44, 7, v2
	v_ffbh_u32_e32 v42, v44
	v_min_u32_e32 v46, 32, v42
	v_subrev_u32_e32 v42, 28, v46
	v_bfe_u32 v45, v2, 3, 4
	v_lshlrev_b64 v[42:43], v42, v[2:3]
	v_sub_u32_e32 v43, 29, v46
	v_cmp_eq_u32_e64 s[0:1], 0, v45
	v_and_b32_e32 v42, 7, v42
	s_nop 0
	v_cndmask_b32_e64 v43, v45, v43, s[0:1]
	v_cndmask_b32_e64 v42, v44, v42, s[0:1]
	v_lshlrev_b32_e32 v44, 8, v2
	v_lshl_add_u32 v43, v43, 10, v24
	v_and_or_b32 v43, v44, s64, v43
	v_lshl_or_b32 v42, v42, 7, v43
	v_cvt_f32_f16_e32 v42, v42
.LBB269_77:                             ;   in Loop: Header=BB269_14 Depth=1
	s_or_b64 exec, exec, s[48:49]
	v_lshrrev_b16_e32 v2, 8, v2
	v_cmp_lt_i16_e64 s[0:1], s62, v2
	s_mov_b64 s[48:49], 0
                                        ; implicit-def: $sgpr65
	s_and_saveexec_b64 s[50:51], s[0:1]
	s_xor_b64 s[50:51], exec, s[50:51]
	s_cbranch_execnz .LBB269_207
; %bb.78:                               ;   in Loop: Header=BB269_14 Depth=1
	s_or_saveexec_b64 s[50:51], s[50:51]
	v_mov_b32_e32 v43, s65
	s_xor_b64 exec, exec, s[50:51]
	s_cbranch_execnz .LBB269_210
.LBB269_79:                             ;   in Loop: Header=BB269_14 Depth=1
	s_or_b64 exec, exec, s[50:51]
	s_and_saveexec_b64 s[50:51], s[48:49]
	s_cbranch_execz .LBB269_81
.LBB269_80:                             ;   in Loop: Header=BB269_14 Depth=1
	v_and_b32_e32 v43, 7, v2
	v_ffbh_u32_e32 v44, v43
	v_min_u32_e32 v47, 32, v44
	v_subrev_u32_e32 v44, 28, v47
	v_bfe_u32 v46, v2, 3, 4
	v_lshlrev_b64 v[44:45], v44, v[2:3]
	v_sub_u32_e32 v45, 29, v47
	v_cmp_eq_u32_e64 s[0:1], 0, v46
	v_and_b32_e32 v44, 7, v44
	v_lshlrev_b32_e32 v2, 8, v2
	v_cndmask_b32_e64 v45, v46, v45, s[0:1]
	v_cndmask_b32_e64 v43, v43, v44, s[0:1]
	v_lshl_add_u32 v44, v45, 10, v24
	v_and_or_b32 v2, v2, s64, v44
	v_lshl_or_b32 v2, v43, 7, v2
	v_cvt_f32_f16_e32 v43, v2
.LBB269_81:                             ;   in Loop: Header=BB269_14 Depth=1
	s_or_b64 exec, exec, s[50:51]
	global_load_ushort v2, v[12:13], off offset:1024
	s_mov_b64 s[0:1], 0
                                        ; implicit-def: $sgpr52
	s_waitcnt vmcnt(0)
	v_cmp_gt_i16_sdwa s[48:49], v2, s62 src0_sel:BYTE_0 src1_sel:DWORD
	s_and_saveexec_b64 s[50:51], s[48:49]
	s_xor_b64 s[48:49], exec, s[50:51]
	s_cbranch_execnz .LBB269_211
; %bb.82:                               ;   in Loop: Header=BB269_14 Depth=1
	s_or_saveexec_b64 s[48:49], s[48:49]
	v_mov_b32_e32 v44, s52
	s_xor_b64 exec, exec, s[48:49]
	s_cbranch_execnz .LBB269_214
.LBB269_83:                             ;   in Loop: Header=BB269_14 Depth=1
	s_or_b64 exec, exec, s[48:49]
	v_and_b32_e32 v2, 0xffff, v2
	s_and_saveexec_b64 s[48:49], s[0:1]
	s_cbranch_execz .LBB269_85
.LBB269_84:                             ;   in Loop: Header=BB269_14 Depth=1
	v_and_b32_e32 v46, 7, v2
	v_ffbh_u32_e32 v44, v46
	v_min_u32_e32 v48, 32, v44
	v_subrev_u32_e32 v44, 28, v48
	v_bfe_u32 v47, v2, 3, 4
	v_lshlrev_b64 v[44:45], v44, v[2:3]
	v_sub_u32_e32 v45, 29, v48
	v_cmp_eq_u32_e64 s[0:1], 0, v47
	v_and_b32_e32 v44, 7, v44
	s_nop 0
	v_cndmask_b32_e64 v45, v47, v45, s[0:1]
	v_cndmask_b32_e64 v44, v46, v44, s[0:1]
	v_lshlrev_b32_e32 v46, 8, v2
	v_lshl_add_u32 v45, v45, 10, v24
	v_and_or_b32 v45, v46, s64, v45
	v_lshl_or_b32 v44, v44, 7, v45
	v_cvt_f32_f16_e32 v44, v44
.LBB269_85:                             ;   in Loop: Header=BB269_14 Depth=1
	s_or_b64 exec, exec, s[48:49]
	v_lshrrev_b16_e32 v2, 8, v2
	v_cmp_lt_i16_e64 s[0:1], s62, v2
	s_mov_b64 s[48:49], 0
                                        ; implicit-def: $sgpr65
	s_and_saveexec_b64 s[50:51], s[0:1]
	s_xor_b64 s[50:51], exec, s[50:51]
	s_cbranch_execnz .LBB269_215
; %bb.86:                               ;   in Loop: Header=BB269_14 Depth=1
	s_or_saveexec_b64 s[50:51], s[50:51]
	v_mov_b32_e32 v45, s65
	s_xor_b64 exec, exec, s[50:51]
	s_cbranch_execnz .LBB269_218
.LBB269_87:                             ;   in Loop: Header=BB269_14 Depth=1
	s_or_b64 exec, exec, s[50:51]
	s_and_saveexec_b64 s[50:51], s[48:49]
	s_cbranch_execz .LBB269_89
.LBB269_88:                             ;   in Loop: Header=BB269_14 Depth=1
	v_and_b32_e32 v45, 7, v2
	v_ffbh_u32_e32 v46, v45
	v_min_u32_e32 v49, 32, v46
	v_subrev_u32_e32 v46, 28, v49
	v_bfe_u32 v48, v2, 3, 4
	v_lshlrev_b64 v[46:47], v46, v[2:3]
	v_sub_u32_e32 v47, 29, v49
	v_cmp_eq_u32_e64 s[0:1], 0, v48
	v_and_b32_e32 v46, 7, v46
	v_lshlrev_b32_e32 v2, 8, v2
	v_cndmask_b32_e64 v47, v48, v47, s[0:1]
	v_cndmask_b32_e64 v45, v45, v46, s[0:1]
	v_lshl_add_u32 v46, v47, 10, v24
	v_and_or_b32 v2, v2, s64, v46
	v_lshl_or_b32 v2, v45, 7, v2
	v_cvt_f32_f16_e32 v45, v2
.LBB269_89:                             ;   in Loop: Header=BB269_14 Depth=1
	s_or_b64 exec, exec, s[50:51]
	global_load_ushort v2, v[12:13], off offset:1032
	s_mov_b64 s[0:1], 0
                                        ; implicit-def: $sgpr52
	s_waitcnt vmcnt(0)
	v_cmp_gt_i16_sdwa s[48:49], v2, s62 src0_sel:BYTE_0 src1_sel:DWORD
	s_and_saveexec_b64 s[50:51], s[48:49]
	s_xor_b64 s[48:49], exec, s[50:51]
	s_cbranch_execnz .LBB269_219
; %bb.90:                               ;   in Loop: Header=BB269_14 Depth=1
	s_or_saveexec_b64 s[48:49], s[48:49]
	v_mov_b32_e32 v46, s52
	s_xor_b64 exec, exec, s[48:49]
	s_cbranch_execnz .LBB269_222
.LBB269_91:                             ;   in Loop: Header=BB269_14 Depth=1
	s_or_b64 exec, exec, s[48:49]
	v_and_b32_e32 v2, 0xffff, v2
	s_and_saveexec_b64 s[48:49], s[0:1]
	s_cbranch_execz .LBB269_93
.LBB269_92:                             ;   in Loop: Header=BB269_14 Depth=1
	v_and_b32_e32 v48, 7, v2
	v_ffbh_u32_e32 v46, v48
	v_min_u32_e32 v50, 32, v46
	v_subrev_u32_e32 v46, 28, v50
	v_bfe_u32 v49, v2, 3, 4
	v_lshlrev_b64 v[46:47], v46, v[2:3]
	v_sub_u32_e32 v47, 29, v50
	v_cmp_eq_u32_e64 s[0:1], 0, v49
	v_and_b32_e32 v46, 7, v46
	s_nop 0
	v_cndmask_b32_e64 v47, v49, v47, s[0:1]
	v_cndmask_b32_e64 v46, v48, v46, s[0:1]
	v_lshlrev_b32_e32 v48, 8, v2
	v_lshl_add_u32 v47, v47, 10, v24
	v_and_or_b32 v47, v48, s64, v47
	v_lshl_or_b32 v46, v46, 7, v47
	v_cvt_f32_f16_e32 v46, v46
.LBB269_93:                             ;   in Loop: Header=BB269_14 Depth=1
	s_or_b64 exec, exec, s[48:49]
	v_lshrrev_b16_e32 v2, 8, v2
	v_cmp_lt_i16_e64 s[0:1], s62, v2
	s_mov_b64 s[48:49], 0
                                        ; implicit-def: $sgpr65
	s_and_saveexec_b64 s[50:51], s[0:1]
	s_xor_b64 s[50:51], exec, s[50:51]
	s_cbranch_execnz .LBB269_223
; %bb.94:                               ;   in Loop: Header=BB269_14 Depth=1
	s_or_saveexec_b64 s[50:51], s[50:51]
	v_mov_b32_e32 v47, s65
	s_xor_b64 exec, exec, s[50:51]
	s_cbranch_execnz .LBB269_226
.LBB269_95:                             ;   in Loop: Header=BB269_14 Depth=1
	s_or_b64 exec, exec, s[50:51]
	s_and_saveexec_b64 s[50:51], s[48:49]
	s_cbranch_execz .LBB269_97
.LBB269_96:                             ;   in Loop: Header=BB269_14 Depth=1
	v_and_b32_e32 v47, 7, v2
	v_ffbh_u32_e32 v48, v47
	v_min_u32_e32 v51, 32, v48
	v_subrev_u32_e32 v48, 28, v51
	v_bfe_u32 v50, v2, 3, 4
	v_lshlrev_b64 v[48:49], v48, v[2:3]
	v_sub_u32_e32 v49, 29, v51
	v_cmp_eq_u32_e64 s[0:1], 0, v50
	v_and_b32_e32 v48, 7, v48
	v_lshlrev_b32_e32 v2, 8, v2
	v_cndmask_b32_e64 v49, v50, v49, s[0:1]
	v_cndmask_b32_e64 v47, v47, v48, s[0:1]
	v_lshl_add_u32 v48, v49, 10, v24
	v_and_or_b32 v2, v2, s64, v48
	v_lshl_or_b32 v2, v47, 7, v2
	v_cvt_f32_f16_e32 v47, v2
.LBB269_97:                             ;   in Loop: Header=BB269_14 Depth=1
	s_or_b64 exec, exec, s[50:51]
	global_load_ushort v2, v[12:13], off offset:1280
	s_mov_b64 s[0:1], 0
                                        ; implicit-def: $sgpr52
	s_waitcnt vmcnt(0)
	v_cmp_gt_i16_sdwa s[48:49], v2, s62 src0_sel:BYTE_0 src1_sel:DWORD
	s_and_saveexec_b64 s[50:51], s[48:49]
	s_xor_b64 s[48:49], exec, s[50:51]
	s_cbranch_execnz .LBB269_227
; %bb.98:                               ;   in Loop: Header=BB269_14 Depth=1
	s_or_saveexec_b64 s[48:49], s[48:49]
	v_mov_b32_e32 v48, s52
	s_xor_b64 exec, exec, s[48:49]
	s_cbranch_execnz .LBB269_230
.LBB269_99:                             ;   in Loop: Header=BB269_14 Depth=1
	s_or_b64 exec, exec, s[48:49]
	v_and_b32_e32 v2, 0xffff, v2
	s_and_saveexec_b64 s[48:49], s[0:1]
	s_cbranch_execz .LBB269_101
.LBB269_100:                            ;   in Loop: Header=BB269_14 Depth=1
	v_and_b32_e32 v50, 7, v2
	v_ffbh_u32_e32 v48, v50
	v_min_u32_e32 v52, 32, v48
	v_subrev_u32_e32 v48, 28, v52
	v_bfe_u32 v51, v2, 3, 4
	v_lshlrev_b64 v[48:49], v48, v[2:3]
	v_sub_u32_e32 v49, 29, v52
	v_cmp_eq_u32_e64 s[0:1], 0, v51
	v_and_b32_e32 v48, 7, v48
	s_nop 0
	v_cndmask_b32_e64 v49, v51, v49, s[0:1]
	v_cndmask_b32_e64 v48, v50, v48, s[0:1]
	v_lshlrev_b32_e32 v50, 8, v2
	v_lshl_add_u32 v49, v49, 10, v24
	v_and_or_b32 v49, v50, s64, v49
	v_lshl_or_b32 v48, v48, 7, v49
	v_cvt_f32_f16_e32 v48, v48
.LBB269_101:                            ;   in Loop: Header=BB269_14 Depth=1
	s_or_b64 exec, exec, s[48:49]
	v_lshrrev_b16_e32 v2, 8, v2
	v_cmp_lt_i16_e64 s[0:1], s62, v2
	s_mov_b64 s[48:49], 0
                                        ; implicit-def: $sgpr65
	s_and_saveexec_b64 s[50:51], s[0:1]
	s_xor_b64 s[50:51], exec, s[50:51]
	s_cbranch_execnz .LBB269_231
; %bb.102:                              ;   in Loop: Header=BB269_14 Depth=1
	s_or_saveexec_b64 s[50:51], s[50:51]
	v_mov_b32_e32 v49, s65
	s_xor_b64 exec, exec, s[50:51]
	s_cbranch_execnz .LBB269_234
.LBB269_103:                            ;   in Loop: Header=BB269_14 Depth=1
	s_or_b64 exec, exec, s[50:51]
	s_and_saveexec_b64 s[50:51], s[48:49]
	s_cbranch_execz .LBB269_105
.LBB269_104:                            ;   in Loop: Header=BB269_14 Depth=1
	v_and_b32_e32 v49, 7, v2
	v_ffbh_u32_e32 v50, v49
	v_min_u32_e32 v53, 32, v50
	v_subrev_u32_e32 v50, 28, v53
	v_bfe_u32 v52, v2, 3, 4
	v_lshlrev_b64 v[50:51], v50, v[2:3]
	v_sub_u32_e32 v51, 29, v53
	v_cmp_eq_u32_e64 s[0:1], 0, v52
	v_and_b32_e32 v50, 7, v50
	v_lshlrev_b32_e32 v2, 8, v2
	v_cndmask_b32_e64 v51, v52, v51, s[0:1]
	v_cndmask_b32_e64 v49, v49, v50, s[0:1]
	v_lshl_add_u32 v50, v51, 10, v24
	v_and_or_b32 v2, v2, s64, v50
	v_lshl_or_b32 v2, v49, 7, v2
	v_cvt_f32_f16_e32 v49, v2
.LBB269_105:                            ;   in Loop: Header=BB269_14 Depth=1
	s_or_b64 exec, exec, s[50:51]
	global_load_ushort v2, v[12:13], off offset:1288
	s_mov_b64 s[0:1], 0
                                        ; implicit-def: $sgpr52
	s_waitcnt vmcnt(0)
	v_cmp_gt_i16_sdwa s[48:49], v2, s62 src0_sel:BYTE_0 src1_sel:DWORD
	s_and_saveexec_b64 s[50:51], s[48:49]
	s_xor_b64 s[48:49], exec, s[50:51]
	s_cbranch_execnz .LBB269_235
; %bb.106:                              ;   in Loop: Header=BB269_14 Depth=1
	s_or_saveexec_b64 s[48:49], s[48:49]
	v_mov_b32_e32 v50, s52
	s_xor_b64 exec, exec, s[48:49]
	s_cbranch_execnz .LBB269_238
.LBB269_107:                            ;   in Loop: Header=BB269_14 Depth=1
	s_or_b64 exec, exec, s[48:49]
	v_and_b32_e32 v2, 0xffff, v2
	s_and_saveexec_b64 s[48:49], s[0:1]
	s_cbranch_execz .LBB269_109
.LBB269_108:                            ;   in Loop: Header=BB269_14 Depth=1
	v_and_b32_e32 v52, 7, v2
	v_ffbh_u32_e32 v50, v52
	v_min_u32_e32 v54, 32, v50
	v_subrev_u32_e32 v50, 28, v54
	v_bfe_u32 v53, v2, 3, 4
	v_lshlrev_b64 v[50:51], v50, v[2:3]
	v_sub_u32_e32 v51, 29, v54
	v_cmp_eq_u32_e64 s[0:1], 0, v53
	v_and_b32_e32 v50, 7, v50
	s_nop 0
	v_cndmask_b32_e64 v51, v53, v51, s[0:1]
	v_cndmask_b32_e64 v50, v52, v50, s[0:1]
	v_lshlrev_b32_e32 v52, 8, v2
	v_lshl_add_u32 v51, v51, 10, v24
	v_and_or_b32 v51, v52, s64, v51
	v_lshl_or_b32 v50, v50, 7, v51
	v_cvt_f32_f16_e32 v50, v50
.LBB269_109:                            ;   in Loop: Header=BB269_14 Depth=1
	s_or_b64 exec, exec, s[48:49]
	v_lshrrev_b16_e32 v2, 8, v2
	v_cmp_lt_i16_e64 s[0:1], s62, v2
	s_mov_b64 s[48:49], 0
                                        ; implicit-def: $sgpr65
	s_and_saveexec_b64 s[50:51], s[0:1]
	s_xor_b64 s[50:51], exec, s[50:51]
	s_cbranch_execnz .LBB269_239
; %bb.110:                              ;   in Loop: Header=BB269_14 Depth=1
	s_or_saveexec_b64 s[50:51], s[50:51]
	v_mov_b32_e32 v51, s65
	s_xor_b64 exec, exec, s[50:51]
	s_cbranch_execnz .LBB269_242
.LBB269_111:                            ;   in Loop: Header=BB269_14 Depth=1
	s_or_b64 exec, exec, s[50:51]
	s_and_saveexec_b64 s[50:51], s[48:49]
	s_cbranch_execz .LBB269_113
.LBB269_112:                            ;   in Loop: Header=BB269_14 Depth=1
	v_and_b32_e32 v51, 7, v2
	v_ffbh_u32_e32 v52, v51
	v_min_u32_e32 v55, 32, v52
	v_subrev_u32_e32 v52, 28, v55
	v_bfe_u32 v54, v2, 3, 4
	v_lshlrev_b64 v[52:53], v52, v[2:3]
	v_sub_u32_e32 v53, 29, v55
	v_cmp_eq_u32_e64 s[0:1], 0, v54
	v_and_b32_e32 v52, 7, v52
	v_lshlrev_b32_e32 v2, 8, v2
	v_cndmask_b32_e64 v53, v54, v53, s[0:1]
	v_cndmask_b32_e64 v51, v51, v52, s[0:1]
	v_lshl_add_u32 v52, v53, 10, v24
	v_and_or_b32 v2, v2, s64, v52
	v_lshl_or_b32 v2, v51, 7, v2
	v_cvt_f32_f16_e32 v51, v2
.LBB269_113:                            ;   in Loop: Header=BB269_14 Depth=1
	s_or_b64 exec, exec, s[50:51]
	global_load_ushort v2, v[12:13], off offset:1536
	s_mov_b64 s[0:1], 0
                                        ; implicit-def: $sgpr52
	s_waitcnt vmcnt(0)
	v_cmp_gt_i16_sdwa s[48:49], v2, s62 src0_sel:BYTE_0 src1_sel:DWORD
	s_and_saveexec_b64 s[50:51], s[48:49]
	s_xor_b64 s[48:49], exec, s[50:51]
	s_cbranch_execnz .LBB269_243
; %bb.114:                              ;   in Loop: Header=BB269_14 Depth=1
	s_or_saveexec_b64 s[48:49], s[48:49]
	v_mov_b32_e32 v52, s52
	s_xor_b64 exec, exec, s[48:49]
	s_cbranch_execnz .LBB269_246
.LBB269_115:                            ;   in Loop: Header=BB269_14 Depth=1
	s_or_b64 exec, exec, s[48:49]
	v_and_b32_e32 v2, 0xffff, v2
	s_and_saveexec_b64 s[48:49], s[0:1]
	s_cbranch_execz .LBB269_117
.LBB269_116:                            ;   in Loop: Header=BB269_14 Depth=1
	v_and_b32_e32 v54, 7, v2
	v_ffbh_u32_e32 v52, v54
	v_min_u32_e32 v56, 32, v52
	v_subrev_u32_e32 v52, 28, v56
	v_bfe_u32 v55, v2, 3, 4
	v_lshlrev_b64 v[52:53], v52, v[2:3]
	v_sub_u32_e32 v53, 29, v56
	v_cmp_eq_u32_e64 s[0:1], 0, v55
	v_and_b32_e32 v52, 7, v52
	s_nop 0
	v_cndmask_b32_e64 v53, v55, v53, s[0:1]
	v_cndmask_b32_e64 v52, v54, v52, s[0:1]
	v_lshlrev_b32_e32 v54, 8, v2
	v_lshl_add_u32 v53, v53, 10, v24
	v_and_or_b32 v53, v54, s64, v53
	v_lshl_or_b32 v52, v52, 7, v53
	v_cvt_f32_f16_e32 v52, v52
.LBB269_117:                            ;   in Loop: Header=BB269_14 Depth=1
	s_or_b64 exec, exec, s[48:49]
	v_lshrrev_b16_e32 v2, 8, v2
	v_cmp_lt_i16_e64 s[0:1], s62, v2
	s_mov_b64 s[48:49], 0
                                        ; implicit-def: $sgpr65
	s_and_saveexec_b64 s[50:51], s[0:1]
	s_xor_b64 s[50:51], exec, s[50:51]
	s_cbranch_execnz .LBB269_247
; %bb.118:                              ;   in Loop: Header=BB269_14 Depth=1
	s_or_saveexec_b64 s[50:51], s[50:51]
	v_mov_b32_e32 v53, s65
	s_xor_b64 exec, exec, s[50:51]
	s_cbranch_execnz .LBB269_250
.LBB269_119:                            ;   in Loop: Header=BB269_14 Depth=1
	s_or_b64 exec, exec, s[50:51]
	s_and_saveexec_b64 s[50:51], s[48:49]
	s_cbranch_execz .LBB269_121
.LBB269_120:                            ;   in Loop: Header=BB269_14 Depth=1
	v_and_b32_e32 v53, 7, v2
	v_ffbh_u32_e32 v54, v53
	v_min_u32_e32 v57, 32, v54
	v_subrev_u32_e32 v54, 28, v57
	v_bfe_u32 v56, v2, 3, 4
	v_lshlrev_b64 v[54:55], v54, v[2:3]
	v_sub_u32_e32 v55, 29, v57
	v_cmp_eq_u32_e64 s[0:1], 0, v56
	v_and_b32_e32 v54, 7, v54
	v_lshlrev_b32_e32 v2, 8, v2
	v_cndmask_b32_e64 v55, v56, v55, s[0:1]
	v_cndmask_b32_e64 v53, v53, v54, s[0:1]
	v_lshl_add_u32 v54, v55, 10, v24
	v_and_or_b32 v2, v2, s64, v54
	v_lshl_or_b32 v2, v53, 7, v2
	v_cvt_f32_f16_e32 v53, v2
.LBB269_121:                            ;   in Loop: Header=BB269_14 Depth=1
	s_or_b64 exec, exec, s[50:51]
	global_load_ushort v2, v[12:13], off offset:1544
	s_mov_b64 s[0:1], 0
                                        ; implicit-def: $sgpr52
	s_waitcnt vmcnt(0)
	v_cmp_gt_i16_sdwa s[48:49], v2, s62 src0_sel:BYTE_0 src1_sel:DWORD
	s_and_saveexec_b64 s[50:51], s[48:49]
	s_xor_b64 s[48:49], exec, s[50:51]
	s_cbranch_execnz .LBB269_251
; %bb.122:                              ;   in Loop: Header=BB269_14 Depth=1
	s_or_saveexec_b64 s[48:49], s[48:49]
	v_mov_b32_e32 v54, s52
	s_xor_b64 exec, exec, s[48:49]
	s_cbranch_execnz .LBB269_254
.LBB269_123:                            ;   in Loop: Header=BB269_14 Depth=1
	s_or_b64 exec, exec, s[48:49]
	v_and_b32_e32 v2, 0xffff, v2
	s_and_saveexec_b64 s[48:49], s[0:1]
	s_cbranch_execz .LBB269_125
.LBB269_124:                            ;   in Loop: Header=BB269_14 Depth=1
	v_and_b32_e32 v56, 7, v2
	v_ffbh_u32_e32 v54, v56
	v_min_u32_e32 v58, 32, v54
	v_subrev_u32_e32 v54, 28, v58
	v_bfe_u32 v57, v2, 3, 4
	v_lshlrev_b64 v[54:55], v54, v[2:3]
	v_sub_u32_e32 v55, 29, v58
	v_cmp_eq_u32_e64 s[0:1], 0, v57
	v_and_b32_e32 v54, 7, v54
	s_nop 0
	v_cndmask_b32_e64 v55, v57, v55, s[0:1]
	v_cndmask_b32_e64 v54, v56, v54, s[0:1]
	v_lshlrev_b32_e32 v56, 8, v2
	v_lshl_add_u32 v55, v55, 10, v24
	v_and_or_b32 v55, v56, s64, v55
	v_lshl_or_b32 v54, v54, 7, v55
	v_cvt_f32_f16_e32 v54, v54
.LBB269_125:                            ;   in Loop: Header=BB269_14 Depth=1
	s_or_b64 exec, exec, s[48:49]
	v_lshrrev_b16_e32 v2, 8, v2
	v_cmp_lt_i16_e64 s[0:1], s62, v2
	s_mov_b64 s[48:49], 0
                                        ; implicit-def: $sgpr65
	s_and_saveexec_b64 s[50:51], s[0:1]
	s_xor_b64 s[50:51], exec, s[50:51]
	s_cbranch_execnz .LBB269_255
; %bb.126:                              ;   in Loop: Header=BB269_14 Depth=1
	s_or_saveexec_b64 s[50:51], s[50:51]
	v_mov_b32_e32 v55, s65
	s_xor_b64 exec, exec, s[50:51]
	s_cbranch_execnz .LBB269_258
.LBB269_127:                            ;   in Loop: Header=BB269_14 Depth=1
	s_or_b64 exec, exec, s[50:51]
	s_and_saveexec_b64 s[50:51], s[48:49]
	s_cbranch_execz .LBB269_129
.LBB269_128:                            ;   in Loop: Header=BB269_14 Depth=1
	v_and_b32_e32 v55, 7, v2
	v_ffbh_u32_e32 v56, v55
	v_min_u32_e32 v59, 32, v56
	v_subrev_u32_e32 v56, 28, v59
	v_bfe_u32 v58, v2, 3, 4
	v_lshlrev_b64 v[56:57], v56, v[2:3]
	v_sub_u32_e32 v57, 29, v59
	v_cmp_eq_u32_e64 s[0:1], 0, v58
	v_and_b32_e32 v56, 7, v56
	v_lshlrev_b32_e32 v2, 8, v2
	v_cndmask_b32_e64 v57, v58, v57, s[0:1]
	v_cndmask_b32_e64 v55, v55, v56, s[0:1]
	v_lshl_add_u32 v56, v57, 10, v24
	v_and_or_b32 v2, v2, s64, v56
	v_lshl_or_b32 v2, v55, 7, v2
	v_cvt_f32_f16_e32 v55, v2
.LBB269_129:                            ;   in Loop: Header=BB269_14 Depth=1
	s_or_b64 exec, exec, s[50:51]
	global_load_ushort v2, v[12:13], off offset:1792
	s_mov_b64 s[0:1], 0
                                        ; implicit-def: $sgpr52
	s_waitcnt vmcnt(0)
	v_cmp_gt_i16_sdwa s[48:49], v2, s62 src0_sel:BYTE_0 src1_sel:DWORD
	s_and_saveexec_b64 s[50:51], s[48:49]
	s_xor_b64 s[48:49], exec, s[50:51]
	s_cbranch_execnz .LBB269_259
; %bb.130:                              ;   in Loop: Header=BB269_14 Depth=1
	s_or_saveexec_b64 s[48:49], s[48:49]
	v_mov_b32_e32 v56, s52
	s_xor_b64 exec, exec, s[48:49]
	s_cbranch_execnz .LBB269_262
.LBB269_131:                            ;   in Loop: Header=BB269_14 Depth=1
	s_or_b64 exec, exec, s[48:49]
	v_and_b32_e32 v2, 0xffff, v2
	s_and_saveexec_b64 s[48:49], s[0:1]
	s_cbranch_execz .LBB269_133
.LBB269_132:                            ;   in Loop: Header=BB269_14 Depth=1
	v_and_b32_e32 v58, 7, v2
	v_ffbh_u32_e32 v56, v58
	v_min_u32_e32 v60, 32, v56
	v_subrev_u32_e32 v56, 28, v60
	v_bfe_u32 v59, v2, 3, 4
	v_lshlrev_b64 v[56:57], v56, v[2:3]
	v_sub_u32_e32 v57, 29, v60
	v_cmp_eq_u32_e64 s[0:1], 0, v59
	v_and_b32_e32 v56, 7, v56
	s_nop 0
	v_cndmask_b32_e64 v57, v59, v57, s[0:1]
	v_cndmask_b32_e64 v56, v58, v56, s[0:1]
	v_lshlrev_b32_e32 v58, 8, v2
	v_lshl_add_u32 v57, v57, 10, v24
	v_and_or_b32 v57, v58, s64, v57
	v_lshl_or_b32 v56, v56, 7, v57
	v_cvt_f32_f16_e32 v56, v56
.LBB269_133:                            ;   in Loop: Header=BB269_14 Depth=1
	s_or_b64 exec, exec, s[48:49]
	v_lshrrev_b16_e32 v2, 8, v2
	v_cmp_lt_i16_e64 s[0:1], s62, v2
	s_mov_b64 s[48:49], 0
                                        ; implicit-def: $sgpr65
	s_and_saveexec_b64 s[50:51], s[0:1]
	s_xor_b64 s[50:51], exec, s[50:51]
	s_cbranch_execnz .LBB269_263
; %bb.134:                              ;   in Loop: Header=BB269_14 Depth=1
	s_or_saveexec_b64 s[50:51], s[50:51]
	v_mov_b32_e32 v57, s65
	s_xor_b64 exec, exec, s[50:51]
	s_cbranch_execnz .LBB269_266
.LBB269_135:                            ;   in Loop: Header=BB269_14 Depth=1
	s_or_b64 exec, exec, s[50:51]
	s_and_saveexec_b64 s[50:51], s[48:49]
	s_cbranch_execz .LBB269_137
.LBB269_136:                            ;   in Loop: Header=BB269_14 Depth=1
	v_and_b32_e32 v57, 7, v2
	v_ffbh_u32_e32 v58, v57
	v_min_u32_e32 v61, 32, v58
	v_subrev_u32_e32 v58, 28, v61
	v_bfe_u32 v60, v2, 3, 4
	v_lshlrev_b64 v[58:59], v58, v[2:3]
	v_sub_u32_e32 v59, 29, v61
	v_cmp_eq_u32_e64 s[0:1], 0, v60
	v_and_b32_e32 v58, 7, v58
	v_lshlrev_b32_e32 v2, 8, v2
	v_cndmask_b32_e64 v59, v60, v59, s[0:1]
	v_cndmask_b32_e64 v57, v57, v58, s[0:1]
	v_lshl_add_u32 v58, v59, 10, v24
	v_and_or_b32 v2, v2, s64, v58
	v_lshl_or_b32 v2, v57, 7, v2
	v_cvt_f32_f16_e32 v57, v2
.LBB269_137:                            ;   in Loop: Header=BB269_14 Depth=1
	s_or_b64 exec, exec, s[50:51]
	global_load_ushort v2, v[12:13], off offset:1800
	s_mov_b64 s[0:1], 0
                                        ; implicit-def: $sgpr52
	s_waitcnt vmcnt(0)
	v_cmp_gt_i16_sdwa s[48:49], v2, s62 src0_sel:BYTE_0 src1_sel:DWORD
	s_and_saveexec_b64 s[50:51], s[48:49]
	s_xor_b64 s[48:49], exec, s[50:51]
	s_cbranch_execnz .LBB269_267
; %bb.138:                              ;   in Loop: Header=BB269_14 Depth=1
	s_or_saveexec_b64 s[48:49], s[48:49]
	v_mov_b32_e32 v12, s52
	s_xor_b64 exec, exec, s[48:49]
	s_cbranch_execnz .LBB269_270
.LBB269_139:                            ;   in Loop: Header=BB269_14 Depth=1
	s_or_b64 exec, exec, s[48:49]
	v_and_b32_e32 v2, 0xffff, v2
	s_and_saveexec_b64 s[48:49], s[0:1]
	s_cbranch_execz .LBB269_141
.LBB269_140:                            ;   in Loop: Header=BB269_14 Depth=1
	v_and_b32_e32 v58, 7, v2
	v_ffbh_u32_e32 v12, v58
	v_min_u32_e32 v60, 32, v12
	v_subrev_u32_e32 v12, 28, v60
	v_bfe_u32 v59, v2, 3, 4
	v_lshlrev_b64 v[12:13], v12, v[2:3]
	v_sub_u32_e32 v13, 29, v60
	v_cmp_eq_u32_e64 s[0:1], 0, v59
	v_and_b32_e32 v12, 7, v12
	s_nop 0
	v_cndmask_b32_e64 v13, v59, v13, s[0:1]
	v_cndmask_b32_e64 v12, v58, v12, s[0:1]
	v_lshlrev_b32_e32 v58, 8, v2
	v_lshl_add_u32 v13, v13, 10, v24
	v_and_or_b32 v13, v58, s64, v13
	v_lshl_or_b32 v12, v12, 7, v13
	v_cvt_f32_f16_e32 v12, v12
.LBB269_141:                            ;   in Loop: Header=BB269_14 Depth=1
	s_or_b64 exec, exec, s[48:49]
	v_lshrrev_b16_e32 v2, 8, v2
	v_cmp_lt_i16_e64 s[0:1], s62, v2
	s_mov_b64 s[48:49], 0
                                        ; implicit-def: $sgpr65
	s_and_saveexec_b64 s[50:51], s[0:1]
	s_xor_b64 s[50:51], exec, s[50:51]
	s_cbranch_execnz .LBB269_271
; %bb.142:                              ;   in Loop: Header=BB269_14 Depth=1
	s_or_saveexec_b64 s[50:51], s[50:51]
	v_mov_b32_e32 v13, s65
	s_xor_b64 exec, exec, s[50:51]
	s_cbranch_execnz .LBB269_274
.LBB269_143:                            ;   in Loop: Header=BB269_14 Depth=1
	s_or_b64 exec, exec, s[50:51]
	s_and_saveexec_b64 s[50:51], s[48:49]
	s_cbranch_execz .LBB269_145
.LBB269_144:                            ;   in Loop: Header=BB269_14 Depth=1
	v_and_b32_e32 v13, 7, v2
	v_ffbh_u32_e32 v58, v13
	v_min_u32_e32 v61, 32, v58
	v_subrev_u32_e32 v58, 28, v61
	v_bfe_u32 v60, v2, 3, 4
	v_lshlrev_b64 v[58:59], v58, v[2:3]
	v_sub_u32_e32 v59, 29, v61
	v_cmp_eq_u32_e64 s[0:1], 0, v60
	v_and_b32_e32 v58, 7, v58
	v_lshlrev_b32_e32 v2, 8, v2
	v_cndmask_b32_e64 v59, v60, v59, s[0:1]
	v_cndmask_b32_e64 v13, v13, v58, s[0:1]
	v_lshl_add_u32 v58, v59, 10, v24
	v_and_or_b32 v2, v2, s64, v58
	v_lshl_or_b32 v2, v13, 7, v2
	v_cvt_f32_f16_e32 v13, v2
.LBB269_145:                            ;   in Loop: Header=BB269_14 Depth=1
	s_or_b64 exec, exec, s[50:51]
	ds_read_b32 v2, v17
	v_fma_mixlo_f16 v28, v27, v28, 0
	v_fma_mixlo_f16 v29, v27, v29, 0
	v_and_b32_e32 v28, 0xffff, v28
	v_and_b32_e32 v29, 0xffff, v29
	s_waitcnt lgkmcnt(0)
	v_lshrrev_b32_e32 v58, 16, v2
	v_and_b32_e32 v2, 0xffff, v2
	;;#ASMSTART
	v_cvt_f32_f16 v2, v2;
	;;#ASMEND
	;;#ASMSTART
	v_cvt_f32_f16 v58, v58;
	;;#ASMEND
	;;#ASMSTART
	v_cvt_f32_f16 v28, v28;
	;;#ASMEND
	;;#ASMSTART
	v_cvt_f32_f16 v29, v29;
	;;#ASMEND
	ds_read_b32 v59, v17 offset:4
	v_fma_mixlo_f16 v30, v27, v30, 0
	v_fma_mixlo_f16 v31, v27, v31, 0
	v_and_b32_e32 v30, 0xffff, v30
	v_and_b32_e32 v31, 0xffff, v31
	s_waitcnt lgkmcnt(0)
	v_lshrrev_b32_e32 v60, 16, v59
	v_and_b32_e32 v59, 0xffff, v59
	;;#ASMSTART
	v_cvt_f32_f16 v59, v59;
	;;#ASMEND
	;;#ASMSTART
	v_cvt_f32_f16 v60, v60;
	;;#ASMEND
	;;#ASMSTART
	v_cvt_f32_f16 v30, v30;
	;;#ASMEND
	;;#ASMSTART
	v_cvt_f32_f16 v31, v31;
	;;#ASMEND
	ds_read_b32 v61, v17 offset:8
	;; [unrolled: 20-line block ×8, first 2 shown]
	v_fma_mixlo_f16 v56, v27, v56, 0
	v_fma_mixlo_f16 v57, v27, v57, 0
	v_fma_mixlo_f16 v54, v27, v54, 0
	v_fma_mixlo_f16 v55, v27, v55, 0
	v_fma_mixlo_f16 v52, v27, v52, 0
	v_fma_mixlo_f16 v53, v27, v53, 0
	v_fma_mixlo_f16 v50, v27, v50, 0
	v_fma_mixlo_f16 v51, v27, v51, 0
	v_fma_mixlo_f16 v48, v27, v48, 0
	v_fma_mixlo_f16 v49, v27, v49, 0
	v_fma_mixlo_f16 v46, v27, v46, 0
	v_fma_mixlo_f16 v47, v27, v47, 0
	v_fma_mixlo_f16 v44, v27, v44, 0
	v_fma_mixlo_f16 v45, v27, v45, 0
	v_fma_mixlo_f16 v12, v27, v12, 0
	v_fma_mixlo_f16 v13, v27, v13, 0
	v_mul_f32_e32 v27, v59, v30
	v_fmac_f32_e32 v27, v2, v28
	s_waitcnt lgkmcnt(0)
	v_lshrrev_b32_e32 v2, 16, v73
	v_and_b32_e32 v28, 0xffff, v73
	v_and_b32_e32 v30, 0xffff, v44
	;; [unrolled: 1-line block ×3, first 2 shown]
	;;#ASMSTART
	v_cvt_f32_f16 v28, v28;
	;;#ASMEND
	;;#ASMSTART
	v_cvt_f32_f16 v2, v2;
	;;#ASMEND
	;; [unrolled: 3-line block ×4, first 2 shown]
	ds_read_b32 v45, v17 offset:36
	v_mul_f32_e32 v31, v60, v31
	v_fmac_f32_e32 v31, v58, v29
	v_fmac_f32_e32 v27, v61, v32
	v_fmac_f32_e32 v31, v62, v33
	s_waitcnt lgkmcnt(0)
	v_lshrrev_b32_e32 v29, 16, v45
	v_and_b32_e32 v32, 0xffff, v45
	v_and_b32_e32 v33, 0xffff, v46
	v_and_b32_e32 v45, 0xffff, v47
	;;#ASMSTART
	v_cvt_f32_f16 v32, v32;
	;;#ASMEND
	;;#ASMSTART
	v_cvt_f32_f16 v29, v29;
	;;#ASMEND
	;;#ASMSTART
	v_cvt_f32_f16 v33, v33;
	;;#ASMEND
	;;#ASMSTART
	v_cvt_f32_f16 v45, v45;
	;;#ASMEND
	ds_read_b32 v46, v17 offset:40
	v_fmac_f32_e32 v27, v63, v34
	v_fmac_f32_e32 v31, v64, v35
	v_fmac_f32_e32 v27, v65, v36
	v_fmac_f32_e32 v31, v66, v37
	s_waitcnt lgkmcnt(0)
	v_lshrrev_b32_e32 v34, 16, v46
	v_and_b32_e32 v35, 0xffff, v46
	v_and_b32_e32 v36, 0xffff, v48
	v_and_b32_e32 v37, 0xffff, v49
	;;#ASMSTART
	v_cvt_f32_f16 v35, v35;
	;;#ASMEND
	;;#ASMSTART
	v_cvt_f32_f16 v34, v34;
	;;#ASMEND
	;;#ASMSTART
	v_cvt_f32_f16 v36, v36;
	;;#ASMEND
	;;#ASMSTART
	v_cvt_f32_f16 v37, v37;
	;;#ASMEND
	ds_read_b32 v46, v17 offset:44
	v_fmac_f32_e32 v27, v67, v38
	;; [unrolled: 22-line block ×4, first 2 shown]
	v_fmac_f32_e32 v27, v32, v33
	v_fmac_f32_e32 v31, v34, v37
	v_and_b32_e32 v33, 0xffff, v54
	s_waitcnt lgkmcnt(0)
	v_lshrrev_b32_e32 v29, 16, v43
	v_and_b32_e32 v32, 0xffff, v43
	v_and_b32_e32 v34, 0xffff, v55
	v_fmac_f32_e32 v27, v35, v36
	;;#ASMSTART
	v_cvt_f32_f16 v32, v32;
	;;#ASMEND
	;;#ASMSTART
	v_cvt_f32_f16 v29, v29;
	;;#ASMEND
	;; [unrolled: 3-line block ×4, first 2 shown]
	ds_read_b32 v35, v17 offset:56
	v_fmac_f32_e32 v27, v39, v40
	v_fmac_f32_e32 v31, v38, v41
	;; [unrolled: 1-line block ×4, first 2 shown]
	s_waitcnt lgkmcnt(0)
	v_lshrrev_b32_e32 v2, 16, v35
	v_and_b32_e32 v28, 0xffff, v35
	v_and_b32_e32 v30, 0xffff, v56
	;; [unrolled: 1-line block ×3, first 2 shown]
	;;#ASMSTART
	v_cvt_f32_f16 v28, v28;
	;;#ASMEND
	;;#ASMSTART
	v_cvt_f32_f16 v2, v2;
	;;#ASMEND
	;; [unrolled: 3-line block ×4, first 2 shown]
	ds_read_b32 v36, v17 offset:60
	v_fmac_f32_e32 v27, v32, v33
	v_fmac_f32_e32 v31, v29, v34
	;; [unrolled: 1-line block ×4, first 2 shown]
	s_waitcnt lgkmcnt(0)
	v_lshrrev_b32_e32 v2, 16, v36
	v_and_b32_e32 v28, 0xffff, v36
	v_and_b32_e32 v12, 0xffff, v12
	;;#ASMSTART
	v_cvt_f32_f16 v28, v28;
	;;#ASMEND
	;;#ASMSTART
	v_cvt_f32_f16 v2, v2;
	;;#ASMEND
	;; [unrolled: 3-line block ×3, first 2 shown]
	v_and_b32_e32 v13, 0xffff, v13
	;;#ASMSTART
	v_cvt_f32_f16 v13, v13;
	;;#ASMEND
	v_fmac_f32_e32 v27, v28, v12
	v_and_b32_e32 v12, 64, v25
	v_fmac_f32_e32 v31, v2, v13
	v_add_u32_e32 v12, 64, v12
	v_xor_b32_e32 v13, 2, v25
	v_cmp_lt_i32_e64 s[0:1], v13, v12
	v_add_f32_e32 v2, v27, v31
	s_nop 0
	v_cndmask_b32_e64 v13, v25, v13, s[0:1]
	v_lshlrev_b32_e32 v13, 2, v13
	ds_bpermute_b32 v13, v13, v2
	s_waitcnt lgkmcnt(0)
	v_add_f32_e32 v2, v2, v13
	v_xor_b32_e32 v13, 1, v25
	v_cmp_lt_i32_e64 s[0:1], v13, v12
	s_nop 1
	v_cndmask_b32_e64 v12, v25, v13, s[0:1]
	v_lshlrev_b32_e32 v12, 2, v12
	ds_bpermute_b32 v12, v12, v2
	s_and_saveexec_b64 s[48:49], vcc
	s_cbranch_execz .LBB269_12
; %bb.146:                              ;   in Loop: Header=BB269_14 Depth=1
	v_add_u32_e32 v13, v22, v20
	v_cvt_f32_i32_e32 v13, v13
	s_waitcnt lgkmcnt(0)
	v_add_f32_e32 v2, v2, v12
	v_add_u32_e32 v27, v16, v20
	v_cmp_gt_i32_e64 s[0:1], s33, v27
	v_mul_f32_e32 v12, s57, v13
	v_cndmask_b32_e64 v12, 0, v12, s[8:9]
	v_fmac_f32_e32 v12, s45, v2
	v_cndmask_b32_e64 v2, 0, v12, s[0:1]
	ds_write_b32 v21, v2
	v_max_f32_e32 v2, v18, v18
	v_max_f32_e32 v2, v2, v12
	v_cndmask_b32_e64 v18, v18, v2, s[0:1]
	s_branch .LBB269_12
.LBB269_147:                            ;   in Loop: Header=BB269_14 Depth=1
	v_cmp_eq_u16_sdwa s[66:67], v2, s63 src0_sel:BYTE_0 src1_sel:DWORD
	s_mov_b64 s[0:1], -1
                                        ; implicit-def: $sgpr52
	s_and_saveexec_b64 s[50:51], s[66:67]
; %bb.148:                              ;   in Loop: Header=BB269_14 Depth=1
	s_mov_b32 s52, 0x7fc02000
	s_xor_b64 s[0:1], exec, -1
; %bb.149:                              ;   in Loop: Header=BB269_14 Depth=1
	s_or_b64 exec, exec, s[50:51]
	s_and_b64 s[0:1], s[0:1], exec
	s_or_saveexec_b64 s[48:49], s[48:49]
	v_mov_b32_e32 v28, s52
	s_xor_b64 exec, exec, s[48:49]
	s_cbranch_execz .LBB269_19
.LBB269_150:                            ;   in Loop: Header=BB269_14 Depth=1
	v_cmp_ne_u16_sdwa s[50:51], v2, v3 src0_sel:BYTE_0 src1_sel:DWORD
	s_andn2_b64 s[0:1], s[0:1], exec
	s_and_b64 s[50:51], s[50:51], exec
	v_mov_b32_e32 v28, 0
	s_or_b64 s[0:1], s[0:1], s[50:51]
	s_or_b64 exec, exec, s[48:49]
	v_and_b32_e32 v2, 0xffff, v2
	s_and_saveexec_b64 s[48:49], s[0:1]
	s_cbranch_execnz .LBB269_20
	s_branch .LBB269_21
.LBB269_151:                            ;   in Loop: Header=BB269_14 Depth=1
	v_cmp_eq_u16_e64 s[0:1], s63, v2
	s_mov_b64 s[48:49], -1
                                        ; implicit-def: $sgpr65
	s_and_saveexec_b64 s[52:53], s[0:1]
; %bb.152:                              ;   in Loop: Header=BB269_14 Depth=1
	s_mov_b32 s65, 0x7fc02000
	s_xor_b64 s[48:49], exec, -1
; %bb.153:                              ;   in Loop: Header=BB269_14 Depth=1
	s_or_b64 exec, exec, s[52:53]
	s_and_b64 s[48:49], s[48:49], exec
	s_or_saveexec_b64 s[50:51], s[50:51]
	v_mov_b32_e32 v29, s65
	s_xor_b64 exec, exec, s[50:51]
	s_cbranch_execz .LBB269_23
.LBB269_154:                            ;   in Loop: Header=BB269_14 Depth=1
	v_cmp_ne_u16_e64 s[0:1], 0, v2
	s_andn2_b64 s[48:49], s[48:49], exec
	s_and_b64 s[0:1], s[0:1], exec
	v_mov_b32_e32 v29, 0
	s_or_b64 s[48:49], s[48:49], s[0:1]
	s_or_b64 exec, exec, s[50:51]
	s_and_saveexec_b64 s[50:51], s[48:49]
	s_cbranch_execnz .LBB269_24
	s_branch .LBB269_25
.LBB269_155:                            ;   in Loop: Header=BB269_14 Depth=1
	v_cmp_eq_u16_sdwa s[66:67], v2, s63 src0_sel:BYTE_0 src1_sel:DWORD
	s_mov_b64 s[0:1], -1
                                        ; implicit-def: $sgpr52
	s_and_saveexec_b64 s[50:51], s[66:67]
; %bb.156:                              ;   in Loop: Header=BB269_14 Depth=1
	s_mov_b32 s52, 0x7fc02000
	s_xor_b64 s[0:1], exec, -1
; %bb.157:                              ;   in Loop: Header=BB269_14 Depth=1
	s_or_b64 exec, exec, s[50:51]
	s_and_b64 s[0:1], s[0:1], exec
	s_or_saveexec_b64 s[48:49], s[48:49]
	v_mov_b32_e32 v30, s52
	s_xor_b64 exec, exec, s[48:49]
	s_cbranch_execz .LBB269_27
.LBB269_158:                            ;   in Loop: Header=BB269_14 Depth=1
	v_cmp_ne_u16_sdwa s[50:51], v2, v3 src0_sel:BYTE_0 src1_sel:DWORD
	s_andn2_b64 s[0:1], s[0:1], exec
	s_and_b64 s[50:51], s[50:51], exec
	v_mov_b32_e32 v30, 0
	s_or_b64 s[0:1], s[0:1], s[50:51]
	s_or_b64 exec, exec, s[48:49]
	v_and_b32_e32 v2, 0xffff, v2
	s_and_saveexec_b64 s[48:49], s[0:1]
	s_cbranch_execnz .LBB269_28
	s_branch .LBB269_29
.LBB269_159:                            ;   in Loop: Header=BB269_14 Depth=1
	v_cmp_eq_u16_e64 s[0:1], s63, v2
	s_mov_b64 s[48:49], -1
                                        ; implicit-def: $sgpr65
	s_and_saveexec_b64 s[52:53], s[0:1]
; %bb.160:                              ;   in Loop: Header=BB269_14 Depth=1
	s_mov_b32 s65, 0x7fc02000
	s_xor_b64 s[48:49], exec, -1
; %bb.161:                              ;   in Loop: Header=BB269_14 Depth=1
	s_or_b64 exec, exec, s[52:53]
	s_and_b64 s[48:49], s[48:49], exec
	s_or_saveexec_b64 s[50:51], s[50:51]
	v_mov_b32_e32 v31, s65
	s_xor_b64 exec, exec, s[50:51]
	s_cbranch_execz .LBB269_31
.LBB269_162:                            ;   in Loop: Header=BB269_14 Depth=1
	v_cmp_ne_u16_e64 s[0:1], 0, v2
	s_andn2_b64 s[48:49], s[48:49], exec
	s_and_b64 s[0:1], s[0:1], exec
	v_mov_b32_e32 v31, 0
	s_or_b64 s[48:49], s[48:49], s[0:1]
	s_or_b64 exec, exec, s[50:51]
	s_and_saveexec_b64 s[50:51], s[48:49]
	s_cbranch_execnz .LBB269_32
	s_branch .LBB269_33
.LBB269_163:                            ;   in Loop: Header=BB269_14 Depth=1
	v_cmp_eq_u16_sdwa s[66:67], v2, s63 src0_sel:BYTE_0 src1_sel:DWORD
	s_mov_b64 s[0:1], -1
                                        ; implicit-def: $sgpr52
	s_and_saveexec_b64 s[50:51], s[66:67]
; %bb.164:                              ;   in Loop: Header=BB269_14 Depth=1
	s_mov_b32 s52, 0x7fc02000
	s_xor_b64 s[0:1], exec, -1
; %bb.165:                              ;   in Loop: Header=BB269_14 Depth=1
	s_or_b64 exec, exec, s[50:51]
	s_and_b64 s[0:1], s[0:1], exec
	s_or_saveexec_b64 s[48:49], s[48:49]
	v_mov_b32_e32 v32, s52
	s_xor_b64 exec, exec, s[48:49]
	s_cbranch_execz .LBB269_35
.LBB269_166:                            ;   in Loop: Header=BB269_14 Depth=1
	v_cmp_ne_u16_sdwa s[50:51], v2, v3 src0_sel:BYTE_0 src1_sel:DWORD
	s_andn2_b64 s[0:1], s[0:1], exec
	s_and_b64 s[50:51], s[50:51], exec
	v_mov_b32_e32 v32, 0
	s_or_b64 s[0:1], s[0:1], s[50:51]
	s_or_b64 exec, exec, s[48:49]
	v_and_b32_e32 v2, 0xffff, v2
	s_and_saveexec_b64 s[48:49], s[0:1]
	s_cbranch_execnz .LBB269_36
	s_branch .LBB269_37
.LBB269_167:                            ;   in Loop: Header=BB269_14 Depth=1
	v_cmp_eq_u16_e64 s[0:1], s63, v2
	s_mov_b64 s[48:49], -1
                                        ; implicit-def: $sgpr65
	s_and_saveexec_b64 s[52:53], s[0:1]
; %bb.168:                              ;   in Loop: Header=BB269_14 Depth=1
	s_mov_b32 s65, 0x7fc02000
	s_xor_b64 s[48:49], exec, -1
; %bb.169:                              ;   in Loop: Header=BB269_14 Depth=1
	s_or_b64 exec, exec, s[52:53]
	s_and_b64 s[48:49], s[48:49], exec
	s_or_saveexec_b64 s[50:51], s[50:51]
	v_mov_b32_e32 v33, s65
	s_xor_b64 exec, exec, s[50:51]
	s_cbranch_execz .LBB269_39
.LBB269_170:                            ;   in Loop: Header=BB269_14 Depth=1
	v_cmp_ne_u16_e64 s[0:1], 0, v2
	s_andn2_b64 s[48:49], s[48:49], exec
	s_and_b64 s[0:1], s[0:1], exec
	v_mov_b32_e32 v33, 0
	s_or_b64 s[48:49], s[48:49], s[0:1]
	s_or_b64 exec, exec, s[50:51]
	s_and_saveexec_b64 s[50:51], s[48:49]
	s_cbranch_execnz .LBB269_40
	s_branch .LBB269_41
.LBB269_171:                            ;   in Loop: Header=BB269_14 Depth=1
	v_cmp_eq_u16_sdwa s[66:67], v2, s63 src0_sel:BYTE_0 src1_sel:DWORD
	s_mov_b64 s[0:1], -1
                                        ; implicit-def: $sgpr52
	s_and_saveexec_b64 s[50:51], s[66:67]
; %bb.172:                              ;   in Loop: Header=BB269_14 Depth=1
	s_mov_b32 s52, 0x7fc02000
	s_xor_b64 s[0:1], exec, -1
; %bb.173:                              ;   in Loop: Header=BB269_14 Depth=1
	s_or_b64 exec, exec, s[50:51]
	s_and_b64 s[0:1], s[0:1], exec
	s_or_saveexec_b64 s[48:49], s[48:49]
	v_mov_b32_e32 v34, s52
	s_xor_b64 exec, exec, s[48:49]
	s_cbranch_execz .LBB269_43
.LBB269_174:                            ;   in Loop: Header=BB269_14 Depth=1
	v_cmp_ne_u16_sdwa s[50:51], v2, v3 src0_sel:BYTE_0 src1_sel:DWORD
	s_andn2_b64 s[0:1], s[0:1], exec
	s_and_b64 s[50:51], s[50:51], exec
	v_mov_b32_e32 v34, 0
	s_or_b64 s[0:1], s[0:1], s[50:51]
	s_or_b64 exec, exec, s[48:49]
	v_and_b32_e32 v2, 0xffff, v2
	s_and_saveexec_b64 s[48:49], s[0:1]
	s_cbranch_execnz .LBB269_44
	s_branch .LBB269_45
.LBB269_175:                            ;   in Loop: Header=BB269_14 Depth=1
	v_cmp_eq_u16_e64 s[0:1], s63, v2
	s_mov_b64 s[48:49], -1
                                        ; implicit-def: $sgpr65
	s_and_saveexec_b64 s[52:53], s[0:1]
; %bb.176:                              ;   in Loop: Header=BB269_14 Depth=1
	s_mov_b32 s65, 0x7fc02000
	s_xor_b64 s[48:49], exec, -1
; %bb.177:                              ;   in Loop: Header=BB269_14 Depth=1
	s_or_b64 exec, exec, s[52:53]
	s_and_b64 s[48:49], s[48:49], exec
	s_or_saveexec_b64 s[50:51], s[50:51]
	v_mov_b32_e32 v35, s65
	s_xor_b64 exec, exec, s[50:51]
	s_cbranch_execz .LBB269_47
.LBB269_178:                            ;   in Loop: Header=BB269_14 Depth=1
	v_cmp_ne_u16_e64 s[0:1], 0, v2
	s_andn2_b64 s[48:49], s[48:49], exec
	s_and_b64 s[0:1], s[0:1], exec
	v_mov_b32_e32 v35, 0
	s_or_b64 s[48:49], s[48:49], s[0:1]
	s_or_b64 exec, exec, s[50:51]
	s_and_saveexec_b64 s[50:51], s[48:49]
	s_cbranch_execnz .LBB269_48
	s_branch .LBB269_49
.LBB269_179:                            ;   in Loop: Header=BB269_14 Depth=1
	v_cmp_eq_u16_sdwa s[66:67], v2, s63 src0_sel:BYTE_0 src1_sel:DWORD
	s_mov_b64 s[0:1], -1
                                        ; implicit-def: $sgpr52
	s_and_saveexec_b64 s[50:51], s[66:67]
; %bb.180:                              ;   in Loop: Header=BB269_14 Depth=1
	s_mov_b32 s52, 0x7fc02000
	s_xor_b64 s[0:1], exec, -1
; %bb.181:                              ;   in Loop: Header=BB269_14 Depth=1
	s_or_b64 exec, exec, s[50:51]
	s_and_b64 s[0:1], s[0:1], exec
	s_or_saveexec_b64 s[48:49], s[48:49]
	v_mov_b32_e32 v36, s52
	s_xor_b64 exec, exec, s[48:49]
	s_cbranch_execz .LBB269_51
.LBB269_182:                            ;   in Loop: Header=BB269_14 Depth=1
	v_cmp_ne_u16_sdwa s[50:51], v2, v3 src0_sel:BYTE_0 src1_sel:DWORD
	s_andn2_b64 s[0:1], s[0:1], exec
	s_and_b64 s[50:51], s[50:51], exec
	v_mov_b32_e32 v36, 0
	s_or_b64 s[0:1], s[0:1], s[50:51]
	s_or_b64 exec, exec, s[48:49]
	v_and_b32_e32 v2, 0xffff, v2
	s_and_saveexec_b64 s[48:49], s[0:1]
	s_cbranch_execnz .LBB269_52
	s_branch .LBB269_53
.LBB269_183:                            ;   in Loop: Header=BB269_14 Depth=1
	v_cmp_eq_u16_e64 s[0:1], s63, v2
	s_mov_b64 s[48:49], -1
                                        ; implicit-def: $sgpr65
	s_and_saveexec_b64 s[52:53], s[0:1]
; %bb.184:                              ;   in Loop: Header=BB269_14 Depth=1
	s_mov_b32 s65, 0x7fc02000
	s_xor_b64 s[48:49], exec, -1
; %bb.185:                              ;   in Loop: Header=BB269_14 Depth=1
	s_or_b64 exec, exec, s[52:53]
	s_and_b64 s[48:49], s[48:49], exec
	s_or_saveexec_b64 s[50:51], s[50:51]
	v_mov_b32_e32 v37, s65
	s_xor_b64 exec, exec, s[50:51]
	s_cbranch_execz .LBB269_55
.LBB269_186:                            ;   in Loop: Header=BB269_14 Depth=1
	v_cmp_ne_u16_e64 s[0:1], 0, v2
	s_andn2_b64 s[48:49], s[48:49], exec
	s_and_b64 s[0:1], s[0:1], exec
	v_mov_b32_e32 v37, 0
	s_or_b64 s[48:49], s[48:49], s[0:1]
	s_or_b64 exec, exec, s[50:51]
	s_and_saveexec_b64 s[50:51], s[48:49]
	s_cbranch_execnz .LBB269_56
	s_branch .LBB269_57
.LBB269_187:                            ;   in Loop: Header=BB269_14 Depth=1
	v_cmp_eq_u16_sdwa s[66:67], v2, s63 src0_sel:BYTE_0 src1_sel:DWORD
	s_mov_b64 s[0:1], -1
                                        ; implicit-def: $sgpr52
	s_and_saveexec_b64 s[50:51], s[66:67]
; %bb.188:                              ;   in Loop: Header=BB269_14 Depth=1
	s_mov_b32 s52, 0x7fc02000
	s_xor_b64 s[0:1], exec, -1
; %bb.189:                              ;   in Loop: Header=BB269_14 Depth=1
	s_or_b64 exec, exec, s[50:51]
	s_and_b64 s[0:1], s[0:1], exec
	s_or_saveexec_b64 s[48:49], s[48:49]
	v_mov_b32_e32 v38, s52
	s_xor_b64 exec, exec, s[48:49]
	s_cbranch_execz .LBB269_59
.LBB269_190:                            ;   in Loop: Header=BB269_14 Depth=1
	v_cmp_ne_u16_sdwa s[50:51], v2, v3 src0_sel:BYTE_0 src1_sel:DWORD
	s_andn2_b64 s[0:1], s[0:1], exec
	s_and_b64 s[50:51], s[50:51], exec
	v_mov_b32_e32 v38, 0
	s_or_b64 s[0:1], s[0:1], s[50:51]
	s_or_b64 exec, exec, s[48:49]
	v_and_b32_e32 v2, 0xffff, v2
	s_and_saveexec_b64 s[48:49], s[0:1]
	s_cbranch_execnz .LBB269_60
	s_branch .LBB269_61
.LBB269_191:                            ;   in Loop: Header=BB269_14 Depth=1
	v_cmp_eq_u16_e64 s[0:1], s63, v2
	s_mov_b64 s[48:49], -1
                                        ; implicit-def: $sgpr65
	s_and_saveexec_b64 s[52:53], s[0:1]
; %bb.192:                              ;   in Loop: Header=BB269_14 Depth=1
	s_mov_b32 s65, 0x7fc02000
	s_xor_b64 s[48:49], exec, -1
; %bb.193:                              ;   in Loop: Header=BB269_14 Depth=1
	s_or_b64 exec, exec, s[52:53]
	s_and_b64 s[48:49], s[48:49], exec
	s_or_saveexec_b64 s[50:51], s[50:51]
	v_mov_b32_e32 v39, s65
	s_xor_b64 exec, exec, s[50:51]
	s_cbranch_execz .LBB269_63
.LBB269_194:                            ;   in Loop: Header=BB269_14 Depth=1
	v_cmp_ne_u16_e64 s[0:1], 0, v2
	s_andn2_b64 s[48:49], s[48:49], exec
	s_and_b64 s[0:1], s[0:1], exec
	v_mov_b32_e32 v39, 0
	s_or_b64 s[48:49], s[48:49], s[0:1]
	s_or_b64 exec, exec, s[50:51]
	s_and_saveexec_b64 s[50:51], s[48:49]
	s_cbranch_execnz .LBB269_64
	s_branch .LBB269_65
.LBB269_195:                            ;   in Loop: Header=BB269_14 Depth=1
	v_cmp_eq_u16_sdwa s[66:67], v2, s63 src0_sel:BYTE_0 src1_sel:DWORD
	s_mov_b64 s[0:1], -1
                                        ; implicit-def: $sgpr52
	s_and_saveexec_b64 s[50:51], s[66:67]
; %bb.196:                              ;   in Loop: Header=BB269_14 Depth=1
	s_mov_b32 s52, 0x7fc02000
	s_xor_b64 s[0:1], exec, -1
; %bb.197:                              ;   in Loop: Header=BB269_14 Depth=1
	s_or_b64 exec, exec, s[50:51]
	s_and_b64 s[0:1], s[0:1], exec
	s_or_saveexec_b64 s[48:49], s[48:49]
	v_mov_b32_e32 v40, s52
	s_xor_b64 exec, exec, s[48:49]
	s_cbranch_execz .LBB269_67
.LBB269_198:                            ;   in Loop: Header=BB269_14 Depth=1
	v_cmp_ne_u16_sdwa s[50:51], v2, v3 src0_sel:BYTE_0 src1_sel:DWORD
	s_andn2_b64 s[0:1], s[0:1], exec
	s_and_b64 s[50:51], s[50:51], exec
	v_mov_b32_e32 v40, 0
	s_or_b64 s[0:1], s[0:1], s[50:51]
	s_or_b64 exec, exec, s[48:49]
	v_and_b32_e32 v2, 0xffff, v2
	s_and_saveexec_b64 s[48:49], s[0:1]
	s_cbranch_execnz .LBB269_68
	s_branch .LBB269_69
.LBB269_199:                            ;   in Loop: Header=BB269_14 Depth=1
	v_cmp_eq_u16_e64 s[0:1], s63, v2
	s_mov_b64 s[48:49], -1
                                        ; implicit-def: $sgpr65
	s_and_saveexec_b64 s[52:53], s[0:1]
; %bb.200:                              ;   in Loop: Header=BB269_14 Depth=1
	s_mov_b32 s65, 0x7fc02000
	s_xor_b64 s[48:49], exec, -1
; %bb.201:                              ;   in Loop: Header=BB269_14 Depth=1
	s_or_b64 exec, exec, s[52:53]
	s_and_b64 s[48:49], s[48:49], exec
	s_or_saveexec_b64 s[50:51], s[50:51]
	v_mov_b32_e32 v41, s65
	s_xor_b64 exec, exec, s[50:51]
	s_cbranch_execz .LBB269_71
.LBB269_202:                            ;   in Loop: Header=BB269_14 Depth=1
	v_cmp_ne_u16_e64 s[0:1], 0, v2
	s_andn2_b64 s[48:49], s[48:49], exec
	s_and_b64 s[0:1], s[0:1], exec
	v_mov_b32_e32 v41, 0
	s_or_b64 s[48:49], s[48:49], s[0:1]
	s_or_b64 exec, exec, s[50:51]
	s_and_saveexec_b64 s[50:51], s[48:49]
	s_cbranch_execnz .LBB269_72
	s_branch .LBB269_73
.LBB269_203:                            ;   in Loop: Header=BB269_14 Depth=1
	v_cmp_eq_u16_sdwa s[66:67], v2, s63 src0_sel:BYTE_0 src1_sel:DWORD
	s_mov_b64 s[0:1], -1
                                        ; implicit-def: $sgpr52
	s_and_saveexec_b64 s[50:51], s[66:67]
; %bb.204:                              ;   in Loop: Header=BB269_14 Depth=1
	s_mov_b32 s52, 0x7fc02000
	s_xor_b64 s[0:1], exec, -1
; %bb.205:                              ;   in Loop: Header=BB269_14 Depth=1
	s_or_b64 exec, exec, s[50:51]
	s_and_b64 s[0:1], s[0:1], exec
	s_or_saveexec_b64 s[48:49], s[48:49]
	v_mov_b32_e32 v42, s52
	s_xor_b64 exec, exec, s[48:49]
	s_cbranch_execz .LBB269_75
.LBB269_206:                            ;   in Loop: Header=BB269_14 Depth=1
	v_cmp_ne_u16_sdwa s[50:51], v2, v3 src0_sel:BYTE_0 src1_sel:DWORD
	s_andn2_b64 s[0:1], s[0:1], exec
	s_and_b64 s[50:51], s[50:51], exec
	v_mov_b32_e32 v42, 0
	s_or_b64 s[0:1], s[0:1], s[50:51]
	s_or_b64 exec, exec, s[48:49]
	v_and_b32_e32 v2, 0xffff, v2
	s_and_saveexec_b64 s[48:49], s[0:1]
	s_cbranch_execnz .LBB269_76
	s_branch .LBB269_77
.LBB269_207:                            ;   in Loop: Header=BB269_14 Depth=1
	v_cmp_eq_u16_e64 s[0:1], s63, v2
	s_mov_b64 s[48:49], -1
                                        ; implicit-def: $sgpr65
	s_and_saveexec_b64 s[52:53], s[0:1]
; %bb.208:                              ;   in Loop: Header=BB269_14 Depth=1
	s_mov_b32 s65, 0x7fc02000
	s_xor_b64 s[48:49], exec, -1
; %bb.209:                              ;   in Loop: Header=BB269_14 Depth=1
	s_or_b64 exec, exec, s[52:53]
	s_and_b64 s[48:49], s[48:49], exec
	s_or_saveexec_b64 s[50:51], s[50:51]
	v_mov_b32_e32 v43, s65
	s_xor_b64 exec, exec, s[50:51]
	s_cbranch_execz .LBB269_79
.LBB269_210:                            ;   in Loop: Header=BB269_14 Depth=1
	v_cmp_ne_u16_e64 s[0:1], 0, v2
	s_andn2_b64 s[48:49], s[48:49], exec
	s_and_b64 s[0:1], s[0:1], exec
	v_mov_b32_e32 v43, 0
	s_or_b64 s[48:49], s[48:49], s[0:1]
	s_or_b64 exec, exec, s[50:51]
	s_and_saveexec_b64 s[50:51], s[48:49]
	s_cbranch_execnz .LBB269_80
	s_branch .LBB269_81
.LBB269_211:                            ;   in Loop: Header=BB269_14 Depth=1
	v_cmp_eq_u16_sdwa s[66:67], v2, s63 src0_sel:BYTE_0 src1_sel:DWORD
	s_mov_b64 s[0:1], -1
                                        ; implicit-def: $sgpr52
	s_and_saveexec_b64 s[50:51], s[66:67]
; %bb.212:                              ;   in Loop: Header=BB269_14 Depth=1
	s_mov_b32 s52, 0x7fc02000
	s_xor_b64 s[0:1], exec, -1
; %bb.213:                              ;   in Loop: Header=BB269_14 Depth=1
	s_or_b64 exec, exec, s[50:51]
	s_and_b64 s[0:1], s[0:1], exec
	s_or_saveexec_b64 s[48:49], s[48:49]
	v_mov_b32_e32 v44, s52
	s_xor_b64 exec, exec, s[48:49]
	s_cbranch_execz .LBB269_83
.LBB269_214:                            ;   in Loop: Header=BB269_14 Depth=1
	v_cmp_ne_u16_sdwa s[50:51], v2, v3 src0_sel:BYTE_0 src1_sel:DWORD
	s_andn2_b64 s[0:1], s[0:1], exec
	s_and_b64 s[50:51], s[50:51], exec
	v_mov_b32_e32 v44, 0
	s_or_b64 s[0:1], s[0:1], s[50:51]
	s_or_b64 exec, exec, s[48:49]
	v_and_b32_e32 v2, 0xffff, v2
	s_and_saveexec_b64 s[48:49], s[0:1]
	s_cbranch_execnz .LBB269_84
	s_branch .LBB269_85
.LBB269_215:                            ;   in Loop: Header=BB269_14 Depth=1
	v_cmp_eq_u16_e64 s[0:1], s63, v2
	s_mov_b64 s[48:49], -1
                                        ; implicit-def: $sgpr65
	s_and_saveexec_b64 s[52:53], s[0:1]
; %bb.216:                              ;   in Loop: Header=BB269_14 Depth=1
	s_mov_b32 s65, 0x7fc02000
	s_xor_b64 s[48:49], exec, -1
; %bb.217:                              ;   in Loop: Header=BB269_14 Depth=1
	s_or_b64 exec, exec, s[52:53]
	s_and_b64 s[48:49], s[48:49], exec
	s_or_saveexec_b64 s[50:51], s[50:51]
	v_mov_b32_e32 v45, s65
	s_xor_b64 exec, exec, s[50:51]
	s_cbranch_execz .LBB269_87
.LBB269_218:                            ;   in Loop: Header=BB269_14 Depth=1
	v_cmp_ne_u16_e64 s[0:1], 0, v2
	s_andn2_b64 s[48:49], s[48:49], exec
	s_and_b64 s[0:1], s[0:1], exec
	v_mov_b32_e32 v45, 0
	s_or_b64 s[48:49], s[48:49], s[0:1]
	s_or_b64 exec, exec, s[50:51]
	s_and_saveexec_b64 s[50:51], s[48:49]
	s_cbranch_execnz .LBB269_88
	s_branch .LBB269_89
.LBB269_219:                            ;   in Loop: Header=BB269_14 Depth=1
	v_cmp_eq_u16_sdwa s[66:67], v2, s63 src0_sel:BYTE_0 src1_sel:DWORD
	s_mov_b64 s[0:1], -1
                                        ; implicit-def: $sgpr52
	s_and_saveexec_b64 s[50:51], s[66:67]
; %bb.220:                              ;   in Loop: Header=BB269_14 Depth=1
	s_mov_b32 s52, 0x7fc02000
	s_xor_b64 s[0:1], exec, -1
; %bb.221:                              ;   in Loop: Header=BB269_14 Depth=1
	s_or_b64 exec, exec, s[50:51]
	s_and_b64 s[0:1], s[0:1], exec
	s_or_saveexec_b64 s[48:49], s[48:49]
	v_mov_b32_e32 v46, s52
	s_xor_b64 exec, exec, s[48:49]
	s_cbranch_execz .LBB269_91
.LBB269_222:                            ;   in Loop: Header=BB269_14 Depth=1
	v_cmp_ne_u16_sdwa s[50:51], v2, v3 src0_sel:BYTE_0 src1_sel:DWORD
	s_andn2_b64 s[0:1], s[0:1], exec
	s_and_b64 s[50:51], s[50:51], exec
	v_mov_b32_e32 v46, 0
	s_or_b64 s[0:1], s[0:1], s[50:51]
	s_or_b64 exec, exec, s[48:49]
	v_and_b32_e32 v2, 0xffff, v2
	s_and_saveexec_b64 s[48:49], s[0:1]
	s_cbranch_execnz .LBB269_92
	s_branch .LBB269_93
.LBB269_223:                            ;   in Loop: Header=BB269_14 Depth=1
	v_cmp_eq_u16_e64 s[0:1], s63, v2
	s_mov_b64 s[48:49], -1
                                        ; implicit-def: $sgpr65
	s_and_saveexec_b64 s[52:53], s[0:1]
; %bb.224:                              ;   in Loop: Header=BB269_14 Depth=1
	s_mov_b32 s65, 0x7fc02000
	s_xor_b64 s[48:49], exec, -1
; %bb.225:                              ;   in Loop: Header=BB269_14 Depth=1
	s_or_b64 exec, exec, s[52:53]
	s_and_b64 s[48:49], s[48:49], exec
	s_or_saveexec_b64 s[50:51], s[50:51]
	v_mov_b32_e32 v47, s65
	s_xor_b64 exec, exec, s[50:51]
	s_cbranch_execz .LBB269_95
.LBB269_226:                            ;   in Loop: Header=BB269_14 Depth=1
	v_cmp_ne_u16_e64 s[0:1], 0, v2
	s_andn2_b64 s[48:49], s[48:49], exec
	s_and_b64 s[0:1], s[0:1], exec
	v_mov_b32_e32 v47, 0
	s_or_b64 s[48:49], s[48:49], s[0:1]
	s_or_b64 exec, exec, s[50:51]
	s_and_saveexec_b64 s[50:51], s[48:49]
	s_cbranch_execnz .LBB269_96
	s_branch .LBB269_97
.LBB269_227:                            ;   in Loop: Header=BB269_14 Depth=1
	v_cmp_eq_u16_sdwa s[66:67], v2, s63 src0_sel:BYTE_0 src1_sel:DWORD
	s_mov_b64 s[0:1], -1
                                        ; implicit-def: $sgpr52
	s_and_saveexec_b64 s[50:51], s[66:67]
; %bb.228:                              ;   in Loop: Header=BB269_14 Depth=1
	s_mov_b32 s52, 0x7fc02000
	s_xor_b64 s[0:1], exec, -1
; %bb.229:                              ;   in Loop: Header=BB269_14 Depth=1
	s_or_b64 exec, exec, s[50:51]
	s_and_b64 s[0:1], s[0:1], exec
	s_or_saveexec_b64 s[48:49], s[48:49]
	v_mov_b32_e32 v48, s52
	s_xor_b64 exec, exec, s[48:49]
	s_cbranch_execz .LBB269_99
.LBB269_230:                            ;   in Loop: Header=BB269_14 Depth=1
	v_cmp_ne_u16_sdwa s[50:51], v2, v3 src0_sel:BYTE_0 src1_sel:DWORD
	s_andn2_b64 s[0:1], s[0:1], exec
	s_and_b64 s[50:51], s[50:51], exec
	v_mov_b32_e32 v48, 0
	s_or_b64 s[0:1], s[0:1], s[50:51]
	s_or_b64 exec, exec, s[48:49]
	v_and_b32_e32 v2, 0xffff, v2
	s_and_saveexec_b64 s[48:49], s[0:1]
	s_cbranch_execnz .LBB269_100
	s_branch .LBB269_101
.LBB269_231:                            ;   in Loop: Header=BB269_14 Depth=1
	v_cmp_eq_u16_e64 s[0:1], s63, v2
	s_mov_b64 s[48:49], -1
                                        ; implicit-def: $sgpr65
	s_and_saveexec_b64 s[52:53], s[0:1]
; %bb.232:                              ;   in Loop: Header=BB269_14 Depth=1
	s_mov_b32 s65, 0x7fc02000
	s_xor_b64 s[48:49], exec, -1
; %bb.233:                              ;   in Loop: Header=BB269_14 Depth=1
	s_or_b64 exec, exec, s[52:53]
	s_and_b64 s[48:49], s[48:49], exec
	s_or_saveexec_b64 s[50:51], s[50:51]
	v_mov_b32_e32 v49, s65
	s_xor_b64 exec, exec, s[50:51]
	s_cbranch_execz .LBB269_103
.LBB269_234:                            ;   in Loop: Header=BB269_14 Depth=1
	v_cmp_ne_u16_e64 s[0:1], 0, v2
	s_andn2_b64 s[48:49], s[48:49], exec
	s_and_b64 s[0:1], s[0:1], exec
	v_mov_b32_e32 v49, 0
	s_or_b64 s[48:49], s[48:49], s[0:1]
	s_or_b64 exec, exec, s[50:51]
	s_and_saveexec_b64 s[50:51], s[48:49]
	s_cbranch_execnz .LBB269_104
	s_branch .LBB269_105
.LBB269_235:                            ;   in Loop: Header=BB269_14 Depth=1
	v_cmp_eq_u16_sdwa s[66:67], v2, s63 src0_sel:BYTE_0 src1_sel:DWORD
	s_mov_b64 s[0:1], -1
                                        ; implicit-def: $sgpr52
	s_and_saveexec_b64 s[50:51], s[66:67]
; %bb.236:                              ;   in Loop: Header=BB269_14 Depth=1
	s_mov_b32 s52, 0x7fc02000
	s_xor_b64 s[0:1], exec, -1
; %bb.237:                              ;   in Loop: Header=BB269_14 Depth=1
	s_or_b64 exec, exec, s[50:51]
	s_and_b64 s[0:1], s[0:1], exec
	s_or_saveexec_b64 s[48:49], s[48:49]
	v_mov_b32_e32 v50, s52
	s_xor_b64 exec, exec, s[48:49]
	s_cbranch_execz .LBB269_107
.LBB269_238:                            ;   in Loop: Header=BB269_14 Depth=1
	v_cmp_ne_u16_sdwa s[50:51], v2, v3 src0_sel:BYTE_0 src1_sel:DWORD
	s_andn2_b64 s[0:1], s[0:1], exec
	s_and_b64 s[50:51], s[50:51], exec
	v_mov_b32_e32 v50, 0
	s_or_b64 s[0:1], s[0:1], s[50:51]
	s_or_b64 exec, exec, s[48:49]
	v_and_b32_e32 v2, 0xffff, v2
	s_and_saveexec_b64 s[48:49], s[0:1]
	s_cbranch_execnz .LBB269_108
	s_branch .LBB269_109
.LBB269_239:                            ;   in Loop: Header=BB269_14 Depth=1
	v_cmp_eq_u16_e64 s[0:1], s63, v2
	s_mov_b64 s[48:49], -1
                                        ; implicit-def: $sgpr65
	s_and_saveexec_b64 s[52:53], s[0:1]
; %bb.240:                              ;   in Loop: Header=BB269_14 Depth=1
	s_mov_b32 s65, 0x7fc02000
	s_xor_b64 s[48:49], exec, -1
; %bb.241:                              ;   in Loop: Header=BB269_14 Depth=1
	s_or_b64 exec, exec, s[52:53]
	s_and_b64 s[48:49], s[48:49], exec
	s_or_saveexec_b64 s[50:51], s[50:51]
	v_mov_b32_e32 v51, s65
	s_xor_b64 exec, exec, s[50:51]
	s_cbranch_execz .LBB269_111
.LBB269_242:                            ;   in Loop: Header=BB269_14 Depth=1
	v_cmp_ne_u16_e64 s[0:1], 0, v2
	s_andn2_b64 s[48:49], s[48:49], exec
	s_and_b64 s[0:1], s[0:1], exec
	v_mov_b32_e32 v51, 0
	s_or_b64 s[48:49], s[48:49], s[0:1]
	s_or_b64 exec, exec, s[50:51]
	s_and_saveexec_b64 s[50:51], s[48:49]
	s_cbranch_execnz .LBB269_112
	s_branch .LBB269_113
.LBB269_243:                            ;   in Loop: Header=BB269_14 Depth=1
	v_cmp_eq_u16_sdwa s[66:67], v2, s63 src0_sel:BYTE_0 src1_sel:DWORD
	s_mov_b64 s[0:1], -1
                                        ; implicit-def: $sgpr52
	s_and_saveexec_b64 s[50:51], s[66:67]
; %bb.244:                              ;   in Loop: Header=BB269_14 Depth=1
	s_mov_b32 s52, 0x7fc02000
	s_xor_b64 s[0:1], exec, -1
; %bb.245:                              ;   in Loop: Header=BB269_14 Depth=1
	s_or_b64 exec, exec, s[50:51]
	s_and_b64 s[0:1], s[0:1], exec
	s_or_saveexec_b64 s[48:49], s[48:49]
	v_mov_b32_e32 v52, s52
	s_xor_b64 exec, exec, s[48:49]
	s_cbranch_execz .LBB269_115
.LBB269_246:                            ;   in Loop: Header=BB269_14 Depth=1
	v_cmp_ne_u16_sdwa s[50:51], v2, v3 src0_sel:BYTE_0 src1_sel:DWORD
	s_andn2_b64 s[0:1], s[0:1], exec
	s_and_b64 s[50:51], s[50:51], exec
	v_mov_b32_e32 v52, 0
	s_or_b64 s[0:1], s[0:1], s[50:51]
	s_or_b64 exec, exec, s[48:49]
	v_and_b32_e32 v2, 0xffff, v2
	s_and_saveexec_b64 s[48:49], s[0:1]
	s_cbranch_execnz .LBB269_116
	s_branch .LBB269_117
.LBB269_247:                            ;   in Loop: Header=BB269_14 Depth=1
	v_cmp_eq_u16_e64 s[0:1], s63, v2
	s_mov_b64 s[48:49], -1
                                        ; implicit-def: $sgpr65
	s_and_saveexec_b64 s[52:53], s[0:1]
; %bb.248:                              ;   in Loop: Header=BB269_14 Depth=1
	s_mov_b32 s65, 0x7fc02000
	s_xor_b64 s[48:49], exec, -1
; %bb.249:                              ;   in Loop: Header=BB269_14 Depth=1
	s_or_b64 exec, exec, s[52:53]
	s_and_b64 s[48:49], s[48:49], exec
	s_or_saveexec_b64 s[50:51], s[50:51]
	v_mov_b32_e32 v53, s65
	s_xor_b64 exec, exec, s[50:51]
	s_cbranch_execz .LBB269_119
.LBB269_250:                            ;   in Loop: Header=BB269_14 Depth=1
	v_cmp_ne_u16_e64 s[0:1], 0, v2
	s_andn2_b64 s[48:49], s[48:49], exec
	s_and_b64 s[0:1], s[0:1], exec
	v_mov_b32_e32 v53, 0
	s_or_b64 s[48:49], s[48:49], s[0:1]
	s_or_b64 exec, exec, s[50:51]
	s_and_saveexec_b64 s[50:51], s[48:49]
	s_cbranch_execnz .LBB269_120
	s_branch .LBB269_121
.LBB269_251:                            ;   in Loop: Header=BB269_14 Depth=1
	v_cmp_eq_u16_sdwa s[66:67], v2, s63 src0_sel:BYTE_0 src1_sel:DWORD
	s_mov_b64 s[0:1], -1
                                        ; implicit-def: $sgpr52
	s_and_saveexec_b64 s[50:51], s[66:67]
; %bb.252:                              ;   in Loop: Header=BB269_14 Depth=1
	s_mov_b32 s52, 0x7fc02000
	s_xor_b64 s[0:1], exec, -1
; %bb.253:                              ;   in Loop: Header=BB269_14 Depth=1
	s_or_b64 exec, exec, s[50:51]
	s_and_b64 s[0:1], s[0:1], exec
	s_or_saveexec_b64 s[48:49], s[48:49]
	v_mov_b32_e32 v54, s52
	s_xor_b64 exec, exec, s[48:49]
	s_cbranch_execz .LBB269_123
.LBB269_254:                            ;   in Loop: Header=BB269_14 Depth=1
	v_cmp_ne_u16_sdwa s[50:51], v2, v3 src0_sel:BYTE_0 src1_sel:DWORD
	s_andn2_b64 s[0:1], s[0:1], exec
	s_and_b64 s[50:51], s[50:51], exec
	v_mov_b32_e32 v54, 0
	s_or_b64 s[0:1], s[0:1], s[50:51]
	s_or_b64 exec, exec, s[48:49]
	v_and_b32_e32 v2, 0xffff, v2
	s_and_saveexec_b64 s[48:49], s[0:1]
	s_cbranch_execnz .LBB269_124
	s_branch .LBB269_125
.LBB269_255:                            ;   in Loop: Header=BB269_14 Depth=1
	v_cmp_eq_u16_e64 s[0:1], s63, v2
	s_mov_b64 s[48:49], -1
                                        ; implicit-def: $sgpr65
	s_and_saveexec_b64 s[52:53], s[0:1]
; %bb.256:                              ;   in Loop: Header=BB269_14 Depth=1
	s_mov_b32 s65, 0x7fc02000
	s_xor_b64 s[48:49], exec, -1
; %bb.257:                              ;   in Loop: Header=BB269_14 Depth=1
	s_or_b64 exec, exec, s[52:53]
	s_and_b64 s[48:49], s[48:49], exec
	s_or_saveexec_b64 s[50:51], s[50:51]
	v_mov_b32_e32 v55, s65
	s_xor_b64 exec, exec, s[50:51]
	s_cbranch_execz .LBB269_127
.LBB269_258:                            ;   in Loop: Header=BB269_14 Depth=1
	v_cmp_ne_u16_e64 s[0:1], 0, v2
	s_andn2_b64 s[48:49], s[48:49], exec
	s_and_b64 s[0:1], s[0:1], exec
	v_mov_b32_e32 v55, 0
	s_or_b64 s[48:49], s[48:49], s[0:1]
	s_or_b64 exec, exec, s[50:51]
	s_and_saveexec_b64 s[50:51], s[48:49]
	s_cbranch_execnz .LBB269_128
	s_branch .LBB269_129
.LBB269_259:                            ;   in Loop: Header=BB269_14 Depth=1
	v_cmp_eq_u16_sdwa s[66:67], v2, s63 src0_sel:BYTE_0 src1_sel:DWORD
	s_mov_b64 s[0:1], -1
                                        ; implicit-def: $sgpr52
	s_and_saveexec_b64 s[50:51], s[66:67]
; %bb.260:                              ;   in Loop: Header=BB269_14 Depth=1
	s_mov_b32 s52, 0x7fc02000
	s_xor_b64 s[0:1], exec, -1
; %bb.261:                              ;   in Loop: Header=BB269_14 Depth=1
	s_or_b64 exec, exec, s[50:51]
	s_and_b64 s[0:1], s[0:1], exec
	s_or_saveexec_b64 s[48:49], s[48:49]
	v_mov_b32_e32 v56, s52
	s_xor_b64 exec, exec, s[48:49]
	s_cbranch_execz .LBB269_131
.LBB269_262:                            ;   in Loop: Header=BB269_14 Depth=1
	v_cmp_ne_u16_sdwa s[50:51], v2, v3 src0_sel:BYTE_0 src1_sel:DWORD
	s_andn2_b64 s[0:1], s[0:1], exec
	s_and_b64 s[50:51], s[50:51], exec
	v_mov_b32_e32 v56, 0
	s_or_b64 s[0:1], s[0:1], s[50:51]
	s_or_b64 exec, exec, s[48:49]
	v_and_b32_e32 v2, 0xffff, v2
	s_and_saveexec_b64 s[48:49], s[0:1]
	s_cbranch_execnz .LBB269_132
	s_branch .LBB269_133
.LBB269_263:                            ;   in Loop: Header=BB269_14 Depth=1
	v_cmp_eq_u16_e64 s[0:1], s63, v2
	s_mov_b64 s[48:49], -1
                                        ; implicit-def: $sgpr65
	s_and_saveexec_b64 s[52:53], s[0:1]
; %bb.264:                              ;   in Loop: Header=BB269_14 Depth=1
	s_mov_b32 s65, 0x7fc02000
	s_xor_b64 s[48:49], exec, -1
; %bb.265:                              ;   in Loop: Header=BB269_14 Depth=1
	s_or_b64 exec, exec, s[52:53]
	s_and_b64 s[48:49], s[48:49], exec
	s_or_saveexec_b64 s[50:51], s[50:51]
	v_mov_b32_e32 v57, s65
	s_xor_b64 exec, exec, s[50:51]
	s_cbranch_execz .LBB269_135
.LBB269_266:                            ;   in Loop: Header=BB269_14 Depth=1
	v_cmp_ne_u16_e64 s[0:1], 0, v2
	s_andn2_b64 s[48:49], s[48:49], exec
	s_and_b64 s[0:1], s[0:1], exec
	v_mov_b32_e32 v57, 0
	s_or_b64 s[48:49], s[48:49], s[0:1]
	s_or_b64 exec, exec, s[50:51]
	s_and_saveexec_b64 s[50:51], s[48:49]
	s_cbranch_execnz .LBB269_136
	s_branch .LBB269_137
.LBB269_267:                            ;   in Loop: Header=BB269_14 Depth=1
	v_cmp_eq_u16_sdwa s[66:67], v2, s63 src0_sel:BYTE_0 src1_sel:DWORD
	s_mov_b64 s[0:1], -1
                                        ; implicit-def: $sgpr52
	s_and_saveexec_b64 s[50:51], s[66:67]
; %bb.268:                              ;   in Loop: Header=BB269_14 Depth=1
	s_mov_b32 s52, 0x7fc02000
	s_xor_b64 s[0:1], exec, -1
; %bb.269:                              ;   in Loop: Header=BB269_14 Depth=1
	s_or_b64 exec, exec, s[50:51]
	s_and_b64 s[0:1], s[0:1], exec
	s_or_saveexec_b64 s[48:49], s[48:49]
	v_mov_b32_e32 v12, s52
	s_xor_b64 exec, exec, s[48:49]
	s_cbranch_execz .LBB269_139
.LBB269_270:                            ;   in Loop: Header=BB269_14 Depth=1
	v_cmp_ne_u16_sdwa s[50:51], v2, v3 src0_sel:BYTE_0 src1_sel:DWORD
	s_andn2_b64 s[0:1], s[0:1], exec
	s_and_b64 s[50:51], s[50:51], exec
	v_mov_b32_e32 v12, 0
	s_or_b64 s[0:1], s[0:1], s[50:51]
	s_or_b64 exec, exec, s[48:49]
	v_and_b32_e32 v2, 0xffff, v2
	s_and_saveexec_b64 s[48:49], s[0:1]
	s_cbranch_execnz .LBB269_140
	s_branch .LBB269_141
.LBB269_271:                            ;   in Loop: Header=BB269_14 Depth=1
	v_cmp_eq_u16_e64 s[0:1], s63, v2
	s_mov_b64 s[48:49], -1
                                        ; implicit-def: $sgpr65
	s_and_saveexec_b64 s[52:53], s[0:1]
; %bb.272:                              ;   in Loop: Header=BB269_14 Depth=1
	s_mov_b32 s65, 0x7fc02000
	s_xor_b64 s[48:49], exec, -1
; %bb.273:                              ;   in Loop: Header=BB269_14 Depth=1
	s_or_b64 exec, exec, s[52:53]
	s_and_b64 s[48:49], s[48:49], exec
	s_or_saveexec_b64 s[50:51], s[50:51]
	v_mov_b32_e32 v13, s65
	s_xor_b64 exec, exec, s[50:51]
	s_cbranch_execz .LBB269_143
.LBB269_274:                            ;   in Loop: Header=BB269_14 Depth=1
	v_cmp_ne_u16_e64 s[0:1], 0, v2
	s_andn2_b64 s[48:49], s[48:49], exec
	s_and_b64 s[0:1], s[0:1], exec
	v_mov_b32_e32 v13, 0
	s_or_b64 s[48:49], s[48:49], s[0:1]
	s_or_b64 exec, exec, s[50:51]
	s_and_saveexec_b64 s[50:51], s[48:49]
	s_cbranch_execnz .LBB269_144
	s_branch .LBB269_145
.LBB269_275:
	s_or_b64 exec, exec, s[46:47]
.LBB269_276:
	s_or_b64 exec, exec, s[22:23]
	v_mbcnt_hi_u32_b32 v2, -1, v15
	v_and_b32_e32 v3, 64, v2
	v_add_u32_e32 v3, 64, v3
	v_xor_b32_e32 v4, 32, v2
	v_cmp_lt_i32_e32 vcc, v4, v3
	v_xor_b32_e32 v9, 16, v2
	v_max_f32_e32 v8, v18, v18
	v_cndmask_b32_e32 v4, v2, v4, vcc
	v_lshlrev_b32_e32 v5, 2, v4
	ds_bpermute_b32 v4, v5, v18
	v_cmp_lt_i32_e32 vcc, v9, v3
	v_xor_b32_e32 v10, 8, v2
	v_and_b32_e32 v17, 63, v0
	s_waitcnt lgkmcnt(0)
	v_max_f32_e32 v4, v4, v4
	v_max_f32_e32 v4, v8, v4
	v_cndmask_b32_e32 v8, v2, v9, vcc
	v_lshlrev_b32_e32 v8, 2, v8
	ds_bpermute_b32 v9, v8, v4
	v_cmp_lt_i32_e32 vcc, v10, v3
	s_waitcnt lgkmcnt(0)
	v_max_f32_e32 v9, v9, v9
	v_max_f32_e32 v4, v4, v9
	v_cndmask_b32_e32 v9, v2, v10, vcc
	v_lshlrev_b32_e32 v11, 2, v9
	ds_bpermute_b32 v9, v11, v4
	v_xor_b32_e32 v10, 4, v2
	v_cmp_lt_i32_e32 vcc, v10, v3
	s_waitcnt lgkmcnt(0)
	v_max_f32_e32 v9, v9, v9
	v_max_f32_e32 v4, v4, v9
	v_cndmask_b32_e32 v9, v2, v10, vcc
	v_lshlrev_b32_e32 v12, 2, v9
	ds_bpermute_b32 v10, v12, v4
	v_cmp_eq_u32_e32 vcc, 0, v17
	v_lshlrev_b32_e32 v9, 2, v14
	s_and_saveexec_b64 s[0:1], vcc
	s_cbranch_execz .LBB269_278
; %bb.277:
	s_waitcnt lgkmcnt(0)
	v_max_f32_e32 v10, v10, v10
	v_max_f32_e32 v4, v4, v4
	;; [unrolled: 1-line block ×3, first 2 shown]
	ds_write_b32 v9, v4 offset:256
.LBB269_278:
	s_or_b64 exec, exec, s[0:1]
	v_cmp_gt_u32_e64 s[0:1], 2, v17
	v_mov_b32_e32 v4, 0xff7fffff
	s_waitcnt lgkmcnt(0)
	v_lshlrev_b32_e32 v10, 2, v17
	s_barrier
	s_and_saveexec_b64 s[8:9], s[0:1]
	s_cbranch_execz .LBB269_280
; %bb.279:
	ds_read_b32 v4, v10 offset:256
.LBB269_280:
	s_or_b64 exec, exec, s[8:9]
	v_xor_b32_e32 v13, 1, v2
	v_cmp_lt_i32_e64 s[8:9], v13, v3
	v_mov_b32_e32 v15, 0
	s_nop 0
	v_cndmask_b32_e64 v13, v2, v13, s[8:9]
	v_lshlrev_b32_e32 v24, 2, v13
	s_waitcnt lgkmcnt(0)
	ds_bpermute_b32 v13, v24, v4
	v_max_f32_e32 v4, v4, v4
	s_sub_i32 s8, s24, s58
	s_lshl_b32 s8, s8, 4
	s_add_i32 s8, s8, s56
	s_waitcnt lgkmcnt(0)
	v_max_f32_e32 v13, v13, v13
	v_max_f32_e32 v4, v4, v13
	v_lshlrev_b32_e32 v13, 2, v2
	v_and_b32_e32 v13, 0x100, v13
	ds_bpermute_b32 v4, v13, v4
	s_min_i32 s46, s8, s33
	s_sub_i32 s45, s46, s56
	v_cmp_gt_i32_e64 s[8:9], s45, v0
	s_and_saveexec_b64 s[16:17], s[8:9]
	s_cbranch_execz .LBB269_284
; %bb.281:
	v_mov_b32_e32 v15, 0x110
	v_lshl_add_u32 v16, v0, 2, v15
	s_mov_b64 s[22:23], 0
	v_mov_b32_e32 v15, 0
	v_mov_b32_e32 v18, v0
.LBB269_282:                            ; =>This Inner Loop Header: Depth=1
	ds_read_b32 v19, v16
	v_add_u32_e32 v18, 0x80, v18
	v_cmp_le_i32_e64 s[12:13], s45, v18
	s_or_b64 s[22:23], s[12:13], s[22:23]
	s_waitcnt lgkmcnt(0)
	v_sub_f32_e32 v19, v19, v4
	v_mul_f32_e32 v19, 0x3fb8aa3b, v19
	v_exp_f32_e32 v19, v19
	ds_write_b32 v16, v19
	v_add_f32_e32 v15, v15, v19
	v_add_u32_e32 v16, 0x200, v16
	s_andn2_b64 exec, exec, s[22:23]
	s_cbranch_execnz .LBB269_282
; %bb.283:
	s_or_b64 exec, exec, s[22:23]
.LBB269_284:
	s_or_b64 exec, exec, s[16:17]
	ds_bpermute_b32 v5, v5, v15
	s_waitcnt lgkmcnt(0)
	v_add_f32_e32 v5, v15, v5
	ds_bpermute_b32 v8, v8, v5
	s_waitcnt lgkmcnt(0)
	v_add_f32_e32 v5, v5, v8
	ds_bpermute_b32 v8, v11, v5
	v_xor_b32_e32 v11, 2, v2
	v_cmp_lt_i32_e64 s[12:13], v11, v3
	s_waitcnt lgkmcnt(0)
	v_add_f32_e32 v5, v5, v8
	ds_bpermute_b32 v8, v12, v5
	v_cndmask_b32_e64 v2, v2, v11, s[12:13]
	v_lshlrev_b32_e32 v2, 2, v2
	s_waitcnt lgkmcnt(0)
	v_add_f32_e32 v3, v5, v8
	ds_bpermute_b32 v2, v2, v3
	s_waitcnt lgkmcnt(0)
	v_add_f32_e32 v2, v3, v2
	ds_bpermute_b32 v3, v24, v2
	s_waitcnt lgkmcnt(0)
	v_add_f32_e32 v2, v2, v3
	s_and_saveexec_b64 s[12:13], vcc
	s_cbranch_execz .LBB269_286
; %bb.285:
	ds_write_b32 v9, v2 offset:264
.LBB269_286:
	s_or_b64 exec, exec, s[12:13]
	s_waitcnt lgkmcnt(0)
	s_barrier
	s_and_saveexec_b64 s[12:13], s[0:1]
	s_cbranch_execz .LBB269_288
; %bb.287:
	ds_read_b32 v2, v10 offset:264
.LBB269_288:
	s_or_b64 exec, exec, s[12:13]
	s_waitcnt lgkmcnt(0)
	ds_bpermute_b32 v3, v24, v2
	s_waitcnt lgkmcnt(0)
	v_add_f32_e32 v2, v2, v3
	ds_bpermute_b32 v5, v13, v2
	s_and_saveexec_b64 s[0:1], s[8:9]
	s_cbranch_execz .LBB269_301
; %bb.289:
	s_waitcnt lgkmcnt(0)
	v_add_f32_e32 v2, 0x358637bd, v5
	v_div_scale_f32 v3, s[8:9], v2, v2, 1.0
	v_rcp_f32_e32 v8, v3
	v_div_scale_f32 v9, vcc, 1.0, v2, 1.0
	s_movk_i32 s8, 0x7f
	v_fma_f32 v10, -v3, v8, 1.0
	v_fmac_f32_e32 v8, v10, v8
	v_mul_f32_e32 v10, v9, v8
	v_fma_f32 v11, -v3, v10, v9
	v_fmac_f32_e32 v10, v11, v8
	v_fma_f32 v3, -v3, v10, v9
	v_div_fmas_f32 v3, v3, v8, v10
	v_div_fixup_f32 v2, v3, v2, 1.0
	v_xad_u32 v3, v0, -1, s46
	v_subrev_u32_e32 v8, s56, v3
	v_cmp_lt_u32_e32 vcc, s8, v8
	s_mov_b64 s[12:13], -1
	v_mov_b32_e32 v3, v0
	s_and_saveexec_b64 s[8:9], vcc
	s_cbranch_execz .LBB269_298
; %bb.290:
	v_lshrrev_b32_e32 v8, 7, v8
	v_add_u32_e32 v10, -1, v8
	v_lshrrev_b32_e32 v9, 1, v10
	v_mov_b32_e32 v3, v2
	v_add_u32_e32 v9, 1, v9
	v_cmp_lt_u32_e32 vcc, 13, v10
	v_mov_b32_e32 v12, 0
	s_and_saveexec_b64 s[12:13], vcc
	s_cbranch_execz .LBB269_294
; %bb.291:
	v_mov_b32_e32 v11, 0x110
	v_and_b32_e32 v10, -8, v9
	v_lshl_add_u32 v11, v0, 2, v11
	s_mov_b32 s22, 0
	s_mov_b64 s[16:17], 0
.LBB269_292:                            ; =>This Inner Loop Header: Depth=1
	ds_read2st64_b32 v[12:13], v11 offset1:2
	ds_read2st64_b32 v[18:19], v11 offset0:4 offset1:6
	ds_read2st64_b32 v[20:21], v11 offset0:8 offset1:10
	;; [unrolled: 1-line block ×3, first 2 shown]
	v_add_u32_e32 v10, -8, v10
	s_waitcnt lgkmcnt(3)
	v_pk_mul_f32 v[12:13], v[2:3], v[12:13]
	s_waitcnt lgkmcnt(2)
	v_pk_mul_f32 v[18:19], v[2:3], v[18:19]
	ds_write2st64_b32 v11, v12, v13 offset1:2
	ds_write2st64_b32 v11, v18, v19 offset0:4 offset1:6
	ds_read2st64_b32 v[18:19], v11 offset0:16 offset1:18
	s_waitcnt lgkmcnt(4)
	v_pk_mul_f32 v[12:13], v[2:3], v[20:21]
	ds_write2st64_b32 v11, v12, v13 offset0:8 offset1:10
	s_waitcnt lgkmcnt(4)
	v_pk_mul_f32 v[12:13], v[2:3], v[22:23]
	ds_write2st64_b32 v11, v12, v13 offset0:12 offset1:14
	ds_read2st64_b32 v[12:13], v11 offset0:20 offset1:22
	s_waitcnt lgkmcnt(3)
	v_pk_mul_f32 v[18:19], v[2:3], v[18:19]
	ds_read2st64_b32 v[20:21], v11 offset0:24 offset1:26
	ds_write2st64_b32 v11, v18, v19 offset0:16 offset1:18
	ds_read2st64_b32 v[18:19], v11 offset0:28 offset1:30
	s_waitcnt lgkmcnt(3)
	v_pk_mul_f32 v[12:13], v[2:3], v[12:13]
	ds_write2st64_b32 v11, v12, v13 offset0:20 offset1:22
	s_waitcnt lgkmcnt(3)
	v_pk_mul_f32 v[12:13], v[2:3], v[20:21]
	ds_write2st64_b32 v11, v12, v13 offset0:24 offset1:26
	s_waitcnt lgkmcnt(2)
	v_pk_mul_f32 v[12:13], v[2:3], v[18:19]
	s_add_i32 s22, s22, 16
	v_cmp_eq_u32_e32 vcc, 0, v10
	ds_write2st64_b32 v11, v12, v13 offset0:28 offset1:30
	v_add_u32_e32 v11, 0x2000, v11
	s_or_b64 s[16:17], vcc, s[16:17]
	v_mov_b32_e32 v12, s22
	s_andn2_b64 exec, exec, s[16:17]
	s_cbranch_execnz .LBB269_292
; %bb.293:
	s_or_b64 exec, exec, s[16:17]
.LBB269_294:
	s_or_b64 exec, exec, s[12:13]
	v_and_b32_e32 v9, 7, v9
	v_cmp_ne_u32_e32 vcc, 0, v9
	s_and_saveexec_b64 s[12:13], vcc
	s_cbranch_execz .LBB269_297
; %bb.295:
	v_lshlrev_b32_e32 v10, 9, v12
	v_lshlrev_b32_e32 v11, 2, v0
	s_movk_i32 s16, 0x110
	v_add3_u32 v10, v10, v11, s16
	s_mov_b64 s[16:17], 0
.LBB269_296:                            ; =>This Inner Loop Header: Depth=1
	ds_read2st64_b32 v[12:13], v10 offset1:2
	v_add_u32_e32 v9, -1, v9
	v_cmp_eq_u32_e32 vcc, 0, v9
	s_or_b64 s[16:17], vcc, s[16:17]
	s_waitcnt lgkmcnt(0)
	v_pk_mul_f32 v[12:13], v[2:3], v[12:13]
	ds_write2st64_b32 v10, v12, v13 offset1:2
	v_add_u32_e32 v10, 0x400, v10
	s_andn2_b64 exec, exec, s[16:17]
	s_cbranch_execnz .LBB269_296
.LBB269_297:
	s_or_b64 exec, exec, s[12:13]
	v_add_u32_e32 v8, 1, v8
	v_and_b32_e32 v9, 0x3fffffe, v8
	v_cmp_ne_u32_e32 vcc, v8, v9
	v_lshl_add_u32 v3, v9, 7, v0
	s_orn2_b64 s[12:13], vcc, exec
.LBB269_298:
	s_or_b64 exec, exec, s[8:9]
	s_and_b64 exec, exec, s[12:13]
	s_cbranch_execz .LBB269_301
; %bb.299:
	v_mov_b32_e32 v8, 0x110
	v_lshl_add_u32 v8, v3, 2, v8
	s_mov_b64 s[8:9], 0
.LBB269_300:                            ; =>This Inner Loop Header: Depth=1
	ds_read_b32 v9, v8
	v_add_u32_e32 v3, 0x80, v3
	v_cmp_le_i32_e32 vcc, s45, v3
	s_or_b64 s[8:9], vcc, s[8:9]
	s_waitcnt lgkmcnt(0)
	v_mul_f32_e32 v9, v2, v9
	ds_write_b32 v8, v9
	v_add_u32_e32 v8, 0x200, v8
	s_andn2_b64 exec, exec, s[8:9]
	s_cbranch_execnz .LBB269_300
.LBB269_301:
	s_or_b64 exec, exec, s[0:1]
	s_mul_i32 s0, s15, s36
	v_cmp_eq_u32_e32 vcc, 0, v0
	s_mul_i32 s8, s0, s5
	s_waitcnt lgkmcnt(0)
	s_barrier
	s_and_saveexec_b64 s[0:1], vcc
	s_cbranch_execz .LBB269_303
; %bb.302:
	s_ashr_i32 s9, s8, 31
	s_lshl_b64 s[12:13], s[8:9], 2
	s_add_u32 s5, s30, s12
	s_mul_i32 s16, s15, s2
	s_addc_u32 s9, s31, s13
	s_ashr_i32 s17, s16, 31
	s_lshl_b64 s[16:17], s[16:17], 2
	s_add_u32 s2, s5, s16
	s_addc_u32 s9, s9, s17
	s_ashr_i32 s5, s4, 31
	s_lshl_b64 s[22:23], s[4:5], 2
	s_add_u32 s30, s2, s22
	s_addc_u32 s31, s9, s23
	s_add_u32 s2, s28, s12
	s_addc_u32 s5, s29, s13
	;; [unrolled: 2-line block ×3, first 2 shown]
	s_add_u32 s12, s2, s22
	v_mov_b32_e32 v2, 0
	s_addc_u32 s13, s5, s23
	global_store_dword v2, v4, s[30:31]
	global_store_dword v2, v5, s[12:13]
.LBB269_303:
	s_or_b64 exec, exec, s[0:1]
	s_mov_b32 s0, 0
	v_mov_b32_e32 v5, 0
	v_and_b32_e32 v25, 1, v0
	v_mov_b32_e32 v4, 0
	v_mov_b32_e32 v3, 0
	;; [unrolled: 1-line block ×3, first 2 shown]
	s_and_saveexec_b64 s[12:13], s[6:7]
	s_cbranch_execz .LBB269_573
; %bb.304:
	s_sub_i32 s5, s20, s25
	s_ashr_i32 s1, s55, 31
	s_add_u32 s6, s42, s55
	s_addc_u32 s7, s43, s1
	s_abs_i32 s9, s26
	v_cvt_f32_u32_e32 v2, s9
	v_lshlrev_b32_e32 v3, 3, v0
	s_sub_i32 s1, 0, s9
	v_and_b32_e32 v26, 8, v3
	v_rcp_iflag_f32_e32 v2, v2
	s_add_i32 s26, s3, -1
	v_and_b32_e32 v8, 0x1f8, v3
	s_lshl_b64 s[2:3], s[40:41], 2
	v_mul_f32_e32 v2, 0x4f7ffffe, v2
	v_cvt_u32_f32_e32 v2, v2
	s_add_u32 s2, s38, s2
	s_addc_u32 s3, s39, s3
	v_lshl_add_u64 v[12:13], v[6:7], 2, s[2:3]
	v_mul_lo_u32 v3, s1, v2
	v_mul_hi_u32 v3, v2, v3
	v_add_u32_e32 v27, v2, v3
	v_lshlrev_b32_e32 v2, 5, v25
	v_lshl_or_b32 v2, v14, 6, v2
	s_mov_b32 s2, s0
	s_mov_b32 s3, s0
	v_mov_b32_e32 v9, 0
	v_add_u32_e32 v7, 0x110, v2
	s_mov_b32 s1, s0
	v_mov_b64_e32 v[4:5], s[2:3]
	s_mov_b32 s25, s21
	s_mov_b32 s28, s33
	v_lshl_add_u64 v[10:11], s[6:7], 0, v[8:9]
	s_mov_b64 s[6:7], 0
	v_mov_b64_e32 v[2:3], s[0:1]
	s_movk_i32 s29, 0x7f
	s_movk_i32 s30, 0x80
	s_mov_b32 s31, 0x8000
	s_movk_i32 s36, 0x380
	s_mov_b32 s38, 0x3020706
	s_mov_b32 s39, 0x1000504
	;; [unrolled: 1-line block ×3, first 2 shown]
	v_mov_b32_e32 v28, 0x1c00
	s_branch .LBB269_307
.LBB269_305:                            ;   in Loop: Header=BB269_307 Depth=1
	s_or_b64 exec, exec, s[0:1]
	;;#ASMSTART
	v_pk_mul_f16 v15, v40, v15;

	;;#ASMEND
	;;#ASMSTART
	v_pk_mul_f16 v8, v39, v8;

	;;#ASMEND
	;;#ASMSTART
	v_pk_mul_f16 v14, v38, v14;

	;;#ASMEND
	;;#ASMSTART
	v_pk_mul_f16 v16, v37, v16;

	;;#ASMEND
	v_add_f32_e32 v18, v41, v42
	;;#ASMSTART
	v_pk_add_f16 v8, v15, v8;

	;;#ASMEND
	v_add_f32_e32 v2, v2, v18
	;;#ASMSTART
	v_pk_add_f16 v8, v8, v14;

	;;#ASMEND
	;; [unrolled: 5-line block ×3, first 2 shown]
	v_add_f32_e32 v3, v3, v18
	v_lshrrev_b32_e32 v14, 16, v8
	v_and_b32_e32 v8, 0xffff, v8
	;;#ASMSTART
	v_cvt_f32_f16 v8, v8;
	;;#ASMEND
	v_add_f32_e32 v18, v22, v23
	;;#ASMSTART
	v_cvt_f32_f16 v14, v14;
	;;#ASMEND
	v_add_f32_e32 v4, v4, v18
	v_add_f32_e32 v8, v8, v14
	;; [unrolled: 1-line block ×3, first 2 shown]
.LBB269_306:                            ;   in Loop: Header=BB269_307 Depth=1
	s_or_b64 exec, exec, s[2:3]
	v_add_u32_e32 v6, 2, v6
	v_cmp_le_i32_e32 vcc, s24, v6
	v_lshl_add_u64 v[12:13], v[12:13], 0, 8
	v_add_u32_e32 v1, 32, v1
	s_or_b64 s[6:7], vcc, s[6:7]
	v_add_u32_e32 v7, 0x80, v7
	s_andn2_b64 exec, exec, s[6:7]
	s_cbranch_execz .LBB269_572
.LBB269_307:                            ; =>This Inner Loop Header: Depth=1
	v_sub_u32_e32 v14, 0, v1
	v_max_i32_e32 v14, v1, v14
	v_mul_hi_u32 v15, v14, s54
	v_mul_lo_u32 v16, v15, s37
	v_sub_u32_e32 v14, v14, v16
	v_add_u32_e32 v16, 1, v15
	v_cmp_le_u32_e32 vcc, s37, v14
	v_ashrrev_i32_e32 v8, 31, v1
	v_xor_b32_e32 v8, s27, v8
	v_cndmask_b32_e32 v15, v15, v16, vcc
	v_subrev_u32_e32 v16, s37, v14
	v_cndmask_b32_e32 v14, v14, v16, vcc
	v_add_u32_e32 v16, 1, v15
	v_cmp_le_u32_e32 vcc, s37, v14
	s_nop 1
	v_cndmask_b32_e32 v14, v15, v16, vcc
	v_xor_b32_e32 v14, v14, v8
	v_sub_u32_e32 v8, v14, v8
	v_add_u32_e32 v14, s44, v8
	v_sub_u32_e32 v16, 0, v14
	v_ashrrev_i32_e32 v15, 31, v14
	v_max_i32_e32 v14, v14, v16
	v_mul_hi_u32 v16, v14, v27
	v_mul_lo_u32 v16, v16, s9
	v_sub_u32_e32 v14, v14, v16
	v_subrev_u32_e32 v16, s9, v14
	v_cmp_le_u32_e32 vcc, s9, v14
	v_cmp_lt_i32_e64 s[0:1], s5, v8
	s_nop 0
	v_cndmask_b32_e32 v14, v14, v16, vcc
	v_subrev_u32_e32 v16, s9, v14
	v_cmp_le_u32_e32 vcc, s9, v14
	s_nop 1
	v_cndmask_b32_e32 v14, v14, v16, vcc
	v_xor_b32_e32 v14, v14, v15
	v_sub_u32_e32 v14, v14, v15
	v_cmp_eq_u32_e32 vcc, 0, v14
	s_or_b64 s[0:1], vcc, s[0:1]
	s_and_saveexec_b64 s[2:3], s[0:1]
	s_cbranch_execz .LBB269_306
; %bb.308:                              ;   in Loop: Header=BB269_307 Depth=1
	ds_read2_b64 v[18:21], v7 offset1:1
	ds_read2_b64 v[30:33], v7 offset0:2 offset1:3
                                        ; implicit-def: $sgpr22
	s_waitcnt lgkmcnt(1)
	;;#ASMSTART
	v_cvt_f16_f32 v37, v18;

	;;#ASMEND
	;;#ASMSTART
	v_cvt_f16_f32 v38, v19;

	;;#ASMEND
	;; [unrolled: 4-line block ×4, first 2 shown]
	s_waitcnt lgkmcnt(0)
	;;#ASMSTART
	v_cvt_f16_f32 v42, v30;

	;;#ASMEND
	;;#ASMSTART
	v_cvt_f16_f32 v43, v31;

	;;#ASMEND
	;; [unrolled: 4-line block ×4, first 2 shown]
	global_load_dword v8, v[12:13], off
	s_waitcnt vmcnt(0)
	v_mad_i64_i32 v[14:15], s[0:1], v8, s25, v[10:11]
	global_load_dwordx2 v[18:19], v[14:15], off
	global_load_dword v16, v9, s[18:19]
	s_mov_b64 s[0:1], 0
	s_waitcnt vmcnt(1)
	v_cmp_gt_i16_sdwa s[16:17], v18, s29 src0_sel:BYTE_0 src1_sel:DWORD
	s_and_saveexec_b64 s[20:21], s[16:17]
	s_xor_b64 s[16:17], exec, s[20:21]
	s_cbranch_execnz .LBB269_444
; %bb.309:                              ;   in Loop: Header=BB269_307 Depth=1
	s_or_saveexec_b64 s[16:17], s[16:17]
	v_mov_b32_e32 v20, s22
	s_xor_b64 exec, exec, s[16:17]
	s_cbranch_execnz .LBB269_447
.LBB269_310:                            ;   in Loop: Header=BB269_307 Depth=1
	s_or_b64 exec, exec, s[16:17]
	s_and_saveexec_b64 s[16:17], s[0:1]
	s_cbranch_execz .LBB269_312
.LBB269_311:                            ;   in Loop: Header=BB269_307 Depth=1
	v_and_b32_e32 v8, 7, v18
	v_ffbh_u32_e32 v8, v8
	v_bfe_u32 v20, v18, 3, 4
	v_min_u32_e32 v8, 32, v8
	v_subrev_u32_e32 v21, 28, v8
	v_sub_u32_e32 v8, 29, v8
	v_cmp_eq_u32_e32 vcc, 0, v20
	s_nop 1
	v_cndmask_b32_e32 v8, v20, v8, vcc
	v_cndmask_b32_e32 v20, 0, v21, vcc
	v_lshlrev_b64 v[20:21], v20, v[18:19]
	v_lshlrev_b32_e32 v21, 8, v18
	v_lshl_add_u32 v8, v8, 10, v28
	v_lshlrev_b32_e32 v20, 7, v20
	v_and_or_b32 v8, v21, s31, v8
	v_and_or_b32 v8, v20, s36, v8
	v_cvt_f32_f16_e32 v20, v8
.LBB269_312:                            ;   in Loop: Header=BB269_307 Depth=1
	s_or_b64 exec, exec, s[16:17]
	v_lshrrev_b16_e32 v8, 8, v18
	v_cmp_lt_i16_e32 vcc, s29, v8
	s_mov_b64 s[0:1], 0
                                        ; implicit-def: $sgpr22
	s_and_saveexec_b64 s[16:17], vcc
	s_xor_b64 s[16:17], exec, s[16:17]
	s_cbranch_execnz .LBB269_448
; %bb.313:                              ;   in Loop: Header=BB269_307 Depth=1
	s_or_saveexec_b64 s[16:17], s[16:17]
	v_mov_b32_e32 v22, s22
	s_xor_b64 exec, exec, s[16:17]
	s_cbranch_execnz .LBB269_451
.LBB269_314:                            ;   in Loop: Header=BB269_307 Depth=1
	s_or_b64 exec, exec, s[16:17]
	s_and_saveexec_b64 s[16:17], s[0:1]
	s_cbranch_execz .LBB269_316
.LBB269_315:                            ;   in Loop: Header=BB269_307 Depth=1
	v_and_b32_e32 v21, 7, v8
	v_ffbh_u32_e32 v22, v21
	v_min_u32_e32 v30, 32, v22
	v_subrev_u32_e32 v22, 28, v30
	v_bfe_u32 v29, v8, 3, 4
	v_lshlrev_b64 v[22:23], v22, v[8:9]
	v_sub_u32_e32 v23, 29, v30
	v_cmp_eq_u32_e32 vcc, 0, v29
	v_and_b32_e32 v22, 7, v22
	v_lshlrev_b32_e32 v8, 8, v8
	v_cndmask_b32_e32 v23, v29, v23, vcc
	v_cndmask_b32_e32 v21, v21, v22, vcc
	v_lshl_add_u32 v22, v23, 10, v28
	v_and_or_b32 v8, v8, s31, v22
	v_lshl_or_b32 v8, v21, 7, v8
	v_cvt_f32_f16_e32 v22, v8
.LBB269_316:                            ;   in Loop: Header=BB269_307 Depth=1
	s_or_b64 exec, exec, s[16:17]
	v_lshrrev_b32_e32 v8, 16, v18
	v_cmp_gt_i16_sdwa s[16:17], v8, s29 src0_sel:BYTE_0 src1_sel:DWORD
	s_mov_b64 s[0:1], 0
                                        ; implicit-def: $sgpr22
	s_and_saveexec_b64 s[20:21], s[16:17]
	s_xor_b64 s[16:17], exec, s[20:21]
	s_cbranch_execnz .LBB269_452
; %bb.317:                              ;   in Loop: Header=BB269_307 Depth=1
	s_or_saveexec_b64 s[16:17], s[16:17]
	v_mov_b32_e32 v21, s22
	s_xor_b64 exec, exec, s[16:17]
	s_cbranch_execnz .LBB269_455
.LBB269_318:                            ;   in Loop: Header=BB269_307 Depth=1
	s_or_b64 exec, exec, s[16:17]
	s_and_saveexec_b64 s[16:17], s[0:1]
	s_cbranch_execz .LBB269_320
.LBB269_319:                            ;   in Loop: Header=BB269_307 Depth=1
	v_bfe_u32 v21, v18, 16, 3
	v_ffbh_u32_e32 v29, v21
	v_bfe_u32 v23, v18, 19, 4
	v_min_u32_e32 v29, 32, v29
	v_subrev_u32_e32 v30, 28, v29
	v_sub_u32_e32 v29, 29, v29
	v_cmp_eq_u32_e32 vcc, 0, v23
	v_lshlrev_b64 v[30:31], v30, v[8:9]
	v_and_b32_e32 v30, 7, v30
	v_cndmask_b32_e32 v23, v23, v29, vcc
	v_lshlrev_b32_e32 v8, 8, v8
	v_lshl_add_u32 v23, v23, 10, v28
	v_cndmask_b32_e32 v21, v21, v30, vcc
	v_and_or_b32 v8, v8, s31, v23
	v_lshl_or_b32 v8, v21, 7, v8
	v_cvt_f32_f16_e32 v21, v8
.LBB269_320:                            ;   in Loop: Header=BB269_307 Depth=1
	s_or_b64 exec, exec, s[16:17]
	v_lshrrev_b32_e32 v8, 24, v18
	v_cmp_lt_i16_e32 vcc, s29, v8
	s_mov_b64 s[0:1], 0
                                        ; implicit-def: $sgpr22
	s_and_saveexec_b64 s[16:17], vcc
	s_xor_b64 s[16:17], exec, s[16:17]
	s_cbranch_execnz .LBB269_456
; %bb.321:                              ;   in Loop: Header=BB269_307 Depth=1
	s_or_saveexec_b64 s[16:17], s[16:17]
	v_mov_b32_e32 v23, s22
	s_xor_b64 exec, exec, s[16:17]
	s_cbranch_execnz .LBB269_459
.LBB269_322:                            ;   in Loop: Header=BB269_307 Depth=1
	s_or_b64 exec, exec, s[16:17]
	s_and_saveexec_b64 s[16:17], s[0:1]
	s_cbranch_execz .LBB269_324
.LBB269_323:                            ;   in Loop: Header=BB269_307 Depth=1
	v_bfe_u32 v23, v18, 24, 3
	v_ffbh_u32_e32 v29, v23
	v_bfe_u32 v18, v18, 27, 4
	v_min_u32_e32 v29, 32, v29
	v_subrev_u32_e32 v30, 28, v29
	v_sub_u32_e32 v29, 29, v29
	v_cmp_eq_u32_e32 vcc, 0, v18
	v_lshlrev_b64 v[30:31], v30, v[8:9]
	v_and_b32_e32 v30, 7, v30
	v_cndmask_b32_e32 v18, v18, v29, vcc
	v_lshlrev_b32_e32 v8, 8, v8
	v_lshl_add_u32 v18, v18, 10, v28
	v_cndmask_b32_e32 v23, v23, v30, vcc
	v_and_or_b32 v8, v8, s31, v18
	v_lshl_or_b32 v8, v23, 7, v8
	v_cvt_f32_f16_e32 v23, v8
.LBB269_324:                            ;   in Loop: Header=BB269_307 Depth=1
	s_or_b64 exec, exec, s[16:17]
	v_cmp_gt_i16_sdwa s[16:17], v19, s29 src0_sel:BYTE_0 src1_sel:DWORD
	s_mov_b64 s[0:1], 0
                                        ; implicit-def: $sgpr22
	s_and_saveexec_b64 s[20:21], s[16:17]
	s_xor_b64 s[16:17], exec, s[20:21]
	s_cbranch_execnz .LBB269_460
; %bb.325:                              ;   in Loop: Header=BB269_307 Depth=1
	s_or_saveexec_b64 s[16:17], s[16:17]
	v_mov_b32_e32 v18, s22
	s_xor_b64 exec, exec, s[16:17]
	s_cbranch_execnz .LBB269_463
.LBB269_326:                            ;   in Loop: Header=BB269_307 Depth=1
	s_or_b64 exec, exec, s[16:17]
	v_mov_b32_e32 v8, v19
	s_and_saveexec_b64 s[16:17], s[0:1]
	s_cbranch_execz .LBB269_328
.LBB269_327:                            ;   in Loop: Header=BB269_307 Depth=1
	v_and_b32_e32 v18, 7, v19
	v_ffbh_u32_e32 v18, v18
	v_bfe_u32 v29, v19, 3, 4
	v_min_u32_e32 v18, 32, v18
	v_subrev_u32_e32 v30, 28, v18
	v_sub_u32_e32 v18, 29, v18
	v_cmp_eq_u32_e32 vcc, 0, v29
	s_nop 1
	v_cndmask_b32_e32 v18, v29, v18, vcc
	v_cndmask_b32_e32 v29, 0, v30, vcc
	v_lshlrev_b64 v[30:31], v29, v[8:9]
	v_lshlrev_b32_e32 v29, 7, v30
	v_lshlrev_b32_e32 v30, 8, v19
	v_lshl_add_u32 v18, v18, 10, v28
	v_and_or_b32 v18, v30, s31, v18
	v_and_or_b32 v18, v29, s36, v18
	v_cvt_f32_f16_e32 v18, v18
.LBB269_328:                            ;   in Loop: Header=BB269_307 Depth=1
	s_or_b64 exec, exec, s[16:17]
	v_lshrrev_b16_e32 v8, 8, v8
	v_cmp_lt_i16_e32 vcc, s29, v8
	s_mov_b64 s[0:1], 0
                                        ; implicit-def: $sgpr22
	s_and_saveexec_b64 s[16:17], vcc
	s_xor_b64 s[16:17], exec, s[16:17]
	s_cbranch_execnz .LBB269_464
; %bb.329:                              ;   in Loop: Header=BB269_307 Depth=1
	s_or_saveexec_b64 s[16:17], s[16:17]
	v_mov_b32_e32 v29, s22
	s_xor_b64 exec, exec, s[16:17]
	s_cbranch_execnz .LBB269_467
.LBB269_330:                            ;   in Loop: Header=BB269_307 Depth=1
	s_or_b64 exec, exec, s[16:17]
	s_and_saveexec_b64 s[16:17], s[0:1]
	s_cbranch_execz .LBB269_332
.LBB269_331:                            ;   in Loop: Header=BB269_307 Depth=1
	v_and_b32_e32 v29, 7, v8
	v_ffbh_u32_e32 v30, v29
	v_min_u32_e32 v33, 32, v30
	v_subrev_u32_e32 v30, 28, v33
	v_bfe_u32 v32, v8, 3, 4
	v_lshlrev_b64 v[30:31], v30, v[8:9]
	v_sub_u32_e32 v31, 29, v33
	v_cmp_eq_u32_e32 vcc, 0, v32
	v_and_b32_e32 v30, 7, v30
	v_lshlrev_b32_e32 v8, 8, v8
	v_cndmask_b32_e32 v31, v32, v31, vcc
	v_cndmask_b32_e32 v29, v29, v30, vcc
	v_lshl_add_u32 v30, v31, 10, v28
	v_and_or_b32 v8, v8, s31, v30
	v_lshl_or_b32 v8, v29, 7, v8
	v_cvt_f32_f16_e32 v29, v8
.LBB269_332:                            ;   in Loop: Header=BB269_307 Depth=1
	s_or_b64 exec, exec, s[16:17]
	v_lshrrev_b32_e32 v8, 16, v19
	v_cmp_gt_i16_sdwa s[16:17], v8, s29 src0_sel:BYTE_0 src1_sel:DWORD
	s_mov_b64 s[0:1], 0
                                        ; implicit-def: $sgpr22
	s_and_saveexec_b64 s[20:21], s[16:17]
	s_xor_b64 s[16:17], exec, s[20:21]
	s_cbranch_execnz .LBB269_468
; %bb.333:                              ;   in Loop: Header=BB269_307 Depth=1
	s_or_saveexec_b64 s[16:17], s[16:17]
	v_mov_b32_e32 v30, s22
	s_xor_b64 exec, exec, s[16:17]
	s_cbranch_execnz .LBB269_471
.LBB269_334:                            ;   in Loop: Header=BB269_307 Depth=1
	s_or_b64 exec, exec, s[16:17]
	s_and_saveexec_b64 s[16:17], s[0:1]
	s_cbranch_execz .LBB269_336
.LBB269_335:                            ;   in Loop: Header=BB269_307 Depth=1
	v_bfe_u32 v32, v19, 16, 3
	v_ffbh_u32_e32 v30, v32
	v_min_u32_e32 v34, 32, v30
	v_subrev_u32_e32 v30, 28, v34
	v_bfe_u32 v33, v19, 19, 4
	v_lshlrev_b64 v[30:31], v30, v[8:9]
	v_sub_u32_e32 v31, 29, v34
	v_cmp_eq_u32_e32 vcc, 0, v33
	v_and_b32_e32 v30, 7, v30
	v_lshlrev_b32_e32 v8, 8, v8
	v_cndmask_b32_e32 v31, v33, v31, vcc
	v_lshl_add_u32 v31, v31, 10, v28
	v_cndmask_b32_e32 v30, v32, v30, vcc
	v_and_or_b32 v8, v8, s31, v31
	v_lshl_or_b32 v8, v30, 7, v8
	v_cvt_f32_f16_e32 v30, v8
.LBB269_336:                            ;   in Loop: Header=BB269_307 Depth=1
	s_or_b64 exec, exec, s[16:17]
	v_lshrrev_b32_e32 v8, 24, v19
	v_cmp_lt_i16_e32 vcc, s29, v8
	s_mov_b64 s[0:1], 0
                                        ; implicit-def: $sgpr22
	s_and_saveexec_b64 s[16:17], vcc
	s_xor_b64 s[16:17], exec, s[16:17]
	s_cbranch_execnz .LBB269_472
; %bb.337:                              ;   in Loop: Header=BB269_307 Depth=1
	s_or_saveexec_b64 s[16:17], s[16:17]
	v_mov_b32_e32 v32, s22
	s_xor_b64 exec, exec, s[16:17]
	s_cbranch_execnz .LBB269_475
.LBB269_338:                            ;   in Loop: Header=BB269_307 Depth=1
	s_or_b64 exec, exec, s[16:17]
	s_and_saveexec_b64 s[16:17], s[0:1]
	s_cbranch_execz .LBB269_340
.LBB269_339:                            ;   in Loop: Header=BB269_307 Depth=1
	v_bfe_u32 v31, v19, 24, 3
	v_ffbh_u32_e32 v32, v31
	v_min_u32_e32 v34, 32, v32
	v_subrev_u32_e32 v32, 28, v34
	v_bfe_u32 v19, v19, 27, 4
	v_lshlrev_b64 v[32:33], v32, v[8:9]
	v_sub_u32_e32 v33, 29, v34
	v_cmp_eq_u32_e32 vcc, 0, v19
	v_and_b32_e32 v32, 7, v32
	v_lshlrev_b32_e32 v8, 8, v8
	v_cndmask_b32_e32 v19, v19, v33, vcc
	v_lshl_add_u32 v19, v19, 10, v28
	v_cndmask_b32_e32 v31, v31, v32, vcc
	v_and_or_b32 v8, v8, s31, v19
	v_lshl_or_b32 v8, v31, 7, v8
	v_cvt_f32_f16_e32 v32, v8
.LBB269_340:                            ;   in Loop: Header=BB269_307 Depth=1
	s_or_b64 exec, exec, s[16:17]
	s_waitcnt vmcnt(0)
	v_pk_mul_f32 v[22:23], v[16:17], v[22:23] op_sel_hi:[0,1]
	v_pk_mul_f32 v[20:21], v[16:17], v[20:21] op_sel_hi:[0,1]
	v_cvt_f16_f32_e32 v8, v23
	v_cvt_f16_f32_e32 v19, v22
	;; [unrolled: 1-line block ×4, first 2 shown]
	v_fma_mixlo_f16 v18, v16, v18, 0
	v_pack_b32_f16 v19, v19, v8
	v_add_u32_e32 v31, v26, v1
	v_pack_b32_f16 v20, v20, v21
	v_perm_b32 v8, v20, v19, s38
	v_perm_b32 v19, v20, v19, s39
	v_fma_mixlo_f16 v20, v16, v29, 0
	v_lshlrev_b32_e32 v20, 16, v20
	v_or_b32_sdwa v18, v20, v18 dst_sel:DWORD dst_unused:UNUSED_PAD src0_sel:DWORD src1_sel:WORD_0
	v_fma_mixlo_f16 v20, v16, v30, 0
	v_fma_mixlo_f16 v16, v16, v32, 0
	v_lshlrev_b32_e32 v16, 16, v16
	v_cmp_eq_u32_e32 vcc, s26, v6
	v_or_b32_sdwa v16, v16, v20 dst_sel:DWORD dst_unused:UNUSED_PAD src0_sel:DWORD src1_sel:WORD_0
	v_add_u32_e32 v36, 1, v31
	v_or_b32_e32 v35, 3, v31
	v_or_b32_e32 v34, 2, v31
	;; [unrolled: 1-line block ×6, first 2 shown]
	s_and_saveexec_b64 s[16:17], vcc
	s_cbranch_execz .LBB269_342
; %bb.341:                              ;   in Loop: Header=BB269_307 Depth=1
	v_lshrrev_b32_e32 v21, 16, v19
	v_cmp_gt_i32_e64 s[0:1], s28, v36
	v_lshrrev_b32_e32 v16, 16, v16
	s_nop 0
	v_cndmask_b32_e64 v21, 0, v21, s[0:1]
	v_cmp_gt_i32_e64 s[0:1], s33, v31
	s_nop 1
	v_cndmask_b32_e64 v19, 0, v19, s[0:1]
	v_perm_b32 v19, v21, v19, s40
	v_lshrrev_b32_e32 v21, 16, v8
	v_cmp_gt_i32_e64 s[0:1], s28, v35
	s_nop 1
	v_cndmask_b32_e64 v21, 0, v21, s[0:1]
	v_cmp_gt_i32_e64 s[0:1], s33, v34
	s_nop 1
	v_cndmask_b32_e64 v8, 0, v8, s[0:1]
	v_perm_b32 v8, v21, v8, s40
	v_lshrrev_b32_e32 v21, 16, v18
	v_cmp_gt_i32_e64 s[0:1], s28, v33
	s_nop 1
	v_cndmask_b32_e64 v21, 0, v21, s[0:1]
	v_cmp_gt_i32_e64 s[0:1], s33, v32
	s_nop 1
	v_cndmask_b32_e64 v18, 0, v18, s[0:1]
	v_cmp_gt_i32_e64 s[0:1], s28, v30
	v_perm_b32 v18, v21, v18, s40
	s_nop 0
	v_cndmask_b32_e64 v16, 0, v16, s[0:1]
	v_cmp_gt_i32_e64 s[0:1], s33, v29
	s_nop 1
	v_cndmask_b32_e64 v20, 0, v20, s[0:1]
	v_perm_b32 v16, v16, v20, s40
.LBB269_342:                            ;   in Loop: Header=BB269_307 Depth=1
	s_or_b64 exec, exec, s[16:17]
	v_and_b32_e32 v20, 0xffff, v37
	v_lshl_or_b32 v40, v38, 16, v20
	v_and_b32_e32 v20, 0xffff, v39
	v_lshl_or_b32 v39, v41, 16, v20
	;; [unrolled: 2-line block ×3, first 2 shown]
	v_and_b32_e32 v20, 0xffff, v44
	;;#ASMSTART
	v_pk_mul_f16 v19, v40, v19;

	;;#ASMEND
	;;#ASMSTART
	v_pk_mul_f16 v8, v39, v8;

	;;#ASMEND
	v_lshl_or_b32 v37, v45, 16, v20
	;;#ASMSTART
	v_pk_mul_f16 v18, v38, v18;

	;;#ASMEND
	;;#ASMSTART
	v_pk_mul_f16 v16, v37, v16;

	;;#ASMEND
	;;#ASMSTART
	v_pk_add_f16 v8, v19, v8;

	;;#ASMEND
	s_mov_b64 s[0:1], 0
	;;#ASMSTART
	v_pk_add_f16 v8, v8, v18;

	;;#ASMEND
                                        ; implicit-def: $sgpr22
	s_nop 0
	;;#ASMSTART
	v_pk_add_f16 v8, v8, v16;

	;;#ASMEND
	s_nop 0
	v_lshrrev_b32_e32 v16, 16, v8
	v_and_b32_e32 v8, 0xffff, v8
	;;#ASMSTART
	v_cvt_f32_f16 v41, v8;
	;;#ASMEND
	;;#ASMSTART
	v_cvt_f32_f16 v42, v16;
	;;#ASMEND
	global_load_dwordx2 v[18:19], v[14:15], off offset:512
	global_load_dword v16, v9, s[18:19]
	s_waitcnt vmcnt(1)
	v_cmp_gt_i16_sdwa s[16:17], v18, s29 src0_sel:BYTE_0 src1_sel:DWORD
	s_and_saveexec_b64 s[20:21], s[16:17]
	s_xor_b64 s[16:17], exec, s[20:21]
	s_cbranch_execnz .LBB269_476
; %bb.343:                              ;   in Loop: Header=BB269_307 Depth=1
	s_or_saveexec_b64 s[16:17], s[16:17]
	v_mov_b32_e32 v20, s22
	s_xor_b64 exec, exec, s[16:17]
	s_cbranch_execnz .LBB269_479
.LBB269_344:                            ;   in Loop: Header=BB269_307 Depth=1
	s_or_b64 exec, exec, s[16:17]
	s_and_saveexec_b64 s[16:17], s[0:1]
	s_cbranch_execz .LBB269_346
.LBB269_345:                            ;   in Loop: Header=BB269_307 Depth=1
	v_and_b32_e32 v8, 7, v18
	v_ffbh_u32_e32 v8, v8
	v_bfe_u32 v20, v18, 3, 4
	v_min_u32_e32 v8, 32, v8
	v_subrev_u32_e32 v21, 28, v8
	v_sub_u32_e32 v8, 29, v8
	v_cmp_eq_u32_e64 s[0:1], 0, v20
	s_nop 1
	v_cndmask_b32_e64 v8, v20, v8, s[0:1]
	v_cndmask_b32_e64 v20, 0, v21, s[0:1]
	v_lshlrev_b64 v[20:21], v20, v[18:19]
	v_lshlrev_b32_e32 v21, 8, v18
	v_lshl_add_u32 v8, v8, 10, v28
	v_lshlrev_b32_e32 v20, 7, v20
	v_and_or_b32 v8, v21, s31, v8
	v_and_or_b32 v8, v20, s36, v8
	v_cvt_f32_f16_e32 v20, v8
.LBB269_346:                            ;   in Loop: Header=BB269_307 Depth=1
	s_or_b64 exec, exec, s[16:17]
	v_lshrrev_b16_e32 v8, 8, v18
	v_cmp_lt_i16_e64 s[0:1], s29, v8
	s_mov_b64 s[16:17], 0
                                        ; implicit-def: $sgpr41
	s_and_saveexec_b64 s[20:21], s[0:1]
	s_xor_b64 s[20:21], exec, s[20:21]
	s_cbranch_execnz .LBB269_480
; %bb.347:                              ;   in Loop: Header=BB269_307 Depth=1
	s_or_saveexec_b64 s[20:21], s[20:21]
	v_mov_b32_e32 v22, s41
	s_xor_b64 exec, exec, s[20:21]
	s_cbranch_execnz .LBB269_483
.LBB269_348:                            ;   in Loop: Header=BB269_307 Depth=1
	s_or_b64 exec, exec, s[20:21]
	s_and_saveexec_b64 s[20:21], s[16:17]
	s_cbranch_execz .LBB269_350
.LBB269_349:                            ;   in Loop: Header=BB269_307 Depth=1
	v_and_b32_e32 v21, 7, v8
	v_ffbh_u32_e32 v22, v21
	v_min_u32_e32 v44, 32, v22
	v_subrev_u32_e32 v22, 28, v44
	v_bfe_u32 v43, v8, 3, 4
	v_lshlrev_b64 v[22:23], v22, v[8:9]
	v_sub_u32_e32 v23, 29, v44
	v_cmp_eq_u32_e64 s[0:1], 0, v43
	v_and_b32_e32 v22, 7, v22
	v_lshlrev_b32_e32 v8, 8, v8
	v_cndmask_b32_e64 v23, v43, v23, s[0:1]
	v_cndmask_b32_e64 v21, v21, v22, s[0:1]
	v_lshl_add_u32 v22, v23, 10, v28
	v_and_or_b32 v8, v8, s31, v22
	v_lshl_or_b32 v8, v21, 7, v8
	v_cvt_f32_f16_e32 v22, v8
.LBB269_350:                            ;   in Loop: Header=BB269_307 Depth=1
	s_or_b64 exec, exec, s[20:21]
	v_lshrrev_b32_e32 v8, 16, v18
	v_cmp_gt_i16_sdwa s[16:17], v8, s29 src0_sel:BYTE_0 src1_sel:DWORD
	s_mov_b64 s[0:1], 0
                                        ; implicit-def: $sgpr22
	s_and_saveexec_b64 s[20:21], s[16:17]
	s_xor_b64 s[16:17], exec, s[20:21]
	s_cbranch_execnz .LBB269_484
; %bb.351:                              ;   in Loop: Header=BB269_307 Depth=1
	s_or_saveexec_b64 s[16:17], s[16:17]
	v_mov_b32_e32 v21, s22
	s_xor_b64 exec, exec, s[16:17]
	s_cbranch_execnz .LBB269_487
.LBB269_352:                            ;   in Loop: Header=BB269_307 Depth=1
	s_or_b64 exec, exec, s[16:17]
	s_and_saveexec_b64 s[16:17], s[0:1]
	s_cbranch_execz .LBB269_354
.LBB269_353:                            ;   in Loop: Header=BB269_307 Depth=1
	v_bfe_u32 v21, v18, 16, 3
	v_ffbh_u32_e32 v43, v21
	v_bfe_u32 v23, v18, 19, 4
	v_min_u32_e32 v43, 32, v43
	v_subrev_u32_e32 v44, 28, v43
	v_sub_u32_e32 v43, 29, v43
	v_cmp_eq_u32_e64 s[0:1], 0, v23
	v_lshlrev_b64 v[44:45], v44, v[8:9]
	v_and_b32_e32 v44, 7, v44
	v_cndmask_b32_e64 v23, v23, v43, s[0:1]
	v_lshlrev_b32_e32 v8, 8, v8
	v_lshl_add_u32 v23, v23, 10, v28
	v_cndmask_b32_e64 v21, v21, v44, s[0:1]
	v_and_or_b32 v8, v8, s31, v23
	v_lshl_or_b32 v8, v21, 7, v8
	v_cvt_f32_f16_e32 v21, v8
.LBB269_354:                            ;   in Loop: Header=BB269_307 Depth=1
	s_or_b64 exec, exec, s[16:17]
	v_lshrrev_b32_e32 v8, 24, v18
	v_cmp_lt_i16_e64 s[0:1], s29, v8
	s_mov_b64 s[16:17], 0
                                        ; implicit-def: $sgpr41
	s_and_saveexec_b64 s[20:21], s[0:1]
	s_xor_b64 s[20:21], exec, s[20:21]
	s_cbranch_execnz .LBB269_488
; %bb.355:                              ;   in Loop: Header=BB269_307 Depth=1
	s_or_saveexec_b64 s[20:21], s[20:21]
	v_mov_b32_e32 v23, s41
	s_xor_b64 exec, exec, s[20:21]
	s_cbranch_execnz .LBB269_491
.LBB269_356:                            ;   in Loop: Header=BB269_307 Depth=1
	s_or_b64 exec, exec, s[20:21]
	s_and_saveexec_b64 s[20:21], s[16:17]
	s_cbranch_execz .LBB269_358
.LBB269_357:                            ;   in Loop: Header=BB269_307 Depth=1
	v_bfe_u32 v23, v18, 24, 3
	v_ffbh_u32_e32 v43, v23
	v_bfe_u32 v18, v18, 27, 4
	v_min_u32_e32 v43, 32, v43
	v_subrev_u32_e32 v44, 28, v43
	v_sub_u32_e32 v43, 29, v43
	v_cmp_eq_u32_e64 s[0:1], 0, v18
	v_lshlrev_b64 v[44:45], v44, v[8:9]
	v_and_b32_e32 v44, 7, v44
	v_cndmask_b32_e64 v18, v18, v43, s[0:1]
	v_lshlrev_b32_e32 v8, 8, v8
	v_lshl_add_u32 v18, v18, 10, v28
	v_cndmask_b32_e64 v23, v23, v44, s[0:1]
	v_and_or_b32 v8, v8, s31, v18
	v_lshl_or_b32 v8, v23, 7, v8
	v_cvt_f32_f16_e32 v23, v8
.LBB269_358:                            ;   in Loop: Header=BB269_307 Depth=1
	s_or_b64 exec, exec, s[20:21]
	v_cmp_gt_i16_sdwa s[16:17], v19, s29 src0_sel:BYTE_0 src1_sel:DWORD
	s_mov_b64 s[0:1], 0
                                        ; implicit-def: $sgpr22
	s_and_saveexec_b64 s[20:21], s[16:17]
	s_xor_b64 s[16:17], exec, s[20:21]
	s_cbranch_execnz .LBB269_492
; %bb.359:                              ;   in Loop: Header=BB269_307 Depth=1
	s_or_saveexec_b64 s[16:17], s[16:17]
	v_mov_b32_e32 v18, s22
	s_xor_b64 exec, exec, s[16:17]
	s_cbranch_execnz .LBB269_495
.LBB269_360:                            ;   in Loop: Header=BB269_307 Depth=1
	s_or_b64 exec, exec, s[16:17]
	v_mov_b32_e32 v8, v19
	s_and_saveexec_b64 s[16:17], s[0:1]
	s_cbranch_execz .LBB269_362
.LBB269_361:                            ;   in Loop: Header=BB269_307 Depth=1
	v_and_b32_e32 v18, 7, v19
	v_ffbh_u32_e32 v18, v18
	v_bfe_u32 v43, v19, 3, 4
	v_min_u32_e32 v18, 32, v18
	v_subrev_u32_e32 v44, 28, v18
	v_sub_u32_e32 v18, 29, v18
	v_cmp_eq_u32_e64 s[0:1], 0, v43
	s_nop 1
	v_cndmask_b32_e64 v18, v43, v18, s[0:1]
	v_cndmask_b32_e64 v43, 0, v44, s[0:1]
	v_lshlrev_b64 v[44:45], v43, v[8:9]
	v_lshlrev_b32_e32 v43, 7, v44
	v_lshlrev_b32_e32 v44, 8, v19
	v_lshl_add_u32 v18, v18, 10, v28
	v_and_or_b32 v18, v44, s31, v18
	v_and_or_b32 v18, v43, s36, v18
	v_cvt_f32_f16_e32 v18, v18
.LBB269_362:                            ;   in Loop: Header=BB269_307 Depth=1
	s_or_b64 exec, exec, s[16:17]
	v_lshrrev_b16_e32 v8, 8, v8
	v_cmp_lt_i16_e64 s[0:1], s29, v8
	s_mov_b64 s[16:17], 0
                                        ; implicit-def: $sgpr41
	s_and_saveexec_b64 s[20:21], s[0:1]
	s_xor_b64 s[20:21], exec, s[20:21]
	s_cbranch_execnz .LBB269_496
; %bb.363:                              ;   in Loop: Header=BB269_307 Depth=1
	s_or_saveexec_b64 s[20:21], s[20:21]
	v_mov_b32_e32 v43, s41
	s_xor_b64 exec, exec, s[20:21]
	s_cbranch_execnz .LBB269_499
.LBB269_364:                            ;   in Loop: Header=BB269_307 Depth=1
	s_or_b64 exec, exec, s[20:21]
	s_and_saveexec_b64 s[20:21], s[16:17]
	s_cbranch_execz .LBB269_366
.LBB269_365:                            ;   in Loop: Header=BB269_307 Depth=1
	v_and_b32_e32 v43, 7, v8
	v_ffbh_u32_e32 v44, v43
	v_min_u32_e32 v47, 32, v44
	v_subrev_u32_e32 v44, 28, v47
	v_bfe_u32 v46, v8, 3, 4
	v_lshlrev_b64 v[44:45], v44, v[8:9]
	v_sub_u32_e32 v45, 29, v47
	v_cmp_eq_u32_e64 s[0:1], 0, v46
	v_and_b32_e32 v44, 7, v44
	v_lshlrev_b32_e32 v8, 8, v8
	v_cndmask_b32_e64 v45, v46, v45, s[0:1]
	v_cndmask_b32_e64 v43, v43, v44, s[0:1]
	v_lshl_add_u32 v44, v45, 10, v28
	v_and_or_b32 v8, v8, s31, v44
	v_lshl_or_b32 v8, v43, 7, v8
	v_cvt_f32_f16_e32 v43, v8
.LBB269_366:                            ;   in Loop: Header=BB269_307 Depth=1
	s_or_b64 exec, exec, s[20:21]
	v_lshrrev_b32_e32 v8, 16, v19
	v_cmp_gt_i16_sdwa s[16:17], v8, s29 src0_sel:BYTE_0 src1_sel:DWORD
	s_mov_b64 s[0:1], 0
                                        ; implicit-def: $sgpr22
	s_and_saveexec_b64 s[20:21], s[16:17]
	s_xor_b64 s[16:17], exec, s[20:21]
	s_cbranch_execnz .LBB269_500
; %bb.367:                              ;   in Loop: Header=BB269_307 Depth=1
	s_or_saveexec_b64 s[16:17], s[16:17]
	v_mov_b32_e32 v44, s22
	s_xor_b64 exec, exec, s[16:17]
	s_cbranch_execnz .LBB269_503
.LBB269_368:                            ;   in Loop: Header=BB269_307 Depth=1
	s_or_b64 exec, exec, s[16:17]
	s_and_saveexec_b64 s[16:17], s[0:1]
	s_cbranch_execz .LBB269_370
.LBB269_369:                            ;   in Loop: Header=BB269_307 Depth=1
	v_bfe_u32 v46, v19, 16, 3
	v_ffbh_u32_e32 v44, v46
	v_min_u32_e32 v48, 32, v44
	v_subrev_u32_e32 v44, 28, v48
	v_bfe_u32 v47, v19, 19, 4
	v_lshlrev_b64 v[44:45], v44, v[8:9]
	v_sub_u32_e32 v45, 29, v48
	v_cmp_eq_u32_e64 s[0:1], 0, v47
	v_and_b32_e32 v44, 7, v44
	v_lshlrev_b32_e32 v8, 8, v8
	v_cndmask_b32_e64 v45, v47, v45, s[0:1]
	v_lshl_add_u32 v45, v45, 10, v28
	v_cndmask_b32_e64 v44, v46, v44, s[0:1]
	v_and_or_b32 v8, v8, s31, v45
	v_lshl_or_b32 v8, v44, 7, v8
	v_cvt_f32_f16_e32 v44, v8
.LBB269_370:                            ;   in Loop: Header=BB269_307 Depth=1
	s_or_b64 exec, exec, s[16:17]
	v_lshrrev_b32_e32 v8, 24, v19
	v_cmp_lt_i16_e64 s[0:1], s29, v8
	s_mov_b64 s[16:17], 0
                                        ; implicit-def: $sgpr41
	s_and_saveexec_b64 s[20:21], s[0:1]
	s_xor_b64 s[20:21], exec, s[20:21]
	s_cbranch_execnz .LBB269_504
; %bb.371:                              ;   in Loop: Header=BB269_307 Depth=1
	s_or_saveexec_b64 s[20:21], s[20:21]
	v_mov_b32_e32 v45, s41
	s_xor_b64 exec, exec, s[20:21]
	s_cbranch_execnz .LBB269_507
.LBB269_372:                            ;   in Loop: Header=BB269_307 Depth=1
	s_or_b64 exec, exec, s[20:21]
	s_and_saveexec_b64 s[20:21], s[16:17]
	s_cbranch_execz .LBB269_374
.LBB269_373:                            ;   in Loop: Header=BB269_307 Depth=1
	v_bfe_u32 v45, v19, 24, 3
	v_ffbh_u32_e32 v46, v45
	v_min_u32_e32 v48, 32, v46
	v_subrev_u32_e32 v46, 28, v48
	v_bfe_u32 v19, v19, 27, 4
	v_lshlrev_b64 v[46:47], v46, v[8:9]
	v_sub_u32_e32 v47, 29, v48
	v_cmp_eq_u32_e64 s[0:1], 0, v19
	v_and_b32_e32 v46, 7, v46
	v_lshlrev_b32_e32 v8, 8, v8
	v_cndmask_b32_e64 v19, v19, v47, s[0:1]
	v_lshl_add_u32 v19, v19, 10, v28
	v_cndmask_b32_e64 v45, v45, v46, s[0:1]
	v_and_or_b32 v8, v8, s31, v19
	v_lshl_or_b32 v8, v45, 7, v8
	v_cvt_f32_f16_e32 v45, v8
.LBB269_374:                            ;   in Loop: Header=BB269_307 Depth=1
	s_or_b64 exec, exec, s[20:21]
	s_waitcnt vmcnt(0)
	v_pk_mul_f32 v[22:23], v[16:17], v[22:23] op_sel_hi:[0,1]
	v_pk_mul_f32 v[20:21], v[16:17], v[20:21] op_sel_hi:[0,1]
	v_cvt_f16_f32_e32 v8, v23
	v_cvt_f16_f32_e32 v19, v22
	;; [unrolled: 1-line block ×4, first 2 shown]
	v_fma_mixlo_f16 v18, v16, v18, 0
	v_pack_b32_f16 v19, v19, v8
	v_pack_b32_f16 v20, v20, v21
	v_perm_b32 v8, v20, v19, s38
	v_perm_b32 v19, v20, v19, s39
	v_fma_mixlo_f16 v20, v16, v43, 0
	v_lshlrev_b32_e32 v20, 16, v20
	v_or_b32_sdwa v18, v20, v18 dst_sel:DWORD dst_unused:UNUSED_PAD src0_sel:DWORD src1_sel:WORD_0
	v_fma_mixlo_f16 v20, v16, v44, 0
	v_fma_mixlo_f16 v16, v16, v45, 0
	v_lshlrev_b32_e32 v16, 16, v16
	v_or_b32_sdwa v16, v16, v20 dst_sel:DWORD dst_unused:UNUSED_PAD src0_sel:DWORD src1_sel:WORD_0
	s_and_saveexec_b64 s[16:17], vcc
	s_cbranch_execz .LBB269_376
; %bb.375:                              ;   in Loop: Header=BB269_307 Depth=1
	v_lshrrev_b32_e32 v21, 16, v19
	v_cmp_gt_i32_e64 s[0:1], s28, v36
	v_lshrrev_b32_e32 v16, 16, v16
	s_nop 0
	v_cndmask_b32_e64 v21, 0, v21, s[0:1]
	v_cmp_gt_i32_e64 s[0:1], s33, v31
	s_nop 1
	v_cndmask_b32_e64 v19, 0, v19, s[0:1]
	v_perm_b32 v19, v21, v19, s40
	v_lshrrev_b32_e32 v21, 16, v8
	v_cmp_gt_i32_e64 s[0:1], s28, v35
	s_nop 1
	v_cndmask_b32_e64 v21, 0, v21, s[0:1]
	v_cmp_gt_i32_e64 s[0:1], s33, v34
	s_nop 1
	v_cndmask_b32_e64 v8, 0, v8, s[0:1]
	v_perm_b32 v8, v21, v8, s40
	v_lshrrev_b32_e32 v21, 16, v18
	v_cmp_gt_i32_e64 s[0:1], s28, v33
	s_nop 1
	v_cndmask_b32_e64 v21, 0, v21, s[0:1]
	v_cmp_gt_i32_e64 s[0:1], s33, v32
	s_nop 1
	v_cndmask_b32_e64 v18, 0, v18, s[0:1]
	v_cmp_gt_i32_e64 s[0:1], s28, v30
	v_perm_b32 v18, v21, v18, s40
	s_nop 0
	v_cndmask_b32_e64 v16, 0, v16, s[0:1]
	v_cmp_gt_i32_e64 s[0:1], s33, v29
	s_nop 1
	v_cndmask_b32_e64 v20, 0, v20, s[0:1]
	v_perm_b32 v16, v16, v20, s40
.LBB269_376:                            ;   in Loop: Header=BB269_307 Depth=1
	s_or_b64 exec, exec, s[16:17]
	;;#ASMSTART
	v_pk_mul_f16 v19, v40, v19;

	;;#ASMEND
	;;#ASMSTART
	v_pk_mul_f16 v8, v39, v8;

	;;#ASMEND
	;; [unrolled: 4-line block ×4, first 2 shown]
	s_mov_b64 s[0:1], 0
	;;#ASMSTART
	v_pk_add_f16 v8, v19, v8;

	;;#ASMEND
                                        ; implicit-def: $sgpr22
	s_nop 0
	;;#ASMSTART
	v_pk_add_f16 v8, v8, v18;

	;;#ASMEND
	s_nop 0
	;;#ASMSTART
	v_pk_add_f16 v8, v8, v16;

	;;#ASMEND
	s_nop 0
	v_lshrrev_b32_e32 v16, 16, v8
	v_and_b32_e32 v8, 0xffff, v8
	;;#ASMSTART
	v_cvt_f32_f16 v43, v8;
	;;#ASMEND
	;;#ASMSTART
	v_cvt_f32_f16 v44, v16;
	;;#ASMEND
	global_load_dwordx2 v[18:19], v[14:15], off offset:1024
	global_load_dword v16, v9, s[18:19]
	s_waitcnt vmcnt(1)
	v_cmp_gt_i16_sdwa s[16:17], v18, s29 src0_sel:BYTE_0 src1_sel:DWORD
	s_and_saveexec_b64 s[20:21], s[16:17]
	s_xor_b64 s[16:17], exec, s[20:21]
	s_cbranch_execnz .LBB269_508
; %bb.377:                              ;   in Loop: Header=BB269_307 Depth=1
	s_or_saveexec_b64 s[16:17], s[16:17]
	v_mov_b32_e32 v20, s22
	s_xor_b64 exec, exec, s[16:17]
	s_cbranch_execnz .LBB269_511
.LBB269_378:                            ;   in Loop: Header=BB269_307 Depth=1
	s_or_b64 exec, exec, s[16:17]
	s_and_saveexec_b64 s[16:17], s[0:1]
	s_cbranch_execz .LBB269_380
.LBB269_379:                            ;   in Loop: Header=BB269_307 Depth=1
	v_and_b32_e32 v8, 7, v18
	v_ffbh_u32_e32 v8, v8
	v_bfe_u32 v20, v18, 3, 4
	v_min_u32_e32 v8, 32, v8
	v_subrev_u32_e32 v21, 28, v8
	v_sub_u32_e32 v8, 29, v8
	v_cmp_eq_u32_e64 s[0:1], 0, v20
	s_nop 1
	v_cndmask_b32_e64 v8, v20, v8, s[0:1]
	v_cndmask_b32_e64 v20, 0, v21, s[0:1]
	v_lshlrev_b64 v[20:21], v20, v[18:19]
	v_lshlrev_b32_e32 v21, 8, v18
	v_lshl_add_u32 v8, v8, 10, v28
	v_lshlrev_b32_e32 v20, 7, v20
	v_and_or_b32 v8, v21, s31, v8
	v_and_or_b32 v8, v20, s36, v8
	v_cvt_f32_f16_e32 v20, v8
.LBB269_380:                            ;   in Loop: Header=BB269_307 Depth=1
	s_or_b64 exec, exec, s[16:17]
	v_lshrrev_b16_e32 v8, 8, v18
	v_cmp_lt_i16_e64 s[0:1], s29, v8
	s_mov_b64 s[16:17], 0
                                        ; implicit-def: $sgpr41
	s_and_saveexec_b64 s[20:21], s[0:1]
	s_xor_b64 s[20:21], exec, s[20:21]
	s_cbranch_execnz .LBB269_512
; %bb.381:                              ;   in Loop: Header=BB269_307 Depth=1
	s_or_saveexec_b64 s[20:21], s[20:21]
	v_mov_b32_e32 v22, s41
	s_xor_b64 exec, exec, s[20:21]
	s_cbranch_execnz .LBB269_515
.LBB269_382:                            ;   in Loop: Header=BB269_307 Depth=1
	s_or_b64 exec, exec, s[20:21]
	s_and_saveexec_b64 s[20:21], s[16:17]
	s_cbranch_execz .LBB269_384
.LBB269_383:                            ;   in Loop: Header=BB269_307 Depth=1
	v_and_b32_e32 v21, 7, v8
	v_ffbh_u32_e32 v22, v21
	v_min_u32_e32 v46, 32, v22
	v_subrev_u32_e32 v22, 28, v46
	v_bfe_u32 v45, v8, 3, 4
	v_lshlrev_b64 v[22:23], v22, v[8:9]
	v_sub_u32_e32 v23, 29, v46
	v_cmp_eq_u32_e64 s[0:1], 0, v45
	v_and_b32_e32 v22, 7, v22
	v_lshlrev_b32_e32 v8, 8, v8
	v_cndmask_b32_e64 v23, v45, v23, s[0:1]
	v_cndmask_b32_e64 v21, v21, v22, s[0:1]
	v_lshl_add_u32 v22, v23, 10, v28
	v_and_or_b32 v8, v8, s31, v22
	v_lshl_or_b32 v8, v21, 7, v8
	v_cvt_f32_f16_e32 v22, v8
.LBB269_384:                            ;   in Loop: Header=BB269_307 Depth=1
	s_or_b64 exec, exec, s[20:21]
	v_lshrrev_b32_e32 v8, 16, v18
	v_cmp_gt_i16_sdwa s[16:17], v8, s29 src0_sel:BYTE_0 src1_sel:DWORD
	s_mov_b64 s[0:1], 0
                                        ; implicit-def: $sgpr22
	s_and_saveexec_b64 s[20:21], s[16:17]
	s_xor_b64 s[16:17], exec, s[20:21]
	s_cbranch_execnz .LBB269_516
; %bb.385:                              ;   in Loop: Header=BB269_307 Depth=1
	s_or_saveexec_b64 s[16:17], s[16:17]
	v_mov_b32_e32 v21, s22
	s_xor_b64 exec, exec, s[16:17]
	s_cbranch_execnz .LBB269_519
.LBB269_386:                            ;   in Loop: Header=BB269_307 Depth=1
	s_or_b64 exec, exec, s[16:17]
	s_and_saveexec_b64 s[16:17], s[0:1]
	s_cbranch_execz .LBB269_388
.LBB269_387:                            ;   in Loop: Header=BB269_307 Depth=1
	v_bfe_u32 v21, v18, 16, 3
	v_ffbh_u32_e32 v45, v21
	v_bfe_u32 v23, v18, 19, 4
	v_min_u32_e32 v45, 32, v45
	v_subrev_u32_e32 v46, 28, v45
	v_sub_u32_e32 v45, 29, v45
	v_cmp_eq_u32_e64 s[0:1], 0, v23
	v_lshlrev_b64 v[46:47], v46, v[8:9]
	v_and_b32_e32 v46, 7, v46
	v_cndmask_b32_e64 v23, v23, v45, s[0:1]
	v_lshlrev_b32_e32 v8, 8, v8
	v_lshl_add_u32 v23, v23, 10, v28
	v_cndmask_b32_e64 v21, v21, v46, s[0:1]
	v_and_or_b32 v8, v8, s31, v23
	v_lshl_or_b32 v8, v21, 7, v8
	v_cvt_f32_f16_e32 v21, v8
.LBB269_388:                            ;   in Loop: Header=BB269_307 Depth=1
	s_or_b64 exec, exec, s[16:17]
	v_lshrrev_b32_e32 v8, 24, v18
	v_cmp_lt_i16_e64 s[0:1], s29, v8
	s_mov_b64 s[16:17], 0
                                        ; implicit-def: $sgpr41
	s_and_saveexec_b64 s[20:21], s[0:1]
	s_xor_b64 s[20:21], exec, s[20:21]
	s_cbranch_execnz .LBB269_520
; %bb.389:                              ;   in Loop: Header=BB269_307 Depth=1
	s_or_saveexec_b64 s[20:21], s[20:21]
	v_mov_b32_e32 v23, s41
	s_xor_b64 exec, exec, s[20:21]
	s_cbranch_execnz .LBB269_523
.LBB269_390:                            ;   in Loop: Header=BB269_307 Depth=1
	s_or_b64 exec, exec, s[20:21]
	s_and_saveexec_b64 s[20:21], s[16:17]
	s_cbranch_execz .LBB269_392
.LBB269_391:                            ;   in Loop: Header=BB269_307 Depth=1
	v_bfe_u32 v23, v18, 24, 3
	v_ffbh_u32_e32 v45, v23
	v_bfe_u32 v18, v18, 27, 4
	v_min_u32_e32 v45, 32, v45
	v_subrev_u32_e32 v46, 28, v45
	v_sub_u32_e32 v45, 29, v45
	v_cmp_eq_u32_e64 s[0:1], 0, v18
	v_lshlrev_b64 v[46:47], v46, v[8:9]
	v_and_b32_e32 v46, 7, v46
	v_cndmask_b32_e64 v18, v18, v45, s[0:1]
	v_lshlrev_b32_e32 v8, 8, v8
	v_lshl_add_u32 v18, v18, 10, v28
	v_cndmask_b32_e64 v23, v23, v46, s[0:1]
	v_and_or_b32 v8, v8, s31, v18
	v_lshl_or_b32 v8, v23, 7, v8
	v_cvt_f32_f16_e32 v23, v8
.LBB269_392:                            ;   in Loop: Header=BB269_307 Depth=1
	s_or_b64 exec, exec, s[20:21]
	v_cmp_gt_i16_sdwa s[16:17], v19, s29 src0_sel:BYTE_0 src1_sel:DWORD
	s_mov_b64 s[0:1], 0
                                        ; implicit-def: $sgpr22
	s_and_saveexec_b64 s[20:21], s[16:17]
	s_xor_b64 s[16:17], exec, s[20:21]
	s_cbranch_execnz .LBB269_524
; %bb.393:                              ;   in Loop: Header=BB269_307 Depth=1
	s_or_saveexec_b64 s[16:17], s[16:17]
	v_mov_b32_e32 v18, s22
	s_xor_b64 exec, exec, s[16:17]
	s_cbranch_execnz .LBB269_527
.LBB269_394:                            ;   in Loop: Header=BB269_307 Depth=1
	s_or_b64 exec, exec, s[16:17]
	v_mov_b32_e32 v8, v19
	s_and_saveexec_b64 s[16:17], s[0:1]
	s_cbranch_execz .LBB269_396
.LBB269_395:                            ;   in Loop: Header=BB269_307 Depth=1
	v_and_b32_e32 v18, 7, v19
	v_ffbh_u32_e32 v18, v18
	v_bfe_u32 v45, v19, 3, 4
	v_min_u32_e32 v18, 32, v18
	v_subrev_u32_e32 v46, 28, v18
	v_sub_u32_e32 v18, 29, v18
	v_cmp_eq_u32_e64 s[0:1], 0, v45
	s_nop 1
	v_cndmask_b32_e64 v18, v45, v18, s[0:1]
	v_cndmask_b32_e64 v45, 0, v46, s[0:1]
	v_lshlrev_b64 v[46:47], v45, v[8:9]
	v_lshlrev_b32_e32 v45, 7, v46
	v_lshlrev_b32_e32 v46, 8, v19
	v_lshl_add_u32 v18, v18, 10, v28
	v_and_or_b32 v18, v46, s31, v18
	v_and_or_b32 v18, v45, s36, v18
	v_cvt_f32_f16_e32 v18, v18
.LBB269_396:                            ;   in Loop: Header=BB269_307 Depth=1
	s_or_b64 exec, exec, s[16:17]
	v_lshrrev_b16_e32 v8, 8, v8
	v_cmp_lt_i16_e64 s[0:1], s29, v8
	s_mov_b64 s[16:17], 0
                                        ; implicit-def: $sgpr41
	s_and_saveexec_b64 s[20:21], s[0:1]
	s_xor_b64 s[20:21], exec, s[20:21]
	s_cbranch_execnz .LBB269_528
; %bb.397:                              ;   in Loop: Header=BB269_307 Depth=1
	s_or_saveexec_b64 s[20:21], s[20:21]
	v_mov_b32_e32 v45, s41
	s_xor_b64 exec, exec, s[20:21]
	s_cbranch_execnz .LBB269_531
.LBB269_398:                            ;   in Loop: Header=BB269_307 Depth=1
	s_or_b64 exec, exec, s[20:21]
	s_and_saveexec_b64 s[20:21], s[16:17]
	s_cbranch_execz .LBB269_400
.LBB269_399:                            ;   in Loop: Header=BB269_307 Depth=1
	v_and_b32_e32 v45, 7, v8
	v_ffbh_u32_e32 v46, v45
	v_min_u32_e32 v49, 32, v46
	v_subrev_u32_e32 v46, 28, v49
	v_bfe_u32 v48, v8, 3, 4
	v_lshlrev_b64 v[46:47], v46, v[8:9]
	v_sub_u32_e32 v47, 29, v49
	v_cmp_eq_u32_e64 s[0:1], 0, v48
	v_and_b32_e32 v46, 7, v46
	v_lshlrev_b32_e32 v8, 8, v8
	v_cndmask_b32_e64 v47, v48, v47, s[0:1]
	v_cndmask_b32_e64 v45, v45, v46, s[0:1]
	v_lshl_add_u32 v46, v47, 10, v28
	v_and_or_b32 v8, v8, s31, v46
	v_lshl_or_b32 v8, v45, 7, v8
	v_cvt_f32_f16_e32 v45, v8
.LBB269_400:                            ;   in Loop: Header=BB269_307 Depth=1
	s_or_b64 exec, exec, s[20:21]
	v_lshrrev_b32_e32 v8, 16, v19
	v_cmp_gt_i16_sdwa s[16:17], v8, s29 src0_sel:BYTE_0 src1_sel:DWORD
	s_mov_b64 s[0:1], 0
                                        ; implicit-def: $sgpr22
	s_and_saveexec_b64 s[20:21], s[16:17]
	s_xor_b64 s[16:17], exec, s[20:21]
	s_cbranch_execnz .LBB269_532
; %bb.401:                              ;   in Loop: Header=BB269_307 Depth=1
	s_or_saveexec_b64 s[16:17], s[16:17]
	v_mov_b32_e32 v46, s22
	s_xor_b64 exec, exec, s[16:17]
	s_cbranch_execnz .LBB269_535
.LBB269_402:                            ;   in Loop: Header=BB269_307 Depth=1
	s_or_b64 exec, exec, s[16:17]
	s_and_saveexec_b64 s[16:17], s[0:1]
	s_cbranch_execz .LBB269_404
.LBB269_403:                            ;   in Loop: Header=BB269_307 Depth=1
	v_bfe_u32 v48, v19, 16, 3
	v_ffbh_u32_e32 v46, v48
	v_min_u32_e32 v50, 32, v46
	v_subrev_u32_e32 v46, 28, v50
	v_bfe_u32 v49, v19, 19, 4
	v_lshlrev_b64 v[46:47], v46, v[8:9]
	v_sub_u32_e32 v47, 29, v50
	v_cmp_eq_u32_e64 s[0:1], 0, v49
	v_and_b32_e32 v46, 7, v46
	v_lshlrev_b32_e32 v8, 8, v8
	v_cndmask_b32_e64 v47, v49, v47, s[0:1]
	v_lshl_add_u32 v47, v47, 10, v28
	v_cndmask_b32_e64 v46, v48, v46, s[0:1]
	v_and_or_b32 v8, v8, s31, v47
	v_lshl_or_b32 v8, v46, 7, v8
	v_cvt_f32_f16_e32 v46, v8
.LBB269_404:                            ;   in Loop: Header=BB269_307 Depth=1
	s_or_b64 exec, exec, s[16:17]
	v_lshrrev_b32_e32 v8, 24, v19
	v_cmp_lt_i16_e64 s[0:1], s29, v8
	s_mov_b64 s[16:17], 0
                                        ; implicit-def: $sgpr41
	s_and_saveexec_b64 s[20:21], s[0:1]
	s_xor_b64 s[20:21], exec, s[20:21]
	s_cbranch_execnz .LBB269_536
; %bb.405:                              ;   in Loop: Header=BB269_307 Depth=1
	s_or_saveexec_b64 s[20:21], s[20:21]
	v_mov_b32_e32 v47, s41
	s_xor_b64 exec, exec, s[20:21]
	s_cbranch_execnz .LBB269_539
.LBB269_406:                            ;   in Loop: Header=BB269_307 Depth=1
	s_or_b64 exec, exec, s[20:21]
	s_and_saveexec_b64 s[20:21], s[16:17]
	s_cbranch_execz .LBB269_408
.LBB269_407:                            ;   in Loop: Header=BB269_307 Depth=1
	v_bfe_u32 v47, v19, 24, 3
	v_ffbh_u32_e32 v48, v47
	v_min_u32_e32 v50, 32, v48
	v_subrev_u32_e32 v48, 28, v50
	v_bfe_u32 v19, v19, 27, 4
	v_lshlrev_b64 v[48:49], v48, v[8:9]
	v_sub_u32_e32 v49, 29, v50
	v_cmp_eq_u32_e64 s[0:1], 0, v19
	v_and_b32_e32 v48, 7, v48
	v_lshlrev_b32_e32 v8, 8, v8
	v_cndmask_b32_e64 v19, v19, v49, s[0:1]
	v_lshl_add_u32 v19, v19, 10, v28
	v_cndmask_b32_e64 v47, v47, v48, s[0:1]
	v_and_or_b32 v8, v8, s31, v19
	v_lshl_or_b32 v8, v47, 7, v8
	v_cvt_f32_f16_e32 v47, v8
.LBB269_408:                            ;   in Loop: Header=BB269_307 Depth=1
	s_or_b64 exec, exec, s[20:21]
	s_waitcnt vmcnt(0)
	v_pk_mul_f32 v[22:23], v[16:17], v[22:23] op_sel_hi:[0,1]
	v_pk_mul_f32 v[20:21], v[16:17], v[20:21] op_sel_hi:[0,1]
	v_cvt_f16_f32_e32 v8, v23
	v_cvt_f16_f32_e32 v19, v22
	v_cvt_f16_f32_e32 v21, v21
	v_cvt_f16_f32_e32 v20, v20
	v_fma_mixlo_f16 v18, v16, v18, 0
	v_pack_b32_f16 v19, v19, v8
	v_pack_b32_f16 v20, v20, v21
	v_perm_b32 v8, v20, v19, s38
	v_perm_b32 v19, v20, v19, s39
	v_fma_mixlo_f16 v20, v16, v45, 0
	v_lshlrev_b32_e32 v20, 16, v20
	v_or_b32_sdwa v18, v20, v18 dst_sel:DWORD dst_unused:UNUSED_PAD src0_sel:DWORD src1_sel:WORD_0
	v_fma_mixlo_f16 v20, v16, v46, 0
	v_fma_mixlo_f16 v16, v16, v47, 0
	v_lshlrev_b32_e32 v16, 16, v16
	v_or_b32_sdwa v16, v16, v20 dst_sel:DWORD dst_unused:UNUSED_PAD src0_sel:DWORD src1_sel:WORD_0
	s_and_saveexec_b64 s[16:17], vcc
	s_cbranch_execz .LBB269_410
; %bb.409:                              ;   in Loop: Header=BB269_307 Depth=1
	v_lshrrev_b32_e32 v21, 16, v19
	v_cmp_gt_i32_e64 s[0:1], s28, v36
	v_lshrrev_b32_e32 v16, 16, v16
	s_nop 0
	v_cndmask_b32_e64 v21, 0, v21, s[0:1]
	v_cmp_gt_i32_e64 s[0:1], s33, v31
	s_nop 1
	v_cndmask_b32_e64 v19, 0, v19, s[0:1]
	v_perm_b32 v19, v21, v19, s40
	v_lshrrev_b32_e32 v21, 16, v8
	v_cmp_gt_i32_e64 s[0:1], s28, v35
	s_nop 1
	v_cndmask_b32_e64 v21, 0, v21, s[0:1]
	v_cmp_gt_i32_e64 s[0:1], s33, v34
	s_nop 1
	v_cndmask_b32_e64 v8, 0, v8, s[0:1]
	v_perm_b32 v8, v21, v8, s40
	v_lshrrev_b32_e32 v21, 16, v18
	v_cmp_gt_i32_e64 s[0:1], s28, v33
	s_nop 1
	v_cndmask_b32_e64 v21, 0, v21, s[0:1]
	v_cmp_gt_i32_e64 s[0:1], s33, v32
	s_nop 1
	v_cndmask_b32_e64 v18, 0, v18, s[0:1]
	v_cmp_gt_i32_e64 s[0:1], s28, v30
	v_perm_b32 v18, v21, v18, s40
	s_nop 0
	v_cndmask_b32_e64 v16, 0, v16, s[0:1]
	v_cmp_gt_i32_e64 s[0:1], s33, v29
	s_nop 1
	v_cndmask_b32_e64 v20, 0, v20, s[0:1]
	v_perm_b32 v16, v16, v20, s40
.LBB269_410:                            ;   in Loop: Header=BB269_307 Depth=1
	s_or_b64 exec, exec, s[16:17]
	;;#ASMSTART
	v_pk_mul_f16 v19, v40, v19;

	;;#ASMEND
	;;#ASMSTART
	v_pk_mul_f16 v8, v39, v8;

	;;#ASMEND
	;; [unrolled: 4-line block ×4, first 2 shown]
	s_mov_b64 s[0:1], 0
	;;#ASMSTART
	v_pk_add_f16 v8, v19, v8;

	;;#ASMEND
                                        ; implicit-def: $sgpr22
	s_nop 0
	;;#ASMSTART
	v_pk_add_f16 v8, v8, v18;

	;;#ASMEND
	s_nop 0
	;;#ASMSTART
	v_pk_add_f16 v8, v8, v16;

	;;#ASMEND
	s_nop 0
	v_lshrrev_b32_e32 v16, 16, v8
	v_and_b32_e32 v8, 0xffff, v8
	;;#ASMSTART
	v_cvt_f32_f16 v22, v8;
	;;#ASMEND
	;;#ASMSTART
	v_cvt_f32_f16 v23, v16;
	;;#ASMEND
	global_load_dwordx2 v[18:19], v[14:15], off offset:1536
	global_load_dword v16, v9, s[18:19]
	s_waitcnt vmcnt(1)
	v_cmp_gt_i16_sdwa s[16:17], v18, s29 src0_sel:BYTE_0 src1_sel:DWORD
	s_and_saveexec_b64 s[20:21], s[16:17]
	s_xor_b64 s[16:17], exec, s[20:21]
	s_cbranch_execnz .LBB269_540
; %bb.411:                              ;   in Loop: Header=BB269_307 Depth=1
	s_or_saveexec_b64 s[16:17], s[16:17]
	v_mov_b32_e32 v14, s22
	s_xor_b64 exec, exec, s[16:17]
	s_cbranch_execnz .LBB269_543
.LBB269_412:                            ;   in Loop: Header=BB269_307 Depth=1
	s_or_b64 exec, exec, s[16:17]
	s_and_saveexec_b64 s[16:17], s[0:1]
	s_cbranch_execz .LBB269_414
.LBB269_413:                            ;   in Loop: Header=BB269_307 Depth=1
	v_and_b32_e32 v8, 7, v18
	v_ffbh_u32_e32 v8, v8
	v_bfe_u32 v14, v18, 3, 4
	v_min_u32_e32 v8, 32, v8
	v_subrev_u32_e32 v15, 28, v8
	v_sub_u32_e32 v8, 29, v8
	v_cmp_eq_u32_e64 s[0:1], 0, v14
	s_nop 1
	v_cndmask_b32_e64 v8, v14, v8, s[0:1]
	v_cndmask_b32_e64 v14, 0, v15, s[0:1]
	v_lshlrev_b64 v[14:15], v14, v[18:19]
	v_lshlrev_b32_e32 v15, 8, v18
	v_lshl_add_u32 v8, v8, 10, v28
	v_lshlrev_b32_e32 v14, 7, v14
	v_and_or_b32 v8, v15, s31, v8
	v_and_or_b32 v8, v14, s36, v8
	v_cvt_f32_f16_e32 v14, v8
.LBB269_414:                            ;   in Loop: Header=BB269_307 Depth=1
	s_or_b64 exec, exec, s[16:17]
	v_lshrrev_b16_e32 v8, 8, v18
	v_cmp_lt_i16_e64 s[0:1], s29, v8
	s_mov_b64 s[16:17], 0
                                        ; implicit-def: $sgpr41
	s_and_saveexec_b64 s[20:21], s[0:1]
	s_xor_b64 s[20:21], exec, s[20:21]
	s_cbranch_execnz .LBB269_544
; %bb.415:                              ;   in Loop: Header=BB269_307 Depth=1
	s_or_saveexec_b64 s[20:21], s[20:21]
	v_mov_b32_e32 v20, s41
	s_xor_b64 exec, exec, s[20:21]
	s_cbranch_execnz .LBB269_547
.LBB269_416:                            ;   in Loop: Header=BB269_307 Depth=1
	s_or_b64 exec, exec, s[20:21]
	s_and_saveexec_b64 s[20:21], s[16:17]
	s_cbranch_execz .LBB269_418
.LBB269_417:                            ;   in Loop: Header=BB269_307 Depth=1
	v_and_b32_e32 v15, 7, v8
	v_ffbh_u32_e32 v20, v15
	v_min_u32_e32 v46, 32, v20
	v_subrev_u32_e32 v20, 28, v46
	v_bfe_u32 v45, v8, 3, 4
	v_lshlrev_b64 v[20:21], v20, v[8:9]
	v_sub_u32_e32 v21, 29, v46
	v_cmp_eq_u32_e64 s[0:1], 0, v45
	v_and_b32_e32 v20, 7, v20
	v_lshlrev_b32_e32 v8, 8, v8
	v_cndmask_b32_e64 v21, v45, v21, s[0:1]
	v_cndmask_b32_e64 v15, v15, v20, s[0:1]
	v_lshl_add_u32 v20, v21, 10, v28
	v_and_or_b32 v8, v8, s31, v20
	v_lshl_or_b32 v8, v15, 7, v8
	v_cvt_f32_f16_e32 v20, v8
.LBB269_418:                            ;   in Loop: Header=BB269_307 Depth=1
	s_or_b64 exec, exec, s[20:21]
	v_lshrrev_b32_e32 v8, 16, v18
	v_cmp_gt_i16_sdwa s[16:17], v8, s29 src0_sel:BYTE_0 src1_sel:DWORD
	s_mov_b64 s[0:1], 0
                                        ; implicit-def: $sgpr22
	s_and_saveexec_b64 s[20:21], s[16:17]
	s_xor_b64 s[16:17], exec, s[20:21]
	s_cbranch_execnz .LBB269_548
; %bb.419:                              ;   in Loop: Header=BB269_307 Depth=1
	s_or_saveexec_b64 s[16:17], s[16:17]
	v_mov_b32_e32 v15, s22
	s_xor_b64 exec, exec, s[16:17]
	s_cbranch_execnz .LBB269_551
.LBB269_420:                            ;   in Loop: Header=BB269_307 Depth=1
	s_or_b64 exec, exec, s[16:17]
	s_and_saveexec_b64 s[16:17], s[0:1]
	s_cbranch_execz .LBB269_422
.LBB269_421:                            ;   in Loop: Header=BB269_307 Depth=1
	v_bfe_u32 v15, v18, 16, 3
	v_ffbh_u32_e32 v45, v15
	v_bfe_u32 v21, v18, 19, 4
	v_min_u32_e32 v45, 32, v45
	v_subrev_u32_e32 v46, 28, v45
	v_sub_u32_e32 v45, 29, v45
	v_cmp_eq_u32_e64 s[0:1], 0, v21
	v_lshlrev_b64 v[46:47], v46, v[8:9]
	v_and_b32_e32 v46, 7, v46
	v_cndmask_b32_e64 v21, v21, v45, s[0:1]
	v_lshlrev_b32_e32 v8, 8, v8
	v_lshl_add_u32 v21, v21, 10, v28
	v_cndmask_b32_e64 v15, v15, v46, s[0:1]
	v_and_or_b32 v8, v8, s31, v21
	v_lshl_or_b32 v8, v15, 7, v8
	v_cvt_f32_f16_e32 v15, v8
.LBB269_422:                            ;   in Loop: Header=BB269_307 Depth=1
	s_or_b64 exec, exec, s[16:17]
	v_lshrrev_b32_e32 v8, 24, v18
	v_cmp_lt_i16_e64 s[0:1], s29, v8
	s_mov_b64 s[16:17], 0
                                        ; implicit-def: $sgpr41
	s_and_saveexec_b64 s[20:21], s[0:1]
	s_xor_b64 s[20:21], exec, s[20:21]
	s_cbranch_execnz .LBB269_552
; %bb.423:                              ;   in Loop: Header=BB269_307 Depth=1
	s_or_saveexec_b64 s[20:21], s[20:21]
	v_mov_b32_e32 v21, s41
	s_xor_b64 exec, exec, s[20:21]
	s_cbranch_execnz .LBB269_555
.LBB269_424:                            ;   in Loop: Header=BB269_307 Depth=1
	s_or_b64 exec, exec, s[20:21]
	s_and_saveexec_b64 s[20:21], s[16:17]
	s_cbranch_execz .LBB269_426
.LBB269_425:                            ;   in Loop: Header=BB269_307 Depth=1
	v_bfe_u32 v21, v18, 24, 3
	v_ffbh_u32_e32 v45, v21
	v_bfe_u32 v18, v18, 27, 4
	v_min_u32_e32 v45, 32, v45
	v_subrev_u32_e32 v46, 28, v45
	v_sub_u32_e32 v45, 29, v45
	v_cmp_eq_u32_e64 s[0:1], 0, v18
	v_lshlrev_b64 v[46:47], v46, v[8:9]
	v_and_b32_e32 v46, 7, v46
	v_cndmask_b32_e64 v18, v18, v45, s[0:1]
	v_lshlrev_b32_e32 v8, 8, v8
	v_lshl_add_u32 v18, v18, 10, v28
	v_cndmask_b32_e64 v21, v21, v46, s[0:1]
	v_and_or_b32 v8, v8, s31, v18
	v_lshl_or_b32 v8, v21, 7, v8
	v_cvt_f32_f16_e32 v21, v8
.LBB269_426:                            ;   in Loop: Header=BB269_307 Depth=1
	s_or_b64 exec, exec, s[20:21]
	v_cmp_gt_i16_sdwa s[16:17], v19, s29 src0_sel:BYTE_0 src1_sel:DWORD
	s_mov_b64 s[0:1], 0
                                        ; implicit-def: $sgpr22
	s_and_saveexec_b64 s[20:21], s[16:17]
	s_xor_b64 s[16:17], exec, s[20:21]
	s_cbranch_execnz .LBB269_556
; %bb.427:                              ;   in Loop: Header=BB269_307 Depth=1
	s_or_saveexec_b64 s[16:17], s[16:17]
	v_mov_b32_e32 v18, s22
	s_xor_b64 exec, exec, s[16:17]
	s_cbranch_execnz .LBB269_559
.LBB269_428:                            ;   in Loop: Header=BB269_307 Depth=1
	s_or_b64 exec, exec, s[16:17]
	v_mov_b32_e32 v8, v19
	s_and_saveexec_b64 s[16:17], s[0:1]
	s_cbranch_execz .LBB269_430
.LBB269_429:                            ;   in Loop: Header=BB269_307 Depth=1
	v_and_b32_e32 v18, 7, v19
	v_ffbh_u32_e32 v18, v18
	v_bfe_u32 v45, v19, 3, 4
	v_min_u32_e32 v18, 32, v18
	v_subrev_u32_e32 v46, 28, v18
	v_sub_u32_e32 v18, 29, v18
	v_cmp_eq_u32_e64 s[0:1], 0, v45
	s_nop 1
	v_cndmask_b32_e64 v18, v45, v18, s[0:1]
	v_cndmask_b32_e64 v45, 0, v46, s[0:1]
	v_lshlrev_b64 v[46:47], v45, v[8:9]
	v_lshlrev_b32_e32 v45, 7, v46
	v_lshlrev_b32_e32 v46, 8, v19
	v_lshl_add_u32 v18, v18, 10, v28
	v_and_or_b32 v18, v46, s31, v18
	v_and_or_b32 v18, v45, s36, v18
	v_cvt_f32_f16_e32 v18, v18
.LBB269_430:                            ;   in Loop: Header=BB269_307 Depth=1
	s_or_b64 exec, exec, s[16:17]
	v_lshrrev_b16_e32 v8, 8, v8
	v_cmp_lt_i16_e64 s[0:1], s29, v8
	s_mov_b64 s[16:17], 0
                                        ; implicit-def: $sgpr41
	s_and_saveexec_b64 s[20:21], s[0:1]
	s_xor_b64 s[20:21], exec, s[20:21]
	s_cbranch_execnz .LBB269_560
; %bb.431:                              ;   in Loop: Header=BB269_307 Depth=1
	s_or_saveexec_b64 s[20:21], s[20:21]
	v_mov_b32_e32 v45, s41
	s_xor_b64 exec, exec, s[20:21]
	s_cbranch_execnz .LBB269_563
.LBB269_432:                            ;   in Loop: Header=BB269_307 Depth=1
	s_or_b64 exec, exec, s[20:21]
	s_and_saveexec_b64 s[20:21], s[16:17]
	s_cbranch_execz .LBB269_434
.LBB269_433:                            ;   in Loop: Header=BB269_307 Depth=1
	v_and_b32_e32 v45, 7, v8
	v_ffbh_u32_e32 v46, v45
	v_min_u32_e32 v49, 32, v46
	v_subrev_u32_e32 v46, 28, v49
	v_bfe_u32 v48, v8, 3, 4
	v_lshlrev_b64 v[46:47], v46, v[8:9]
	v_sub_u32_e32 v47, 29, v49
	v_cmp_eq_u32_e64 s[0:1], 0, v48
	v_and_b32_e32 v46, 7, v46
	v_lshlrev_b32_e32 v8, 8, v8
	v_cndmask_b32_e64 v47, v48, v47, s[0:1]
	v_cndmask_b32_e64 v45, v45, v46, s[0:1]
	v_lshl_add_u32 v46, v47, 10, v28
	v_and_or_b32 v8, v8, s31, v46
	v_lshl_or_b32 v8, v45, 7, v8
	v_cvt_f32_f16_e32 v45, v8
.LBB269_434:                            ;   in Loop: Header=BB269_307 Depth=1
	s_or_b64 exec, exec, s[20:21]
	v_lshrrev_b32_e32 v8, 16, v19
	v_cmp_gt_i16_sdwa s[16:17], v8, s29 src0_sel:BYTE_0 src1_sel:DWORD
	s_mov_b64 s[0:1], 0
                                        ; implicit-def: $sgpr22
	s_and_saveexec_b64 s[20:21], s[16:17]
	s_xor_b64 s[16:17], exec, s[20:21]
	s_cbranch_execnz .LBB269_564
; %bb.435:                              ;   in Loop: Header=BB269_307 Depth=1
	s_or_saveexec_b64 s[16:17], s[16:17]
	v_mov_b32_e32 v46, s22
	s_xor_b64 exec, exec, s[16:17]
	s_cbranch_execnz .LBB269_567
.LBB269_436:                            ;   in Loop: Header=BB269_307 Depth=1
	s_or_b64 exec, exec, s[16:17]
	s_and_saveexec_b64 s[16:17], s[0:1]
	s_cbranch_execz .LBB269_438
.LBB269_437:                            ;   in Loop: Header=BB269_307 Depth=1
	v_bfe_u32 v48, v19, 16, 3
	v_ffbh_u32_e32 v46, v48
	v_min_u32_e32 v50, 32, v46
	v_subrev_u32_e32 v46, 28, v50
	v_bfe_u32 v49, v19, 19, 4
	v_lshlrev_b64 v[46:47], v46, v[8:9]
	v_sub_u32_e32 v47, 29, v50
	v_cmp_eq_u32_e64 s[0:1], 0, v49
	v_and_b32_e32 v46, 7, v46
	v_lshlrev_b32_e32 v8, 8, v8
	v_cndmask_b32_e64 v47, v49, v47, s[0:1]
	v_lshl_add_u32 v47, v47, 10, v28
	v_cndmask_b32_e64 v46, v48, v46, s[0:1]
	v_and_or_b32 v8, v8, s31, v47
	v_lshl_or_b32 v8, v46, 7, v8
	v_cvt_f32_f16_e32 v46, v8
.LBB269_438:                            ;   in Loop: Header=BB269_307 Depth=1
	s_or_b64 exec, exec, s[16:17]
	v_lshrrev_b32_e32 v8, 24, v19
	v_cmp_lt_i16_e64 s[0:1], s29, v8
	s_mov_b64 s[16:17], 0
                                        ; implicit-def: $sgpr41
	s_and_saveexec_b64 s[20:21], s[0:1]
	s_xor_b64 s[20:21], exec, s[20:21]
	s_cbranch_execnz .LBB269_568
; %bb.439:                              ;   in Loop: Header=BB269_307 Depth=1
	s_or_saveexec_b64 s[20:21], s[20:21]
	v_mov_b32_e32 v47, s41
	s_xor_b64 exec, exec, s[20:21]
	s_cbranch_execnz .LBB269_571
.LBB269_440:                            ;   in Loop: Header=BB269_307 Depth=1
	s_or_b64 exec, exec, s[20:21]
	s_and_saveexec_b64 s[20:21], s[16:17]
	s_cbranch_execz .LBB269_442
.LBB269_441:                            ;   in Loop: Header=BB269_307 Depth=1
	v_bfe_u32 v47, v19, 24, 3
	v_ffbh_u32_e32 v48, v47
	v_min_u32_e32 v50, 32, v48
	v_subrev_u32_e32 v48, 28, v50
	v_bfe_u32 v19, v19, 27, 4
	v_lshlrev_b64 v[48:49], v48, v[8:9]
	v_sub_u32_e32 v49, 29, v50
	v_cmp_eq_u32_e64 s[0:1], 0, v19
	v_and_b32_e32 v48, 7, v48
	v_lshlrev_b32_e32 v8, 8, v8
	v_cndmask_b32_e64 v19, v19, v49, s[0:1]
	v_lshl_add_u32 v19, v19, 10, v28
	v_cndmask_b32_e64 v47, v47, v48, s[0:1]
	v_and_or_b32 v8, v8, s31, v19
	v_lshl_or_b32 v8, v47, 7, v8
	v_cvt_f32_f16_e32 v47, v8
.LBB269_442:                            ;   in Loop: Header=BB269_307 Depth=1
	s_or_b64 exec, exec, s[20:21]
	s_waitcnt vmcnt(0)
	v_pk_mul_f32 v[20:21], v[16:17], v[20:21] op_sel_hi:[0,1]
	v_pk_mul_f32 v[14:15], v[16:17], v[14:15] op_sel_hi:[0,1]
	v_cvt_f16_f32_e32 v8, v21
	v_cvt_f16_f32_e32 v19, v20
	v_cvt_f16_f32_e32 v15, v15
	v_cvt_f16_f32_e32 v14, v14
	v_fma_mixlo_f16 v18, v16, v18, 0
	v_pack_b32_f16 v19, v19, v8
	v_pack_b32_f16 v14, v14, v15
	v_perm_b32 v8, v14, v19, s38
	v_perm_b32 v15, v14, v19, s39
	v_fma_mixlo_f16 v14, v16, v45, 0
	v_lshlrev_b32_e32 v14, 16, v14
	v_or_b32_sdwa v14, v14, v18 dst_sel:DWORD dst_unused:UNUSED_PAD src0_sel:DWORD src1_sel:WORD_0
	v_fma_mixlo_f16 v18, v16, v46, 0
	v_fma_mixlo_f16 v16, v16, v47, 0
	v_lshlrev_b32_e32 v16, 16, v16
	v_or_b32_sdwa v16, v16, v18 dst_sel:DWORD dst_unused:UNUSED_PAD src0_sel:DWORD src1_sel:WORD_0
	s_and_saveexec_b64 s[0:1], vcc
	s_cbranch_execz .LBB269_305
; %bb.443:                              ;   in Loop: Header=BB269_307 Depth=1
	v_lshrrev_b32_e32 v19, 16, v15
	v_cmp_gt_i32_e32 vcc, s28, v36
	v_lshrrev_b32_e32 v16, 16, v16
	s_nop 0
	v_cndmask_b32_e32 v19, 0, v19, vcc
	v_cmp_gt_i32_e32 vcc, s33, v31
	s_nop 1
	v_cndmask_b32_e32 v15, 0, v15, vcc
	v_perm_b32 v15, v19, v15, s40
	v_lshrrev_b32_e32 v19, 16, v8
	v_cmp_gt_i32_e32 vcc, s28, v35
	s_nop 1
	v_cndmask_b32_e32 v19, 0, v19, vcc
	v_cmp_gt_i32_e32 vcc, s33, v34
	s_nop 1
	v_cndmask_b32_e32 v8, 0, v8, vcc
	v_perm_b32 v8, v19, v8, s40
	v_lshrrev_b32_e32 v19, 16, v14
	v_cmp_gt_i32_e32 vcc, s28, v33
	s_nop 1
	v_cndmask_b32_e32 v19, 0, v19, vcc
	v_cmp_gt_i32_e32 vcc, s33, v32
	s_nop 1
	v_cndmask_b32_e32 v14, 0, v14, vcc
	v_cmp_gt_i32_e32 vcc, s28, v30
	v_perm_b32 v14, v19, v14, s40
	s_nop 0
	v_cndmask_b32_e32 v16, 0, v16, vcc
	v_cmp_gt_i32_e32 vcc, s33, v29
	s_nop 1
	v_cndmask_b32_e32 v18, 0, v18, vcc
	v_perm_b32 v16, v16, v18, s40
	s_branch .LBB269_305
.LBB269_444:                            ;   in Loop: Header=BB269_307 Depth=1
	v_cmp_eq_u16_sdwa s[42:43], v18, s30 src0_sel:BYTE_0 src1_sel:DWORD
	s_mov_b64 s[0:1], -1
                                        ; implicit-def: $sgpr22
	s_and_saveexec_b64 s[20:21], s[42:43]
; %bb.445:                              ;   in Loop: Header=BB269_307 Depth=1
	s_mov_b32 s22, 0x7fc02000
	s_xor_b64 s[0:1], exec, -1
; %bb.446:                              ;   in Loop: Header=BB269_307 Depth=1
	s_or_b64 exec, exec, s[20:21]
	s_and_b64 s[0:1], s[0:1], exec
	s_or_saveexec_b64 s[16:17], s[16:17]
	v_mov_b32_e32 v20, s22
	s_xor_b64 exec, exec, s[16:17]
	s_cbranch_execz .LBB269_310
.LBB269_447:                            ;   in Loop: Header=BB269_307 Depth=1
	v_cmp_ne_u16_sdwa s[20:21], v18, v9 src0_sel:BYTE_0 src1_sel:DWORD
	s_andn2_b64 s[0:1], s[0:1], exec
	s_and_b64 s[20:21], s[20:21], exec
	v_mov_b32_e32 v20, 0
	s_or_b64 s[0:1], s[0:1], s[20:21]
	s_or_b64 exec, exec, s[16:17]
	s_and_saveexec_b64 s[16:17], s[0:1]
	s_cbranch_execnz .LBB269_311
	s_branch .LBB269_312
.LBB269_448:                            ;   in Loop: Header=BB269_307 Depth=1
	v_cmp_eq_u16_e32 vcc, s30, v8
	s_mov_b64 s[0:1], -1
                                        ; implicit-def: $sgpr22
	s_and_saveexec_b64 s[20:21], vcc
; %bb.449:                              ;   in Loop: Header=BB269_307 Depth=1
	s_mov_b32 s22, 0x7fc02000
	s_xor_b64 s[0:1], exec, -1
; %bb.450:                              ;   in Loop: Header=BB269_307 Depth=1
	s_or_b64 exec, exec, s[20:21]
	s_and_b64 s[0:1], s[0:1], exec
	s_or_saveexec_b64 s[16:17], s[16:17]
	v_mov_b32_e32 v22, s22
	s_xor_b64 exec, exec, s[16:17]
	s_cbranch_execz .LBB269_314
.LBB269_451:                            ;   in Loop: Header=BB269_307 Depth=1
	v_cmp_ne_u16_e32 vcc, 0, v8
	s_andn2_b64 s[0:1], s[0:1], exec
	s_and_b64 s[20:21], vcc, exec
	v_mov_b32_e32 v22, 0
	s_or_b64 s[0:1], s[0:1], s[20:21]
	s_or_b64 exec, exec, s[16:17]
	s_and_saveexec_b64 s[16:17], s[0:1]
	s_cbranch_execnz .LBB269_315
	s_branch .LBB269_316
.LBB269_452:                            ;   in Loop: Header=BB269_307 Depth=1
	v_cmp_eq_u16_sdwa s[42:43], v8, s30 src0_sel:BYTE_0 src1_sel:DWORD
	s_mov_b64 s[0:1], -1
                                        ; implicit-def: $sgpr22
	s_and_saveexec_b64 s[20:21], s[42:43]
; %bb.453:                              ;   in Loop: Header=BB269_307 Depth=1
	s_mov_b32 s22, 0x7fc02000
	s_xor_b64 s[0:1], exec, -1
; %bb.454:                              ;   in Loop: Header=BB269_307 Depth=1
	s_or_b64 exec, exec, s[20:21]
	s_and_b64 s[0:1], s[0:1], exec
	s_or_saveexec_b64 s[16:17], s[16:17]
	v_mov_b32_e32 v21, s22
	s_xor_b64 exec, exec, s[16:17]
	s_cbranch_execz .LBB269_318
.LBB269_455:                            ;   in Loop: Header=BB269_307 Depth=1
	v_cmp_ne_u16_sdwa s[20:21], v8, v9 src0_sel:BYTE_0 src1_sel:DWORD
	s_andn2_b64 s[0:1], s[0:1], exec
	s_and_b64 s[20:21], s[20:21], exec
	v_mov_b32_e32 v21, 0
	s_or_b64 s[0:1], s[0:1], s[20:21]
	s_or_b64 exec, exec, s[16:17]
	s_and_saveexec_b64 s[16:17], s[0:1]
	s_cbranch_execnz .LBB269_319
	s_branch .LBB269_320
.LBB269_456:                            ;   in Loop: Header=BB269_307 Depth=1
	v_cmp_eq_u16_e32 vcc, s30, v8
	s_mov_b64 s[0:1], -1
                                        ; implicit-def: $sgpr22
	s_and_saveexec_b64 s[20:21], vcc
; %bb.457:                              ;   in Loop: Header=BB269_307 Depth=1
	s_mov_b32 s22, 0x7fc02000
	s_xor_b64 s[0:1], exec, -1
; %bb.458:                              ;   in Loop: Header=BB269_307 Depth=1
	s_or_b64 exec, exec, s[20:21]
	s_and_b64 s[0:1], s[0:1], exec
	s_or_saveexec_b64 s[16:17], s[16:17]
	v_mov_b32_e32 v23, s22
	s_xor_b64 exec, exec, s[16:17]
	s_cbranch_execz .LBB269_322
.LBB269_459:                            ;   in Loop: Header=BB269_307 Depth=1
	v_cmp_ne_u16_e32 vcc, 0, v8
	s_andn2_b64 s[0:1], s[0:1], exec
	s_and_b64 s[20:21], vcc, exec
	v_mov_b32_e32 v23, 0
	s_or_b64 s[0:1], s[0:1], s[20:21]
	s_or_b64 exec, exec, s[16:17]
	s_and_saveexec_b64 s[16:17], s[0:1]
	s_cbranch_execnz .LBB269_323
	s_branch .LBB269_324
.LBB269_460:                            ;   in Loop: Header=BB269_307 Depth=1
	v_cmp_eq_u16_sdwa s[42:43], v19, s30 src0_sel:BYTE_0 src1_sel:DWORD
	s_mov_b64 s[0:1], -1
                                        ; implicit-def: $sgpr22
	s_and_saveexec_b64 s[20:21], s[42:43]
; %bb.461:                              ;   in Loop: Header=BB269_307 Depth=1
	s_mov_b32 s22, 0x7fc02000
	s_xor_b64 s[0:1], exec, -1
; %bb.462:                              ;   in Loop: Header=BB269_307 Depth=1
	s_or_b64 exec, exec, s[20:21]
	s_and_b64 s[0:1], s[0:1], exec
	s_or_saveexec_b64 s[16:17], s[16:17]
	v_mov_b32_e32 v18, s22
	s_xor_b64 exec, exec, s[16:17]
	s_cbranch_execz .LBB269_326
.LBB269_463:                            ;   in Loop: Header=BB269_307 Depth=1
	v_cmp_ne_u16_sdwa s[20:21], v19, v9 src0_sel:BYTE_0 src1_sel:DWORD
	s_andn2_b64 s[0:1], s[0:1], exec
	s_and_b64 s[20:21], s[20:21], exec
	v_mov_b32_e32 v18, 0
	s_or_b64 s[0:1], s[0:1], s[20:21]
	s_or_b64 exec, exec, s[16:17]
	v_mov_b32_e32 v8, v19
	s_and_saveexec_b64 s[16:17], s[0:1]
	s_cbranch_execnz .LBB269_327
	s_branch .LBB269_328
.LBB269_464:                            ;   in Loop: Header=BB269_307 Depth=1
	v_cmp_eq_u16_e32 vcc, s30, v8
	s_mov_b64 s[0:1], -1
                                        ; implicit-def: $sgpr22
	s_and_saveexec_b64 s[20:21], vcc
; %bb.465:                              ;   in Loop: Header=BB269_307 Depth=1
	s_mov_b32 s22, 0x7fc02000
	s_xor_b64 s[0:1], exec, -1
; %bb.466:                              ;   in Loop: Header=BB269_307 Depth=1
	s_or_b64 exec, exec, s[20:21]
	s_and_b64 s[0:1], s[0:1], exec
	s_or_saveexec_b64 s[16:17], s[16:17]
	v_mov_b32_e32 v29, s22
	s_xor_b64 exec, exec, s[16:17]
	s_cbranch_execz .LBB269_330
.LBB269_467:                            ;   in Loop: Header=BB269_307 Depth=1
	v_cmp_ne_u16_e32 vcc, 0, v8
	s_andn2_b64 s[0:1], s[0:1], exec
	s_and_b64 s[20:21], vcc, exec
	v_mov_b32_e32 v29, 0
	s_or_b64 s[0:1], s[0:1], s[20:21]
	s_or_b64 exec, exec, s[16:17]
	s_and_saveexec_b64 s[16:17], s[0:1]
	s_cbranch_execnz .LBB269_331
	s_branch .LBB269_332
.LBB269_468:                            ;   in Loop: Header=BB269_307 Depth=1
	v_cmp_eq_u16_sdwa s[42:43], v8, s30 src0_sel:BYTE_0 src1_sel:DWORD
	s_mov_b64 s[0:1], -1
                                        ; implicit-def: $sgpr22
	s_and_saveexec_b64 s[20:21], s[42:43]
; %bb.469:                              ;   in Loop: Header=BB269_307 Depth=1
	s_mov_b32 s22, 0x7fc02000
	s_xor_b64 s[0:1], exec, -1
; %bb.470:                              ;   in Loop: Header=BB269_307 Depth=1
	s_or_b64 exec, exec, s[20:21]
	s_and_b64 s[0:1], s[0:1], exec
	s_or_saveexec_b64 s[16:17], s[16:17]
	v_mov_b32_e32 v30, s22
	s_xor_b64 exec, exec, s[16:17]
	s_cbranch_execz .LBB269_334
.LBB269_471:                            ;   in Loop: Header=BB269_307 Depth=1
	v_cmp_ne_u16_sdwa s[20:21], v8, v9 src0_sel:BYTE_0 src1_sel:DWORD
	s_andn2_b64 s[0:1], s[0:1], exec
	s_and_b64 s[20:21], s[20:21], exec
	v_mov_b32_e32 v30, 0
	s_or_b64 s[0:1], s[0:1], s[20:21]
	s_or_b64 exec, exec, s[16:17]
	s_and_saveexec_b64 s[16:17], s[0:1]
	s_cbranch_execnz .LBB269_335
	s_branch .LBB269_336
.LBB269_472:                            ;   in Loop: Header=BB269_307 Depth=1
	v_cmp_eq_u16_e32 vcc, s30, v8
	s_mov_b64 s[0:1], -1
                                        ; implicit-def: $sgpr22
	s_and_saveexec_b64 s[20:21], vcc
; %bb.473:                              ;   in Loop: Header=BB269_307 Depth=1
	s_mov_b32 s22, 0x7fc02000
	s_xor_b64 s[0:1], exec, -1
; %bb.474:                              ;   in Loop: Header=BB269_307 Depth=1
	s_or_b64 exec, exec, s[20:21]
	s_and_b64 s[0:1], s[0:1], exec
	s_or_saveexec_b64 s[16:17], s[16:17]
	v_mov_b32_e32 v32, s22
	s_xor_b64 exec, exec, s[16:17]
	s_cbranch_execz .LBB269_338
.LBB269_475:                            ;   in Loop: Header=BB269_307 Depth=1
	v_cmp_ne_u16_e32 vcc, 0, v8
	s_andn2_b64 s[0:1], s[0:1], exec
	s_and_b64 s[20:21], vcc, exec
	v_mov_b32_e32 v32, 0
	s_or_b64 s[0:1], s[0:1], s[20:21]
	s_or_b64 exec, exec, s[16:17]
	s_and_saveexec_b64 s[16:17], s[0:1]
	s_cbranch_execnz .LBB269_339
	s_branch .LBB269_340
.LBB269_476:                            ;   in Loop: Header=BB269_307 Depth=1
	v_cmp_eq_u16_sdwa s[42:43], v18, s30 src0_sel:BYTE_0 src1_sel:DWORD
	s_mov_b64 s[0:1], -1
                                        ; implicit-def: $sgpr22
	s_and_saveexec_b64 s[20:21], s[42:43]
; %bb.477:                              ;   in Loop: Header=BB269_307 Depth=1
	s_mov_b32 s22, 0x7fc02000
	s_xor_b64 s[0:1], exec, -1
; %bb.478:                              ;   in Loop: Header=BB269_307 Depth=1
	s_or_b64 exec, exec, s[20:21]
	s_and_b64 s[0:1], s[0:1], exec
	s_or_saveexec_b64 s[16:17], s[16:17]
	v_mov_b32_e32 v20, s22
	s_xor_b64 exec, exec, s[16:17]
	s_cbranch_execz .LBB269_344
.LBB269_479:                            ;   in Loop: Header=BB269_307 Depth=1
	v_cmp_ne_u16_sdwa s[20:21], v18, v9 src0_sel:BYTE_0 src1_sel:DWORD
	s_andn2_b64 s[0:1], s[0:1], exec
	s_and_b64 s[20:21], s[20:21], exec
	v_mov_b32_e32 v20, 0
	s_or_b64 s[0:1], s[0:1], s[20:21]
	s_or_b64 exec, exec, s[16:17]
	s_and_saveexec_b64 s[16:17], s[0:1]
	s_cbranch_execnz .LBB269_345
	s_branch .LBB269_346
.LBB269_480:                            ;   in Loop: Header=BB269_307 Depth=1
	v_cmp_eq_u16_e64 s[0:1], s30, v8
	s_mov_b64 s[16:17], -1
                                        ; implicit-def: $sgpr41
	s_and_saveexec_b64 s[22:23], s[0:1]
; %bb.481:                              ;   in Loop: Header=BB269_307 Depth=1
	s_mov_b32 s41, 0x7fc02000
	s_xor_b64 s[16:17], exec, -1
; %bb.482:                              ;   in Loop: Header=BB269_307 Depth=1
	s_or_b64 exec, exec, s[22:23]
	s_and_b64 s[16:17], s[16:17], exec
	s_or_saveexec_b64 s[20:21], s[20:21]
	v_mov_b32_e32 v22, s41
	s_xor_b64 exec, exec, s[20:21]
	s_cbranch_execz .LBB269_348
.LBB269_483:                            ;   in Loop: Header=BB269_307 Depth=1
	v_cmp_ne_u16_e64 s[0:1], 0, v8
	s_andn2_b64 s[16:17], s[16:17], exec
	s_and_b64 s[0:1], s[0:1], exec
	v_mov_b32_e32 v22, 0
	s_or_b64 s[16:17], s[16:17], s[0:1]
	s_or_b64 exec, exec, s[20:21]
	s_and_saveexec_b64 s[20:21], s[16:17]
	s_cbranch_execnz .LBB269_349
	s_branch .LBB269_350
.LBB269_484:                            ;   in Loop: Header=BB269_307 Depth=1
	v_cmp_eq_u16_sdwa s[42:43], v8, s30 src0_sel:BYTE_0 src1_sel:DWORD
	s_mov_b64 s[0:1], -1
                                        ; implicit-def: $sgpr22
	s_and_saveexec_b64 s[20:21], s[42:43]
; %bb.485:                              ;   in Loop: Header=BB269_307 Depth=1
	s_mov_b32 s22, 0x7fc02000
	s_xor_b64 s[0:1], exec, -1
; %bb.486:                              ;   in Loop: Header=BB269_307 Depth=1
	s_or_b64 exec, exec, s[20:21]
	s_and_b64 s[0:1], s[0:1], exec
	s_or_saveexec_b64 s[16:17], s[16:17]
	v_mov_b32_e32 v21, s22
	s_xor_b64 exec, exec, s[16:17]
	s_cbranch_execz .LBB269_352
.LBB269_487:                            ;   in Loop: Header=BB269_307 Depth=1
	v_cmp_ne_u16_sdwa s[20:21], v8, v9 src0_sel:BYTE_0 src1_sel:DWORD
	s_andn2_b64 s[0:1], s[0:1], exec
	s_and_b64 s[20:21], s[20:21], exec
	v_mov_b32_e32 v21, 0
	s_or_b64 s[0:1], s[0:1], s[20:21]
	s_or_b64 exec, exec, s[16:17]
	s_and_saveexec_b64 s[16:17], s[0:1]
	s_cbranch_execnz .LBB269_353
	s_branch .LBB269_354
.LBB269_488:                            ;   in Loop: Header=BB269_307 Depth=1
	v_cmp_eq_u16_e64 s[0:1], s30, v8
	s_mov_b64 s[16:17], -1
                                        ; implicit-def: $sgpr41
	s_and_saveexec_b64 s[22:23], s[0:1]
; %bb.489:                              ;   in Loop: Header=BB269_307 Depth=1
	s_mov_b32 s41, 0x7fc02000
	s_xor_b64 s[16:17], exec, -1
; %bb.490:                              ;   in Loop: Header=BB269_307 Depth=1
	s_or_b64 exec, exec, s[22:23]
	s_and_b64 s[16:17], s[16:17], exec
	s_or_saveexec_b64 s[20:21], s[20:21]
	v_mov_b32_e32 v23, s41
	s_xor_b64 exec, exec, s[20:21]
	s_cbranch_execz .LBB269_356
.LBB269_491:                            ;   in Loop: Header=BB269_307 Depth=1
	v_cmp_ne_u16_e64 s[0:1], 0, v8
	s_andn2_b64 s[16:17], s[16:17], exec
	s_and_b64 s[0:1], s[0:1], exec
	v_mov_b32_e32 v23, 0
	s_or_b64 s[16:17], s[16:17], s[0:1]
	s_or_b64 exec, exec, s[20:21]
	s_and_saveexec_b64 s[20:21], s[16:17]
	s_cbranch_execnz .LBB269_357
	s_branch .LBB269_358
.LBB269_492:                            ;   in Loop: Header=BB269_307 Depth=1
	v_cmp_eq_u16_sdwa s[42:43], v19, s30 src0_sel:BYTE_0 src1_sel:DWORD
	s_mov_b64 s[0:1], -1
                                        ; implicit-def: $sgpr22
	s_and_saveexec_b64 s[20:21], s[42:43]
; %bb.493:                              ;   in Loop: Header=BB269_307 Depth=1
	s_mov_b32 s22, 0x7fc02000
	s_xor_b64 s[0:1], exec, -1
; %bb.494:                              ;   in Loop: Header=BB269_307 Depth=1
	s_or_b64 exec, exec, s[20:21]
	s_and_b64 s[0:1], s[0:1], exec
	s_or_saveexec_b64 s[16:17], s[16:17]
	v_mov_b32_e32 v18, s22
	s_xor_b64 exec, exec, s[16:17]
	s_cbranch_execz .LBB269_360
.LBB269_495:                            ;   in Loop: Header=BB269_307 Depth=1
	v_cmp_ne_u16_sdwa s[20:21], v19, v9 src0_sel:BYTE_0 src1_sel:DWORD
	s_andn2_b64 s[0:1], s[0:1], exec
	s_and_b64 s[20:21], s[20:21], exec
	v_mov_b32_e32 v18, 0
	s_or_b64 s[0:1], s[0:1], s[20:21]
	s_or_b64 exec, exec, s[16:17]
	v_mov_b32_e32 v8, v19
	s_and_saveexec_b64 s[16:17], s[0:1]
	s_cbranch_execnz .LBB269_361
	s_branch .LBB269_362
.LBB269_496:                            ;   in Loop: Header=BB269_307 Depth=1
	v_cmp_eq_u16_e64 s[0:1], s30, v8
	s_mov_b64 s[16:17], -1
                                        ; implicit-def: $sgpr41
	s_and_saveexec_b64 s[22:23], s[0:1]
; %bb.497:                              ;   in Loop: Header=BB269_307 Depth=1
	s_mov_b32 s41, 0x7fc02000
	s_xor_b64 s[16:17], exec, -1
; %bb.498:                              ;   in Loop: Header=BB269_307 Depth=1
	s_or_b64 exec, exec, s[22:23]
	s_and_b64 s[16:17], s[16:17], exec
	s_or_saveexec_b64 s[20:21], s[20:21]
	v_mov_b32_e32 v43, s41
	s_xor_b64 exec, exec, s[20:21]
	s_cbranch_execz .LBB269_364
.LBB269_499:                            ;   in Loop: Header=BB269_307 Depth=1
	v_cmp_ne_u16_e64 s[0:1], 0, v8
	s_andn2_b64 s[16:17], s[16:17], exec
	s_and_b64 s[0:1], s[0:1], exec
	v_mov_b32_e32 v43, 0
	s_or_b64 s[16:17], s[16:17], s[0:1]
	s_or_b64 exec, exec, s[20:21]
	s_and_saveexec_b64 s[20:21], s[16:17]
	s_cbranch_execnz .LBB269_365
	s_branch .LBB269_366
.LBB269_500:                            ;   in Loop: Header=BB269_307 Depth=1
	v_cmp_eq_u16_sdwa s[42:43], v8, s30 src0_sel:BYTE_0 src1_sel:DWORD
	s_mov_b64 s[0:1], -1
                                        ; implicit-def: $sgpr22
	s_and_saveexec_b64 s[20:21], s[42:43]
; %bb.501:                              ;   in Loop: Header=BB269_307 Depth=1
	s_mov_b32 s22, 0x7fc02000
	s_xor_b64 s[0:1], exec, -1
; %bb.502:                              ;   in Loop: Header=BB269_307 Depth=1
	s_or_b64 exec, exec, s[20:21]
	s_and_b64 s[0:1], s[0:1], exec
	s_or_saveexec_b64 s[16:17], s[16:17]
	v_mov_b32_e32 v44, s22
	s_xor_b64 exec, exec, s[16:17]
	s_cbranch_execz .LBB269_368
.LBB269_503:                            ;   in Loop: Header=BB269_307 Depth=1
	v_cmp_ne_u16_sdwa s[20:21], v8, v9 src0_sel:BYTE_0 src1_sel:DWORD
	s_andn2_b64 s[0:1], s[0:1], exec
	s_and_b64 s[20:21], s[20:21], exec
	v_mov_b32_e32 v44, 0
	s_or_b64 s[0:1], s[0:1], s[20:21]
	s_or_b64 exec, exec, s[16:17]
	s_and_saveexec_b64 s[16:17], s[0:1]
	s_cbranch_execnz .LBB269_369
	s_branch .LBB269_370
.LBB269_504:                            ;   in Loop: Header=BB269_307 Depth=1
	v_cmp_eq_u16_e64 s[0:1], s30, v8
	s_mov_b64 s[16:17], -1
                                        ; implicit-def: $sgpr41
	s_and_saveexec_b64 s[22:23], s[0:1]
; %bb.505:                              ;   in Loop: Header=BB269_307 Depth=1
	s_mov_b32 s41, 0x7fc02000
	s_xor_b64 s[16:17], exec, -1
; %bb.506:                              ;   in Loop: Header=BB269_307 Depth=1
	s_or_b64 exec, exec, s[22:23]
	s_and_b64 s[16:17], s[16:17], exec
	s_or_saveexec_b64 s[20:21], s[20:21]
	v_mov_b32_e32 v45, s41
	s_xor_b64 exec, exec, s[20:21]
	s_cbranch_execz .LBB269_372
.LBB269_507:                            ;   in Loop: Header=BB269_307 Depth=1
	v_cmp_ne_u16_e64 s[0:1], 0, v8
	s_andn2_b64 s[16:17], s[16:17], exec
	s_and_b64 s[0:1], s[0:1], exec
	v_mov_b32_e32 v45, 0
	s_or_b64 s[16:17], s[16:17], s[0:1]
	s_or_b64 exec, exec, s[20:21]
	s_and_saveexec_b64 s[20:21], s[16:17]
	s_cbranch_execnz .LBB269_373
	s_branch .LBB269_374
.LBB269_508:                            ;   in Loop: Header=BB269_307 Depth=1
	v_cmp_eq_u16_sdwa s[42:43], v18, s30 src0_sel:BYTE_0 src1_sel:DWORD
	s_mov_b64 s[0:1], -1
                                        ; implicit-def: $sgpr22
	s_and_saveexec_b64 s[20:21], s[42:43]
; %bb.509:                              ;   in Loop: Header=BB269_307 Depth=1
	s_mov_b32 s22, 0x7fc02000
	s_xor_b64 s[0:1], exec, -1
; %bb.510:                              ;   in Loop: Header=BB269_307 Depth=1
	s_or_b64 exec, exec, s[20:21]
	s_and_b64 s[0:1], s[0:1], exec
	s_or_saveexec_b64 s[16:17], s[16:17]
	v_mov_b32_e32 v20, s22
	s_xor_b64 exec, exec, s[16:17]
	s_cbranch_execz .LBB269_378
.LBB269_511:                            ;   in Loop: Header=BB269_307 Depth=1
	v_cmp_ne_u16_sdwa s[20:21], v18, v9 src0_sel:BYTE_0 src1_sel:DWORD
	s_andn2_b64 s[0:1], s[0:1], exec
	s_and_b64 s[20:21], s[20:21], exec
	v_mov_b32_e32 v20, 0
	s_or_b64 s[0:1], s[0:1], s[20:21]
	s_or_b64 exec, exec, s[16:17]
	s_and_saveexec_b64 s[16:17], s[0:1]
	s_cbranch_execnz .LBB269_379
	s_branch .LBB269_380
.LBB269_512:                            ;   in Loop: Header=BB269_307 Depth=1
	v_cmp_eq_u16_e64 s[0:1], s30, v8
	s_mov_b64 s[16:17], -1
                                        ; implicit-def: $sgpr41
	s_and_saveexec_b64 s[22:23], s[0:1]
; %bb.513:                              ;   in Loop: Header=BB269_307 Depth=1
	s_mov_b32 s41, 0x7fc02000
	s_xor_b64 s[16:17], exec, -1
; %bb.514:                              ;   in Loop: Header=BB269_307 Depth=1
	s_or_b64 exec, exec, s[22:23]
	s_and_b64 s[16:17], s[16:17], exec
	s_or_saveexec_b64 s[20:21], s[20:21]
	v_mov_b32_e32 v22, s41
	s_xor_b64 exec, exec, s[20:21]
	s_cbranch_execz .LBB269_382
.LBB269_515:                            ;   in Loop: Header=BB269_307 Depth=1
	v_cmp_ne_u16_e64 s[0:1], 0, v8
	s_andn2_b64 s[16:17], s[16:17], exec
	s_and_b64 s[0:1], s[0:1], exec
	v_mov_b32_e32 v22, 0
	s_or_b64 s[16:17], s[16:17], s[0:1]
	s_or_b64 exec, exec, s[20:21]
	s_and_saveexec_b64 s[20:21], s[16:17]
	s_cbranch_execnz .LBB269_383
	s_branch .LBB269_384
.LBB269_516:                            ;   in Loop: Header=BB269_307 Depth=1
	v_cmp_eq_u16_sdwa s[42:43], v8, s30 src0_sel:BYTE_0 src1_sel:DWORD
	s_mov_b64 s[0:1], -1
                                        ; implicit-def: $sgpr22
	s_and_saveexec_b64 s[20:21], s[42:43]
; %bb.517:                              ;   in Loop: Header=BB269_307 Depth=1
	s_mov_b32 s22, 0x7fc02000
	s_xor_b64 s[0:1], exec, -1
; %bb.518:                              ;   in Loop: Header=BB269_307 Depth=1
	s_or_b64 exec, exec, s[20:21]
	s_and_b64 s[0:1], s[0:1], exec
	s_or_saveexec_b64 s[16:17], s[16:17]
	v_mov_b32_e32 v21, s22
	s_xor_b64 exec, exec, s[16:17]
	s_cbranch_execz .LBB269_386
.LBB269_519:                            ;   in Loop: Header=BB269_307 Depth=1
	v_cmp_ne_u16_sdwa s[20:21], v8, v9 src0_sel:BYTE_0 src1_sel:DWORD
	s_andn2_b64 s[0:1], s[0:1], exec
	s_and_b64 s[20:21], s[20:21], exec
	v_mov_b32_e32 v21, 0
	s_or_b64 s[0:1], s[0:1], s[20:21]
	s_or_b64 exec, exec, s[16:17]
	s_and_saveexec_b64 s[16:17], s[0:1]
	s_cbranch_execnz .LBB269_387
	s_branch .LBB269_388
.LBB269_520:                            ;   in Loop: Header=BB269_307 Depth=1
	v_cmp_eq_u16_e64 s[0:1], s30, v8
	s_mov_b64 s[16:17], -1
                                        ; implicit-def: $sgpr41
	s_and_saveexec_b64 s[22:23], s[0:1]
; %bb.521:                              ;   in Loop: Header=BB269_307 Depth=1
	s_mov_b32 s41, 0x7fc02000
	s_xor_b64 s[16:17], exec, -1
; %bb.522:                              ;   in Loop: Header=BB269_307 Depth=1
	s_or_b64 exec, exec, s[22:23]
	s_and_b64 s[16:17], s[16:17], exec
	s_or_saveexec_b64 s[20:21], s[20:21]
	v_mov_b32_e32 v23, s41
	s_xor_b64 exec, exec, s[20:21]
	s_cbranch_execz .LBB269_390
.LBB269_523:                            ;   in Loop: Header=BB269_307 Depth=1
	v_cmp_ne_u16_e64 s[0:1], 0, v8
	s_andn2_b64 s[16:17], s[16:17], exec
	s_and_b64 s[0:1], s[0:1], exec
	v_mov_b32_e32 v23, 0
	s_or_b64 s[16:17], s[16:17], s[0:1]
	s_or_b64 exec, exec, s[20:21]
	s_and_saveexec_b64 s[20:21], s[16:17]
	s_cbranch_execnz .LBB269_391
	s_branch .LBB269_392
.LBB269_524:                            ;   in Loop: Header=BB269_307 Depth=1
	v_cmp_eq_u16_sdwa s[42:43], v19, s30 src0_sel:BYTE_0 src1_sel:DWORD
	s_mov_b64 s[0:1], -1
                                        ; implicit-def: $sgpr22
	s_and_saveexec_b64 s[20:21], s[42:43]
; %bb.525:                              ;   in Loop: Header=BB269_307 Depth=1
	s_mov_b32 s22, 0x7fc02000
	s_xor_b64 s[0:1], exec, -1
; %bb.526:                              ;   in Loop: Header=BB269_307 Depth=1
	s_or_b64 exec, exec, s[20:21]
	s_and_b64 s[0:1], s[0:1], exec
	s_or_saveexec_b64 s[16:17], s[16:17]
	v_mov_b32_e32 v18, s22
	s_xor_b64 exec, exec, s[16:17]
	s_cbranch_execz .LBB269_394
.LBB269_527:                            ;   in Loop: Header=BB269_307 Depth=1
	v_cmp_ne_u16_sdwa s[20:21], v19, v9 src0_sel:BYTE_0 src1_sel:DWORD
	s_andn2_b64 s[0:1], s[0:1], exec
	s_and_b64 s[20:21], s[20:21], exec
	v_mov_b32_e32 v18, 0
	s_or_b64 s[0:1], s[0:1], s[20:21]
	s_or_b64 exec, exec, s[16:17]
	v_mov_b32_e32 v8, v19
	s_and_saveexec_b64 s[16:17], s[0:1]
	s_cbranch_execnz .LBB269_395
	s_branch .LBB269_396
.LBB269_528:                            ;   in Loop: Header=BB269_307 Depth=1
	v_cmp_eq_u16_e64 s[0:1], s30, v8
	s_mov_b64 s[16:17], -1
                                        ; implicit-def: $sgpr41
	s_and_saveexec_b64 s[22:23], s[0:1]
; %bb.529:                              ;   in Loop: Header=BB269_307 Depth=1
	s_mov_b32 s41, 0x7fc02000
	s_xor_b64 s[16:17], exec, -1
; %bb.530:                              ;   in Loop: Header=BB269_307 Depth=1
	s_or_b64 exec, exec, s[22:23]
	s_and_b64 s[16:17], s[16:17], exec
	s_or_saveexec_b64 s[20:21], s[20:21]
	v_mov_b32_e32 v45, s41
	s_xor_b64 exec, exec, s[20:21]
	s_cbranch_execz .LBB269_398
.LBB269_531:                            ;   in Loop: Header=BB269_307 Depth=1
	v_cmp_ne_u16_e64 s[0:1], 0, v8
	s_andn2_b64 s[16:17], s[16:17], exec
	s_and_b64 s[0:1], s[0:1], exec
	v_mov_b32_e32 v45, 0
	s_or_b64 s[16:17], s[16:17], s[0:1]
	s_or_b64 exec, exec, s[20:21]
	s_and_saveexec_b64 s[20:21], s[16:17]
	s_cbranch_execnz .LBB269_399
	s_branch .LBB269_400
.LBB269_532:                            ;   in Loop: Header=BB269_307 Depth=1
	v_cmp_eq_u16_sdwa s[42:43], v8, s30 src0_sel:BYTE_0 src1_sel:DWORD
	s_mov_b64 s[0:1], -1
                                        ; implicit-def: $sgpr22
	s_and_saveexec_b64 s[20:21], s[42:43]
; %bb.533:                              ;   in Loop: Header=BB269_307 Depth=1
	s_mov_b32 s22, 0x7fc02000
	s_xor_b64 s[0:1], exec, -1
; %bb.534:                              ;   in Loop: Header=BB269_307 Depth=1
	s_or_b64 exec, exec, s[20:21]
	s_and_b64 s[0:1], s[0:1], exec
	s_or_saveexec_b64 s[16:17], s[16:17]
	v_mov_b32_e32 v46, s22
	s_xor_b64 exec, exec, s[16:17]
	s_cbranch_execz .LBB269_402
.LBB269_535:                            ;   in Loop: Header=BB269_307 Depth=1
	v_cmp_ne_u16_sdwa s[20:21], v8, v9 src0_sel:BYTE_0 src1_sel:DWORD
	s_andn2_b64 s[0:1], s[0:1], exec
	s_and_b64 s[20:21], s[20:21], exec
	v_mov_b32_e32 v46, 0
	s_or_b64 s[0:1], s[0:1], s[20:21]
	s_or_b64 exec, exec, s[16:17]
	s_and_saveexec_b64 s[16:17], s[0:1]
	s_cbranch_execnz .LBB269_403
	s_branch .LBB269_404
.LBB269_536:                            ;   in Loop: Header=BB269_307 Depth=1
	v_cmp_eq_u16_e64 s[0:1], s30, v8
	s_mov_b64 s[16:17], -1
                                        ; implicit-def: $sgpr41
	s_and_saveexec_b64 s[22:23], s[0:1]
; %bb.537:                              ;   in Loop: Header=BB269_307 Depth=1
	s_mov_b32 s41, 0x7fc02000
	s_xor_b64 s[16:17], exec, -1
; %bb.538:                              ;   in Loop: Header=BB269_307 Depth=1
	s_or_b64 exec, exec, s[22:23]
	s_and_b64 s[16:17], s[16:17], exec
	s_or_saveexec_b64 s[20:21], s[20:21]
	v_mov_b32_e32 v47, s41
	s_xor_b64 exec, exec, s[20:21]
	s_cbranch_execz .LBB269_406
.LBB269_539:                            ;   in Loop: Header=BB269_307 Depth=1
	v_cmp_ne_u16_e64 s[0:1], 0, v8
	s_andn2_b64 s[16:17], s[16:17], exec
	s_and_b64 s[0:1], s[0:1], exec
	v_mov_b32_e32 v47, 0
	s_or_b64 s[16:17], s[16:17], s[0:1]
	s_or_b64 exec, exec, s[20:21]
	s_and_saveexec_b64 s[20:21], s[16:17]
	s_cbranch_execnz .LBB269_407
	s_branch .LBB269_408
.LBB269_540:                            ;   in Loop: Header=BB269_307 Depth=1
	v_cmp_eq_u16_sdwa s[42:43], v18, s30 src0_sel:BYTE_0 src1_sel:DWORD
	s_mov_b64 s[0:1], -1
                                        ; implicit-def: $sgpr22
	s_and_saveexec_b64 s[20:21], s[42:43]
; %bb.541:                              ;   in Loop: Header=BB269_307 Depth=1
	s_mov_b32 s22, 0x7fc02000
	s_xor_b64 s[0:1], exec, -1
; %bb.542:                              ;   in Loop: Header=BB269_307 Depth=1
	s_or_b64 exec, exec, s[20:21]
	s_and_b64 s[0:1], s[0:1], exec
	s_or_saveexec_b64 s[16:17], s[16:17]
	v_mov_b32_e32 v14, s22
	s_xor_b64 exec, exec, s[16:17]
	s_cbranch_execz .LBB269_412
.LBB269_543:                            ;   in Loop: Header=BB269_307 Depth=1
	v_cmp_ne_u16_sdwa s[20:21], v18, v9 src0_sel:BYTE_0 src1_sel:DWORD
	s_andn2_b64 s[0:1], s[0:1], exec
	s_and_b64 s[20:21], s[20:21], exec
	v_mov_b32_e32 v14, 0
	s_or_b64 s[0:1], s[0:1], s[20:21]
	s_or_b64 exec, exec, s[16:17]
	s_and_saveexec_b64 s[16:17], s[0:1]
	s_cbranch_execnz .LBB269_413
	s_branch .LBB269_414
.LBB269_544:                            ;   in Loop: Header=BB269_307 Depth=1
	v_cmp_eq_u16_e64 s[0:1], s30, v8
	s_mov_b64 s[16:17], -1
                                        ; implicit-def: $sgpr41
	s_and_saveexec_b64 s[22:23], s[0:1]
; %bb.545:                              ;   in Loop: Header=BB269_307 Depth=1
	s_mov_b32 s41, 0x7fc02000
	s_xor_b64 s[16:17], exec, -1
; %bb.546:                              ;   in Loop: Header=BB269_307 Depth=1
	s_or_b64 exec, exec, s[22:23]
	s_and_b64 s[16:17], s[16:17], exec
	s_or_saveexec_b64 s[20:21], s[20:21]
	v_mov_b32_e32 v20, s41
	s_xor_b64 exec, exec, s[20:21]
	s_cbranch_execz .LBB269_416
.LBB269_547:                            ;   in Loop: Header=BB269_307 Depth=1
	v_cmp_ne_u16_e64 s[0:1], 0, v8
	s_andn2_b64 s[16:17], s[16:17], exec
	s_and_b64 s[0:1], s[0:1], exec
	v_mov_b32_e32 v20, 0
	s_or_b64 s[16:17], s[16:17], s[0:1]
	s_or_b64 exec, exec, s[20:21]
	s_and_saveexec_b64 s[20:21], s[16:17]
	s_cbranch_execnz .LBB269_417
	s_branch .LBB269_418
.LBB269_548:                            ;   in Loop: Header=BB269_307 Depth=1
	v_cmp_eq_u16_sdwa s[42:43], v8, s30 src0_sel:BYTE_0 src1_sel:DWORD
	s_mov_b64 s[0:1], -1
                                        ; implicit-def: $sgpr22
	s_and_saveexec_b64 s[20:21], s[42:43]
; %bb.549:                              ;   in Loop: Header=BB269_307 Depth=1
	s_mov_b32 s22, 0x7fc02000
	s_xor_b64 s[0:1], exec, -1
; %bb.550:                              ;   in Loop: Header=BB269_307 Depth=1
	s_or_b64 exec, exec, s[20:21]
	s_and_b64 s[0:1], s[0:1], exec
	s_or_saveexec_b64 s[16:17], s[16:17]
	v_mov_b32_e32 v15, s22
	s_xor_b64 exec, exec, s[16:17]
	s_cbranch_execz .LBB269_420
.LBB269_551:                            ;   in Loop: Header=BB269_307 Depth=1
	v_cmp_ne_u16_sdwa s[20:21], v8, v9 src0_sel:BYTE_0 src1_sel:DWORD
	s_andn2_b64 s[0:1], s[0:1], exec
	s_and_b64 s[20:21], s[20:21], exec
	v_mov_b32_e32 v15, 0
	s_or_b64 s[0:1], s[0:1], s[20:21]
	s_or_b64 exec, exec, s[16:17]
	s_and_saveexec_b64 s[16:17], s[0:1]
	s_cbranch_execnz .LBB269_421
	s_branch .LBB269_422
.LBB269_552:                            ;   in Loop: Header=BB269_307 Depth=1
	v_cmp_eq_u16_e64 s[0:1], s30, v8
	s_mov_b64 s[16:17], -1
                                        ; implicit-def: $sgpr41
	s_and_saveexec_b64 s[22:23], s[0:1]
; %bb.553:                              ;   in Loop: Header=BB269_307 Depth=1
	s_mov_b32 s41, 0x7fc02000
	s_xor_b64 s[16:17], exec, -1
; %bb.554:                              ;   in Loop: Header=BB269_307 Depth=1
	s_or_b64 exec, exec, s[22:23]
	s_and_b64 s[16:17], s[16:17], exec
	s_or_saveexec_b64 s[20:21], s[20:21]
	v_mov_b32_e32 v21, s41
	s_xor_b64 exec, exec, s[20:21]
	s_cbranch_execz .LBB269_424
.LBB269_555:                            ;   in Loop: Header=BB269_307 Depth=1
	v_cmp_ne_u16_e64 s[0:1], 0, v8
	s_andn2_b64 s[16:17], s[16:17], exec
	s_and_b64 s[0:1], s[0:1], exec
	v_mov_b32_e32 v21, 0
	s_or_b64 s[16:17], s[16:17], s[0:1]
	s_or_b64 exec, exec, s[20:21]
	s_and_saveexec_b64 s[20:21], s[16:17]
	s_cbranch_execnz .LBB269_425
	s_branch .LBB269_426
.LBB269_556:                            ;   in Loop: Header=BB269_307 Depth=1
	v_cmp_eq_u16_sdwa s[42:43], v19, s30 src0_sel:BYTE_0 src1_sel:DWORD
	s_mov_b64 s[0:1], -1
                                        ; implicit-def: $sgpr22
	s_and_saveexec_b64 s[20:21], s[42:43]
; %bb.557:                              ;   in Loop: Header=BB269_307 Depth=1
	s_mov_b32 s22, 0x7fc02000
	s_xor_b64 s[0:1], exec, -1
; %bb.558:                              ;   in Loop: Header=BB269_307 Depth=1
	s_or_b64 exec, exec, s[20:21]
	s_and_b64 s[0:1], s[0:1], exec
	s_or_saveexec_b64 s[16:17], s[16:17]
	v_mov_b32_e32 v18, s22
	s_xor_b64 exec, exec, s[16:17]
	s_cbranch_execz .LBB269_428
.LBB269_559:                            ;   in Loop: Header=BB269_307 Depth=1
	v_cmp_ne_u16_sdwa s[20:21], v19, v9 src0_sel:BYTE_0 src1_sel:DWORD
	s_andn2_b64 s[0:1], s[0:1], exec
	s_and_b64 s[20:21], s[20:21], exec
	v_mov_b32_e32 v18, 0
	s_or_b64 s[0:1], s[0:1], s[20:21]
	s_or_b64 exec, exec, s[16:17]
	v_mov_b32_e32 v8, v19
	s_and_saveexec_b64 s[16:17], s[0:1]
	s_cbranch_execnz .LBB269_429
	s_branch .LBB269_430
.LBB269_560:                            ;   in Loop: Header=BB269_307 Depth=1
	v_cmp_eq_u16_e64 s[0:1], s30, v8
	s_mov_b64 s[16:17], -1
                                        ; implicit-def: $sgpr41
	s_and_saveexec_b64 s[22:23], s[0:1]
; %bb.561:                              ;   in Loop: Header=BB269_307 Depth=1
	s_mov_b32 s41, 0x7fc02000
	s_xor_b64 s[16:17], exec, -1
; %bb.562:                              ;   in Loop: Header=BB269_307 Depth=1
	s_or_b64 exec, exec, s[22:23]
	s_and_b64 s[16:17], s[16:17], exec
	s_or_saveexec_b64 s[20:21], s[20:21]
	v_mov_b32_e32 v45, s41
	s_xor_b64 exec, exec, s[20:21]
	s_cbranch_execz .LBB269_432
.LBB269_563:                            ;   in Loop: Header=BB269_307 Depth=1
	v_cmp_ne_u16_e64 s[0:1], 0, v8
	s_andn2_b64 s[16:17], s[16:17], exec
	s_and_b64 s[0:1], s[0:1], exec
	v_mov_b32_e32 v45, 0
	s_or_b64 s[16:17], s[16:17], s[0:1]
	s_or_b64 exec, exec, s[20:21]
	s_and_saveexec_b64 s[20:21], s[16:17]
	s_cbranch_execnz .LBB269_433
	s_branch .LBB269_434
.LBB269_564:                            ;   in Loop: Header=BB269_307 Depth=1
	v_cmp_eq_u16_sdwa s[42:43], v8, s30 src0_sel:BYTE_0 src1_sel:DWORD
	s_mov_b64 s[0:1], -1
                                        ; implicit-def: $sgpr22
	s_and_saveexec_b64 s[20:21], s[42:43]
; %bb.565:                              ;   in Loop: Header=BB269_307 Depth=1
	s_mov_b32 s22, 0x7fc02000
	s_xor_b64 s[0:1], exec, -1
; %bb.566:                              ;   in Loop: Header=BB269_307 Depth=1
	s_or_b64 exec, exec, s[20:21]
	s_and_b64 s[0:1], s[0:1], exec
	s_or_saveexec_b64 s[16:17], s[16:17]
	v_mov_b32_e32 v46, s22
	s_xor_b64 exec, exec, s[16:17]
	s_cbranch_execz .LBB269_436
.LBB269_567:                            ;   in Loop: Header=BB269_307 Depth=1
	v_cmp_ne_u16_sdwa s[20:21], v8, v9 src0_sel:BYTE_0 src1_sel:DWORD
	s_andn2_b64 s[0:1], s[0:1], exec
	s_and_b64 s[20:21], s[20:21], exec
	v_mov_b32_e32 v46, 0
	s_or_b64 s[0:1], s[0:1], s[20:21]
	s_or_b64 exec, exec, s[16:17]
	s_and_saveexec_b64 s[16:17], s[0:1]
	s_cbranch_execnz .LBB269_437
	s_branch .LBB269_438
.LBB269_568:                            ;   in Loop: Header=BB269_307 Depth=1
	v_cmp_eq_u16_e64 s[0:1], s30, v8
	s_mov_b64 s[16:17], -1
                                        ; implicit-def: $sgpr41
	s_and_saveexec_b64 s[22:23], s[0:1]
; %bb.569:                              ;   in Loop: Header=BB269_307 Depth=1
	s_mov_b32 s41, 0x7fc02000
	s_xor_b64 s[16:17], exec, -1
; %bb.570:                              ;   in Loop: Header=BB269_307 Depth=1
	s_or_b64 exec, exec, s[22:23]
	s_and_b64 s[16:17], s[16:17], exec
	s_or_saveexec_b64 s[20:21], s[20:21]
	v_mov_b32_e32 v47, s41
	s_xor_b64 exec, exec, s[20:21]
	s_cbranch_execz .LBB269_440
.LBB269_571:                            ;   in Loop: Header=BB269_307 Depth=1
	v_cmp_ne_u16_e64 s[0:1], 0, v8
	s_andn2_b64 s[16:17], s[16:17], exec
	s_and_b64 s[0:1], s[0:1], exec
	v_mov_b32_e32 v47, 0
	s_or_b64 s[16:17], s[16:17], s[0:1]
	s_or_b64 exec, exec, s[20:21]
	s_and_saveexec_b64 s[20:21], s[16:17]
	s_cbranch_execnz .LBB269_441
	s_branch .LBB269_442
.LBB269_572:
	s_or_b64 exec, exec, s[6:7]
.LBB269_573:
	s_or_b64 exec, exec, s[12:13]
	ds_bpermute_b32 v6, v24, v2
	ds_bpermute_b32 v7, v24, v3
	;; [unrolled: 1-line block ×4, first 2 shown]
	v_and_b32_e32 v1, 0x3c1, v0
	v_cmp_eq_u32_e32 vcc, 64, v1
	s_waitcnt lgkmcnt(2)
	v_pk_add_f32 v[6:7], v[2:3], v[6:7]
	s_waitcnt lgkmcnt(0)
	v_pk_add_f32 v[2:3], v[4:5], v[8:9]
	s_barrier
	s_and_saveexec_b64 s[0:1], vcc
	s_cbranch_execz .LBB269_575
; %bb.574:
	v_mov_b32_e32 v4, 0x110
	v_lshl_add_u32 v4, v17, 1, v4
	ds_write2_b32 v4, v6, v7 offset1:32
	ds_write2_b32 v4, v2, v3 offset0:64 offset1:96
.LBB269_575:
	s_or_b64 exec, exec, s[0:1]
	s_waitcnt lgkmcnt(0)
	s_barrier
	s_and_saveexec_b64 s[0:1], s[10:11]
	s_cbranch_execz .LBB269_582
; %bb.576:
	v_cmp_eq_u32_e32 vcc, 0, v25
	v_lshrrev_b32_e32 v4, 1, v0
	s_and_saveexec_b64 s[2:3], vcc
	s_cbranch_execnz .LBB269_585
; %bb.577:
	s_or_b64 exec, exec, s[2:3]
	s_and_saveexec_b64 s[2:3], vcc
	s_cbranch_execnz .LBB269_586
.LBB269_578:
	s_or_b64 exec, exec, s[2:3]
	s_and_saveexec_b64 s[2:3], vcc
	s_cbranch_execnz .LBB269_587
.LBB269_579:
	s_or_b64 exec, exec, s[2:3]
	s_and_saveexec_b64 s[2:3], vcc
	s_cbranch_execz .LBB269_581
.LBB269_580:
	v_mov_b32_e32 v5, 0x110
	v_lshl_add_u32 v4, v4, 2, v5
	ds_read_b32 v4, v4 offset:384
	s_waitcnt lgkmcnt(0)
	v_add_f32_e32 v3, v3, v4
.LBB269_581:
	s_or_b64 exec, exec, s[2:3]
.LBB269_582:
	s_or_b64 exec, exec, s[0:1]
	v_cmp_eq_u32_e32 vcc, 0, v1
	s_barrier
	s_and_saveexec_b64 s[0:1], vcc
	s_cbranch_execz .LBB269_584
; %bb.583:
	s_lshl_b32 s0, s8, 7
	s_ashr_i32 s1, s0, 31
	s_lshl_b64 s[0:1], s[0:1], 1
	s_add_u32 s2, s34, s0
	s_mul_i32 s0, s15, s14
	s_addc_u32 s3, s35, s1
	s_ashr_i32 s1, s0, 31
	s_lshl_b64 s[0:1], s[0:1], 1
	s_add_u32 s2, s2, s0
	s_addc_u32 s3, s3, s1
	s_lshl_b32 s0, s4, 7
	s_ashr_i32 s1, s0, 31
	s_lshl_b64 s[0:1], s[0:1], 1
	s_add_u32 s0, s2, s0
	s_addc_u32 s1, s3, s1
	;;#ASMSTART
	v_cvt_f16_f32 v1, v6;

	;;#ASMEND
	global_store_short v0, v1, s[0:1]
	;;#ASMSTART
	v_cvt_f16_f32 v1, v7;

	;;#ASMEND
	global_store_short v0, v1, s[0:1] offset:64
	;;#ASMSTART
	v_cvt_f16_f32 v1, v2;

	;;#ASMEND
	global_store_short v0, v1, s[0:1] offset:128
	;; [unrolled: 5-line block ×3, first 2 shown]
.LBB269_584:
	s_endpgm
.LBB269_585:
	v_mov_b32_e32 v5, 0x110
	v_lshl_add_u32 v5, v4, 2, v5
	ds_read_b32 v5, v5
	s_waitcnt lgkmcnt(0)
	v_add_f32_e32 v6, v6, v5
	s_or_b64 exec, exec, s[2:3]
	s_and_saveexec_b64 s[2:3], vcc
	s_cbranch_execz .LBB269_578
.LBB269_586:
	v_mov_b32_e32 v5, 0x110
	v_lshl_add_u32 v5, v4, 2, v5
	ds_read_b32 v5, v5 offset:128
	s_waitcnt lgkmcnt(0)
	v_add_f32_e32 v7, v7, v5
	s_or_b64 exec, exec, s[2:3]
	s_and_saveexec_b64 s[2:3], vcc
	s_cbranch_execz .LBB269_579
.LBB269_587:
	v_mov_b32_e32 v5, 0x110
	v_lshl_add_u32 v5, v4, 2, v5
	ds_read_b32 v5, v5 offset:256
	s_waitcnt lgkmcnt(0)
	v_add_f32_e32 v2, v2, v5
	s_or_b64 exec, exec, s[2:3]
	s_and_saveexec_b64 s[2:3], vcc
	s_cbranch_execnz .LBB269_580
	s_branch .LBB269_581
	.section	.rodata,"a",@progbits
	.p2align	6, 0x0
	.amdhsa_kernel _ZN4vllm25paged_attention_v2_kernelIthLi128ELi16ELi128ELNS_18Fp8KVCacheDataTypeE1ELb1ELi512EEEvPfS2_PT_PKS3_PKT0_S9_ifPKiSB_iPKfiiiSD_SD_iiiii
		.amdhsa_group_segment_fixed_size 272
		.amdhsa_private_segment_fixed_size 0
		.amdhsa_kernarg_size 400
		.amdhsa_user_sgpr_count 2
		.amdhsa_user_sgpr_dispatch_ptr 0
		.amdhsa_user_sgpr_queue_ptr 0
		.amdhsa_user_sgpr_kernarg_segment_ptr 1
		.amdhsa_user_sgpr_dispatch_id 0
		.amdhsa_user_sgpr_kernarg_preload_length 0
		.amdhsa_user_sgpr_kernarg_preload_offset 0
		.amdhsa_user_sgpr_private_segment_size 0
		.amdhsa_uses_dynamic_stack 0
		.amdhsa_enable_private_segment 0
		.amdhsa_system_sgpr_workgroup_id_x 1
		.amdhsa_system_sgpr_workgroup_id_y 1
		.amdhsa_system_sgpr_workgroup_id_z 1
		.amdhsa_system_sgpr_workgroup_info 0
		.amdhsa_system_vgpr_workitem_id 0
		.amdhsa_next_free_vgpr 74
		.amdhsa_next_free_sgpr 68
		.amdhsa_accum_offset 76
		.amdhsa_reserve_vcc 1
		.amdhsa_float_round_mode_32 0
		.amdhsa_float_round_mode_16_64 0
		.amdhsa_float_denorm_mode_32 3
		.amdhsa_float_denorm_mode_16_64 3
		.amdhsa_dx10_clamp 1
		.amdhsa_ieee_mode 1
		.amdhsa_fp16_overflow 0
		.amdhsa_tg_split 0
		.amdhsa_exception_fp_ieee_invalid_op 0
		.amdhsa_exception_fp_denorm_src 0
		.amdhsa_exception_fp_ieee_div_zero 0
		.amdhsa_exception_fp_ieee_overflow 0
		.amdhsa_exception_fp_ieee_underflow 0
		.amdhsa_exception_fp_ieee_inexact 0
		.amdhsa_exception_int_div_zero 0
	.end_amdhsa_kernel
	.section	.text._ZN4vllm25paged_attention_v2_kernelIthLi128ELi16ELi128ELNS_18Fp8KVCacheDataTypeE1ELb1ELi512EEEvPfS2_PT_PKS3_PKT0_S9_ifPKiSB_iPKfiiiSD_SD_iiiii,"axG",@progbits,_ZN4vllm25paged_attention_v2_kernelIthLi128ELi16ELi128ELNS_18Fp8KVCacheDataTypeE1ELb1ELi512EEEvPfS2_PT_PKS3_PKT0_S9_ifPKiSB_iPKfiiiSD_SD_iiiii,comdat
.Lfunc_end269:
	.size	_ZN4vllm25paged_attention_v2_kernelIthLi128ELi16ELi128ELNS_18Fp8KVCacheDataTypeE1ELb1ELi512EEEvPfS2_PT_PKS3_PKT0_S9_ifPKiSB_iPKfiiiSD_SD_iiiii, .Lfunc_end269-_ZN4vllm25paged_attention_v2_kernelIthLi128ELi16ELi128ELNS_18Fp8KVCacheDataTypeE1ELb1ELi512EEEvPfS2_PT_PKS3_PKT0_S9_ifPKiSB_iPKfiiiSD_SD_iiiii
                                        ; -- End function
	.section	.AMDGPU.csdata,"",@progbits
; Kernel info:
; codeLenInByte = 23896
; NumSgprs: 74
; NumVgprs: 74
; NumAgprs: 0
; TotalNumVgprs: 74
; ScratchSize: 0
; MemoryBound: 0
; FloatMode: 240
; IeeeMode: 1
; LDSByteSize: 272 bytes/workgroup (compile time only)
; SGPRBlocks: 9
; VGPRBlocks: 9
; NumSGPRsForWavesPerEU: 74
; NumVGPRsForWavesPerEU: 74
; AccumOffset: 76
; Occupancy: 6
; WaveLimiterHint : 1
; COMPUTE_PGM_RSRC2:SCRATCH_EN: 0
; COMPUTE_PGM_RSRC2:USER_SGPR: 2
; COMPUTE_PGM_RSRC2:TRAP_HANDLER: 0
; COMPUTE_PGM_RSRC2:TGID_X_EN: 1
; COMPUTE_PGM_RSRC2:TGID_Y_EN: 1
; COMPUTE_PGM_RSRC2:TGID_Z_EN: 1
; COMPUTE_PGM_RSRC2:TIDIG_COMP_CNT: 0
; COMPUTE_PGM_RSRC3_GFX90A:ACCUM_OFFSET: 18
; COMPUTE_PGM_RSRC3_GFX90A:TG_SPLIT: 0
	.text
	.p2align	2                               ; -- Begin function _ZN4vllm22paged_attention_kernelIthLi192ELi16ELi128ELNS_18Fp8KVCacheDataTypeE1ELb1ELi512EEEvPfS2_PT_PKS3_PKT0_S9_ifPKiSB_iPKfiiiSD_SD_iiiii
	.type	_ZN4vllm22paged_attention_kernelIthLi192ELi16ELi128ELNS_18Fp8KVCacheDataTypeE1ELb1ELi512EEEvPfS2_PT_PKS3_PKT0_S9_ifPKiSB_iPKfiiiSD_SD_iiiii,@function
_ZN4vllm22paged_attention_kernelIthLi192ELi16ELi128ELNS_18Fp8KVCacheDataTypeE1ELb1ELi512EEEvPfS2_PT_PKS3_PKT0_S9_ifPKiSB_iPKfiiiSD_SD_iiiii: ; @_ZN4vllm22paged_attention_kernelIthLi192ELi16ELi128ELNS_18Fp8KVCacheDataTypeE1ELb1ELi512EEEvPfS2_PT_PKS3_PKT0_S9_ifPKiSB_iPKfiiiSD_SD_iiiii
; %bb.0:
	s_waitcnt vmcnt(0) expcnt(0) lgkmcnt(0)
	s_or_saveexec_b64 s[0:1], -1
	scratch_store_dword off, v63, s32 offset:192 ; 4-byte Folded Spill
	s_mov_b64 exec, s[0:1]
	scratch_store_dword off, v40, s32 offset:180 ; 4-byte Folded Spill
	scratch_store_dword off, v41, s32 offset:176 ; 4-byte Folded Spill
	;; [unrolled: 1-line block ×44, first 2 shown]
	v_writelane_b32 v63, s34, 0
	v_writelane_b32 v63, s35, 1
	;; [unrolled: 1-line block ×7, first 2 shown]
	s_nop 1
	v_writelane_b32 v63, s31, 7
	s_mov_b32 s20, s13
	s_ashr_i32 s21, s13, 31
	v_accvgpr_write_b32 a4, v26
	v_mov_b32_e32 v35, v3
	v_mov_b32_e32 v34, v2
	v_lshl_add_u64 v[2:3], s[20:21], 2, v[16:17]
	v_accvgpr_write_b32 a5, v27
	v_mov_b32_e32 v27, v1
	v_mov_b32_e32 v26, v0
	scratch_load_dword v0, off, s32 offset:4
	s_nop 0
	flat_load_dword v2, v[2:3]
	s_nop 0
	scratch_load_dword v1, off, s32
	v_accvgpr_write_b32 a33, v25
	v_accvgpr_write_b32 a0, v4
	s_lshl_b32 s21, s14, 9
	v_accvgpr_write_b32 a32, v24
	v_accvgpr_write_b32 a6, v22
	v_mov_b32_e32 v33, v20
	v_mov_b32_e32 v32, v19
	v_accvgpr_write_b32 a34, v13
	v_mov_b32_e32 v25, v11
	v_mov_b32_e32 v24, v10
	v_accvgpr_write_b32 a1, v5
	s_waitcnt vmcnt(0) lgkmcnt(0)
	v_accvgpr_write_b32 a8, v2
	v_cmp_lt_i32_e32 vcc, s21, v2
	s_and_saveexec_b64 s[10:11], vcc
	s_cbranch_execz .LBB270_845
; %bb.1:
	v_sub_u32_e32 v2, 0, v12
	v_max_i32_e32 v2, v12, v2
	v_cvt_f32_u32_e32 v3, v2
	s_load_dword s0, s[8:9], 0x10
	s_load_dword s2, s[8:9], 0x0
	v_sub_u32_e32 v5, 0, v2
	s_mov_b32 s18, s15
	v_rcp_iflag_f32_e32 v3, v3
	s_waitcnt lgkmcnt(0)
	s_lshr_b32 s0, s0, 16
	s_cmp_lg_u32 s0, 0
	s_cselect_b64 s[0:1], -1, 0
	v_mul_f32_e32 v3, 0x4f7ffffe, v3
	v_cvt_u32_f32_e32 v3, v3
	s_cmp_lg_u64 s[0:1], 0
	s_addc_u32 s15, s2, 0
	s_abs_i32 s0, s15
	v_mul_lo_u32 v5, v5, v3
	v_mul_hi_u32 v5, v3, v5
	v_add_u32_e32 v3, v3, v5
	v_mul_hi_u32 v3, s0, v3
	v_mul_lo_u32 v5, v3, v2
	v_sub_u32_e32 v5, s0, v5
	v_add_u32_e32 v10, 1, v3
	v_cmp_ge_u32_e32 vcc, v5, v2
	v_xor_b32_e32 v4, s15, v12
	v_ashrrev_i32_e32 v4, 31, v4
	v_cndmask_b32_e32 v3, v3, v10, vcc
	v_sub_u32_e32 v10, v5, v2
	v_cndmask_b32_e32 v5, v5, v10, vcc
	v_add_u32_e32 v10, 1, v3
	v_cmp_ge_u32_e32 vcc, v5, v2
	s_abs_i32 s2, s12
	s_nop 0
	v_cndmask_b32_e32 v2, v3, v10, vcc
	v_xor_b32_e32 v2, v2, v4
	v_sub_u32_e32 v2, v2, v4
	v_sub_u32_e32 v3, 0, v2
	v_max_i32_e32 v3, v2, v3
	v_cvt_f32_u32_e32 v4, v3
	v_sub_u32_e32 v5, 0, v3
	v_cmp_ne_u64_e32 vcc, 0, v[32:33]
	v_rcp_iflag_f32_e32 v4, v4
	s_nop 0
	v_mul_f32_e32 v4, 0x4f7ffffe, v4
	v_cvt_u32_f32_e32 v4, v4
	v_mul_lo_u32 v5, v5, v4
	v_mul_hi_u32 v5, v4, v5
	v_add_u32_e32 v4, v4, v5
	v_mad_u64_u32 v[16:17], s[0:1], s2, v4, 0
	v_mov_b32_e32 v4, 0
	scratch_store_dword off, v4, s32 offset:188 ; 4-byte Folded Spill
	s_and_saveexec_b64 s[0:1], vcc
	s_cbranch_execz .LBB270_3
; %bb.2:
	s_ashr_i32 s13, s12, 31
	v_lshl_add_u64 v[4:5], s[12:13], 2, v[32:33]
	flat_load_dword v4, v[4:5]
	s_waitcnt vmcnt(0) lgkmcnt(0)
	scratch_store_dword off, v4, s32 offset:188 ; 4-byte Folded Spill
.LBB270_3:
	s_or_b64 exec, exec, s[0:1]
	v_and_b32_e32 v10, 0x3ff, v31
	s_movk_i32 s4, 0x60
	s_ashr_i32 s3, s12, 31
	v_ashrrev_i32_e32 v4, 31, v2
	v_and_b32_e32 v2, 3, v10
	s_mul_i32 s16, s12, 0xc0
	v_accvgpr_write_b32 a2, v10
	v_cmp_gt_u32_e32 vcc, s4, v10
	s_and_saveexec_b64 s[0:1], vcc
	s_cbranch_execz .LBB270_5
; %bb.4:
	v_mul_lo_u32 v10, s20, v21
	v_ashrrev_i32_e32 v11, 31, v10
	v_lshl_add_u64 v[6:7], v[10:11], 1, v[6:7]
	s_ashr_i32 s17, s16, 31
	v_accvgpr_read_b32 v16, a2
	v_lshl_add_u64 v[6:7], s[16:17], 1, v[6:7]
	v_lshlrev_b32_e32 v10, 2, v16
	v_mov_b32_e32 v11, 0
	v_lshl_add_u64 v[6:7], v[6:7], 0, v[10:11]
	flat_load_dword v5, v[6:7]
	v_and_b32_e32 v6, 0x3fc, v16
	v_mad_u32_u24 v6, v2, s4, v6
	s_waitcnt vmcnt(0) lgkmcnt(0)
	ds_write_b32 v6, v5
.LBB270_5:
	s_or_b64 exec, exec, s[0:1]
	v_mul_lo_u32 v5, v17, v3
	v_sub_u32_e32 v5, s2, v5
	v_add_u32_e32 v6, 1, v17
	v_cmp_ge_u32_e32 vcc, v5, v3
	v_sub_u32_e32 v7, v5, v3
	v_xor_b32_e32 v4, s3, v4
	v_cndmask_b32_e32 v6, v17, v6, vcc
	v_cndmask_b32_e32 v5, v5, v7, vcc
	v_add_u32_e32 v7, 1, v6
	v_cmp_ge_u32_e32 vcc, v5, v3
	v_sub_u32_e32 v5, 0, v1
	s_waitcnt lgkmcnt(0)
	v_cndmask_b32_e32 v3, v6, v7, vcc
	v_max_i32_e32 v6, v1, v5
	v_cvt_f32_u32_e32 v5, v6
	v_xor_b32_e32 v3, v3, v4
	v_sub_u32_e32 v16, v3, v4
	v_accvgpr_read_b32 v4, a8
	v_rcp_iflag_f32_e32 v3, v5
	v_accvgpr_write_b32 a3, v6
	v_sub_u32_e32 v6, 0, v6
	v_add_u32_e32 v4, -1, v4
	v_mul_f32_e32 v3, 0x4f7ffffe, v3
	v_cvt_u32_f32_e32 v5, v3
	v_sub_u32_e32 v3, 0, v4
	v_max_i32_e32 v3, v4, v3
	v_cmp_gt_i32_e32 vcc, 0, v0
	v_mul_lo_u32 v6, v6, v5
	v_mul_hi_u32 v6, v5, v6
	v_add_u32_e32 v5, v5, v6
	v_accvgpr_write_b32 a7, v5
	v_mad_u64_u32 v[20:21], s[0:1], v3, v5, 0
	s_barrier
	s_waitcnt lgkmcnt(0)
                                        ; implicit-def: $agpr10
	s_and_saveexec_b64 s[0:1], vcc
	s_xor_b64 s[0:1], exec, s[0:1]
; %bb.6:
	v_mad_u64_u32 v[6:7], s[2:3], v28, v12, v[16:17]
	v_mul_lo_u32 v0, v6, v0
	v_sub_u32_e32 v0, 1, v0
	v_accvgpr_write_b32 a10, v0
                                        ; implicit-def: $vgpr28
                                        ; implicit-def: $vgpr0
; %bb.7:
	s_or_saveexec_b64 s[0:1], s[0:1]
	v_ashrrev_i32_e32 v1, 31, v1
	v_ashrrev_i32_e32 v4, 31, v4
	v_accvgpr_write_b32 a9, v1
	s_xor_b64 exec, exec, s[0:1]
; %bb.8:
	v_mul_lo_u32 v1, s15, v28
	v_add_u32_e32 v1, s12, v1
	v_mad_u64_u32 v[0:1], s[2:3], v1, v0, 1
	v_accvgpr_write_b32 a10, v0
; %bb.9:
	s_or_b64 exec, exec, s[0:1]
	v_accvgpr_read_b32 v5, a3
	v_mul_lo_u32 v1, v21, v5
	v_accvgpr_read_b32 v0, a9
	v_sub_u32_e32 v1, v3, v1
	v_xor_b32_e32 v0, v4, v0
	v_add_u32_e32 v3, 1, v21
	v_cmp_ge_u32_e32 vcc, v1, v5
	v_sub_u32_e32 v4, v1, v5
	s_load_dword s34, s[8:9], 0x14
	s_load_dword s13, s[8:9], 0x8
	v_cndmask_b32_e32 v3, v21, v3, vcc
	v_cndmask_b32_e32 v1, v1, v4, vcc
	v_add_u32_e32 v4, 1, v3
	v_cmp_ge_u32_e32 vcc, v1, v5
	s_lshl_b32 s17, s14, 5
	s_add_i32 s0, s17, 32
	v_cndmask_b32_e32 v1, v3, v4, vcc
	v_xor_b32_e32 v1, v1, v0
	v_accvgpr_read_b32 v4, a8
	v_sub_u32_e32 v0, v1, v0
	v_add_u32_e32 v1, 15, v4
	v_ashrrev_i32_e32 v3, 31, v1
	v_accvgpr_read_b32 v4, a2
	v_lshrrev_b32_e32 v3, 28, v3
	v_lshrrev_b32_e32 v22, 6, v4
	v_add_u32_e32 v1, v1, v3
	v_or_b32_e32 v4, s17, v22
	v_ashrrev_i32_e32 v28, 4, v1
	v_ashrrev_i32_e32 v5, 31, v4
	v_mul_lo_u32 v32, s20, v18
	v_min_i32_e32 v1, s0, v28
	v_sub_u32_e32 v0, v0, v29
	v_mul_lo_u32 v36, v16, v23
	v_accvgpr_write_b32 a13, v5
	v_ashrrev_i32_e32 v33, 31, v32
	v_accvgpr_write_b32 a11, v1
	v_cmp_lt_i32_e64 s[0:1], v4, v1
	v_mov_b32_e32 v1, 0xff7fffff
	v_accvgpr_write_b32 a14, v0
	v_accvgpr_write_b32 a12, v4
	v_ashrrev_i32_e32 v37, 31, v36
	v_sub_u32_e32 v23, 0, v30
	v_mbcnt_lo_u32_b32 v4, -1, 0
	v_lshl_add_u32 v0, v22, 4, s21
	s_mov_b64 s[8:9], exec
	s_and_b64 s[2:3], s[8:9], s[0:1]
	v_accvgpr_write_b32 a15, v0
	s_mov_b64 exec, s[2:3]
	s_cbranch_execz .LBB270_403
; %bb.10:
	v_accvgpr_read_b32 v0, a2
	v_bfe_u32 v5, v0, 2, 4
	v_lshl_add_u64 v[0:1], v[8:9], 0, v[36:37]
	v_lshlrev_b32_e32 v8, 4, v5
	v_mov_b32_e32 v9, 0
	v_lshl_add_u64 v[0:1], v[0:1], 0, v[8:9]
	v_accvgpr_write_b32 a39, v1
	v_accvgpr_write_b32 a38, v0
	scratch_load_dword v1, off, s32 offset:188 ; 4-byte Folded Reload
	v_cmp_eq_u32_e32 vcc, 0, v2
	v_lshlrev_b32_e32 v6, 1, v2
	v_mul_u32_u24_e32 v0, 0x60, v2
	v_max_i32_e32 v2, v30, v23
	v_accvgpr_write_b32 a37, v0
	v_cvt_f32_u32_e32 v0, v2
	v_accvgpr_write_b32 a42, v2
	s_ashr_i32 s19, s18, 31
	s_lshl_b64 s[4:5], s[18:19], 2
	v_rcp_iflag_f32_e32 v0, v0
	s_getpc_b64 s[6:7]
	s_add_u32 s6, s6, llvm.amdgcn.dynlds.offset.table@rel32@lo+4
	s_addc_u32 s7, s7, llvm.amdgcn.dynlds.offset.table@rel32@hi+12
	s_add_u32 s22, s4, s6
	s_addc_u32 s23, s5, s7
	v_mul_f32_e32 v0, 0x4f7ffffe, v0
	v_cvt_u32_f32_e32 v0, v0
	s_load_dword s19, s[22:23], 0x0
	v_mov_b32_e32 v7, v9
	v_accvgpr_write_b32 a24, v34
	v_accvgpr_write_b32 a22, v26
	v_accvgpr_write_b32 a20, v24
	v_accvgpr_write_b32 a30, v36
	v_accvgpr_write_b32 a41, v7
	v_accvgpr_write_b32 a26, v32
	v_accvgpr_write_b32 a17, v15
	v_accvgpr_write_b32 a28, v28
	v_accvgpr_write_b32 a25, v35
	v_accvgpr_write_b32 a23, v27
	v_accvgpr_write_b32 a21, v25
	v_accvgpr_write_b32 a31, v37
	v_accvgpr_write_b32 a18, v30
	v_accvgpr_write_b32 a29, v23
	v_accvgpr_write_b32 a40, v6
	v_accvgpr_write_b32 a27, v33
	v_accvgpr_write_b32 a16, v14
	v_lshl_add_u32 v44, v22, 4, s21
	v_accvgpr_write_b32 a19, v22
	v_accvgpr_write_b32 a36, v5
	s_mov_b64 s[24:25], 0
	s_movk_i32 s35, 0x7f
	s_movk_i32 s36, 0x80
	s_mov_b32 s37, 0x8000
	v_accvgpr_write_b32 a35, v4
	s_waitcnt vmcnt(0)
	v_cmp_neq_f32_e64 s[2:3], 0, v1
	v_sub_u32_e32 v1, 0, v2
	v_mul_lo_u32 v1, v1, v0
	v_mul_hi_u32 v1, v0, v1
	v_accvgpr_read_b32 v2, a12
	v_add_u32_e32 v0, v0, v1
	v_accvgpr_read_b32 v3, a13
	v_accvgpr_write_b32 a44, v0
	v_lshlrev_b64 v[0:1], 2, v[2:3]
	v_lshl_add_u64 v[0:1], v[32:33], 2, v[0:1]
	v_lshl_add_u64 v[0:1], v[14:15], 0, v[0:1]
	v_accvgpr_write_b32 a47, v1
	v_accvgpr_write_b32 a46, v0
	v_lshlrev_b32_e32 v0, 2, v5
	v_lshl_or_b32 v0, v22, 6, v0
	v_accvgpr_write_b32 a43, v0
	v_accvgpr_read_b32 v0, a8
	v_sub_u32_e32 v0, v5, v0
	v_add_u32_e32 v0, 1, v0
	v_accvgpr_write_b32 a45, v0
	v_mbcnt_hi_u32_b32 v0, -1, v4
	v_accvgpr_write_b32 a48, v0
	v_mov_b32_e32 v0, 0xff7fffff
	scratch_store_dword off, v0, s32 offset:184 ; 4-byte Folded Spill
	s_branch .LBB270_13
.LBB270_11:                             ;   in Loop: Header=BB270_13 Depth=1
	s_or_b64 exec, exec, s[26:27]
.LBB270_12:                             ;   in Loop: Header=BB270_13 Depth=1
	s_or_b64 exec, exec, s[6:7]
	s_waitcnt lgkmcnt(0)
	v_accvgpr_read_b32 v0, a46
	v_accvgpr_read_b32 v1, a47
	v_lshl_add_u64 v[0:1], v[0:1], 0, 8
	v_accvgpr_read_b32 v2, a49
	v_accvgpr_write_b32 a47, v1
	v_add_u32_e32 v2, 2, v2
	v_accvgpr_write_b32 a46, v0
	v_accvgpr_read_b32 v0, a11
	v_cmp_ge_i32_e64 s[4:5], v2, v0
	v_accvgpr_read_b32 v0, a43
	v_add_u32_e32 v0, 0x80, v0
	v_add_u32_e32 v44, 32, v44
	s_or_b64 s[24:25], s[4:5], s[24:25]
	v_accvgpr_write_b32 a43, v0
	s_andn2_b64 exec, exec, s[24:25]
	s_cbranch_execz .LBB270_402
.LBB270_13:                             ; =>This Inner Loop Header: Depth=1
	v_ashrrev_i32_e32 v0, 31, v44
	v_accvgpr_read_b32 v1, a9
	v_xor_b32_e32 v0, v0, v1
	v_sub_u32_e32 v1, 0, v44
	v_accvgpr_write_b32 a49, v2
	v_max_i32_e32 v1, v44, v1
	v_accvgpr_read_b32 v2, a7
	v_mul_hi_u32 v2, v1, v2
	v_accvgpr_read_b32 v4, a3
	v_mul_lo_u32 v3, v2, v4
	v_sub_u32_e32 v1, v1, v3
	v_add_u32_e32 v3, 1, v2
	v_cmp_ge_u32_e64 s[4:5], v1, v4
	s_nop 1
	v_cndmask_b32_e64 v2, v2, v3, s[4:5]
	v_sub_u32_e32 v3, v1, v4
	v_cndmask_b32_e64 v1, v1, v3, s[4:5]
	v_add_u32_e32 v3, 1, v2
	v_cmp_ge_u32_e64 s[4:5], v1, v4
	v_accvgpr_read_b32 v4, a44
	s_nop 0
	v_cndmask_b32_e64 v1, v2, v3, s[4:5]
	v_xor_b32_e32 v1, v1, v0
	v_sub_u32_e32 v0, v1, v0
	v_accvgpr_read_b32 v2, a10
	v_add_u32_e32 v1, v0, v2
	v_sub_u32_e32 v3, 0, v1
	v_ashrrev_i32_e32 v2, 31, v1
	v_max_i32_e32 v1, v1, v3
	v_mul_hi_u32 v3, v1, v4
	v_accvgpr_read_b32 v4, a42
	v_mul_lo_u32 v3, v3, v4
	v_sub_u32_e32 v1, v1, v3
	v_sub_u32_e32 v3, v1, v4
	v_cmp_ge_u32_e64 s[4:5], v1, v4
	s_nop 1
	v_cndmask_b32_e64 v1, v1, v3, s[4:5]
	v_sub_u32_e32 v3, v1, v4
	v_cmp_ge_u32_e64 s[4:5], v1, v4
	s_nop 1
	v_cndmask_b32_e64 v1, v1, v3, s[4:5]
	v_xor_b32_e32 v1, v1, v2
	v_sub_u32_e32 v1, v1, v2
	v_cmp_ne_u32_e64 s[4:5], 0, v1
	v_accvgpr_read_b32 v1, a14
	v_cmp_le_i32_e64 s[6:7], v0, v1
	s_and_b64 s[4:5], s[4:5], s[6:7]
	s_and_b64 s[26:27], vcc, s[4:5]
	s_and_saveexec_b64 s[6:7], s[26:27]
	s_cbranch_execz .LBB270_15
; %bb.14:                               ;   in Loop: Header=BB270_13 Depth=1
	v_accvgpr_read_b32 v0, a43
	s_waitcnt lgkmcnt(0)
	v_add_u32_e32 v0, s19, v0
	v_mov_b32_e32 v1, 0xff7fffff
	ds_write_b32 v0, v1
.LBB270_15:                             ;   in Loop: Header=BB270_13 Depth=1
	s_or_b64 exec, exec, s[6:7]
	s_xor_b64 s[4:5], s[4:5], -1
	s_and_saveexec_b64 s[6:7], s[4:5]
	s_cbranch_execz .LBB270_12
; %bb.16:                               ;   in Loop: Header=BB270_13 Depth=1
	v_accvgpr_read_b32 v0, a46
	v_accvgpr_read_b32 v1, a47
	flat_load_dword v0, v[0:1]
	v_accvgpr_read_b32 v4, a38
	v_accvgpr_read_b32 v2, a6
	;; [unrolled: 1-line block ×3, first 2 shown]
                                        ; implicit-def: $sgpr30
	s_waitcnt vmcnt(0) lgkmcnt(0)
	v_mad_i64_i32 v[0:1], s[4:5], v0, v2, v[4:5]
	v_accvgpr_read_b32 v2, a40
	v_accvgpr_read_b32 v3, a41
	v_lshl_add_u64 v[48:49], v[0:1], 0, v[2:3]
	v_accvgpr_read_b32 v2, a32
	flat_load_ushort v0, v[48:49]
	v_accvgpr_read_b32 v3, a33
	flat_load_dword v59, v[2:3]
	s_mov_b64 s[4:5], 0
	s_waitcnt vmcnt(0) lgkmcnt(0)
	v_cmp_gt_i16_sdwa s[26:27], v0, s35 src0_sel:BYTE_0 src1_sel:DWORD
	s_and_saveexec_b64 s[28:29], s[26:27]
	s_xor_b64 s[26:27], exec, s[28:29]
	s_cbranch_execnz .LBB270_214
; %bb.17:                               ;   in Loop: Header=BB270_13 Depth=1
	s_or_saveexec_b64 s[26:27], s[26:27]
	v_mov_b32_e32 v10, s30
	s_xor_b64 exec, exec, s[26:27]
	s_cbranch_execnz .LBB270_217
.LBB270_18:                             ;   in Loop: Header=BB270_13 Depth=1
	s_or_b64 exec, exec, s[26:27]
	v_and_b32_e32 v8, 0xffff, v0
	s_and_saveexec_b64 s[26:27], s[4:5]
	s_cbranch_execz .LBB270_20
.LBB270_19:                             ;   in Loop: Header=BB270_13 Depth=1
	v_and_b32_e32 v2, 7, v8
	v_ffbh_u32_e32 v0, v2
	v_min_u32_e32 v4, 32, v0
	v_subrev_u32_e32 v0, 28, v4
	v_bfe_u32 v3, v8, 3, 4
	v_lshlrev_b64 v[0:1], v0, v[8:9]
	v_sub_u32_e32 v1, 29, v4
	v_cmp_eq_u32_e64 s[4:5], 0, v3
	v_and_b32_e32 v0, 7, v0
	s_nop 0
	v_cndmask_b32_e64 v1, v3, v1, s[4:5]
	v_mov_b32_e32 v3, 0x1c00
	v_cndmask_b32_e64 v0, v2, v0, s[4:5]
	v_lshlrev_b32_e32 v2, 8, v8
	v_lshl_add_u32 v1, v1, 10, v3
	v_and_or_b32 v1, v2, s37, v1
	v_lshl_or_b32 v0, v0, 7, v1
	v_cvt_f32_f16_e32 v10, v0
.LBB270_20:                             ;   in Loop: Header=BB270_13 Depth=1
	s_or_b64 exec, exec, s[26:27]
	v_lshrrev_b16_e32 v8, 8, v8
	v_cmp_lt_i16_e64 s[4:5], s35, v8
	s_mov_b64 s[26:27], 0
                                        ; implicit-def: $sgpr38
	s_and_saveexec_b64 s[28:29], s[4:5]
	s_xor_b64 s[28:29], exec, s[28:29]
	s_cbranch_execnz .LBB270_218
; %bb.21:                               ;   in Loop: Header=BB270_13 Depth=1
	s_or_saveexec_b64 s[28:29], s[28:29]
	v_mov_b32_e32 v11, s38
	s_xor_b64 exec, exec, s[28:29]
	s_cbranch_execnz .LBB270_221
.LBB270_22:                             ;   in Loop: Header=BB270_13 Depth=1
	s_or_b64 exec, exec, s[28:29]
	s_and_saveexec_b64 s[28:29], s[26:27]
	s_cbranch_execz .LBB270_24
.LBB270_23:                             ;   in Loop: Header=BB270_13 Depth=1
	v_and_b32_e32 v2, 7, v8
	v_ffbh_u32_e32 v0, v2
	v_min_u32_e32 v4, 32, v0
	v_subrev_u32_e32 v0, 28, v4
	v_bfe_u32 v3, v8, 3, 4
	v_lshlrev_b64 v[0:1], v0, v[8:9]
	v_sub_u32_e32 v1, 29, v4
	v_cmp_eq_u32_e64 s[4:5], 0, v3
	v_and_b32_e32 v0, 7, v0
	s_nop 0
	v_cndmask_b32_e64 v1, v3, v1, s[4:5]
	v_mov_b32_e32 v3, 0x1c00
	v_cndmask_b32_e64 v0, v2, v0, s[4:5]
	v_lshlrev_b32_e32 v2, 8, v8
	v_lshl_add_u32 v1, v1, 10, v3
	v_and_or_b32 v1, v2, s37, v1
	v_lshl_or_b32 v0, v0, 7, v1
	v_cvt_f32_f16_e32 v11, v0
.LBB270_24:                             ;   in Loop: Header=BB270_13 Depth=1
	s_or_b64 exec, exec, s[28:29]
	flat_load_ushort v0, v[48:49] offset:8
	s_mov_b64 s[4:5], 0
                                        ; implicit-def: $sgpr30
	s_waitcnt vmcnt(0) lgkmcnt(0)
	v_cmp_gt_i16_sdwa s[26:27], v0, s35 src0_sel:BYTE_0 src1_sel:DWORD
	s_and_saveexec_b64 s[28:29], s[26:27]
	s_xor_b64 s[26:27], exec, s[28:29]
	s_cbranch_execnz .LBB270_222
; %bb.25:                               ;   in Loop: Header=BB270_13 Depth=1
	s_or_saveexec_b64 s[26:27], s[26:27]
	v_mov_b32_e32 v20, s30
	s_xor_b64 exec, exec, s[26:27]
	s_cbranch_execnz .LBB270_225
.LBB270_26:                             ;   in Loop: Header=BB270_13 Depth=1
	s_or_b64 exec, exec, s[26:27]
	v_and_b32_e32 v8, 0xffff, v0
	s_and_saveexec_b64 s[26:27], s[4:5]
	s_cbranch_execz .LBB270_28
.LBB270_27:                             ;   in Loop: Header=BB270_13 Depth=1
	v_and_b32_e32 v2, 7, v8
	v_ffbh_u32_e32 v0, v2
	v_min_u32_e32 v4, 32, v0
	v_subrev_u32_e32 v0, 28, v4
	v_bfe_u32 v3, v8, 3, 4
	v_lshlrev_b64 v[0:1], v0, v[8:9]
	v_sub_u32_e32 v1, 29, v4
	v_cmp_eq_u32_e64 s[4:5], 0, v3
	v_and_b32_e32 v0, 7, v0
	s_nop 0
	v_cndmask_b32_e64 v1, v3, v1, s[4:5]
	v_mov_b32_e32 v3, 0x1c00
	v_cndmask_b32_e64 v0, v2, v0, s[4:5]
	v_lshlrev_b32_e32 v2, 8, v8
	v_lshl_add_u32 v1, v1, 10, v3
	v_and_or_b32 v1, v2, s37, v1
	v_lshl_or_b32 v0, v0, 7, v1
	v_cvt_f32_f16_e32 v20, v0
.LBB270_28:                             ;   in Loop: Header=BB270_13 Depth=1
	s_or_b64 exec, exec, s[26:27]
	v_lshrrev_b16_e32 v8, 8, v8
	v_cmp_lt_i16_e64 s[4:5], s35, v8
	s_mov_b64 s[26:27], 0
                                        ; implicit-def: $sgpr38
	s_and_saveexec_b64 s[28:29], s[4:5]
	s_xor_b64 s[28:29], exec, s[28:29]
	s_cbranch_execnz .LBB270_226
; %bb.29:                               ;   in Loop: Header=BB270_13 Depth=1
	s_or_saveexec_b64 s[28:29], s[28:29]
	v_mov_b32_e32 v21, s38
	s_xor_b64 exec, exec, s[28:29]
	s_cbranch_execnz .LBB270_229
.LBB270_30:                             ;   in Loop: Header=BB270_13 Depth=1
	s_or_b64 exec, exec, s[28:29]
	s_and_saveexec_b64 s[28:29], s[26:27]
	s_cbranch_execz .LBB270_32
.LBB270_31:                             ;   in Loop: Header=BB270_13 Depth=1
	v_and_b32_e32 v2, 7, v8
	v_ffbh_u32_e32 v0, v2
	v_min_u32_e32 v4, 32, v0
	v_subrev_u32_e32 v0, 28, v4
	v_bfe_u32 v3, v8, 3, 4
	v_lshlrev_b64 v[0:1], v0, v[8:9]
	v_sub_u32_e32 v1, 29, v4
	v_cmp_eq_u32_e64 s[4:5], 0, v3
	v_and_b32_e32 v0, 7, v0
	s_nop 0
	v_cndmask_b32_e64 v1, v3, v1, s[4:5]
	v_mov_b32_e32 v3, 0x1c00
	v_cndmask_b32_e64 v0, v2, v0, s[4:5]
	v_lshlrev_b32_e32 v2, 8, v8
	v_lshl_add_u32 v1, v1, 10, v3
	v_and_or_b32 v1, v2, s37, v1
	v_lshl_or_b32 v0, v0, 7, v1
	v_cvt_f32_f16_e32 v21, v0
.LBB270_32:                             ;   in Loop: Header=BB270_13 Depth=1
	s_or_b64 exec, exec, s[28:29]
	flat_load_ushort v0, v[48:49] offset:256
	s_mov_b64 s[4:5], 0
                                        ; implicit-def: $sgpr30
	s_waitcnt vmcnt(0) lgkmcnt(0)
	v_cmp_gt_i16_sdwa s[26:27], v0, s35 src0_sel:BYTE_0 src1_sel:DWORD
	s_and_saveexec_b64 s[28:29], s[26:27]
	s_xor_b64 s[26:27], exec, s[28:29]
	s_cbranch_execnz .LBB270_230
; %bb.33:                               ;   in Loop: Header=BB270_13 Depth=1
	s_or_saveexec_b64 s[26:27], s[26:27]
	v_mov_b32_e32 v23, s30
	s_xor_b64 exec, exec, s[26:27]
	s_cbranch_execnz .LBB270_233
.LBB270_34:                             ;   in Loop: Header=BB270_13 Depth=1
	s_or_b64 exec, exec, s[26:27]
	v_and_b32_e32 v8, 0xffff, v0
	s_and_saveexec_b64 s[26:27], s[4:5]
	s_cbranch_execz .LBB270_36
.LBB270_35:                             ;   in Loop: Header=BB270_13 Depth=1
	v_and_b32_e32 v2, 7, v8
	v_ffbh_u32_e32 v0, v2
	v_min_u32_e32 v4, 32, v0
	v_subrev_u32_e32 v0, 28, v4
	v_bfe_u32 v3, v8, 3, 4
	v_lshlrev_b64 v[0:1], v0, v[8:9]
	v_sub_u32_e32 v1, 29, v4
	v_cmp_eq_u32_e64 s[4:5], 0, v3
	v_and_b32_e32 v0, 7, v0
	s_nop 0
	v_cndmask_b32_e64 v1, v3, v1, s[4:5]
	v_mov_b32_e32 v3, 0x1c00
	v_cndmask_b32_e64 v0, v2, v0, s[4:5]
	v_lshlrev_b32_e32 v2, 8, v8
	v_lshl_add_u32 v1, v1, 10, v3
	v_and_or_b32 v1, v2, s37, v1
	v_lshl_or_b32 v0, v0, 7, v1
	v_cvt_f32_f16_e32 v23, v0
.LBB270_36:                             ;   in Loop: Header=BB270_13 Depth=1
	s_or_b64 exec, exec, s[26:27]
	v_lshrrev_b16_e32 v8, 8, v8
	v_cmp_lt_i16_e64 s[4:5], s35, v8
	s_mov_b64 s[26:27], 0
                                        ; implicit-def: $sgpr38
	s_and_saveexec_b64 s[28:29], s[4:5]
	s_xor_b64 s[28:29], exec, s[28:29]
	s_cbranch_execnz .LBB270_234
; %bb.37:                               ;   in Loop: Header=BB270_13 Depth=1
	s_or_saveexec_b64 s[28:29], s[28:29]
	v_mov_b32_e32 v28, s38
	s_xor_b64 exec, exec, s[28:29]
	s_cbranch_execnz .LBB270_237
.LBB270_38:                             ;   in Loop: Header=BB270_13 Depth=1
	s_or_b64 exec, exec, s[28:29]
	s_and_saveexec_b64 s[28:29], s[26:27]
	s_cbranch_execz .LBB270_40
.LBB270_39:                             ;   in Loop: Header=BB270_13 Depth=1
	v_and_b32_e32 v2, 7, v8
	v_ffbh_u32_e32 v0, v2
	v_min_u32_e32 v4, 32, v0
	v_subrev_u32_e32 v0, 28, v4
	v_bfe_u32 v3, v8, 3, 4
	v_lshlrev_b64 v[0:1], v0, v[8:9]
	v_sub_u32_e32 v1, 29, v4
	v_cmp_eq_u32_e64 s[4:5], 0, v3
	v_and_b32_e32 v0, 7, v0
	s_nop 0
	v_cndmask_b32_e64 v1, v3, v1, s[4:5]
	v_mov_b32_e32 v3, 0x1c00
	v_cndmask_b32_e64 v0, v2, v0, s[4:5]
	v_lshlrev_b32_e32 v2, 8, v8
	v_lshl_add_u32 v1, v1, 10, v3
	v_and_or_b32 v1, v2, s37, v1
	v_lshl_or_b32 v0, v0, 7, v1
	v_cvt_f32_f16_e32 v28, v0
.LBB270_40:                             ;   in Loop: Header=BB270_13 Depth=1
	s_or_b64 exec, exec, s[28:29]
	flat_load_ushort v0, v[48:49] offset:264
	s_mov_b64 s[4:5], 0
                                        ; implicit-def: $sgpr30
	s_waitcnt vmcnt(0) lgkmcnt(0)
	v_cmp_gt_i16_sdwa s[26:27], v0, s35 src0_sel:BYTE_0 src1_sel:DWORD
	s_and_saveexec_b64 s[28:29], s[26:27]
	s_xor_b64 s[26:27], exec, s[28:29]
	s_cbranch_execnz .LBB270_238
; %bb.41:                               ;   in Loop: Header=BB270_13 Depth=1
	s_or_saveexec_b64 s[26:27], s[26:27]
	v_mov_b32_e32 v29, s30
	s_xor_b64 exec, exec, s[26:27]
	s_cbranch_execnz .LBB270_241
.LBB270_42:                             ;   in Loop: Header=BB270_13 Depth=1
	s_or_b64 exec, exec, s[26:27]
	v_and_b32_e32 v8, 0xffff, v0
	s_and_saveexec_b64 s[26:27], s[4:5]
	s_cbranch_execz .LBB270_44
.LBB270_43:                             ;   in Loop: Header=BB270_13 Depth=1
	v_and_b32_e32 v2, 7, v8
	v_ffbh_u32_e32 v0, v2
	v_min_u32_e32 v4, 32, v0
	v_subrev_u32_e32 v0, 28, v4
	v_bfe_u32 v3, v8, 3, 4
	v_lshlrev_b64 v[0:1], v0, v[8:9]
	v_sub_u32_e32 v1, 29, v4
	v_cmp_eq_u32_e64 s[4:5], 0, v3
	v_and_b32_e32 v0, 7, v0
	s_nop 0
	v_cndmask_b32_e64 v1, v3, v1, s[4:5]
	v_mov_b32_e32 v3, 0x1c00
	v_cndmask_b32_e64 v0, v2, v0, s[4:5]
	v_lshlrev_b32_e32 v2, 8, v8
	v_lshl_add_u32 v1, v1, 10, v3
	v_and_or_b32 v1, v2, s37, v1
	v_lshl_or_b32 v0, v0, 7, v1
	v_cvt_f32_f16_e32 v29, v0
.LBB270_44:                             ;   in Loop: Header=BB270_13 Depth=1
	s_or_b64 exec, exec, s[26:27]
	v_lshrrev_b16_e32 v8, 8, v8
	v_cmp_lt_i16_e64 s[4:5], s35, v8
	s_mov_b64 s[26:27], 0
                                        ; implicit-def: $sgpr38
	s_and_saveexec_b64 s[28:29], s[4:5]
	s_xor_b64 s[28:29], exec, s[28:29]
	s_cbranch_execnz .LBB270_242
; %bb.45:                               ;   in Loop: Header=BB270_13 Depth=1
	s_or_saveexec_b64 s[28:29], s[28:29]
	v_mov_b32_e32 v34, s38
	s_xor_b64 exec, exec, s[28:29]
	s_cbranch_execnz .LBB270_245
.LBB270_46:                             ;   in Loop: Header=BB270_13 Depth=1
	s_or_b64 exec, exec, s[28:29]
	s_and_saveexec_b64 s[28:29], s[26:27]
	s_cbranch_execz .LBB270_48
.LBB270_47:                             ;   in Loop: Header=BB270_13 Depth=1
	v_and_b32_e32 v2, 7, v8
	v_ffbh_u32_e32 v0, v2
	v_min_u32_e32 v4, 32, v0
	v_subrev_u32_e32 v0, 28, v4
	v_bfe_u32 v3, v8, 3, 4
	v_lshlrev_b64 v[0:1], v0, v[8:9]
	v_sub_u32_e32 v1, 29, v4
	v_cmp_eq_u32_e64 s[4:5], 0, v3
	v_and_b32_e32 v0, 7, v0
	s_nop 0
	v_cndmask_b32_e64 v1, v3, v1, s[4:5]
	v_mov_b32_e32 v3, 0x1c00
	v_cndmask_b32_e64 v0, v2, v0, s[4:5]
	v_lshlrev_b32_e32 v2, 8, v8
	v_lshl_add_u32 v1, v1, 10, v3
	v_and_or_b32 v1, v2, s37, v1
	v_lshl_or_b32 v0, v0, 7, v1
	v_cvt_f32_f16_e32 v34, v0
.LBB270_48:                             ;   in Loop: Header=BB270_13 Depth=1
	s_or_b64 exec, exec, s[28:29]
	flat_load_ushort v0, v[48:49] offset:512
	s_mov_b64 s[4:5], 0
                                        ; implicit-def: $sgpr30
	s_waitcnt vmcnt(0) lgkmcnt(0)
	v_cmp_gt_i16_sdwa s[26:27], v0, s35 src0_sel:BYTE_0 src1_sel:DWORD
	s_and_saveexec_b64 s[28:29], s[26:27]
	s_xor_b64 s[26:27], exec, s[28:29]
	s_cbranch_execnz .LBB270_246
; %bb.49:                               ;   in Loop: Header=BB270_13 Depth=1
	s_or_saveexec_b64 s[26:27], s[26:27]
	v_mov_b32_e32 v35, s30
	s_xor_b64 exec, exec, s[26:27]
	s_cbranch_execnz .LBB270_249
.LBB270_50:                             ;   in Loop: Header=BB270_13 Depth=1
	s_or_b64 exec, exec, s[26:27]
	v_and_b32_e32 v8, 0xffff, v0
	s_and_saveexec_b64 s[26:27], s[4:5]
	s_cbranch_execz .LBB270_52
.LBB270_51:                             ;   in Loop: Header=BB270_13 Depth=1
	v_and_b32_e32 v2, 7, v8
	v_ffbh_u32_e32 v0, v2
	v_min_u32_e32 v4, 32, v0
	v_subrev_u32_e32 v0, 28, v4
	v_bfe_u32 v3, v8, 3, 4
	v_lshlrev_b64 v[0:1], v0, v[8:9]
	v_sub_u32_e32 v1, 29, v4
	v_cmp_eq_u32_e64 s[4:5], 0, v3
	v_and_b32_e32 v0, 7, v0
	s_nop 0
	v_cndmask_b32_e64 v1, v3, v1, s[4:5]
	v_mov_b32_e32 v3, 0x1c00
	v_cndmask_b32_e64 v0, v2, v0, s[4:5]
	v_lshlrev_b32_e32 v2, 8, v8
	v_lshl_add_u32 v1, v1, 10, v3
	v_and_or_b32 v1, v2, s37, v1
	v_lshl_or_b32 v0, v0, 7, v1
	v_cvt_f32_f16_e32 v35, v0
.LBB270_52:                             ;   in Loop: Header=BB270_13 Depth=1
	s_or_b64 exec, exec, s[26:27]
	v_lshrrev_b16_e32 v8, 8, v8
	v_cmp_lt_i16_e64 s[4:5], s35, v8
	s_mov_b64 s[26:27], 0
                                        ; implicit-def: $sgpr38
	s_and_saveexec_b64 s[28:29], s[4:5]
	s_xor_b64 s[28:29], exec, s[28:29]
	s_cbranch_execnz .LBB270_250
; %bb.53:                               ;   in Loop: Header=BB270_13 Depth=1
	s_or_saveexec_b64 s[28:29], s[28:29]
	v_mov_b32_e32 v31, s38
	s_xor_b64 exec, exec, s[28:29]
	s_cbranch_execnz .LBB270_253
.LBB270_54:                             ;   in Loop: Header=BB270_13 Depth=1
	s_or_b64 exec, exec, s[28:29]
	s_and_saveexec_b64 s[28:29], s[26:27]
	s_cbranch_execz .LBB270_56
.LBB270_55:                             ;   in Loop: Header=BB270_13 Depth=1
	v_and_b32_e32 v2, 7, v8
	v_ffbh_u32_e32 v0, v2
	v_min_u32_e32 v4, 32, v0
	v_subrev_u32_e32 v0, 28, v4
	v_bfe_u32 v3, v8, 3, 4
	v_lshlrev_b64 v[0:1], v0, v[8:9]
	v_sub_u32_e32 v1, 29, v4
	v_cmp_eq_u32_e64 s[4:5], 0, v3
	v_and_b32_e32 v0, 7, v0
	s_nop 0
	v_cndmask_b32_e64 v1, v3, v1, s[4:5]
	v_mov_b32_e32 v3, 0x1c00
	v_cndmask_b32_e64 v0, v2, v0, s[4:5]
	v_lshlrev_b32_e32 v2, 8, v8
	v_lshl_add_u32 v1, v1, 10, v3
	v_and_or_b32 v1, v2, s37, v1
	v_lshl_or_b32 v0, v0, 7, v1
	v_cvt_f32_f16_e32 v31, v0
.LBB270_56:                             ;   in Loop: Header=BB270_13 Depth=1
	s_or_b64 exec, exec, s[28:29]
	flat_load_ushort v0, v[48:49] offset:520
	s_mov_b64 s[4:5], 0
                                        ; implicit-def: $sgpr30
	s_waitcnt vmcnt(0) lgkmcnt(0)
	v_cmp_gt_i16_sdwa s[26:27], v0, s35 src0_sel:BYTE_0 src1_sel:DWORD
	s_and_saveexec_b64 s[28:29], s[26:27]
	s_xor_b64 s[26:27], exec, s[28:29]
	s_cbranch_execnz .LBB270_254
; %bb.57:                               ;   in Loop: Header=BB270_13 Depth=1
	s_or_saveexec_b64 s[26:27], s[26:27]
	v_mov_b32_e32 v40, s30
	s_xor_b64 exec, exec, s[26:27]
	s_cbranch_execnz .LBB270_257
.LBB270_58:                             ;   in Loop: Header=BB270_13 Depth=1
	s_or_b64 exec, exec, s[26:27]
	v_and_b32_e32 v8, 0xffff, v0
	s_and_saveexec_b64 s[26:27], s[4:5]
	s_cbranch_execz .LBB270_60
.LBB270_59:                             ;   in Loop: Header=BB270_13 Depth=1
	v_and_b32_e32 v2, 7, v8
	v_ffbh_u32_e32 v0, v2
	v_min_u32_e32 v4, 32, v0
	v_subrev_u32_e32 v0, 28, v4
	v_bfe_u32 v3, v8, 3, 4
	v_lshlrev_b64 v[0:1], v0, v[8:9]
	v_sub_u32_e32 v1, 29, v4
	v_cmp_eq_u32_e64 s[4:5], 0, v3
	v_and_b32_e32 v0, 7, v0
	s_nop 0
	v_cndmask_b32_e64 v1, v3, v1, s[4:5]
	v_mov_b32_e32 v3, 0x1c00
	v_cndmask_b32_e64 v0, v2, v0, s[4:5]
	v_lshlrev_b32_e32 v2, 8, v8
	v_lshl_add_u32 v1, v1, 10, v3
	v_and_or_b32 v1, v2, s37, v1
	v_lshl_or_b32 v0, v0, 7, v1
	v_cvt_f32_f16_e32 v40, v0
.LBB270_60:                             ;   in Loop: Header=BB270_13 Depth=1
	s_or_b64 exec, exec, s[26:27]
	v_lshrrev_b16_e32 v8, 8, v8
	v_cmp_lt_i16_e64 s[4:5], s35, v8
	s_mov_b64 s[26:27], 0
                                        ; implicit-def: $sgpr38
	s_and_saveexec_b64 s[28:29], s[4:5]
	s_xor_b64 s[28:29], exec, s[28:29]
	s_cbranch_execnz .LBB270_258
; %bb.61:                               ;   in Loop: Header=BB270_13 Depth=1
	s_or_saveexec_b64 s[28:29], s[28:29]
	v_mov_b32_e32 v5, s38
	s_xor_b64 exec, exec, s[28:29]
	s_cbranch_execnz .LBB270_261
.LBB270_62:                             ;   in Loop: Header=BB270_13 Depth=1
	s_or_b64 exec, exec, s[28:29]
	s_and_saveexec_b64 s[28:29], s[26:27]
	s_cbranch_execz .LBB270_64
.LBB270_63:                             ;   in Loop: Header=BB270_13 Depth=1
	v_and_b32_e32 v2, 7, v8
	v_ffbh_u32_e32 v0, v2
	v_min_u32_e32 v4, 32, v0
	v_subrev_u32_e32 v0, 28, v4
	v_bfe_u32 v3, v8, 3, 4
	v_lshlrev_b64 v[0:1], v0, v[8:9]
	v_sub_u32_e32 v1, 29, v4
	v_cmp_eq_u32_e64 s[4:5], 0, v3
	v_and_b32_e32 v0, 7, v0
	s_nop 0
	v_cndmask_b32_e64 v1, v3, v1, s[4:5]
	v_mov_b32_e32 v3, 0x1c00
	v_cndmask_b32_e64 v0, v2, v0, s[4:5]
	v_lshlrev_b32_e32 v2, 8, v8
	v_lshl_add_u32 v1, v1, 10, v3
	v_and_or_b32 v1, v2, s37, v1
	v_lshl_or_b32 v0, v0, 7, v1
	v_cvt_f32_f16_e32 v5, v0
.LBB270_64:                             ;   in Loop: Header=BB270_13 Depth=1
	s_or_b64 exec, exec, s[28:29]
	flat_load_ushort v0, v[48:49] offset:768
	s_mov_b64 s[4:5], 0
                                        ; implicit-def: $sgpr30
	s_waitcnt vmcnt(0) lgkmcnt(0)
	v_cmp_gt_i16_sdwa s[26:27], v0, s35 src0_sel:BYTE_0 src1_sel:DWORD
	s_and_saveexec_b64 s[28:29], s[26:27]
	s_xor_b64 s[26:27], exec, s[28:29]
	s_cbranch_execnz .LBB270_262
; %bb.65:                               ;   in Loop: Header=BB270_13 Depth=1
	s_or_saveexec_b64 s[26:27], s[26:27]
	v_mov_b32_e32 v4, s30
	s_xor_b64 exec, exec, s[26:27]
	s_cbranch_execnz .LBB270_265
.LBB270_66:                             ;   in Loop: Header=BB270_13 Depth=1
	s_or_b64 exec, exec, s[26:27]
	v_and_b32_e32 v8, 0xffff, v0
	s_and_saveexec_b64 s[26:27], s[4:5]
	s_cbranch_execz .LBB270_68
.LBB270_67:                             ;   in Loop: Header=BB270_13 Depth=1
	v_and_b32_e32 v2, 7, v8
	v_ffbh_u32_e32 v0, v2
	v_min_u32_e32 v4, 32, v0
	v_subrev_u32_e32 v0, 28, v4
	v_bfe_u32 v3, v8, 3, 4
	v_lshlrev_b64 v[0:1], v0, v[8:9]
	v_sub_u32_e32 v1, 29, v4
	v_cmp_eq_u32_e64 s[4:5], 0, v3
	v_and_b32_e32 v0, 7, v0
	s_nop 0
	v_cndmask_b32_e64 v1, v3, v1, s[4:5]
	v_mov_b32_e32 v3, 0x1c00
	v_cndmask_b32_e64 v0, v2, v0, s[4:5]
	v_lshlrev_b32_e32 v2, 8, v8
	v_lshl_add_u32 v1, v1, 10, v3
	v_and_or_b32 v1, v2, s37, v1
	v_lshl_or_b32 v0, v0, 7, v1
	v_cvt_f32_f16_e32 v4, v0
.LBB270_68:                             ;   in Loop: Header=BB270_13 Depth=1
	s_or_b64 exec, exec, s[26:27]
	v_lshrrev_b16_e32 v8, 8, v8
	v_cmp_lt_i16_e64 s[4:5], s35, v8
	s_mov_b64 s[26:27], 0
                                        ; implicit-def: $sgpr38
	s_and_saveexec_b64 s[28:29], s[4:5]
	s_xor_b64 s[28:29], exec, s[28:29]
	s_cbranch_execnz .LBB270_266
; %bb.69:                               ;   in Loop: Header=BB270_13 Depth=1
	s_or_saveexec_b64 s[28:29], s[28:29]
	v_mov_b32_e32 v38, s38
	s_xor_b64 exec, exec, s[28:29]
	s_cbranch_execnz .LBB270_269
.LBB270_70:                             ;   in Loop: Header=BB270_13 Depth=1
	s_or_b64 exec, exec, s[28:29]
	s_and_saveexec_b64 s[28:29], s[26:27]
	s_cbranch_execz .LBB270_72
.LBB270_71:                             ;   in Loop: Header=BB270_13 Depth=1
	v_and_b32_e32 v2, 7, v8
	v_ffbh_u32_e32 v0, v2
	v_min_u32_e32 v6, 32, v0
	v_subrev_u32_e32 v0, 28, v6
	v_bfe_u32 v3, v8, 3, 4
	v_lshlrev_b64 v[0:1], v0, v[8:9]
	v_sub_u32_e32 v1, 29, v6
	v_cmp_eq_u32_e64 s[4:5], 0, v3
	v_and_b32_e32 v0, 7, v0
	s_nop 0
	v_cndmask_b32_e64 v1, v3, v1, s[4:5]
	v_mov_b32_e32 v3, 0x1c00
	v_cndmask_b32_e64 v0, v2, v0, s[4:5]
	v_lshlrev_b32_e32 v2, 8, v8
	v_lshl_add_u32 v1, v1, 10, v3
	v_and_or_b32 v1, v2, s37, v1
	v_lshl_or_b32 v0, v0, 7, v1
	v_cvt_f32_f16_e32 v38, v0
.LBB270_72:                             ;   in Loop: Header=BB270_13 Depth=1
	s_or_b64 exec, exec, s[28:29]
	flat_load_ushort v0, v[48:49] offset:776
	s_mov_b64 s[4:5], 0
                                        ; implicit-def: $sgpr30
	s_waitcnt vmcnt(0) lgkmcnt(0)
	v_cmp_gt_i16_sdwa s[26:27], v0, s35 src0_sel:BYTE_0 src1_sel:DWORD
	s_and_saveexec_b64 s[28:29], s[26:27]
	s_xor_b64 s[26:27], exec, s[28:29]
	s_cbranch_execnz .LBB270_270
; %bb.73:                               ;   in Loop: Header=BB270_13 Depth=1
	s_or_saveexec_b64 s[26:27], s[26:27]
	v_mov_b32_e32 v50, s30
	s_xor_b64 exec, exec, s[26:27]
	s_cbranch_execnz .LBB270_273
.LBB270_74:                             ;   in Loop: Header=BB270_13 Depth=1
	s_or_b64 exec, exec, s[26:27]
	v_and_b32_e32 v8, 0xffff, v0
	s_and_saveexec_b64 s[26:27], s[4:5]
	s_cbranch_execz .LBB270_76
.LBB270_75:                             ;   in Loop: Header=BB270_13 Depth=1
	v_and_b32_e32 v2, 7, v8
	v_ffbh_u32_e32 v0, v2
	v_min_u32_e32 v6, 32, v0
	v_subrev_u32_e32 v0, 28, v6
	v_bfe_u32 v3, v8, 3, 4
	v_lshlrev_b64 v[0:1], v0, v[8:9]
	v_sub_u32_e32 v1, 29, v6
	v_cmp_eq_u32_e64 s[4:5], 0, v3
	v_and_b32_e32 v0, 7, v0
	s_nop 0
	v_cndmask_b32_e64 v1, v3, v1, s[4:5]
	v_mov_b32_e32 v3, 0x1c00
	v_cndmask_b32_e64 v0, v2, v0, s[4:5]
	v_lshlrev_b32_e32 v2, 8, v8
	v_lshl_add_u32 v1, v1, 10, v3
	v_and_or_b32 v1, v2, s37, v1
	v_lshl_or_b32 v0, v0, 7, v1
	v_cvt_f32_f16_e32 v50, v0
.LBB270_76:                             ;   in Loop: Header=BB270_13 Depth=1
	s_or_b64 exec, exec, s[26:27]
	v_lshrrev_b16_e32 v8, 8, v8
	v_cmp_lt_i16_e64 s[4:5], s35, v8
	s_mov_b64 s[26:27], 0
                                        ; implicit-def: $sgpr38
	s_and_saveexec_b64 s[28:29], s[4:5]
	s_xor_b64 s[28:29], exec, s[28:29]
	s_cbranch_execnz .LBB270_274
; %bb.77:                               ;   in Loop: Header=BB270_13 Depth=1
	s_or_saveexec_b64 s[28:29], s[28:29]
	v_mov_b32_e32 v51, s38
	s_xor_b64 exec, exec, s[28:29]
	s_cbranch_execnz .LBB270_277
.LBB270_78:                             ;   in Loop: Header=BB270_13 Depth=1
	s_or_b64 exec, exec, s[28:29]
	s_and_saveexec_b64 s[28:29], s[26:27]
	s_cbranch_execz .LBB270_80
.LBB270_79:                             ;   in Loop: Header=BB270_13 Depth=1
	v_and_b32_e32 v2, 7, v8
	v_ffbh_u32_e32 v0, v2
	v_min_u32_e32 v6, 32, v0
	v_subrev_u32_e32 v0, 28, v6
	v_bfe_u32 v3, v8, 3, 4
	v_lshlrev_b64 v[0:1], v0, v[8:9]
	v_sub_u32_e32 v1, 29, v6
	v_cmp_eq_u32_e64 s[4:5], 0, v3
	v_and_b32_e32 v0, 7, v0
	s_nop 0
	v_cndmask_b32_e64 v1, v3, v1, s[4:5]
	v_mov_b32_e32 v3, 0x1c00
	v_cndmask_b32_e64 v0, v2, v0, s[4:5]
	v_lshlrev_b32_e32 v2, 8, v8
	v_lshl_add_u32 v1, v1, 10, v3
	v_and_or_b32 v1, v2, s37, v1
	v_lshl_or_b32 v0, v0, 7, v1
	v_cvt_f32_f16_e32 v51, v0
.LBB270_80:                             ;   in Loop: Header=BB270_13 Depth=1
	s_or_b64 exec, exec, s[28:29]
	flat_load_ushort v0, v[48:49] offset:1024
	s_mov_b64 s[4:5], 0
                                        ; implicit-def: $sgpr30
	s_waitcnt vmcnt(0) lgkmcnt(0)
	v_cmp_gt_i16_sdwa s[26:27], v0, s35 src0_sel:BYTE_0 src1_sel:DWORD
	s_and_saveexec_b64 s[28:29], s[26:27]
	s_xor_b64 s[26:27], exec, s[28:29]
	s_cbranch_execnz .LBB270_278
; %bb.81:                               ;   in Loop: Header=BB270_13 Depth=1
	s_or_saveexec_b64 s[26:27], s[26:27]
	v_mov_b32_e32 v41, s30
	s_xor_b64 exec, exec, s[26:27]
	s_cbranch_execnz .LBB270_281
.LBB270_82:                             ;   in Loop: Header=BB270_13 Depth=1
	s_or_b64 exec, exec, s[26:27]
	v_and_b32_e32 v8, 0xffff, v0
	s_and_saveexec_b64 s[26:27], s[4:5]
	s_cbranch_execz .LBB270_84
.LBB270_83:                             ;   in Loop: Header=BB270_13 Depth=1
	v_and_b32_e32 v2, 7, v8
	v_ffbh_u32_e32 v0, v2
	v_min_u32_e32 v6, 32, v0
	v_subrev_u32_e32 v0, 28, v6
	v_bfe_u32 v3, v8, 3, 4
	v_lshlrev_b64 v[0:1], v0, v[8:9]
	v_sub_u32_e32 v1, 29, v6
	v_cmp_eq_u32_e64 s[4:5], 0, v3
	v_and_b32_e32 v0, 7, v0
	s_nop 0
	v_cndmask_b32_e64 v1, v3, v1, s[4:5]
	v_mov_b32_e32 v3, 0x1c00
	v_cndmask_b32_e64 v0, v2, v0, s[4:5]
	v_lshlrev_b32_e32 v2, 8, v8
	v_lshl_add_u32 v1, v1, 10, v3
	v_and_or_b32 v1, v2, s37, v1
	v_lshl_or_b32 v0, v0, 7, v1
	v_cvt_f32_f16_e32 v41, v0
.LBB270_84:                             ;   in Loop: Header=BB270_13 Depth=1
	s_or_b64 exec, exec, s[26:27]
	v_lshrrev_b16_e32 v8, 8, v8
	v_cmp_lt_i16_e64 s[4:5], s35, v8
	s_mov_b64 s[26:27], 0
                                        ; implicit-def: $sgpr38
	s_and_saveexec_b64 s[28:29], s[4:5]
	s_xor_b64 s[28:29], exec, s[28:29]
	s_cbranch_execnz .LBB270_282
; %bb.85:                               ;   in Loop: Header=BB270_13 Depth=1
	s_or_saveexec_b64 s[28:29], s[28:29]
	v_mov_b32_e32 v45, s38
	s_xor_b64 exec, exec, s[28:29]
	s_cbranch_execnz .LBB270_285
.LBB270_86:                             ;   in Loop: Header=BB270_13 Depth=1
	s_or_b64 exec, exec, s[28:29]
	s_and_saveexec_b64 s[28:29], s[26:27]
	s_cbranch_execz .LBB270_88
.LBB270_87:                             ;   in Loop: Header=BB270_13 Depth=1
	v_and_b32_e32 v2, 7, v8
	v_ffbh_u32_e32 v0, v2
	v_min_u32_e32 v6, 32, v0
	v_subrev_u32_e32 v0, 28, v6
	v_bfe_u32 v3, v8, 3, 4
	v_lshlrev_b64 v[0:1], v0, v[8:9]
	v_sub_u32_e32 v1, 29, v6
	v_cmp_eq_u32_e64 s[4:5], 0, v3
	v_and_b32_e32 v0, 7, v0
	s_nop 0
	v_cndmask_b32_e64 v1, v3, v1, s[4:5]
	v_mov_b32_e32 v3, 0x1c00
	v_cndmask_b32_e64 v0, v2, v0, s[4:5]
	v_lshlrev_b32_e32 v2, 8, v8
	v_lshl_add_u32 v1, v1, 10, v3
	v_and_or_b32 v1, v2, s37, v1
	v_lshl_or_b32 v0, v0, 7, v1
	v_cvt_f32_f16_e32 v45, v0
.LBB270_88:                             ;   in Loop: Header=BB270_13 Depth=1
	s_or_b64 exec, exec, s[28:29]
	flat_load_ushort v0, v[48:49] offset:1032
	s_mov_b64 s[4:5], 0
                                        ; implicit-def: $sgpr30
	s_waitcnt vmcnt(0) lgkmcnt(0)
	v_cmp_gt_i16_sdwa s[26:27], v0, s35 src0_sel:BYTE_0 src1_sel:DWORD
	s_and_saveexec_b64 s[28:29], s[26:27]
	s_xor_b64 s[26:27], exec, s[28:29]
	s_cbranch_execnz .LBB270_286
; %bb.89:                               ;   in Loop: Header=BB270_13 Depth=1
	s_or_saveexec_b64 s[26:27], s[26:27]
	v_mov_b32_e32 v56, s30
	s_xor_b64 exec, exec, s[26:27]
	s_cbranch_execnz .LBB270_289
.LBB270_90:                             ;   in Loop: Header=BB270_13 Depth=1
	s_or_b64 exec, exec, s[26:27]
	v_and_b32_e32 v8, 0xffff, v0
	s_and_saveexec_b64 s[26:27], s[4:5]
	s_cbranch_execz .LBB270_92
.LBB270_91:                             ;   in Loop: Header=BB270_13 Depth=1
	v_and_b32_e32 v2, 7, v8
	v_ffbh_u32_e32 v0, v2
	v_min_u32_e32 v6, 32, v0
	v_subrev_u32_e32 v0, 28, v6
	v_bfe_u32 v3, v8, 3, 4
	v_lshlrev_b64 v[0:1], v0, v[8:9]
	v_sub_u32_e32 v1, 29, v6
	v_cmp_eq_u32_e64 s[4:5], 0, v3
	v_and_b32_e32 v0, 7, v0
	s_nop 0
	v_cndmask_b32_e64 v1, v3, v1, s[4:5]
	v_mov_b32_e32 v3, 0x1c00
	v_cndmask_b32_e64 v0, v2, v0, s[4:5]
	v_lshlrev_b32_e32 v2, 8, v8
	v_lshl_add_u32 v1, v1, 10, v3
	v_and_or_b32 v1, v2, s37, v1
	v_lshl_or_b32 v0, v0, 7, v1
	v_cvt_f32_f16_e32 v56, v0
.LBB270_92:                             ;   in Loop: Header=BB270_13 Depth=1
	s_or_b64 exec, exec, s[26:27]
	v_lshrrev_b16_e32 v8, 8, v8
	v_cmp_lt_i16_e64 s[4:5], s35, v8
	s_mov_b64 s[26:27], 0
                                        ; implicit-def: $sgpr38
	s_and_saveexec_b64 s[28:29], s[4:5]
	s_xor_b64 s[28:29], exec, s[28:29]
	s_cbranch_execnz .LBB270_290
; %bb.93:                               ;   in Loop: Header=BB270_13 Depth=1
	s_or_saveexec_b64 s[28:29], s[28:29]
	v_mov_b32_e32 v58, s38
	s_xor_b64 exec, exec, s[28:29]
	s_cbranch_execnz .LBB270_293
.LBB270_94:                             ;   in Loop: Header=BB270_13 Depth=1
	s_or_b64 exec, exec, s[28:29]
	s_and_saveexec_b64 s[28:29], s[26:27]
	s_cbranch_execz .LBB270_96
.LBB270_95:                             ;   in Loop: Header=BB270_13 Depth=1
	v_and_b32_e32 v2, 7, v8
	v_ffbh_u32_e32 v0, v2
	v_min_u32_e32 v6, 32, v0
	v_subrev_u32_e32 v0, 28, v6
	v_bfe_u32 v3, v8, 3, 4
	v_lshlrev_b64 v[0:1], v0, v[8:9]
	v_sub_u32_e32 v1, 29, v6
	v_cmp_eq_u32_e64 s[4:5], 0, v3
	v_and_b32_e32 v0, 7, v0
	s_nop 0
	v_cndmask_b32_e64 v1, v3, v1, s[4:5]
	v_mov_b32_e32 v3, 0x1c00
	v_cndmask_b32_e64 v0, v2, v0, s[4:5]
	v_lshlrev_b32_e32 v2, 8, v8
	v_lshl_add_u32 v1, v1, 10, v3
	v_and_or_b32 v1, v2, s37, v1
	v_lshl_or_b32 v0, v0, 7, v1
	v_cvt_f32_f16_e32 v58, v0
.LBB270_96:                             ;   in Loop: Header=BB270_13 Depth=1
	s_or_b64 exec, exec, s[28:29]
	flat_load_ushort v0, v[48:49] offset:1280
	s_mov_b64 s[4:5], 0
                                        ; implicit-def: $sgpr30
	s_waitcnt vmcnt(0) lgkmcnt(0)
	v_cmp_gt_i16_sdwa s[26:27], v0, s35 src0_sel:BYTE_0 src1_sel:DWORD
	s_and_saveexec_b64 s[28:29], s[26:27]
	s_xor_b64 s[26:27], exec, s[28:29]
	s_cbranch_execnz .LBB270_294
; %bb.97:                               ;   in Loop: Header=BB270_13 Depth=1
	s_or_saveexec_b64 s[26:27], s[26:27]
	v_mov_b32_e32 v1, s30
	s_xor_b64 exec, exec, s[26:27]
	s_cbranch_execnz .LBB270_297
.LBB270_98:                             ;   in Loop: Header=BB270_13 Depth=1
	s_or_b64 exec, exec, s[26:27]
	v_and_b32_e32 v8, 0xffff, v0
	s_and_saveexec_b64 s[26:27], s[4:5]
	s_cbranch_execz .LBB270_100
.LBB270_99:                             ;   in Loop: Header=BB270_13 Depth=1
	v_and_b32_e32 v2, 7, v8
	v_ffbh_u32_e32 v0, v2
	v_min_u32_e32 v6, 32, v0
	v_subrev_u32_e32 v0, 28, v6
	v_bfe_u32 v3, v8, 3, 4
	v_lshlrev_b64 v[0:1], v0, v[8:9]
	v_sub_u32_e32 v1, 29, v6
	v_cmp_eq_u32_e64 s[4:5], 0, v3
	v_and_b32_e32 v0, 7, v0
	s_nop 0
	v_cndmask_b32_e64 v1, v3, v1, s[4:5]
	v_mov_b32_e32 v3, 0x1c00
	v_cndmask_b32_e64 v0, v2, v0, s[4:5]
	v_lshlrev_b32_e32 v2, 8, v8
	v_lshl_add_u32 v1, v1, 10, v3
	v_and_or_b32 v1, v2, s37, v1
	v_lshl_or_b32 v0, v0, 7, v1
	v_cvt_f32_f16_e32 v1, v0
.LBB270_100:                            ;   in Loop: Header=BB270_13 Depth=1
	s_or_b64 exec, exec, s[26:27]
	v_lshrrev_b16_e32 v8, 8, v8
	v_cmp_lt_i16_e64 s[4:5], s35, v8
	s_mov_b64 s[26:27], 0
                                        ; implicit-def: $sgpr38
	s_and_saveexec_b64 s[28:29], s[4:5]
	s_xor_b64 s[28:29], exec, s[28:29]
	s_cbranch_execnz .LBB270_298
; %bb.101:                              ;   in Loop: Header=BB270_13 Depth=1
	s_or_saveexec_b64 s[28:29], s[28:29]
	v_mov_b32_e32 v0, s38
	s_xor_b64 exec, exec, s[28:29]
	s_cbranch_execnz .LBB270_301
.LBB270_102:                            ;   in Loop: Header=BB270_13 Depth=1
	s_or_b64 exec, exec, s[28:29]
	v_accvgpr_write_b32 a50, v1
	s_and_saveexec_b64 s[28:29], s[26:27]
	s_cbranch_execz .LBB270_104
.LBB270_103:                            ;   in Loop: Header=BB270_13 Depth=1
	v_and_b32_e32 v2, 7, v8
	v_ffbh_u32_e32 v0, v2
	v_min_u32_e32 v6, 32, v0
	v_subrev_u32_e32 v0, 28, v6
	v_bfe_u32 v3, v8, 3, 4
	v_lshlrev_b64 v[0:1], v0, v[8:9]
	v_sub_u32_e32 v1, 29, v6
	v_cmp_eq_u32_e64 s[4:5], 0, v3
	v_and_b32_e32 v0, 7, v0
	s_nop 0
	v_cndmask_b32_e64 v1, v3, v1, s[4:5]
	v_mov_b32_e32 v3, 0x1c00
	v_cndmask_b32_e64 v0, v2, v0, s[4:5]
	v_lshlrev_b32_e32 v2, 8, v8
	v_lshl_add_u32 v1, v1, 10, v3
	v_and_or_b32 v1, v2, s37, v1
	v_lshl_or_b32 v0, v0, 7, v1
	v_cvt_f32_f16_e32 v0, v0
.LBB270_104:                            ;   in Loop: Header=BB270_13 Depth=1
	s_or_b64 exec, exec, s[28:29]
	flat_load_ushort v2, v[48:49] offset:1288
	v_accvgpr_write_b32 a51, v0
	s_mov_b64 s[4:5], 0
                                        ; implicit-def: $sgpr30
	s_waitcnt vmcnt(0) lgkmcnt(0)
	v_cmp_gt_i16_sdwa s[26:27], v2, s35 src0_sel:BYTE_0 src1_sel:DWORD
	s_and_saveexec_b64 s[28:29], s[26:27]
	s_xor_b64 s[26:27], exec, s[28:29]
	s_cbranch_execnz .LBB270_302
; %bb.105:                              ;   in Loop: Header=BB270_13 Depth=1
	s_or_saveexec_b64 s[26:27], s[26:27]
	v_mov_b32_e32 v1, s30
	s_xor_b64 exec, exec, s[26:27]
	s_cbranch_execnz .LBB270_305
.LBB270_106:                            ;   in Loop: Header=BB270_13 Depth=1
	s_or_b64 exec, exec, s[26:27]
	v_and_b32_e32 v8, 0xffff, v2
	s_and_saveexec_b64 s[26:27], s[4:5]
	s_cbranch_execz .LBB270_108
.LBB270_107:                            ;   in Loop: Header=BB270_13 Depth=1
	v_and_b32_e32 v0, 7, v8
	v_ffbh_u32_e32 v2, v0
	v_min_u32_e32 v7, 32, v2
	v_subrev_u32_e32 v2, 28, v7
	v_bfe_u32 v6, v8, 3, 4
	v_lshlrev_b64 v[2:3], v2, v[8:9]
	v_sub_u32_e32 v3, 29, v7
	v_cmp_eq_u32_e64 s[4:5], 0, v6
	v_and_b32_e32 v2, 7, v2
	v_mov_b32_e32 v1, 0x1c00
	v_cndmask_b32_e64 v3, v6, v3, s[4:5]
	v_cndmask_b32_e64 v0, v0, v2, s[4:5]
	v_lshlrev_b32_e32 v2, 8, v8
	v_lshl_add_u32 v3, v3, 10, v1
	v_and_or_b32 v2, v2, s37, v3
	v_lshl_or_b32 v0, v0, 7, v2
	v_cvt_f32_f16_e32 v1, v0
.LBB270_108:                            ;   in Loop: Header=BB270_13 Depth=1
	s_or_b64 exec, exec, s[26:27]
	v_lshrrev_b16_e32 v8, 8, v8
	v_cmp_lt_i16_e64 s[4:5], s35, v8
	s_mov_b64 s[26:27], 0
                                        ; implicit-def: $sgpr38
	s_and_saveexec_b64 s[28:29], s[4:5]
	s_xor_b64 s[28:29], exec, s[28:29]
	s_cbranch_execnz .LBB270_306
; %bb.109:                              ;   in Loop: Header=BB270_13 Depth=1
	s_or_saveexec_b64 s[28:29], s[28:29]
	v_mov_b32_e32 v3, s38
	s_xor_b64 exec, exec, s[28:29]
	s_cbranch_execnz .LBB270_309
.LBB270_110:                            ;   in Loop: Header=BB270_13 Depth=1
	s_or_b64 exec, exec, s[28:29]
	s_and_saveexec_b64 s[28:29], s[26:27]
	s_cbranch_execz .LBB270_112
.LBB270_111:                            ;   in Loop: Header=BB270_13 Depth=1
	v_and_b32_e32 v6, 7, v8
	v_ffbh_u32_e32 v2, v6
	v_min_u32_e32 v12, 32, v2
	v_subrev_u32_e32 v2, 28, v12
	v_bfe_u32 v7, v8, 3, 4
	v_lshlrev_b64 v[2:3], v2, v[8:9]
	v_sub_u32_e32 v3, 29, v12
	v_cmp_eq_u32_e64 s[4:5], 0, v7
	v_and_b32_e32 v2, 7, v2
	v_mov_b32_e32 v0, 0x1c00
	v_cndmask_b32_e64 v3, v7, v3, s[4:5]
	v_cndmask_b32_e64 v2, v6, v2, s[4:5]
	v_lshlrev_b32_e32 v6, 8, v8
	v_lshl_add_u32 v3, v3, 10, v0
	v_and_or_b32 v3, v6, s37, v3
	v_lshl_or_b32 v2, v2, 7, v3
	v_cvt_f32_f16_e32 v3, v2
.LBB270_112:                            ;   in Loop: Header=BB270_13 Depth=1
	s_or_b64 exec, exec, s[28:29]
	flat_load_ushort v6, v[48:49] offset:1536
	s_mov_b64 s[4:5], 0
                                        ; implicit-def: $sgpr30
	s_waitcnt vmcnt(0) lgkmcnt(0)
	v_cmp_gt_i16_sdwa s[26:27], v6, s35 src0_sel:BYTE_0 src1_sel:DWORD
	s_and_saveexec_b64 s[28:29], s[26:27]
	s_xor_b64 s[26:27], exec, s[28:29]
	s_cbranch_execnz .LBB270_310
; %bb.113:                              ;   in Loop: Header=BB270_13 Depth=1
	s_or_saveexec_b64 s[26:27], s[26:27]
	v_mov_b32_e32 v2, s30
	s_xor_b64 exec, exec, s[26:27]
	s_cbranch_execnz .LBB270_313
.LBB270_114:                            ;   in Loop: Header=BB270_13 Depth=1
	s_or_b64 exec, exec, s[26:27]
	v_and_b32_e32 v8, 0xffff, v6
	s_and_saveexec_b64 s[26:27], s[4:5]
	s_cbranch_execz .LBB270_116
.LBB270_115:                            ;   in Loop: Header=BB270_13 Depth=1
	v_and_b32_e32 v2, 7, v8
	v_ffbh_u32_e32 v6, v2
	v_min_u32_e32 v0, 32, v6
	v_subrev_u32_e32 v6, 28, v0
	v_bfe_u32 v12, v8, 3, 4
	v_lshlrev_b64 v[6:7], v6, v[8:9]
	v_sub_u32_e32 v7, 29, v0
	v_cmp_eq_u32_e64 s[4:5], 0, v12
	v_and_b32_e32 v6, 7, v6
	v_mov_b32_e32 v0, 0x1c00
	v_cndmask_b32_e64 v7, v12, v7, s[4:5]
	v_cndmask_b32_e64 v2, v2, v6, s[4:5]
	v_lshlrev_b32_e32 v6, 8, v8
	v_lshl_add_u32 v7, v7, 10, v0
	v_and_or_b32 v6, v6, s37, v7
	v_lshl_or_b32 v2, v2, 7, v6
	v_cvt_f32_f16_e32 v2, v2
.LBB270_116:                            ;   in Loop: Header=BB270_13 Depth=1
	s_or_b64 exec, exec, s[26:27]
	v_lshrrev_b16_e32 v8, 8, v8
	v_cmp_lt_i16_e64 s[4:5], s35, v8
	s_mov_b64 s[26:27], 0
                                        ; implicit-def: $sgpr38
	s_and_saveexec_b64 s[28:29], s[4:5]
	s_xor_b64 s[28:29], exec, s[28:29]
	s_cbranch_execnz .LBB270_314
; %bb.117:                              ;   in Loop: Header=BB270_13 Depth=1
	s_or_saveexec_b64 s[28:29], s[28:29]
	v_mov_b32_e32 v0, s38
	s_xor_b64 exec, exec, s[28:29]
	s_cbranch_execnz .LBB270_317
.LBB270_118:                            ;   in Loop: Header=BB270_13 Depth=1
	s_or_b64 exec, exec, s[28:29]
	s_and_saveexec_b64 s[28:29], s[26:27]
	s_cbranch_execz .LBB270_120
.LBB270_119:                            ;   in Loop: Header=BB270_13 Depth=1
	v_and_b32_e32 v12, 7, v8
	v_ffbh_u32_e32 v6, v12
	v_min_u32_e32 v14, 32, v6
	v_subrev_u32_e32 v6, 28, v14
	v_bfe_u32 v0, v8, 3, 4
	v_lshlrev_b64 v[6:7], v6, v[8:9]
	v_sub_u32_e32 v7, 29, v14
	v_cmp_eq_u32_e64 s[4:5], 0, v0
	v_and_b32_e32 v6, 7, v6
	v_lshlrev_b32_e32 v8, 8, v8
	v_cndmask_b32_e64 v7, v0, v7, s[4:5]
	v_mov_b32_e32 v0, 0x1c00
	v_lshl_add_u32 v7, v7, 10, v0
	v_cndmask_b32_e64 v6, v12, v6, s[4:5]
	v_and_or_b32 v7, v8, s37, v7
	v_lshl_or_b32 v6, v6, 7, v7
	v_cvt_f32_f16_e32 v0, v6
.LBB270_120:                            ;   in Loop: Header=BB270_13 Depth=1
	s_or_b64 exec, exec, s[28:29]
	flat_load_ushort v6, v[48:49] offset:1544
	v_accvgpr_write_b32 a54, v0
	s_mov_b64 s[4:5], 0
                                        ; implicit-def: $sgpr30
	s_waitcnt vmcnt(0) lgkmcnt(0)
	v_cmp_gt_i16_sdwa s[26:27], v6, s35 src0_sel:BYTE_0 src1_sel:DWORD
	s_and_saveexec_b64 s[28:29], s[26:27]
	s_xor_b64 s[26:27], exec, s[28:29]
	s_cbranch_execnz .LBB270_318
; %bb.121:                              ;   in Loop: Header=BB270_13 Depth=1
	s_or_saveexec_b64 s[26:27], s[26:27]
	v_mov_b32_e32 v13, s30
	s_xor_b64 exec, exec, s[26:27]
	s_cbranch_execnz .LBB270_321
.LBB270_122:                            ;   in Loop: Header=BB270_13 Depth=1
	s_or_b64 exec, exec, s[26:27]
	v_and_b32_e32 v8, 0xffff, v6
	s_and_saveexec_b64 s[26:27], s[4:5]
	s_cbranch_execz .LBB270_124
.LBB270_123:                            ;   in Loop: Header=BB270_13 Depth=1
	v_and_b32_e32 v12, 7, v8
	v_ffbh_u32_e32 v6, v12
	v_min_u32_e32 v15, 32, v6
	v_subrev_u32_e32 v6, 28, v15
	v_bfe_u32 v14, v8, 3, 4
	v_lshlrev_b64 v[6:7], v6, v[8:9]
	v_sub_u32_e32 v7, 29, v15
	v_cmp_eq_u32_e64 s[4:5], 0, v14
	v_and_b32_e32 v6, 7, v6
	v_mov_b32_e32 v0, 0x1c00
	v_cndmask_b32_e64 v7, v14, v7, s[4:5]
	v_cndmask_b32_e64 v6, v12, v6, s[4:5]
	v_lshlrev_b32_e32 v12, 8, v8
	v_lshl_add_u32 v7, v7, 10, v0
	v_and_or_b32 v7, v12, s37, v7
	v_lshl_or_b32 v6, v6, 7, v7
	v_cvt_f32_f16_e32 v13, v6
.LBB270_124:                            ;   in Loop: Header=BB270_13 Depth=1
	s_or_b64 exec, exec, s[26:27]
	v_lshrrev_b16_e32 v8, 8, v8
	v_cmp_lt_i16_e64 s[4:5], s35, v8
	s_mov_b64 s[26:27], 0
                                        ; implicit-def: $sgpr38
	s_and_saveexec_b64 s[28:29], s[4:5]
	s_xor_b64 s[28:29], exec, s[28:29]
	s_cbranch_execnz .LBB270_322
; %bb.125:                              ;   in Loop: Header=BB270_13 Depth=1
	s_or_saveexec_b64 s[28:29], s[28:29]
	v_mov_b32_e32 v0, s38
	s_xor_b64 exec, exec, s[28:29]
	s_cbranch_execnz .LBB270_325
.LBB270_126:                            ;   in Loop: Header=BB270_13 Depth=1
	s_or_b64 exec, exec, s[28:29]
	s_and_saveexec_b64 s[28:29], s[26:27]
	s_cbranch_execz .LBB270_128
.LBB270_127:                            ;   in Loop: Header=BB270_13 Depth=1
	v_and_b32_e32 v12, 7, v8
	v_ffbh_u32_e32 v6, v12
	v_min_u32_e32 v15, 32, v6
	v_subrev_u32_e32 v6, 28, v15
	v_bfe_u32 v14, v8, 3, 4
	v_lshlrev_b64 v[6:7], v6, v[8:9]
	v_sub_u32_e32 v7, 29, v15
	v_cmp_eq_u32_e64 s[4:5], 0, v14
	v_mov_b32_e32 v0, 0x1c00
	v_and_b32_e32 v6, 7, v6
	v_cndmask_b32_e64 v7, v14, v7, s[4:5]
	v_lshlrev_b32_e32 v8, 8, v8
	v_lshl_add_u32 v7, v7, 10, v0
	v_cndmask_b32_e64 v6, v12, v6, s[4:5]
	v_and_or_b32 v7, v8, s37, v7
	v_lshl_or_b32 v6, v6, 7, v7
	v_cvt_f32_f16_e32 v0, v6
.LBB270_128:                            ;   in Loop: Header=BB270_13 Depth=1
	s_or_b64 exec, exec, s[28:29]
	flat_load_ushort v6, v[48:49] offset:1792
	v_accvgpr_write_b32 a56, v0
	s_mov_b64 s[4:5], 0
                                        ; implicit-def: $sgpr30
	s_waitcnt vmcnt(0) lgkmcnt(0)
	v_cmp_gt_i16_sdwa s[26:27], v6, s35 src0_sel:BYTE_0 src1_sel:DWORD
	s_and_saveexec_b64 s[28:29], s[26:27]
	s_xor_b64 s[26:27], exec, s[28:29]
	s_cbranch_execnz .LBB270_326
; %bb.129:                              ;   in Loop: Header=BB270_13 Depth=1
	s_or_saveexec_b64 s[26:27], s[26:27]
	v_mov_b32_e32 v30, s30
	s_xor_b64 exec, exec, s[26:27]
	s_cbranch_execnz .LBB270_329
.LBB270_130:                            ;   in Loop: Header=BB270_13 Depth=1
	s_or_b64 exec, exec, s[26:27]
	v_and_b32_e32 v8, 0xffff, v6
	s_and_saveexec_b64 s[26:27], s[4:5]
	s_cbranch_execz .LBB270_132
.LBB270_131:                            ;   in Loop: Header=BB270_13 Depth=1
	v_and_b32_e32 v12, 7, v8
	v_ffbh_u32_e32 v6, v12
	v_min_u32_e32 v15, 32, v6
	v_subrev_u32_e32 v6, 28, v15
	v_bfe_u32 v14, v8, 3, 4
	v_lshlrev_b64 v[6:7], v6, v[8:9]
	v_sub_u32_e32 v7, 29, v15
	v_cmp_eq_u32_e64 s[4:5], 0, v14
	v_and_b32_e32 v6, 7, v6
	v_mov_b32_e32 v0, 0x1c00
	v_cndmask_b32_e64 v7, v14, v7, s[4:5]
	v_cndmask_b32_e64 v6, v12, v6, s[4:5]
	v_lshlrev_b32_e32 v12, 8, v8
	v_lshl_add_u32 v7, v7, 10, v0
	v_and_or_b32 v7, v12, s37, v7
	v_lshl_or_b32 v6, v6, 7, v7
	v_cvt_f32_f16_e32 v30, v6
.LBB270_132:                            ;   in Loop: Header=BB270_13 Depth=1
	s_or_b64 exec, exec, s[26:27]
	v_lshrrev_b16_e32 v8, 8, v8
	v_cmp_lt_i16_e64 s[4:5], s35, v8
	s_mov_b64 s[26:27], 0
                                        ; implicit-def: $sgpr38
	s_and_saveexec_b64 s[28:29], s[4:5]
	s_xor_b64 s[28:29], exec, s[28:29]
	s_cbranch_execnz .LBB270_330
; %bb.133:                              ;   in Loop: Header=BB270_13 Depth=1
	s_or_saveexec_b64 s[28:29], s[28:29]
	v_mov_b32_e32 v0, s38
	s_xor_b64 exec, exec, s[28:29]
	s_cbranch_execnz .LBB270_333
.LBB270_134:                            ;   in Loop: Header=BB270_13 Depth=1
	s_or_b64 exec, exec, s[28:29]
	s_and_saveexec_b64 s[28:29], s[26:27]
	s_cbranch_execz .LBB270_136
.LBB270_135:                            ;   in Loop: Header=BB270_13 Depth=1
	v_and_b32_e32 v12, 7, v8
	v_ffbh_u32_e32 v6, v12
	v_min_u32_e32 v15, 32, v6
	v_subrev_u32_e32 v6, 28, v15
	v_bfe_u32 v14, v8, 3, 4
	v_lshlrev_b64 v[6:7], v6, v[8:9]
	v_sub_u32_e32 v7, 29, v15
	v_cmp_eq_u32_e64 s[4:5], 0, v14
	v_mov_b32_e32 v0, 0x1c00
	v_and_b32_e32 v6, 7, v6
	v_cndmask_b32_e64 v7, v14, v7, s[4:5]
	v_lshlrev_b32_e32 v8, 8, v8
	v_lshl_add_u32 v7, v7, 10, v0
	v_cndmask_b32_e64 v6, v12, v6, s[4:5]
	v_and_or_b32 v7, v8, s37, v7
	v_lshl_or_b32 v6, v6, 7, v7
	v_cvt_f32_f16_e32 v0, v6
.LBB270_136:                            ;   in Loop: Header=BB270_13 Depth=1
	s_or_b64 exec, exec, s[28:29]
	flat_load_ushort v6, v[48:49] offset:1800
	v_accvgpr_write_b32 a58, v0
	s_mov_b64 s[4:5], 0
                                        ; implicit-def: $sgpr30
	s_waitcnt vmcnt(0) lgkmcnt(0)
	v_cmp_gt_i16_sdwa s[26:27], v6, s35 src0_sel:BYTE_0 src1_sel:DWORD
	s_and_saveexec_b64 s[28:29], s[26:27]
	s_xor_b64 s[26:27], exec, s[28:29]
	s_cbranch_execnz .LBB270_334
; %bb.137:                              ;   in Loop: Header=BB270_13 Depth=1
	s_or_saveexec_b64 s[26:27], s[26:27]
	v_mov_b32_e32 v7, s30
	s_xor_b64 exec, exec, s[26:27]
	s_cbranch_execnz .LBB270_337
.LBB270_138:                            ;   in Loop: Header=BB270_13 Depth=1
	s_or_b64 exec, exec, s[26:27]
	v_and_b32_e32 v8, 0xffff, v6
	s_and_saveexec_b64 s[26:27], s[4:5]
	s_cbranch_execz .LBB270_140
.LBB270_139:                            ;   in Loop: Header=BB270_13 Depth=1
	v_and_b32_e32 v6, 7, v8
	v_ffbh_u32_e32 v14, v6
	v_min_u32_e32 v16, 32, v14
	v_subrev_u32_e32 v14, 28, v16
	v_bfe_u32 v12, v8, 3, 4
	v_lshlrev_b64 v[14:15], v14, v[8:9]
	v_sub_u32_e32 v15, 29, v16
	v_cmp_eq_u32_e64 s[4:5], 0, v12
	v_and_b32_e32 v14, 7, v14
	v_mov_b32_e32 v0, 0x1c00
	v_cndmask_b32_e64 v12, v12, v15, s[4:5]
	v_cndmask_b32_e64 v6, v6, v14, s[4:5]
	v_lshlrev_b32_e32 v14, 8, v8
	v_lshl_add_u32 v12, v12, 10, v0
	v_and_or_b32 v12, v14, s37, v12
	v_lshl_or_b32 v6, v6, 7, v12
	v_cvt_f32_f16_e32 v7, v6
.LBB270_140:                            ;   in Loop: Header=BB270_13 Depth=1
	s_or_b64 exec, exec, s[26:27]
	v_lshrrev_b16_e32 v8, 8, v8
	v_cmp_lt_i16_e64 s[4:5], s35, v8
	s_mov_b64 s[26:27], 0
                                        ; implicit-def: $sgpr38
	s_and_saveexec_b64 s[28:29], s[4:5]
	s_xor_b64 s[28:29], exec, s[28:29]
	s_cbranch_execnz .LBB270_338
; %bb.141:                              ;   in Loop: Header=BB270_13 Depth=1
	s_or_saveexec_b64 s[28:29], s[28:29]
	v_mov_b32_e32 v0, s38
	s_xor_b64 exec, exec, s[28:29]
	s_cbranch_execnz .LBB270_341
.LBB270_142:                            ;   in Loop: Header=BB270_13 Depth=1
	s_or_b64 exec, exec, s[28:29]
	s_and_saveexec_b64 s[28:29], s[26:27]
	s_cbranch_execz .LBB270_144
.LBB270_143:                            ;   in Loop: Header=BB270_13 Depth=1
	v_and_b32_e32 v6, 7, v8
	v_ffbh_u32_e32 v14, v6
	v_min_u32_e32 v17, 32, v14
	v_subrev_u32_e32 v14, 28, v17
	v_bfe_u32 v16, v8, 3, 4
	v_lshlrev_b64 v[14:15], v14, v[8:9]
	v_sub_u32_e32 v15, 29, v17
	v_cmp_eq_u32_e64 s[4:5], 0, v16
	v_and_b32_e32 v14, 7, v14
	v_mov_b32_e32 v0, 0x1c00
	v_cndmask_b32_e64 v15, v16, v15, s[4:5]
	v_cndmask_b32_e64 v6, v6, v14, s[4:5]
	v_lshlrev_b32_e32 v8, 8, v8
	v_lshl_add_u32 v14, v15, 10, v0
	v_and_or_b32 v8, v8, s37, v14
	v_lshl_or_b32 v6, v6, 7, v8
	v_cvt_f32_f16_e32 v0, v6
.LBB270_144:                            ;   in Loop: Header=BB270_13 Depth=1
	s_or_b64 exec, exec, s[28:29]
	flat_load_ushort v6, v[48:49] offset:2048
	v_accvgpr_write_b32 a60, v0
	s_mov_b64 s[4:5], 0
                                        ; implicit-def: $sgpr30
	s_waitcnt vmcnt(0) lgkmcnt(0)
	v_cmp_gt_i16_sdwa s[26:27], v6, s35 src0_sel:BYTE_0 src1_sel:DWORD
	s_and_saveexec_b64 s[28:29], s[26:27]
	s_xor_b64 s[26:27], exec, s[28:29]
	s_cbranch_execnz .LBB270_342
; %bb.145:                              ;   in Loop: Header=BB270_13 Depth=1
	s_or_saveexec_b64 s[26:27], s[26:27]
	v_mov_b32_e32 v14, s30
	s_xor_b64 exec, exec, s[26:27]
	s_cbranch_execnz .LBB270_345
.LBB270_146:                            ;   in Loop: Header=BB270_13 Depth=1
	s_or_b64 exec, exec, s[26:27]
	v_and_b32_e32 v8, 0xffff, v6
	s_and_saveexec_b64 s[26:27], s[4:5]
	s_cbranch_execz .LBB270_148
.LBB270_147:                            ;   in Loop: Header=BB270_13 Depth=1
	v_and_b32_e32 v6, 7, v8
	v_ffbh_u32_e32 v16, v6
	v_min_u32_e32 v18, 32, v16
	v_subrev_u32_e32 v16, 28, v18
	v_bfe_u32 v14, v8, 3, 4
	v_lshlrev_b64 v[16:17], v16, v[8:9]
	v_sub_u32_e32 v17, 29, v18
	v_cmp_eq_u32_e64 s[4:5], 0, v14
	v_and_b32_e32 v16, 7, v16
	v_mov_b32_e32 v0, 0x1c00
	v_cndmask_b32_e64 v14, v14, v17, s[4:5]
	v_cndmask_b32_e64 v6, v6, v16, s[4:5]
	v_lshlrev_b32_e32 v16, 8, v8
	v_lshl_add_u32 v14, v14, 10, v0
	v_and_or_b32 v14, v16, s37, v14
	v_lshl_or_b32 v6, v6, 7, v14
	v_cvt_f32_f16_e32 v14, v6
.LBB270_148:                            ;   in Loop: Header=BB270_13 Depth=1
	s_or_b64 exec, exec, s[26:27]
	v_lshrrev_b16_e32 v8, 8, v8
	v_cmp_lt_i16_e64 s[4:5], s35, v8
	s_mov_b64 s[26:27], 0
                                        ; implicit-def: $sgpr38
	s_and_saveexec_b64 s[28:29], s[4:5]
	s_xor_b64 s[28:29], exec, s[28:29]
	s_cbranch_execnz .LBB270_346
; %bb.149:                              ;   in Loop: Header=BB270_13 Depth=1
	s_or_saveexec_b64 s[28:29], s[28:29]
	v_mov_b32_e32 v16, s38
	s_xor_b64 exec, exec, s[28:29]
	s_cbranch_execnz .LBB270_349
.LBB270_150:                            ;   in Loop: Header=BB270_13 Depth=1
	s_or_b64 exec, exec, s[28:29]
	s_and_saveexec_b64 s[28:29], s[26:27]
	s_cbranch_execz .LBB270_152
.LBB270_151:                            ;   in Loop: Header=BB270_13 Depth=1
	v_and_b32_e32 v6, 7, v8
	v_ffbh_u32_e32 v16, v6
	v_min_u32_e32 v19, 32, v16
	v_subrev_u32_e32 v16, 28, v19
	v_bfe_u32 v18, v8, 3, 4
	v_lshlrev_b64 v[16:17], v16, v[8:9]
	v_sub_u32_e32 v17, 29, v19
	v_cmp_eq_u32_e64 s[4:5], 0, v18
	v_and_b32_e32 v16, 7, v16
	v_mov_b32_e32 v0, 0x1c00
	v_cndmask_b32_e64 v17, v18, v17, s[4:5]
	v_cndmask_b32_e64 v6, v6, v16, s[4:5]
	v_lshlrev_b32_e32 v8, 8, v8
	v_lshl_add_u32 v16, v17, 10, v0
	v_and_or_b32 v8, v8, s37, v16
	v_lshl_or_b32 v6, v6, 7, v8
	v_cvt_f32_f16_e32 v16, v6
.LBB270_152:                            ;   in Loop: Header=BB270_13 Depth=1
	s_or_b64 exec, exec, s[28:29]
	flat_load_ushort v6, v[48:49] offset:2056
	s_mov_b64 s[4:5], 0
                                        ; implicit-def: $sgpr30
	s_waitcnt vmcnt(0) lgkmcnt(0)
	v_cmp_gt_i16_sdwa s[26:27], v6, s35 src0_sel:BYTE_0 src1_sel:DWORD
	s_and_saveexec_b64 s[28:29], s[26:27]
	s_xor_b64 s[26:27], exec, s[28:29]
	s_cbranch_execnz .LBB270_350
; %bb.153:                              ;   in Loop: Header=BB270_13 Depth=1
	s_or_saveexec_b64 s[26:27], s[26:27]
	v_mov_b32_e32 v17, s30
	s_xor_b64 exec, exec, s[26:27]
	s_cbranch_execnz .LBB270_353
.LBB270_154:                            ;   in Loop: Header=BB270_13 Depth=1
	s_or_b64 exec, exec, s[26:27]
	v_and_b32_e32 v8, 0xffff, v6
	s_and_saveexec_b64 s[26:27], s[4:5]
	s_cbranch_execz .LBB270_156
.LBB270_155:                            ;   in Loop: Header=BB270_13 Depth=1
	v_and_b32_e32 v6, 7, v8
	v_ffbh_u32_e32 v18, v6
	v_min_u32_e32 v22, 32, v18
	v_subrev_u32_e32 v18, 28, v22
	v_bfe_u32 v17, v8, 3, 4
	v_lshlrev_b64 v[18:19], v18, v[8:9]
	v_sub_u32_e32 v19, 29, v22
	v_cmp_eq_u32_e64 s[4:5], 0, v17
	v_and_b32_e32 v18, 7, v18
	v_mov_b32_e32 v0, 0x1c00
	v_cndmask_b32_e64 v17, v17, v19, s[4:5]
	v_cndmask_b32_e64 v6, v6, v18, s[4:5]
	v_lshlrev_b32_e32 v18, 8, v8
	v_lshl_add_u32 v17, v17, 10, v0
	v_and_or_b32 v17, v18, s37, v17
	v_lshl_or_b32 v6, v6, 7, v17
	v_cvt_f32_f16_e32 v17, v6
.LBB270_156:                            ;   in Loop: Header=BB270_13 Depth=1
	s_or_b64 exec, exec, s[26:27]
	v_lshrrev_b16_e32 v8, 8, v8
	v_cmp_lt_i16_e64 s[4:5], s35, v8
	s_mov_b64 s[26:27], 0
                                        ; implicit-def: $sgpr38
	s_and_saveexec_b64 s[28:29], s[4:5]
	s_xor_b64 s[28:29], exec, s[28:29]
	s_cbranch_execnz .LBB270_354
; %bb.157:                              ;   in Loop: Header=BB270_13 Depth=1
	s_or_saveexec_b64 s[28:29], s[28:29]
	v_mov_b32_e32 v18, s38
	s_xor_b64 exec, exec, s[28:29]
	s_cbranch_execnz .LBB270_357
.LBB270_158:                            ;   in Loop: Header=BB270_13 Depth=1
	s_or_b64 exec, exec, s[28:29]
	s_and_saveexec_b64 s[28:29], s[26:27]
	s_cbranch_execz .LBB270_160
.LBB270_159:                            ;   in Loop: Header=BB270_13 Depth=1
	v_and_b32_e32 v6, 7, v8
	v_ffbh_u32_e32 v18, v6
	v_min_u32_e32 v24, 32, v18
	v_subrev_u32_e32 v18, 28, v24
	v_bfe_u32 v22, v8, 3, 4
	v_lshlrev_b64 v[18:19], v18, v[8:9]
	v_sub_u32_e32 v19, 29, v24
	v_cmp_eq_u32_e64 s[4:5], 0, v22
	v_and_b32_e32 v18, 7, v18
	v_mov_b32_e32 v0, 0x1c00
	v_cndmask_b32_e64 v19, v22, v19, s[4:5]
	v_cndmask_b32_e64 v6, v6, v18, s[4:5]
	v_lshlrev_b32_e32 v8, 8, v8
	v_lshl_add_u32 v18, v19, 10, v0
	v_and_or_b32 v8, v8, s37, v18
	v_lshl_or_b32 v6, v6, 7, v8
	v_cvt_f32_f16_e32 v18, v6
.LBB270_160:                            ;   in Loop: Header=BB270_13 Depth=1
	s_or_b64 exec, exec, s[28:29]
	flat_load_ushort v6, v[48:49] offset:2304
	s_mov_b64 s[4:5], 0
                                        ; implicit-def: $sgpr30
	s_waitcnt vmcnt(0) lgkmcnt(0)
	v_cmp_gt_i16_sdwa s[26:27], v6, s35 src0_sel:BYTE_0 src1_sel:DWORD
	s_and_saveexec_b64 s[28:29], s[26:27]
	s_xor_b64 s[26:27], exec, s[28:29]
	s_cbranch_execnz .LBB270_358
; %bb.161:                              ;   in Loop: Header=BB270_13 Depth=1
	s_or_saveexec_b64 s[26:27], s[26:27]
	v_mov_b32_e32 v19, s30
	s_xor_b64 exec, exec, s[26:27]
	s_cbranch_execnz .LBB270_361
.LBB270_162:                            ;   in Loop: Header=BB270_13 Depth=1
	s_or_b64 exec, exec, s[26:27]
	v_and_b32_e32 v8, 0xffff, v6
	s_and_saveexec_b64 s[26:27], s[4:5]
	s_cbranch_execz .LBB270_164
.LBB270_163:                            ;   in Loop: Header=BB270_13 Depth=1
	v_and_b32_e32 v6, 7, v8
	v_ffbh_u32_e32 v22, v6
	v_bfe_u32 v19, v8, 3, 4
	v_min_u32_e32 v22, 32, v22
	v_subrev_u32_e32 v24, 28, v22
	v_sub_u32_e32 v22, 29, v22
	v_cmp_eq_u32_e64 s[4:5], 0, v19
	v_lshlrev_b64 v[24:25], v24, v[8:9]
	v_mov_b32_e32 v0, 0x1c00
	v_cndmask_b32_e64 v19, v19, v22, s[4:5]
	v_and_b32_e32 v24, 7, v24
	v_lshlrev_b32_e32 v22, 8, v8
	v_lshl_add_u32 v19, v19, 10, v0
	v_cndmask_b32_e64 v6, v6, v24, s[4:5]
	v_and_or_b32 v19, v22, s37, v19
	v_lshl_or_b32 v6, v6, 7, v19
	v_cvt_f32_f16_e32 v19, v6
.LBB270_164:                            ;   in Loop: Header=BB270_13 Depth=1
	s_or_b64 exec, exec, s[26:27]
	v_lshrrev_b16_e32 v8, 8, v8
	v_cmp_lt_i16_e64 s[4:5], s35, v8
	s_mov_b64 s[26:27], 0
                                        ; implicit-def: $sgpr38
	s_and_saveexec_b64 s[28:29], s[4:5]
	s_xor_b64 s[28:29], exec, s[28:29]
	s_cbranch_execnz .LBB270_362
; %bb.165:                              ;   in Loop: Header=BB270_13 Depth=1
	s_or_saveexec_b64 s[28:29], s[28:29]
	v_mov_b32_e32 v6, s38
	s_xor_b64 exec, exec, s[28:29]
	s_cbranch_execnz .LBB270_365
.LBB270_166:                            ;   in Loop: Header=BB270_13 Depth=1
	s_or_b64 exec, exec, s[28:29]
	s_and_saveexec_b64 s[28:29], s[26:27]
	s_cbranch_execz .LBB270_168
.LBB270_167:                            ;   in Loop: Header=BB270_13 Depth=1
	v_and_b32_e32 v6, 7, v8
	v_ffbh_u32_e32 v24, v6
	v_min_u32_e32 v26, 32, v24
	v_subrev_u32_e32 v24, 28, v26
	v_bfe_u32 v22, v8, 3, 4
	v_lshlrev_b64 v[24:25], v24, v[8:9]
	v_sub_u32_e32 v25, 29, v26
	v_cmp_eq_u32_e64 s[4:5], 0, v22
	v_mov_b32_e32 v0, 0x1c00
	v_and_b32_e32 v24, 7, v24
	v_cndmask_b32_e64 v22, v22, v25, s[4:5]
	v_lshlrev_b32_e32 v8, 8, v8
	v_lshl_add_u32 v22, v22, 10, v0
	v_cndmask_b32_e64 v6, v6, v24, s[4:5]
	v_and_or_b32 v8, v8, s37, v22
	v_lshl_or_b32 v6, v6, 7, v8
	v_cvt_f32_f16_e32 v6, v6
.LBB270_168:                            ;   in Loop: Header=BB270_13 Depth=1
	s_or_b64 exec, exec, s[28:29]
	flat_load_ushort v8, v[48:49] offset:2312
	s_mov_b64 s[4:5], 0
                                        ; implicit-def: $sgpr30
	s_waitcnt vmcnt(0) lgkmcnt(0)
	v_cmp_gt_i16_sdwa s[26:27], v8, s35 src0_sel:BYTE_0 src1_sel:DWORD
	s_and_saveexec_b64 s[28:29], s[26:27]
	s_xor_b64 s[26:27], exec, s[28:29]
	s_cbranch_execnz .LBB270_366
; %bb.169:                              ;   in Loop: Header=BB270_13 Depth=1
	s_or_saveexec_b64 s[26:27], s[26:27]
	v_mov_b32_e32 v42, s30
	s_xor_b64 exec, exec, s[26:27]
	s_cbranch_execnz .LBB270_369
.LBB270_170:                            ;   in Loop: Header=BB270_13 Depth=1
	s_or_b64 exec, exec, s[26:27]
	v_and_b32_e32 v8, 0xffff, v8
	s_and_saveexec_b64 s[26:27], s[4:5]
	s_cbranch_execz .LBB270_172
.LBB270_171:                            ;   in Loop: Header=BB270_13 Depth=1
	v_and_b32_e32 v22, 7, v8
	v_ffbh_u32_e32 v24, v22
	v_min_u32_e32 v27, 32, v24
	v_subrev_u32_e32 v24, 28, v27
	v_bfe_u32 v26, v8, 3, 4
	v_lshlrev_b64 v[24:25], v24, v[8:9]
	v_sub_u32_e32 v25, 29, v27
	v_cmp_eq_u32_e64 s[4:5], 0, v26
	v_and_b32_e32 v24, 7, v24
	v_mov_b32_e32 v0, 0x1c00
	v_cndmask_b32_e64 v25, v26, v25, s[4:5]
	v_cndmask_b32_e64 v22, v22, v24, s[4:5]
	v_lshlrev_b32_e32 v24, 8, v8
	v_lshl_add_u32 v25, v25, 10, v0
	v_and_or_b32 v24, v24, s37, v25
	v_lshl_or_b32 v22, v22, 7, v24
	v_cvt_f32_f16_e32 v42, v22
.LBB270_172:                            ;   in Loop: Header=BB270_13 Depth=1
	s_or_b64 exec, exec, s[26:27]
	v_lshrrev_b16_e32 v8, 8, v8
	v_cmp_lt_i16_e64 s[4:5], s35, v8
	s_mov_b64 s[26:27], 0
                                        ; implicit-def: $sgpr38
	s_and_saveexec_b64 s[28:29], s[4:5]
	s_xor_b64 s[28:29], exec, s[28:29]
	s_cbranch_execnz .LBB270_370
; %bb.173:                              ;   in Loop: Header=BB270_13 Depth=1
	s_or_saveexec_b64 s[28:29], s[28:29]
	v_mov_b32_e32 v22, s38
	s_xor_b64 exec, exec, s[28:29]
	s_cbranch_execnz .LBB270_373
.LBB270_174:                            ;   in Loop: Header=BB270_13 Depth=1
	s_or_b64 exec, exec, s[28:29]
	s_and_saveexec_b64 s[28:29], s[26:27]
	s_cbranch_execz .LBB270_176
.LBB270_175:                            ;   in Loop: Header=BB270_13 Depth=1
	v_and_b32_e32 v22, 7, v8
	v_ffbh_u32_e32 v24, v22
	v_min_u32_e32 v27, 32, v24
	v_subrev_u32_e32 v24, 28, v27
	v_bfe_u32 v26, v8, 3, 4
	v_lshlrev_b64 v[24:25], v24, v[8:9]
	v_sub_u32_e32 v25, 29, v27
	v_cmp_eq_u32_e64 s[4:5], 0, v26
	v_and_b32_e32 v24, 7, v24
	v_mov_b32_e32 v0, 0x1c00
	v_cndmask_b32_e64 v25, v26, v25, s[4:5]
	v_cndmask_b32_e64 v22, v22, v24, s[4:5]
	v_lshlrev_b32_e32 v8, 8, v8
	v_lshl_add_u32 v24, v25, 10, v0
	v_and_or_b32 v8, v8, s37, v24
	v_lshl_or_b32 v8, v22, 7, v8
	v_cvt_f32_f16_e32 v22, v8
.LBB270_176:                            ;   in Loop: Header=BB270_13 Depth=1
	s_or_b64 exec, exec, s[28:29]
	flat_load_ushort v8, v[48:49] offset:2560
	s_mov_b64 s[4:5], 0
                                        ; implicit-def: $sgpr30
	s_waitcnt vmcnt(0) lgkmcnt(0)
	v_cmp_gt_i16_sdwa s[26:27], v8, s35 src0_sel:BYTE_0 src1_sel:DWORD
	s_and_saveexec_b64 s[28:29], s[26:27]
	s_xor_b64 s[26:27], exec, s[28:29]
	s_cbranch_execnz .LBB270_374
; %bb.177:                              ;   in Loop: Header=BB270_13 Depth=1
	s_or_saveexec_b64 s[26:27], s[26:27]
	v_mov_b32_e32 v25, s30
	s_xor_b64 exec, exec, s[26:27]
	s_cbranch_execnz .LBB270_377
.LBB270_178:                            ;   in Loop: Header=BB270_13 Depth=1
	s_or_b64 exec, exec, s[26:27]
	v_and_b32_e32 v8, 0xffff, v8
	s_and_saveexec_b64 s[26:27], s[4:5]
	s_cbranch_execz .LBB270_180
.LBB270_179:                            ;   in Loop: Header=BB270_13 Depth=1
	v_and_b32_e32 v26, 7, v8
	v_ffbh_u32_e32 v24, v26
	v_min_u32_e32 v52, 32, v24
	v_subrev_u32_e32 v24, 28, v52
	v_bfe_u32 v27, v8, 3, 4
	v_lshlrev_b64 v[24:25], v24, v[8:9]
	v_sub_u32_e32 v25, 29, v52
	v_cmp_eq_u32_e64 s[4:5], 0, v27
	v_and_b32_e32 v24, 7, v24
	v_mov_b32_e32 v0, 0x1c00
	v_cndmask_b32_e64 v25, v27, v25, s[4:5]
	v_cndmask_b32_e64 v24, v26, v24, s[4:5]
	v_lshlrev_b32_e32 v26, 8, v8
	v_lshl_add_u32 v25, v25, 10, v0
	v_and_or_b32 v25, v26, s37, v25
	v_lshl_or_b32 v24, v24, 7, v25
	v_cvt_f32_f16_e32 v25, v24
.LBB270_180:                            ;   in Loop: Header=BB270_13 Depth=1
	s_or_b64 exec, exec, s[26:27]
	v_lshrrev_b16_e32 v8, 8, v8
	v_cmp_lt_i16_e64 s[4:5], s35, v8
	s_mov_b64 s[26:27], 0
                                        ; implicit-def: $sgpr38
	s_and_saveexec_b64 s[28:29], s[4:5]
	s_xor_b64 s[28:29], exec, s[28:29]
	s_cbranch_execnz .LBB270_378
; %bb.181:                              ;   in Loop: Header=BB270_13 Depth=1
	s_or_saveexec_b64 s[28:29], s[28:29]
	v_mov_b32_e32 v24, s38
	s_xor_b64 exec, exec, s[28:29]
	s_cbranch_execnz .LBB270_381
.LBB270_182:                            ;   in Loop: Header=BB270_13 Depth=1
	s_or_b64 exec, exec, s[28:29]
	s_and_saveexec_b64 s[28:29], s[26:27]
	s_cbranch_execz .LBB270_184
.LBB270_183:                            ;   in Loop: Header=BB270_13 Depth=1
	v_and_b32_e32 v24, 7, v8
	v_ffbh_u32_e32 v26, v24
	v_min_u32_e32 v53, 32, v26
	v_subrev_u32_e32 v26, 28, v53
	v_bfe_u32 v52, v8, 3, 4
	v_lshlrev_b64 v[26:27], v26, v[8:9]
	v_sub_u32_e32 v27, 29, v53
	v_cmp_eq_u32_e64 s[4:5], 0, v52
	v_and_b32_e32 v26, 7, v26
	v_mov_b32_e32 v0, 0x1c00
	v_cndmask_b32_e64 v27, v52, v27, s[4:5]
	v_cndmask_b32_e64 v24, v24, v26, s[4:5]
	v_lshlrev_b32_e32 v8, 8, v8
	v_lshl_add_u32 v26, v27, 10, v0
	v_and_or_b32 v8, v8, s37, v26
	v_lshl_or_b32 v8, v24, 7, v8
	v_cvt_f32_f16_e32 v24, v8
.LBB270_184:                            ;   in Loop: Header=BB270_13 Depth=1
	s_or_b64 exec, exec, s[28:29]
	flat_load_ushort v8, v[48:49] offset:2568
	s_mov_b64 s[4:5], 0
                                        ; implicit-def: $sgpr30
	s_waitcnt vmcnt(0) lgkmcnt(0)
	v_cmp_gt_i16_sdwa s[26:27], v8, s35 src0_sel:BYTE_0 src1_sel:DWORD
	s_and_saveexec_b64 s[28:29], s[26:27]
	s_xor_b64 s[26:27], exec, s[28:29]
	s_cbranch_execnz .LBB270_382
; %bb.185:                              ;   in Loop: Header=BB270_13 Depth=1
	s_or_saveexec_b64 s[26:27], s[26:27]
	v_mov_b32_e32 v57, s30
	s_xor_b64 exec, exec, s[26:27]
	s_cbranch_execnz .LBB270_385
.LBB270_186:                            ;   in Loop: Header=BB270_13 Depth=1
	s_or_b64 exec, exec, s[26:27]
	v_and_b32_e32 v8, 0xffff, v8
	s_and_saveexec_b64 s[26:27], s[4:5]
	s_cbranch_execz .LBB270_188
.LBB270_187:                            ;   in Loop: Header=BB270_13 Depth=1
	v_and_b32_e32 v52, 7, v8
	v_ffbh_u32_e32 v26, v52
	v_min_u32_e32 v43, 32, v26
	v_subrev_u32_e32 v26, 28, v43
	v_bfe_u32 v53, v8, 3, 4
	v_lshlrev_b64 v[26:27], v26, v[8:9]
	v_sub_u32_e32 v27, 29, v43
	v_cmp_eq_u32_e64 s[4:5], 0, v53
	v_and_b32_e32 v26, 7, v26
	v_mov_b32_e32 v0, 0x1c00
	v_cndmask_b32_e64 v27, v53, v27, s[4:5]
	v_cndmask_b32_e64 v26, v52, v26, s[4:5]
	v_lshlrev_b32_e32 v52, 8, v8
	v_lshl_add_u32 v27, v27, 10, v0
	v_and_or_b32 v27, v52, s37, v27
	v_lshl_or_b32 v26, v26, 7, v27
	v_cvt_f32_f16_e32 v57, v26
.LBB270_188:                            ;   in Loop: Header=BB270_13 Depth=1
	s_or_b64 exec, exec, s[26:27]
	v_lshrrev_b16_e32 v8, 8, v8
	v_cmp_lt_i16_e64 s[4:5], s35, v8
	s_mov_b64 s[26:27], 0
                                        ; implicit-def: $sgpr38
	s_and_saveexec_b64 s[28:29], s[4:5]
	s_xor_b64 s[28:29], exec, s[28:29]
	s_cbranch_execnz .LBB270_386
; %bb.189:                              ;   in Loop: Header=BB270_13 Depth=1
	s_or_saveexec_b64 s[28:29], s[28:29]
	v_mov_b32_e32 v60, s38
	s_xor_b64 exec, exec, s[28:29]
	s_cbranch_execnz .LBB270_389
.LBB270_190:                            ;   in Loop: Header=BB270_13 Depth=1
	s_or_b64 exec, exec, s[28:29]
	s_and_saveexec_b64 s[28:29], s[26:27]
	s_cbranch_execz .LBB270_192
.LBB270_191:                            ;   in Loop: Header=BB270_13 Depth=1
	v_and_b32_e32 v52, 7, v8
	v_ffbh_u32_e32 v26, v52
	v_min_u32_e32 v43, 32, v26
	v_subrev_u32_e32 v26, 28, v43
	v_bfe_u32 v53, v8, 3, 4
	v_lshlrev_b64 v[26:27], v26, v[8:9]
	v_sub_u32_e32 v27, 29, v43
	v_cmp_eq_u32_e64 s[4:5], 0, v53
	v_mov_b32_e32 v0, 0x1c00
	v_and_b32_e32 v26, 7, v26
	v_cndmask_b32_e64 v27, v53, v27, s[4:5]
	v_lshlrev_b32_e32 v8, 8, v8
	v_lshl_add_u32 v27, v27, 10, v0
	v_cndmask_b32_e64 v26, v52, v26, s[4:5]
	v_and_or_b32 v8, v8, s37, v27
	v_lshl_or_b32 v8, v26, 7, v8
	v_cvt_f32_f16_e32 v60, v8
.LBB270_192:                            ;   in Loop: Header=BB270_13 Depth=1
	s_or_b64 exec, exec, s[28:29]
	flat_load_ushort v8, v[48:49] offset:2816
	s_mov_b64 s[4:5], 0
                                        ; implicit-def: $sgpr30
	s_waitcnt vmcnt(0) lgkmcnt(0)
	v_cmp_gt_i16_sdwa s[26:27], v8, s35 src0_sel:BYTE_0 src1_sel:DWORD
	s_and_saveexec_b64 s[28:29], s[26:27]
	s_xor_b64 s[26:27], exec, s[28:29]
	s_cbranch_execnz .LBB270_390
; %bb.193:                              ;   in Loop: Header=BB270_13 Depth=1
	s_or_saveexec_b64 s[26:27], s[26:27]
	v_mov_b32_e32 v26, s30
	s_xor_b64 exec, exec, s[26:27]
	s_cbranch_execnz .LBB270_393
.LBB270_194:                            ;   in Loop: Header=BB270_13 Depth=1
	s_or_b64 exec, exec, s[26:27]
	v_and_b32_e32 v8, 0xffff, v8
	s_and_saveexec_b64 s[26:27], s[4:5]
	s_cbranch_execz .LBB270_196
.LBB270_195:                            ;   in Loop: Header=BB270_13 Depth=1
	v_and_b32_e32 v52, 7, v8
	v_ffbh_u32_e32 v26, v52
	v_min_u32_e32 v43, 32, v26
	v_subrev_u32_e32 v26, 28, v43
	v_bfe_u32 v53, v8, 3, 4
	v_lshlrev_b64 v[26:27], v26, v[8:9]
	v_sub_u32_e32 v27, 29, v43
	v_cmp_eq_u32_e64 s[4:5], 0, v53
	v_and_b32_e32 v26, 7, v26
	v_mov_b32_e32 v0, 0x1c00
	v_cndmask_b32_e64 v27, v53, v27, s[4:5]
	v_cndmask_b32_e64 v26, v52, v26, s[4:5]
	v_lshlrev_b32_e32 v52, 8, v8
	v_lshl_add_u32 v27, v27, 10, v0
	v_and_or_b32 v27, v52, s37, v27
	v_lshl_or_b32 v26, v26, 7, v27
	v_cvt_f32_f16_e32 v26, v26
.LBB270_196:                            ;   in Loop: Header=BB270_13 Depth=1
	s_or_b64 exec, exec, s[26:27]
	v_lshrrev_b16_e32 v8, 8, v8
	v_cmp_lt_i16_e64 s[4:5], s35, v8
	s_mov_b64 s[26:27], 0
                                        ; implicit-def: $sgpr38
	s_and_saveexec_b64 s[28:29], s[4:5]
	s_xor_b64 s[28:29], exec, s[28:29]
	s_cbranch_execnz .LBB270_394
; %bb.197:                              ;   in Loop: Header=BB270_13 Depth=1
	s_or_saveexec_b64 s[28:29], s[28:29]
	v_mov_b32_e32 v62, s38
	s_xor_b64 exec, exec, s[28:29]
	s_cbranch_execnz .LBB270_397
.LBB270_198:                            ;   in Loop: Header=BB270_13 Depth=1
	s_or_b64 exec, exec, s[28:29]
	s_and_saveexec_b64 s[28:29], s[26:27]
	s_cbranch_execz .LBB270_200
.LBB270_199:                            ;   in Loop: Header=BB270_13 Depth=1
	v_and_b32_e32 v27, 7, v8
	v_ffbh_u32_e32 v52, v27
	v_min_u32_e32 v61, 32, v52
	v_subrev_u32_e32 v52, 28, v61
	v_bfe_u32 v43, v8, 3, 4
	v_lshlrev_b64 v[52:53], v52, v[8:9]
	v_sub_u32_e32 v53, 29, v61
	v_cmp_eq_u32_e64 s[4:5], 0, v43
	v_and_b32_e32 v52, 7, v52
	v_mov_b32_e32 v0, 0x1c00
	v_cndmask_b32_e64 v53, v43, v53, s[4:5]
	v_cndmask_b32_e64 v27, v27, v52, s[4:5]
	v_lshlrev_b32_e32 v8, 8, v8
	v_lshl_add_u32 v52, v53, 10, v0
	v_and_or_b32 v8, v8, s37, v52
	v_lshl_or_b32 v8, v27, 7, v8
	v_cvt_f32_f16_e32 v62, v8
.LBB270_200:                            ;   in Loop: Header=BB270_13 Depth=1
	s_or_b64 exec, exec, s[28:29]
	flat_load_ushort v8, v[48:49] offset:2824
	s_mov_b64 s[4:5], 0
                                        ; implicit-def: $sgpr30
	s_waitcnt vmcnt(0) lgkmcnt(0)
	v_cmp_gt_i16_sdwa s[26:27], v8, s35 src0_sel:BYTE_0 src1_sel:DWORD
	s_and_saveexec_b64 s[28:29], s[26:27]
	s_xor_b64 s[26:27], exec, s[28:29]
	s_cbranch_execnz .LBB270_398
; %bb.201:                              ;   in Loop: Header=BB270_13 Depth=1
	s_or_saveexec_b64 s[26:27], s[26:27]
	v_mov_b32_e32 v27, s30
	s_xor_b64 exec, exec, s[26:27]
	s_cbranch_execnz .LBB270_401
.LBB270_202:                            ;   in Loop: Header=BB270_13 Depth=1
	s_or_b64 exec, exec, s[26:27]
	v_and_b32_e32 v8, 0xffff, v8
	s_and_saveexec_b64 s[26:27], s[4:5]
	s_cbranch_execz .LBB270_204
.LBB270_203:                            ;   in Loop: Header=BB270_13 Depth=1
	v_and_b32_e32 v27, 7, v8
	v_ffbh_u32_e32 v48, v27
	v_min_u32_e32 v53, 32, v48
	v_subrev_u32_e32 v48, 28, v53
	v_bfe_u32 v52, v8, 3, 4
	v_lshlrev_b64 v[48:49], v48, v[8:9]
	v_sub_u32_e32 v49, 29, v53
	v_cmp_eq_u32_e64 s[4:5], 0, v52
	v_and_b32_e32 v48, 7, v48
	v_mov_b32_e32 v0, 0x1c00
	v_cndmask_b32_e64 v49, v52, v49, s[4:5]
	v_cndmask_b32_e64 v27, v27, v48, s[4:5]
	v_lshlrev_b32_e32 v48, 8, v8
	v_lshl_add_u32 v49, v49, 10, v0
	v_and_or_b32 v48, v48, s37, v49
	v_lshl_or_b32 v27, v27, 7, v48
	v_cvt_f32_f16_e32 v27, v27
.LBB270_204:                            ;   in Loop: Header=BB270_13 Depth=1
	s_or_b64 exec, exec, s[26:27]
	v_lshrrev_b16_e32 v8, 8, v8
	v_cmp_lt_i16_e64 s[4:5], s35, v8
	s_mov_b64 s[26:27], 0
                                        ; implicit-def: $sgpr38
	s_and_saveexec_b64 s[28:29], s[4:5]
	s_xor_b64 s[28:29], exec, s[28:29]
	s_cbranch_execz .LBB270_208
; %bb.205:                              ;   in Loop: Header=BB270_13 Depth=1
	v_cmp_eq_u16_e64 s[4:5], s36, v8
	s_mov_b64 s[26:27], -1
                                        ; implicit-def: $sgpr38
	s_and_saveexec_b64 s[30:31], s[4:5]
; %bb.206:                              ;   in Loop: Header=BB270_13 Depth=1
	s_mov_b32 s38, 0x7fc02000
	s_xor_b64 s[26:27], exec, -1
; %bb.207:                              ;   in Loop: Header=BB270_13 Depth=1
	s_or_b64 exec, exec, s[30:31]
	s_and_b64 s[26:27], s[26:27], exec
.LBB270_208:                            ;   in Loop: Header=BB270_13 Depth=1
	s_or_saveexec_b64 s[28:29], s[28:29]
	v_mov_b32_e32 v61, s38
	s_xor_b64 exec, exec, s[28:29]
; %bb.209:                              ;   in Loop: Header=BB270_13 Depth=1
	v_cmp_ne_u16_e64 s[4:5], 0, v8
	s_andn2_b64 s[26:27], s[26:27], exec
	s_and_b64 s[4:5], s[4:5], exec
	v_mov_b32_e32 v61, 0
	s_or_b64 s[26:27], s[26:27], s[4:5]
; %bb.210:                              ;   in Loop: Header=BB270_13 Depth=1
	s_or_b64 exec, exec, s[28:29]
	v_accvgpr_write_b32 a59, v7
	v_accvgpr_write_b32 a57, v30
	;; [unrolled: 1-line block ×5, first 2 shown]
	v_mov_b32_e32 v15, v1
	s_and_saveexec_b64 s[28:29], s[26:27]
	s_cbranch_execz .LBB270_212
; %bb.211:                              ;   in Loop: Header=BB270_13 Depth=1
	v_and_b32_e32 v52, 7, v8
	v_ffbh_u32_e32 v48, v52
	v_min_u32_e32 v43, 32, v48
	v_subrev_u32_e32 v48, 28, v43
	v_bfe_u32 v53, v8, 3, 4
	v_lshlrev_b64 v[48:49], v48, v[8:9]
	v_sub_u32_e32 v49, 29, v43
	v_cmp_eq_u32_e64 s[4:5], 0, v53
	v_mov_b32_e32 v0, 0x1c00
	v_and_b32_e32 v48, 7, v48
	v_cndmask_b32_e64 v49, v53, v49, s[4:5]
	v_lshlrev_b32_e32 v8, 8, v8
	v_lshl_add_u32 v49, v49, 10, v0
	v_cndmask_b32_e64 v48, v52, v48, s[4:5]
	v_and_or_b32 v8, v8, s37, v49
	v_lshl_or_b32 v8, v48, 7, v8
	v_cvt_f32_f16_e32 v61, v8
.LBB270_212:                            ;   in Loop: Header=BB270_13 Depth=1
	s_or_b64 exec, exec, s[28:29]
	v_accvgpr_read_b32 v13, a37
	ds_read_b32 v8, v13
	v_fma_mixlo_f16 v48, v59, v10, 0
	v_fma_mixlo_f16 v49, v59, v11, 0
	;; [unrolled: 1-line block ×4, first 2 shown]
	s_waitcnt lgkmcnt(0)
	v_lshrrev_b32_e32 v52, 16, v8
	v_and_b32_e32 v8, 0xffff, v8
	;;#ASMSTART
	v_cvt_f32_f16 v53, v8;
	;;#ASMEND
	v_and_b32_e32 v8, 0xffff, v48
	;;#ASMSTART
	v_cvt_f32_f16 v43, v52;
	;;#ASMEND
	;;#ASMSTART
	v_cvt_f32_f16 v10, v8;
	;;#ASMEND
	v_and_b32_e32 v8, 0xffff, v49
	;;#ASMSTART
	v_cvt_f32_f16 v37, v8;
	;;#ASMEND
	ds_read_b32 v48, v13 offset:4
	v_fma_mixlo_f16 v8, v59, v62, 0
	v_fma_mixlo_f16 v49, v59, v20, 0
	;; [unrolled: 1-line block ×3, first 2 shown]
	v_and_b32_e32 v4, 0xffff, v4
	s_waitcnt lgkmcnt(0)
	v_lshrrev_b32_e32 v62, 16, v48
	v_and_b32_e32 v48, 0xffff, v48
	;;#ASMSTART
	v_cvt_f32_f16 v55, v48;
	;;#ASMEND
	v_and_b32_e32 v48, 0xffff, v49
	;;#ASMSTART
	v_cvt_f32_f16 v62, v62;
	;;#ASMEND
	;;#ASMSTART
	v_cvt_f32_f16 v36, v48;
	;;#ASMEND
	v_and_b32_e32 v48, 0xffff, v52
	;;#ASMSTART
	v_cvt_f32_f16 v46, v48;
	;;#ASMEND
	ds_read_b32 v52, v13 offset:8
	v_fma_mixlo_f16 v49, v59, v57, 0
	v_fma_mixlo_f16 v57, v59, v23, 0
	;; [unrolled: 1-line block ×4, first 2 shown]
	s_waitcnt lgkmcnt(0)
	v_lshrrev_b32_e32 v33, 16, v52
	v_and_b32_e32 v52, 0xffff, v52
	;;#ASMSTART
	v_cvt_f32_f16 v39, v52;
	;;#ASMEND
	;;#ASMSTART
	v_cvt_f32_f16 v47, v33;
	;;#ASMEND
	v_and_b32_e32 v33, 0xffff, v57
	;;#ASMSTART
	v_cvt_f32_f16 v32, v33;
	;;#ASMEND
	v_and_b32_e32 v33, 0xffff, v60
	;;#ASMSTART
	v_cvt_f32_f16 v30, v33;
	;;#ASMEND
	ds_read_b32 v33, v13 offset:12
	v_fma_mixlo_f16 v52, v59, v25, 0
	v_fma_mixlo_f16 v25, v59, v24, 0
	;; [unrolled: 1-line block ×4, first 2 shown]
	s_waitcnt lgkmcnt(0)
	v_lshrrev_b32_e32 v60, 16, v33
	v_and_b32_e32 v33, 0xffff, v33
	v_and_b32_e32 v24, 0xffff, v24
	;;#ASMSTART
	v_cvt_f32_f16 v54, v33;
	;;#ASMEND
	;;#ASMSTART
	v_cvt_f32_f16 v1, v60;
	;;#ASMEND
	;;#ASMSTART
	v_cvt_f32_f16 v11, v24;
	;;#ASMEND
	v_and_b32_e32 v24, 0xffff, v57
	;;#ASMSTART
	v_cvt_f32_f16 v0, v24;
	;;#ASMEND
	ds_read_b32 v33, v13 offset:16
	v_mul_f32_e32 v24, v55, v36
	v_fma_mixlo_f16 v60, v59, v35, 0
	v_fmac_f32_e32 v24, v53, v10
	v_fma_mixlo_f16 v53, v59, v40, 0
	s_waitcnt lgkmcnt(0)
	v_lshrrev_b32_e32 v10, 16, v33
	v_and_b32_e32 v33, 0xffff, v33
	;;#ASMSTART
	v_cvt_f32_f16 v3, v33;
	;;#ASMEND
	;;#ASMSTART
	v_cvt_f32_f16 v57, v10;
	;;#ASMEND
	v_and_b32_e32 v10, 0xffff, v60
	;;#ASMSTART
	v_cvt_f32_f16 v34, v10;
	;;#ASMEND
	v_and_b32_e32 v10, 0xffff, v31
	;;#ASMSTART
	v_cvt_f32_f16 v33, v10;
	;;#ASMEND
	ds_read_b32 v10, v13 offset:20
	v_fma_mixlo_f16 v55, v59, v5, 0
	v_mul_f32_e32 v5, v62, v46
	v_fma_mixlo_f16 v40, v59, v38, 0
	v_fmac_f32_e32 v5, v43, v37
	s_waitcnt lgkmcnt(0)
	v_lshrrev_b32_e32 v36, 16, v10
	v_and_b32_e32 v10, 0xffff, v10
	;;#ASMSTART
	v_cvt_f32_f16 v46, v10;
	;;#ASMEND
	v_and_b32_e32 v10, 0xffff, v53
	;;#ASMSTART
	v_cvt_f32_f16 v36, v36;
	;;#ASMEND
	;;#ASMSTART
	v_cvt_f32_f16 v60, v10;
	;;#ASMEND
	v_and_b32_e32 v10, 0xffff, v55
	;;#ASMSTART
	v_cvt_f32_f16 v55, v10;
	;;#ASMEND
	ds_read_b32 v10, v13 offset:24
	v_fma_mixlo_f16 v31, v59, v42, 0
	v_fma_mixlo_f16 v42, v59, v50, 0
	v_fmac_f32_e32 v24, v39, v32
	v_fma_mixlo_f16 v43, v59, v51, 0
	s_waitcnt lgkmcnt(0)
	v_lshrrev_b32_e32 v38, 16, v10
	v_and_b32_e32 v10, 0xffff, v10
	;;#ASMSTART
	v_cvt_f32_f16 v37, v10;
	;;#ASMEND
	;;#ASMSTART
	v_cvt_f32_f16 v38, v38;
	;;#ASMEND
	;; [unrolled: 3-line block ×3, first 2 shown]
	v_and_b32_e32 v4, 0xffff, v40
	;;#ASMSTART
	v_cvt_f32_f16 v40, v4;
	;;#ASMEND
	ds_read_b32 v10, v13 offset:28
	v_fma_mixlo_f16 v4, v59, v19, 0
	v_fma_mixlo_f16 v2, v59, v45, 0
	v_fmac_f32_e32 v5, v47, v30
	v_and_b32_e32 v2, 0xffff, v2
	s_waitcnt lgkmcnt(0)
	v_lshrrev_b32_e32 v32, 16, v10
	v_and_b32_e32 v10, 0xffff, v10
	;;#ASMSTART
	v_cvt_f32_f16 v19, v10;
	;;#ASMEND
	v_and_b32_e32 v10, 0xffff, v42
	;;#ASMSTART
	v_cvt_f32_f16 v32, v32;
	;;#ASMEND
	;;#ASMSTART
	v_cvt_f32_f16 v39, v10;
	;;#ASMEND
	v_and_b32_e32 v10, 0xffff, v43
	;;#ASMSTART
	v_cvt_f32_f16 v42, v10;
	;;#ASMEND
	ds_read_b32 v10, v13 offset:32
	v_fma_mixlo_f16 v43, v59, v41, 0
	v_fmac_f32_e32 v24, v54, v11
	v_fma_mixlo_f16 v7, v59, v58, 0
	v_accvgpr_read_b32 v12, a50
	s_waitcnt lgkmcnt(0)
	v_lshrrev_b32_e32 v47, 16, v10
	v_and_b32_e32 v10, 0xffff, v10
	;;#ASMSTART
	v_cvt_f32_f16 v30, v10;
	;;#ASMEND
	;;#ASMSTART
	v_cvt_f32_f16 v47, v47;
	;;#ASMEND
	v_and_b32_e32 v10, 0xffff, v43
	;;#ASMSTART
	v_cvt_f32_f16 v62, v10;
	;;#ASMEND
	;;#ASMSTART
	v_cvt_f32_f16 v43, v2;
	;;#ASMEND
	ds_read_b32 v2, v13 offset:36
	v_fma_mixlo_f16 v10, v59, v56, 0
	v_fma_mixlo_f16 v51, v59, v12, 0
	v_accvgpr_read_b32 v12, a51
	v_fmac_f32_e32 v5, v1, v0
	s_waitcnt lgkmcnt(0)
	v_lshrrev_b32_e32 v54, 16, v2
	v_and_b32_e32 v2, 0xffff, v2
	;;#ASMSTART
	v_cvt_f32_f16 v11, v2;
	;;#ASMEND
	v_and_b32_e32 v2, 0xffff, v10
	;;#ASMSTART
	v_cvt_f32_f16 v54, v54;
	;;#ASMEND
	;;#ASMSTART
	v_cvt_f32_f16 v10, v2;
	;;#ASMEND
	v_and_b32_e32 v2, 0xffff, v7
	;;#ASMSTART
	v_cvt_f32_f16 v2, v2;
	;;#ASMEND
	ds_read_b32 v7, v13 offset:40
	v_fma_mixlo_f16 v35, v59, v12, 0
	v_fmac_f32_e32 v24, v3, v34
	v_fmac_f32_e32 v5, v57, v33
	v_accvgpr_read_b32 v20, a56
	s_waitcnt lgkmcnt(0)
	v_lshrrev_b32_e32 v0, 16, v7
	v_and_b32_e32 v1, 0xffff, v7
	;;#ASMSTART
	v_cvt_f32_f16 v58, v1;
	;;#ASMEND
	;;#ASMSTART
	v_cvt_f32_f16 v50, v0;
	;;#ASMEND
	v_and_b32_e32 v0, 0xffff, v51
	;;#ASMSTART
	v_cvt_f32_f16 v51, v0;
	;;#ASMEND
	v_and_b32_e32 v0, 0xffff, v35
	;;#ASMSTART
	v_cvt_f32_f16 v35, v0;
	;;#ASMEND
	ds_read_b32 v0, v13 offset:44
	v_fma_mixlo_f16 v1, v59, v15, 0
	v_accvgpr_read_b32 v7, a52
	v_fma_mixlo_f16 v28, v59, v7, 0
	v_accvgpr_read_b32 v7, a54
	s_waitcnt lgkmcnt(0)
	v_lshrrev_b32_e32 v3, 16, v0
	v_and_b32_e32 v0, 0xffff, v0
	;;#ASMSTART
	v_cvt_f32_f16 v29, v0;
	;;#ASMEND
	v_and_b32_e32 v0, 0xffff, v1
	;;#ASMSTART
	v_cvt_f32_f16 v3, v3;
	;;#ASMEND
	;;#ASMSTART
	v_cvt_f32_f16 v34, v0;
	;;#ASMEND
	v_and_b32_e32 v0, 0xffff, v28
	;;#ASMSTART
	v_cvt_f32_f16 v28, v0;
	;;#ASMEND
	ds_read_b32 v0, v13 offset:48
	v_accvgpr_read_b32 v1, a53
	v_fma_mixlo_f16 v1, v59, v1, 0
	v_fma_mixlo_f16 v7, v59, v7, 0
	v_fmac_f32_e32 v24, v46, v60
	s_waitcnt lgkmcnt(0)
	v_lshrrev_b32_e32 v33, 16, v0
	v_and_b32_e32 v0, 0xffff, v0
	;;#ASMSTART
	v_cvt_f32_f16 v57, v0;
	;;#ASMEND
	v_and_b32_e32 v0, 0xffff, v1
	;;#ASMSTART
	v_cvt_f32_f16 v33, v33;
	;;#ASMEND
	;;#ASMSTART
	v_cvt_f32_f16 v12, v0;
	;;#ASMEND
	v_and_b32_e32 v0, 0xffff, v7
	;;#ASMSTART
	v_cvt_f32_f16 v7, v0;
	;;#ASMEND
	ds_read_b32 v0, v13 offset:52
	v_accvgpr_read_b32 v1, a59
	v_fma_mixlo_f16 v15, v59, v1, 0
	v_accvgpr_read_b32 v1, a55
	v_fma_mixlo_f16 v1, v59, v1, 0
	s_waitcnt lgkmcnt(0)
	v_lshrrev_b32_e32 v46, 16, v0
	v_and_b32_e32 v0, 0xffff, v0
	v_fma_mixlo_f16 v23, v59, v20, 0
	;;#ASMSTART
	v_cvt_f32_f16 v60, v0;
	;;#ASMEND
	v_and_b32_e32 v0, 0xffff, v1
	;;#ASMSTART
	v_cvt_f32_f16 v46, v46;
	;;#ASMEND
	;;#ASMSTART
	v_cvt_f32_f16 v41, v0;
	;;#ASMEND
	v_and_b32_e32 v0, 0xffff, v23
	;;#ASMSTART
	v_cvt_f32_f16 v23, v0;
	;;#ASMEND
	ds_read_b32 v0, v13 offset:56
	v_accvgpr_read_b32 v1, a60
	v_fma_mixlo_f16 v56, v59, v1, 0
	v_accvgpr_read_b32 v1, a57
	v_fma_mixlo_f16 v1, v59, v1, 0
	v_accvgpr_read_b32 v20, a58
	s_waitcnt lgkmcnt(0)
	v_lshrrev_b32_e32 v21, 16, v0
	v_and_b32_e32 v0, 0xffff, v0
	v_fma_mixlo_f16 v20, v59, v20, 0
	v_fmac_f32_e32 v5, v36, v55
	;;#ASMSTART
	v_cvt_f32_f16 v36, v0;
	;;#ASMEND
	v_and_b32_e32 v0, 0xffff, v1
	;;#ASMSTART
	v_cvt_f32_f16 v21, v21;
	;;#ASMEND
	;;#ASMSTART
	v_cvt_f32_f16 v55, v0;
	;;#ASMEND
	v_and_b32_e32 v0, 0xffff, v20
	;;#ASMSTART
	v_cvt_f32_f16 v20, v0;
	;;#ASMEND
	ds_read_b32 v45, v13 offset:60
	v_fma_mixlo_f16 v1, v59, v27, 0
	v_fmac_f32_e32 v24, v37, v53
	v_fmac_f32_e32 v5, v38, v40
	v_and_b32_e32 v15, 0xffff, v15
	s_waitcnt lgkmcnt(0)
	v_lshrrev_b32_e32 v27, 16, v45
	v_and_b32_e32 v37, 0xffff, v45
	v_and_b32_e32 v38, 0xffff, v56
	;;#ASMSTART
	v_cvt_f32_f16 v37, v37;
	;;#ASMEND
	;;#ASMSTART
	v_cvt_f32_f16 v27, v27;
	;;#ASMEND
	;;#ASMSTART
	v_cvt_f32_f16 v15, v15;
	;;#ASMEND
	;;#ASMSTART
	v_cvt_f32_f16 v38, v38;
	;;#ASMEND
	ds_read_b32 v53, v13 offset:64
	v_fma_mixlo_f16 v14, v59, v14, 0
	v_fma_mixlo_f16 v16, v59, v16, 0
	v_fmac_f32_e32 v24, v19, v39
	v_fmac_f32_e32 v24, v30, v62
	s_waitcnt lgkmcnt(0)
	v_lshrrev_b32_e32 v19, 16, v53
	v_and_b32_e32 v30, 0xffff, v53
	v_and_b32_e32 v14, 0xffff, v14
	;; [unrolled: 1-line block ×3, first 2 shown]
	v_fmac_f32_e32 v5, v32, v42
	;;#ASMSTART
	v_cvt_f32_f16 v30, v30;
	;;#ASMEND
	;;#ASMSTART
	v_cvt_f32_f16 v19, v19;
	;;#ASMEND
	;; [unrolled: 3-line block ×4, first 2 shown]
	ds_read_b32 v32, v13 offset:68
	v_fma_mixlo_f16 v17, v59, v17, 0
	v_fma_mixlo_f16 v18, v59, v18, 0
	v_fmac_f32_e32 v5, v47, v43
	v_fmac_f32_e32 v24, v11, v10
	;; [unrolled: 1-line block ×3, first 2 shown]
	s_waitcnt lgkmcnt(0)
	v_lshrrev_b32_e32 v2, 16, v32
	v_and_b32_e32 v10, 0xffff, v32
	v_and_b32_e32 v11, 0xffff, v17
	v_and_b32_e32 v17, 0xffff, v18
	;;#ASMSTART
	v_cvt_f32_f16 v10, v10;
	;;#ASMEND
	;;#ASMSTART
	v_cvt_f32_f16 v2, v2;
	;;#ASMEND
	;; [unrolled: 3-line block ×4, first 2 shown]
	ds_read_b32 v17, v13 offset:72
	v_fmac_f32_e32 v5, v50, v35
	v_fma_mixlo_f16 v6, v59, v6, 0
	v_fmac_f32_e32 v24, v58, v51
	v_fmac_f32_e32 v5, v3, v28
	;; [unrolled: 1-line block ×4, first 2 shown]
	s_waitcnt lgkmcnt(0)
	v_lshrrev_b32_e32 v3, 16, v17
	v_and_b32_e32 v7, 0xffff, v17
	v_and_b32_e32 v4, 0xffff, v4
	;; [unrolled: 1-line block ×3, first 2 shown]
	v_fmac_f32_e32 v24, v57, v12
	;;#ASMSTART
	v_cvt_f32_f16 v7, v7;
	;;#ASMEND
	;;#ASMSTART
	v_cvt_f32_f16 v3, v3;
	;;#ASMEND
	;; [unrolled: 3-line block ×4, first 2 shown]
	ds_read_b32 v12, v13 offset:76
	v_fma_mixlo_f16 v22, v59, v22, 0
	v_fmac_f32_e32 v5, v46, v23
	v_fmac_f32_e32 v5, v21, v20
	v_and_b32_e32 v18, 0xffff, v31
	s_waitcnt lgkmcnt(0)
	v_lshrrev_b32_e32 v17, 16, v12
	v_and_b32_e32 v12, 0xffff, v12
	v_and_b32_e32 v20, 0xffff, v22
	;;#ASMSTART
	v_cvt_f32_f16 v12, v12;
	;;#ASMEND
	;;#ASMSTART
	v_cvt_f32_f16 v17, v17;
	;;#ASMEND
	;; [unrolled: 3-line block ×4, first 2 shown]
	ds_read_b32 v21, v13 offset:80
	v_fmac_f32_e32 v24, v60, v41
	v_fmac_f32_e32 v24, v36, v55
	;; [unrolled: 1-line block ×6, first 2 shown]
	s_waitcnt lgkmcnt(0)
	v_lshrrev_b32_e32 v14, 16, v21
	v_and_b32_e32 v15, 0xffff, v21
	v_and_b32_e32 v16, 0xffff, v52
	v_and_b32_e32 v19, 0xffff, v25
	;;#ASMSTART
	v_cvt_f32_f16 v15, v15;
	;;#ASMEND
	;;#ASMSTART
	v_cvt_f32_f16 v14, v14;
	;;#ASMEND
	;; [unrolled: 3-line block ×4, first 2 shown]
	ds_read_b32 v21, v13 offset:84
	v_fmac_f32_e32 v24, v10, v11
	v_fmac_f32_e32 v5, v2, v32
	;; [unrolled: 1-line block ×4, first 2 shown]
	s_waitcnt lgkmcnt(0)
	v_lshrrev_b32_e32 v2, 16, v21
	v_and_b32_e32 v3, 0xffff, v21
	v_and_b32_e32 v4, 0xffff, v49
	;; [unrolled: 1-line block ×3, first 2 shown]
	;;#ASMSTART
	v_cvt_f32_f16 v3, v3;
	;;#ASMEND
	;;#ASMSTART
	v_cvt_f32_f16 v2, v2;
	;;#ASMEND
	;; [unrolled: 3-line block ×4, first 2 shown]
	ds_read_b32 v7, v13 offset:88
	v_fma_mixlo_f16 v26, v59, v26, 0
	v_and_b32_e32 v11, 0xffff, v26
	v_and_b32_e32 v8, 0xffff, v8
	v_fmac_f32_e32 v24, v12, v18
	s_waitcnt lgkmcnt(0)
	v_lshrrev_b32_e32 v10, 16, v7
	v_and_b32_e32 v7, 0xffff, v7
	;;#ASMSTART
	v_cvt_f32_f16 v7, v7;
	;;#ASMEND
	;;#ASMSTART
	v_cvt_f32_f16 v10, v10;
	;;#ASMEND
	;; [unrolled: 3-line block ×4, first 2 shown]
	ds_read_b32 v12, v13 offset:92
	v_fmac_f32_e32 v5, v17, v20
	v_fmac_f32_e32 v24, v15, v16
	;; [unrolled: 1-line block ×4, first 2 shown]
	s_waitcnt lgkmcnt(0)
	v_and_b32_e32 v3, 0xffff, v12
	v_fmac_f32_e32 v5, v2, v6
	v_fmac_f32_e32 v24, v7, v11
	v_lshrrev_b32_e32 v2, 16, v12
	;;#ASMSTART
	v_cvt_f32_f16 v3, v3;
	;;#ASMEND
	v_and_b32_e32 v1, 0xffff, v1
	v_fma_mixlo_f16 v0, v59, v61, 0
	;;#ASMSTART
	v_cvt_f32_f16 v2, v2;
	;;#ASMEND
	;;#ASMSTART
	v_cvt_f32_f16 v1, v1;
	;;#ASMEND
	v_fmac_f32_e32 v5, v10, v8
	v_fmac_f32_e32 v24, v3, v1
	v_accvgpr_read_b32 v3, a48
	v_and_b32_e32 v0, 0xffff, v0
	v_and_b32_e32 v1, 64, v3
	;;#ASMSTART
	v_cvt_f32_f16 v0, v0;
	;;#ASMEND
	v_add_u32_e32 v1, 64, v1
	v_fmac_f32_e32 v5, v2, v0
	v_xor_b32_e32 v2, 2, v3
	v_cmp_lt_i32_e64 s[4:5], v2, v1
	v_add_f32_e32 v0, v24, v5
	s_nop 0
	v_cndmask_b32_e64 v2, v3, v2, s[4:5]
	v_lshlrev_b32_e32 v2, 2, v2
	ds_bpermute_b32 v2, v2, v0
	s_waitcnt lgkmcnt(0)
	v_add_f32_e32 v0, v0, v2
	v_xor_b32_e32 v2, 1, v3
	v_cmp_lt_i32_e64 s[4:5], v2, v1
	s_nop 1
	v_cndmask_b32_e64 v1, v3, v2, s[4:5]
	v_lshlrev_b32_e32 v1, 2, v1
	ds_bpermute_b32 v1, v1, v0
	s_and_saveexec_b64 s[26:27], vcc
	s_cbranch_execz .LBB270_11
; %bb.213:                              ;   in Loop: Header=BB270_13 Depth=1
	scratch_load_dword v4, off, s32 offset:188 ; 4-byte Folded Reload
	v_accvgpr_read_b32 v2, a45
	v_add_u32_e32 v2, v2, v44
	v_cvt_f32_i32_e32 v2, v2
	s_waitcnt lgkmcnt(0)
	v_add_f32_e32 v0, v0, v1
	v_accvgpr_read_b32 v1, a34
	s_load_dword s4, s[22:23], 0x0
	v_accvgpr_read_b32 v3, a36
	v_add_u32_e32 v3, v3, v44
	s_waitcnt vmcnt(0)
	v_mul_f32_e32 v2, v4, v2
	v_cndmask_b32_e64 v2, 0, v2, s[2:3]
	v_fmac_f32_e32 v2, v0, v1
	scratch_load_dword v1, off, s32 offset:184 ; 4-byte Folded Reload
	v_accvgpr_read_b32 v4, a43
	v_accvgpr_read_b32 v0, a8
	s_waitcnt lgkmcnt(0)
	v_add_u32_e32 v4, s4, v4
	v_cmp_lt_i32_e64 s[4:5], v3, v0
	s_nop 1
	v_cndmask_b32_e64 v0, 0, v2, s[4:5]
	ds_write_b32 v4, v0
	s_waitcnt vmcnt(0)
	v_max_f32_e32 v0, v1, v1
	v_max_f32_e32 v0, v0, v2
	v_cndmask_b32_e64 v1, v1, v0, s[4:5]
	scratch_store_dword off, v1, s32 offset:184 ; 4-byte Folded Spill
	s_branch .LBB270_11
.LBB270_214:                            ;   in Loop: Header=BB270_13 Depth=1
	v_cmp_eq_u16_sdwa s[38:39], v0, s36 src0_sel:BYTE_0 src1_sel:DWORD
	s_mov_b64 s[4:5], -1
                                        ; implicit-def: $sgpr30
	s_and_saveexec_b64 s[28:29], s[38:39]
; %bb.215:                              ;   in Loop: Header=BB270_13 Depth=1
	s_mov_b32 s30, 0x7fc02000
	s_xor_b64 s[4:5], exec, -1
; %bb.216:                              ;   in Loop: Header=BB270_13 Depth=1
	s_or_b64 exec, exec, s[28:29]
	s_and_b64 s[4:5], s[4:5], exec
	s_or_saveexec_b64 s[26:27], s[26:27]
	v_mov_b32_e32 v10, s30
	s_xor_b64 exec, exec, s[26:27]
	s_cbranch_execz .LBB270_18
.LBB270_217:                            ;   in Loop: Header=BB270_13 Depth=1
	v_cmp_ne_u16_sdwa s[28:29], v0, v9 src0_sel:BYTE_0 src1_sel:DWORD
	s_andn2_b64 s[4:5], s[4:5], exec
	s_and_b64 s[28:29], s[28:29], exec
	v_mov_b32_e32 v10, 0
	s_or_b64 s[4:5], s[4:5], s[28:29]
	s_or_b64 exec, exec, s[26:27]
	v_and_b32_e32 v8, 0xffff, v0
	s_and_saveexec_b64 s[26:27], s[4:5]
	s_cbranch_execnz .LBB270_19
	s_branch .LBB270_20
.LBB270_218:                            ;   in Loop: Header=BB270_13 Depth=1
	v_cmp_eq_u16_e64 s[4:5], s36, v8
	s_mov_b64 s[26:27], -1
                                        ; implicit-def: $sgpr38
	s_and_saveexec_b64 s[30:31], s[4:5]
; %bb.219:                              ;   in Loop: Header=BB270_13 Depth=1
	s_mov_b32 s38, 0x7fc02000
	s_xor_b64 s[26:27], exec, -1
; %bb.220:                              ;   in Loop: Header=BB270_13 Depth=1
	s_or_b64 exec, exec, s[30:31]
	s_and_b64 s[26:27], s[26:27], exec
	s_or_saveexec_b64 s[28:29], s[28:29]
	v_mov_b32_e32 v11, s38
	s_xor_b64 exec, exec, s[28:29]
	s_cbranch_execz .LBB270_22
.LBB270_221:                            ;   in Loop: Header=BB270_13 Depth=1
	v_cmp_ne_u16_e64 s[4:5], 0, v8
	s_andn2_b64 s[26:27], s[26:27], exec
	s_and_b64 s[4:5], s[4:5], exec
	v_mov_b32_e32 v11, 0
	s_or_b64 s[26:27], s[26:27], s[4:5]
	s_or_b64 exec, exec, s[28:29]
	s_and_saveexec_b64 s[28:29], s[26:27]
	s_cbranch_execnz .LBB270_23
	s_branch .LBB270_24
.LBB270_222:                            ;   in Loop: Header=BB270_13 Depth=1
	v_cmp_eq_u16_sdwa s[38:39], v0, s36 src0_sel:BYTE_0 src1_sel:DWORD
	s_mov_b64 s[4:5], -1
                                        ; implicit-def: $sgpr30
	s_and_saveexec_b64 s[28:29], s[38:39]
; %bb.223:                              ;   in Loop: Header=BB270_13 Depth=1
	s_mov_b32 s30, 0x7fc02000
	s_xor_b64 s[4:5], exec, -1
; %bb.224:                              ;   in Loop: Header=BB270_13 Depth=1
	s_or_b64 exec, exec, s[28:29]
	s_and_b64 s[4:5], s[4:5], exec
	s_or_saveexec_b64 s[26:27], s[26:27]
	v_mov_b32_e32 v20, s30
	s_xor_b64 exec, exec, s[26:27]
	s_cbranch_execz .LBB270_26
.LBB270_225:                            ;   in Loop: Header=BB270_13 Depth=1
	v_cmp_ne_u16_sdwa s[28:29], v0, v9 src0_sel:BYTE_0 src1_sel:DWORD
	s_andn2_b64 s[4:5], s[4:5], exec
	s_and_b64 s[28:29], s[28:29], exec
	v_mov_b32_e32 v20, 0
	s_or_b64 s[4:5], s[4:5], s[28:29]
	s_or_b64 exec, exec, s[26:27]
	v_and_b32_e32 v8, 0xffff, v0
	s_and_saveexec_b64 s[26:27], s[4:5]
	s_cbranch_execnz .LBB270_27
	s_branch .LBB270_28
.LBB270_226:                            ;   in Loop: Header=BB270_13 Depth=1
	v_cmp_eq_u16_e64 s[4:5], s36, v8
	s_mov_b64 s[26:27], -1
                                        ; implicit-def: $sgpr38
	s_and_saveexec_b64 s[30:31], s[4:5]
; %bb.227:                              ;   in Loop: Header=BB270_13 Depth=1
	s_mov_b32 s38, 0x7fc02000
	s_xor_b64 s[26:27], exec, -1
; %bb.228:                              ;   in Loop: Header=BB270_13 Depth=1
	s_or_b64 exec, exec, s[30:31]
	s_and_b64 s[26:27], s[26:27], exec
	s_or_saveexec_b64 s[28:29], s[28:29]
	v_mov_b32_e32 v21, s38
	s_xor_b64 exec, exec, s[28:29]
	s_cbranch_execz .LBB270_30
.LBB270_229:                            ;   in Loop: Header=BB270_13 Depth=1
	v_cmp_ne_u16_e64 s[4:5], 0, v8
	s_andn2_b64 s[26:27], s[26:27], exec
	s_and_b64 s[4:5], s[4:5], exec
	v_mov_b32_e32 v21, 0
	s_or_b64 s[26:27], s[26:27], s[4:5]
	s_or_b64 exec, exec, s[28:29]
	s_and_saveexec_b64 s[28:29], s[26:27]
	s_cbranch_execnz .LBB270_31
	s_branch .LBB270_32
.LBB270_230:                            ;   in Loop: Header=BB270_13 Depth=1
	v_cmp_eq_u16_sdwa s[38:39], v0, s36 src0_sel:BYTE_0 src1_sel:DWORD
	s_mov_b64 s[4:5], -1
                                        ; implicit-def: $sgpr30
	s_and_saveexec_b64 s[28:29], s[38:39]
; %bb.231:                              ;   in Loop: Header=BB270_13 Depth=1
	s_mov_b32 s30, 0x7fc02000
	s_xor_b64 s[4:5], exec, -1
; %bb.232:                              ;   in Loop: Header=BB270_13 Depth=1
	s_or_b64 exec, exec, s[28:29]
	s_and_b64 s[4:5], s[4:5], exec
	s_or_saveexec_b64 s[26:27], s[26:27]
	v_mov_b32_e32 v23, s30
	s_xor_b64 exec, exec, s[26:27]
	s_cbranch_execz .LBB270_34
.LBB270_233:                            ;   in Loop: Header=BB270_13 Depth=1
	v_cmp_ne_u16_sdwa s[28:29], v0, v9 src0_sel:BYTE_0 src1_sel:DWORD
	s_andn2_b64 s[4:5], s[4:5], exec
	s_and_b64 s[28:29], s[28:29], exec
	v_mov_b32_e32 v23, 0
	s_or_b64 s[4:5], s[4:5], s[28:29]
	s_or_b64 exec, exec, s[26:27]
	v_and_b32_e32 v8, 0xffff, v0
	s_and_saveexec_b64 s[26:27], s[4:5]
	s_cbranch_execnz .LBB270_35
	s_branch .LBB270_36
.LBB270_234:                            ;   in Loop: Header=BB270_13 Depth=1
	v_cmp_eq_u16_e64 s[4:5], s36, v8
	s_mov_b64 s[26:27], -1
                                        ; implicit-def: $sgpr38
	s_and_saveexec_b64 s[30:31], s[4:5]
; %bb.235:                              ;   in Loop: Header=BB270_13 Depth=1
	s_mov_b32 s38, 0x7fc02000
	s_xor_b64 s[26:27], exec, -1
; %bb.236:                              ;   in Loop: Header=BB270_13 Depth=1
	s_or_b64 exec, exec, s[30:31]
	s_and_b64 s[26:27], s[26:27], exec
	s_or_saveexec_b64 s[28:29], s[28:29]
	v_mov_b32_e32 v28, s38
	s_xor_b64 exec, exec, s[28:29]
	s_cbranch_execz .LBB270_38
.LBB270_237:                            ;   in Loop: Header=BB270_13 Depth=1
	v_cmp_ne_u16_e64 s[4:5], 0, v8
	s_andn2_b64 s[26:27], s[26:27], exec
	s_and_b64 s[4:5], s[4:5], exec
	v_mov_b32_e32 v28, 0
	s_or_b64 s[26:27], s[26:27], s[4:5]
	s_or_b64 exec, exec, s[28:29]
	s_and_saveexec_b64 s[28:29], s[26:27]
	s_cbranch_execnz .LBB270_39
	s_branch .LBB270_40
.LBB270_238:                            ;   in Loop: Header=BB270_13 Depth=1
	v_cmp_eq_u16_sdwa s[38:39], v0, s36 src0_sel:BYTE_0 src1_sel:DWORD
	s_mov_b64 s[4:5], -1
                                        ; implicit-def: $sgpr30
	s_and_saveexec_b64 s[28:29], s[38:39]
; %bb.239:                              ;   in Loop: Header=BB270_13 Depth=1
	s_mov_b32 s30, 0x7fc02000
	s_xor_b64 s[4:5], exec, -1
; %bb.240:                              ;   in Loop: Header=BB270_13 Depth=1
	s_or_b64 exec, exec, s[28:29]
	s_and_b64 s[4:5], s[4:5], exec
	s_or_saveexec_b64 s[26:27], s[26:27]
	v_mov_b32_e32 v29, s30
	s_xor_b64 exec, exec, s[26:27]
	s_cbranch_execz .LBB270_42
.LBB270_241:                            ;   in Loop: Header=BB270_13 Depth=1
	v_cmp_ne_u16_sdwa s[28:29], v0, v9 src0_sel:BYTE_0 src1_sel:DWORD
	s_andn2_b64 s[4:5], s[4:5], exec
	s_and_b64 s[28:29], s[28:29], exec
	v_mov_b32_e32 v29, 0
	s_or_b64 s[4:5], s[4:5], s[28:29]
	s_or_b64 exec, exec, s[26:27]
	v_and_b32_e32 v8, 0xffff, v0
	s_and_saveexec_b64 s[26:27], s[4:5]
	s_cbranch_execnz .LBB270_43
	s_branch .LBB270_44
.LBB270_242:                            ;   in Loop: Header=BB270_13 Depth=1
	v_cmp_eq_u16_e64 s[4:5], s36, v8
	s_mov_b64 s[26:27], -1
                                        ; implicit-def: $sgpr38
	s_and_saveexec_b64 s[30:31], s[4:5]
; %bb.243:                              ;   in Loop: Header=BB270_13 Depth=1
	s_mov_b32 s38, 0x7fc02000
	s_xor_b64 s[26:27], exec, -1
; %bb.244:                              ;   in Loop: Header=BB270_13 Depth=1
	s_or_b64 exec, exec, s[30:31]
	s_and_b64 s[26:27], s[26:27], exec
	s_or_saveexec_b64 s[28:29], s[28:29]
	v_mov_b32_e32 v34, s38
	s_xor_b64 exec, exec, s[28:29]
	s_cbranch_execz .LBB270_46
.LBB270_245:                            ;   in Loop: Header=BB270_13 Depth=1
	v_cmp_ne_u16_e64 s[4:5], 0, v8
	s_andn2_b64 s[26:27], s[26:27], exec
	s_and_b64 s[4:5], s[4:5], exec
	v_mov_b32_e32 v34, 0
	s_or_b64 s[26:27], s[26:27], s[4:5]
	s_or_b64 exec, exec, s[28:29]
	s_and_saveexec_b64 s[28:29], s[26:27]
	s_cbranch_execnz .LBB270_47
	s_branch .LBB270_48
.LBB270_246:                            ;   in Loop: Header=BB270_13 Depth=1
	v_cmp_eq_u16_sdwa s[38:39], v0, s36 src0_sel:BYTE_0 src1_sel:DWORD
	s_mov_b64 s[4:5], -1
                                        ; implicit-def: $sgpr30
	s_and_saveexec_b64 s[28:29], s[38:39]
; %bb.247:                              ;   in Loop: Header=BB270_13 Depth=1
	s_mov_b32 s30, 0x7fc02000
	s_xor_b64 s[4:5], exec, -1
; %bb.248:                              ;   in Loop: Header=BB270_13 Depth=1
	s_or_b64 exec, exec, s[28:29]
	s_and_b64 s[4:5], s[4:5], exec
	s_or_saveexec_b64 s[26:27], s[26:27]
	v_mov_b32_e32 v35, s30
	s_xor_b64 exec, exec, s[26:27]
	s_cbranch_execz .LBB270_50
.LBB270_249:                            ;   in Loop: Header=BB270_13 Depth=1
	v_cmp_ne_u16_sdwa s[28:29], v0, v9 src0_sel:BYTE_0 src1_sel:DWORD
	s_andn2_b64 s[4:5], s[4:5], exec
	s_and_b64 s[28:29], s[28:29], exec
	v_mov_b32_e32 v35, 0
	s_or_b64 s[4:5], s[4:5], s[28:29]
	s_or_b64 exec, exec, s[26:27]
	v_and_b32_e32 v8, 0xffff, v0
	s_and_saveexec_b64 s[26:27], s[4:5]
	s_cbranch_execnz .LBB270_51
	s_branch .LBB270_52
.LBB270_250:                            ;   in Loop: Header=BB270_13 Depth=1
	v_cmp_eq_u16_e64 s[4:5], s36, v8
	s_mov_b64 s[26:27], -1
                                        ; implicit-def: $sgpr38
	s_and_saveexec_b64 s[30:31], s[4:5]
; %bb.251:                              ;   in Loop: Header=BB270_13 Depth=1
	s_mov_b32 s38, 0x7fc02000
	s_xor_b64 s[26:27], exec, -1
; %bb.252:                              ;   in Loop: Header=BB270_13 Depth=1
	s_or_b64 exec, exec, s[30:31]
	s_and_b64 s[26:27], s[26:27], exec
	s_or_saveexec_b64 s[28:29], s[28:29]
	v_mov_b32_e32 v31, s38
	s_xor_b64 exec, exec, s[28:29]
	s_cbranch_execz .LBB270_54
.LBB270_253:                            ;   in Loop: Header=BB270_13 Depth=1
	v_cmp_ne_u16_e64 s[4:5], 0, v8
	s_andn2_b64 s[26:27], s[26:27], exec
	s_and_b64 s[4:5], s[4:5], exec
	v_mov_b32_e32 v31, 0
	s_or_b64 s[26:27], s[26:27], s[4:5]
	s_or_b64 exec, exec, s[28:29]
	s_and_saveexec_b64 s[28:29], s[26:27]
	s_cbranch_execnz .LBB270_55
	s_branch .LBB270_56
.LBB270_254:                            ;   in Loop: Header=BB270_13 Depth=1
	v_cmp_eq_u16_sdwa s[38:39], v0, s36 src0_sel:BYTE_0 src1_sel:DWORD
	s_mov_b64 s[4:5], -1
                                        ; implicit-def: $sgpr30
	s_and_saveexec_b64 s[28:29], s[38:39]
; %bb.255:                              ;   in Loop: Header=BB270_13 Depth=1
	s_mov_b32 s30, 0x7fc02000
	s_xor_b64 s[4:5], exec, -1
; %bb.256:                              ;   in Loop: Header=BB270_13 Depth=1
	s_or_b64 exec, exec, s[28:29]
	s_and_b64 s[4:5], s[4:5], exec
	s_or_saveexec_b64 s[26:27], s[26:27]
	v_mov_b32_e32 v40, s30
	s_xor_b64 exec, exec, s[26:27]
	s_cbranch_execz .LBB270_58
.LBB270_257:                            ;   in Loop: Header=BB270_13 Depth=1
	v_cmp_ne_u16_sdwa s[28:29], v0, v9 src0_sel:BYTE_0 src1_sel:DWORD
	s_andn2_b64 s[4:5], s[4:5], exec
	s_and_b64 s[28:29], s[28:29], exec
	v_mov_b32_e32 v40, 0
	s_or_b64 s[4:5], s[4:5], s[28:29]
	s_or_b64 exec, exec, s[26:27]
	v_and_b32_e32 v8, 0xffff, v0
	s_and_saveexec_b64 s[26:27], s[4:5]
	s_cbranch_execnz .LBB270_59
	s_branch .LBB270_60
.LBB270_258:                            ;   in Loop: Header=BB270_13 Depth=1
	v_cmp_eq_u16_e64 s[4:5], s36, v8
	s_mov_b64 s[26:27], -1
                                        ; implicit-def: $sgpr38
	s_and_saveexec_b64 s[30:31], s[4:5]
; %bb.259:                              ;   in Loop: Header=BB270_13 Depth=1
	s_mov_b32 s38, 0x7fc02000
	s_xor_b64 s[26:27], exec, -1
; %bb.260:                              ;   in Loop: Header=BB270_13 Depth=1
	s_or_b64 exec, exec, s[30:31]
	s_and_b64 s[26:27], s[26:27], exec
	s_or_saveexec_b64 s[28:29], s[28:29]
	v_mov_b32_e32 v5, s38
	s_xor_b64 exec, exec, s[28:29]
	s_cbranch_execz .LBB270_62
.LBB270_261:                            ;   in Loop: Header=BB270_13 Depth=1
	v_cmp_ne_u16_e64 s[4:5], 0, v8
	s_andn2_b64 s[26:27], s[26:27], exec
	s_and_b64 s[4:5], s[4:5], exec
	v_mov_b32_e32 v5, 0
	s_or_b64 s[26:27], s[26:27], s[4:5]
	s_or_b64 exec, exec, s[28:29]
	s_and_saveexec_b64 s[28:29], s[26:27]
	s_cbranch_execnz .LBB270_63
	s_branch .LBB270_64
.LBB270_262:                            ;   in Loop: Header=BB270_13 Depth=1
	v_cmp_eq_u16_sdwa s[38:39], v0, s36 src0_sel:BYTE_0 src1_sel:DWORD
	s_mov_b64 s[4:5], -1
                                        ; implicit-def: $sgpr30
	s_and_saveexec_b64 s[28:29], s[38:39]
; %bb.263:                              ;   in Loop: Header=BB270_13 Depth=1
	s_mov_b32 s30, 0x7fc02000
	s_xor_b64 s[4:5], exec, -1
; %bb.264:                              ;   in Loop: Header=BB270_13 Depth=1
	s_or_b64 exec, exec, s[28:29]
	s_and_b64 s[4:5], s[4:5], exec
	s_or_saveexec_b64 s[26:27], s[26:27]
	v_mov_b32_e32 v4, s30
	s_xor_b64 exec, exec, s[26:27]
	s_cbranch_execz .LBB270_66
.LBB270_265:                            ;   in Loop: Header=BB270_13 Depth=1
	v_cmp_ne_u16_sdwa s[28:29], v0, v9 src0_sel:BYTE_0 src1_sel:DWORD
	s_andn2_b64 s[4:5], s[4:5], exec
	s_and_b64 s[28:29], s[28:29], exec
	v_mov_b32_e32 v4, 0
	s_or_b64 s[4:5], s[4:5], s[28:29]
	s_or_b64 exec, exec, s[26:27]
	v_and_b32_e32 v8, 0xffff, v0
	s_and_saveexec_b64 s[26:27], s[4:5]
	s_cbranch_execnz .LBB270_67
	s_branch .LBB270_68
.LBB270_266:                            ;   in Loop: Header=BB270_13 Depth=1
	v_cmp_eq_u16_e64 s[4:5], s36, v8
	s_mov_b64 s[26:27], -1
                                        ; implicit-def: $sgpr38
	s_and_saveexec_b64 s[30:31], s[4:5]
; %bb.267:                              ;   in Loop: Header=BB270_13 Depth=1
	s_mov_b32 s38, 0x7fc02000
	s_xor_b64 s[26:27], exec, -1
; %bb.268:                              ;   in Loop: Header=BB270_13 Depth=1
	s_or_b64 exec, exec, s[30:31]
	s_and_b64 s[26:27], s[26:27], exec
	s_or_saveexec_b64 s[28:29], s[28:29]
	v_mov_b32_e32 v38, s38
	s_xor_b64 exec, exec, s[28:29]
	s_cbranch_execz .LBB270_70
.LBB270_269:                            ;   in Loop: Header=BB270_13 Depth=1
	v_cmp_ne_u16_e64 s[4:5], 0, v8
	s_andn2_b64 s[26:27], s[26:27], exec
	s_and_b64 s[4:5], s[4:5], exec
	v_mov_b32_e32 v38, 0
	s_or_b64 s[26:27], s[26:27], s[4:5]
	s_or_b64 exec, exec, s[28:29]
	s_and_saveexec_b64 s[28:29], s[26:27]
	s_cbranch_execnz .LBB270_71
	s_branch .LBB270_72
.LBB270_270:                            ;   in Loop: Header=BB270_13 Depth=1
	v_cmp_eq_u16_sdwa s[38:39], v0, s36 src0_sel:BYTE_0 src1_sel:DWORD
	s_mov_b64 s[4:5], -1
                                        ; implicit-def: $sgpr30
	s_and_saveexec_b64 s[28:29], s[38:39]
; %bb.271:                              ;   in Loop: Header=BB270_13 Depth=1
	s_mov_b32 s30, 0x7fc02000
	s_xor_b64 s[4:5], exec, -1
; %bb.272:                              ;   in Loop: Header=BB270_13 Depth=1
	s_or_b64 exec, exec, s[28:29]
	s_and_b64 s[4:5], s[4:5], exec
	s_or_saveexec_b64 s[26:27], s[26:27]
	v_mov_b32_e32 v50, s30
	s_xor_b64 exec, exec, s[26:27]
	s_cbranch_execz .LBB270_74
.LBB270_273:                            ;   in Loop: Header=BB270_13 Depth=1
	v_cmp_ne_u16_sdwa s[28:29], v0, v9 src0_sel:BYTE_0 src1_sel:DWORD
	s_andn2_b64 s[4:5], s[4:5], exec
	s_and_b64 s[28:29], s[28:29], exec
	v_mov_b32_e32 v50, 0
	s_or_b64 s[4:5], s[4:5], s[28:29]
	s_or_b64 exec, exec, s[26:27]
	v_and_b32_e32 v8, 0xffff, v0
	s_and_saveexec_b64 s[26:27], s[4:5]
	s_cbranch_execnz .LBB270_75
	s_branch .LBB270_76
.LBB270_274:                            ;   in Loop: Header=BB270_13 Depth=1
	v_cmp_eq_u16_e64 s[4:5], s36, v8
	s_mov_b64 s[26:27], -1
                                        ; implicit-def: $sgpr38
	s_and_saveexec_b64 s[30:31], s[4:5]
; %bb.275:                              ;   in Loop: Header=BB270_13 Depth=1
	s_mov_b32 s38, 0x7fc02000
	s_xor_b64 s[26:27], exec, -1
; %bb.276:                              ;   in Loop: Header=BB270_13 Depth=1
	s_or_b64 exec, exec, s[30:31]
	s_and_b64 s[26:27], s[26:27], exec
	s_or_saveexec_b64 s[28:29], s[28:29]
	v_mov_b32_e32 v51, s38
	s_xor_b64 exec, exec, s[28:29]
	s_cbranch_execz .LBB270_78
.LBB270_277:                            ;   in Loop: Header=BB270_13 Depth=1
	v_cmp_ne_u16_e64 s[4:5], 0, v8
	s_andn2_b64 s[26:27], s[26:27], exec
	s_and_b64 s[4:5], s[4:5], exec
	v_mov_b32_e32 v51, 0
	s_or_b64 s[26:27], s[26:27], s[4:5]
	s_or_b64 exec, exec, s[28:29]
	s_and_saveexec_b64 s[28:29], s[26:27]
	s_cbranch_execnz .LBB270_79
	s_branch .LBB270_80
.LBB270_278:                            ;   in Loop: Header=BB270_13 Depth=1
	v_cmp_eq_u16_sdwa s[38:39], v0, s36 src0_sel:BYTE_0 src1_sel:DWORD
	s_mov_b64 s[4:5], -1
                                        ; implicit-def: $sgpr30
	s_and_saveexec_b64 s[28:29], s[38:39]
; %bb.279:                              ;   in Loop: Header=BB270_13 Depth=1
	s_mov_b32 s30, 0x7fc02000
	s_xor_b64 s[4:5], exec, -1
; %bb.280:                              ;   in Loop: Header=BB270_13 Depth=1
	s_or_b64 exec, exec, s[28:29]
	s_and_b64 s[4:5], s[4:5], exec
	s_or_saveexec_b64 s[26:27], s[26:27]
	v_mov_b32_e32 v41, s30
	s_xor_b64 exec, exec, s[26:27]
	s_cbranch_execz .LBB270_82
.LBB270_281:                            ;   in Loop: Header=BB270_13 Depth=1
	v_cmp_ne_u16_sdwa s[28:29], v0, v9 src0_sel:BYTE_0 src1_sel:DWORD
	s_andn2_b64 s[4:5], s[4:5], exec
	s_and_b64 s[28:29], s[28:29], exec
	v_mov_b32_e32 v41, 0
	s_or_b64 s[4:5], s[4:5], s[28:29]
	s_or_b64 exec, exec, s[26:27]
	v_and_b32_e32 v8, 0xffff, v0
	s_and_saveexec_b64 s[26:27], s[4:5]
	s_cbranch_execnz .LBB270_83
	s_branch .LBB270_84
.LBB270_282:                            ;   in Loop: Header=BB270_13 Depth=1
	v_cmp_eq_u16_e64 s[4:5], s36, v8
	s_mov_b64 s[26:27], -1
                                        ; implicit-def: $sgpr38
	s_and_saveexec_b64 s[30:31], s[4:5]
; %bb.283:                              ;   in Loop: Header=BB270_13 Depth=1
	s_mov_b32 s38, 0x7fc02000
	s_xor_b64 s[26:27], exec, -1
; %bb.284:                              ;   in Loop: Header=BB270_13 Depth=1
	s_or_b64 exec, exec, s[30:31]
	s_and_b64 s[26:27], s[26:27], exec
	s_or_saveexec_b64 s[28:29], s[28:29]
	v_mov_b32_e32 v45, s38
	s_xor_b64 exec, exec, s[28:29]
	s_cbranch_execz .LBB270_86
.LBB270_285:                            ;   in Loop: Header=BB270_13 Depth=1
	v_cmp_ne_u16_e64 s[4:5], 0, v8
	s_andn2_b64 s[26:27], s[26:27], exec
	s_and_b64 s[4:5], s[4:5], exec
	v_mov_b32_e32 v45, 0
	s_or_b64 s[26:27], s[26:27], s[4:5]
	s_or_b64 exec, exec, s[28:29]
	s_and_saveexec_b64 s[28:29], s[26:27]
	s_cbranch_execnz .LBB270_87
	s_branch .LBB270_88
.LBB270_286:                            ;   in Loop: Header=BB270_13 Depth=1
	v_cmp_eq_u16_sdwa s[38:39], v0, s36 src0_sel:BYTE_0 src1_sel:DWORD
	s_mov_b64 s[4:5], -1
                                        ; implicit-def: $sgpr30
	s_and_saveexec_b64 s[28:29], s[38:39]
; %bb.287:                              ;   in Loop: Header=BB270_13 Depth=1
	s_mov_b32 s30, 0x7fc02000
	s_xor_b64 s[4:5], exec, -1
; %bb.288:                              ;   in Loop: Header=BB270_13 Depth=1
	s_or_b64 exec, exec, s[28:29]
	s_and_b64 s[4:5], s[4:5], exec
	s_or_saveexec_b64 s[26:27], s[26:27]
	v_mov_b32_e32 v56, s30
	s_xor_b64 exec, exec, s[26:27]
	s_cbranch_execz .LBB270_90
.LBB270_289:                            ;   in Loop: Header=BB270_13 Depth=1
	v_cmp_ne_u16_sdwa s[28:29], v0, v9 src0_sel:BYTE_0 src1_sel:DWORD
	s_andn2_b64 s[4:5], s[4:5], exec
	s_and_b64 s[28:29], s[28:29], exec
	v_mov_b32_e32 v56, 0
	s_or_b64 s[4:5], s[4:5], s[28:29]
	s_or_b64 exec, exec, s[26:27]
	v_and_b32_e32 v8, 0xffff, v0
	s_and_saveexec_b64 s[26:27], s[4:5]
	s_cbranch_execnz .LBB270_91
	s_branch .LBB270_92
.LBB270_290:                            ;   in Loop: Header=BB270_13 Depth=1
	v_cmp_eq_u16_e64 s[4:5], s36, v8
	s_mov_b64 s[26:27], -1
                                        ; implicit-def: $sgpr38
	s_and_saveexec_b64 s[30:31], s[4:5]
; %bb.291:                              ;   in Loop: Header=BB270_13 Depth=1
	s_mov_b32 s38, 0x7fc02000
	s_xor_b64 s[26:27], exec, -1
; %bb.292:                              ;   in Loop: Header=BB270_13 Depth=1
	s_or_b64 exec, exec, s[30:31]
	s_and_b64 s[26:27], s[26:27], exec
	s_or_saveexec_b64 s[28:29], s[28:29]
	v_mov_b32_e32 v58, s38
	s_xor_b64 exec, exec, s[28:29]
	s_cbranch_execz .LBB270_94
.LBB270_293:                            ;   in Loop: Header=BB270_13 Depth=1
	v_cmp_ne_u16_e64 s[4:5], 0, v8
	s_andn2_b64 s[26:27], s[26:27], exec
	s_and_b64 s[4:5], s[4:5], exec
	v_mov_b32_e32 v58, 0
	s_or_b64 s[26:27], s[26:27], s[4:5]
	s_or_b64 exec, exec, s[28:29]
	s_and_saveexec_b64 s[28:29], s[26:27]
	s_cbranch_execnz .LBB270_95
	s_branch .LBB270_96
.LBB270_294:                            ;   in Loop: Header=BB270_13 Depth=1
	v_cmp_eq_u16_sdwa s[38:39], v0, s36 src0_sel:BYTE_0 src1_sel:DWORD
	s_mov_b64 s[4:5], -1
                                        ; implicit-def: $sgpr30
	s_and_saveexec_b64 s[28:29], s[38:39]
; %bb.295:                              ;   in Loop: Header=BB270_13 Depth=1
	s_mov_b32 s30, 0x7fc02000
	s_xor_b64 s[4:5], exec, -1
; %bb.296:                              ;   in Loop: Header=BB270_13 Depth=1
	s_or_b64 exec, exec, s[28:29]
	s_and_b64 s[4:5], s[4:5], exec
	s_or_saveexec_b64 s[26:27], s[26:27]
	v_mov_b32_e32 v1, s30
	s_xor_b64 exec, exec, s[26:27]
	s_cbranch_execz .LBB270_98
.LBB270_297:                            ;   in Loop: Header=BB270_13 Depth=1
	v_cmp_ne_u16_sdwa s[28:29], v0, v9 src0_sel:BYTE_0 src1_sel:DWORD
	s_andn2_b64 s[4:5], s[4:5], exec
	s_and_b64 s[28:29], s[28:29], exec
	v_mov_b32_e32 v1, 0
	s_or_b64 s[4:5], s[4:5], s[28:29]
	s_or_b64 exec, exec, s[26:27]
	v_and_b32_e32 v8, 0xffff, v0
	s_and_saveexec_b64 s[26:27], s[4:5]
	s_cbranch_execnz .LBB270_99
	s_branch .LBB270_100
.LBB270_298:                            ;   in Loop: Header=BB270_13 Depth=1
	v_cmp_eq_u16_e64 s[4:5], s36, v8
	s_mov_b64 s[26:27], -1
                                        ; implicit-def: $sgpr38
	s_and_saveexec_b64 s[30:31], s[4:5]
; %bb.299:                              ;   in Loop: Header=BB270_13 Depth=1
	s_mov_b32 s38, 0x7fc02000
	s_xor_b64 s[26:27], exec, -1
; %bb.300:                              ;   in Loop: Header=BB270_13 Depth=1
	s_or_b64 exec, exec, s[30:31]
	s_and_b64 s[26:27], s[26:27], exec
	s_or_saveexec_b64 s[28:29], s[28:29]
	v_mov_b32_e32 v0, s38
	s_xor_b64 exec, exec, s[28:29]
	s_cbranch_execz .LBB270_102
.LBB270_301:                            ;   in Loop: Header=BB270_13 Depth=1
	v_cmp_ne_u16_e64 s[4:5], 0, v8
	s_andn2_b64 s[26:27], s[26:27], exec
	s_and_b64 s[4:5], s[4:5], exec
	v_mov_b32_e32 v0, 0
	s_or_b64 s[26:27], s[26:27], s[4:5]
	s_or_b64 exec, exec, s[28:29]
	v_accvgpr_write_b32 a50, v1
	s_and_saveexec_b64 s[28:29], s[26:27]
	s_cbranch_execnz .LBB270_103
	s_branch .LBB270_104
.LBB270_302:                            ;   in Loop: Header=BB270_13 Depth=1
	v_cmp_eq_u16_sdwa s[38:39], v2, s36 src0_sel:BYTE_0 src1_sel:DWORD
	s_mov_b64 s[4:5], -1
                                        ; implicit-def: $sgpr30
	s_and_saveexec_b64 s[28:29], s[38:39]
; %bb.303:                              ;   in Loop: Header=BB270_13 Depth=1
	s_mov_b32 s30, 0x7fc02000
	s_xor_b64 s[4:5], exec, -1
; %bb.304:                              ;   in Loop: Header=BB270_13 Depth=1
	s_or_b64 exec, exec, s[28:29]
	s_and_b64 s[4:5], s[4:5], exec
	s_or_saveexec_b64 s[26:27], s[26:27]
	v_mov_b32_e32 v1, s30
	s_xor_b64 exec, exec, s[26:27]
	s_cbranch_execz .LBB270_106
.LBB270_305:                            ;   in Loop: Header=BB270_13 Depth=1
	v_cmp_ne_u16_sdwa s[28:29], v2, v9 src0_sel:BYTE_0 src1_sel:DWORD
	s_andn2_b64 s[4:5], s[4:5], exec
	s_and_b64 s[28:29], s[28:29], exec
	v_mov_b32_e32 v1, 0
	s_or_b64 s[4:5], s[4:5], s[28:29]
	s_or_b64 exec, exec, s[26:27]
	v_and_b32_e32 v8, 0xffff, v2
	s_and_saveexec_b64 s[26:27], s[4:5]
	s_cbranch_execnz .LBB270_107
	s_branch .LBB270_108
.LBB270_306:                            ;   in Loop: Header=BB270_13 Depth=1
	v_cmp_eq_u16_e64 s[4:5], s36, v8
	s_mov_b64 s[26:27], -1
                                        ; implicit-def: $sgpr38
	s_and_saveexec_b64 s[30:31], s[4:5]
; %bb.307:                              ;   in Loop: Header=BB270_13 Depth=1
	s_mov_b32 s38, 0x7fc02000
	s_xor_b64 s[26:27], exec, -1
; %bb.308:                              ;   in Loop: Header=BB270_13 Depth=1
	s_or_b64 exec, exec, s[30:31]
	s_and_b64 s[26:27], s[26:27], exec
	s_or_saveexec_b64 s[28:29], s[28:29]
	v_mov_b32_e32 v3, s38
	s_xor_b64 exec, exec, s[28:29]
	s_cbranch_execz .LBB270_110
.LBB270_309:                            ;   in Loop: Header=BB270_13 Depth=1
	v_cmp_ne_u16_e64 s[4:5], 0, v8
	s_andn2_b64 s[26:27], s[26:27], exec
	s_and_b64 s[4:5], s[4:5], exec
	v_mov_b32_e32 v3, 0
	s_or_b64 s[26:27], s[26:27], s[4:5]
	s_or_b64 exec, exec, s[28:29]
	s_and_saveexec_b64 s[28:29], s[26:27]
	s_cbranch_execnz .LBB270_111
	s_branch .LBB270_112
.LBB270_310:                            ;   in Loop: Header=BB270_13 Depth=1
	v_cmp_eq_u16_sdwa s[38:39], v6, s36 src0_sel:BYTE_0 src1_sel:DWORD
	s_mov_b64 s[4:5], -1
                                        ; implicit-def: $sgpr30
	s_and_saveexec_b64 s[28:29], s[38:39]
; %bb.311:                              ;   in Loop: Header=BB270_13 Depth=1
	s_mov_b32 s30, 0x7fc02000
	s_xor_b64 s[4:5], exec, -1
; %bb.312:                              ;   in Loop: Header=BB270_13 Depth=1
	s_or_b64 exec, exec, s[28:29]
	s_and_b64 s[4:5], s[4:5], exec
	s_or_saveexec_b64 s[26:27], s[26:27]
	v_mov_b32_e32 v2, s30
	s_xor_b64 exec, exec, s[26:27]
	s_cbranch_execz .LBB270_114
.LBB270_313:                            ;   in Loop: Header=BB270_13 Depth=1
	v_cmp_ne_u16_sdwa s[28:29], v6, v9 src0_sel:BYTE_0 src1_sel:DWORD
	s_andn2_b64 s[4:5], s[4:5], exec
	s_and_b64 s[28:29], s[28:29], exec
	v_mov_b32_e32 v2, 0
	s_or_b64 s[4:5], s[4:5], s[28:29]
	s_or_b64 exec, exec, s[26:27]
	v_and_b32_e32 v8, 0xffff, v6
	s_and_saveexec_b64 s[26:27], s[4:5]
	s_cbranch_execnz .LBB270_115
	s_branch .LBB270_116
.LBB270_314:                            ;   in Loop: Header=BB270_13 Depth=1
	v_cmp_eq_u16_e64 s[4:5], s36, v8
	s_mov_b64 s[26:27], -1
                                        ; implicit-def: $sgpr38
	s_and_saveexec_b64 s[30:31], s[4:5]
; %bb.315:                              ;   in Loop: Header=BB270_13 Depth=1
	s_mov_b32 s38, 0x7fc02000
	s_xor_b64 s[26:27], exec, -1
; %bb.316:                              ;   in Loop: Header=BB270_13 Depth=1
	s_or_b64 exec, exec, s[30:31]
	s_and_b64 s[26:27], s[26:27], exec
	s_or_saveexec_b64 s[28:29], s[28:29]
	v_mov_b32_e32 v0, s38
	s_xor_b64 exec, exec, s[28:29]
	s_cbranch_execz .LBB270_118
.LBB270_317:                            ;   in Loop: Header=BB270_13 Depth=1
	v_cmp_ne_u16_e64 s[4:5], 0, v8
	s_andn2_b64 s[26:27], s[26:27], exec
	s_and_b64 s[4:5], s[4:5], exec
	v_mov_b32_e32 v0, 0
	s_or_b64 s[26:27], s[26:27], s[4:5]
	s_or_b64 exec, exec, s[28:29]
	s_and_saveexec_b64 s[28:29], s[26:27]
	s_cbranch_execnz .LBB270_119
	s_branch .LBB270_120
.LBB270_318:                            ;   in Loop: Header=BB270_13 Depth=1
	v_cmp_eq_u16_sdwa s[38:39], v6, s36 src0_sel:BYTE_0 src1_sel:DWORD
	s_mov_b64 s[4:5], -1
                                        ; implicit-def: $sgpr30
	s_and_saveexec_b64 s[28:29], s[38:39]
; %bb.319:                              ;   in Loop: Header=BB270_13 Depth=1
	s_mov_b32 s30, 0x7fc02000
	s_xor_b64 s[4:5], exec, -1
; %bb.320:                              ;   in Loop: Header=BB270_13 Depth=1
	s_or_b64 exec, exec, s[28:29]
	s_and_b64 s[4:5], s[4:5], exec
	s_or_saveexec_b64 s[26:27], s[26:27]
	v_mov_b32_e32 v13, s30
	s_xor_b64 exec, exec, s[26:27]
	s_cbranch_execz .LBB270_122
.LBB270_321:                            ;   in Loop: Header=BB270_13 Depth=1
	v_cmp_ne_u16_sdwa s[28:29], v6, v9 src0_sel:BYTE_0 src1_sel:DWORD
	s_andn2_b64 s[4:5], s[4:5], exec
	s_and_b64 s[28:29], s[28:29], exec
	v_mov_b32_e32 v13, 0
	s_or_b64 s[4:5], s[4:5], s[28:29]
	s_or_b64 exec, exec, s[26:27]
	v_and_b32_e32 v8, 0xffff, v6
	s_and_saveexec_b64 s[26:27], s[4:5]
	s_cbranch_execnz .LBB270_123
	s_branch .LBB270_124
.LBB270_322:                            ;   in Loop: Header=BB270_13 Depth=1
	v_cmp_eq_u16_e64 s[4:5], s36, v8
	s_mov_b64 s[26:27], -1
                                        ; implicit-def: $sgpr38
	s_and_saveexec_b64 s[30:31], s[4:5]
; %bb.323:                              ;   in Loop: Header=BB270_13 Depth=1
	s_mov_b32 s38, 0x7fc02000
	s_xor_b64 s[26:27], exec, -1
; %bb.324:                              ;   in Loop: Header=BB270_13 Depth=1
	s_or_b64 exec, exec, s[30:31]
	s_and_b64 s[26:27], s[26:27], exec
	s_or_saveexec_b64 s[28:29], s[28:29]
	v_mov_b32_e32 v0, s38
	s_xor_b64 exec, exec, s[28:29]
	s_cbranch_execz .LBB270_126
.LBB270_325:                            ;   in Loop: Header=BB270_13 Depth=1
	v_cmp_ne_u16_e64 s[4:5], 0, v8
	s_andn2_b64 s[26:27], s[26:27], exec
	s_and_b64 s[4:5], s[4:5], exec
	v_mov_b32_e32 v0, 0
	s_or_b64 s[26:27], s[26:27], s[4:5]
	s_or_b64 exec, exec, s[28:29]
	s_and_saveexec_b64 s[28:29], s[26:27]
	s_cbranch_execnz .LBB270_127
	s_branch .LBB270_128
.LBB270_326:                            ;   in Loop: Header=BB270_13 Depth=1
	v_cmp_eq_u16_sdwa s[38:39], v6, s36 src0_sel:BYTE_0 src1_sel:DWORD
	s_mov_b64 s[4:5], -1
                                        ; implicit-def: $sgpr30
	s_and_saveexec_b64 s[28:29], s[38:39]
; %bb.327:                              ;   in Loop: Header=BB270_13 Depth=1
	s_mov_b32 s30, 0x7fc02000
	s_xor_b64 s[4:5], exec, -1
; %bb.328:                              ;   in Loop: Header=BB270_13 Depth=1
	s_or_b64 exec, exec, s[28:29]
	s_and_b64 s[4:5], s[4:5], exec
	s_or_saveexec_b64 s[26:27], s[26:27]
	v_mov_b32_e32 v30, s30
	s_xor_b64 exec, exec, s[26:27]
	s_cbranch_execz .LBB270_130
.LBB270_329:                            ;   in Loop: Header=BB270_13 Depth=1
	v_cmp_ne_u16_sdwa s[28:29], v6, v9 src0_sel:BYTE_0 src1_sel:DWORD
	s_andn2_b64 s[4:5], s[4:5], exec
	s_and_b64 s[28:29], s[28:29], exec
	v_mov_b32_e32 v30, 0
	s_or_b64 s[4:5], s[4:5], s[28:29]
	s_or_b64 exec, exec, s[26:27]
	v_and_b32_e32 v8, 0xffff, v6
	s_and_saveexec_b64 s[26:27], s[4:5]
	s_cbranch_execnz .LBB270_131
	s_branch .LBB270_132
.LBB270_330:                            ;   in Loop: Header=BB270_13 Depth=1
	v_cmp_eq_u16_e64 s[4:5], s36, v8
	s_mov_b64 s[26:27], -1
                                        ; implicit-def: $sgpr38
	s_and_saveexec_b64 s[30:31], s[4:5]
; %bb.331:                              ;   in Loop: Header=BB270_13 Depth=1
	s_mov_b32 s38, 0x7fc02000
	s_xor_b64 s[26:27], exec, -1
; %bb.332:                              ;   in Loop: Header=BB270_13 Depth=1
	s_or_b64 exec, exec, s[30:31]
	s_and_b64 s[26:27], s[26:27], exec
	s_or_saveexec_b64 s[28:29], s[28:29]
	v_mov_b32_e32 v0, s38
	s_xor_b64 exec, exec, s[28:29]
	s_cbranch_execz .LBB270_134
.LBB270_333:                            ;   in Loop: Header=BB270_13 Depth=1
	v_cmp_ne_u16_e64 s[4:5], 0, v8
	s_andn2_b64 s[26:27], s[26:27], exec
	s_and_b64 s[4:5], s[4:5], exec
	v_mov_b32_e32 v0, 0
	s_or_b64 s[26:27], s[26:27], s[4:5]
	s_or_b64 exec, exec, s[28:29]
	s_and_saveexec_b64 s[28:29], s[26:27]
	s_cbranch_execnz .LBB270_135
	s_branch .LBB270_136
.LBB270_334:                            ;   in Loop: Header=BB270_13 Depth=1
	v_cmp_eq_u16_sdwa s[38:39], v6, s36 src0_sel:BYTE_0 src1_sel:DWORD
	s_mov_b64 s[4:5], -1
                                        ; implicit-def: $sgpr30
	s_and_saveexec_b64 s[28:29], s[38:39]
; %bb.335:                              ;   in Loop: Header=BB270_13 Depth=1
	s_mov_b32 s30, 0x7fc02000
	s_xor_b64 s[4:5], exec, -1
; %bb.336:                              ;   in Loop: Header=BB270_13 Depth=1
	s_or_b64 exec, exec, s[28:29]
	s_and_b64 s[4:5], s[4:5], exec
	s_or_saveexec_b64 s[26:27], s[26:27]
	v_mov_b32_e32 v7, s30
	s_xor_b64 exec, exec, s[26:27]
	s_cbranch_execz .LBB270_138
.LBB270_337:                            ;   in Loop: Header=BB270_13 Depth=1
	v_cmp_ne_u16_sdwa s[28:29], v6, v9 src0_sel:BYTE_0 src1_sel:DWORD
	s_andn2_b64 s[4:5], s[4:5], exec
	s_and_b64 s[28:29], s[28:29], exec
	v_mov_b32_e32 v7, 0
	s_or_b64 s[4:5], s[4:5], s[28:29]
	s_or_b64 exec, exec, s[26:27]
	v_and_b32_e32 v8, 0xffff, v6
	s_and_saveexec_b64 s[26:27], s[4:5]
	s_cbranch_execnz .LBB270_139
	s_branch .LBB270_140
.LBB270_338:                            ;   in Loop: Header=BB270_13 Depth=1
	v_cmp_eq_u16_e64 s[4:5], s36, v8
	s_mov_b64 s[26:27], -1
                                        ; implicit-def: $sgpr38
	s_and_saveexec_b64 s[30:31], s[4:5]
; %bb.339:                              ;   in Loop: Header=BB270_13 Depth=1
	s_mov_b32 s38, 0x7fc02000
	s_xor_b64 s[26:27], exec, -1
; %bb.340:                              ;   in Loop: Header=BB270_13 Depth=1
	s_or_b64 exec, exec, s[30:31]
	s_and_b64 s[26:27], s[26:27], exec
	s_or_saveexec_b64 s[28:29], s[28:29]
	v_mov_b32_e32 v0, s38
	s_xor_b64 exec, exec, s[28:29]
	s_cbranch_execz .LBB270_142
.LBB270_341:                            ;   in Loop: Header=BB270_13 Depth=1
	v_cmp_ne_u16_e64 s[4:5], 0, v8
	s_andn2_b64 s[26:27], s[26:27], exec
	s_and_b64 s[4:5], s[4:5], exec
	v_mov_b32_e32 v0, 0
	s_or_b64 s[26:27], s[26:27], s[4:5]
	s_or_b64 exec, exec, s[28:29]
	s_and_saveexec_b64 s[28:29], s[26:27]
	s_cbranch_execnz .LBB270_143
	s_branch .LBB270_144
.LBB270_342:                            ;   in Loop: Header=BB270_13 Depth=1
	v_cmp_eq_u16_sdwa s[38:39], v6, s36 src0_sel:BYTE_0 src1_sel:DWORD
	s_mov_b64 s[4:5], -1
                                        ; implicit-def: $sgpr30
	s_and_saveexec_b64 s[28:29], s[38:39]
; %bb.343:                              ;   in Loop: Header=BB270_13 Depth=1
	s_mov_b32 s30, 0x7fc02000
	s_xor_b64 s[4:5], exec, -1
; %bb.344:                              ;   in Loop: Header=BB270_13 Depth=1
	s_or_b64 exec, exec, s[28:29]
	s_and_b64 s[4:5], s[4:5], exec
	s_or_saveexec_b64 s[26:27], s[26:27]
	v_mov_b32_e32 v14, s30
	s_xor_b64 exec, exec, s[26:27]
	s_cbranch_execz .LBB270_146
.LBB270_345:                            ;   in Loop: Header=BB270_13 Depth=1
	v_cmp_ne_u16_sdwa s[28:29], v6, v9 src0_sel:BYTE_0 src1_sel:DWORD
	s_andn2_b64 s[4:5], s[4:5], exec
	s_and_b64 s[28:29], s[28:29], exec
	v_mov_b32_e32 v14, 0
	s_or_b64 s[4:5], s[4:5], s[28:29]
	s_or_b64 exec, exec, s[26:27]
	v_and_b32_e32 v8, 0xffff, v6
	s_and_saveexec_b64 s[26:27], s[4:5]
	s_cbranch_execnz .LBB270_147
	s_branch .LBB270_148
.LBB270_346:                            ;   in Loop: Header=BB270_13 Depth=1
	v_cmp_eq_u16_e64 s[4:5], s36, v8
	s_mov_b64 s[26:27], -1
                                        ; implicit-def: $sgpr38
	s_and_saveexec_b64 s[30:31], s[4:5]
; %bb.347:                              ;   in Loop: Header=BB270_13 Depth=1
	s_mov_b32 s38, 0x7fc02000
	s_xor_b64 s[26:27], exec, -1
; %bb.348:                              ;   in Loop: Header=BB270_13 Depth=1
	s_or_b64 exec, exec, s[30:31]
	s_and_b64 s[26:27], s[26:27], exec
	s_or_saveexec_b64 s[28:29], s[28:29]
	v_mov_b32_e32 v16, s38
	s_xor_b64 exec, exec, s[28:29]
	s_cbranch_execz .LBB270_150
.LBB270_349:                            ;   in Loop: Header=BB270_13 Depth=1
	v_cmp_ne_u16_e64 s[4:5], 0, v8
	s_andn2_b64 s[26:27], s[26:27], exec
	s_and_b64 s[4:5], s[4:5], exec
	v_mov_b32_e32 v16, 0
	s_or_b64 s[26:27], s[26:27], s[4:5]
	s_or_b64 exec, exec, s[28:29]
	s_and_saveexec_b64 s[28:29], s[26:27]
	s_cbranch_execnz .LBB270_151
	s_branch .LBB270_152
.LBB270_350:                            ;   in Loop: Header=BB270_13 Depth=1
	v_cmp_eq_u16_sdwa s[38:39], v6, s36 src0_sel:BYTE_0 src1_sel:DWORD
	s_mov_b64 s[4:5], -1
                                        ; implicit-def: $sgpr30
	s_and_saveexec_b64 s[28:29], s[38:39]
; %bb.351:                              ;   in Loop: Header=BB270_13 Depth=1
	s_mov_b32 s30, 0x7fc02000
	s_xor_b64 s[4:5], exec, -1
; %bb.352:                              ;   in Loop: Header=BB270_13 Depth=1
	s_or_b64 exec, exec, s[28:29]
	s_and_b64 s[4:5], s[4:5], exec
	s_or_saveexec_b64 s[26:27], s[26:27]
	v_mov_b32_e32 v17, s30
	s_xor_b64 exec, exec, s[26:27]
	s_cbranch_execz .LBB270_154
.LBB270_353:                            ;   in Loop: Header=BB270_13 Depth=1
	v_cmp_ne_u16_sdwa s[28:29], v6, v9 src0_sel:BYTE_0 src1_sel:DWORD
	s_andn2_b64 s[4:5], s[4:5], exec
	s_and_b64 s[28:29], s[28:29], exec
	v_mov_b32_e32 v17, 0
	s_or_b64 s[4:5], s[4:5], s[28:29]
	s_or_b64 exec, exec, s[26:27]
	v_and_b32_e32 v8, 0xffff, v6
	s_and_saveexec_b64 s[26:27], s[4:5]
	s_cbranch_execnz .LBB270_155
	s_branch .LBB270_156
.LBB270_354:                            ;   in Loop: Header=BB270_13 Depth=1
	v_cmp_eq_u16_e64 s[4:5], s36, v8
	s_mov_b64 s[26:27], -1
                                        ; implicit-def: $sgpr38
	s_and_saveexec_b64 s[30:31], s[4:5]
; %bb.355:                              ;   in Loop: Header=BB270_13 Depth=1
	s_mov_b32 s38, 0x7fc02000
	s_xor_b64 s[26:27], exec, -1
; %bb.356:                              ;   in Loop: Header=BB270_13 Depth=1
	s_or_b64 exec, exec, s[30:31]
	s_and_b64 s[26:27], s[26:27], exec
	s_or_saveexec_b64 s[28:29], s[28:29]
	v_mov_b32_e32 v18, s38
	s_xor_b64 exec, exec, s[28:29]
	s_cbranch_execz .LBB270_158
.LBB270_357:                            ;   in Loop: Header=BB270_13 Depth=1
	v_cmp_ne_u16_e64 s[4:5], 0, v8
	s_andn2_b64 s[26:27], s[26:27], exec
	s_and_b64 s[4:5], s[4:5], exec
	v_mov_b32_e32 v18, 0
	s_or_b64 s[26:27], s[26:27], s[4:5]
	s_or_b64 exec, exec, s[28:29]
	s_and_saveexec_b64 s[28:29], s[26:27]
	s_cbranch_execnz .LBB270_159
	s_branch .LBB270_160
.LBB270_358:                            ;   in Loop: Header=BB270_13 Depth=1
	v_cmp_eq_u16_sdwa s[38:39], v6, s36 src0_sel:BYTE_0 src1_sel:DWORD
	s_mov_b64 s[4:5], -1
                                        ; implicit-def: $sgpr30
	s_and_saveexec_b64 s[28:29], s[38:39]
; %bb.359:                              ;   in Loop: Header=BB270_13 Depth=1
	s_mov_b32 s30, 0x7fc02000
	s_xor_b64 s[4:5], exec, -1
; %bb.360:                              ;   in Loop: Header=BB270_13 Depth=1
	s_or_b64 exec, exec, s[28:29]
	s_and_b64 s[4:5], s[4:5], exec
	s_or_saveexec_b64 s[26:27], s[26:27]
	v_mov_b32_e32 v19, s30
	s_xor_b64 exec, exec, s[26:27]
	s_cbranch_execz .LBB270_162
.LBB270_361:                            ;   in Loop: Header=BB270_13 Depth=1
	v_cmp_ne_u16_sdwa s[28:29], v6, v9 src0_sel:BYTE_0 src1_sel:DWORD
	s_andn2_b64 s[4:5], s[4:5], exec
	s_and_b64 s[28:29], s[28:29], exec
	v_mov_b32_e32 v19, 0
	s_or_b64 s[4:5], s[4:5], s[28:29]
	s_or_b64 exec, exec, s[26:27]
	v_and_b32_e32 v8, 0xffff, v6
	s_and_saveexec_b64 s[26:27], s[4:5]
	s_cbranch_execnz .LBB270_163
	s_branch .LBB270_164
.LBB270_362:                            ;   in Loop: Header=BB270_13 Depth=1
	v_cmp_eq_u16_e64 s[4:5], s36, v8
	s_mov_b64 s[26:27], -1
                                        ; implicit-def: $sgpr38
	s_and_saveexec_b64 s[30:31], s[4:5]
; %bb.363:                              ;   in Loop: Header=BB270_13 Depth=1
	s_mov_b32 s38, 0x7fc02000
	s_xor_b64 s[26:27], exec, -1
; %bb.364:                              ;   in Loop: Header=BB270_13 Depth=1
	s_or_b64 exec, exec, s[30:31]
	s_and_b64 s[26:27], s[26:27], exec
	s_or_saveexec_b64 s[28:29], s[28:29]
	v_mov_b32_e32 v6, s38
	s_xor_b64 exec, exec, s[28:29]
	s_cbranch_execz .LBB270_166
.LBB270_365:                            ;   in Loop: Header=BB270_13 Depth=1
	v_cmp_ne_u16_e64 s[4:5], 0, v8
	s_andn2_b64 s[26:27], s[26:27], exec
	s_and_b64 s[4:5], s[4:5], exec
	v_mov_b32_e32 v6, 0
	s_or_b64 s[26:27], s[26:27], s[4:5]
	s_or_b64 exec, exec, s[28:29]
	s_and_saveexec_b64 s[28:29], s[26:27]
	s_cbranch_execnz .LBB270_167
	s_branch .LBB270_168
.LBB270_366:                            ;   in Loop: Header=BB270_13 Depth=1
	v_cmp_eq_u16_sdwa s[38:39], v8, s36 src0_sel:BYTE_0 src1_sel:DWORD
	s_mov_b64 s[4:5], -1
                                        ; implicit-def: $sgpr30
	s_and_saveexec_b64 s[28:29], s[38:39]
; %bb.367:                              ;   in Loop: Header=BB270_13 Depth=1
	s_mov_b32 s30, 0x7fc02000
	s_xor_b64 s[4:5], exec, -1
; %bb.368:                              ;   in Loop: Header=BB270_13 Depth=1
	s_or_b64 exec, exec, s[28:29]
	s_and_b64 s[4:5], s[4:5], exec
	s_or_saveexec_b64 s[26:27], s[26:27]
	v_mov_b32_e32 v42, s30
	s_xor_b64 exec, exec, s[26:27]
	s_cbranch_execz .LBB270_170
.LBB270_369:                            ;   in Loop: Header=BB270_13 Depth=1
	v_cmp_ne_u16_sdwa s[28:29], v8, v9 src0_sel:BYTE_0 src1_sel:DWORD
	s_andn2_b64 s[4:5], s[4:5], exec
	s_and_b64 s[28:29], s[28:29], exec
	v_mov_b32_e32 v42, 0
	s_or_b64 s[4:5], s[4:5], s[28:29]
	s_or_b64 exec, exec, s[26:27]
	v_and_b32_e32 v8, 0xffff, v8
	s_and_saveexec_b64 s[26:27], s[4:5]
	s_cbranch_execnz .LBB270_171
	s_branch .LBB270_172
.LBB270_370:                            ;   in Loop: Header=BB270_13 Depth=1
	v_cmp_eq_u16_e64 s[4:5], s36, v8
	s_mov_b64 s[26:27], -1
                                        ; implicit-def: $sgpr38
	s_and_saveexec_b64 s[30:31], s[4:5]
; %bb.371:                              ;   in Loop: Header=BB270_13 Depth=1
	s_mov_b32 s38, 0x7fc02000
	s_xor_b64 s[26:27], exec, -1
; %bb.372:                              ;   in Loop: Header=BB270_13 Depth=1
	s_or_b64 exec, exec, s[30:31]
	s_and_b64 s[26:27], s[26:27], exec
	s_or_saveexec_b64 s[28:29], s[28:29]
	v_mov_b32_e32 v22, s38
	s_xor_b64 exec, exec, s[28:29]
	s_cbranch_execz .LBB270_174
.LBB270_373:                            ;   in Loop: Header=BB270_13 Depth=1
	v_cmp_ne_u16_e64 s[4:5], 0, v8
	s_andn2_b64 s[26:27], s[26:27], exec
	s_and_b64 s[4:5], s[4:5], exec
	v_mov_b32_e32 v22, 0
	s_or_b64 s[26:27], s[26:27], s[4:5]
	s_or_b64 exec, exec, s[28:29]
	s_and_saveexec_b64 s[28:29], s[26:27]
	s_cbranch_execnz .LBB270_175
	s_branch .LBB270_176
.LBB270_374:                            ;   in Loop: Header=BB270_13 Depth=1
	v_cmp_eq_u16_sdwa s[38:39], v8, s36 src0_sel:BYTE_0 src1_sel:DWORD
	s_mov_b64 s[4:5], -1
                                        ; implicit-def: $sgpr30
	s_and_saveexec_b64 s[28:29], s[38:39]
; %bb.375:                              ;   in Loop: Header=BB270_13 Depth=1
	s_mov_b32 s30, 0x7fc02000
	s_xor_b64 s[4:5], exec, -1
; %bb.376:                              ;   in Loop: Header=BB270_13 Depth=1
	s_or_b64 exec, exec, s[28:29]
	s_and_b64 s[4:5], s[4:5], exec
	s_or_saveexec_b64 s[26:27], s[26:27]
	v_mov_b32_e32 v25, s30
	s_xor_b64 exec, exec, s[26:27]
	s_cbranch_execz .LBB270_178
.LBB270_377:                            ;   in Loop: Header=BB270_13 Depth=1
	v_cmp_ne_u16_sdwa s[28:29], v8, v9 src0_sel:BYTE_0 src1_sel:DWORD
	s_andn2_b64 s[4:5], s[4:5], exec
	s_and_b64 s[28:29], s[28:29], exec
	v_mov_b32_e32 v25, 0
	s_or_b64 s[4:5], s[4:5], s[28:29]
	s_or_b64 exec, exec, s[26:27]
	v_and_b32_e32 v8, 0xffff, v8
	s_and_saveexec_b64 s[26:27], s[4:5]
	s_cbranch_execnz .LBB270_179
	s_branch .LBB270_180
.LBB270_378:                            ;   in Loop: Header=BB270_13 Depth=1
	v_cmp_eq_u16_e64 s[4:5], s36, v8
	s_mov_b64 s[26:27], -1
                                        ; implicit-def: $sgpr38
	s_and_saveexec_b64 s[30:31], s[4:5]
; %bb.379:                              ;   in Loop: Header=BB270_13 Depth=1
	s_mov_b32 s38, 0x7fc02000
	s_xor_b64 s[26:27], exec, -1
; %bb.380:                              ;   in Loop: Header=BB270_13 Depth=1
	s_or_b64 exec, exec, s[30:31]
	s_and_b64 s[26:27], s[26:27], exec
	s_or_saveexec_b64 s[28:29], s[28:29]
	v_mov_b32_e32 v24, s38
	s_xor_b64 exec, exec, s[28:29]
	s_cbranch_execz .LBB270_182
.LBB270_381:                            ;   in Loop: Header=BB270_13 Depth=1
	v_cmp_ne_u16_e64 s[4:5], 0, v8
	s_andn2_b64 s[26:27], s[26:27], exec
	s_and_b64 s[4:5], s[4:5], exec
	v_mov_b32_e32 v24, 0
	s_or_b64 s[26:27], s[26:27], s[4:5]
	s_or_b64 exec, exec, s[28:29]
	s_and_saveexec_b64 s[28:29], s[26:27]
	s_cbranch_execnz .LBB270_183
	s_branch .LBB270_184
.LBB270_382:                            ;   in Loop: Header=BB270_13 Depth=1
	v_cmp_eq_u16_sdwa s[38:39], v8, s36 src0_sel:BYTE_0 src1_sel:DWORD
	s_mov_b64 s[4:5], -1
                                        ; implicit-def: $sgpr30
	s_and_saveexec_b64 s[28:29], s[38:39]
; %bb.383:                              ;   in Loop: Header=BB270_13 Depth=1
	s_mov_b32 s30, 0x7fc02000
	s_xor_b64 s[4:5], exec, -1
; %bb.384:                              ;   in Loop: Header=BB270_13 Depth=1
	s_or_b64 exec, exec, s[28:29]
	s_and_b64 s[4:5], s[4:5], exec
	s_or_saveexec_b64 s[26:27], s[26:27]
	v_mov_b32_e32 v57, s30
	s_xor_b64 exec, exec, s[26:27]
	s_cbranch_execz .LBB270_186
.LBB270_385:                            ;   in Loop: Header=BB270_13 Depth=1
	v_cmp_ne_u16_sdwa s[28:29], v8, v9 src0_sel:BYTE_0 src1_sel:DWORD
	s_andn2_b64 s[4:5], s[4:5], exec
	s_and_b64 s[28:29], s[28:29], exec
	v_mov_b32_e32 v57, 0
	s_or_b64 s[4:5], s[4:5], s[28:29]
	s_or_b64 exec, exec, s[26:27]
	v_and_b32_e32 v8, 0xffff, v8
	s_and_saveexec_b64 s[26:27], s[4:5]
	s_cbranch_execnz .LBB270_187
	s_branch .LBB270_188
.LBB270_386:                            ;   in Loop: Header=BB270_13 Depth=1
	v_cmp_eq_u16_e64 s[4:5], s36, v8
	s_mov_b64 s[26:27], -1
                                        ; implicit-def: $sgpr38
	s_and_saveexec_b64 s[30:31], s[4:5]
; %bb.387:                              ;   in Loop: Header=BB270_13 Depth=1
	s_mov_b32 s38, 0x7fc02000
	s_xor_b64 s[26:27], exec, -1
; %bb.388:                              ;   in Loop: Header=BB270_13 Depth=1
	s_or_b64 exec, exec, s[30:31]
	s_and_b64 s[26:27], s[26:27], exec
	s_or_saveexec_b64 s[28:29], s[28:29]
	v_mov_b32_e32 v60, s38
	s_xor_b64 exec, exec, s[28:29]
	s_cbranch_execz .LBB270_190
.LBB270_389:                            ;   in Loop: Header=BB270_13 Depth=1
	v_cmp_ne_u16_e64 s[4:5], 0, v8
	s_andn2_b64 s[26:27], s[26:27], exec
	s_and_b64 s[4:5], s[4:5], exec
	v_mov_b32_e32 v60, 0
	s_or_b64 s[26:27], s[26:27], s[4:5]
	s_or_b64 exec, exec, s[28:29]
	s_and_saveexec_b64 s[28:29], s[26:27]
	s_cbranch_execnz .LBB270_191
	s_branch .LBB270_192
.LBB270_390:                            ;   in Loop: Header=BB270_13 Depth=1
	v_cmp_eq_u16_sdwa s[38:39], v8, s36 src0_sel:BYTE_0 src1_sel:DWORD
	s_mov_b64 s[4:5], -1
                                        ; implicit-def: $sgpr30
	s_and_saveexec_b64 s[28:29], s[38:39]
; %bb.391:                              ;   in Loop: Header=BB270_13 Depth=1
	s_mov_b32 s30, 0x7fc02000
	s_xor_b64 s[4:5], exec, -1
; %bb.392:                              ;   in Loop: Header=BB270_13 Depth=1
	s_or_b64 exec, exec, s[28:29]
	s_and_b64 s[4:5], s[4:5], exec
	s_or_saveexec_b64 s[26:27], s[26:27]
	v_mov_b32_e32 v26, s30
	s_xor_b64 exec, exec, s[26:27]
	s_cbranch_execz .LBB270_194
.LBB270_393:                            ;   in Loop: Header=BB270_13 Depth=1
	v_cmp_ne_u16_sdwa s[28:29], v8, v9 src0_sel:BYTE_0 src1_sel:DWORD
	s_andn2_b64 s[4:5], s[4:5], exec
	s_and_b64 s[28:29], s[28:29], exec
	v_mov_b32_e32 v26, 0
	s_or_b64 s[4:5], s[4:5], s[28:29]
	s_or_b64 exec, exec, s[26:27]
	v_and_b32_e32 v8, 0xffff, v8
	s_and_saveexec_b64 s[26:27], s[4:5]
	s_cbranch_execnz .LBB270_195
	s_branch .LBB270_196
.LBB270_394:                            ;   in Loop: Header=BB270_13 Depth=1
	v_cmp_eq_u16_e64 s[4:5], s36, v8
	s_mov_b64 s[26:27], -1
                                        ; implicit-def: $sgpr38
	s_and_saveexec_b64 s[30:31], s[4:5]
; %bb.395:                              ;   in Loop: Header=BB270_13 Depth=1
	s_mov_b32 s38, 0x7fc02000
	s_xor_b64 s[26:27], exec, -1
; %bb.396:                              ;   in Loop: Header=BB270_13 Depth=1
	s_or_b64 exec, exec, s[30:31]
	s_and_b64 s[26:27], s[26:27], exec
	s_or_saveexec_b64 s[28:29], s[28:29]
	v_mov_b32_e32 v62, s38
	s_xor_b64 exec, exec, s[28:29]
	s_cbranch_execz .LBB270_198
.LBB270_397:                            ;   in Loop: Header=BB270_13 Depth=1
	v_cmp_ne_u16_e64 s[4:5], 0, v8
	s_andn2_b64 s[26:27], s[26:27], exec
	s_and_b64 s[4:5], s[4:5], exec
	v_mov_b32_e32 v62, 0
	s_or_b64 s[26:27], s[26:27], s[4:5]
	s_or_b64 exec, exec, s[28:29]
	s_and_saveexec_b64 s[28:29], s[26:27]
	s_cbranch_execnz .LBB270_199
	s_branch .LBB270_200
.LBB270_398:                            ;   in Loop: Header=BB270_13 Depth=1
	v_cmp_eq_u16_sdwa s[38:39], v8, s36 src0_sel:BYTE_0 src1_sel:DWORD
	s_mov_b64 s[4:5], -1
                                        ; implicit-def: $sgpr30
	s_and_saveexec_b64 s[28:29], s[38:39]
; %bb.399:                              ;   in Loop: Header=BB270_13 Depth=1
	s_mov_b32 s30, 0x7fc02000
	s_xor_b64 s[4:5], exec, -1
; %bb.400:                              ;   in Loop: Header=BB270_13 Depth=1
	s_or_b64 exec, exec, s[28:29]
	s_and_b64 s[4:5], s[4:5], exec
	s_or_saveexec_b64 s[26:27], s[26:27]
	v_mov_b32_e32 v27, s30
	s_xor_b64 exec, exec, s[26:27]
	s_cbranch_execz .LBB270_202
.LBB270_401:                            ;   in Loop: Header=BB270_13 Depth=1
	v_cmp_ne_u16_sdwa s[28:29], v8, v9 src0_sel:BYTE_0 src1_sel:DWORD
	s_andn2_b64 s[4:5], s[4:5], exec
	s_and_b64 s[28:29], s[28:29], exec
	v_mov_b32_e32 v27, 0
	s_or_b64 s[4:5], s[4:5], s[28:29]
	s_or_b64 exec, exec, s[26:27]
	v_and_b32_e32 v8, 0xffff, v8
	s_and_saveexec_b64 s[26:27], s[4:5]
	s_cbranch_execnz .LBB270_203
	s_branch .LBB270_204
.LBB270_402:
	s_or_b64 exec, exec, s[24:25]
	scratch_load_dword v1, off, s32 offset:184 ; 4-byte Folded Reload
	v_accvgpr_read_b32 v14, a16
	v_accvgpr_read_b32 v25, a21
	;; [unrolled: 1-line block ×17, first 2 shown]
.LBB270_403:
	s_or_b64 exec, exec, s[8:9]
	v_mbcnt_hi_u32_b32 v2, -1, v4
	v_and_b32_e32 v0, 64, v2
	v_add_u32_e32 v3, 64, v0
	v_xor_b32_e32 v0, 32, v2
	v_cmp_lt_i32_e32 vcc, v0, v3
	v_xor_b32_e32 v5, 16, v2
	v_xor_b32_e32 v6, 8, v2
	v_cndmask_b32_e32 v0, v2, v0, vcc
	v_lshlrev_b32_e32 v4, 2, v0
	s_waitcnt vmcnt(0)
	ds_bpermute_b32 v0, v4, v1
	v_max_f32_e32 v1, v1, v1
	v_cmp_lt_i32_e32 vcc, v5, v3
	s_waitcnt lgkmcnt(0)
	s_lshr_b32 s24, s34, 16
	v_max_f32_e32 v0, v0, v0
	v_max_f32_e32 v0, v1, v0
	v_cndmask_b32_e32 v1, v2, v5, vcc
	v_lshlrev_b32_e32 v5, 2, v1
	ds_bpermute_b32 v1, v5, v0
	v_cmp_lt_i32_e32 vcc, v6, v3
	s_waitcnt lgkmcnt(0)
	v_max_f32_e32 v1, v1, v1
	v_max_f32_e32 v0, v0, v1
	v_cndmask_b32_e32 v1, v2, v6, vcc
	v_lshlrev_b32_e32 v8, 2, v1
	ds_bpermute_b32 v1, v8, v0
	v_xor_b32_e32 v6, 4, v2
	v_cmp_lt_i32_e32 vcc, v6, v3
	s_waitcnt lgkmcnt(0)
	v_max_f32_e32 v1, v1, v1
	v_max_f32_e32 v0, v0, v1
	v_cndmask_b32_e32 v1, v2, v6, vcc
	v_lshlrev_b32_e32 v10, 2, v1
	ds_bpermute_b32 v1, v10, v0
	v_accvgpr_read_b32 v6, a2
	v_and_b32_e32 v48, 63, v6
	v_cmp_eq_u32_e32 vcc, 0, v48
	v_lshlrev_b32_e32 v6, 2, v22
	s_and_saveexec_b64 s[2:3], vcc
	s_cbranch_execz .LBB270_405
; %bb.404:
	s_waitcnt lgkmcnt(0)
	v_max_f32_e32 v1, v1, v1
	v_max_f32_e32 v0, v0, v0
	;; [unrolled: 1-line block ×3, first 2 shown]
	ds_write_b32 v6, v0 offset:384
.LBB270_405:
	s_or_b64 exec, exec, s[2:3]
	v_cmp_gt_u32_e64 s[2:3], 2, v48
	v_mov_b32_e32 v0, 0xff7fffff
	v_lshlrev_b32_e32 v7, 2, v48
	s_waitcnt lgkmcnt(0)
	s_barrier
	s_and_saveexec_b64 s[4:5], s[2:3]
	s_cbranch_execz .LBB270_407
; %bb.406:
	ds_read_b32 v0, v7 offset:384
.LBB270_407:
	s_or_b64 exec, exec, s[4:5]
	v_xor_b32_e32 v1, 1, v2
	v_cmp_lt_i32_e64 s[4:5], v1, v3
	v_accvgpr_read_b32 v9, a11
	v_subrev_u32_e32 v9, s17, v9
	v_cndmask_b32_e64 v1, v2, v1, s[4:5]
	v_lshlrev_b32_e32 v49, 2, v1
	s_waitcnt lgkmcnt(0)
	ds_bpermute_b32 v1, v49, v0
	v_max_f32_e32 v0, v0, v0
	v_lshl_add_u32 v9, v9, 4, s21
	v_accvgpr_read_b32 v12, a8
	v_min_i32_e32 v9, v9, v12
	s_waitcnt lgkmcnt(0)
	v_max_f32_e32 v1, v1, v1
	v_max_f32_e32 v0, v0, v1
	v_lshlrev_b32_e32 v1, 2, v2
	v_and_b32_e32 v11, 0x100, v1
	ds_bpermute_b32 v0, v11, v0
	v_subrev_u32_e32 v1, s21, v9
	v_accvgpr_read_b32 v12, a2
	v_cmp_lt_i32_e64 s[4:5], v12, v1
	v_mov_b32_e32 v12, 0
	s_and_saveexec_b64 s[8:9], s[4:5]
	s_cbranch_execz .LBB270_411
; %bb.408:
	s_ashr_i32 s19, s18, 31
	s_lshl_b64 s[6:7], s[18:19], 2
	s_getpc_b64 s[22:23]
	s_add_u32 s22, s22, llvm.amdgcn.dynlds.offset.table@rel32@lo+4
	s_addc_u32 s23, s23, llvm.amdgcn.dynlds.offset.table@rel32@hi+12
	s_add_u32 s6, s6, s22
	s_addc_u32 s7, s7, s23
	s_load_dword s6, s[6:7], 0x0
	v_accvgpr_read_b32 v16, a2
	s_mov_b64 s[22:23], 0
	v_mov_b32_e32 v12, 0
	s_waitcnt lgkmcnt(0)
	v_lshl_add_u32 v13, v16, 2, s6
.LBB270_409:                            ; =>This Inner Loop Header: Depth=1
	ds_read_b32 v17, v13
	v_add_u32_e32 v16, 0x80, v16
	v_cmp_ge_i32_e64 s[6:7], v16, v1
	s_or_b64 s[22:23], s[6:7], s[22:23]
	s_waitcnt lgkmcnt(0)
	v_sub_f32_e32 v17, v17, v0
	v_mul_f32_e32 v17, 0x3fb8aa3b, v17
	v_exp_f32_e32 v17, v17
	ds_write_b32 v13, v17
	v_add_f32_e32 v12, v12, v17
	v_add_u32_e32 v13, 0x200, v13
	s_andn2_b64 exec, exec, s[22:23]
	s_cbranch_execnz .LBB270_409
; %bb.410:
	s_or_b64 exec, exec, s[22:23]
.LBB270_411:
	s_or_b64 exec, exec, s[8:9]
	ds_bpermute_b32 v4, v4, v12
	s_waitcnt lgkmcnt(0)
	v_add_f32_e32 v4, v12, v4
	ds_bpermute_b32 v5, v5, v4
	s_waitcnt lgkmcnt(0)
	v_add_f32_e32 v4, v4, v5
	ds_bpermute_b32 v5, v8, v4
	v_xor_b32_e32 v8, 2, v2
	v_cmp_lt_i32_e64 s[6:7], v8, v3
	s_waitcnt lgkmcnt(0)
	v_add_f32_e32 v4, v4, v5
	ds_bpermute_b32 v5, v10, v4
	v_cndmask_b32_e64 v2, v2, v8, s[6:7]
	v_lshlrev_b32_e32 v2, 2, v2
	s_waitcnt lgkmcnt(0)
	v_add_f32_e32 v3, v4, v5
	ds_bpermute_b32 v2, v2, v3
	s_waitcnt lgkmcnt(0)
	v_add_f32_e32 v2, v3, v2
	ds_bpermute_b32 v3, v49, v2
	s_waitcnt lgkmcnt(0)
	v_add_f32_e32 v2, v2, v3
	s_and_saveexec_b64 s[6:7], vcc
	s_cbranch_execz .LBB270_413
; %bb.412:
	ds_write_b32 v6, v2 offset:392
.LBB270_413:
	s_or_b64 exec, exec, s[6:7]
	s_waitcnt lgkmcnt(0)
	s_barrier
	s_and_saveexec_b64 s[6:7], s[2:3]
	s_cbranch_execz .LBB270_415
; %bb.414:
	ds_read_b32 v2, v7 offset:392
.LBB270_415:
	s_or_b64 exec, exec, s[6:7]
	s_waitcnt lgkmcnt(0)
	ds_bpermute_b32 v3, v49, v2
	s_waitcnt lgkmcnt(0)
	v_add_f32_e32 v2, v2, v3
	ds_bpermute_b32 v2, v11, v2
	s_and_saveexec_b64 s[2:3], s[4:5]
	s_cbranch_execz .LBB270_428
; %bb.416:
	s_waitcnt lgkmcnt(0)
	v_add_f32_e32 v3, 0x358637bd, v2
	v_div_scale_f32 v4, s[4:5], v3, v3, 1.0
	v_rcp_f32_e32 v5, v4
	v_div_scale_f32 v6, vcc, 1.0, v3, 1.0
	s_movk_i32 s4, 0x7f
	v_fma_f32 v7, -v4, v5, 1.0
	v_fmac_f32_e32 v5, v7, v5
	v_mul_f32_e32 v7, v6, v5
	v_fma_f32 v8, -v4, v7, v6
	v_fmac_f32_e32 v7, v8, v5
	v_fma_f32 v4, -v4, v7, v6
	v_div_fmas_f32 v4, v4, v5, v7
	v_accvgpr_read_b32 v6, a2
	v_div_fixup_f32 v8, v4, v3, 1.0
	v_xad_u32 v3, v6, -1, v9
	v_subrev_u32_e32 v4, s21, v3
	v_cmp_lt_u32_e32 vcc, s4, v4
	s_mov_b64 s[6:7], -1
	v_accvgpr_read_b32 v3, a2
	s_and_saveexec_b64 s[4:5], vcc
	s_cbranch_execz .LBB270_425
; %bb.417:
	v_lshrrev_b32_e32 v3, 7, v4
	v_add_u32_e32 v5, -1, v3
	v_lshrrev_b32_e32 v4, 1, v5
	v_mov_b32_e32 v9, v8
	v_add_u32_e32 v4, 1, v4
	v_cmp_lt_u32_e32 vcc, 13, v5
	v_mov_b32_e32 v7, 0
	s_and_saveexec_b64 s[6:7], vcc
	s_cbranch_execz .LBB270_421
; %bb.418:
	s_ashr_i32 s19, s18, 31
	s_lshl_b64 s[8:9], s[18:19], 2
	s_getpc_b64 s[22:23]
	s_add_u32 s22, s22, llvm.amdgcn.dynlds.offset.table@rel32@lo+4
	s_addc_u32 s23, s23, llvm.amdgcn.dynlds.offset.table@rel32@hi+12
	s_add_u32 s8, s8, s22
	s_addc_u32 s9, s9, s23
	s_load_dword s8, s[8:9], 0x0
	v_accvgpr_read_b32 v6, a2
	v_and_b32_e32 v5, -8, v4
	s_mov_b32 s17, 0
	s_waitcnt lgkmcnt(0)
	v_lshl_add_u32 v6, v6, 2, s8
	s_mov_b64 s[8:9], 0
.LBB270_419:                            ; =>This Inner Loop Header: Depth=1
	ds_read2st64_b32 v[10:11], v6 offset1:2
	ds_read2st64_b32 v[12:13], v6 offset0:4 offset1:6
	ds_read2st64_b32 v[18:19], v6 offset0:8 offset1:10
	;; [unrolled: 1-line block ×3, first 2 shown]
	v_add_u32_e32 v5, -8, v5
	s_waitcnt lgkmcnt(3)
	v_pk_mul_f32 v[10:11], v[8:9], v[10:11]
	s_waitcnt lgkmcnt(2)
	v_pk_mul_f32 v[12:13], v[8:9], v[12:13]
	ds_write2st64_b32 v6, v10, v11 offset1:2
	ds_write2st64_b32 v6, v12, v13 offset0:4 offset1:6
	ds_read2st64_b32 v[12:13], v6 offset0:16 offset1:18
	s_waitcnt lgkmcnt(4)
	v_pk_mul_f32 v[10:11], v[8:9], v[18:19]
	ds_write2st64_b32 v6, v10, v11 offset0:8 offset1:10
	s_waitcnt lgkmcnt(4)
	v_pk_mul_f32 v[10:11], v[8:9], v[16:17]
	ds_write2st64_b32 v6, v10, v11 offset0:12 offset1:14
	ds_read2st64_b32 v[10:11], v6 offset0:20 offset1:22
	s_waitcnt lgkmcnt(3)
	v_pk_mul_f32 v[12:13], v[8:9], v[12:13]
	ds_read2st64_b32 v[16:17], v6 offset0:24 offset1:26
	ds_write2st64_b32 v6, v12, v13 offset0:16 offset1:18
	ds_read2st64_b32 v[12:13], v6 offset0:28 offset1:30
	s_waitcnt lgkmcnt(3)
	v_pk_mul_f32 v[10:11], v[8:9], v[10:11]
	ds_write2st64_b32 v6, v10, v11 offset0:20 offset1:22
	s_waitcnt lgkmcnt(3)
	v_pk_mul_f32 v[10:11], v[8:9], v[16:17]
	ds_write2st64_b32 v6, v10, v11 offset0:24 offset1:26
	s_waitcnt lgkmcnt(2)
	v_pk_mul_f32 v[10:11], v[8:9], v[12:13]
	s_add_i32 s17, s17, 16
	v_cmp_eq_u32_e32 vcc, 0, v5
	ds_write2st64_b32 v6, v10, v11 offset0:28 offset1:30
	v_add_u32_e32 v6, 0x2000, v6
	s_or_b64 s[8:9], vcc, s[8:9]
	v_mov_b32_e32 v7, s17
	s_andn2_b64 exec, exec, s[8:9]
	s_cbranch_execnz .LBB270_419
; %bb.420:
	s_or_b64 exec, exec, s[8:9]
.LBB270_421:
	s_or_b64 exec, exec, s[6:7]
	v_and_b32_e32 v4, 7, v4
	v_cmp_ne_u32_e32 vcc, 0, v4
	s_and_saveexec_b64 s[6:7], vcc
	s_cbranch_execz .LBB270_424
; %bb.422:
	s_ashr_i32 s19, s18, 31
	s_lshl_b64 s[8:9], s[18:19], 2
	s_getpc_b64 s[22:23]
	s_add_u32 s22, s22, llvm.amdgcn.dynlds.offset.table@rel32@lo+4
	s_addc_u32 s23, s23, llvm.amdgcn.dynlds.offset.table@rel32@hi+12
	s_add_u32 s8, s8, s22
	s_addc_u32 s9, s9, s23
	s_load_dword s8, s[8:9], 0x0
	v_accvgpr_read_b32 v6, a2
	v_lshlrev_b32_e32 v5, 9, v7
	v_lshlrev_b32_e32 v6, 2, v6
	s_waitcnt lgkmcnt(0)
	v_add3_u32 v5, v5, v6, s8
	s_mov_b64 s[8:9], 0
.LBB270_423:                            ; =>This Inner Loop Header: Depth=1
	ds_read2st64_b32 v[6:7], v5 offset1:2
	v_add_u32_e32 v4, -1, v4
	v_cmp_eq_u32_e32 vcc, 0, v4
	s_or_b64 s[8:9], vcc, s[8:9]
	s_waitcnt lgkmcnt(0)
	v_pk_mul_f32 v[6:7], v[8:9], v[6:7]
	ds_write2st64_b32 v5, v6, v7 offset1:2
	v_add_u32_e32 v5, 0x400, v5
	s_andn2_b64 exec, exec, s[8:9]
	s_cbranch_execnz .LBB270_423
.LBB270_424:
	s_or_b64 exec, exec, s[6:7]
	v_add_u32_e32 v4, 1, v3
	v_and_b32_e32 v5, 0x3fffffe, v4
	v_accvgpr_read_b32 v6, a2
	v_cmp_ne_u32_e32 vcc, v4, v5
	v_lshl_add_u32 v3, v5, 7, v6
	s_orn2_b64 s[6:7], vcc, exec
.LBB270_425:
	s_or_b64 exec, exec, s[4:5]
	s_and_b64 exec, exec, s[6:7]
	s_cbranch_execz .LBB270_428
; %bb.426:
	s_ashr_i32 s19, s18, 31
	s_lshl_b64 s[4:5], s[18:19], 2
	s_getpc_b64 s[6:7]
	s_add_u32 s6, s6, llvm.amdgcn.dynlds.offset.table@rel32@lo+4
	s_addc_u32 s7, s7, llvm.amdgcn.dynlds.offset.table@rel32@hi+12
	s_add_u32 s4, s4, s6
	s_addc_u32 s5, s5, s7
	s_load_dword s4, s[4:5], 0x0
	s_waitcnt lgkmcnt(0)
	v_lshl_add_u32 v4, v3, 2, s4
	s_mov_b64 s[4:5], 0
.LBB270_427:                            ; =>This Inner Loop Header: Depth=1
	ds_read_b32 v5, v4
	v_add_u32_e32 v3, 0x80, v3
	v_cmp_ge_i32_e32 vcc, v3, v1
	s_or_b64 s[4:5], vcc, s[4:5]
	s_waitcnt lgkmcnt(0)
	v_mul_f32_e32 v5, v8, v5
	ds_write_b32 v4, v5
	v_add_u32_e32 v4, 0x200, v4
	s_andn2_b64 exec, exec, s[4:5]
	s_cbranch_execnz .LBB270_427
.LBB270_428:
	s_or_b64 exec, exec, s[2:3]
	v_cmp_ne_u16_e64 s[2:3], s24, 0
	s_cmp_lg_u64 s[2:3], 0
	s_addc_u32 s17, s13, 0
	v_accvgpr_read_b32 v4, a2
	s_mul_i32 s2, s17, s20
	v_cmp_eq_u32_e32 vcc, 0, v4
	s_mul_i32 s2, s2, s15
	s_waitcnt lgkmcnt(0)
	s_barrier
	s_and_saveexec_b64 s[4:5], vcc
	s_cbranch_execz .LBB270_430
; %bb.429:
	s_mul_i32 s8, s17, s12
	s_ashr_i32 s3, s2, 31
	s_ashr_i32 s9, s8, 31
	;; [unrolled: 1-line block ×3, first 2 shown]
	s_lshl_b64 s[6:7], s[2:3], 2
	s_lshl_b64 s[8:9], s[8:9], 2
	;; [unrolled: 1-line block ×3, first 2 shown]
	s_add_u32 s3, s12, s8
	s_addc_u32 s8, s13, s9
	s_add_u32 s6, s3, s6
	s_addc_u32 s7, s8, s7
	v_lshl_add_u64 v[4:5], s[6:7], 0, v[34:35]
	flat_store_dword v[4:5], v0
	v_lshl_add_u64 v[0:1], s[6:7], 0, v[26:27]
	flat_store_dword v[0:1], v2
.LBB270_430:
	s_or_b64 exec, exec, s[4:5]
	s_ashr_i32 s19, s18, 31
	s_lshl_b64 s[4:5], s[18:19], 2
	s_getpc_b64 s[6:7]
	s_add_u32 s6, s6, llvm.amdgcn.dynlds.offset.table@rel32@lo+4
	s_addc_u32 s7, s7, llvm.amdgcn.dynlds.offset.table@rel32@hi+12
	s_add_u32 s4, s4, s6
	s_addc_u32 s5, s5, s7
	s_load_dword s3, s[4:5], 0x0
	v_accvgpr_read_b32 v0, a2
	s_mov_b32 s4, 0
	v_mov_b32_e32 v21, 0
	v_and_b32_e32 v54, 1, v0
	v_mov_b32_e32 v20, 0
	v_mov_b32_e32 v19, 0
	;; [unrolled: 1-line block ×5, first 2 shown]
	s_and_saveexec_b64 s[12:13], s[0:1]
	s_cbranch_execz .LBB270_832
; %bb.431:
	v_max_i32_e32 v53, v30, v23
	v_cvt_f32_u32_e32 v0, v53
	v_accvgpr_read_b32 v2, a2
	v_lshlrev_b32_e32 v2, 3, v2
	v_lshl_add_u64 v[4:5], v[24:25], 0, v[36:37]
	v_rcp_iflag_f32_e32 v0, v0
	v_mov_b32_e32 v1, 0
	v_and_b32_e32 v39, 8, v2
	s_mov_b32 s8, s4
	v_mul_f32_e32 v0, 0x4f7ffffe, v0
	v_cvt_u32_f32_e32 v6, v0
	v_and_b32_e32 v0, 0x1f8, v2
	v_sub_u32_e32 v2, 0, v53
	v_lshl_add_u64 v[8:9], v[4:5], 0, v[0:1]
	v_mul_lo_u32 v0, v2, v6
	v_accvgpr_read_b32 v4, a12
	v_mul_hi_u32 v0, v6, v0
	v_accvgpr_read_b32 v5, a13
	v_add_u32_e32 v2, v6, v0
	v_lshlrev_b64 v[4:5], 2, v[4:5]
	v_lshlrev_b32_e32 v0, 5, v54
	s_mov_b32 s9, s4
	v_lshl_add_u64 v[4:5], v[32:33], 2, v[4:5]
	v_lshl_or_b32 v0, v22, 6, v0
	s_mov_b32 s5, s4
	s_mov_b32 s6, s4
	;; [unrolled: 1-line block ×3, first 2 shown]
	v_mov_b64_e32 v[20:21], s[8:9]
	v_add_u32_e32 v38, -1, v28
	v_accvgpr_read_b32 v3, a8
	v_lshl_add_u64 v[10:11], v[14:15], 0, v[4:5]
	s_waitcnt lgkmcnt(0)
	v_add_u32_e32 v29, s3, v0
	s_mov_b64 s[18:19], 0
	v_mov_b64_e32 v[18:19], s[6:7]
	v_mov_b64_e32 v[16:17], s[4:5]
	s_movk_i32 s15, 0x7f
	s_movk_i32 s22, 0x80
	s_mov_b32 s23, 0x8000
	s_movk_i32 s24, 0x380
	s_mov_b32 s25, 0x3020706
	s_mov_b32 s26, 0x1000504
	;; [unrolled: 1-line block ×3, first 2 shown]
	v_mov_b32_e32 v52, 0x1c00
	v_accvgpr_read_b32 v5, a15
	s_branch .LBB270_434
.LBB270_432:                            ;   in Loop: Header=BB270_434 Depth=1
	s_or_b64 exec, exec, s[0:1]
	v_add_f32_e32 v4, v4, v5
	v_add_f32_e32 v17, v17, v4
	;; [unrolled: 1-line block ×8, first 2 shown]
	;;#ASMSTART
	v_pk_mul_f16 v4, v58, v15;

	;;#ASMEND
	;;#ASMSTART
	v_pk_mul_f16 v0, v57, v0;

	;;#ASMEND
	;; [unrolled: 4-line block ×4, first 2 shown]
	v_add_f32_e32 v14, v59, v60
	;;#ASMSTART
	v_pk_add_f16 v0, v4, v0;

	;;#ASMEND
	v_add_f32_e32 v16, v16, v14
	;;#ASMSTART
	v_pk_add_f16 v0, v0, v5;

	;;#ASMEND
	s_nop 0
	;;#ASMSTART
	v_pk_add_f16 v0, v0, v6;

	;;#ASMEND
	s_nop 0
	v_lshrrev_b32_e32 v4, 16, v0
	v_and_b32_e32 v0, 0xffff, v0
	;;#ASMSTART
	v_cvt_f32_f16 v0, v0;
	;;#ASMEND
	;;#ASMSTART
	v_cvt_f32_f16 v4, v4;
	;;#ASMEND
	s_nop 0
	v_add_f32_e32 v0, v0, v4
	v_add_f32_e32 v21, v21, v0
.LBB270_433:                            ;   in Loop: Header=BB270_434 Depth=1
	s_or_b64 exec, exec, s[4:5]
	v_accvgpr_read_b32 v4, a12
	v_add_u32_e32 v4, 2, v4
	v_accvgpr_read_b32 v0, a11
	v_mov_b32_e32 v5, v34
	v_cmp_ge_i32_e32 vcc, v4, v0
	v_lshl_add_u64 v[10:11], v[10:11], 0, 8
	v_add_u32_e32 v5, 32, v5
	v_accvgpr_write_b32 a12, v4
	s_or_b64 s[18:19], vcc, s[18:19]
	v_add_u32_e32 v29, 0x80, v29
	s_andn2_b64 exec, exec, s[18:19]
	s_cbranch_execz .LBB270_831
.LBB270_434:                            ; =>This Inner Loop Header: Depth=1
	v_ashrrev_i32_e32 v0, 31, v5
	v_accvgpr_read_b32 v4, a9
	v_xor_b32_e32 v0, v0, v4
	v_sub_u32_e32 v4, 0, v5
	v_mov_b32_e32 v34, v5
	v_max_i32_e32 v4, v5, v4
	v_accvgpr_read_b32 v5, a7
	v_mul_hi_u32 v5, v4, v5
	v_accvgpr_read_b32 v7, a3
	v_mul_lo_u32 v6, v5, v7
	v_sub_u32_e32 v4, v4, v6
	v_add_u32_e32 v6, 1, v5
	v_cmp_ge_u32_e32 vcc, v4, v7
	s_nop 1
	v_cndmask_b32_e32 v5, v5, v6, vcc
	v_sub_u32_e32 v6, v4, v7
	v_cndmask_b32_e32 v4, v4, v6, vcc
	v_add_u32_e32 v6, 1, v5
	v_cmp_ge_u32_e32 vcc, v4, v7
	s_nop 1
	v_cndmask_b32_e32 v4, v5, v6, vcc
	v_xor_b32_e32 v4, v4, v0
	v_sub_u32_e32 v0, v4, v0
	v_accvgpr_read_b32 v4, a10
	v_add_u32_e32 v4, v0, v4
	v_sub_u32_e32 v6, 0, v4
	v_ashrrev_i32_e32 v5, 31, v4
	v_max_i32_e32 v4, v4, v6
	v_mul_hi_u32 v6, v4, v2
	v_mul_lo_u32 v6, v6, v53
	v_sub_u32_e32 v4, v4, v6
	v_sub_u32_e32 v6, v4, v53
	v_cmp_ge_u32_e32 vcc, v4, v53
	s_nop 1
	v_cndmask_b32_e32 v4, v4, v6, vcc
	v_sub_u32_e32 v6, v4, v53
	v_cmp_ge_u32_e32 vcc, v4, v53
	s_nop 1
	v_cndmask_b32_e32 v4, v4, v6, vcc
	v_xor_b32_e32 v4, v4, v5
	v_sub_u32_e32 v4, v4, v5
	v_cmp_eq_u32_e32 vcc, 0, v4
	v_accvgpr_read_b32 v4, a14
	v_cmp_gt_i32_e64 s[0:1], v0, v4
	s_or_b64 s[0:1], vcc, s[0:1]
	s_and_saveexec_b64 s[4:5], s[0:1]
	s_cbranch_execz .LBB270_433
; %bb.435:                              ;   in Loop: Header=BB270_434 Depth=1
	ds_read2_b64 v[4:7], v29 offset1:1
	ds_read2_b64 v[24:27], v29 offset0:2 offset1:3
	v_accvgpr_read_b32 v12, a6
                                        ; implicit-def: $sgpr20
	s_waitcnt lgkmcnt(0)
	;;#ASMSTART
	v_cvt_f16_f32 v4, v4;

	;;#ASMEND
	;;#ASMSTART
	v_cvt_f16_f32 v5, v5;

	;;#ASMEND
	;; [unrolled: 4-line block ×8, first 2 shown]
	flat_load_dword v0, v[10:11]
	v_accvgpr_read_b32 v27, a5
	v_accvgpr_read_b32 v26, a4
	flat_load_dword v14, v[26:27]
	s_waitcnt vmcnt(0) lgkmcnt(0)
	v_mad_i64_i32 v[12:13], s[0:1], v0, v12, v[8:9]
	flat_load_dwordx2 v[24:25], v[12:13]
	s_mov_b64 s[0:1], 0
	s_waitcnt vmcnt(0) lgkmcnt(0)
	v_cmp_gt_i16_sdwa s[6:7], v24, s15 src0_sel:BYTE_0 src1_sel:DWORD
	s_and_saveexec_b64 s[8:9], s[6:7]
	s_xor_b64 s[6:7], exec, s[8:9]
	s_cbranch_execnz .LBB270_639
; %bb.436:                              ;   in Loop: Header=BB270_434 Depth=1
	s_or_saveexec_b64 s[6:7], s[6:7]
	v_mov_b32_e32 v30, s20
	s_xor_b64 exec, exec, s[6:7]
	s_cbranch_execnz .LBB270_642
.LBB270_437:                            ;   in Loop: Header=BB270_434 Depth=1
	s_or_b64 exec, exec, s[6:7]
	s_and_saveexec_b64 s[6:7], s[0:1]
	s_cbranch_execz .LBB270_439
.LBB270_438:                            ;   in Loop: Header=BB270_434 Depth=1
	v_and_b32_e32 v0, 7, v24
	v_ffbh_u32_e32 v0, v0
	v_bfe_u32 v23, v24, 3, 4
	v_min_u32_e32 v0, 32, v0
	v_subrev_u32_e32 v26, 28, v0
	v_sub_u32_e32 v0, 29, v0
	v_cmp_eq_u32_e32 vcc, 0, v23
	s_nop 1
	v_cndmask_b32_e32 v0, v23, v0, vcc
	v_cndmask_b32_e32 v23, 0, v26, vcc
	v_lshlrev_b64 v[26:27], v23, v[24:25]
	v_lshlrev_b32_e32 v23, 7, v26
	v_lshlrev_b32_e32 v26, 8, v24
	v_lshl_add_u32 v0, v0, 10, v52
	v_and_or_b32 v0, v26, s23, v0
	v_and_or_b32 v0, v23, s24, v0
	v_cvt_f32_f16_e32 v30, v0
.LBB270_439:                            ;   in Loop: Header=BB270_434 Depth=1
	s_or_b64 exec, exec, s[6:7]
	v_lshrrev_b16_e32 v0, 8, v24
	v_cmp_lt_i16_e32 vcc, s15, v0
	s_mov_b64 s[0:1], 0
                                        ; implicit-def: $sgpr20
	s_and_saveexec_b64 s[6:7], vcc
	s_xor_b64 s[6:7], exec, s[6:7]
	s_cbranch_execnz .LBB270_643
; %bb.440:                              ;   in Loop: Header=BB270_434 Depth=1
	s_or_saveexec_b64 s[6:7], s[6:7]
	v_mov_b32_e32 v36, s20
	s_xor_b64 exec, exec, s[6:7]
	s_cbranch_execnz .LBB270_646
.LBB270_441:                            ;   in Loop: Header=BB270_434 Depth=1
	s_or_b64 exec, exec, s[6:7]
	s_and_saveexec_b64 s[6:7], s[0:1]
	s_cbranch_execz .LBB270_443
.LBB270_442:                            ;   in Loop: Header=BB270_434 Depth=1
	v_and_b32_e32 v23, 7, v0
	v_ffbh_u32_e32 v26, v23
	v_min_u32_e32 v31, 32, v26
	v_subrev_u32_e32 v26, 28, v31
	v_bfe_u32 v28, v0, 3, 4
	v_lshlrev_b64 v[26:27], v26, v[0:1]
	v_sub_u32_e32 v27, 29, v31
	v_cmp_eq_u32_e32 vcc, 0, v28
	v_and_b32_e32 v26, 7, v26
	v_lshlrev_b32_e32 v0, 8, v0
	v_cndmask_b32_e32 v27, v28, v27, vcc
	v_cndmask_b32_e32 v23, v23, v26, vcc
	v_lshl_add_u32 v26, v27, 10, v52
	v_and_or_b32 v0, v0, s23, v26
	v_lshl_or_b32 v0, v23, 7, v0
	v_cvt_f32_f16_e32 v36, v0
.LBB270_443:                            ;   in Loop: Header=BB270_434 Depth=1
	s_or_b64 exec, exec, s[6:7]
	v_lshrrev_b32_e32 v0, 16, v24
	v_cmp_gt_i16_sdwa s[6:7], v0, s15 src0_sel:BYTE_0 src1_sel:DWORD
	s_mov_b64 s[0:1], 0
                                        ; implicit-def: $sgpr20
	s_and_saveexec_b64 s[8:9], s[6:7]
	s_xor_b64 s[6:7], exec, s[8:9]
	s_cbranch_execnz .LBB270_647
; %bb.444:                              ;   in Loop: Header=BB270_434 Depth=1
	s_or_saveexec_b64 s[6:7], s[6:7]
	v_mov_b32_e32 v31, s20
	s_xor_b64 exec, exec, s[6:7]
	s_cbranch_execnz .LBB270_650
.LBB270_445:                            ;   in Loop: Header=BB270_434 Depth=1
	s_or_b64 exec, exec, s[6:7]
	s_and_saveexec_b64 s[6:7], s[0:1]
	s_cbranch_execz .LBB270_447
.LBB270_446:                            ;   in Loop: Header=BB270_434 Depth=1
	v_bfe_u32 v23, v24, 16, 3
	v_ffbh_u32_e32 v26, v23
	v_min_u32_e32 v31, 32, v26
	v_subrev_u32_e32 v26, 28, v31
	v_bfe_u32 v28, v24, 19, 4
	v_lshlrev_b64 v[26:27], v26, v[0:1]
	v_sub_u32_e32 v27, 29, v31
	v_cmp_eq_u32_e32 vcc, 0, v28
	v_and_b32_e32 v26, 7, v26
	v_lshlrev_b32_e32 v0, 8, v0
	v_cndmask_b32_e32 v27, v28, v27, vcc
	v_cndmask_b32_e32 v23, v23, v26, vcc
	v_lshl_add_u32 v26, v27, 10, v52
	v_and_or_b32 v0, v0, s23, v26
	v_lshl_or_b32 v0, v23, 7, v0
	v_cvt_f32_f16_e32 v31, v0
.LBB270_447:                            ;   in Loop: Header=BB270_434 Depth=1
	s_or_b64 exec, exec, s[6:7]
	v_lshrrev_b32_e32 v0, 24, v24
	v_cmp_lt_i16_e32 vcc, s15, v0
	s_mov_b64 s[0:1], 0
                                        ; implicit-def: $sgpr20
	s_and_saveexec_b64 s[6:7], vcc
	s_xor_b64 s[6:7], exec, s[6:7]
	s_cbranch_execnz .LBB270_651
; %bb.448:                              ;   in Loop: Header=BB270_434 Depth=1
	s_or_saveexec_b64 s[6:7], s[6:7]
	v_mov_b32_e32 v37, s20
	s_xor_b64 exec, exec, s[6:7]
	s_cbranch_execnz .LBB270_654
.LBB270_449:                            ;   in Loop: Header=BB270_434 Depth=1
	s_or_b64 exec, exec, s[6:7]
	s_and_saveexec_b64 s[6:7], s[0:1]
	s_cbranch_execz .LBB270_451
.LBB270_450:                            ;   in Loop: Header=BB270_434 Depth=1
	v_bfe_u32 v23, v24, 24, 3
	v_ffbh_u32_e32 v26, v23
	v_min_u32_e32 v28, 32, v26
	v_subrev_u32_e32 v26, 28, v28
	v_bfe_u32 v24, v24, 27, 4
	v_lshlrev_b64 v[26:27], v26, v[0:1]
	v_sub_u32_e32 v27, 29, v28
	v_cmp_eq_u32_e32 vcc, 0, v24
	v_and_b32_e32 v26, 7, v26
	v_lshlrev_b32_e32 v0, 8, v0
	v_cndmask_b32_e32 v24, v24, v27, vcc
	v_lshl_add_u32 v24, v24, 10, v52
	v_cndmask_b32_e32 v23, v23, v26, vcc
	v_and_or_b32 v0, v0, s23, v24
	v_lshl_or_b32 v0, v23, 7, v0
	v_cvt_f32_f16_e32 v37, v0
.LBB270_451:                            ;   in Loop: Header=BB270_434 Depth=1
	s_or_b64 exec, exec, s[6:7]
	v_cmp_gt_i16_sdwa s[6:7], v25, s15 src0_sel:BYTE_0 src1_sel:DWORD
	s_mov_b64 s[0:1], 0
                                        ; implicit-def: $sgpr20
	s_and_saveexec_b64 s[8:9], s[6:7]
	s_xor_b64 s[6:7], exec, s[8:9]
	s_cbranch_execnz .LBB270_655
; %bb.452:                              ;   in Loop: Header=BB270_434 Depth=1
	s_or_saveexec_b64 s[6:7], s[6:7]
	v_mov_b32_e32 v24, s20
	s_xor_b64 exec, exec, s[6:7]
	s_cbranch_execnz .LBB270_658
.LBB270_453:                            ;   in Loop: Header=BB270_434 Depth=1
	s_or_b64 exec, exec, s[6:7]
	v_mov_b32_e32 v0, v25
	s_and_saveexec_b64 s[6:7], s[0:1]
	s_cbranch_execz .LBB270_455
.LBB270_454:                            ;   in Loop: Header=BB270_434 Depth=1
	v_and_b32_e32 v23, 7, v25
	v_ffbh_u32_e32 v23, v23
	v_bfe_u32 v24, v25, 3, 4
	v_min_u32_e32 v23, 32, v23
	v_subrev_u32_e32 v26, 28, v23
	v_sub_u32_e32 v23, 29, v23
	v_cmp_eq_u32_e32 vcc, 0, v24
	s_nop 1
	v_cndmask_b32_e32 v23, v24, v23, vcc
	v_cndmask_b32_e32 v24, 0, v26, vcc
	v_lshlrev_b64 v[26:27], v24, v[0:1]
	v_lshlrev_b32_e32 v24, 7, v26
	v_lshlrev_b32_e32 v26, 8, v25
	v_lshl_add_u32 v23, v23, 10, v52
	v_and_or_b32 v23, v26, s23, v23
	v_and_or_b32 v23, v24, s24, v23
	v_cvt_f32_f16_e32 v24, v23
.LBB270_455:                            ;   in Loop: Header=BB270_434 Depth=1
	s_or_b64 exec, exec, s[6:7]
	v_lshrrev_b16_e32 v0, 8, v0
	v_cmp_lt_i16_e32 vcc, s15, v0
	s_mov_b64 s[0:1], 0
                                        ; implicit-def: $sgpr20
	s_and_saveexec_b64 s[6:7], vcc
	s_xor_b64 s[6:7], exec, s[6:7]
	s_cbranch_execnz .LBB270_659
; %bb.456:                              ;   in Loop: Header=BB270_434 Depth=1
	s_or_saveexec_b64 s[6:7], s[6:7]
	v_mov_b32_e32 v26, s20
	s_xor_b64 exec, exec, s[6:7]
	s_cbranch_execnz .LBB270_662
.LBB270_457:                            ;   in Loop: Header=BB270_434 Depth=1
	s_or_b64 exec, exec, s[6:7]
	s_and_saveexec_b64 s[6:7], s[0:1]
	s_cbranch_execz .LBB270_459
.LBB270_458:                            ;   in Loop: Header=BB270_434 Depth=1
	v_and_b32_e32 v23, 7, v0
	v_ffbh_u32_e32 v26, v23
	v_min_u32_e32 v33, 32, v26
	v_subrev_u32_e32 v26, 28, v33
	v_bfe_u32 v28, v0, 3, 4
	v_lshlrev_b64 v[26:27], v26, v[0:1]
	v_sub_u32_e32 v27, 29, v33
	v_cmp_eq_u32_e32 vcc, 0, v28
	v_and_b32_e32 v26, 7, v26
	v_lshlrev_b32_e32 v0, 8, v0
	v_cndmask_b32_e32 v27, v28, v27, vcc
	v_cndmask_b32_e32 v23, v23, v26, vcc
	v_lshl_add_u32 v26, v27, 10, v52
	v_and_or_b32 v0, v0, s23, v26
	v_lshl_or_b32 v0, v23, 7, v0
	v_cvt_f32_f16_e32 v26, v0
.LBB270_459:                            ;   in Loop: Header=BB270_434 Depth=1
	s_or_b64 exec, exec, s[6:7]
	v_lshrrev_b32_e32 v0, 16, v25
	v_cmp_gt_i16_sdwa s[6:7], v0, s15 src0_sel:BYTE_0 src1_sel:DWORD
	s_mov_b64 s[0:1], 0
                                        ; implicit-def: $sgpr20
	s_and_saveexec_b64 s[8:9], s[6:7]
	s_xor_b64 s[6:7], exec, s[8:9]
	s_cbranch_execnz .LBB270_663
; %bb.460:                              ;   in Loop: Header=BB270_434 Depth=1
	s_or_saveexec_b64 s[6:7], s[6:7]
	v_mov_b32_e32 v27, s20
	s_xor_b64 exec, exec, s[6:7]
	s_cbranch_execnz .LBB270_666
.LBB270_461:                            ;   in Loop: Header=BB270_434 Depth=1
	s_or_b64 exec, exec, s[6:7]
	s_and_saveexec_b64 s[6:7], s[0:1]
	s_cbranch_execz .LBB270_463
.LBB270_462:                            ;   in Loop: Header=BB270_434 Depth=1
	v_bfe_u32 v23, v25, 16, 3
	v_ffbh_u32_e32 v28, v23
	v_bfe_u32 v27, v25, 19, 4
	v_min_u32_e32 v28, 32, v28
	v_subrev_u32_e32 v33, 28, v28
	v_sub_u32_e32 v28, 29, v28
	v_cmp_eq_u32_e32 vcc, 0, v27
	v_lshlrev_b64 v[50:51], v33, v[0:1]
	v_and_b32_e32 v33, 7, v50
	v_cndmask_b32_e32 v27, v27, v28, vcc
	v_lshlrev_b32_e32 v0, 8, v0
	v_lshl_add_u32 v27, v27, 10, v52
	v_cndmask_b32_e32 v23, v23, v33, vcc
	v_and_or_b32 v0, v0, s23, v27
	v_lshl_or_b32 v0, v23, 7, v0
	v_cvt_f32_f16_e32 v27, v0
.LBB270_463:                            ;   in Loop: Header=BB270_434 Depth=1
	s_or_b64 exec, exec, s[6:7]
	v_lshrrev_b32_e32 v0, 24, v25
	v_cmp_lt_i16_e32 vcc, s15, v0
	s_mov_b64 s[0:1], 0
                                        ; implicit-def: $sgpr20
	s_and_saveexec_b64 s[6:7], vcc
	s_xor_b64 s[6:7], exec, s[6:7]
	s_cbranch_execnz .LBB270_667
; %bb.464:                              ;   in Loop: Header=BB270_434 Depth=1
	s_or_saveexec_b64 s[6:7], s[6:7]
	v_mov_b32_e32 v33, s20
	s_xor_b64 exec, exec, s[6:7]
	s_cbranch_execnz .LBB270_670
.LBB270_465:                            ;   in Loop: Header=BB270_434 Depth=1
	s_or_b64 exec, exec, s[6:7]
	s_and_saveexec_b64 s[6:7], s[0:1]
	s_cbranch_execz .LBB270_467
.LBB270_466:                            ;   in Loop: Header=BB270_434 Depth=1
	v_bfe_u32 v23, v25, 24, 3
	v_ffbh_u32_e32 v28, v23
	v_bfe_u32 v25, v25, 27, 4
	v_min_u32_e32 v28, 32, v28
	v_subrev_u32_e32 v33, 28, v28
	v_sub_u32_e32 v28, 29, v28
	v_cmp_eq_u32_e32 vcc, 0, v25
	v_lshlrev_b64 v[50:51], v33, v[0:1]
	v_and_b32_e32 v33, 7, v50
	v_cndmask_b32_e32 v25, v25, v28, vcc
	v_lshlrev_b32_e32 v0, 8, v0
	v_lshl_add_u32 v25, v25, 10, v52
	v_cndmask_b32_e32 v23, v23, v33, vcc
	v_and_or_b32 v0, v0, s23, v25
	v_lshl_or_b32 v0, v23, 7, v0
	v_cvt_f32_f16_e32 v33, v0
.LBB270_467:                            ;   in Loop: Header=BB270_434 Depth=1
	s_or_b64 exec, exec, s[6:7]
	v_pk_mul_f32 v[36:37], v[14:15], v[36:37] op_sel_hi:[0,1]
	v_pk_mul_f32 v[30:31], v[14:15], v[30:31] op_sel_hi:[0,1]
	v_cvt_f16_f32_e32 v0, v37
	v_cvt_f16_f32_e32 v23, v36
	;; [unrolled: 1-line block ×4, first 2 shown]
	v_mov_b32_e32 v30, v34
	v_pack_b32_f16 v23, v23, v0
	v_fma_mixlo_f16 v24, v14, v24, 0
	v_pack_b32_f16 v25, v28, v25
	v_perm_b32 v0, v25, v23, s25
	v_perm_b32 v25, v25, v23, s26
	v_fma_mixlo_f16 v23, v14, v26, 0
	v_fma_mixlo_f16 v26, v14, v27, 0
	;; [unrolled: 1-line block ×3, first 2 shown]
	v_add_u32_e32 v41, v39, v30
	v_accvgpr_read_b32 v30, a12
	v_lshlrev_b32_e32 v23, 16, v23
	v_lshlrev_b32_e32 v14, 16, v14
	v_cmp_eq_u32_e32 vcc, v38, v30
	v_or_b32_sdwa v24, v23, v24 dst_sel:DWORD dst_unused:UNUSED_PAD src0_sel:DWORD src1_sel:WORD_0
	v_or_b32_sdwa v14, v14, v26 dst_sel:DWORD dst_unused:UNUSED_PAD src0_sel:DWORD src1_sel:WORD_0
	v_add_u32_e32 v46, 1, v41
	v_or_b32_e32 v45, 3, v41
	v_or_b32_e32 v44, 2, v41
	v_or_b32_e32 v43, 5, v41
	v_or_b32_e32 v42, 4, v41
	v_or_b32_e32 v40, 7, v41
	v_or_b32_e32 v55, 6, v41
	s_and_saveexec_b64 s[6:7], vcc
	s_cbranch_execz .LBB270_469
; %bb.468:                              ;   in Loop: Header=BB270_434 Depth=1
	v_lshrrev_b32_e32 v23, 16, v25
	v_cmp_lt_i32_e64 s[0:1], v46, v3
	v_accvgpr_read_b32 v28, a8
	v_lshrrev_b32_e32 v14, 16, v14
	v_cndmask_b32_e64 v23, 0, v23, s[0:1]
	v_cmp_lt_i32_e64 s[0:1], v41, v28
	s_nop 1
	v_cndmask_b32_e64 v25, 0, v25, s[0:1]
	v_perm_b32 v25, v23, v25, s27
	v_lshrrev_b32_e32 v23, 16, v0
	v_cmp_lt_i32_e64 s[0:1], v45, v3
	s_nop 1
	v_cndmask_b32_e64 v23, 0, v23, s[0:1]
	v_cmp_lt_i32_e64 s[0:1], v44, v28
	s_nop 1
	v_cndmask_b32_e64 v0, 0, v0, s[0:1]
	v_perm_b32 v0, v23, v0, s27
	v_lshrrev_b32_e32 v23, 16, v24
	v_cmp_lt_i32_e64 s[0:1], v43, v3
	s_nop 1
	v_cndmask_b32_e64 v23, 0, v23, s[0:1]
	v_cmp_lt_i32_e64 s[0:1], v42, v28
	s_nop 1
	v_cndmask_b32_e64 v24, 0, v24, s[0:1]
	v_cmp_lt_i32_e64 s[0:1], v40, v3
	v_perm_b32 v24, v23, v24, s27
	s_nop 0
	v_cndmask_b32_e64 v14, 0, v14, s[0:1]
	v_cmp_lt_i32_e64 s[0:1], v55, v28
	s_nop 1
	v_cndmask_b32_e64 v23, 0, v26, s[0:1]
	v_perm_b32 v14, v14, v23, s27
.LBB270_469:                            ;   in Loop: Header=BB270_434 Depth=1
	s_or_b64 exec, exec, s[6:7]
	v_and_b32_e32 v4, 0xffff, v4
	v_lshl_or_b32 v58, v5, 16, v4
	v_and_b32_e32 v4, 0xffff, v6
	v_lshl_or_b32 v57, v7, 16, v4
	;; [unrolled: 2-line block ×4, first 2 shown]
	;;#ASMSTART
	v_pk_mul_f16 v4, v58, v25;

	;;#ASMEND
	;;#ASMSTART
	v_pk_mul_f16 v0, v57, v0;

	;;#ASMEND
	;; [unrolled: 4-line block ×4, first 2 shown]
	s_mov_b64 s[0:1], 0
	;;#ASMSTART
	v_pk_add_f16 v0, v4, v0;

	;;#ASMEND
                                        ; implicit-def: $sgpr20
	s_nop 0
	;;#ASMSTART
	v_pk_add_f16 v0, v0, v5;

	;;#ASMEND
	s_nop 0
	;;#ASMSTART
	v_pk_add_f16 v0, v0, v6;

	;;#ASMEND
	s_nop 0
	v_lshrrev_b32_e32 v4, 16, v0
	v_and_b32_e32 v0, 0xffff, v0
	;;#ASMSTART
	v_cvt_f32_f16 v59, v0;
	;;#ASMEND
	;;#ASMSTART
	v_cvt_f32_f16 v60, v4;
	;;#ASMEND
	v_accvgpr_read_b32 v4, a4
	flat_load_dwordx2 v[24:25], v[12:13] offset:512
	v_accvgpr_read_b32 v5, a5
	flat_load_dword v14, v[4:5]
	s_waitcnt vmcnt(0) lgkmcnt(0)
	v_cmp_gt_i16_sdwa s[6:7], v24, s15 src0_sel:BYTE_0 src1_sel:DWORD
	s_and_saveexec_b64 s[8:9], s[6:7]
	s_xor_b64 s[6:7], exec, s[8:9]
	s_cbranch_execnz .LBB270_671
; %bb.470:                              ;   in Loop: Header=BB270_434 Depth=1
	s_or_saveexec_b64 s[6:7], s[6:7]
	v_mov_b32_e32 v30, s20
	s_xor_b64 exec, exec, s[6:7]
	s_cbranch_execnz .LBB270_674
.LBB270_471:                            ;   in Loop: Header=BB270_434 Depth=1
	s_or_b64 exec, exec, s[6:7]
	s_and_saveexec_b64 s[6:7], s[0:1]
	s_cbranch_execz .LBB270_473
.LBB270_472:                            ;   in Loop: Header=BB270_434 Depth=1
	v_and_b32_e32 v0, 7, v24
	v_ffbh_u32_e32 v0, v0
	v_bfe_u32 v4, v24, 3, 4
	v_min_u32_e32 v0, 32, v0
	v_subrev_u32_e32 v5, 28, v0
	v_sub_u32_e32 v0, 29, v0
	v_cmp_eq_u32_e64 s[0:1], 0, v4
	s_nop 1
	v_cndmask_b32_e64 v0, v4, v0, s[0:1]
	v_cndmask_b32_e64 v4, 0, v5, s[0:1]
	v_lshlrev_b64 v[4:5], v4, v[24:25]
	v_lshlrev_b32_e32 v5, 8, v24
	v_lshl_add_u32 v0, v0, 10, v52
	v_lshlrev_b32_e32 v4, 7, v4
	v_and_or_b32 v0, v5, s23, v0
	v_and_or_b32 v0, v4, s24, v0
	v_cvt_f32_f16_e32 v30, v0
.LBB270_473:                            ;   in Loop: Header=BB270_434 Depth=1
	s_or_b64 exec, exec, s[6:7]
	v_lshrrev_b16_e32 v0, 8, v24
	v_cmp_lt_i16_e64 s[0:1], s15, v0
	s_mov_b64 s[6:7], 0
                                        ; implicit-def: $sgpr28
	s_and_saveexec_b64 s[8:9], s[0:1]
	s_xor_b64 s[8:9], exec, s[8:9]
	s_cbranch_execnz .LBB270_675
; %bb.474:                              ;   in Loop: Header=BB270_434 Depth=1
	s_or_saveexec_b64 s[8:9], s[8:9]
	v_mov_b32_e32 v36, s28
	s_xor_b64 exec, exec, s[8:9]
	s_cbranch_execnz .LBB270_678
.LBB270_475:                            ;   in Loop: Header=BB270_434 Depth=1
	s_or_b64 exec, exec, s[8:9]
	s_and_saveexec_b64 s[8:9], s[6:7]
	s_cbranch_execz .LBB270_477
.LBB270_476:                            ;   in Loop: Header=BB270_434 Depth=1
	v_and_b32_e32 v6, 7, v0
	v_ffbh_u32_e32 v4, v6
	v_min_u32_e32 v15, 32, v4
	v_subrev_u32_e32 v4, 28, v15
	v_bfe_u32 v7, v0, 3, 4
	v_lshlrev_b64 v[4:5], v4, v[0:1]
	v_sub_u32_e32 v5, 29, v15
	v_cmp_eq_u32_e64 s[0:1], 0, v7
	v_and_b32_e32 v4, 7, v4
	v_lshlrev_b32_e32 v0, 8, v0
	v_cndmask_b32_e64 v5, v7, v5, s[0:1]
	v_lshl_add_u32 v5, v5, 10, v52
	v_cndmask_b32_e64 v4, v6, v4, s[0:1]
	v_and_or_b32 v0, v0, s23, v5
	v_lshl_or_b32 v0, v4, 7, v0
	v_cvt_f32_f16_e32 v36, v0
.LBB270_477:                            ;   in Loop: Header=BB270_434 Depth=1
	s_or_b64 exec, exec, s[8:9]
	v_lshrrev_b32_e32 v0, 16, v24
	v_cmp_gt_i16_sdwa s[6:7], v0, s15 src0_sel:BYTE_0 src1_sel:DWORD
	s_mov_b64 s[0:1], 0
                                        ; implicit-def: $sgpr20
	s_and_saveexec_b64 s[8:9], s[6:7]
	s_xor_b64 s[6:7], exec, s[8:9]
	s_cbranch_execnz .LBB270_679
; %bb.478:                              ;   in Loop: Header=BB270_434 Depth=1
	s_or_saveexec_b64 s[6:7], s[6:7]
	v_mov_b32_e32 v31, s20
	s_xor_b64 exec, exec, s[6:7]
	s_cbranch_execnz .LBB270_682
.LBB270_479:                            ;   in Loop: Header=BB270_434 Depth=1
	s_or_b64 exec, exec, s[6:7]
	s_and_saveexec_b64 s[6:7], s[0:1]
	s_cbranch_execz .LBB270_481
.LBB270_480:                            ;   in Loop: Header=BB270_434 Depth=1
	v_bfe_u32 v6, v24, 16, 3
	v_ffbh_u32_e32 v4, v6
	v_min_u32_e32 v15, 32, v4
	v_subrev_u32_e32 v4, 28, v15
	v_bfe_u32 v7, v24, 19, 4
	v_lshlrev_b64 v[4:5], v4, v[0:1]
	v_sub_u32_e32 v5, 29, v15
	v_cmp_eq_u32_e64 s[0:1], 0, v7
	v_and_b32_e32 v4, 7, v4
	v_lshlrev_b32_e32 v0, 8, v0
	v_cndmask_b32_e64 v5, v7, v5, s[0:1]
	v_lshl_add_u32 v5, v5, 10, v52
	v_cndmask_b32_e64 v4, v6, v4, s[0:1]
	v_and_or_b32 v0, v0, s23, v5
	v_lshl_or_b32 v0, v4, 7, v0
	v_cvt_f32_f16_e32 v31, v0
.LBB270_481:                            ;   in Loop: Header=BB270_434 Depth=1
	s_or_b64 exec, exec, s[6:7]
	v_lshrrev_b32_e32 v0, 24, v24
	v_cmp_lt_i16_e64 s[0:1], s15, v0
	s_mov_b64 s[6:7], 0
                                        ; implicit-def: $sgpr28
	s_and_saveexec_b64 s[8:9], s[0:1]
	s_xor_b64 s[8:9], exec, s[8:9]
	s_cbranch_execnz .LBB270_683
; %bb.482:                              ;   in Loop: Header=BB270_434 Depth=1
	s_or_saveexec_b64 s[8:9], s[8:9]
	v_mov_b32_e32 v37, s28
	s_xor_b64 exec, exec, s[8:9]
	s_cbranch_execnz .LBB270_686
.LBB270_483:                            ;   in Loop: Header=BB270_434 Depth=1
	s_or_b64 exec, exec, s[8:9]
	s_and_saveexec_b64 s[8:9], s[6:7]
	s_cbranch_execz .LBB270_485
.LBB270_484:                            ;   in Loop: Header=BB270_434 Depth=1
	v_bfe_u32 v6, v24, 24, 3
	v_ffbh_u32_e32 v4, v6
	v_min_u32_e32 v15, 32, v4
	v_subrev_u32_e32 v4, 28, v15
	v_bfe_u32 v7, v24, 27, 4
	v_lshlrev_b64 v[4:5], v4, v[0:1]
	v_sub_u32_e32 v5, 29, v15
	v_cmp_eq_u32_e64 s[0:1], 0, v7
	v_and_b32_e32 v4, 7, v4
	v_lshlrev_b32_e32 v0, 8, v0
	v_cndmask_b32_e64 v5, v7, v5, s[0:1]
	v_lshl_add_u32 v5, v5, 10, v52
	v_cndmask_b32_e64 v4, v6, v4, s[0:1]
	v_and_or_b32 v0, v0, s23, v5
	v_lshl_or_b32 v0, v4, 7, v0
	v_cvt_f32_f16_e32 v37, v0
.LBB270_485:                            ;   in Loop: Header=BB270_434 Depth=1
	s_or_b64 exec, exec, s[8:9]
	v_cmp_gt_i16_sdwa s[6:7], v25, s15 src0_sel:BYTE_0 src1_sel:DWORD
	s_mov_b64 s[0:1], 0
                                        ; implicit-def: $sgpr20
	s_and_saveexec_b64 s[8:9], s[6:7]
	s_xor_b64 s[6:7], exec, s[8:9]
	s_cbranch_execnz .LBB270_687
; %bb.486:                              ;   in Loop: Header=BB270_434 Depth=1
	s_or_saveexec_b64 s[6:7], s[6:7]
	v_mov_b32_e32 v4, s20
	s_xor_b64 exec, exec, s[6:7]
	s_cbranch_execnz .LBB270_690
.LBB270_487:                            ;   in Loop: Header=BB270_434 Depth=1
	s_or_b64 exec, exec, s[6:7]
	v_mov_b32_e32 v0, v25
	s_and_saveexec_b64 s[6:7], s[0:1]
	s_cbranch_execz .LBB270_489
.LBB270_488:                            ;   in Loop: Header=BB270_434 Depth=1
	v_and_b32_e32 v4, 7, v25
	v_ffbh_u32_e32 v4, v4
	v_bfe_u32 v5, v25, 3, 4
	v_min_u32_e32 v4, 32, v4
	v_subrev_u32_e32 v6, 28, v4
	v_sub_u32_e32 v4, 29, v4
	v_cmp_eq_u32_e64 s[0:1], 0, v5
	s_nop 1
	v_cndmask_b32_e64 v7, v5, v4, s[0:1]
	v_cndmask_b32_e64 v4, 0, v6, s[0:1]
	v_lshlrev_b64 v[4:5], v4, v[0:1]
	v_lshlrev_b32_e32 v5, 8, v25
	v_lshl_add_u32 v6, v7, 10, v52
	v_lshlrev_b32_e32 v4, 7, v4
	v_and_or_b32 v5, v5, s23, v6
	v_and_or_b32 v4, v4, s24, v5
	v_cvt_f32_f16_e32 v4, v4
.LBB270_489:                            ;   in Loop: Header=BB270_434 Depth=1
	s_or_b64 exec, exec, s[6:7]
	v_lshrrev_b16_e32 v0, 8, v0
	v_cmp_lt_i16_e64 s[0:1], s15, v0
	s_mov_b64 s[6:7], 0
                                        ; implicit-def: $sgpr28
	s_and_saveexec_b64 s[8:9], s[0:1]
	s_xor_b64 s[8:9], exec, s[8:9]
	s_cbranch_execnz .LBB270_691
; %bb.490:                              ;   in Loop: Header=BB270_434 Depth=1
	s_or_saveexec_b64 s[8:9], s[8:9]
	v_mov_b32_e32 v5, s28
	s_xor_b64 exec, exec, s[8:9]
	s_cbranch_execnz .LBB270_694
.LBB270_491:                            ;   in Loop: Header=BB270_434 Depth=1
	s_or_b64 exec, exec, s[8:9]
	s_and_saveexec_b64 s[8:9], s[6:7]
	s_cbranch_execz .LBB270_493
.LBB270_492:                            ;   in Loop: Header=BB270_434 Depth=1
	v_and_b32_e32 v5, 7, v0
	v_ffbh_u32_e32 v6, v5
	v_min_u32_e32 v22, 32, v6
	v_subrev_u32_e32 v6, 28, v22
	v_bfe_u32 v15, v0, 3, 4
	v_lshlrev_b64 v[6:7], v6, v[0:1]
	v_sub_u32_e32 v7, 29, v22
	v_cmp_eq_u32_e64 s[0:1], 0, v15
	v_and_b32_e32 v6, 7, v6
	v_lshlrev_b32_e32 v0, 8, v0
	v_cndmask_b32_e64 v7, v15, v7, s[0:1]
	v_cndmask_b32_e64 v5, v5, v6, s[0:1]
	v_lshl_add_u32 v6, v7, 10, v52
	v_and_or_b32 v0, v0, s23, v6
	v_lshl_or_b32 v0, v5, 7, v0
	v_cvt_f32_f16_e32 v5, v0
.LBB270_493:                            ;   in Loop: Header=BB270_434 Depth=1
	s_or_b64 exec, exec, s[8:9]
	v_lshrrev_b32_e32 v0, 16, v25
	v_cmp_gt_i16_sdwa s[6:7], v0, s15 src0_sel:BYTE_0 src1_sel:DWORD
	s_mov_b64 s[0:1], 0
                                        ; implicit-def: $sgpr20
	s_and_saveexec_b64 s[8:9], s[6:7]
	s_xor_b64 s[6:7], exec, s[8:9]
	s_cbranch_execnz .LBB270_695
; %bb.494:                              ;   in Loop: Header=BB270_434 Depth=1
	s_or_saveexec_b64 s[6:7], s[6:7]
	v_mov_b32_e32 v6, s20
	s_xor_b64 exec, exec, s[6:7]
	s_cbranch_execnz .LBB270_698
.LBB270_495:                            ;   in Loop: Header=BB270_434 Depth=1
	s_or_b64 exec, exec, s[6:7]
	s_and_saveexec_b64 s[6:7], s[0:1]
	s_cbranch_execz .LBB270_497
.LBB270_496:                            ;   in Loop: Header=BB270_434 Depth=1
	v_bfe_u32 v15, v25, 16, 3
	v_ffbh_u32_e32 v6, v15
	v_min_u32_e32 v23, 32, v6
	v_subrev_u32_e32 v6, 28, v23
	v_bfe_u32 v22, v25, 19, 4
	v_lshlrev_b64 v[6:7], v6, v[0:1]
	v_sub_u32_e32 v7, 29, v23
	v_cmp_eq_u32_e64 s[0:1], 0, v22
	v_and_b32_e32 v6, 7, v6
	v_lshlrev_b32_e32 v0, 8, v0
	v_cndmask_b32_e64 v7, v22, v7, s[0:1]
	v_lshl_add_u32 v7, v7, 10, v52
	v_cndmask_b32_e64 v6, v15, v6, s[0:1]
	v_and_or_b32 v0, v0, s23, v7
	v_lshl_or_b32 v0, v6, 7, v0
	v_cvt_f32_f16_e32 v6, v0
.LBB270_497:                            ;   in Loop: Header=BB270_434 Depth=1
	s_or_b64 exec, exec, s[6:7]
	v_lshrrev_b32_e32 v0, 24, v25
	v_cmp_lt_i16_e64 s[0:1], s15, v0
	s_mov_b64 s[6:7], 0
                                        ; implicit-def: $sgpr28
	s_and_saveexec_b64 s[8:9], s[0:1]
	s_xor_b64 s[8:9], exec, s[8:9]
	s_cbranch_execnz .LBB270_699
; %bb.498:                              ;   in Loop: Header=BB270_434 Depth=1
	s_or_saveexec_b64 s[8:9], s[8:9]
	v_mov_b32_e32 v15, s28
	s_xor_b64 exec, exec, s[8:9]
	s_cbranch_execnz .LBB270_702
.LBB270_499:                            ;   in Loop: Header=BB270_434 Depth=1
	s_or_b64 exec, exec, s[8:9]
	s_and_saveexec_b64 s[8:9], s[6:7]
	s_cbranch_execz .LBB270_501
.LBB270_500:                            ;   in Loop: Header=BB270_434 Depth=1
	v_bfe_u32 v7, v25, 24, 3
	v_ffbh_u32_e32 v22, v7
	v_bfe_u32 v15, v25, 27, 4
	v_min_u32_e32 v22, 32, v22
	v_subrev_u32_e32 v23, 28, v22
	v_sub_u32_e32 v22, 29, v22
	v_cmp_eq_u32_e64 s[0:1], 0, v15
	v_lshlrev_b64 v[24:25], v23, v[0:1]
	v_and_b32_e32 v23, 7, v24
	v_cndmask_b32_e64 v15, v15, v22, s[0:1]
	v_lshlrev_b32_e32 v0, 8, v0
	v_lshl_add_u32 v15, v15, 10, v52
	v_cndmask_b32_e64 v7, v7, v23, s[0:1]
	v_and_or_b32 v0, v0, s23, v15
	v_lshl_or_b32 v0, v7, 7, v0
	v_cvt_f32_f16_e32 v15, v0
.LBB270_501:                            ;   in Loop: Header=BB270_434 Depth=1
	s_or_b64 exec, exec, s[8:9]
	v_pk_mul_f32 v[24:25], v[14:15], v[36:37] op_sel_hi:[0,1]
	v_pk_mul_f32 v[26:27], v[14:15], v[30:31] op_sel_hi:[0,1]
	v_cvt_f16_f32_e32 v0, v25
	v_cvt_f16_f32_e32 v7, v24
	;; [unrolled: 1-line block ×4, first 2 shown]
	v_fma_mixlo_f16 v5, v14, v5, 0
	v_lshlrev_b32_e32 v5, 16, v5
	v_fma_mixlo_f16 v4, v14, v4, 0
	v_or_b32_sdwa v4, v5, v4 dst_sel:DWORD dst_unused:UNUSED_PAD src0_sel:DWORD src1_sel:WORD_0
	v_fma_mixlo_f16 v5, v14, v15, 0
	v_pack_b32_f16 v7, v7, v0
	v_pack_b32_f16 v22, v23, v22
	v_fma_mixlo_f16 v6, v14, v6, 0
	v_lshlrev_b32_e32 v5, 16, v5
	v_perm_b32 v0, v22, v7, s25
	v_perm_b32 v7, v22, v7, s26
	v_or_b32_sdwa v5, v5, v6 dst_sel:DWORD dst_unused:UNUSED_PAD src0_sel:DWORD src1_sel:WORD_0
	s_and_saveexec_b64 s[6:7], vcc
	s_cbranch_execz .LBB270_503
; %bb.502:                              ;   in Loop: Header=BB270_434 Depth=1
	v_lshrrev_b32_e32 v14, 16, v7
	v_cmp_lt_i32_e64 s[0:1], v46, v3
	v_accvgpr_read_b32 v22, a8
	v_lshrrev_b32_e32 v5, 16, v5
	v_cndmask_b32_e64 v14, 0, v14, s[0:1]
	v_cmp_lt_i32_e64 s[0:1], v41, v22
	s_nop 1
	v_cndmask_b32_e64 v7, 0, v7, s[0:1]
	v_perm_b32 v7, v14, v7, s27
	v_lshrrev_b32_e32 v14, 16, v0
	v_cmp_lt_i32_e64 s[0:1], v45, v3
	s_nop 1
	v_cndmask_b32_e64 v14, 0, v14, s[0:1]
	v_cmp_lt_i32_e64 s[0:1], v44, v22
	s_nop 1
	v_cndmask_b32_e64 v0, 0, v0, s[0:1]
	v_perm_b32 v0, v14, v0, s27
	v_lshrrev_b32_e32 v14, 16, v4
	v_cmp_lt_i32_e64 s[0:1], v43, v3
	s_nop 1
	v_cndmask_b32_e64 v14, 0, v14, s[0:1]
	v_cmp_lt_i32_e64 s[0:1], v42, v22
	s_nop 1
	v_cndmask_b32_e64 v4, 0, v4, s[0:1]
	v_cmp_lt_i32_e64 s[0:1], v40, v3
	v_perm_b32 v4, v14, v4, s27
	s_nop 0
	v_cndmask_b32_e64 v5, 0, v5, s[0:1]
	v_cmp_lt_i32_e64 s[0:1], v55, v22
	s_nop 1
	v_cndmask_b32_e64 v6, 0, v6, s[0:1]
	v_perm_b32 v5, v5, v6, s27
.LBB270_503:                            ;   in Loop: Header=BB270_434 Depth=1
	s_or_b64 exec, exec, s[6:7]
	;;#ASMSTART
	v_pk_mul_f16 v6, v58, v7;

	;;#ASMEND
	;;#ASMSTART
	v_pk_mul_f16 v0, v57, v0;

	;;#ASMEND
	;; [unrolled: 4-line block ×4, first 2 shown]
	s_mov_b64 s[0:1], 0
	;;#ASMSTART
	v_pk_add_f16 v0, v6, v0;

	;;#ASMEND
	v_accvgpr_read_b32 v7, a5
	;;#ASMSTART
	v_pk_add_f16 v0, v0, v4;

	;;#ASMEND
	v_accvgpr_read_b32 v6, a4
	;;#ASMSTART
	v_pk_add_f16 v0, v0, v5;

	;;#ASMEND
                                        ; implicit-def: $sgpr20
	s_nop 0
	v_lshrrev_b32_e32 v5, 16, v0
	v_and_b32_e32 v0, 0xffff, v0
	;;#ASMSTART
	v_cvt_f32_f16 v4, v0;
	;;#ASMEND
	;;#ASMSTART
	v_cvt_f32_f16 v5, v5;
	;;#ASMEND
	flat_load_dwordx2 v[24:25], v[12:13] offset:1024
	flat_load_dword v14, v[6:7]
	s_waitcnt vmcnt(0) lgkmcnt(0)
	v_cmp_gt_i16_sdwa s[6:7], v24, s15 src0_sel:BYTE_0 src1_sel:DWORD
	s_and_saveexec_b64 s[8:9], s[6:7]
	s_xor_b64 s[6:7], exec, s[8:9]
	s_cbranch_execnz .LBB270_703
; %bb.504:                              ;   in Loop: Header=BB270_434 Depth=1
	s_or_saveexec_b64 s[6:7], s[6:7]
	v_mov_b32_e32 v30, s20
	s_xor_b64 exec, exec, s[6:7]
	s_cbranch_execnz .LBB270_706
.LBB270_505:                            ;   in Loop: Header=BB270_434 Depth=1
	s_or_b64 exec, exec, s[6:7]
	s_and_saveexec_b64 s[6:7], s[0:1]
	s_cbranch_execz .LBB270_507
.LBB270_506:                            ;   in Loop: Header=BB270_434 Depth=1
	v_and_b32_e32 v0, 7, v24
	v_ffbh_u32_e32 v0, v0
	v_bfe_u32 v6, v24, 3, 4
	v_min_u32_e32 v0, 32, v0
	v_subrev_u32_e32 v7, 28, v0
	v_sub_u32_e32 v0, 29, v0
	v_cmp_eq_u32_e64 s[0:1], 0, v6
	s_nop 1
	v_cndmask_b32_e64 v0, v6, v0, s[0:1]
	v_cndmask_b32_e64 v6, 0, v7, s[0:1]
	v_lshlrev_b64 v[6:7], v6, v[24:25]
	v_lshlrev_b32_e32 v7, 8, v24
	v_lshl_add_u32 v0, v0, 10, v52
	v_lshlrev_b32_e32 v6, 7, v6
	v_and_or_b32 v0, v7, s23, v0
	v_and_or_b32 v0, v6, s24, v0
	v_cvt_f32_f16_e32 v30, v0
.LBB270_507:                            ;   in Loop: Header=BB270_434 Depth=1
	s_or_b64 exec, exec, s[6:7]
	v_lshrrev_b16_e32 v0, 8, v24
	v_cmp_lt_i16_e64 s[0:1], s15, v0
	s_mov_b64 s[6:7], 0
                                        ; implicit-def: $sgpr28
	s_and_saveexec_b64 s[8:9], s[0:1]
	s_xor_b64 s[8:9], exec, s[8:9]
	s_cbranch_execnz .LBB270_707
; %bb.508:                              ;   in Loop: Header=BB270_434 Depth=1
	s_or_saveexec_b64 s[8:9], s[8:9]
	v_mov_b32_e32 v36, s28
	s_xor_b64 exec, exec, s[8:9]
	s_cbranch_execnz .LBB270_710
.LBB270_509:                            ;   in Loop: Header=BB270_434 Depth=1
	s_or_b64 exec, exec, s[8:9]
	s_and_saveexec_b64 s[8:9], s[6:7]
	s_cbranch_execz .LBB270_511
.LBB270_510:                            ;   in Loop: Header=BB270_434 Depth=1
	v_and_b32_e32 v15, 7, v0
	v_ffbh_u32_e32 v6, v15
	v_min_u32_e32 v23, 32, v6
	v_subrev_u32_e32 v6, 28, v23
	v_bfe_u32 v22, v0, 3, 4
	v_lshlrev_b64 v[6:7], v6, v[0:1]
	v_sub_u32_e32 v7, 29, v23
	v_cmp_eq_u32_e64 s[0:1], 0, v22
	v_and_b32_e32 v6, 7, v6
	v_lshlrev_b32_e32 v0, 8, v0
	v_cndmask_b32_e64 v7, v22, v7, s[0:1]
	v_lshl_add_u32 v7, v7, 10, v52
	v_cndmask_b32_e64 v6, v15, v6, s[0:1]
	v_and_or_b32 v0, v0, s23, v7
	v_lshl_or_b32 v0, v6, 7, v0
	v_cvt_f32_f16_e32 v36, v0
.LBB270_511:                            ;   in Loop: Header=BB270_434 Depth=1
	s_or_b64 exec, exec, s[8:9]
	v_lshrrev_b32_e32 v0, 16, v24
	v_cmp_gt_i16_sdwa s[6:7], v0, s15 src0_sel:BYTE_0 src1_sel:DWORD
	s_mov_b64 s[0:1], 0
                                        ; implicit-def: $sgpr20
	s_and_saveexec_b64 s[8:9], s[6:7]
	s_xor_b64 s[6:7], exec, s[8:9]
	s_cbranch_execnz .LBB270_711
; %bb.512:                              ;   in Loop: Header=BB270_434 Depth=1
	s_or_saveexec_b64 s[6:7], s[6:7]
	v_mov_b32_e32 v31, s20
	s_xor_b64 exec, exec, s[6:7]
	s_cbranch_execnz .LBB270_714
.LBB270_513:                            ;   in Loop: Header=BB270_434 Depth=1
	s_or_b64 exec, exec, s[6:7]
	s_and_saveexec_b64 s[6:7], s[0:1]
	s_cbranch_execz .LBB270_515
.LBB270_514:                            ;   in Loop: Header=BB270_434 Depth=1
	v_bfe_u32 v15, v24, 16, 3
	v_ffbh_u32_e32 v6, v15
	v_min_u32_e32 v23, 32, v6
	v_subrev_u32_e32 v6, 28, v23
	v_bfe_u32 v22, v24, 19, 4
	v_lshlrev_b64 v[6:7], v6, v[0:1]
	v_sub_u32_e32 v7, 29, v23
	v_cmp_eq_u32_e64 s[0:1], 0, v22
	v_and_b32_e32 v6, 7, v6
	v_lshlrev_b32_e32 v0, 8, v0
	v_cndmask_b32_e64 v7, v22, v7, s[0:1]
	v_lshl_add_u32 v7, v7, 10, v52
	v_cndmask_b32_e64 v6, v15, v6, s[0:1]
	v_and_or_b32 v0, v0, s23, v7
	v_lshl_or_b32 v0, v6, 7, v0
	v_cvt_f32_f16_e32 v31, v0
.LBB270_515:                            ;   in Loop: Header=BB270_434 Depth=1
	s_or_b64 exec, exec, s[6:7]
	v_lshrrev_b32_e32 v0, 24, v24
	v_cmp_lt_i16_e64 s[0:1], s15, v0
	s_mov_b64 s[6:7], 0
                                        ; implicit-def: $sgpr28
	s_and_saveexec_b64 s[8:9], s[0:1]
	s_xor_b64 s[8:9], exec, s[8:9]
	s_cbranch_execnz .LBB270_715
; %bb.516:                              ;   in Loop: Header=BB270_434 Depth=1
	s_or_saveexec_b64 s[8:9], s[8:9]
	v_mov_b32_e32 v37, s28
	s_xor_b64 exec, exec, s[8:9]
	s_cbranch_execnz .LBB270_718
.LBB270_517:                            ;   in Loop: Header=BB270_434 Depth=1
	s_or_b64 exec, exec, s[8:9]
	s_and_saveexec_b64 s[8:9], s[6:7]
	s_cbranch_execz .LBB270_519
.LBB270_518:                            ;   in Loop: Header=BB270_434 Depth=1
	v_bfe_u32 v15, v24, 24, 3
	v_ffbh_u32_e32 v6, v15
	v_min_u32_e32 v23, 32, v6
	v_subrev_u32_e32 v6, 28, v23
	v_bfe_u32 v22, v24, 27, 4
	v_lshlrev_b64 v[6:7], v6, v[0:1]
	v_sub_u32_e32 v7, 29, v23
	v_cmp_eq_u32_e64 s[0:1], 0, v22
	v_and_b32_e32 v6, 7, v6
	v_lshlrev_b32_e32 v0, 8, v0
	v_cndmask_b32_e64 v7, v22, v7, s[0:1]
	v_lshl_add_u32 v7, v7, 10, v52
	v_cndmask_b32_e64 v6, v15, v6, s[0:1]
	v_and_or_b32 v0, v0, s23, v7
	v_lshl_or_b32 v0, v6, 7, v0
	v_cvt_f32_f16_e32 v37, v0
.LBB270_519:                            ;   in Loop: Header=BB270_434 Depth=1
	s_or_b64 exec, exec, s[8:9]
	v_cmp_gt_i16_sdwa s[6:7], v25, s15 src0_sel:BYTE_0 src1_sel:DWORD
	s_mov_b64 s[0:1], 0
                                        ; implicit-def: $sgpr20
	s_and_saveexec_b64 s[8:9], s[6:7]
	s_xor_b64 s[6:7], exec, s[8:9]
	s_cbranch_execnz .LBB270_719
; %bb.520:                              ;   in Loop: Header=BB270_434 Depth=1
	s_or_saveexec_b64 s[6:7], s[6:7]
	v_mov_b32_e32 v6, s20
	s_xor_b64 exec, exec, s[6:7]
	s_cbranch_execnz .LBB270_722
.LBB270_521:                            ;   in Loop: Header=BB270_434 Depth=1
	s_or_b64 exec, exec, s[6:7]
	v_mov_b32_e32 v0, v25
	s_and_saveexec_b64 s[6:7], s[0:1]
	s_cbranch_execz .LBB270_523
.LBB270_522:                            ;   in Loop: Header=BB270_434 Depth=1
	v_and_b32_e32 v6, 7, v25
	v_ffbh_u32_e32 v6, v6
	v_bfe_u32 v7, v25, 3, 4
	v_min_u32_e32 v6, 32, v6
	v_subrev_u32_e32 v15, 28, v6
	v_sub_u32_e32 v6, 29, v6
	v_cmp_eq_u32_e64 s[0:1], 0, v7
	s_nop 1
	v_cndmask_b32_e64 v22, v7, v6, s[0:1]
	v_cndmask_b32_e64 v6, 0, v15, s[0:1]
	v_lshlrev_b64 v[6:7], v6, v[0:1]
	v_lshlrev_b32_e32 v7, 8, v25
	v_lshl_add_u32 v15, v22, 10, v52
	v_lshlrev_b32_e32 v6, 7, v6
	v_and_or_b32 v7, v7, s23, v15
	v_and_or_b32 v6, v6, s24, v7
	v_cvt_f32_f16_e32 v6, v6
.LBB270_523:                            ;   in Loop: Header=BB270_434 Depth=1
	s_or_b64 exec, exec, s[6:7]
	v_lshrrev_b16_e32 v0, 8, v0
	v_cmp_lt_i16_e64 s[0:1], s15, v0
	s_mov_b64 s[6:7], 0
                                        ; implicit-def: $sgpr28
	s_and_saveexec_b64 s[8:9], s[0:1]
	s_xor_b64 s[8:9], exec, s[8:9]
	s_cbranch_execnz .LBB270_723
; %bb.524:                              ;   in Loop: Header=BB270_434 Depth=1
	s_or_saveexec_b64 s[8:9], s[8:9]
	v_mov_b32_e32 v7, s28
	s_xor_b64 exec, exec, s[8:9]
	s_cbranch_execnz .LBB270_726
.LBB270_525:                            ;   in Loop: Header=BB270_434 Depth=1
	s_or_b64 exec, exec, s[8:9]
	s_and_saveexec_b64 s[8:9], s[6:7]
	s_cbranch_execz .LBB270_527
.LBB270_526:                            ;   in Loop: Header=BB270_434 Depth=1
	v_and_b32_e32 v7, 7, v0
	v_ffbh_u32_e32 v22, v7
	v_bfe_u32 v15, v0, 3, 4
	v_min_u32_e32 v22, 32, v22
	v_subrev_u32_e32 v23, 28, v22
	v_sub_u32_e32 v22, 29, v22
	v_cmp_eq_u32_e64 s[0:1], 0, v15
	v_lshlrev_b64 v[26:27], v23, v[0:1]
	v_and_b32_e32 v23, 7, v26
	v_cndmask_b32_e64 v15, v15, v22, s[0:1]
	v_lshlrev_b32_e32 v0, 8, v0
	v_lshl_add_u32 v15, v15, 10, v52
	v_cndmask_b32_e64 v7, v7, v23, s[0:1]
	v_and_or_b32 v0, v0, s23, v15
	v_lshl_or_b32 v0, v7, 7, v0
	v_cvt_f32_f16_e32 v7, v0
.LBB270_527:                            ;   in Loop: Header=BB270_434 Depth=1
	s_or_b64 exec, exec, s[8:9]
	v_lshrrev_b32_e32 v0, 16, v25
	v_cmp_gt_i16_sdwa s[6:7], v0, s15 src0_sel:BYTE_0 src1_sel:DWORD
	s_mov_b64 s[0:1], 0
                                        ; implicit-def: $sgpr20
	s_and_saveexec_b64 s[8:9], s[6:7]
	s_xor_b64 s[6:7], exec, s[8:9]
	s_cbranch_execnz .LBB270_727
; %bb.528:                              ;   in Loop: Header=BB270_434 Depth=1
	s_or_saveexec_b64 s[6:7], s[6:7]
	v_mov_b32_e32 v15, s20
	s_xor_b64 exec, exec, s[6:7]
	s_cbranch_execnz .LBB270_730
.LBB270_529:                            ;   in Loop: Header=BB270_434 Depth=1
	s_or_b64 exec, exec, s[6:7]
	s_and_saveexec_b64 s[6:7], s[0:1]
	s_cbranch_execz .LBB270_531
.LBB270_530:                            ;   in Loop: Header=BB270_434 Depth=1
	v_bfe_u32 v15, v25, 16, 3
	v_ffbh_u32_e32 v23, v15
	v_bfe_u32 v22, v25, 19, 4
	v_min_u32_e32 v23, 32, v23
	v_subrev_u32_e32 v24, 28, v23
	v_sub_u32_e32 v23, 29, v23
	v_cmp_eq_u32_e64 s[0:1], 0, v22
	v_lshlrev_b64 v[26:27], v24, v[0:1]
	v_and_b32_e32 v24, 7, v26
	v_cndmask_b32_e64 v22, v22, v23, s[0:1]
	v_lshlrev_b32_e32 v0, 8, v0
	v_lshl_add_u32 v22, v22, 10, v52
	v_cndmask_b32_e64 v15, v15, v24, s[0:1]
	v_and_or_b32 v0, v0, s23, v22
	v_lshl_or_b32 v0, v15, 7, v0
	v_cvt_f32_f16_e32 v15, v0
.LBB270_531:                            ;   in Loop: Header=BB270_434 Depth=1
	s_or_b64 exec, exec, s[6:7]
	v_lshrrev_b32_e32 v0, 24, v25
	v_cmp_lt_i16_e64 s[0:1], s15, v0
	s_mov_b64 s[6:7], 0
                                        ; implicit-def: $sgpr28
	s_and_saveexec_b64 s[8:9], s[0:1]
	s_xor_b64 s[8:9], exec, s[8:9]
	s_cbranch_execnz .LBB270_731
; %bb.532:                              ;   in Loop: Header=BB270_434 Depth=1
	s_or_saveexec_b64 s[8:9], s[8:9]
	v_mov_b32_e32 v24, s28
	s_xor_b64 exec, exec, s[8:9]
	s_cbranch_execnz .LBB270_734
.LBB270_533:                            ;   in Loop: Header=BB270_434 Depth=1
	s_or_b64 exec, exec, s[8:9]
	s_and_saveexec_b64 s[8:9], s[6:7]
	s_cbranch_execz .LBB270_535
.LBB270_534:                            ;   in Loop: Header=BB270_434 Depth=1
	v_bfe_u32 v22, v25, 24, 3
	v_ffbh_u32_e32 v24, v22
	v_min_u32_e32 v26, 32, v24
	v_subrev_u32_e32 v24, 28, v26
	v_bfe_u32 v23, v25, 27, 4
	v_lshlrev_b64 v[24:25], v24, v[0:1]
	v_sub_u32_e32 v25, 29, v26
	v_cmp_eq_u32_e64 s[0:1], 0, v23
	v_and_b32_e32 v24, 7, v24
	v_lshlrev_b32_e32 v0, 8, v0
	v_cndmask_b32_e64 v23, v23, v25, s[0:1]
	v_lshl_add_u32 v23, v23, 10, v52
	v_cndmask_b32_e64 v22, v22, v24, s[0:1]
	v_and_or_b32 v0, v0, s23, v23
	v_lshl_or_b32 v0, v22, 7, v0
	v_cvt_f32_f16_e32 v24, v0
.LBB270_535:                            ;   in Loop: Header=BB270_434 Depth=1
	s_or_b64 exec, exec, s[8:9]
	v_pk_mul_f32 v[26:27], v[14:15], v[36:37] op_sel_hi:[0,1]
	v_pk_mul_f32 v[30:31], v[14:15], v[30:31] op_sel_hi:[0,1]
	v_cvt_f16_f32_e32 v0, v27
	v_cvt_f16_f32_e32 v22, v26
	;; [unrolled: 1-line block ×4, first 2 shown]
	v_fma_mixlo_f16 v7, v14, v7, 0
	v_lshlrev_b32_e32 v7, 16, v7
	v_fma_mixlo_f16 v6, v14, v6, 0
	v_or_b32_sdwa v6, v7, v6 dst_sel:DWORD dst_unused:UNUSED_PAD src0_sel:DWORD src1_sel:WORD_0
	v_fma_mixlo_f16 v7, v14, v24, 0
	v_pack_b32_f16 v22, v22, v0
	v_pack_b32_f16 v23, v25, v23
	v_fma_mixlo_f16 v15, v14, v15, 0
	v_lshlrev_b32_e32 v7, 16, v7
	v_perm_b32 v0, v23, v22, s25
	v_perm_b32 v22, v23, v22, s26
	v_or_b32_sdwa v7, v7, v15 dst_sel:DWORD dst_unused:UNUSED_PAD src0_sel:DWORD src1_sel:WORD_0
	s_and_saveexec_b64 s[6:7], vcc
	s_cbranch_execz .LBB270_537
; %bb.536:                              ;   in Loop: Header=BB270_434 Depth=1
	v_lshrrev_b32_e32 v14, 16, v22
	v_cmp_lt_i32_e64 s[0:1], v46, v3
	v_accvgpr_read_b32 v24, a8
	v_lshrrev_b32_e32 v7, 16, v7
	v_cndmask_b32_e64 v14, 0, v14, s[0:1]
	v_cmp_lt_i32_e64 s[0:1], v41, v24
	s_nop 1
	v_cndmask_b32_e64 v22, 0, v22, s[0:1]
	v_perm_b32 v22, v14, v22, s27
	v_lshrrev_b32_e32 v14, 16, v0
	v_cmp_lt_i32_e64 s[0:1], v45, v3
	s_nop 1
	v_cndmask_b32_e64 v14, 0, v14, s[0:1]
	v_cmp_lt_i32_e64 s[0:1], v44, v24
	s_nop 1
	v_cndmask_b32_e64 v0, 0, v0, s[0:1]
	v_perm_b32 v0, v14, v0, s27
	v_lshrrev_b32_e32 v14, 16, v6
	v_cmp_lt_i32_e64 s[0:1], v43, v3
	s_nop 1
	v_cndmask_b32_e64 v14, 0, v14, s[0:1]
	v_cmp_lt_i32_e64 s[0:1], v42, v24
	s_nop 1
	v_cndmask_b32_e64 v6, 0, v6, s[0:1]
	v_cmp_lt_i32_e64 s[0:1], v40, v3
	v_perm_b32 v6, v14, v6, s27
	s_nop 0
	v_cndmask_b32_e64 v7, 0, v7, s[0:1]
	v_cmp_lt_i32_e64 s[0:1], v55, v24
	s_nop 1
	v_cndmask_b32_e64 v14, 0, v15, s[0:1]
	v_perm_b32 v7, v7, v14, s27
.LBB270_537:                            ;   in Loop: Header=BB270_434 Depth=1
	s_or_b64 exec, exec, s[6:7]
	;;#ASMSTART
	v_pk_mul_f16 v14, v58, v22;

	;;#ASMEND
	;;#ASMSTART
	v_pk_mul_f16 v0, v57, v0;

	;;#ASMEND
	;;#ASMSTART
	v_pk_mul_f16 v6, v56, v6;

	;;#ASMEND
	;;#ASMSTART
	v_pk_mul_f16 v7, v47, v7;

	;;#ASMEND
	s_mov_b64 s[0:1], 0
	;;#ASMSTART
	v_pk_add_f16 v0, v14, v0;

	;;#ASMEND
                                        ; implicit-def: $sgpr20
	s_nop 0
	;;#ASMSTART
	v_pk_add_f16 v0, v0, v6;

	;;#ASMEND
	s_nop 0
	;;#ASMSTART
	v_pk_add_f16 v0, v0, v7;

	;;#ASMEND
	s_nop 0
	v_lshrrev_b32_e32 v6, 16, v0
	v_and_b32_e32 v0, 0xffff, v0
	;;#ASMSTART
	v_cvt_f32_f16 v32, v0;
	;;#ASMEND
	;;#ASMSTART
	v_cvt_f32_f16 v61, v6;
	;;#ASMEND
	v_accvgpr_read_b32 v7, a5
	flat_load_dwordx2 v[24:25], v[12:13] offset:1536
	v_accvgpr_read_b32 v6, a4
	flat_load_dword v14, v[6:7]
	s_waitcnt vmcnt(0) lgkmcnt(0)
	v_cmp_gt_i16_sdwa s[6:7], v24, s15 src0_sel:BYTE_0 src1_sel:DWORD
	s_and_saveexec_b64 s[8:9], s[6:7]
	s_xor_b64 s[6:7], exec, s[8:9]
	s_cbranch_execnz .LBB270_735
; %bb.538:                              ;   in Loop: Header=BB270_434 Depth=1
	s_or_saveexec_b64 s[6:7], s[6:7]
	v_mov_b32_e32 v30, s20
	s_xor_b64 exec, exec, s[6:7]
	s_cbranch_execnz .LBB270_738
.LBB270_539:                            ;   in Loop: Header=BB270_434 Depth=1
	s_or_b64 exec, exec, s[6:7]
	s_and_saveexec_b64 s[6:7], s[0:1]
	s_cbranch_execz .LBB270_541
.LBB270_540:                            ;   in Loop: Header=BB270_434 Depth=1
	v_and_b32_e32 v0, 7, v24
	v_ffbh_u32_e32 v0, v0
	v_bfe_u32 v6, v24, 3, 4
	v_min_u32_e32 v0, 32, v0
	v_subrev_u32_e32 v7, 28, v0
	v_sub_u32_e32 v0, 29, v0
	v_cmp_eq_u32_e64 s[0:1], 0, v6
	s_nop 1
	v_cndmask_b32_e64 v0, v6, v0, s[0:1]
	v_cndmask_b32_e64 v6, 0, v7, s[0:1]
	v_lshlrev_b64 v[6:7], v6, v[24:25]
	v_lshlrev_b32_e32 v7, 8, v24
	v_lshl_add_u32 v0, v0, 10, v52
	v_lshlrev_b32_e32 v6, 7, v6
	v_and_or_b32 v0, v7, s23, v0
	v_and_or_b32 v0, v6, s24, v0
	v_cvt_f32_f16_e32 v30, v0
.LBB270_541:                            ;   in Loop: Header=BB270_434 Depth=1
	s_or_b64 exec, exec, s[6:7]
	v_lshrrev_b16_e32 v0, 8, v24
	v_cmp_lt_i16_e64 s[0:1], s15, v0
	s_mov_b64 s[6:7], 0
                                        ; implicit-def: $sgpr28
	s_and_saveexec_b64 s[8:9], s[0:1]
	s_xor_b64 s[8:9], exec, s[8:9]
	s_cbranch_execnz .LBB270_739
; %bb.542:                              ;   in Loop: Header=BB270_434 Depth=1
	s_or_saveexec_b64 s[8:9], s[8:9]
	v_mov_b32_e32 v36, s28
	s_xor_b64 exec, exec, s[8:9]
	s_cbranch_execnz .LBB270_742
.LBB270_543:                            ;   in Loop: Header=BB270_434 Depth=1
	s_or_b64 exec, exec, s[8:9]
	s_and_saveexec_b64 s[8:9], s[6:7]
	s_cbranch_execz .LBB270_545
.LBB270_544:                            ;   in Loop: Header=BB270_434 Depth=1
	v_and_b32_e32 v15, 7, v0
	v_ffbh_u32_e32 v6, v15
	v_min_u32_e32 v23, 32, v6
	v_subrev_u32_e32 v6, 28, v23
	v_bfe_u32 v22, v0, 3, 4
	v_lshlrev_b64 v[6:7], v6, v[0:1]
	v_sub_u32_e32 v7, 29, v23
	v_cmp_eq_u32_e64 s[0:1], 0, v22
	v_and_b32_e32 v6, 7, v6
	v_lshlrev_b32_e32 v0, 8, v0
	v_cndmask_b32_e64 v7, v22, v7, s[0:1]
	v_lshl_add_u32 v7, v7, 10, v52
	v_cndmask_b32_e64 v6, v15, v6, s[0:1]
	v_and_or_b32 v0, v0, s23, v7
	v_lshl_or_b32 v0, v6, 7, v0
	v_cvt_f32_f16_e32 v36, v0
.LBB270_545:                            ;   in Loop: Header=BB270_434 Depth=1
	s_or_b64 exec, exec, s[8:9]
	v_lshrrev_b32_e32 v0, 16, v24
	v_cmp_gt_i16_sdwa s[6:7], v0, s15 src0_sel:BYTE_0 src1_sel:DWORD
	s_mov_b64 s[0:1], 0
                                        ; implicit-def: $sgpr20
	s_and_saveexec_b64 s[8:9], s[6:7]
	s_xor_b64 s[6:7], exec, s[8:9]
	s_cbranch_execnz .LBB270_743
; %bb.546:                              ;   in Loop: Header=BB270_434 Depth=1
	s_or_saveexec_b64 s[6:7], s[6:7]
	v_mov_b32_e32 v31, s20
	s_xor_b64 exec, exec, s[6:7]
	s_cbranch_execnz .LBB270_746
.LBB270_547:                            ;   in Loop: Header=BB270_434 Depth=1
	s_or_b64 exec, exec, s[6:7]
	s_and_saveexec_b64 s[6:7], s[0:1]
	s_cbranch_execz .LBB270_549
.LBB270_548:                            ;   in Loop: Header=BB270_434 Depth=1
	v_bfe_u32 v15, v24, 16, 3
	v_ffbh_u32_e32 v6, v15
	v_min_u32_e32 v23, 32, v6
	v_subrev_u32_e32 v6, 28, v23
	v_bfe_u32 v22, v24, 19, 4
	v_lshlrev_b64 v[6:7], v6, v[0:1]
	v_sub_u32_e32 v7, 29, v23
	v_cmp_eq_u32_e64 s[0:1], 0, v22
	v_and_b32_e32 v6, 7, v6
	v_lshlrev_b32_e32 v0, 8, v0
	v_cndmask_b32_e64 v7, v22, v7, s[0:1]
	v_lshl_add_u32 v7, v7, 10, v52
	v_cndmask_b32_e64 v6, v15, v6, s[0:1]
	v_and_or_b32 v0, v0, s23, v7
	v_lshl_or_b32 v0, v6, 7, v0
	v_cvt_f32_f16_e32 v31, v0
.LBB270_549:                            ;   in Loop: Header=BB270_434 Depth=1
	s_or_b64 exec, exec, s[6:7]
	v_lshrrev_b32_e32 v0, 24, v24
	v_cmp_lt_i16_e64 s[0:1], s15, v0
	s_mov_b64 s[6:7], 0
                                        ; implicit-def: $sgpr28
	s_and_saveexec_b64 s[8:9], s[0:1]
	s_xor_b64 s[8:9], exec, s[8:9]
	s_cbranch_execnz .LBB270_747
; %bb.550:                              ;   in Loop: Header=BB270_434 Depth=1
	s_or_saveexec_b64 s[8:9], s[8:9]
	v_mov_b32_e32 v37, s28
	s_xor_b64 exec, exec, s[8:9]
	s_cbranch_execnz .LBB270_750
.LBB270_551:                            ;   in Loop: Header=BB270_434 Depth=1
	s_or_b64 exec, exec, s[8:9]
	s_and_saveexec_b64 s[8:9], s[6:7]
	s_cbranch_execz .LBB270_553
.LBB270_552:                            ;   in Loop: Header=BB270_434 Depth=1
	v_bfe_u32 v15, v24, 24, 3
	v_ffbh_u32_e32 v6, v15
	v_min_u32_e32 v23, 32, v6
	v_subrev_u32_e32 v6, 28, v23
	v_bfe_u32 v22, v24, 27, 4
	v_lshlrev_b64 v[6:7], v6, v[0:1]
	v_sub_u32_e32 v7, 29, v23
	v_cmp_eq_u32_e64 s[0:1], 0, v22
	v_and_b32_e32 v6, 7, v6
	v_lshlrev_b32_e32 v0, 8, v0
	v_cndmask_b32_e64 v7, v22, v7, s[0:1]
	v_lshl_add_u32 v7, v7, 10, v52
	v_cndmask_b32_e64 v6, v15, v6, s[0:1]
	v_and_or_b32 v0, v0, s23, v7
	v_lshl_or_b32 v0, v6, 7, v0
	v_cvt_f32_f16_e32 v37, v0
.LBB270_553:                            ;   in Loop: Header=BB270_434 Depth=1
	s_or_b64 exec, exec, s[8:9]
	v_cmp_gt_i16_sdwa s[6:7], v25, s15 src0_sel:BYTE_0 src1_sel:DWORD
	s_mov_b64 s[0:1], 0
                                        ; implicit-def: $sgpr20
	s_and_saveexec_b64 s[8:9], s[6:7]
	s_xor_b64 s[6:7], exec, s[8:9]
	s_cbranch_execnz .LBB270_751
; %bb.554:                              ;   in Loop: Header=BB270_434 Depth=1
	s_or_saveexec_b64 s[6:7], s[6:7]
	v_mov_b32_e32 v6, s20
	s_xor_b64 exec, exec, s[6:7]
	s_cbranch_execnz .LBB270_754
.LBB270_555:                            ;   in Loop: Header=BB270_434 Depth=1
	s_or_b64 exec, exec, s[6:7]
	v_mov_b32_e32 v0, v25
	s_and_saveexec_b64 s[6:7], s[0:1]
	s_cbranch_execz .LBB270_557
.LBB270_556:                            ;   in Loop: Header=BB270_434 Depth=1
	v_and_b32_e32 v6, 7, v25
	v_ffbh_u32_e32 v6, v6
	v_bfe_u32 v7, v25, 3, 4
	v_min_u32_e32 v6, 32, v6
	v_subrev_u32_e32 v15, 28, v6
	v_sub_u32_e32 v6, 29, v6
	v_cmp_eq_u32_e64 s[0:1], 0, v7
	s_nop 1
	v_cndmask_b32_e64 v22, v7, v6, s[0:1]
	v_cndmask_b32_e64 v6, 0, v15, s[0:1]
	v_lshlrev_b64 v[6:7], v6, v[0:1]
	v_lshlrev_b32_e32 v7, 8, v25
	v_lshl_add_u32 v15, v22, 10, v52
	v_lshlrev_b32_e32 v6, 7, v6
	v_and_or_b32 v7, v7, s23, v15
	v_and_or_b32 v6, v6, s24, v7
	v_cvt_f32_f16_e32 v6, v6
.LBB270_557:                            ;   in Loop: Header=BB270_434 Depth=1
	s_or_b64 exec, exec, s[6:7]
	v_lshrrev_b16_e32 v0, 8, v0
	v_cmp_lt_i16_e64 s[0:1], s15, v0
	s_mov_b64 s[6:7], 0
                                        ; implicit-def: $sgpr28
	s_and_saveexec_b64 s[8:9], s[0:1]
	s_xor_b64 s[8:9], exec, s[8:9]
	s_cbranch_execnz .LBB270_755
; %bb.558:                              ;   in Loop: Header=BB270_434 Depth=1
	s_or_saveexec_b64 s[8:9], s[8:9]
	v_mov_b32_e32 v7, s28
	s_xor_b64 exec, exec, s[8:9]
	s_cbranch_execnz .LBB270_758
.LBB270_559:                            ;   in Loop: Header=BB270_434 Depth=1
	s_or_b64 exec, exec, s[8:9]
	s_and_saveexec_b64 s[8:9], s[6:7]
	s_cbranch_execz .LBB270_561
.LBB270_560:                            ;   in Loop: Header=BB270_434 Depth=1
	v_and_b32_e32 v7, 7, v0
	v_ffbh_u32_e32 v22, v7
	v_bfe_u32 v15, v0, 3, 4
	v_min_u32_e32 v22, 32, v22
	v_subrev_u32_e32 v23, 28, v22
	v_sub_u32_e32 v22, 29, v22
	v_cmp_eq_u32_e64 s[0:1], 0, v15
	v_lshlrev_b64 v[26:27], v23, v[0:1]
	v_and_b32_e32 v23, 7, v26
	v_cndmask_b32_e64 v15, v15, v22, s[0:1]
	v_lshlrev_b32_e32 v0, 8, v0
	v_lshl_add_u32 v15, v15, 10, v52
	v_cndmask_b32_e64 v7, v7, v23, s[0:1]
	v_and_or_b32 v0, v0, s23, v15
	v_lshl_or_b32 v0, v7, 7, v0
	v_cvt_f32_f16_e32 v7, v0
.LBB270_561:                            ;   in Loop: Header=BB270_434 Depth=1
	s_or_b64 exec, exec, s[8:9]
	v_lshrrev_b32_e32 v0, 16, v25
	v_cmp_gt_i16_sdwa s[6:7], v0, s15 src0_sel:BYTE_0 src1_sel:DWORD
	s_mov_b64 s[0:1], 0
                                        ; implicit-def: $sgpr20
	s_and_saveexec_b64 s[8:9], s[6:7]
	s_xor_b64 s[6:7], exec, s[8:9]
	s_cbranch_execnz .LBB270_759
; %bb.562:                              ;   in Loop: Header=BB270_434 Depth=1
	s_or_saveexec_b64 s[6:7], s[6:7]
	v_mov_b32_e32 v15, s20
	s_xor_b64 exec, exec, s[6:7]
	s_cbranch_execnz .LBB270_762
.LBB270_563:                            ;   in Loop: Header=BB270_434 Depth=1
	s_or_b64 exec, exec, s[6:7]
	s_and_saveexec_b64 s[6:7], s[0:1]
	s_cbranch_execz .LBB270_565
.LBB270_564:                            ;   in Loop: Header=BB270_434 Depth=1
	v_bfe_u32 v15, v25, 16, 3
	v_ffbh_u32_e32 v23, v15
	v_bfe_u32 v22, v25, 19, 4
	v_min_u32_e32 v23, 32, v23
	v_subrev_u32_e32 v24, 28, v23
	v_sub_u32_e32 v23, 29, v23
	v_cmp_eq_u32_e64 s[0:1], 0, v22
	v_lshlrev_b64 v[26:27], v24, v[0:1]
	v_and_b32_e32 v24, 7, v26
	v_cndmask_b32_e64 v22, v22, v23, s[0:1]
	v_lshlrev_b32_e32 v0, 8, v0
	v_lshl_add_u32 v22, v22, 10, v52
	v_cndmask_b32_e64 v15, v15, v24, s[0:1]
	v_and_or_b32 v0, v0, s23, v22
	v_lshl_or_b32 v0, v15, 7, v0
	v_cvt_f32_f16_e32 v15, v0
.LBB270_565:                            ;   in Loop: Header=BB270_434 Depth=1
	s_or_b64 exec, exec, s[6:7]
	v_lshrrev_b32_e32 v0, 24, v25
	v_cmp_lt_i16_e64 s[0:1], s15, v0
	s_mov_b64 s[6:7], 0
                                        ; implicit-def: $sgpr28
	s_and_saveexec_b64 s[8:9], s[0:1]
	s_xor_b64 s[8:9], exec, s[8:9]
	s_cbranch_execnz .LBB270_763
; %bb.566:                              ;   in Loop: Header=BB270_434 Depth=1
	s_or_saveexec_b64 s[8:9], s[8:9]
	v_mov_b32_e32 v24, s28
	s_xor_b64 exec, exec, s[8:9]
	s_cbranch_execnz .LBB270_766
.LBB270_567:                            ;   in Loop: Header=BB270_434 Depth=1
	s_or_b64 exec, exec, s[8:9]
	s_and_saveexec_b64 s[8:9], s[6:7]
	s_cbranch_execz .LBB270_569
.LBB270_568:                            ;   in Loop: Header=BB270_434 Depth=1
	v_bfe_u32 v22, v25, 24, 3
	v_ffbh_u32_e32 v24, v22
	v_min_u32_e32 v26, 32, v24
	v_subrev_u32_e32 v24, 28, v26
	v_bfe_u32 v23, v25, 27, 4
	v_lshlrev_b64 v[24:25], v24, v[0:1]
	v_sub_u32_e32 v25, 29, v26
	v_cmp_eq_u32_e64 s[0:1], 0, v23
	v_and_b32_e32 v24, 7, v24
	v_lshlrev_b32_e32 v0, 8, v0
	v_cndmask_b32_e64 v23, v23, v25, s[0:1]
	v_lshl_add_u32 v23, v23, 10, v52
	v_cndmask_b32_e64 v22, v22, v24, s[0:1]
	v_and_or_b32 v0, v0, s23, v23
	v_lshl_or_b32 v0, v22, 7, v0
	v_cvt_f32_f16_e32 v24, v0
.LBB270_569:                            ;   in Loop: Header=BB270_434 Depth=1
	s_or_b64 exec, exec, s[8:9]
	v_pk_mul_f32 v[26:27], v[14:15], v[36:37] op_sel_hi:[0,1]
	v_pk_mul_f32 v[30:31], v[14:15], v[30:31] op_sel_hi:[0,1]
	v_cvt_f16_f32_e32 v0, v27
	v_cvt_f16_f32_e32 v22, v26
	;; [unrolled: 1-line block ×4, first 2 shown]
	v_fma_mixlo_f16 v7, v14, v7, 0
	v_lshlrev_b32_e32 v7, 16, v7
	v_fma_mixlo_f16 v6, v14, v6, 0
	v_or_b32_sdwa v6, v7, v6 dst_sel:DWORD dst_unused:UNUSED_PAD src0_sel:DWORD src1_sel:WORD_0
	v_fma_mixlo_f16 v7, v14, v24, 0
	v_pack_b32_f16 v22, v22, v0
	v_pack_b32_f16 v23, v25, v23
	v_fma_mixlo_f16 v15, v14, v15, 0
	v_lshlrev_b32_e32 v7, 16, v7
	v_perm_b32 v0, v23, v22, s25
	v_perm_b32 v22, v23, v22, s26
	v_or_b32_sdwa v7, v7, v15 dst_sel:DWORD dst_unused:UNUSED_PAD src0_sel:DWORD src1_sel:WORD_0
	s_and_saveexec_b64 s[6:7], vcc
	s_cbranch_execz .LBB270_571
; %bb.570:                              ;   in Loop: Header=BB270_434 Depth=1
	v_lshrrev_b32_e32 v14, 16, v22
	v_cmp_lt_i32_e64 s[0:1], v46, v3
	v_accvgpr_read_b32 v24, a8
	v_lshrrev_b32_e32 v7, 16, v7
	v_cndmask_b32_e64 v14, 0, v14, s[0:1]
	v_cmp_lt_i32_e64 s[0:1], v41, v24
	s_nop 1
	v_cndmask_b32_e64 v22, 0, v22, s[0:1]
	v_perm_b32 v22, v14, v22, s27
	v_lshrrev_b32_e32 v14, 16, v0
	v_cmp_lt_i32_e64 s[0:1], v45, v3
	s_nop 1
	v_cndmask_b32_e64 v14, 0, v14, s[0:1]
	v_cmp_lt_i32_e64 s[0:1], v44, v24
	s_nop 1
	v_cndmask_b32_e64 v0, 0, v0, s[0:1]
	v_perm_b32 v0, v14, v0, s27
	v_lshrrev_b32_e32 v14, 16, v6
	v_cmp_lt_i32_e64 s[0:1], v43, v3
	s_nop 1
	v_cndmask_b32_e64 v14, 0, v14, s[0:1]
	v_cmp_lt_i32_e64 s[0:1], v42, v24
	s_nop 1
	v_cndmask_b32_e64 v6, 0, v6, s[0:1]
	v_cmp_lt_i32_e64 s[0:1], v40, v3
	v_perm_b32 v6, v14, v6, s27
	s_nop 0
	v_cndmask_b32_e64 v7, 0, v7, s[0:1]
	v_cmp_lt_i32_e64 s[0:1], v55, v24
	s_nop 1
	v_cndmask_b32_e64 v14, 0, v15, s[0:1]
	v_perm_b32 v7, v7, v14, s27
.LBB270_571:                            ;   in Loop: Header=BB270_434 Depth=1
	s_or_b64 exec, exec, s[6:7]
	;;#ASMSTART
	v_pk_mul_f16 v14, v58, v22;

	;;#ASMEND
	;;#ASMSTART
	v_pk_mul_f16 v0, v57, v0;

	;;#ASMEND
	;; [unrolled: 4-line block ×4, first 2 shown]
	s_mov_b64 s[0:1], 0
	;;#ASMSTART
	v_pk_add_f16 v0, v14, v0;

	;;#ASMEND
	v_accvgpr_read_b32 v15, a5
	;;#ASMSTART
	v_pk_add_f16 v0, v0, v6;

	;;#ASMEND
	v_accvgpr_read_b32 v14, a4
	;;#ASMSTART
	v_pk_add_f16 v0, v0, v7;

	;;#ASMEND
                                        ; implicit-def: $sgpr20
	s_nop 0
	v_lshrrev_b32_e32 v6, 16, v0
	v_and_b32_e32 v0, 0xffff, v0
	;;#ASMSTART
	v_cvt_f32_f16 v7, v0;
	;;#ASMEND
	;;#ASMSTART
	v_cvt_f32_f16 v35, v6;
	;;#ASMEND
	flat_load_dwordx2 v[24:25], v[12:13] offset:2048
	s_waitcnt vmcnt(0) lgkmcnt(0)
	v_cmp_gt_i16_sdwa s[6:7], v24, s15 src0_sel:BYTE_0 src1_sel:DWORD
	flat_load_dword v14, v[14:15]
	s_and_saveexec_b64 s[8:9], s[6:7]
	s_xor_b64 s[6:7], exec, s[8:9]
	s_cbranch_execnz .LBB270_767
; %bb.572:                              ;   in Loop: Header=BB270_434 Depth=1
	s_or_saveexec_b64 s[6:7], s[6:7]
	v_mov_b32_e32 v30, s20
	s_xor_b64 exec, exec, s[6:7]
	s_cbranch_execnz .LBB270_770
.LBB270_573:                            ;   in Loop: Header=BB270_434 Depth=1
	s_or_b64 exec, exec, s[6:7]
	s_and_saveexec_b64 s[6:7], s[0:1]
	s_cbranch_execz .LBB270_575
.LBB270_574:                            ;   in Loop: Header=BB270_434 Depth=1
	v_and_b32_e32 v0, 7, v24
	v_ffbh_u32_e32 v0, v0
	v_bfe_u32 v6, v24, 3, 4
	v_min_u32_e32 v0, 32, v0
	v_subrev_u32_e32 v15, 28, v0
	v_sub_u32_e32 v0, 29, v0
	v_cmp_eq_u32_e64 s[0:1], 0, v6
	s_nop 1
	v_cndmask_b32_e64 v0, v6, v0, s[0:1]
	v_cndmask_b32_e64 v6, 0, v15, s[0:1]
	v_lshlrev_b64 v[26:27], v6, v[24:25]
	v_lshlrev_b32_e32 v15, 8, v24
	v_lshl_add_u32 v0, v0, 10, v52
	v_lshlrev_b32_e32 v6, 7, v26
	v_and_or_b32 v0, v15, s23, v0
	v_and_or_b32 v0, v6, s24, v0
	v_cvt_f32_f16_e32 v30, v0
.LBB270_575:                            ;   in Loop: Header=BB270_434 Depth=1
	s_or_b64 exec, exec, s[6:7]
	v_lshrrev_b16_e32 v0, 8, v24
	v_cmp_lt_i16_e64 s[0:1], s15, v0
	s_mov_b64 s[6:7], 0
                                        ; implicit-def: $sgpr28
	s_and_saveexec_b64 s[8:9], s[0:1]
	s_xor_b64 s[8:9], exec, s[8:9]
	s_cbranch_execnz .LBB270_771
; %bb.576:                              ;   in Loop: Header=BB270_434 Depth=1
	s_or_saveexec_b64 s[8:9], s[8:9]
	v_mov_b32_e32 v36, s28
	s_xor_b64 exec, exec, s[8:9]
	s_cbranch_execnz .LBB270_774
.LBB270_577:                            ;   in Loop: Header=BB270_434 Depth=1
	s_or_b64 exec, exec, s[8:9]
	s_and_saveexec_b64 s[8:9], s[6:7]
	s_cbranch_execz .LBB270_579
.LBB270_578:                            ;   in Loop: Header=BB270_434 Depth=1
	v_and_b32_e32 v6, 7, v0
	v_ffbh_u32_e32 v22, v6
	v_bfe_u32 v15, v0, 3, 4
	v_min_u32_e32 v22, 32, v22
	v_subrev_u32_e32 v23, 28, v22
	v_sub_u32_e32 v22, 29, v22
	v_cmp_eq_u32_e64 s[0:1], 0, v15
	v_lshlrev_b64 v[26:27], v23, v[0:1]
	v_and_b32_e32 v23, 7, v26
	v_cndmask_b32_e64 v15, v15, v22, s[0:1]
	v_lshlrev_b32_e32 v0, 8, v0
	v_lshl_add_u32 v15, v15, 10, v52
	v_cndmask_b32_e64 v6, v6, v23, s[0:1]
	v_and_or_b32 v0, v0, s23, v15
	v_lshl_or_b32 v0, v6, 7, v0
	v_cvt_f32_f16_e32 v36, v0
.LBB270_579:                            ;   in Loop: Header=BB270_434 Depth=1
	s_or_b64 exec, exec, s[8:9]
	v_lshrrev_b32_e32 v0, 16, v24
	v_cmp_gt_i16_sdwa s[6:7], v0, s15 src0_sel:BYTE_0 src1_sel:DWORD
	s_mov_b64 s[0:1], 0
                                        ; implicit-def: $sgpr20
	s_and_saveexec_b64 s[8:9], s[6:7]
	s_xor_b64 s[6:7], exec, s[8:9]
	s_cbranch_execnz .LBB270_775
; %bb.580:                              ;   in Loop: Header=BB270_434 Depth=1
	s_or_saveexec_b64 s[6:7], s[6:7]
	v_mov_b32_e32 v31, s20
	s_xor_b64 exec, exec, s[6:7]
	s_cbranch_execnz .LBB270_778
.LBB270_581:                            ;   in Loop: Header=BB270_434 Depth=1
	s_or_b64 exec, exec, s[6:7]
	s_and_saveexec_b64 s[6:7], s[0:1]
	s_cbranch_execz .LBB270_583
.LBB270_582:                            ;   in Loop: Header=BB270_434 Depth=1
	v_bfe_u32 v6, v24, 16, 3
	v_ffbh_u32_e32 v22, v6
	v_bfe_u32 v15, v24, 19, 4
	v_min_u32_e32 v22, 32, v22
	v_subrev_u32_e32 v23, 28, v22
	v_sub_u32_e32 v22, 29, v22
	v_cmp_eq_u32_e64 s[0:1], 0, v15
	v_lshlrev_b64 v[26:27], v23, v[0:1]
	v_and_b32_e32 v23, 7, v26
	v_cndmask_b32_e64 v15, v15, v22, s[0:1]
	v_lshlrev_b32_e32 v0, 8, v0
	v_lshl_add_u32 v15, v15, 10, v52
	v_cndmask_b32_e64 v6, v6, v23, s[0:1]
	v_and_or_b32 v0, v0, s23, v15
	v_lshl_or_b32 v0, v6, 7, v0
	v_cvt_f32_f16_e32 v31, v0
.LBB270_583:                            ;   in Loop: Header=BB270_434 Depth=1
	s_or_b64 exec, exec, s[6:7]
	v_lshrrev_b32_e32 v0, 24, v24
	v_cmp_lt_i16_e64 s[0:1], s15, v0
	s_mov_b64 s[6:7], 0
                                        ; implicit-def: $sgpr28
	s_and_saveexec_b64 s[8:9], s[0:1]
	s_xor_b64 s[8:9], exec, s[8:9]
	s_cbranch_execnz .LBB270_779
; %bb.584:                              ;   in Loop: Header=BB270_434 Depth=1
	s_or_saveexec_b64 s[8:9], s[8:9]
	v_mov_b32_e32 v37, s28
	s_xor_b64 exec, exec, s[8:9]
	s_cbranch_execnz .LBB270_782
.LBB270_585:                            ;   in Loop: Header=BB270_434 Depth=1
	s_or_b64 exec, exec, s[8:9]
	s_and_saveexec_b64 s[8:9], s[6:7]
	s_cbranch_execz .LBB270_587
.LBB270_586:                            ;   in Loop: Header=BB270_434 Depth=1
	v_bfe_u32 v6, v24, 24, 3
	v_ffbh_u32_e32 v22, v6
	v_bfe_u32 v15, v24, 27, 4
	v_min_u32_e32 v22, 32, v22
	v_subrev_u32_e32 v23, 28, v22
	v_sub_u32_e32 v22, 29, v22
	v_cmp_eq_u32_e64 s[0:1], 0, v15
	v_lshlrev_b64 v[26:27], v23, v[0:1]
	v_and_b32_e32 v23, 7, v26
	v_cndmask_b32_e64 v15, v15, v22, s[0:1]
	v_lshlrev_b32_e32 v0, 8, v0
	v_lshl_add_u32 v15, v15, 10, v52
	v_cndmask_b32_e64 v6, v6, v23, s[0:1]
	v_and_or_b32 v0, v0, s23, v15
	v_lshl_or_b32 v0, v6, 7, v0
	v_cvt_f32_f16_e32 v37, v0
.LBB270_587:                            ;   in Loop: Header=BB270_434 Depth=1
	s_or_b64 exec, exec, s[8:9]
	v_cmp_gt_i16_sdwa s[6:7], v25, s15 src0_sel:BYTE_0 src1_sel:DWORD
	s_mov_b64 s[0:1], 0
                                        ; implicit-def: $sgpr20
	s_and_saveexec_b64 s[8:9], s[6:7]
	s_xor_b64 s[6:7], exec, s[8:9]
	s_cbranch_execnz .LBB270_783
; %bb.588:                              ;   in Loop: Header=BB270_434 Depth=1
	s_or_saveexec_b64 s[6:7], s[6:7]
	v_mov_b32_e32 v6, s20
	s_xor_b64 exec, exec, s[6:7]
	s_cbranch_execnz .LBB270_786
.LBB270_589:                            ;   in Loop: Header=BB270_434 Depth=1
	s_or_b64 exec, exec, s[6:7]
	v_mov_b32_e32 v0, v25
	s_and_saveexec_b64 s[6:7], s[0:1]
	s_cbranch_execz .LBB270_591
.LBB270_590:                            ;   in Loop: Header=BB270_434 Depth=1
	v_and_b32_e32 v6, 7, v25
	v_ffbh_u32_e32 v6, v6
	v_bfe_u32 v15, v25, 3, 4
	v_min_u32_e32 v6, 32, v6
	v_subrev_u32_e32 v22, 28, v6
	v_sub_u32_e32 v6, 29, v6
	v_cmp_eq_u32_e64 s[0:1], 0, v15
	s_nop 1
	v_cndmask_b32_e64 v6, v15, v6, s[0:1]
	v_cndmask_b32_e64 v15, 0, v22, s[0:1]
	v_lshlrev_b64 v[26:27], v15, v[0:1]
	v_lshlrev_b32_e32 v22, 8, v25
	v_lshl_add_u32 v6, v6, 10, v52
	v_lshlrev_b32_e32 v15, 7, v26
	v_and_or_b32 v6, v22, s23, v6
	v_and_or_b32 v6, v15, s24, v6
	v_cvt_f32_f16_e32 v6, v6
.LBB270_591:                            ;   in Loop: Header=BB270_434 Depth=1
	s_or_b64 exec, exec, s[6:7]
	v_lshrrev_b16_e32 v0, 8, v0
	v_cmp_lt_i16_e64 s[0:1], s15, v0
	s_mov_b64 s[6:7], 0
                                        ; implicit-def: $sgpr28
	s_and_saveexec_b64 s[8:9], s[0:1]
	s_xor_b64 s[8:9], exec, s[8:9]
	s_cbranch_execnz .LBB270_787
; %bb.592:                              ;   in Loop: Header=BB270_434 Depth=1
	s_or_saveexec_b64 s[8:9], s[8:9]
	v_mov_b32_e32 v15, s28
	s_xor_b64 exec, exec, s[8:9]
	s_cbranch_execnz .LBB270_790
.LBB270_593:                            ;   in Loop: Header=BB270_434 Depth=1
	s_or_b64 exec, exec, s[8:9]
	s_and_saveexec_b64 s[8:9], s[6:7]
	s_cbranch_execz .LBB270_595
.LBB270_594:                            ;   in Loop: Header=BB270_434 Depth=1
	v_and_b32_e32 v15, 7, v0
	v_ffbh_u32_e32 v23, v15
	v_bfe_u32 v22, v0, 3, 4
	v_min_u32_e32 v23, 32, v23
	v_subrev_u32_e32 v24, 28, v23
	v_sub_u32_e32 v23, 29, v23
	v_cmp_eq_u32_e64 s[0:1], 0, v22
	v_lshlrev_b64 v[26:27], v24, v[0:1]
	v_and_b32_e32 v24, 7, v26
	v_cndmask_b32_e64 v22, v22, v23, s[0:1]
	v_lshlrev_b32_e32 v0, 8, v0
	v_lshl_add_u32 v22, v22, 10, v52
	v_cndmask_b32_e64 v15, v15, v24, s[0:1]
	v_and_or_b32 v0, v0, s23, v22
	v_lshl_or_b32 v0, v15, 7, v0
	v_cvt_f32_f16_e32 v15, v0
.LBB270_595:                            ;   in Loop: Header=BB270_434 Depth=1
	s_or_b64 exec, exec, s[8:9]
	v_lshrrev_b32_e32 v0, 16, v25
	v_cmp_gt_i16_sdwa s[6:7], v0, s15 src0_sel:BYTE_0 src1_sel:DWORD
	s_mov_b64 s[0:1], 0
                                        ; implicit-def: $sgpr20
	s_and_saveexec_b64 s[8:9], s[6:7]
	s_xor_b64 s[6:7], exec, s[8:9]
	s_cbranch_execnz .LBB270_791
; %bb.596:                              ;   in Loop: Header=BB270_434 Depth=1
	s_or_saveexec_b64 s[6:7], s[6:7]
	v_mov_b32_e32 v22, s20
	s_xor_b64 exec, exec, s[6:7]
	s_cbranch_execnz .LBB270_794
.LBB270_597:                            ;   in Loop: Header=BB270_434 Depth=1
	s_or_b64 exec, exec, s[6:7]
	s_and_saveexec_b64 s[6:7], s[0:1]
	s_cbranch_execz .LBB270_599
.LBB270_598:                            ;   in Loop: Header=BB270_434 Depth=1
	v_bfe_u32 v22, v25, 16, 3
	v_ffbh_u32_e32 v24, v22
	v_bfe_u32 v23, v25, 19, 4
	v_min_u32_e32 v24, 32, v24
	v_subrev_u32_e32 v26, 28, v24
	v_sub_u32_e32 v24, 29, v24
	v_cmp_eq_u32_e64 s[0:1], 0, v23
	v_lshlrev_b64 v[26:27], v26, v[0:1]
	v_and_b32_e32 v26, 7, v26
	v_cndmask_b32_e64 v23, v23, v24, s[0:1]
	v_lshlrev_b32_e32 v0, 8, v0
	v_lshl_add_u32 v23, v23, 10, v52
	v_cndmask_b32_e64 v22, v22, v26, s[0:1]
	v_and_or_b32 v0, v0, s23, v23
	v_lshl_or_b32 v0, v22, 7, v0
	v_cvt_f32_f16_e32 v22, v0
.LBB270_599:                            ;   in Loop: Header=BB270_434 Depth=1
	s_or_b64 exec, exec, s[6:7]
	v_lshrrev_b32_e32 v0, 24, v25
	v_cmp_lt_i16_e64 s[0:1], s15, v0
	s_mov_b64 s[6:7], 0
                                        ; implicit-def: $sgpr28
	s_and_saveexec_b64 s[8:9], s[0:1]
	s_xor_b64 s[8:9], exec, s[8:9]
	s_cbranch_execnz .LBB270_795
; %bb.600:                              ;   in Loop: Header=BB270_434 Depth=1
	s_or_saveexec_b64 s[8:9], s[8:9]
	v_mov_b32_e32 v26, s28
	s_xor_b64 exec, exec, s[8:9]
	s_cbranch_execnz .LBB270_798
.LBB270_601:                            ;   in Loop: Header=BB270_434 Depth=1
	s_or_b64 exec, exec, s[8:9]
	s_and_saveexec_b64 s[8:9], s[6:7]
	s_cbranch_execz .LBB270_603
.LBB270_602:                            ;   in Loop: Header=BB270_434 Depth=1
	v_bfe_u32 v23, v25, 24, 3
	v_ffbh_u32_e32 v24, v23
	v_min_u32_e32 v27, 32, v24
	v_subrev_u32_e32 v24, 28, v27
	v_bfe_u32 v26, v25, 27, 4
	v_lshlrev_b64 v[24:25], v24, v[0:1]
	v_sub_u32_e32 v25, 29, v27
	v_cmp_eq_u32_e64 s[0:1], 0, v26
	v_and_b32_e32 v24, 7, v24
	v_lshlrev_b32_e32 v0, 8, v0
	v_cndmask_b32_e64 v25, v26, v25, s[0:1]
	v_cndmask_b32_e64 v23, v23, v24, s[0:1]
	v_lshl_add_u32 v24, v25, 10, v52
	v_and_or_b32 v0, v0, s23, v24
	v_lshl_or_b32 v0, v23, 7, v0
	v_cvt_f32_f16_e32 v26, v0
.LBB270_603:                            ;   in Loop: Header=BB270_434 Depth=1
	s_or_b64 exec, exec, s[8:9]
	s_waitcnt vmcnt(0) lgkmcnt(0)
	v_pk_mul_f32 v[24:25], v[14:15], v[36:37] op_sel_hi:[0,1]
	v_pk_mul_f32 v[30:31], v[14:15], v[30:31] op_sel_hi:[0,1]
	v_cvt_f16_f32_e32 v0, v25
	v_cvt_f16_f32_e32 v23, v24
	;; [unrolled: 1-line block ×4, first 2 shown]
	v_fma_mixlo_f16 v15, v14, v15, 0
	v_lshlrev_b32_e32 v15, 16, v15
	v_fma_mixlo_f16 v6, v14, v6, 0
	v_or_b32_sdwa v6, v15, v6 dst_sel:DWORD dst_unused:UNUSED_PAD src0_sel:DWORD src1_sel:WORD_0
	v_fma_mixlo_f16 v15, v14, v22, 0
	v_fma_mixlo_f16 v14, v14, v26, 0
	v_pack_b32_f16 v23, v23, v0
	v_pack_b32_f16 v24, v25, v24
	v_lshlrev_b32_e32 v14, 16, v14
	v_perm_b32 v0, v24, v23, s25
	v_perm_b32 v24, v24, v23, s26
	v_or_b32_sdwa v14, v14, v15 dst_sel:DWORD dst_unused:UNUSED_PAD src0_sel:DWORD src1_sel:WORD_0
	s_and_saveexec_b64 s[6:7], vcc
	s_cbranch_execz .LBB270_605
; %bb.604:                              ;   in Loop: Header=BB270_434 Depth=1
	v_lshrrev_b32_e32 v22, 16, v24
	v_cmp_lt_i32_e64 s[0:1], v46, v3
	v_accvgpr_read_b32 v26, a8
	v_lshrrev_b32_e32 v14, 16, v14
	v_cndmask_b32_e64 v22, 0, v22, s[0:1]
	v_cmp_lt_i32_e64 s[0:1], v41, v26
	s_nop 1
	v_cndmask_b32_e64 v23, 0, v24, s[0:1]
	v_perm_b32 v24, v22, v23, s27
	v_lshrrev_b32_e32 v22, 16, v0
	v_cmp_lt_i32_e64 s[0:1], v45, v3
	s_nop 1
	v_cndmask_b32_e64 v22, 0, v22, s[0:1]
	v_cmp_lt_i32_e64 s[0:1], v44, v26
	s_nop 1
	v_cndmask_b32_e64 v0, 0, v0, s[0:1]
	v_perm_b32 v0, v22, v0, s27
	v_lshrrev_b32_e32 v22, 16, v6
	v_cmp_lt_i32_e64 s[0:1], v43, v3
	s_nop 1
	v_cndmask_b32_e64 v22, 0, v22, s[0:1]
	v_cmp_lt_i32_e64 s[0:1], v42, v26
	s_nop 1
	v_cndmask_b32_e64 v6, 0, v6, s[0:1]
	v_cmp_lt_i32_e64 s[0:1], v40, v3
	v_perm_b32 v6, v22, v6, s27
	s_nop 0
	v_cndmask_b32_e64 v14, 0, v14, s[0:1]
	v_cmp_lt_i32_e64 s[0:1], v55, v26
	s_nop 1
	v_cndmask_b32_e64 v15, 0, v15, s[0:1]
	v_perm_b32 v14, v14, v15, s27
.LBB270_605:                            ;   in Loop: Header=BB270_434 Depth=1
	s_or_b64 exec, exec, s[6:7]
	;;#ASMSTART
	v_pk_mul_f16 v15, v58, v24;

	;;#ASMEND
	;;#ASMSTART
	v_pk_mul_f16 v0, v57, v0;

	;;#ASMEND
	;; [unrolled: 4-line block ×4, first 2 shown]
	s_mov_b64 s[0:1], 0
	;;#ASMSTART
	v_pk_add_f16 v0, v15, v0;

	;;#ASMEND
                                        ; implicit-def: $sgpr20
	s_nop 0
	;;#ASMSTART
	v_pk_add_f16 v0, v0, v6;

	;;#ASMEND
	s_nop 0
	;;#ASMSTART
	v_pk_add_f16 v0, v0, v14;

	;;#ASMEND
	s_nop 0
	v_lshrrev_b32_e32 v14, 16, v0
	v_and_b32_e32 v0, 0xffff, v0
	;;#ASMSTART
	v_cvt_f32_f16 v6, v0;
	;;#ASMEND
	;;#ASMSTART
	v_cvt_f32_f16 v22, v14;
	;;#ASMEND
	flat_load_dwordx2 v[14:15], v[12:13] offset:2560
	v_accvgpr_read_b32 v13, a5
	v_accvgpr_read_b32 v12, a4
	flat_load_dword v12, v[12:13]
	s_waitcnt vmcnt(0) lgkmcnt(0)
	v_cmp_gt_i16_sdwa s[6:7], v14, s15 src0_sel:BYTE_0 src1_sel:DWORD
	s_and_saveexec_b64 s[8:9], s[6:7]
	s_xor_b64 s[6:7], exec, s[8:9]
	s_cbranch_execnz .LBB270_799
; %bb.606:                              ;   in Loop: Header=BB270_434 Depth=1
	s_or_saveexec_b64 s[6:7], s[6:7]
	v_mov_b32_e32 v24, s20
	s_xor_b64 exec, exec, s[6:7]
	s_cbranch_execnz .LBB270_802
.LBB270_607:                            ;   in Loop: Header=BB270_434 Depth=1
	s_or_b64 exec, exec, s[6:7]
	s_and_saveexec_b64 s[6:7], s[0:1]
	s_cbranch_execz .LBB270_609
.LBB270_608:                            ;   in Loop: Header=BB270_434 Depth=1
	v_and_b32_e32 v0, 7, v14
	v_ffbh_u32_e32 v0, v0
	v_bfe_u32 v13, v14, 3, 4
	v_min_u32_e32 v0, 32, v0
	v_subrev_u32_e32 v23, 28, v0
	v_sub_u32_e32 v0, 29, v0
	v_cmp_eq_u32_e64 s[0:1], 0, v13
	s_nop 1
	v_cndmask_b32_e64 v0, v13, v0, s[0:1]
	v_cndmask_b32_e64 v13, 0, v23, s[0:1]
	v_lshlrev_b64 v[24:25], v13, v[14:15]
	v_lshlrev_b32_e32 v23, 8, v14
	v_lshl_add_u32 v0, v0, 10, v52
	v_lshlrev_b32_e32 v13, 7, v24
	v_and_or_b32 v0, v23, s23, v0
	v_and_or_b32 v0, v13, s24, v0
	v_cvt_f32_f16_e32 v24, v0
.LBB270_609:                            ;   in Loop: Header=BB270_434 Depth=1
	s_or_b64 exec, exec, s[6:7]
	v_lshrrev_b16_e32 v0, 8, v14
	v_cmp_lt_i16_e64 s[0:1], s15, v0
	s_mov_b64 s[6:7], 0
                                        ; implicit-def: $sgpr28
	s_and_saveexec_b64 s[8:9], s[0:1]
	s_xor_b64 s[8:9], exec, s[8:9]
	s_cbranch_execnz .LBB270_803
; %bb.610:                              ;   in Loop: Header=BB270_434 Depth=1
	s_or_saveexec_b64 s[8:9], s[8:9]
	v_mov_b32_e32 v30, s28
	s_xor_b64 exec, exec, s[8:9]
	s_cbranch_execnz .LBB270_806
.LBB270_611:                            ;   in Loop: Header=BB270_434 Depth=1
	s_or_b64 exec, exec, s[8:9]
	s_and_saveexec_b64 s[8:9], s[6:7]
	s_cbranch_execz .LBB270_613
.LBB270_612:                            ;   in Loop: Header=BB270_434 Depth=1
	v_and_b32_e32 v13, 7, v0
	v_ffbh_u32_e32 v25, v13
	v_bfe_u32 v23, v0, 3, 4
	v_min_u32_e32 v25, 32, v25
	v_subrev_u32_e32 v26, 28, v25
	v_sub_u32_e32 v25, 29, v25
	v_cmp_eq_u32_e64 s[0:1], 0, v23
	v_lshlrev_b64 v[26:27], v26, v[0:1]
	v_and_b32_e32 v26, 7, v26
	v_cndmask_b32_e64 v23, v23, v25, s[0:1]
	v_lshlrev_b32_e32 v0, 8, v0
	v_lshl_add_u32 v23, v23, 10, v52
	v_cndmask_b32_e64 v13, v13, v26, s[0:1]
	v_and_or_b32 v0, v0, s23, v23
	v_lshl_or_b32 v0, v13, 7, v0
	v_cvt_f32_f16_e32 v30, v0
.LBB270_613:                            ;   in Loop: Header=BB270_434 Depth=1
	s_or_b64 exec, exec, s[8:9]
	v_lshrrev_b32_e32 v0, 16, v14
	v_cmp_gt_i16_sdwa s[6:7], v0, s15 src0_sel:BYTE_0 src1_sel:DWORD
	s_mov_b64 s[0:1], 0
                                        ; implicit-def: $sgpr20
	s_and_saveexec_b64 s[8:9], s[6:7]
	s_xor_b64 s[6:7], exec, s[8:9]
	s_cbranch_execnz .LBB270_807
; %bb.614:                              ;   in Loop: Header=BB270_434 Depth=1
	s_or_saveexec_b64 s[6:7], s[6:7]
	v_mov_b32_e32 v25, s20
	s_xor_b64 exec, exec, s[6:7]
	s_cbranch_execnz .LBB270_810
.LBB270_615:                            ;   in Loop: Header=BB270_434 Depth=1
	s_or_b64 exec, exec, s[6:7]
	s_and_saveexec_b64 s[6:7], s[0:1]
	s_cbranch_execz .LBB270_617
.LBB270_616:                            ;   in Loop: Header=BB270_434 Depth=1
	v_bfe_u32 v13, v14, 16, 3
	v_ffbh_u32_e32 v25, v13
	v_bfe_u32 v23, v14, 19, 4
	v_min_u32_e32 v25, 32, v25
	v_subrev_u32_e32 v26, 28, v25
	v_sub_u32_e32 v25, 29, v25
	v_cmp_eq_u32_e64 s[0:1], 0, v23
	v_lshlrev_b64 v[26:27], v26, v[0:1]
	v_and_b32_e32 v26, 7, v26
	v_cndmask_b32_e64 v23, v23, v25, s[0:1]
	v_lshlrev_b32_e32 v0, 8, v0
	v_lshl_add_u32 v23, v23, 10, v52
	v_cndmask_b32_e64 v13, v13, v26, s[0:1]
	v_and_or_b32 v0, v0, s23, v23
	v_lshl_or_b32 v0, v13, 7, v0
	v_cvt_f32_f16_e32 v25, v0
.LBB270_617:                            ;   in Loop: Header=BB270_434 Depth=1
	s_or_b64 exec, exec, s[6:7]
	v_lshrrev_b32_e32 v0, 24, v14
	v_cmp_lt_i16_e64 s[0:1], s15, v0
	s_mov_b64 s[6:7], 0
                                        ; implicit-def: $sgpr28
	s_and_saveexec_b64 s[8:9], s[0:1]
	s_xor_b64 s[8:9], exec, s[8:9]
	s_cbranch_execnz .LBB270_811
; %bb.618:                              ;   in Loop: Header=BB270_434 Depth=1
	s_or_saveexec_b64 s[8:9], s[8:9]
	v_mov_b32_e32 v31, s28
	s_xor_b64 exec, exec, s[8:9]
	s_cbranch_execnz .LBB270_814
.LBB270_619:                            ;   in Loop: Header=BB270_434 Depth=1
	s_or_b64 exec, exec, s[8:9]
	s_and_saveexec_b64 s[8:9], s[6:7]
	s_cbranch_execz .LBB270_621
.LBB270_620:                            ;   in Loop: Header=BB270_434 Depth=1
	v_bfe_u32 v13, v14, 24, 3
	v_ffbh_u32_e32 v23, v13
	v_bfe_u32 v14, v14, 27, 4
	v_min_u32_e32 v23, 32, v23
	v_subrev_u32_e32 v26, 28, v23
	v_sub_u32_e32 v23, 29, v23
	v_cmp_eq_u32_e64 s[0:1], 0, v14
	v_lshlrev_b64 v[26:27], v26, v[0:1]
	v_and_b32_e32 v26, 7, v26
	v_cndmask_b32_e64 v14, v14, v23, s[0:1]
	v_lshlrev_b32_e32 v0, 8, v0
	v_lshl_add_u32 v14, v14, 10, v52
	v_cndmask_b32_e64 v13, v13, v26, s[0:1]
	v_and_or_b32 v0, v0, s23, v14
	v_lshl_or_b32 v0, v13, 7, v0
	v_cvt_f32_f16_e32 v31, v0
.LBB270_621:                            ;   in Loop: Header=BB270_434 Depth=1
	s_or_b64 exec, exec, s[8:9]
	v_cmp_gt_i16_sdwa s[6:7], v15, s15 src0_sel:BYTE_0 src1_sel:DWORD
	s_mov_b64 s[0:1], 0
                                        ; implicit-def: $sgpr20
	s_and_saveexec_b64 s[8:9], s[6:7]
	s_xor_b64 s[6:7], exec, s[8:9]
	s_cbranch_execnz .LBB270_815
; %bb.622:                              ;   in Loop: Header=BB270_434 Depth=1
	s_or_saveexec_b64 s[6:7], s[6:7]
	v_mov_b32_e32 v13, s20
	s_xor_b64 exec, exec, s[6:7]
	s_cbranch_execnz .LBB270_818
.LBB270_623:                            ;   in Loop: Header=BB270_434 Depth=1
	s_or_b64 exec, exec, s[6:7]
	v_mov_b32_e32 v0, v15
	s_and_saveexec_b64 s[6:7], s[0:1]
	s_cbranch_execz .LBB270_625
.LBB270_624:                            ;   in Loop: Header=BB270_434 Depth=1
	v_and_b32_e32 v13, 7, v15
	v_ffbh_u32_e32 v13, v13
	v_bfe_u32 v14, v15, 3, 4
	v_min_u32_e32 v13, 32, v13
	v_subrev_u32_e32 v23, 28, v13
	v_sub_u32_e32 v13, 29, v13
	v_cmp_eq_u32_e64 s[0:1], 0, v14
	s_nop 1
	v_cndmask_b32_e64 v13, v14, v13, s[0:1]
	v_cndmask_b32_e64 v14, 0, v23, s[0:1]
	v_lshlrev_b64 v[26:27], v14, v[0:1]
	v_lshlrev_b32_e32 v23, 8, v15
	v_lshl_add_u32 v13, v13, 10, v52
	v_lshlrev_b32_e32 v14, 7, v26
	v_and_or_b32 v13, v23, s23, v13
	v_and_or_b32 v13, v14, s24, v13
	v_cvt_f32_f16_e32 v13, v13
.LBB270_625:                            ;   in Loop: Header=BB270_434 Depth=1
	s_or_b64 exec, exec, s[6:7]
	v_lshrrev_b16_e32 v0, 8, v0
	v_cmp_lt_i16_e64 s[0:1], s15, v0
	s_mov_b64 s[6:7], 0
                                        ; implicit-def: $sgpr28
	s_and_saveexec_b64 s[8:9], s[0:1]
	s_xor_b64 s[8:9], exec, s[8:9]
	s_cbranch_execnz .LBB270_819
; %bb.626:                              ;   in Loop: Header=BB270_434 Depth=1
	s_or_saveexec_b64 s[8:9], s[8:9]
	v_mov_b32_e32 v14, s28
	s_xor_b64 exec, exec, s[8:9]
	s_cbranch_execnz .LBB270_822
.LBB270_627:                            ;   in Loop: Header=BB270_434 Depth=1
	s_or_b64 exec, exec, s[8:9]
	s_and_saveexec_b64 s[8:9], s[6:7]
	s_cbranch_execz .LBB270_629
.LBB270_628:                            ;   in Loop: Header=BB270_434 Depth=1
	v_and_b32_e32 v14, 7, v0
	v_ffbh_u32_e32 v26, v14
	v_min_u32_e32 v28, 32, v26
	v_subrev_u32_e32 v26, 28, v28
	v_bfe_u32 v23, v0, 3, 4
	v_lshlrev_b64 v[26:27], v26, v[0:1]
	v_sub_u32_e32 v27, 29, v28
	v_cmp_eq_u32_e64 s[0:1], 0, v23
	v_and_b32_e32 v26, 7, v26
	v_lshlrev_b32_e32 v0, 8, v0
	v_cndmask_b32_e64 v23, v23, v27, s[0:1]
	v_lshl_add_u32 v23, v23, 10, v52
	v_cndmask_b32_e64 v14, v14, v26, s[0:1]
	v_and_or_b32 v0, v0, s23, v23
	v_lshl_or_b32 v0, v14, 7, v0
	v_cvt_f32_f16_e32 v14, v0
.LBB270_629:                            ;   in Loop: Header=BB270_434 Depth=1
	s_or_b64 exec, exec, s[8:9]
	v_lshrrev_b32_e32 v0, 16, v15
	v_cmp_gt_i16_sdwa s[6:7], v0, s15 src0_sel:BYTE_0 src1_sel:DWORD
	s_mov_b64 s[0:1], 0
                                        ; implicit-def: $sgpr20
	s_and_saveexec_b64 s[8:9], s[6:7]
	s_xor_b64 s[6:7], exec, s[8:9]
	s_cbranch_execnz .LBB270_823
; %bb.630:                              ;   in Loop: Header=BB270_434 Depth=1
	s_or_saveexec_b64 s[6:7], s[6:7]
	v_mov_b32_e32 v26, s20
	s_xor_b64 exec, exec, s[6:7]
	s_cbranch_execnz .LBB270_826
.LBB270_631:                            ;   in Loop: Header=BB270_434 Depth=1
	s_or_b64 exec, exec, s[6:7]
	s_and_saveexec_b64 s[6:7], s[0:1]
	s_cbranch_execz .LBB270_633
.LBB270_632:                            ;   in Loop: Header=BB270_434 Depth=1
	v_bfe_u32 v23, v15, 16, 3
	v_ffbh_u32_e32 v26, v23
	v_min_u32_e32 v33, 32, v26
	v_subrev_u32_e32 v26, 28, v33
	v_bfe_u32 v28, v15, 19, 4
	v_lshlrev_b64 v[26:27], v26, v[0:1]
	v_sub_u32_e32 v27, 29, v33
	v_cmp_eq_u32_e64 s[0:1], 0, v28
	v_and_b32_e32 v26, 7, v26
	v_lshlrev_b32_e32 v0, 8, v0
	v_cndmask_b32_e64 v27, v28, v27, s[0:1]
	v_cndmask_b32_e64 v23, v23, v26, s[0:1]
	v_lshl_add_u32 v26, v27, 10, v52
	v_and_or_b32 v0, v0, s23, v26
	v_lshl_or_b32 v0, v23, 7, v0
	v_cvt_f32_f16_e32 v26, v0
.LBB270_633:                            ;   in Loop: Header=BB270_434 Depth=1
	s_or_b64 exec, exec, s[6:7]
	v_lshrrev_b32_e32 v0, 24, v15
	v_cmp_lt_i16_e64 s[0:1], s15, v0
	s_mov_b64 s[6:7], 0
                                        ; implicit-def: $sgpr28
	s_and_saveexec_b64 s[8:9], s[0:1]
	s_xor_b64 s[8:9], exec, s[8:9]
	s_cbranch_execnz .LBB270_827
; %bb.634:                              ;   in Loop: Header=BB270_434 Depth=1
	s_or_saveexec_b64 s[8:9], s[8:9]
	v_mov_b32_e32 v27, s28
	s_xor_b64 exec, exec, s[8:9]
	s_cbranch_execnz .LBB270_830
.LBB270_635:                            ;   in Loop: Header=BB270_434 Depth=1
	s_or_b64 exec, exec, s[8:9]
	s_and_saveexec_b64 s[8:9], s[6:7]
	s_cbranch_execz .LBB270_637
.LBB270_636:                            ;   in Loop: Header=BB270_434 Depth=1
	v_bfe_u32 v23, v15, 24, 3
	v_ffbh_u32_e32 v27, v23
	v_bfe_u32 v15, v15, 27, 4
	v_min_u32_e32 v27, 32, v27
	v_subrev_u32_e32 v28, 28, v27
	v_sub_u32_e32 v27, 29, v27
	v_cmp_eq_u32_e64 s[0:1], 0, v15
	v_lshlrev_b64 v[36:37], v28, v[0:1]
	v_and_b32_e32 v28, 7, v36
	v_cndmask_b32_e64 v15, v15, v27, s[0:1]
	v_lshlrev_b32_e32 v0, 8, v0
	v_lshl_add_u32 v15, v15, 10, v52
	v_cndmask_b32_e64 v23, v23, v28, s[0:1]
	v_and_or_b32 v0, v0, s23, v15
	v_lshl_or_b32 v0, v23, 7, v0
	v_cvt_f32_f16_e32 v27, v0
.LBB270_637:                            ;   in Loop: Header=BB270_434 Depth=1
	s_or_b64 exec, exec, s[8:9]
	v_pk_mul_f32 v[30:31], v[12:13], v[30:31] op_sel_hi:[0,1]
	v_pk_mul_f32 v[24:25], v[12:13], v[24:25] op_sel_hi:[0,1]
	v_cvt_f16_f32_e32 v0, v31
	v_cvt_f16_f32_e32 v15, v30
	;; [unrolled: 1-line block ×4, first 2 shown]
	v_fma_mixlo_f16 v14, v12, v14, 0
	v_lshlrev_b32_e32 v14, 16, v14
	v_fma_mixlo_f16 v13, v12, v13, 0
	v_or_b32_sdwa v13, v14, v13 dst_sel:DWORD dst_unused:UNUSED_PAD src0_sel:DWORD src1_sel:WORD_0
	v_fma_mixlo_f16 v14, v12, v26, 0
	v_fma_mixlo_f16 v12, v12, v27, 0
	v_pack_b32_f16 v15, v15, v0
	v_pack_b32_f16 v23, v24, v23
	v_lshlrev_b32_e32 v12, 16, v12
	v_perm_b32 v0, v23, v15, s25
	v_perm_b32 v15, v23, v15, s26
	v_or_b32_sdwa v12, v12, v14 dst_sel:DWORD dst_unused:UNUSED_PAD src0_sel:DWORD src1_sel:WORD_0
	s_and_saveexec_b64 s[0:1], vcc
	s_cbranch_execz .LBB270_432
; %bb.638:                              ;   in Loop: Header=BB270_434 Depth=1
	v_lshrrev_b32_e32 v23, 16, v15
	v_cmp_lt_i32_e32 vcc, v46, v3
	v_accvgpr_read_b32 v24, a8
	v_lshrrev_b32_e32 v12, 16, v12
	v_cndmask_b32_e32 v23, 0, v23, vcc
	v_cmp_lt_i32_e32 vcc, v41, v24
	s_nop 1
	v_cndmask_b32_e32 v15, 0, v15, vcc
	v_perm_b32 v15, v23, v15, s27
	v_lshrrev_b32_e32 v23, 16, v0
	v_cmp_lt_i32_e32 vcc, v45, v3
	s_nop 1
	v_cndmask_b32_e32 v23, 0, v23, vcc
	v_cmp_lt_i32_e32 vcc, v44, v24
	s_nop 1
	v_cndmask_b32_e32 v0, 0, v0, vcc
	v_perm_b32 v0, v23, v0, s27
	v_lshrrev_b32_e32 v23, 16, v13
	v_cmp_lt_i32_e32 vcc, v43, v3
	s_nop 1
	v_cndmask_b32_e32 v23, 0, v23, vcc
	v_cmp_lt_i32_e32 vcc, v42, v24
	s_nop 1
	v_cndmask_b32_e32 v13, 0, v13, vcc
	v_cmp_lt_i32_e32 vcc, v40, v3
	v_perm_b32 v13, v23, v13, s27
	s_nop 0
	v_cndmask_b32_e32 v12, 0, v12, vcc
	v_cmp_lt_i32_e32 vcc, v55, v24
	s_nop 1
	v_cndmask_b32_e32 v14, 0, v14, vcc
	v_perm_b32 v12, v12, v14, s27
	s_branch .LBB270_432
.LBB270_639:                            ;   in Loop: Header=BB270_434 Depth=1
	v_cmp_eq_u16_sdwa s[28:29], v24, s22 src0_sel:BYTE_0 src1_sel:DWORD
	s_mov_b64 s[0:1], -1
                                        ; implicit-def: $sgpr20
	s_and_saveexec_b64 s[8:9], s[28:29]
; %bb.640:                              ;   in Loop: Header=BB270_434 Depth=1
	s_mov_b32 s20, 0x7fc02000
	s_xor_b64 s[0:1], exec, -1
; %bb.641:                              ;   in Loop: Header=BB270_434 Depth=1
	s_or_b64 exec, exec, s[8:9]
	s_and_b64 s[0:1], s[0:1], exec
	s_or_saveexec_b64 s[6:7], s[6:7]
	v_mov_b32_e32 v30, s20
	s_xor_b64 exec, exec, s[6:7]
	s_cbranch_execz .LBB270_437
.LBB270_642:                            ;   in Loop: Header=BB270_434 Depth=1
	v_cmp_ne_u16_sdwa s[8:9], v24, v1 src0_sel:BYTE_0 src1_sel:DWORD
	s_andn2_b64 s[0:1], s[0:1], exec
	s_and_b64 s[8:9], s[8:9], exec
	v_mov_b32_e32 v30, 0
	s_or_b64 s[0:1], s[0:1], s[8:9]
	s_or_b64 exec, exec, s[6:7]
	s_and_saveexec_b64 s[6:7], s[0:1]
	s_cbranch_execnz .LBB270_438
	s_branch .LBB270_439
.LBB270_643:                            ;   in Loop: Header=BB270_434 Depth=1
	v_cmp_eq_u16_e32 vcc, s22, v0
	s_mov_b64 s[0:1], -1
                                        ; implicit-def: $sgpr20
	s_and_saveexec_b64 s[8:9], vcc
; %bb.644:                              ;   in Loop: Header=BB270_434 Depth=1
	s_mov_b32 s20, 0x7fc02000
	s_xor_b64 s[0:1], exec, -1
; %bb.645:                              ;   in Loop: Header=BB270_434 Depth=1
	s_or_b64 exec, exec, s[8:9]
	s_and_b64 s[0:1], s[0:1], exec
	s_or_saveexec_b64 s[6:7], s[6:7]
	v_mov_b32_e32 v36, s20
	s_xor_b64 exec, exec, s[6:7]
	s_cbranch_execz .LBB270_441
.LBB270_646:                            ;   in Loop: Header=BB270_434 Depth=1
	v_cmp_ne_u16_e32 vcc, 0, v0
	s_andn2_b64 s[0:1], s[0:1], exec
	s_and_b64 s[8:9], vcc, exec
	v_mov_b32_e32 v36, 0
	s_or_b64 s[0:1], s[0:1], s[8:9]
	s_or_b64 exec, exec, s[6:7]
	s_and_saveexec_b64 s[6:7], s[0:1]
	s_cbranch_execnz .LBB270_442
	s_branch .LBB270_443
.LBB270_647:                            ;   in Loop: Header=BB270_434 Depth=1
	v_cmp_eq_u16_sdwa s[28:29], v0, s22 src0_sel:BYTE_0 src1_sel:DWORD
	s_mov_b64 s[0:1], -1
                                        ; implicit-def: $sgpr20
	s_and_saveexec_b64 s[8:9], s[28:29]
; %bb.648:                              ;   in Loop: Header=BB270_434 Depth=1
	s_mov_b32 s20, 0x7fc02000
	s_xor_b64 s[0:1], exec, -1
; %bb.649:                              ;   in Loop: Header=BB270_434 Depth=1
	s_or_b64 exec, exec, s[8:9]
	s_and_b64 s[0:1], s[0:1], exec
	s_or_saveexec_b64 s[6:7], s[6:7]
	v_mov_b32_e32 v31, s20
	s_xor_b64 exec, exec, s[6:7]
	s_cbranch_execz .LBB270_445
.LBB270_650:                            ;   in Loop: Header=BB270_434 Depth=1
	v_cmp_ne_u16_sdwa s[8:9], v0, v1 src0_sel:BYTE_0 src1_sel:DWORD
	s_andn2_b64 s[0:1], s[0:1], exec
	s_and_b64 s[8:9], s[8:9], exec
	v_mov_b32_e32 v31, 0
	s_or_b64 s[0:1], s[0:1], s[8:9]
	s_or_b64 exec, exec, s[6:7]
	s_and_saveexec_b64 s[6:7], s[0:1]
	s_cbranch_execnz .LBB270_446
	s_branch .LBB270_447
.LBB270_651:                            ;   in Loop: Header=BB270_434 Depth=1
	v_cmp_eq_u16_e32 vcc, s22, v0
	s_mov_b64 s[0:1], -1
                                        ; implicit-def: $sgpr20
	s_and_saveexec_b64 s[8:9], vcc
; %bb.652:                              ;   in Loop: Header=BB270_434 Depth=1
	s_mov_b32 s20, 0x7fc02000
	s_xor_b64 s[0:1], exec, -1
; %bb.653:                              ;   in Loop: Header=BB270_434 Depth=1
	s_or_b64 exec, exec, s[8:9]
	s_and_b64 s[0:1], s[0:1], exec
	s_or_saveexec_b64 s[6:7], s[6:7]
	v_mov_b32_e32 v37, s20
	s_xor_b64 exec, exec, s[6:7]
	s_cbranch_execz .LBB270_449
.LBB270_654:                            ;   in Loop: Header=BB270_434 Depth=1
	v_cmp_ne_u16_e32 vcc, 0, v0
	s_andn2_b64 s[0:1], s[0:1], exec
	s_and_b64 s[8:9], vcc, exec
	v_mov_b32_e32 v37, 0
	s_or_b64 s[0:1], s[0:1], s[8:9]
	s_or_b64 exec, exec, s[6:7]
	s_and_saveexec_b64 s[6:7], s[0:1]
	s_cbranch_execnz .LBB270_450
	s_branch .LBB270_451
.LBB270_655:                            ;   in Loop: Header=BB270_434 Depth=1
	v_cmp_eq_u16_sdwa s[28:29], v25, s22 src0_sel:BYTE_0 src1_sel:DWORD
	s_mov_b64 s[0:1], -1
                                        ; implicit-def: $sgpr20
	s_and_saveexec_b64 s[8:9], s[28:29]
; %bb.656:                              ;   in Loop: Header=BB270_434 Depth=1
	s_mov_b32 s20, 0x7fc02000
	s_xor_b64 s[0:1], exec, -1
; %bb.657:                              ;   in Loop: Header=BB270_434 Depth=1
	s_or_b64 exec, exec, s[8:9]
	s_and_b64 s[0:1], s[0:1], exec
	s_or_saveexec_b64 s[6:7], s[6:7]
	v_mov_b32_e32 v24, s20
	s_xor_b64 exec, exec, s[6:7]
	s_cbranch_execz .LBB270_453
.LBB270_658:                            ;   in Loop: Header=BB270_434 Depth=1
	v_cmp_ne_u16_sdwa s[8:9], v25, v1 src0_sel:BYTE_0 src1_sel:DWORD
	s_andn2_b64 s[0:1], s[0:1], exec
	s_and_b64 s[8:9], s[8:9], exec
	v_mov_b32_e32 v24, 0
	s_or_b64 s[0:1], s[0:1], s[8:9]
	s_or_b64 exec, exec, s[6:7]
	v_mov_b32_e32 v0, v25
	s_and_saveexec_b64 s[6:7], s[0:1]
	s_cbranch_execnz .LBB270_454
	s_branch .LBB270_455
.LBB270_659:                            ;   in Loop: Header=BB270_434 Depth=1
	v_cmp_eq_u16_e32 vcc, s22, v0
	s_mov_b64 s[0:1], -1
                                        ; implicit-def: $sgpr20
	s_and_saveexec_b64 s[8:9], vcc
; %bb.660:                              ;   in Loop: Header=BB270_434 Depth=1
	s_mov_b32 s20, 0x7fc02000
	s_xor_b64 s[0:1], exec, -1
; %bb.661:                              ;   in Loop: Header=BB270_434 Depth=1
	s_or_b64 exec, exec, s[8:9]
	s_and_b64 s[0:1], s[0:1], exec
	s_or_saveexec_b64 s[6:7], s[6:7]
	v_mov_b32_e32 v26, s20
	s_xor_b64 exec, exec, s[6:7]
	s_cbranch_execz .LBB270_457
.LBB270_662:                            ;   in Loop: Header=BB270_434 Depth=1
	v_cmp_ne_u16_e32 vcc, 0, v0
	s_andn2_b64 s[0:1], s[0:1], exec
	s_and_b64 s[8:9], vcc, exec
	v_mov_b32_e32 v26, 0
	s_or_b64 s[0:1], s[0:1], s[8:9]
	s_or_b64 exec, exec, s[6:7]
	s_and_saveexec_b64 s[6:7], s[0:1]
	s_cbranch_execnz .LBB270_458
	s_branch .LBB270_459
.LBB270_663:                            ;   in Loop: Header=BB270_434 Depth=1
	v_cmp_eq_u16_sdwa s[28:29], v0, s22 src0_sel:BYTE_0 src1_sel:DWORD
	s_mov_b64 s[0:1], -1
                                        ; implicit-def: $sgpr20
	s_and_saveexec_b64 s[8:9], s[28:29]
; %bb.664:                              ;   in Loop: Header=BB270_434 Depth=1
	s_mov_b32 s20, 0x7fc02000
	s_xor_b64 s[0:1], exec, -1
; %bb.665:                              ;   in Loop: Header=BB270_434 Depth=1
	s_or_b64 exec, exec, s[8:9]
	s_and_b64 s[0:1], s[0:1], exec
	s_or_saveexec_b64 s[6:7], s[6:7]
	v_mov_b32_e32 v27, s20
	s_xor_b64 exec, exec, s[6:7]
	s_cbranch_execz .LBB270_461
.LBB270_666:                            ;   in Loop: Header=BB270_434 Depth=1
	v_cmp_ne_u16_sdwa s[8:9], v0, v1 src0_sel:BYTE_0 src1_sel:DWORD
	s_andn2_b64 s[0:1], s[0:1], exec
	s_and_b64 s[8:9], s[8:9], exec
	v_mov_b32_e32 v27, 0
	s_or_b64 s[0:1], s[0:1], s[8:9]
	s_or_b64 exec, exec, s[6:7]
	s_and_saveexec_b64 s[6:7], s[0:1]
	s_cbranch_execnz .LBB270_462
	s_branch .LBB270_463
.LBB270_667:                            ;   in Loop: Header=BB270_434 Depth=1
	v_cmp_eq_u16_e32 vcc, s22, v0
	s_mov_b64 s[0:1], -1
                                        ; implicit-def: $sgpr20
	s_and_saveexec_b64 s[8:9], vcc
; %bb.668:                              ;   in Loop: Header=BB270_434 Depth=1
	s_mov_b32 s20, 0x7fc02000
	s_xor_b64 s[0:1], exec, -1
; %bb.669:                              ;   in Loop: Header=BB270_434 Depth=1
	s_or_b64 exec, exec, s[8:9]
	s_and_b64 s[0:1], s[0:1], exec
	s_or_saveexec_b64 s[6:7], s[6:7]
	v_mov_b32_e32 v33, s20
	s_xor_b64 exec, exec, s[6:7]
	s_cbranch_execz .LBB270_465
.LBB270_670:                            ;   in Loop: Header=BB270_434 Depth=1
	v_cmp_ne_u16_e32 vcc, 0, v0
	s_andn2_b64 s[0:1], s[0:1], exec
	s_and_b64 s[8:9], vcc, exec
	v_mov_b32_e32 v33, 0
	s_or_b64 s[0:1], s[0:1], s[8:9]
	s_or_b64 exec, exec, s[6:7]
	s_and_saveexec_b64 s[6:7], s[0:1]
	s_cbranch_execnz .LBB270_466
	s_branch .LBB270_467
.LBB270_671:                            ;   in Loop: Header=BB270_434 Depth=1
	v_cmp_eq_u16_sdwa s[28:29], v24, s22 src0_sel:BYTE_0 src1_sel:DWORD
	s_mov_b64 s[0:1], -1
                                        ; implicit-def: $sgpr20
	s_and_saveexec_b64 s[8:9], s[28:29]
; %bb.672:                              ;   in Loop: Header=BB270_434 Depth=1
	s_mov_b32 s20, 0x7fc02000
	s_xor_b64 s[0:1], exec, -1
; %bb.673:                              ;   in Loop: Header=BB270_434 Depth=1
	s_or_b64 exec, exec, s[8:9]
	s_and_b64 s[0:1], s[0:1], exec
	s_or_saveexec_b64 s[6:7], s[6:7]
	v_mov_b32_e32 v30, s20
	s_xor_b64 exec, exec, s[6:7]
	s_cbranch_execz .LBB270_471
.LBB270_674:                            ;   in Loop: Header=BB270_434 Depth=1
	v_cmp_ne_u16_sdwa s[8:9], v24, v1 src0_sel:BYTE_0 src1_sel:DWORD
	s_andn2_b64 s[0:1], s[0:1], exec
	s_and_b64 s[8:9], s[8:9], exec
	v_mov_b32_e32 v30, 0
	s_or_b64 s[0:1], s[0:1], s[8:9]
	s_or_b64 exec, exec, s[6:7]
	s_and_saveexec_b64 s[6:7], s[0:1]
	s_cbranch_execnz .LBB270_472
	s_branch .LBB270_473
.LBB270_675:                            ;   in Loop: Header=BB270_434 Depth=1
	v_cmp_eq_u16_e64 s[0:1], s22, v0
	s_mov_b64 s[6:7], -1
                                        ; implicit-def: $sgpr28
	s_and_saveexec_b64 s[20:21], s[0:1]
; %bb.676:                              ;   in Loop: Header=BB270_434 Depth=1
	s_mov_b32 s28, 0x7fc02000
	s_xor_b64 s[6:7], exec, -1
; %bb.677:                              ;   in Loop: Header=BB270_434 Depth=1
	s_or_b64 exec, exec, s[20:21]
	s_and_b64 s[6:7], s[6:7], exec
	s_or_saveexec_b64 s[8:9], s[8:9]
	v_mov_b32_e32 v36, s28
	s_xor_b64 exec, exec, s[8:9]
	s_cbranch_execz .LBB270_475
.LBB270_678:                            ;   in Loop: Header=BB270_434 Depth=1
	v_cmp_ne_u16_e64 s[0:1], 0, v0
	s_andn2_b64 s[6:7], s[6:7], exec
	s_and_b64 s[0:1], s[0:1], exec
	v_mov_b32_e32 v36, 0
	s_or_b64 s[6:7], s[6:7], s[0:1]
	s_or_b64 exec, exec, s[8:9]
	s_and_saveexec_b64 s[8:9], s[6:7]
	s_cbranch_execnz .LBB270_476
	s_branch .LBB270_477
.LBB270_679:                            ;   in Loop: Header=BB270_434 Depth=1
	v_cmp_eq_u16_sdwa s[28:29], v0, s22 src0_sel:BYTE_0 src1_sel:DWORD
	s_mov_b64 s[0:1], -1
                                        ; implicit-def: $sgpr20
	s_and_saveexec_b64 s[8:9], s[28:29]
; %bb.680:                              ;   in Loop: Header=BB270_434 Depth=1
	s_mov_b32 s20, 0x7fc02000
	s_xor_b64 s[0:1], exec, -1
; %bb.681:                              ;   in Loop: Header=BB270_434 Depth=1
	s_or_b64 exec, exec, s[8:9]
	s_and_b64 s[0:1], s[0:1], exec
	s_or_saveexec_b64 s[6:7], s[6:7]
	v_mov_b32_e32 v31, s20
	s_xor_b64 exec, exec, s[6:7]
	s_cbranch_execz .LBB270_479
.LBB270_682:                            ;   in Loop: Header=BB270_434 Depth=1
	v_cmp_ne_u16_sdwa s[8:9], v0, v1 src0_sel:BYTE_0 src1_sel:DWORD
	s_andn2_b64 s[0:1], s[0:1], exec
	s_and_b64 s[8:9], s[8:9], exec
	v_mov_b32_e32 v31, 0
	s_or_b64 s[0:1], s[0:1], s[8:9]
	s_or_b64 exec, exec, s[6:7]
	s_and_saveexec_b64 s[6:7], s[0:1]
	s_cbranch_execnz .LBB270_480
	s_branch .LBB270_481
.LBB270_683:                            ;   in Loop: Header=BB270_434 Depth=1
	v_cmp_eq_u16_e64 s[0:1], s22, v0
	s_mov_b64 s[6:7], -1
                                        ; implicit-def: $sgpr28
	s_and_saveexec_b64 s[20:21], s[0:1]
; %bb.684:                              ;   in Loop: Header=BB270_434 Depth=1
	s_mov_b32 s28, 0x7fc02000
	s_xor_b64 s[6:7], exec, -1
; %bb.685:                              ;   in Loop: Header=BB270_434 Depth=1
	s_or_b64 exec, exec, s[20:21]
	s_and_b64 s[6:7], s[6:7], exec
	s_or_saveexec_b64 s[8:9], s[8:9]
	v_mov_b32_e32 v37, s28
	s_xor_b64 exec, exec, s[8:9]
	s_cbranch_execz .LBB270_483
.LBB270_686:                            ;   in Loop: Header=BB270_434 Depth=1
	v_cmp_ne_u16_e64 s[0:1], 0, v0
	s_andn2_b64 s[6:7], s[6:7], exec
	s_and_b64 s[0:1], s[0:1], exec
	v_mov_b32_e32 v37, 0
	s_or_b64 s[6:7], s[6:7], s[0:1]
	s_or_b64 exec, exec, s[8:9]
	s_and_saveexec_b64 s[8:9], s[6:7]
	s_cbranch_execnz .LBB270_484
	s_branch .LBB270_485
.LBB270_687:                            ;   in Loop: Header=BB270_434 Depth=1
	v_cmp_eq_u16_sdwa s[28:29], v25, s22 src0_sel:BYTE_0 src1_sel:DWORD
	s_mov_b64 s[0:1], -1
                                        ; implicit-def: $sgpr20
	s_and_saveexec_b64 s[8:9], s[28:29]
; %bb.688:                              ;   in Loop: Header=BB270_434 Depth=1
	s_mov_b32 s20, 0x7fc02000
	s_xor_b64 s[0:1], exec, -1
; %bb.689:                              ;   in Loop: Header=BB270_434 Depth=1
	s_or_b64 exec, exec, s[8:9]
	s_and_b64 s[0:1], s[0:1], exec
	s_or_saveexec_b64 s[6:7], s[6:7]
	v_mov_b32_e32 v4, s20
	s_xor_b64 exec, exec, s[6:7]
	s_cbranch_execz .LBB270_487
.LBB270_690:                            ;   in Loop: Header=BB270_434 Depth=1
	v_cmp_ne_u16_sdwa s[8:9], v25, v1 src0_sel:BYTE_0 src1_sel:DWORD
	s_andn2_b64 s[0:1], s[0:1], exec
	s_and_b64 s[8:9], s[8:9], exec
	v_mov_b32_e32 v4, 0
	s_or_b64 s[0:1], s[0:1], s[8:9]
	s_or_b64 exec, exec, s[6:7]
	v_mov_b32_e32 v0, v25
	s_and_saveexec_b64 s[6:7], s[0:1]
	s_cbranch_execnz .LBB270_488
	s_branch .LBB270_489
.LBB270_691:                            ;   in Loop: Header=BB270_434 Depth=1
	v_cmp_eq_u16_e64 s[0:1], s22, v0
	s_mov_b64 s[6:7], -1
                                        ; implicit-def: $sgpr28
	s_and_saveexec_b64 s[20:21], s[0:1]
; %bb.692:                              ;   in Loop: Header=BB270_434 Depth=1
	s_mov_b32 s28, 0x7fc02000
	s_xor_b64 s[6:7], exec, -1
; %bb.693:                              ;   in Loop: Header=BB270_434 Depth=1
	s_or_b64 exec, exec, s[20:21]
	s_and_b64 s[6:7], s[6:7], exec
	s_or_saveexec_b64 s[8:9], s[8:9]
	v_mov_b32_e32 v5, s28
	s_xor_b64 exec, exec, s[8:9]
	s_cbranch_execz .LBB270_491
.LBB270_694:                            ;   in Loop: Header=BB270_434 Depth=1
	v_cmp_ne_u16_e64 s[0:1], 0, v0
	s_andn2_b64 s[6:7], s[6:7], exec
	s_and_b64 s[0:1], s[0:1], exec
	v_mov_b32_e32 v5, 0
	s_or_b64 s[6:7], s[6:7], s[0:1]
	s_or_b64 exec, exec, s[8:9]
	s_and_saveexec_b64 s[8:9], s[6:7]
	s_cbranch_execnz .LBB270_492
	s_branch .LBB270_493
.LBB270_695:                            ;   in Loop: Header=BB270_434 Depth=1
	v_cmp_eq_u16_sdwa s[28:29], v0, s22 src0_sel:BYTE_0 src1_sel:DWORD
	s_mov_b64 s[0:1], -1
                                        ; implicit-def: $sgpr20
	s_and_saveexec_b64 s[8:9], s[28:29]
; %bb.696:                              ;   in Loop: Header=BB270_434 Depth=1
	s_mov_b32 s20, 0x7fc02000
	s_xor_b64 s[0:1], exec, -1
; %bb.697:                              ;   in Loop: Header=BB270_434 Depth=1
	s_or_b64 exec, exec, s[8:9]
	s_and_b64 s[0:1], s[0:1], exec
	s_or_saveexec_b64 s[6:7], s[6:7]
	v_mov_b32_e32 v6, s20
	s_xor_b64 exec, exec, s[6:7]
	s_cbranch_execz .LBB270_495
.LBB270_698:                            ;   in Loop: Header=BB270_434 Depth=1
	v_cmp_ne_u16_sdwa s[8:9], v0, v1 src0_sel:BYTE_0 src1_sel:DWORD
	s_andn2_b64 s[0:1], s[0:1], exec
	s_and_b64 s[8:9], s[8:9], exec
	v_mov_b32_e32 v6, 0
	s_or_b64 s[0:1], s[0:1], s[8:9]
	s_or_b64 exec, exec, s[6:7]
	s_and_saveexec_b64 s[6:7], s[0:1]
	s_cbranch_execnz .LBB270_496
	s_branch .LBB270_497
.LBB270_699:                            ;   in Loop: Header=BB270_434 Depth=1
	v_cmp_eq_u16_e64 s[0:1], s22, v0
	s_mov_b64 s[6:7], -1
                                        ; implicit-def: $sgpr28
	s_and_saveexec_b64 s[20:21], s[0:1]
; %bb.700:                              ;   in Loop: Header=BB270_434 Depth=1
	s_mov_b32 s28, 0x7fc02000
	s_xor_b64 s[6:7], exec, -1
; %bb.701:                              ;   in Loop: Header=BB270_434 Depth=1
	s_or_b64 exec, exec, s[20:21]
	s_and_b64 s[6:7], s[6:7], exec
	s_or_saveexec_b64 s[8:9], s[8:9]
	v_mov_b32_e32 v15, s28
	s_xor_b64 exec, exec, s[8:9]
	s_cbranch_execz .LBB270_499
.LBB270_702:                            ;   in Loop: Header=BB270_434 Depth=1
	v_cmp_ne_u16_e64 s[0:1], 0, v0
	s_andn2_b64 s[6:7], s[6:7], exec
	s_and_b64 s[0:1], s[0:1], exec
	v_mov_b32_e32 v15, 0
	s_or_b64 s[6:7], s[6:7], s[0:1]
	s_or_b64 exec, exec, s[8:9]
	s_and_saveexec_b64 s[8:9], s[6:7]
	s_cbranch_execnz .LBB270_500
	s_branch .LBB270_501
.LBB270_703:                            ;   in Loop: Header=BB270_434 Depth=1
	v_cmp_eq_u16_sdwa s[28:29], v24, s22 src0_sel:BYTE_0 src1_sel:DWORD
	s_mov_b64 s[0:1], -1
                                        ; implicit-def: $sgpr20
	s_and_saveexec_b64 s[8:9], s[28:29]
; %bb.704:                              ;   in Loop: Header=BB270_434 Depth=1
	s_mov_b32 s20, 0x7fc02000
	s_xor_b64 s[0:1], exec, -1
; %bb.705:                              ;   in Loop: Header=BB270_434 Depth=1
	s_or_b64 exec, exec, s[8:9]
	s_and_b64 s[0:1], s[0:1], exec
	s_or_saveexec_b64 s[6:7], s[6:7]
	v_mov_b32_e32 v30, s20
	s_xor_b64 exec, exec, s[6:7]
	s_cbranch_execz .LBB270_505
.LBB270_706:                            ;   in Loop: Header=BB270_434 Depth=1
	v_cmp_ne_u16_sdwa s[8:9], v24, v1 src0_sel:BYTE_0 src1_sel:DWORD
	s_andn2_b64 s[0:1], s[0:1], exec
	s_and_b64 s[8:9], s[8:9], exec
	v_mov_b32_e32 v30, 0
	s_or_b64 s[0:1], s[0:1], s[8:9]
	s_or_b64 exec, exec, s[6:7]
	s_and_saveexec_b64 s[6:7], s[0:1]
	s_cbranch_execnz .LBB270_506
	s_branch .LBB270_507
.LBB270_707:                            ;   in Loop: Header=BB270_434 Depth=1
	v_cmp_eq_u16_e64 s[0:1], s22, v0
	s_mov_b64 s[6:7], -1
                                        ; implicit-def: $sgpr28
	s_and_saveexec_b64 s[20:21], s[0:1]
; %bb.708:                              ;   in Loop: Header=BB270_434 Depth=1
	s_mov_b32 s28, 0x7fc02000
	s_xor_b64 s[6:7], exec, -1
; %bb.709:                              ;   in Loop: Header=BB270_434 Depth=1
	s_or_b64 exec, exec, s[20:21]
	s_and_b64 s[6:7], s[6:7], exec
	s_or_saveexec_b64 s[8:9], s[8:9]
	v_mov_b32_e32 v36, s28
	s_xor_b64 exec, exec, s[8:9]
	s_cbranch_execz .LBB270_509
.LBB270_710:                            ;   in Loop: Header=BB270_434 Depth=1
	v_cmp_ne_u16_e64 s[0:1], 0, v0
	s_andn2_b64 s[6:7], s[6:7], exec
	s_and_b64 s[0:1], s[0:1], exec
	v_mov_b32_e32 v36, 0
	s_or_b64 s[6:7], s[6:7], s[0:1]
	s_or_b64 exec, exec, s[8:9]
	s_and_saveexec_b64 s[8:9], s[6:7]
	s_cbranch_execnz .LBB270_510
	s_branch .LBB270_511
.LBB270_711:                            ;   in Loop: Header=BB270_434 Depth=1
	v_cmp_eq_u16_sdwa s[28:29], v0, s22 src0_sel:BYTE_0 src1_sel:DWORD
	s_mov_b64 s[0:1], -1
                                        ; implicit-def: $sgpr20
	s_and_saveexec_b64 s[8:9], s[28:29]
; %bb.712:                              ;   in Loop: Header=BB270_434 Depth=1
	s_mov_b32 s20, 0x7fc02000
	s_xor_b64 s[0:1], exec, -1
; %bb.713:                              ;   in Loop: Header=BB270_434 Depth=1
	s_or_b64 exec, exec, s[8:9]
	s_and_b64 s[0:1], s[0:1], exec
	s_or_saveexec_b64 s[6:7], s[6:7]
	v_mov_b32_e32 v31, s20
	s_xor_b64 exec, exec, s[6:7]
	s_cbranch_execz .LBB270_513
.LBB270_714:                            ;   in Loop: Header=BB270_434 Depth=1
	v_cmp_ne_u16_sdwa s[8:9], v0, v1 src0_sel:BYTE_0 src1_sel:DWORD
	s_andn2_b64 s[0:1], s[0:1], exec
	s_and_b64 s[8:9], s[8:9], exec
	v_mov_b32_e32 v31, 0
	s_or_b64 s[0:1], s[0:1], s[8:9]
	s_or_b64 exec, exec, s[6:7]
	s_and_saveexec_b64 s[6:7], s[0:1]
	s_cbranch_execnz .LBB270_514
	s_branch .LBB270_515
.LBB270_715:                            ;   in Loop: Header=BB270_434 Depth=1
	v_cmp_eq_u16_e64 s[0:1], s22, v0
	s_mov_b64 s[6:7], -1
                                        ; implicit-def: $sgpr28
	s_and_saveexec_b64 s[20:21], s[0:1]
; %bb.716:                              ;   in Loop: Header=BB270_434 Depth=1
	s_mov_b32 s28, 0x7fc02000
	s_xor_b64 s[6:7], exec, -1
; %bb.717:                              ;   in Loop: Header=BB270_434 Depth=1
	s_or_b64 exec, exec, s[20:21]
	s_and_b64 s[6:7], s[6:7], exec
	s_or_saveexec_b64 s[8:9], s[8:9]
	v_mov_b32_e32 v37, s28
	s_xor_b64 exec, exec, s[8:9]
	s_cbranch_execz .LBB270_517
.LBB270_718:                            ;   in Loop: Header=BB270_434 Depth=1
	v_cmp_ne_u16_e64 s[0:1], 0, v0
	s_andn2_b64 s[6:7], s[6:7], exec
	s_and_b64 s[0:1], s[0:1], exec
	v_mov_b32_e32 v37, 0
	s_or_b64 s[6:7], s[6:7], s[0:1]
	s_or_b64 exec, exec, s[8:9]
	s_and_saveexec_b64 s[8:9], s[6:7]
	s_cbranch_execnz .LBB270_518
	s_branch .LBB270_519
.LBB270_719:                            ;   in Loop: Header=BB270_434 Depth=1
	v_cmp_eq_u16_sdwa s[28:29], v25, s22 src0_sel:BYTE_0 src1_sel:DWORD
	s_mov_b64 s[0:1], -1
                                        ; implicit-def: $sgpr20
	s_and_saveexec_b64 s[8:9], s[28:29]
; %bb.720:                              ;   in Loop: Header=BB270_434 Depth=1
	s_mov_b32 s20, 0x7fc02000
	s_xor_b64 s[0:1], exec, -1
; %bb.721:                              ;   in Loop: Header=BB270_434 Depth=1
	s_or_b64 exec, exec, s[8:9]
	s_and_b64 s[0:1], s[0:1], exec
	s_or_saveexec_b64 s[6:7], s[6:7]
	v_mov_b32_e32 v6, s20
	s_xor_b64 exec, exec, s[6:7]
	s_cbranch_execz .LBB270_521
.LBB270_722:                            ;   in Loop: Header=BB270_434 Depth=1
	v_cmp_ne_u16_sdwa s[8:9], v25, v1 src0_sel:BYTE_0 src1_sel:DWORD
	s_andn2_b64 s[0:1], s[0:1], exec
	s_and_b64 s[8:9], s[8:9], exec
	v_mov_b32_e32 v6, 0
	s_or_b64 s[0:1], s[0:1], s[8:9]
	s_or_b64 exec, exec, s[6:7]
	v_mov_b32_e32 v0, v25
	s_and_saveexec_b64 s[6:7], s[0:1]
	s_cbranch_execnz .LBB270_522
	s_branch .LBB270_523
.LBB270_723:                            ;   in Loop: Header=BB270_434 Depth=1
	v_cmp_eq_u16_e64 s[0:1], s22, v0
	s_mov_b64 s[6:7], -1
                                        ; implicit-def: $sgpr28
	s_and_saveexec_b64 s[20:21], s[0:1]
; %bb.724:                              ;   in Loop: Header=BB270_434 Depth=1
	s_mov_b32 s28, 0x7fc02000
	s_xor_b64 s[6:7], exec, -1
; %bb.725:                              ;   in Loop: Header=BB270_434 Depth=1
	s_or_b64 exec, exec, s[20:21]
	s_and_b64 s[6:7], s[6:7], exec
	s_or_saveexec_b64 s[8:9], s[8:9]
	v_mov_b32_e32 v7, s28
	s_xor_b64 exec, exec, s[8:9]
	s_cbranch_execz .LBB270_525
.LBB270_726:                            ;   in Loop: Header=BB270_434 Depth=1
	v_cmp_ne_u16_e64 s[0:1], 0, v0
	s_andn2_b64 s[6:7], s[6:7], exec
	s_and_b64 s[0:1], s[0:1], exec
	v_mov_b32_e32 v7, 0
	s_or_b64 s[6:7], s[6:7], s[0:1]
	s_or_b64 exec, exec, s[8:9]
	s_and_saveexec_b64 s[8:9], s[6:7]
	s_cbranch_execnz .LBB270_526
	s_branch .LBB270_527
.LBB270_727:                            ;   in Loop: Header=BB270_434 Depth=1
	v_cmp_eq_u16_sdwa s[28:29], v0, s22 src0_sel:BYTE_0 src1_sel:DWORD
	s_mov_b64 s[0:1], -1
                                        ; implicit-def: $sgpr20
	s_and_saveexec_b64 s[8:9], s[28:29]
; %bb.728:                              ;   in Loop: Header=BB270_434 Depth=1
	s_mov_b32 s20, 0x7fc02000
	s_xor_b64 s[0:1], exec, -1
; %bb.729:                              ;   in Loop: Header=BB270_434 Depth=1
	s_or_b64 exec, exec, s[8:9]
	s_and_b64 s[0:1], s[0:1], exec
	s_or_saveexec_b64 s[6:7], s[6:7]
	v_mov_b32_e32 v15, s20
	s_xor_b64 exec, exec, s[6:7]
	s_cbranch_execz .LBB270_529
.LBB270_730:                            ;   in Loop: Header=BB270_434 Depth=1
	v_cmp_ne_u16_sdwa s[8:9], v0, v1 src0_sel:BYTE_0 src1_sel:DWORD
	s_andn2_b64 s[0:1], s[0:1], exec
	s_and_b64 s[8:9], s[8:9], exec
	v_mov_b32_e32 v15, 0
	s_or_b64 s[0:1], s[0:1], s[8:9]
	s_or_b64 exec, exec, s[6:7]
	s_and_saveexec_b64 s[6:7], s[0:1]
	s_cbranch_execnz .LBB270_530
	s_branch .LBB270_531
.LBB270_731:                            ;   in Loop: Header=BB270_434 Depth=1
	v_cmp_eq_u16_e64 s[0:1], s22, v0
	s_mov_b64 s[6:7], -1
                                        ; implicit-def: $sgpr28
	s_and_saveexec_b64 s[20:21], s[0:1]
; %bb.732:                              ;   in Loop: Header=BB270_434 Depth=1
	s_mov_b32 s28, 0x7fc02000
	s_xor_b64 s[6:7], exec, -1
; %bb.733:                              ;   in Loop: Header=BB270_434 Depth=1
	s_or_b64 exec, exec, s[20:21]
	s_and_b64 s[6:7], s[6:7], exec
	s_or_saveexec_b64 s[8:9], s[8:9]
	v_mov_b32_e32 v24, s28
	s_xor_b64 exec, exec, s[8:9]
	s_cbranch_execz .LBB270_533
.LBB270_734:                            ;   in Loop: Header=BB270_434 Depth=1
	v_cmp_ne_u16_e64 s[0:1], 0, v0
	s_andn2_b64 s[6:7], s[6:7], exec
	s_and_b64 s[0:1], s[0:1], exec
	v_mov_b32_e32 v24, 0
	s_or_b64 s[6:7], s[6:7], s[0:1]
	s_or_b64 exec, exec, s[8:9]
	s_and_saveexec_b64 s[8:9], s[6:7]
	s_cbranch_execnz .LBB270_534
	s_branch .LBB270_535
.LBB270_735:                            ;   in Loop: Header=BB270_434 Depth=1
	v_cmp_eq_u16_sdwa s[28:29], v24, s22 src0_sel:BYTE_0 src1_sel:DWORD
	s_mov_b64 s[0:1], -1
                                        ; implicit-def: $sgpr20
	s_and_saveexec_b64 s[8:9], s[28:29]
; %bb.736:                              ;   in Loop: Header=BB270_434 Depth=1
	s_mov_b32 s20, 0x7fc02000
	s_xor_b64 s[0:1], exec, -1
; %bb.737:                              ;   in Loop: Header=BB270_434 Depth=1
	s_or_b64 exec, exec, s[8:9]
	s_and_b64 s[0:1], s[0:1], exec
	s_or_saveexec_b64 s[6:7], s[6:7]
	v_mov_b32_e32 v30, s20
	s_xor_b64 exec, exec, s[6:7]
	s_cbranch_execz .LBB270_539
.LBB270_738:                            ;   in Loop: Header=BB270_434 Depth=1
	v_cmp_ne_u16_sdwa s[8:9], v24, v1 src0_sel:BYTE_0 src1_sel:DWORD
	s_andn2_b64 s[0:1], s[0:1], exec
	s_and_b64 s[8:9], s[8:9], exec
	v_mov_b32_e32 v30, 0
	s_or_b64 s[0:1], s[0:1], s[8:9]
	s_or_b64 exec, exec, s[6:7]
	s_and_saveexec_b64 s[6:7], s[0:1]
	s_cbranch_execnz .LBB270_540
	s_branch .LBB270_541
.LBB270_739:                            ;   in Loop: Header=BB270_434 Depth=1
	v_cmp_eq_u16_e64 s[0:1], s22, v0
	s_mov_b64 s[6:7], -1
                                        ; implicit-def: $sgpr28
	s_and_saveexec_b64 s[20:21], s[0:1]
; %bb.740:                              ;   in Loop: Header=BB270_434 Depth=1
	s_mov_b32 s28, 0x7fc02000
	s_xor_b64 s[6:7], exec, -1
; %bb.741:                              ;   in Loop: Header=BB270_434 Depth=1
	s_or_b64 exec, exec, s[20:21]
	s_and_b64 s[6:7], s[6:7], exec
	s_or_saveexec_b64 s[8:9], s[8:9]
	v_mov_b32_e32 v36, s28
	s_xor_b64 exec, exec, s[8:9]
	s_cbranch_execz .LBB270_543
.LBB270_742:                            ;   in Loop: Header=BB270_434 Depth=1
	v_cmp_ne_u16_e64 s[0:1], 0, v0
	s_andn2_b64 s[6:7], s[6:7], exec
	s_and_b64 s[0:1], s[0:1], exec
	v_mov_b32_e32 v36, 0
	s_or_b64 s[6:7], s[6:7], s[0:1]
	s_or_b64 exec, exec, s[8:9]
	s_and_saveexec_b64 s[8:9], s[6:7]
	s_cbranch_execnz .LBB270_544
	s_branch .LBB270_545
.LBB270_743:                            ;   in Loop: Header=BB270_434 Depth=1
	v_cmp_eq_u16_sdwa s[28:29], v0, s22 src0_sel:BYTE_0 src1_sel:DWORD
	s_mov_b64 s[0:1], -1
                                        ; implicit-def: $sgpr20
	s_and_saveexec_b64 s[8:9], s[28:29]
; %bb.744:                              ;   in Loop: Header=BB270_434 Depth=1
	s_mov_b32 s20, 0x7fc02000
	s_xor_b64 s[0:1], exec, -1
; %bb.745:                              ;   in Loop: Header=BB270_434 Depth=1
	s_or_b64 exec, exec, s[8:9]
	s_and_b64 s[0:1], s[0:1], exec
	s_or_saveexec_b64 s[6:7], s[6:7]
	v_mov_b32_e32 v31, s20
	s_xor_b64 exec, exec, s[6:7]
	s_cbranch_execz .LBB270_547
.LBB270_746:                            ;   in Loop: Header=BB270_434 Depth=1
	v_cmp_ne_u16_sdwa s[8:9], v0, v1 src0_sel:BYTE_0 src1_sel:DWORD
	s_andn2_b64 s[0:1], s[0:1], exec
	s_and_b64 s[8:9], s[8:9], exec
	v_mov_b32_e32 v31, 0
	s_or_b64 s[0:1], s[0:1], s[8:9]
	s_or_b64 exec, exec, s[6:7]
	s_and_saveexec_b64 s[6:7], s[0:1]
	s_cbranch_execnz .LBB270_548
	s_branch .LBB270_549
.LBB270_747:                            ;   in Loop: Header=BB270_434 Depth=1
	v_cmp_eq_u16_e64 s[0:1], s22, v0
	s_mov_b64 s[6:7], -1
                                        ; implicit-def: $sgpr28
	s_and_saveexec_b64 s[20:21], s[0:1]
; %bb.748:                              ;   in Loop: Header=BB270_434 Depth=1
	s_mov_b32 s28, 0x7fc02000
	s_xor_b64 s[6:7], exec, -1
; %bb.749:                              ;   in Loop: Header=BB270_434 Depth=1
	s_or_b64 exec, exec, s[20:21]
	s_and_b64 s[6:7], s[6:7], exec
	s_or_saveexec_b64 s[8:9], s[8:9]
	v_mov_b32_e32 v37, s28
	s_xor_b64 exec, exec, s[8:9]
	s_cbranch_execz .LBB270_551
.LBB270_750:                            ;   in Loop: Header=BB270_434 Depth=1
	v_cmp_ne_u16_e64 s[0:1], 0, v0
	s_andn2_b64 s[6:7], s[6:7], exec
	s_and_b64 s[0:1], s[0:1], exec
	v_mov_b32_e32 v37, 0
	s_or_b64 s[6:7], s[6:7], s[0:1]
	s_or_b64 exec, exec, s[8:9]
	s_and_saveexec_b64 s[8:9], s[6:7]
	s_cbranch_execnz .LBB270_552
	s_branch .LBB270_553
.LBB270_751:                            ;   in Loop: Header=BB270_434 Depth=1
	v_cmp_eq_u16_sdwa s[28:29], v25, s22 src0_sel:BYTE_0 src1_sel:DWORD
	s_mov_b64 s[0:1], -1
                                        ; implicit-def: $sgpr20
	s_and_saveexec_b64 s[8:9], s[28:29]
; %bb.752:                              ;   in Loop: Header=BB270_434 Depth=1
	s_mov_b32 s20, 0x7fc02000
	s_xor_b64 s[0:1], exec, -1
; %bb.753:                              ;   in Loop: Header=BB270_434 Depth=1
	s_or_b64 exec, exec, s[8:9]
	s_and_b64 s[0:1], s[0:1], exec
	s_or_saveexec_b64 s[6:7], s[6:7]
	v_mov_b32_e32 v6, s20
	s_xor_b64 exec, exec, s[6:7]
	s_cbranch_execz .LBB270_555
.LBB270_754:                            ;   in Loop: Header=BB270_434 Depth=1
	v_cmp_ne_u16_sdwa s[8:9], v25, v1 src0_sel:BYTE_0 src1_sel:DWORD
	s_andn2_b64 s[0:1], s[0:1], exec
	s_and_b64 s[8:9], s[8:9], exec
	v_mov_b32_e32 v6, 0
	s_or_b64 s[0:1], s[0:1], s[8:9]
	s_or_b64 exec, exec, s[6:7]
	v_mov_b32_e32 v0, v25
	s_and_saveexec_b64 s[6:7], s[0:1]
	s_cbranch_execnz .LBB270_556
	s_branch .LBB270_557
.LBB270_755:                            ;   in Loop: Header=BB270_434 Depth=1
	v_cmp_eq_u16_e64 s[0:1], s22, v0
	s_mov_b64 s[6:7], -1
                                        ; implicit-def: $sgpr28
	s_and_saveexec_b64 s[20:21], s[0:1]
; %bb.756:                              ;   in Loop: Header=BB270_434 Depth=1
	s_mov_b32 s28, 0x7fc02000
	s_xor_b64 s[6:7], exec, -1
; %bb.757:                              ;   in Loop: Header=BB270_434 Depth=1
	s_or_b64 exec, exec, s[20:21]
	s_and_b64 s[6:7], s[6:7], exec
	s_or_saveexec_b64 s[8:9], s[8:9]
	v_mov_b32_e32 v7, s28
	s_xor_b64 exec, exec, s[8:9]
	s_cbranch_execz .LBB270_559
.LBB270_758:                            ;   in Loop: Header=BB270_434 Depth=1
	v_cmp_ne_u16_e64 s[0:1], 0, v0
	s_andn2_b64 s[6:7], s[6:7], exec
	s_and_b64 s[0:1], s[0:1], exec
	v_mov_b32_e32 v7, 0
	s_or_b64 s[6:7], s[6:7], s[0:1]
	s_or_b64 exec, exec, s[8:9]
	s_and_saveexec_b64 s[8:9], s[6:7]
	s_cbranch_execnz .LBB270_560
	s_branch .LBB270_561
.LBB270_759:                            ;   in Loop: Header=BB270_434 Depth=1
	v_cmp_eq_u16_sdwa s[28:29], v0, s22 src0_sel:BYTE_0 src1_sel:DWORD
	s_mov_b64 s[0:1], -1
                                        ; implicit-def: $sgpr20
	s_and_saveexec_b64 s[8:9], s[28:29]
; %bb.760:                              ;   in Loop: Header=BB270_434 Depth=1
	s_mov_b32 s20, 0x7fc02000
	s_xor_b64 s[0:1], exec, -1
; %bb.761:                              ;   in Loop: Header=BB270_434 Depth=1
	s_or_b64 exec, exec, s[8:9]
	s_and_b64 s[0:1], s[0:1], exec
	s_or_saveexec_b64 s[6:7], s[6:7]
	v_mov_b32_e32 v15, s20
	s_xor_b64 exec, exec, s[6:7]
	s_cbranch_execz .LBB270_563
.LBB270_762:                            ;   in Loop: Header=BB270_434 Depth=1
	v_cmp_ne_u16_sdwa s[8:9], v0, v1 src0_sel:BYTE_0 src1_sel:DWORD
	s_andn2_b64 s[0:1], s[0:1], exec
	s_and_b64 s[8:9], s[8:9], exec
	v_mov_b32_e32 v15, 0
	s_or_b64 s[0:1], s[0:1], s[8:9]
	s_or_b64 exec, exec, s[6:7]
	s_and_saveexec_b64 s[6:7], s[0:1]
	s_cbranch_execnz .LBB270_564
	s_branch .LBB270_565
.LBB270_763:                            ;   in Loop: Header=BB270_434 Depth=1
	v_cmp_eq_u16_e64 s[0:1], s22, v0
	s_mov_b64 s[6:7], -1
                                        ; implicit-def: $sgpr28
	s_and_saveexec_b64 s[20:21], s[0:1]
; %bb.764:                              ;   in Loop: Header=BB270_434 Depth=1
	s_mov_b32 s28, 0x7fc02000
	s_xor_b64 s[6:7], exec, -1
; %bb.765:                              ;   in Loop: Header=BB270_434 Depth=1
	s_or_b64 exec, exec, s[20:21]
	s_and_b64 s[6:7], s[6:7], exec
	s_or_saveexec_b64 s[8:9], s[8:9]
	v_mov_b32_e32 v24, s28
	s_xor_b64 exec, exec, s[8:9]
	s_cbranch_execz .LBB270_567
.LBB270_766:                            ;   in Loop: Header=BB270_434 Depth=1
	v_cmp_ne_u16_e64 s[0:1], 0, v0
	s_andn2_b64 s[6:7], s[6:7], exec
	s_and_b64 s[0:1], s[0:1], exec
	v_mov_b32_e32 v24, 0
	s_or_b64 s[6:7], s[6:7], s[0:1]
	s_or_b64 exec, exec, s[8:9]
	s_and_saveexec_b64 s[8:9], s[6:7]
	s_cbranch_execnz .LBB270_568
	s_branch .LBB270_569
.LBB270_767:                            ;   in Loop: Header=BB270_434 Depth=1
	v_cmp_eq_u16_sdwa s[28:29], v24, s22 src0_sel:BYTE_0 src1_sel:DWORD
	s_mov_b64 s[0:1], -1
                                        ; implicit-def: $sgpr20
	s_and_saveexec_b64 s[8:9], s[28:29]
; %bb.768:                              ;   in Loop: Header=BB270_434 Depth=1
	s_mov_b32 s20, 0x7fc02000
	s_xor_b64 s[0:1], exec, -1
; %bb.769:                              ;   in Loop: Header=BB270_434 Depth=1
	s_or_b64 exec, exec, s[8:9]
	s_and_b64 s[0:1], s[0:1], exec
	s_or_saveexec_b64 s[6:7], s[6:7]
	v_mov_b32_e32 v30, s20
	s_xor_b64 exec, exec, s[6:7]
	s_cbranch_execz .LBB270_573
.LBB270_770:                            ;   in Loop: Header=BB270_434 Depth=1
	v_cmp_ne_u16_sdwa s[8:9], v24, v1 src0_sel:BYTE_0 src1_sel:DWORD
	s_andn2_b64 s[0:1], s[0:1], exec
	s_and_b64 s[8:9], s[8:9], exec
	v_mov_b32_e32 v30, 0
	s_or_b64 s[0:1], s[0:1], s[8:9]
	s_or_b64 exec, exec, s[6:7]
	s_and_saveexec_b64 s[6:7], s[0:1]
	s_cbranch_execnz .LBB270_574
	s_branch .LBB270_575
.LBB270_771:                            ;   in Loop: Header=BB270_434 Depth=1
	v_cmp_eq_u16_e64 s[0:1], s22, v0
	s_mov_b64 s[6:7], -1
                                        ; implicit-def: $sgpr28
	s_and_saveexec_b64 s[20:21], s[0:1]
; %bb.772:                              ;   in Loop: Header=BB270_434 Depth=1
	s_mov_b32 s28, 0x7fc02000
	s_xor_b64 s[6:7], exec, -1
; %bb.773:                              ;   in Loop: Header=BB270_434 Depth=1
	s_or_b64 exec, exec, s[20:21]
	s_and_b64 s[6:7], s[6:7], exec
	s_or_saveexec_b64 s[8:9], s[8:9]
	v_mov_b32_e32 v36, s28
	s_xor_b64 exec, exec, s[8:9]
	s_cbranch_execz .LBB270_577
.LBB270_774:                            ;   in Loop: Header=BB270_434 Depth=1
	v_cmp_ne_u16_e64 s[0:1], 0, v0
	s_andn2_b64 s[6:7], s[6:7], exec
	s_and_b64 s[0:1], s[0:1], exec
	v_mov_b32_e32 v36, 0
	s_or_b64 s[6:7], s[6:7], s[0:1]
	s_or_b64 exec, exec, s[8:9]
	s_and_saveexec_b64 s[8:9], s[6:7]
	s_cbranch_execnz .LBB270_578
	s_branch .LBB270_579
.LBB270_775:                            ;   in Loop: Header=BB270_434 Depth=1
	v_cmp_eq_u16_sdwa s[28:29], v0, s22 src0_sel:BYTE_0 src1_sel:DWORD
	s_mov_b64 s[0:1], -1
                                        ; implicit-def: $sgpr20
	s_and_saveexec_b64 s[8:9], s[28:29]
; %bb.776:                              ;   in Loop: Header=BB270_434 Depth=1
	s_mov_b32 s20, 0x7fc02000
	s_xor_b64 s[0:1], exec, -1
; %bb.777:                              ;   in Loop: Header=BB270_434 Depth=1
	s_or_b64 exec, exec, s[8:9]
	s_and_b64 s[0:1], s[0:1], exec
	s_or_saveexec_b64 s[6:7], s[6:7]
	v_mov_b32_e32 v31, s20
	s_xor_b64 exec, exec, s[6:7]
	s_cbranch_execz .LBB270_581
.LBB270_778:                            ;   in Loop: Header=BB270_434 Depth=1
	v_cmp_ne_u16_sdwa s[8:9], v0, v1 src0_sel:BYTE_0 src1_sel:DWORD
	s_andn2_b64 s[0:1], s[0:1], exec
	s_and_b64 s[8:9], s[8:9], exec
	v_mov_b32_e32 v31, 0
	s_or_b64 s[0:1], s[0:1], s[8:9]
	s_or_b64 exec, exec, s[6:7]
	s_and_saveexec_b64 s[6:7], s[0:1]
	s_cbranch_execnz .LBB270_582
	s_branch .LBB270_583
.LBB270_779:                            ;   in Loop: Header=BB270_434 Depth=1
	v_cmp_eq_u16_e64 s[0:1], s22, v0
	s_mov_b64 s[6:7], -1
                                        ; implicit-def: $sgpr28
	s_and_saveexec_b64 s[20:21], s[0:1]
; %bb.780:                              ;   in Loop: Header=BB270_434 Depth=1
	s_mov_b32 s28, 0x7fc02000
	s_xor_b64 s[6:7], exec, -1
; %bb.781:                              ;   in Loop: Header=BB270_434 Depth=1
	s_or_b64 exec, exec, s[20:21]
	s_and_b64 s[6:7], s[6:7], exec
	s_or_saveexec_b64 s[8:9], s[8:9]
	v_mov_b32_e32 v37, s28
	s_xor_b64 exec, exec, s[8:9]
	s_cbranch_execz .LBB270_585
.LBB270_782:                            ;   in Loop: Header=BB270_434 Depth=1
	v_cmp_ne_u16_e64 s[0:1], 0, v0
	s_andn2_b64 s[6:7], s[6:7], exec
	s_and_b64 s[0:1], s[0:1], exec
	v_mov_b32_e32 v37, 0
	s_or_b64 s[6:7], s[6:7], s[0:1]
	s_or_b64 exec, exec, s[8:9]
	s_and_saveexec_b64 s[8:9], s[6:7]
	s_cbranch_execnz .LBB270_586
	s_branch .LBB270_587
.LBB270_783:                            ;   in Loop: Header=BB270_434 Depth=1
	v_cmp_eq_u16_sdwa s[28:29], v25, s22 src0_sel:BYTE_0 src1_sel:DWORD
	s_mov_b64 s[0:1], -1
                                        ; implicit-def: $sgpr20
	s_and_saveexec_b64 s[8:9], s[28:29]
; %bb.784:                              ;   in Loop: Header=BB270_434 Depth=1
	s_mov_b32 s20, 0x7fc02000
	s_xor_b64 s[0:1], exec, -1
; %bb.785:                              ;   in Loop: Header=BB270_434 Depth=1
	s_or_b64 exec, exec, s[8:9]
	s_and_b64 s[0:1], s[0:1], exec
	s_or_saveexec_b64 s[6:7], s[6:7]
	v_mov_b32_e32 v6, s20
	s_xor_b64 exec, exec, s[6:7]
	s_cbranch_execz .LBB270_589
.LBB270_786:                            ;   in Loop: Header=BB270_434 Depth=1
	v_cmp_ne_u16_sdwa s[8:9], v25, v1 src0_sel:BYTE_0 src1_sel:DWORD
	s_andn2_b64 s[0:1], s[0:1], exec
	s_and_b64 s[8:9], s[8:9], exec
	v_mov_b32_e32 v6, 0
	s_or_b64 s[0:1], s[0:1], s[8:9]
	s_or_b64 exec, exec, s[6:7]
	v_mov_b32_e32 v0, v25
	s_and_saveexec_b64 s[6:7], s[0:1]
	s_cbranch_execnz .LBB270_590
	s_branch .LBB270_591
.LBB270_787:                            ;   in Loop: Header=BB270_434 Depth=1
	v_cmp_eq_u16_e64 s[0:1], s22, v0
	s_mov_b64 s[6:7], -1
                                        ; implicit-def: $sgpr28
	s_and_saveexec_b64 s[20:21], s[0:1]
; %bb.788:                              ;   in Loop: Header=BB270_434 Depth=1
	s_mov_b32 s28, 0x7fc02000
	s_xor_b64 s[6:7], exec, -1
; %bb.789:                              ;   in Loop: Header=BB270_434 Depth=1
	s_or_b64 exec, exec, s[20:21]
	s_and_b64 s[6:7], s[6:7], exec
	s_or_saveexec_b64 s[8:9], s[8:9]
	v_mov_b32_e32 v15, s28
	s_xor_b64 exec, exec, s[8:9]
	s_cbranch_execz .LBB270_593
.LBB270_790:                            ;   in Loop: Header=BB270_434 Depth=1
	v_cmp_ne_u16_e64 s[0:1], 0, v0
	s_andn2_b64 s[6:7], s[6:7], exec
	s_and_b64 s[0:1], s[0:1], exec
	v_mov_b32_e32 v15, 0
	s_or_b64 s[6:7], s[6:7], s[0:1]
	s_or_b64 exec, exec, s[8:9]
	s_and_saveexec_b64 s[8:9], s[6:7]
	s_cbranch_execnz .LBB270_594
	s_branch .LBB270_595
.LBB270_791:                            ;   in Loop: Header=BB270_434 Depth=1
	v_cmp_eq_u16_sdwa s[28:29], v0, s22 src0_sel:BYTE_0 src1_sel:DWORD
	s_mov_b64 s[0:1], -1
                                        ; implicit-def: $sgpr20
	s_and_saveexec_b64 s[8:9], s[28:29]
; %bb.792:                              ;   in Loop: Header=BB270_434 Depth=1
	s_mov_b32 s20, 0x7fc02000
	s_xor_b64 s[0:1], exec, -1
; %bb.793:                              ;   in Loop: Header=BB270_434 Depth=1
	s_or_b64 exec, exec, s[8:9]
	s_and_b64 s[0:1], s[0:1], exec
	s_or_saveexec_b64 s[6:7], s[6:7]
	v_mov_b32_e32 v22, s20
	s_xor_b64 exec, exec, s[6:7]
	s_cbranch_execz .LBB270_597
.LBB270_794:                            ;   in Loop: Header=BB270_434 Depth=1
	v_cmp_ne_u16_sdwa s[8:9], v0, v1 src0_sel:BYTE_0 src1_sel:DWORD
	s_andn2_b64 s[0:1], s[0:1], exec
	s_and_b64 s[8:9], s[8:9], exec
	v_mov_b32_e32 v22, 0
	s_or_b64 s[0:1], s[0:1], s[8:9]
	s_or_b64 exec, exec, s[6:7]
	s_and_saveexec_b64 s[6:7], s[0:1]
	s_cbranch_execnz .LBB270_598
	s_branch .LBB270_599
.LBB270_795:                            ;   in Loop: Header=BB270_434 Depth=1
	v_cmp_eq_u16_e64 s[0:1], s22, v0
	s_mov_b64 s[6:7], -1
                                        ; implicit-def: $sgpr28
	s_and_saveexec_b64 s[20:21], s[0:1]
; %bb.796:                              ;   in Loop: Header=BB270_434 Depth=1
	s_mov_b32 s28, 0x7fc02000
	s_xor_b64 s[6:7], exec, -1
; %bb.797:                              ;   in Loop: Header=BB270_434 Depth=1
	s_or_b64 exec, exec, s[20:21]
	s_and_b64 s[6:7], s[6:7], exec
	s_or_saveexec_b64 s[8:9], s[8:9]
	v_mov_b32_e32 v26, s28
	s_xor_b64 exec, exec, s[8:9]
	s_cbranch_execz .LBB270_601
.LBB270_798:                            ;   in Loop: Header=BB270_434 Depth=1
	v_cmp_ne_u16_e64 s[0:1], 0, v0
	s_andn2_b64 s[6:7], s[6:7], exec
	s_and_b64 s[0:1], s[0:1], exec
	v_mov_b32_e32 v26, 0
	s_or_b64 s[6:7], s[6:7], s[0:1]
	s_or_b64 exec, exec, s[8:9]
	s_and_saveexec_b64 s[8:9], s[6:7]
	s_cbranch_execnz .LBB270_602
	s_branch .LBB270_603
.LBB270_799:                            ;   in Loop: Header=BB270_434 Depth=1
	v_cmp_eq_u16_sdwa s[28:29], v14, s22 src0_sel:BYTE_0 src1_sel:DWORD
	s_mov_b64 s[0:1], -1
                                        ; implicit-def: $sgpr20
	s_and_saveexec_b64 s[8:9], s[28:29]
; %bb.800:                              ;   in Loop: Header=BB270_434 Depth=1
	s_mov_b32 s20, 0x7fc02000
	s_xor_b64 s[0:1], exec, -1
; %bb.801:                              ;   in Loop: Header=BB270_434 Depth=1
	s_or_b64 exec, exec, s[8:9]
	s_and_b64 s[0:1], s[0:1], exec
	s_or_saveexec_b64 s[6:7], s[6:7]
	v_mov_b32_e32 v24, s20
	s_xor_b64 exec, exec, s[6:7]
	s_cbranch_execz .LBB270_607
.LBB270_802:                            ;   in Loop: Header=BB270_434 Depth=1
	v_cmp_ne_u16_sdwa s[8:9], v14, v1 src0_sel:BYTE_0 src1_sel:DWORD
	s_andn2_b64 s[0:1], s[0:1], exec
	s_and_b64 s[8:9], s[8:9], exec
	v_mov_b32_e32 v24, 0
	s_or_b64 s[0:1], s[0:1], s[8:9]
	s_or_b64 exec, exec, s[6:7]
	s_and_saveexec_b64 s[6:7], s[0:1]
	s_cbranch_execnz .LBB270_608
	s_branch .LBB270_609
.LBB270_803:                            ;   in Loop: Header=BB270_434 Depth=1
	v_cmp_eq_u16_e64 s[0:1], s22, v0
	s_mov_b64 s[6:7], -1
                                        ; implicit-def: $sgpr28
	s_and_saveexec_b64 s[20:21], s[0:1]
; %bb.804:                              ;   in Loop: Header=BB270_434 Depth=1
	s_mov_b32 s28, 0x7fc02000
	s_xor_b64 s[6:7], exec, -1
; %bb.805:                              ;   in Loop: Header=BB270_434 Depth=1
	s_or_b64 exec, exec, s[20:21]
	s_and_b64 s[6:7], s[6:7], exec
	s_or_saveexec_b64 s[8:9], s[8:9]
	v_mov_b32_e32 v30, s28
	s_xor_b64 exec, exec, s[8:9]
	s_cbranch_execz .LBB270_611
.LBB270_806:                            ;   in Loop: Header=BB270_434 Depth=1
	v_cmp_ne_u16_e64 s[0:1], 0, v0
	s_andn2_b64 s[6:7], s[6:7], exec
	s_and_b64 s[0:1], s[0:1], exec
	v_mov_b32_e32 v30, 0
	s_or_b64 s[6:7], s[6:7], s[0:1]
	s_or_b64 exec, exec, s[8:9]
	s_and_saveexec_b64 s[8:9], s[6:7]
	s_cbranch_execnz .LBB270_612
	s_branch .LBB270_613
.LBB270_807:                            ;   in Loop: Header=BB270_434 Depth=1
	v_cmp_eq_u16_sdwa s[28:29], v0, s22 src0_sel:BYTE_0 src1_sel:DWORD
	s_mov_b64 s[0:1], -1
                                        ; implicit-def: $sgpr20
	s_and_saveexec_b64 s[8:9], s[28:29]
; %bb.808:                              ;   in Loop: Header=BB270_434 Depth=1
	s_mov_b32 s20, 0x7fc02000
	s_xor_b64 s[0:1], exec, -1
; %bb.809:                              ;   in Loop: Header=BB270_434 Depth=1
	s_or_b64 exec, exec, s[8:9]
	s_and_b64 s[0:1], s[0:1], exec
	s_or_saveexec_b64 s[6:7], s[6:7]
	v_mov_b32_e32 v25, s20
	s_xor_b64 exec, exec, s[6:7]
	s_cbranch_execz .LBB270_615
.LBB270_810:                            ;   in Loop: Header=BB270_434 Depth=1
	v_cmp_ne_u16_sdwa s[8:9], v0, v1 src0_sel:BYTE_0 src1_sel:DWORD
	s_andn2_b64 s[0:1], s[0:1], exec
	s_and_b64 s[8:9], s[8:9], exec
	v_mov_b32_e32 v25, 0
	s_or_b64 s[0:1], s[0:1], s[8:9]
	s_or_b64 exec, exec, s[6:7]
	s_and_saveexec_b64 s[6:7], s[0:1]
	s_cbranch_execnz .LBB270_616
	s_branch .LBB270_617
.LBB270_811:                            ;   in Loop: Header=BB270_434 Depth=1
	v_cmp_eq_u16_e64 s[0:1], s22, v0
	s_mov_b64 s[6:7], -1
                                        ; implicit-def: $sgpr28
	s_and_saveexec_b64 s[20:21], s[0:1]
; %bb.812:                              ;   in Loop: Header=BB270_434 Depth=1
	s_mov_b32 s28, 0x7fc02000
	s_xor_b64 s[6:7], exec, -1
; %bb.813:                              ;   in Loop: Header=BB270_434 Depth=1
	s_or_b64 exec, exec, s[20:21]
	s_and_b64 s[6:7], s[6:7], exec
	s_or_saveexec_b64 s[8:9], s[8:9]
	v_mov_b32_e32 v31, s28
	s_xor_b64 exec, exec, s[8:9]
	s_cbranch_execz .LBB270_619
.LBB270_814:                            ;   in Loop: Header=BB270_434 Depth=1
	v_cmp_ne_u16_e64 s[0:1], 0, v0
	s_andn2_b64 s[6:7], s[6:7], exec
	s_and_b64 s[0:1], s[0:1], exec
	v_mov_b32_e32 v31, 0
	s_or_b64 s[6:7], s[6:7], s[0:1]
	s_or_b64 exec, exec, s[8:9]
	s_and_saveexec_b64 s[8:9], s[6:7]
	s_cbranch_execnz .LBB270_620
	s_branch .LBB270_621
.LBB270_815:                            ;   in Loop: Header=BB270_434 Depth=1
	v_cmp_eq_u16_sdwa s[28:29], v15, s22 src0_sel:BYTE_0 src1_sel:DWORD
	s_mov_b64 s[0:1], -1
                                        ; implicit-def: $sgpr20
	s_and_saveexec_b64 s[8:9], s[28:29]
; %bb.816:                              ;   in Loop: Header=BB270_434 Depth=1
	s_mov_b32 s20, 0x7fc02000
	s_xor_b64 s[0:1], exec, -1
; %bb.817:                              ;   in Loop: Header=BB270_434 Depth=1
	s_or_b64 exec, exec, s[8:9]
	s_and_b64 s[0:1], s[0:1], exec
	s_or_saveexec_b64 s[6:7], s[6:7]
	v_mov_b32_e32 v13, s20
	s_xor_b64 exec, exec, s[6:7]
	s_cbranch_execz .LBB270_623
.LBB270_818:                            ;   in Loop: Header=BB270_434 Depth=1
	v_cmp_ne_u16_sdwa s[8:9], v15, v1 src0_sel:BYTE_0 src1_sel:DWORD
	s_andn2_b64 s[0:1], s[0:1], exec
	s_and_b64 s[8:9], s[8:9], exec
	v_mov_b32_e32 v13, 0
	s_or_b64 s[0:1], s[0:1], s[8:9]
	s_or_b64 exec, exec, s[6:7]
	v_mov_b32_e32 v0, v15
	s_and_saveexec_b64 s[6:7], s[0:1]
	s_cbranch_execnz .LBB270_624
	s_branch .LBB270_625
.LBB270_819:                            ;   in Loop: Header=BB270_434 Depth=1
	v_cmp_eq_u16_e64 s[0:1], s22, v0
	s_mov_b64 s[6:7], -1
                                        ; implicit-def: $sgpr28
	s_and_saveexec_b64 s[20:21], s[0:1]
; %bb.820:                              ;   in Loop: Header=BB270_434 Depth=1
	s_mov_b32 s28, 0x7fc02000
	s_xor_b64 s[6:7], exec, -1
; %bb.821:                              ;   in Loop: Header=BB270_434 Depth=1
	s_or_b64 exec, exec, s[20:21]
	s_and_b64 s[6:7], s[6:7], exec
	s_or_saveexec_b64 s[8:9], s[8:9]
	v_mov_b32_e32 v14, s28
	s_xor_b64 exec, exec, s[8:9]
	s_cbranch_execz .LBB270_627
.LBB270_822:                            ;   in Loop: Header=BB270_434 Depth=1
	v_cmp_ne_u16_e64 s[0:1], 0, v0
	s_andn2_b64 s[6:7], s[6:7], exec
	s_and_b64 s[0:1], s[0:1], exec
	v_mov_b32_e32 v14, 0
	s_or_b64 s[6:7], s[6:7], s[0:1]
	s_or_b64 exec, exec, s[8:9]
	s_and_saveexec_b64 s[8:9], s[6:7]
	s_cbranch_execnz .LBB270_628
	s_branch .LBB270_629
.LBB270_823:                            ;   in Loop: Header=BB270_434 Depth=1
	v_cmp_eq_u16_sdwa s[28:29], v0, s22 src0_sel:BYTE_0 src1_sel:DWORD
	s_mov_b64 s[0:1], -1
                                        ; implicit-def: $sgpr20
	s_and_saveexec_b64 s[8:9], s[28:29]
; %bb.824:                              ;   in Loop: Header=BB270_434 Depth=1
	s_mov_b32 s20, 0x7fc02000
	s_xor_b64 s[0:1], exec, -1
; %bb.825:                              ;   in Loop: Header=BB270_434 Depth=1
	s_or_b64 exec, exec, s[8:9]
	s_and_b64 s[0:1], s[0:1], exec
	s_or_saveexec_b64 s[6:7], s[6:7]
	v_mov_b32_e32 v26, s20
	s_xor_b64 exec, exec, s[6:7]
	s_cbranch_execz .LBB270_631
.LBB270_826:                            ;   in Loop: Header=BB270_434 Depth=1
	v_cmp_ne_u16_sdwa s[8:9], v0, v1 src0_sel:BYTE_0 src1_sel:DWORD
	s_andn2_b64 s[0:1], s[0:1], exec
	s_and_b64 s[8:9], s[8:9], exec
	v_mov_b32_e32 v26, 0
	s_or_b64 s[0:1], s[0:1], s[8:9]
	s_or_b64 exec, exec, s[6:7]
	s_and_saveexec_b64 s[6:7], s[0:1]
	s_cbranch_execnz .LBB270_632
	s_branch .LBB270_633
.LBB270_827:                            ;   in Loop: Header=BB270_434 Depth=1
	v_cmp_eq_u16_e64 s[0:1], s22, v0
	s_mov_b64 s[6:7], -1
                                        ; implicit-def: $sgpr28
	s_and_saveexec_b64 s[20:21], s[0:1]
; %bb.828:                              ;   in Loop: Header=BB270_434 Depth=1
	s_mov_b32 s28, 0x7fc02000
	s_xor_b64 s[6:7], exec, -1
; %bb.829:                              ;   in Loop: Header=BB270_434 Depth=1
	s_or_b64 exec, exec, s[20:21]
	s_and_b64 s[6:7], s[6:7], exec
	s_or_saveexec_b64 s[8:9], s[8:9]
	v_mov_b32_e32 v27, s28
	s_xor_b64 exec, exec, s[8:9]
	s_cbranch_execz .LBB270_635
.LBB270_830:                            ;   in Loop: Header=BB270_434 Depth=1
	v_cmp_ne_u16_e64 s[0:1], 0, v0
	s_andn2_b64 s[6:7], s[6:7], exec
	s_and_b64 s[0:1], s[0:1], exec
	v_mov_b32_e32 v27, 0
	s_or_b64 s[6:7], s[6:7], s[0:1]
	s_or_b64 exec, exec, s[8:9]
	s_and_saveexec_b64 s[8:9], s[6:7]
	s_cbranch_execnz .LBB270_636
	s_branch .LBB270_637
.LBB270_831:
	s_or_b64 exec, exec, s[18:19]
.LBB270_832:
	s_or_b64 exec, exec, s[12:13]
	ds_bpermute_b32 v0, v49, v16
	ds_bpermute_b32 v1, v49, v17
	;; [unrolled: 1-line block ×6, first 2 shown]
	s_waitcnt lgkmcnt(0)
	v_pk_add_f32 v[6:7], v[16:17], v[0:1]
	v_pk_add_f32 v[0:1], v[20:21], v[4:5]
	v_accvgpr_read_b32 v4, a2
	v_and_b32_e32 v4, 0x3c1, v4
	v_pk_add_f32 v[2:3], v[18:19], v[2:3]
	v_cmp_eq_u32_e32 vcc, 64, v4
	s_barrier
	s_and_saveexec_b64 s[0:1], vcc
	s_cbranch_execz .LBB270_834
; %bb.833:
	v_lshl_add_u32 v5, v48, 1, s3
	ds_write2_b32 v5, v6, v7 offset1:32
	ds_write2_b32 v5, v2, v3 offset0:64 offset1:96
	ds_write2_b32 v5, v0, v1 offset0:128 offset1:160
.LBB270_834:
	s_or_b64 exec, exec, s[0:1]
	v_accvgpr_read_b32 v8, a2
	v_cmp_gt_u32_e32 vcc, 64, v8
	s_waitcnt lgkmcnt(0)
	s_barrier
	s_and_saveexec_b64 s[0:1], vcc
	s_cbranch_execz .LBB270_843
; %bb.835:
	v_accvgpr_read_b32 v8, a2
	v_lshrrev_b32_e32 v5, 1, v8
	v_cmp_eq_u32_e32 vcc, 0, v54
	v_lshl_add_u32 v5, v5, 2, s3
	s_and_saveexec_b64 s[4:5], vcc
	s_cbranch_execnz .LBB270_846
; %bb.836:
	s_or_b64 exec, exec, s[4:5]
	s_and_saveexec_b64 s[4:5], vcc
	s_cbranch_execnz .LBB270_847
.LBB270_837:
	s_or_b64 exec, exec, s[4:5]
	s_and_saveexec_b64 s[4:5], vcc
	s_cbranch_execnz .LBB270_848
.LBB270_838:
	s_or_b64 exec, exec, s[4:5]
	s_and_saveexec_b64 s[4:5], vcc
	s_cbranch_execnz .LBB270_849
.LBB270_839:
	s_or_b64 exec, exec, s[4:5]
	s_and_saveexec_b64 s[4:5], vcc
	s_cbranch_execnz .LBB270_850
.LBB270_840:
	s_or_b64 exec, exec, s[4:5]
	s_and_saveexec_b64 s[4:5], vcc
	s_cbranch_execz .LBB270_842
.LBB270_841:
	ds_read_b32 v5, v5 offset:640
	s_waitcnt lgkmcnt(0)
	v_add_f32_e32 v1, v1, v5
.LBB270_842:
	s_or_b64 exec, exec, s[4:5]
.LBB270_843:
	s_or_b64 exec, exec, s[0:1]
	v_cmp_eq_u32_e32 vcc, 0, v4
	s_barrier
	s_and_b64 exec, exec, vcc
	s_cbranch_execz .LBB270_845
; %bb.844:
	s_mul_i32 s0, s2, 0xc0
	s_mul_i32 s2, s16, s17
	;; [unrolled: 1-line block ×3, first 2 shown]
	s_ashr_i32 s1, s0, 31
	s_ashr_i32 s3, s2, 31
	;; [unrolled: 1-line block ×3, first 2 shown]
	s_lshl_b64 s[0:1], s[0:1], 1
	s_lshl_b64 s[2:3], s[2:3], 1
	;; [unrolled: 1-line block ×3, first 2 shown]
	s_add_u32 s2, s4, s2
	s_addc_u32 s3, s5, s3
	s_add_u32 s0, s2, s0
	v_accvgpr_read_b32 v5, a1
	s_addc_u32 s1, s3, s1
	v_accvgpr_read_b32 v4, a0
	v_lshl_add_u64 v[4:5], s[0:1], 0, v[4:5]
	v_accvgpr_read_b32 v8, a2
	v_mov_b32_e32 v9, 0
	v_lshl_add_u64 v[4:5], v[4:5], 0, v[8:9]
	;;#ASMSTART
	v_cvt_f16_f32 v6, v6;

	;;#ASMEND
	flat_store_short v[4:5], v6
	;;#ASMSTART
	v_cvt_f16_f32 v6, v7;

	;;#ASMEND
	flat_store_short v[4:5], v6 offset:64
	;;#ASMSTART
	v_cvt_f16_f32 v2, v2;

	;;#ASMEND
	flat_store_short v[4:5], v2 offset:128
	;;#ASMSTART
	v_cvt_f16_f32 v2, v3;

	;;#ASMEND
	flat_store_short v[4:5], v2 offset:192
	;;#ASMSTART
	v_cvt_f16_f32 v0, v0;

	;;#ASMEND
	flat_store_short v[4:5], v0 offset:256
	;;#ASMSTART
	v_cvt_f16_f32 v0, v1;

	;;#ASMEND
	flat_store_short v[4:5], v0 offset:320
.LBB270_845:
	s_or_b64 exec, exec, s[10:11]
	scratch_load_dword a60, off, s32 offset:8 ; 4-byte Folded Reload
	scratch_load_dword a59, off, s32 offset:12 ; 4-byte Folded Reload
	;; [unrolled: 1-line block ×44, first 2 shown]
	v_readlane_b32 s30, v63, 6
	v_readlane_b32 s31, v63, 7
	;; [unrolled: 1-line block ×8, first 2 shown]
	s_or_saveexec_b64 s[0:1], -1
	scratch_load_dword v63, off, s32 offset:192 ; 4-byte Folded Reload
	s_mov_b64 exec, s[0:1]
	s_waitcnt vmcnt(0) lgkmcnt(0)
	s_setpc_b64 s[30:31]
.LBB270_846:
	ds_read_b32 v8, v5
	s_waitcnt lgkmcnt(0)
	v_add_f32_e32 v6, v6, v8
	s_or_b64 exec, exec, s[4:5]
	s_and_saveexec_b64 s[4:5], vcc
	s_cbranch_execz .LBB270_837
.LBB270_847:
	ds_read_b32 v8, v5 offset:128
	s_waitcnt lgkmcnt(0)
	v_add_f32_e32 v7, v7, v8
	s_or_b64 exec, exec, s[4:5]
	s_and_saveexec_b64 s[4:5], vcc
	s_cbranch_execz .LBB270_838
.LBB270_848:
	ds_read_b32 v8, v5 offset:256
	s_waitcnt lgkmcnt(0)
	v_add_f32_e32 v2, v2, v8
	s_or_b64 exec, exec, s[4:5]
	s_and_saveexec_b64 s[4:5], vcc
	s_cbranch_execz .LBB270_839
.LBB270_849:
	ds_read_b32 v8, v5 offset:384
	s_waitcnt lgkmcnt(0)
	v_add_f32_e32 v3, v3, v8
	s_or_b64 exec, exec, s[4:5]
	s_and_saveexec_b64 s[4:5], vcc
	s_cbranch_execz .LBB270_840
.LBB270_850:
	ds_read_b32 v8, v5 offset:512
	s_waitcnt lgkmcnt(0)
	v_add_f32_e32 v0, v0, v8
	s_or_b64 exec, exec, s[4:5]
	s_and_saveexec_b64 s[4:5], vcc
	s_cbranch_execnz .LBB270_841
	s_branch .LBB270_842
.Lfunc_end270:
	.size	_ZN4vllm22paged_attention_kernelIthLi192ELi16ELi128ELNS_18Fp8KVCacheDataTypeE1ELb1ELi512EEEvPfS2_PT_PKS3_PKT0_S9_ifPKiSB_iPKfiiiSD_SD_iiiii, .Lfunc_end270-_ZN4vllm22paged_attention_kernelIthLi192ELi16ELi128ELNS_18Fp8KVCacheDataTypeE1ELb1ELi512EEEvPfS2_PT_PKS3_PKT0_S9_ifPKiSB_iPKfiiiSD_SD_iiiii
                                        ; -- End function
	.section	.AMDGPU.csdata,"",@progbits
; Function info:
; codeLenInByte = 36980
; NumSgprs: 46
; NumVgprs: 64
; NumAgprs: 61
; TotalNumVgprs: 125
; ScratchSize: 200
; MemoryBound: 0
	.section	.text._ZN4vllm25paged_attention_v2_kernelIthLi192ELi16ELi128ELNS_18Fp8KVCacheDataTypeE1ELb1ELi512EEEvPfS2_PT_PKS3_PKT0_S9_ifPKiSB_iPKfiiiSD_SD_iiiii,"axG",@progbits,_ZN4vllm25paged_attention_v2_kernelIthLi192ELi16ELi128ELNS_18Fp8KVCacheDataTypeE1ELb1ELi512EEEvPfS2_PT_PKS3_PKT0_S9_ifPKiSB_iPKfiiiSD_SD_iiiii,comdat
	.protected	_ZN4vllm25paged_attention_v2_kernelIthLi192ELi16ELi128ELNS_18Fp8KVCacheDataTypeE1ELb1ELi512EEEvPfS2_PT_PKS3_PKT0_S9_ifPKiSB_iPKfiiiSD_SD_iiiii ; -- Begin function _ZN4vllm25paged_attention_v2_kernelIthLi192ELi16ELi128ELNS_18Fp8KVCacheDataTypeE1ELb1ELi512EEEvPfS2_PT_PKS3_PKT0_S9_ifPKiSB_iPKfiiiSD_SD_iiiii
	.globl	_ZN4vllm25paged_attention_v2_kernelIthLi192ELi16ELi128ELNS_18Fp8KVCacheDataTypeE1ELb1ELi512EEEvPfS2_PT_PKS3_PKT0_S9_ifPKiSB_iPKfiiiSD_SD_iiiii
	.p2align	8
	.type	_ZN4vllm25paged_attention_v2_kernelIthLi192ELi16ELi128ELNS_18Fp8KVCacheDataTypeE1ELb1ELi512EEEvPfS2_PT_PKS3_PKT0_S9_ifPKiSB_iPKfiiiSD_SD_iiiii,@function
_ZN4vllm25paged_attention_v2_kernelIthLi192ELi16ELi128ELNS_18Fp8KVCacheDataTypeE1ELb1ELi512EEEvPfS2_PT_PKS3_PKT0_S9_ifPKiSB_iPKfiiiSD_SD_iiiii: ; @_ZN4vllm25paged_attention_v2_kernelIthLi192ELi16ELi128ELNS_18Fp8KVCacheDataTypeE1ELb1ELi512EEEvPfS2_PT_PKS3_PKT0_S9_ifPKiSB_iPKfiiiSD_SD_iiiii
; %bb.0:
	s_load_dwordx8 s[24:31], s[0:1], 0x0
	s_load_dwordx8 s[16:23], s[0:1], 0x20
	s_load_dwordx2 s[6:7], s[0:1], 0x40
	s_load_dwordx4 s[44:47], s[0:1], 0x78
	s_load_dword s5, s[0:1], 0x88
	s_load_dwordx2 s[10:11], s[0:1], 0x50
	s_load_dword s33, s[0:1], 0x48
	s_load_dwordx8 s[36:43], s[0:1], 0x58
	s_mov_b32 s32, 0
	s_waitcnt lgkmcnt(0)
	v_mov_b32_e32 v2, s47
	v_mov_b32_e32 v3, s5
	s_add_u32 s8, s0, 0x90
	scratch_store_dwordx2 off, v[2:3], s32
	s_addc_u32 s9, s1, 0
	s_mov_b32 s12, s2
	s_mov_b32 s13, s3
	;; [unrolled: 1-line block ×4, first 2 shown]
	v_mov_b32_e32 v31, v0
	v_mov_b32_e32 v0, s24
	v_mov_b32_e32 v1, s25
	v_mov_b32_e32 v2, s26
	v_mov_b32_e32 v3, s27
	v_mov_b32_e32 v4, s28
	v_mov_b32_e32 v5, s29
	v_mov_b32_e32 v6, s30
	v_mov_b32_e32 v7, s31
	v_mov_b32_e32 v8, s16
	v_mov_b32_e32 v9, s17
	v_mov_b32_e32 v10, s18
	v_mov_b32_e32 v11, s19
	v_mov_b32_e32 v12, s20
	v_mov_b32_e32 v13, s21
	v_mov_b32_e32 v14, s22
	v_mov_b32_e32 v15, s23
	v_mov_b32_e32 v16, s6
	v_mov_b32_e32 v17, s7
	v_mov_b32_e32 v18, s33
	v_mov_b32_e32 v19, s10
	v_mov_b32_e32 v20, s11
	v_mov_b32_e32 v21, s36
	v_mov_b32_e32 v22, s37
	v_mov_b32_e32 v23, s38
	v_mov_b32_e32 v24, s40
	v_mov_b32_e32 v25, s41
	v_mov_b32_e32 v26, s42
	v_mov_b32_e32 v27, s43
	v_mov_b32_e32 v28, s44
	v_mov_b32_e32 v29, s45
	v_mov_b32_e32 v30, s46
	s_getpc_b64 s[0:1]
	s_add_u32 s0, s0, _ZN4vllm22paged_attention_kernelIthLi192ELi16ELi128ELNS_18Fp8KVCacheDataTypeE1ELb1ELi512EEEvPfS2_PT_PKS3_PKT0_S9_ifPKiSB_iPKfiiiSD_SD_iiiii@rel32@lo+4
	s_addc_u32 s1, s1, _ZN4vllm22paged_attention_kernelIthLi192ELi16ELi128ELNS_18Fp8KVCacheDataTypeE1ELb1ELi512EEEvPfS2_PT_PKS3_PKT0_S9_ifPKiSB_iPKfiiiSD_SD_iiiii@rel32@hi+12
	s_swappc_b64 s[30:31], s[0:1]
	s_endpgm
	.section	.rodata,"a",@progbits
	.p2align	6, 0x0
	.amdhsa_kernel _ZN4vllm25paged_attention_v2_kernelIthLi192ELi16ELi128ELNS_18Fp8KVCacheDataTypeE1ELb1ELi512EEEvPfS2_PT_PKS3_PKT0_S9_ifPKiSB_iPKfiiiSD_SD_iiiii
		.amdhsa_group_segment_fixed_size 400
		.amdhsa_private_segment_fixed_size 200
		.amdhsa_kernarg_size 400
		.amdhsa_user_sgpr_count 2
		.amdhsa_user_sgpr_dispatch_ptr 0
		.amdhsa_user_sgpr_queue_ptr 0
		.amdhsa_user_sgpr_kernarg_segment_ptr 1
		.amdhsa_user_sgpr_dispatch_id 0
		.amdhsa_user_sgpr_kernarg_preload_length 0
		.amdhsa_user_sgpr_kernarg_preload_offset 0
		.amdhsa_user_sgpr_private_segment_size 0
		.amdhsa_uses_dynamic_stack 0
		.amdhsa_enable_private_segment 1
		.amdhsa_system_sgpr_workgroup_id_x 1
		.amdhsa_system_sgpr_workgroup_id_y 1
		.amdhsa_system_sgpr_workgroup_id_z 1
		.amdhsa_system_sgpr_workgroup_info 0
		.amdhsa_system_vgpr_workitem_id 0
		.amdhsa_next_free_vgpr 125
		.amdhsa_next_free_sgpr 48
		.amdhsa_accum_offset 64
		.amdhsa_reserve_vcc 1
		.amdhsa_float_round_mode_32 0
		.amdhsa_float_round_mode_16_64 0
		.amdhsa_float_denorm_mode_32 3
		.amdhsa_float_denorm_mode_16_64 3
		.amdhsa_dx10_clamp 1
		.amdhsa_ieee_mode 1
		.amdhsa_fp16_overflow 0
		.amdhsa_tg_split 0
		.amdhsa_exception_fp_ieee_invalid_op 0
		.amdhsa_exception_fp_denorm_src 0
		.amdhsa_exception_fp_ieee_div_zero 0
		.amdhsa_exception_fp_ieee_overflow 0
		.amdhsa_exception_fp_ieee_underflow 0
		.amdhsa_exception_fp_ieee_inexact 0
		.amdhsa_exception_int_div_zero 0
	.end_amdhsa_kernel
	.section	.text._ZN4vllm25paged_attention_v2_kernelIthLi192ELi16ELi128ELNS_18Fp8KVCacheDataTypeE1ELb1ELi512EEEvPfS2_PT_PKS3_PKT0_S9_ifPKiSB_iPKfiiiSD_SD_iiiii,"axG",@progbits,_ZN4vllm25paged_attention_v2_kernelIthLi192ELi16ELi128ELNS_18Fp8KVCacheDataTypeE1ELb1ELi512EEEvPfS2_PT_PKS3_PKT0_S9_ifPKiSB_iPKfiiiSD_SD_iiiii,comdat
.Lfunc_end271:
	.size	_ZN4vllm25paged_attention_v2_kernelIthLi192ELi16ELi128ELNS_18Fp8KVCacheDataTypeE1ELb1ELi512EEEvPfS2_PT_PKS3_PKT0_S9_ifPKiSB_iPKfiiiSD_SD_iiiii, .Lfunc_end271-_ZN4vllm25paged_attention_v2_kernelIthLi192ELi16ELi128ELNS_18Fp8KVCacheDataTypeE1ELb1ELi512EEEvPfS2_PT_PKS3_PKT0_S9_ifPKiSB_iPKfiiiSD_SD_iiiii
                                        ; -- End function
	.section	.AMDGPU.csdata,"",@progbits
; Kernel info:
; codeLenInByte = 272
; NumSgprs: 54
; NumVgprs: 64
; NumAgprs: 61
; TotalNumVgprs: 125
; ScratchSize: 200
; MemoryBound: 0
; FloatMode: 240
; IeeeMode: 1
; LDSByteSize: 400 bytes/workgroup (compile time only)
; SGPRBlocks: 6
; VGPRBlocks: 15
; NumSGPRsForWavesPerEU: 54
; NumVGPRsForWavesPerEU: 125
; AccumOffset: 64
; Occupancy: 4
; WaveLimiterHint : 1
; COMPUTE_PGM_RSRC2:SCRATCH_EN: 1
; COMPUTE_PGM_RSRC2:USER_SGPR: 2
; COMPUTE_PGM_RSRC2:TRAP_HANDLER: 0
; COMPUTE_PGM_RSRC2:TGID_X_EN: 1
; COMPUTE_PGM_RSRC2:TGID_Y_EN: 1
; COMPUTE_PGM_RSRC2:TGID_Z_EN: 1
; COMPUTE_PGM_RSRC2:TIDIG_COMP_CNT: 0
; COMPUTE_PGM_RSRC3_GFX90A:ACCUM_OFFSET: 15
; COMPUTE_PGM_RSRC3_GFX90A:TG_SPLIT: 0
	.text
	.p2align	2                               ; -- Begin function _ZN4vllm22paged_attention_kernelIthLi256ELi16ELi128ELNS_18Fp8KVCacheDataTypeE1ELb1ELi512EEEvPfS2_PT_PKS3_PKT0_S9_ifPKiSB_iPKfiiiSD_SD_iiiii
	.type	_ZN4vllm22paged_attention_kernelIthLi256ELi16ELi128ELNS_18Fp8KVCacheDataTypeE1ELb1ELi512EEEvPfS2_PT_PKS3_PKT0_S9_ifPKiSB_iPKfiiiSD_SD_iiiii,@function
_ZN4vllm22paged_attention_kernelIthLi256ELi16ELi128ELNS_18Fp8KVCacheDataTypeE1ELb1ELi512EEEvPfS2_PT_PKS3_PKT0_S9_ifPKiSB_iPKfiiiSD_SD_iiiii: ; @_ZN4vllm22paged_attention_kernelIthLi256ELi16ELi128ELNS_18Fp8KVCacheDataTypeE1ELb1ELi512EEEvPfS2_PT_PKS3_PKT0_S9_ifPKiSB_iPKfiiiSD_SD_iiiii
; %bb.0:
	s_waitcnt vmcnt(0) expcnt(0) lgkmcnt(0)
	s_or_saveexec_b64 s[0:1], -1
	scratch_store_dword off, v63, s32 offset:212 ; 4-byte Folded Spill
	s_mov_b64 exec, s[0:1]
	scratch_store_dword off, v40, s32 offset:192 ; 4-byte Folded Spill
	scratch_store_dword off, v41, s32 offset:188 ; 4-byte Folded Spill
	;; [unrolled: 1-line block ×47, first 2 shown]
	v_writelane_b32 v63, s34, 0
	v_writelane_b32 v63, s35, 1
	;; [unrolled: 1-line block ×7, first 2 shown]
	s_nop 1
	v_writelane_b32 v63, s31, 7
	s_mov_b32 s20, s13
	s_ashr_i32 s21, s13, 31
	v_accvgpr_write_b32 a4, v26
	v_mov_b32_e32 v37, v3
	v_mov_b32_e32 v36, v2
	v_lshl_add_u64 v[2:3], s[20:21], 2, v[16:17]
	v_accvgpr_write_b32 a5, v27
	v_mov_b32_e32 v27, v1
	v_mov_b32_e32 v26, v0
	scratch_load_dword v0, off, s32 offset:4
	s_nop 0
	flat_load_dword v2, v[2:3]
	s_nop 0
	scratch_load_dword v1, off, s32
	v_accvgpr_write_b32 a33, v25
	v_accvgpr_write_b32 a0, v4
	s_lshl_b32 s21, s14, 9
	v_accvgpr_write_b32 a32, v24
	v_accvgpr_write_b32 a6, v22
	v_mov_b32_e32 v33, v20
	v_mov_b32_e32 v32, v19
	v_accvgpr_write_b32 a34, v13
	v_mov_b32_e32 v25, v11
	v_mov_b32_e32 v24, v10
	v_accvgpr_write_b32 a1, v5
	s_waitcnt vmcnt(0) lgkmcnt(0)
	v_accvgpr_write_b32 a8, v2
	v_cmp_lt_i32_e32 vcc, s21, v2
	s_and_saveexec_b64 s[16:17], vcc
	s_cbranch_execz .LBB272_1107
; %bb.1:
	v_sub_u32_e32 v2, 0, v12
	v_max_i32_e32 v2, v12, v2
	v_cvt_f32_u32_e32 v3, v2
	s_load_dword s0, s[8:9], 0x10
	s_load_dword s2, s[8:9], 0x0
	v_sub_u32_e32 v5, 0, v2
	s_mov_b32 s10, s15
	v_rcp_iflag_f32_e32 v3, v3
	s_waitcnt lgkmcnt(0)
	s_lshr_b32 s0, s0, 16
	s_cmp_lg_u32 s0, 0
	s_cselect_b64 s[0:1], -1, 0
	v_mul_f32_e32 v3, 0x4f7ffffe, v3
	v_cvt_u32_f32_e32 v3, v3
	s_cmp_lg_u64 s[0:1], 0
	s_addc_u32 s15, s2, 0
	s_abs_i32 s0, s15
	v_mul_lo_u32 v5, v5, v3
	v_mul_hi_u32 v5, v3, v5
	v_add_u32_e32 v3, v3, v5
	v_mul_hi_u32 v3, s0, v3
	v_mul_lo_u32 v5, v3, v2
	v_sub_u32_e32 v5, s0, v5
	v_add_u32_e32 v10, 1, v3
	v_cmp_ge_u32_e32 vcc, v5, v2
	v_xor_b32_e32 v4, s15, v12
	v_ashrrev_i32_e32 v4, 31, v4
	v_cndmask_b32_e32 v3, v3, v10, vcc
	v_sub_u32_e32 v10, v5, v2
	v_cndmask_b32_e32 v5, v5, v10, vcc
	v_add_u32_e32 v10, 1, v3
	v_cmp_ge_u32_e32 vcc, v5, v2
	s_abs_i32 s2, s12
	s_nop 0
	v_cndmask_b32_e32 v2, v3, v10, vcc
	v_xor_b32_e32 v2, v2, v4
	v_sub_u32_e32 v2, v2, v4
	v_sub_u32_e32 v3, 0, v2
	v_max_i32_e32 v3, v2, v3
	v_cvt_f32_u32_e32 v4, v3
	v_sub_u32_e32 v5, 0, v3
	v_cmp_ne_u64_e32 vcc, 0, v[32:33]
	v_rcp_iflag_f32_e32 v4, v4
	s_nop 0
	v_mul_f32_e32 v4, 0x4f7ffffe, v4
	v_cvt_u32_f32_e32 v4, v4
	v_mul_lo_u32 v5, v5, v4
	v_mul_hi_u32 v5, v4, v5
	v_add_u32_e32 v4, v4, v5
	v_mad_u64_u32 v[16:17], s[0:1], s2, v4, 0
	v_mov_b32_e32 v4, 0
	scratch_store_dword off, v4, s32 offset:204 ; 4-byte Folded Spill
	s_and_saveexec_b64 s[0:1], vcc
	s_cbranch_execz .LBB272_3
; %bb.2:
	s_ashr_i32 s13, s12, 31
	v_lshl_add_u64 v[4:5], s[12:13], 2, v[32:33]
	flat_load_dword v4, v[4:5]
	s_waitcnt vmcnt(0) lgkmcnt(0)
	scratch_store_dword off, v4, s32 offset:204 ; 4-byte Folded Spill
.LBB272_3:
	s_or_b64 exec, exec, s[0:1]
	v_and_b32_e32 v10, 0x3ff, v31
	s_movk_i32 s0, 0x80
	s_ashr_i32 s3, s12, 31
	v_ashrrev_i32_e32 v4, 31, v2
	v_and_b32_e32 v2, 3, v10
	s_lshl_b32 s18, s12, 8
	v_accvgpr_write_b32 a2, v10
	v_cmp_gt_u32_e32 vcc, s0, v10
	s_and_saveexec_b64 s[0:1], vcc
	s_cbranch_execz .LBB272_5
; %bb.4:
	v_mul_lo_u32 v10, s20, v21
	v_ashrrev_i32_e32 v11, 31, v10
	v_lshl_add_u64 v[6:7], v[10:11], 1, v[6:7]
	s_ashr_i32 s19, s18, 31
	v_accvgpr_read_b32 v16, a2
	v_lshl_add_u64 v[6:7], s[18:19], 1, v[6:7]
	v_lshlrev_b32_e32 v10, 2, v16
	v_mov_b32_e32 v11, 0
	v_lshl_add_u64 v[6:7], v[6:7], 0, v[10:11]
	flat_load_dword v5, v[6:7]
	v_and_b32_e32 v6, 0x3fc, v16
	v_lshl_add_u32 v6, v2, 7, v6
	s_waitcnt vmcnt(0) lgkmcnt(0)
	ds_write_b32 v6, v5
.LBB272_5:
	s_or_b64 exec, exec, s[0:1]
	v_mul_lo_u32 v5, v17, v3
	v_sub_u32_e32 v5, s2, v5
	v_add_u32_e32 v6, 1, v17
	v_cmp_ge_u32_e32 vcc, v5, v3
	v_sub_u32_e32 v7, v5, v3
	v_xor_b32_e32 v4, s3, v4
	v_cndmask_b32_e32 v6, v17, v6, vcc
	v_cndmask_b32_e32 v5, v5, v7, vcc
	v_add_u32_e32 v7, 1, v6
	v_cmp_ge_u32_e32 vcc, v5, v3
	v_sub_u32_e32 v5, 0, v1
	s_waitcnt lgkmcnt(0)
	v_cndmask_b32_e32 v3, v6, v7, vcc
	v_max_i32_e32 v6, v1, v5
	v_cvt_f32_u32_e32 v5, v6
	v_xor_b32_e32 v3, v3, v4
	v_sub_u32_e32 v32, v3, v4
	v_accvgpr_read_b32 v4, a8
	v_rcp_iflag_f32_e32 v3, v5
	v_accvgpr_write_b32 a3, v6
	v_sub_u32_e32 v6, 0, v6
	v_add_u32_e32 v4, -1, v4
	v_mul_f32_e32 v3, 0x4f7ffffe, v3
	v_cvt_u32_f32_e32 v5, v3
	v_sub_u32_e32 v3, 0, v4
	v_max_i32_e32 v3, v4, v3
	v_cmp_gt_i32_e32 vcc, 0, v0
	v_mul_lo_u32 v6, v6, v5
	v_mul_hi_u32 v6, v5, v6
	v_add_u32_e32 v5, v5, v6
	v_accvgpr_write_b32 a7, v5
	v_mad_u64_u32 v[34:35], s[0:1], v3, v5, 0
	s_barrier
	s_waitcnt lgkmcnt(0)
                                        ; implicit-def: $agpr10
	s_and_saveexec_b64 s[0:1], vcc
	s_xor_b64 s[0:1], exec, s[0:1]
; %bb.6:
	v_mad_u64_u32 v[6:7], s[2:3], v28, v12, v[32:33]
	v_mul_lo_u32 v0, v6, v0
	v_sub_u32_e32 v0, 1, v0
	v_accvgpr_write_b32 a10, v0
                                        ; implicit-def: $vgpr28
                                        ; implicit-def: $vgpr0
; %bb.7:
	s_or_saveexec_b64 s[0:1], s[0:1]
	v_ashrrev_i32_e32 v1, 31, v1
	v_ashrrev_i32_e32 v4, 31, v4
	v_accvgpr_write_b32 a9, v1
	s_xor_b64 exec, exec, s[0:1]
; %bb.8:
	v_mul_lo_u32 v1, s15, v28
	v_add_u32_e32 v1, s12, v1
	v_mad_u64_u32 v[0:1], s[2:3], v1, v0, 1
	v_accvgpr_write_b32 a10, v0
; %bb.9:
	s_or_b64 exec, exec, s[0:1]
	v_accvgpr_read_b32 v5, a3
	v_mul_lo_u32 v1, v35, v5
	v_accvgpr_read_b32 v0, a9
	v_sub_u32_e32 v1, v3, v1
	v_xor_b32_e32 v0, v4, v0
	v_add_u32_e32 v3, 1, v35
	v_cmp_ge_u32_e32 vcc, v1, v5
	v_sub_u32_e32 v4, v1, v5
	s_load_dword s34, s[8:9], 0x14
	s_load_dword s13, s[8:9], 0x8
	v_cndmask_b32_e32 v3, v35, v3, vcc
	v_cndmask_b32_e32 v1, v1, v4, vcc
	v_add_u32_e32 v4, 1, v3
	v_cmp_ge_u32_e32 vcc, v1, v5
	s_lshl_b32 s19, s14, 5
	s_add_i32 s0, s19, 32
	v_cndmask_b32_e32 v1, v3, v4, vcc
	v_xor_b32_e32 v1, v1, v0
	v_accvgpr_read_b32 v4, a8
	v_sub_u32_e32 v0, v1, v0
	v_add_u32_e32 v1, 15, v4
	v_ashrrev_i32_e32 v3, 31, v1
	v_accvgpr_read_b32 v4, a2
	v_lshrrev_b32_e32 v3, 28, v3
	v_lshrrev_b32_e32 v21, 6, v4
	v_add_u32_e32 v1, v1, v3
	v_or_b32_e32 v4, s19, v21
	v_ashrrev_i32_e32 v22, 4, v1
	v_ashrrev_i32_e32 v5, 31, v4
	v_mul_lo_u32 v48, s20, v18
	v_min_i32_e32 v1, s0, v22
	v_sub_u32_e32 v0, v0, v29
	v_mul_lo_u32 v28, v32, v23
	v_accvgpr_write_b32 a13, v5
	v_ashrrev_i32_e32 v49, 31, v48
	v_accvgpr_write_b32 a11, v1
	v_cmp_lt_i32_e64 s[0:1], v4, v1
	v_mov_b32_e32 v1, 0xff7fffff
	v_accvgpr_write_b32 a14, v0
	v_accvgpr_write_b32 a12, v4
	v_ashrrev_i32_e32 v29, 31, v28
	v_sub_u32_e32 v23, 0, v30
	v_mbcnt_lo_u32_b32 v4, -1, 0
	v_lshl_add_u32 v0, v21, 4, s21
	s_mov_b64 s[8:9], exec
	s_and_b64 s[2:3], s[8:9], s[0:1]
	v_accvgpr_write_b32 a15, v0
	s_mov_b64 exec, s[2:3]
	s_cbranch_execz .LBB272_531
; %bb.10:
	v_accvgpr_read_b32 v0, a2
	v_bfe_u32 v5, v0, 2, 4
	v_lshl_add_u64 v[0:1], v[8:9], 0, v[28:29]
	v_lshlrev_b32_e32 v8, 4, v5
	v_mov_b32_e32 v9, 0
	v_lshl_add_u64 v[0:1], v[0:1], 0, v[8:9]
	v_accvgpr_write_b32 a39, v1
	v_accvgpr_write_b32 a38, v0
	scratch_load_dword v1, off, s32 offset:204 ; 4-byte Folded Reload
	v_cmp_eq_u32_e32 vcc, 0, v2
	v_lshlrev_b32_e32 v6, 1, v2
	v_lshlrev_b32_e32 v0, 7, v2
	v_max_i32_e32 v2, v30, v23
	v_accvgpr_write_b32 a37, v0
	v_cvt_f32_u32_e32 v0, v2
	v_accvgpr_write_b32 a42, v2
	s_ashr_i32 s11, s10, 31
	s_lshl_b64 s[4:5], s[10:11], 2
	v_rcp_iflag_f32_e32 v0, v0
	s_getpc_b64 s[6:7]
	s_add_u32 s6, s6, llvm.amdgcn.dynlds.offset.table@rel32@lo+4
	s_addc_u32 s7, s7, llvm.amdgcn.dynlds.offset.table@rel32@hi+12
	s_add_u32 s22, s4, s6
	s_addc_u32 s23, s5, s7
	v_mul_f32_e32 v0, 0x4f7ffffe, v0
	v_cvt_u32_f32_e32 v0, v0
	s_load_dword s11, s[22:23], 0x0
	v_mov_b32_e32 v7, v9
	v_accvgpr_write_b32 a24, v36
	v_accvgpr_write_b32 a22, v26
	;; [unrolled: 1-line block ×16, first 2 shown]
	v_lshl_add_u32 v44, v21, 4, s21
	v_accvgpr_write_b32 a19, v21
	v_accvgpr_write_b32 a36, v5
	s_mov_b64 s[24:25], 0
	s_movk_i32 s35, 0x7f
	s_movk_i32 s36, 0x80
	s_mov_b32 s37, 0x8000
	v_accvgpr_write_b32 a35, v4
	scratch_store_dword off, v22, s32 offset:208 ; 4-byte Folded Spill
	s_waitcnt vmcnt(1)
	v_cmp_neq_f32_e64 s[2:3], 0, v1
	v_sub_u32_e32 v1, 0, v2
	v_mul_lo_u32 v1, v1, v0
	v_mul_hi_u32 v1, v0, v1
	v_accvgpr_read_b32 v2, a12
	v_add_u32_e32 v0, v0, v1
	v_accvgpr_read_b32 v3, a13
	v_accvgpr_write_b32 a44, v0
	v_lshlrev_b64 v[0:1], 2, v[2:3]
	v_lshl_add_u64 v[0:1], v[48:49], 2, v[0:1]
	v_lshl_add_u64 v[0:1], v[14:15], 0, v[0:1]
	v_accvgpr_write_b32 a47, v1
	v_accvgpr_write_b32 a46, v0
	v_lshlrev_b32_e32 v0, 2, v5
	v_lshl_or_b32 v0, v21, 6, v0
	v_accvgpr_write_b32 a43, v0
	v_accvgpr_read_b32 v0, a8
	v_sub_u32_e32 v0, v5, v0
	v_add_u32_e32 v0, 1, v0
	v_accvgpr_write_b32 a45, v0
	v_mbcnt_hi_u32_b32 v0, -1, v4
	v_accvgpr_write_b32 a48, v0
	v_mov_b32_e32 v0, 0xff7fffff
	scratch_store_dword off, v0, s32 offset:200 ; 4-byte Folded Spill
	s_branch .LBB272_13
.LBB272_11:                             ;   in Loop: Header=BB272_13 Depth=1
	s_or_b64 exec, exec, s[26:27]
.LBB272_12:                             ;   in Loop: Header=BB272_13 Depth=1
	s_or_b64 exec, exec, s[6:7]
	s_waitcnt lgkmcnt(0)
	v_accvgpr_read_b32 v0, a46
	v_accvgpr_read_b32 v1, a47
	v_lshl_add_u64 v[0:1], v[0:1], 0, 8
	v_accvgpr_read_b32 v2, a49
	v_accvgpr_write_b32 a47, v1
	v_add_u32_e32 v2, 2, v2
	v_accvgpr_write_b32 a46, v0
	v_accvgpr_read_b32 v0, a11
	v_cmp_ge_i32_e64 s[4:5], v2, v0
	v_accvgpr_read_b32 v0, a43
	v_add_u32_e32 v0, 0x80, v0
	v_add_u32_e32 v44, 32, v44
	s_or_b64 s[24:25], s[4:5], s[24:25]
	v_accvgpr_write_b32 a43, v0
	s_andn2_b64 exec, exec, s[24:25]
	s_cbranch_execz .LBB272_530
.LBB272_13:                             ; =>This Inner Loop Header: Depth=1
	v_ashrrev_i32_e32 v0, 31, v44
	v_accvgpr_read_b32 v1, a9
	v_xor_b32_e32 v0, v0, v1
	v_sub_u32_e32 v1, 0, v44
	v_accvgpr_write_b32 a49, v2
	v_max_i32_e32 v1, v44, v1
	v_accvgpr_read_b32 v2, a7
	v_mul_hi_u32 v2, v1, v2
	v_accvgpr_read_b32 v4, a3
	v_mul_lo_u32 v3, v2, v4
	v_sub_u32_e32 v1, v1, v3
	v_add_u32_e32 v3, 1, v2
	v_cmp_ge_u32_e64 s[4:5], v1, v4
	s_nop 1
	v_cndmask_b32_e64 v2, v2, v3, s[4:5]
	v_sub_u32_e32 v3, v1, v4
	v_cndmask_b32_e64 v1, v1, v3, s[4:5]
	v_add_u32_e32 v3, 1, v2
	v_cmp_ge_u32_e64 s[4:5], v1, v4
	v_accvgpr_read_b32 v4, a44
	s_nop 0
	v_cndmask_b32_e64 v1, v2, v3, s[4:5]
	v_xor_b32_e32 v1, v1, v0
	v_sub_u32_e32 v0, v1, v0
	v_accvgpr_read_b32 v2, a10
	v_add_u32_e32 v1, v0, v2
	v_sub_u32_e32 v3, 0, v1
	v_ashrrev_i32_e32 v2, 31, v1
	v_max_i32_e32 v1, v1, v3
	v_mul_hi_u32 v3, v1, v4
	v_accvgpr_read_b32 v4, a42
	v_mul_lo_u32 v3, v3, v4
	v_sub_u32_e32 v1, v1, v3
	v_sub_u32_e32 v3, v1, v4
	v_cmp_ge_u32_e64 s[4:5], v1, v4
	s_nop 1
	v_cndmask_b32_e64 v1, v1, v3, s[4:5]
	v_sub_u32_e32 v3, v1, v4
	v_cmp_ge_u32_e64 s[4:5], v1, v4
	s_nop 1
	v_cndmask_b32_e64 v1, v1, v3, s[4:5]
	v_xor_b32_e32 v1, v1, v2
	v_sub_u32_e32 v1, v1, v2
	v_cmp_ne_u32_e64 s[4:5], 0, v1
	v_accvgpr_read_b32 v1, a14
	v_cmp_le_i32_e64 s[6:7], v0, v1
	s_and_b64 s[4:5], s[4:5], s[6:7]
	s_and_b64 s[26:27], vcc, s[4:5]
	s_and_saveexec_b64 s[6:7], s[26:27]
	s_cbranch_execz .LBB272_15
; %bb.14:                               ;   in Loop: Header=BB272_13 Depth=1
	v_accvgpr_read_b32 v0, a43
	s_waitcnt lgkmcnt(0)
	v_add_u32_e32 v0, s11, v0
	v_mov_b32_e32 v1, 0xff7fffff
	ds_write_b32 v0, v1
.LBB272_15:                             ;   in Loop: Header=BB272_13 Depth=1
	s_or_b64 exec, exec, s[6:7]
	s_xor_b64 s[4:5], s[4:5], -1
	s_and_saveexec_b64 s[6:7], s[4:5]
	s_cbranch_execz .LBB272_12
; %bb.16:                               ;   in Loop: Header=BB272_13 Depth=1
	v_accvgpr_read_b32 v0, a46
	v_accvgpr_read_b32 v1, a47
	flat_load_dword v0, v[0:1]
	v_accvgpr_read_b32 v4, a38
	v_accvgpr_read_b32 v2, a6
	;; [unrolled: 1-line block ×3, first 2 shown]
                                        ; implicit-def: $sgpr30
	s_waitcnt vmcnt(0) lgkmcnt(0)
	v_mad_i64_i32 v[0:1], s[4:5], v0, v2, v[4:5]
	v_accvgpr_read_b32 v2, a40
	v_accvgpr_read_b32 v3, a41
	v_lshl_add_u64 v[38:39], v[0:1], 0, v[2:3]
	v_accvgpr_read_b32 v2, a32
	flat_load_ushort v0, v[38:39]
	v_accvgpr_read_b32 v3, a33
	flat_load_dword v59, v[2:3]
	s_mov_b64 s[4:5], 0
	s_waitcnt vmcnt(0) lgkmcnt(0)
	v_cmp_gt_i16_sdwa s[26:27], v0, s35 src0_sel:BYTE_0 src1_sel:DWORD
	s_and_saveexec_b64 s[28:29], s[26:27]
	s_xor_b64 s[26:27], exec, s[28:29]
	s_cbranch_execz .LBB272_20
; %bb.17:                               ;   in Loop: Header=BB272_13 Depth=1
	v_cmp_eq_u16_sdwa s[38:39], v0, s36 src0_sel:BYTE_0 src1_sel:DWORD
	s_mov_b64 s[4:5], -1
                                        ; implicit-def: $sgpr30
	s_and_saveexec_b64 s[28:29], s[38:39]
; %bb.18:                               ;   in Loop: Header=BB272_13 Depth=1
	s_mov_b32 s30, 0x7fc02000
	s_xor_b64 s[4:5], exec, -1
; %bb.19:                               ;   in Loop: Header=BB272_13 Depth=1
	s_or_b64 exec, exec, s[28:29]
	s_and_b64 s[4:5], s[4:5], exec
.LBB272_20:                             ;   in Loop: Header=BB272_13 Depth=1
	s_or_saveexec_b64 s[26:27], s[26:27]
	v_mov_b32_e32 v1, s30
	scratch_store_dword off, v1, s32 offset:196 ; 4-byte Folded Spill
	s_xor_b64 exec, exec, s[26:27]
	s_cbranch_execz .LBB272_22
; %bb.21:                               ;   in Loop: Header=BB272_13 Depth=1
	v_cmp_ne_u16_sdwa s[28:29], v0, v9 src0_sel:BYTE_0 src1_sel:DWORD
	s_andn2_b64 s[4:5], s[4:5], exec
	s_and_b64 s[28:29], s[28:29], exec
	v_mov_b32_e32 v1, 0
	s_or_b64 s[4:5], s[4:5], s[28:29]
	scratch_store_dword off, v1, s32 offset:196 ; 4-byte Folded Spill
.LBB272_22:                             ;   in Loop: Header=BB272_13 Depth=1
	s_or_b64 exec, exec, s[26:27]
	v_and_b32_e32 v8, 0xffff, v0
	s_and_saveexec_b64 s[26:27], s[4:5]
	s_cbranch_execz .LBB272_24
; %bb.23:                               ;   in Loop: Header=BB272_13 Depth=1
	v_and_b32_e32 v2, 7, v8
	v_ffbh_u32_e32 v0, v2
	v_min_u32_e32 v4, 32, v0
	v_subrev_u32_e32 v0, 28, v4
	v_bfe_u32 v3, v8, 3, 4
	v_lshlrev_b64 v[0:1], v0, v[8:9]
	v_sub_u32_e32 v1, 29, v4
	v_cmp_eq_u32_e64 s[4:5], 0, v3
	v_and_b32_e32 v0, 7, v0
	s_nop 0
	v_cndmask_b32_e64 v1, v3, v1, s[4:5]
	v_mov_b32_e32 v3, 0x1c00
	v_cndmask_b32_e64 v0, v2, v0, s[4:5]
	v_lshlrev_b32_e32 v2, 8, v8
	v_lshl_add_u32 v1, v1, 10, v3
	v_and_or_b32 v1, v2, s37, v1
	v_lshl_or_b32 v0, v0, 7, v1
	v_cvt_f32_f16_e32 v0, v0
	scratch_store_dword off, v0, s32 offset:196 ; 4-byte Folded Spill
.LBB272_24:                             ;   in Loop: Header=BB272_13 Depth=1
	s_or_b64 exec, exec, s[26:27]
	v_lshrrev_b16_e32 v8, 8, v8
	v_cmp_lt_i16_e64 s[4:5], s35, v8
	s_mov_b64 s[26:27], 0
                                        ; implicit-def: $sgpr38
	s_and_saveexec_b64 s[28:29], s[4:5]
	s_xor_b64 s[28:29], exec, s[28:29]
	s_cbranch_execnz .LBB272_282
; %bb.25:                               ;   in Loop: Header=BB272_13 Depth=1
	s_or_saveexec_b64 s[28:29], s[28:29]
	v_mov_b32_e32 v11, s38
	s_xor_b64 exec, exec, s[28:29]
	s_cbranch_execnz .LBB272_285
.LBB272_26:                             ;   in Loop: Header=BB272_13 Depth=1
	s_or_b64 exec, exec, s[28:29]
	s_and_saveexec_b64 s[28:29], s[26:27]
	s_cbranch_execz .LBB272_28
.LBB272_27:                             ;   in Loop: Header=BB272_13 Depth=1
	v_and_b32_e32 v2, 7, v8
	v_ffbh_u32_e32 v0, v2
	v_min_u32_e32 v4, 32, v0
	v_subrev_u32_e32 v0, 28, v4
	v_bfe_u32 v3, v8, 3, 4
	v_lshlrev_b64 v[0:1], v0, v[8:9]
	v_sub_u32_e32 v1, 29, v4
	v_cmp_eq_u32_e64 s[4:5], 0, v3
	v_and_b32_e32 v0, 7, v0
	s_nop 0
	v_cndmask_b32_e64 v1, v3, v1, s[4:5]
	v_mov_b32_e32 v3, 0x1c00
	v_cndmask_b32_e64 v0, v2, v0, s[4:5]
	v_lshlrev_b32_e32 v2, 8, v8
	v_lshl_add_u32 v1, v1, 10, v3
	v_and_or_b32 v1, v2, s37, v1
	v_lshl_or_b32 v0, v0, 7, v1
	v_cvt_f32_f16_e32 v11, v0
.LBB272_28:                             ;   in Loop: Header=BB272_13 Depth=1
	s_or_b64 exec, exec, s[28:29]
	flat_load_ushort v0, v[38:39] offset:8
	s_mov_b64 s[4:5], 0
                                        ; implicit-def: $sgpr30
	s_waitcnt vmcnt(0) lgkmcnt(0)
	v_cmp_gt_i16_sdwa s[26:27], v0, s35 src0_sel:BYTE_0 src1_sel:DWORD
	s_and_saveexec_b64 s[28:29], s[26:27]
	s_xor_b64 s[26:27], exec, s[28:29]
	s_cbranch_execnz .LBB272_286
; %bb.29:                               ;   in Loop: Header=BB272_13 Depth=1
	s_or_saveexec_b64 s[26:27], s[26:27]
	v_mov_b32_e32 v13, s30
	s_xor_b64 exec, exec, s[26:27]
	s_cbranch_execnz .LBB272_289
.LBB272_30:                             ;   in Loop: Header=BB272_13 Depth=1
	s_or_b64 exec, exec, s[26:27]
	v_and_b32_e32 v8, 0xffff, v0
	s_and_saveexec_b64 s[26:27], s[4:5]
	s_cbranch_execz .LBB272_32
.LBB272_31:                             ;   in Loop: Header=BB272_13 Depth=1
	v_and_b32_e32 v2, 7, v8
	v_ffbh_u32_e32 v0, v2
	v_min_u32_e32 v4, 32, v0
	v_subrev_u32_e32 v0, 28, v4
	v_bfe_u32 v3, v8, 3, 4
	v_lshlrev_b64 v[0:1], v0, v[8:9]
	v_sub_u32_e32 v1, 29, v4
	v_cmp_eq_u32_e64 s[4:5], 0, v3
	v_and_b32_e32 v0, 7, v0
	s_nop 0
	v_cndmask_b32_e64 v1, v3, v1, s[4:5]
	v_mov_b32_e32 v3, 0x1c00
	v_cndmask_b32_e64 v0, v2, v0, s[4:5]
	v_lshlrev_b32_e32 v2, 8, v8
	v_lshl_add_u32 v1, v1, 10, v3
	v_and_or_b32 v1, v2, s37, v1
	v_lshl_or_b32 v0, v0, 7, v1
	v_cvt_f32_f16_e32 v13, v0
.LBB272_32:                             ;   in Loop: Header=BB272_13 Depth=1
	s_or_b64 exec, exec, s[26:27]
	v_lshrrev_b16_e32 v8, 8, v8
	v_cmp_lt_i16_e64 s[4:5], s35, v8
	s_mov_b64 s[26:27], 0
                                        ; implicit-def: $sgpr38
	s_and_saveexec_b64 s[28:29], s[4:5]
	s_xor_b64 s[28:29], exec, s[28:29]
	s_cbranch_execnz .LBB272_290
; %bb.33:                               ;   in Loop: Header=BB272_13 Depth=1
	s_or_saveexec_b64 s[28:29], s[28:29]
	v_mov_b32_e32 v18, s38
	s_xor_b64 exec, exec, s[28:29]
	s_cbranch_execnz .LBB272_293
.LBB272_34:                             ;   in Loop: Header=BB272_13 Depth=1
	s_or_b64 exec, exec, s[28:29]
	s_and_saveexec_b64 s[28:29], s[26:27]
	s_cbranch_execz .LBB272_36
.LBB272_35:                             ;   in Loop: Header=BB272_13 Depth=1
	v_and_b32_e32 v2, 7, v8
	v_ffbh_u32_e32 v0, v2
	v_min_u32_e32 v4, 32, v0
	v_subrev_u32_e32 v0, 28, v4
	v_bfe_u32 v3, v8, 3, 4
	v_lshlrev_b64 v[0:1], v0, v[8:9]
	v_sub_u32_e32 v1, 29, v4
	v_cmp_eq_u32_e64 s[4:5], 0, v3
	v_and_b32_e32 v0, 7, v0
	s_nop 0
	v_cndmask_b32_e64 v1, v3, v1, s[4:5]
	v_mov_b32_e32 v3, 0x1c00
	v_cndmask_b32_e64 v0, v2, v0, s[4:5]
	v_lshlrev_b32_e32 v2, 8, v8
	v_lshl_add_u32 v1, v1, 10, v3
	v_and_or_b32 v1, v2, s37, v1
	v_lshl_or_b32 v0, v0, 7, v1
	v_cvt_f32_f16_e32 v18, v0
.LBB272_36:                             ;   in Loop: Header=BB272_13 Depth=1
	s_or_b64 exec, exec, s[28:29]
	flat_load_ushort v0, v[38:39] offset:256
	s_mov_b64 s[4:5], 0
                                        ; implicit-def: $sgpr30
	s_waitcnt vmcnt(0) lgkmcnt(0)
	v_cmp_gt_i16_sdwa s[26:27], v0, s35 src0_sel:BYTE_0 src1_sel:DWORD
	s_and_saveexec_b64 s[28:29], s[26:27]
	s_xor_b64 s[26:27], exec, s[28:29]
	s_cbranch_execnz .LBB272_294
; %bb.37:                               ;   in Loop: Header=BB272_13 Depth=1
	s_or_saveexec_b64 s[26:27], s[26:27]
	v_mov_b32_e32 v19, s30
	s_xor_b64 exec, exec, s[26:27]
	s_cbranch_execnz .LBB272_297
.LBB272_38:                             ;   in Loop: Header=BB272_13 Depth=1
	s_or_b64 exec, exec, s[26:27]
	v_and_b32_e32 v8, 0xffff, v0
	s_and_saveexec_b64 s[26:27], s[4:5]
	s_cbranch_execz .LBB272_40
.LBB272_39:                             ;   in Loop: Header=BB272_13 Depth=1
	v_and_b32_e32 v2, 7, v8
	v_ffbh_u32_e32 v0, v2
	v_min_u32_e32 v4, 32, v0
	v_subrev_u32_e32 v0, 28, v4
	v_bfe_u32 v3, v8, 3, 4
	v_lshlrev_b64 v[0:1], v0, v[8:9]
	v_sub_u32_e32 v1, 29, v4
	v_cmp_eq_u32_e64 s[4:5], 0, v3
	v_and_b32_e32 v0, 7, v0
	s_nop 0
	v_cndmask_b32_e64 v1, v3, v1, s[4:5]
	v_mov_b32_e32 v3, 0x1c00
	v_cndmask_b32_e64 v0, v2, v0, s[4:5]
	v_lshlrev_b32_e32 v2, 8, v8
	v_lshl_add_u32 v1, v1, 10, v3
	v_and_or_b32 v1, v2, s37, v1
	v_lshl_or_b32 v0, v0, 7, v1
	v_cvt_f32_f16_e32 v19, v0
.LBB272_40:                             ;   in Loop: Header=BB272_13 Depth=1
	s_or_b64 exec, exec, s[26:27]
	v_lshrrev_b16_e32 v8, 8, v8
	v_cmp_lt_i16_e64 s[4:5], s35, v8
	s_mov_b64 s[26:27], 0
                                        ; implicit-def: $sgpr38
	s_and_saveexec_b64 s[28:29], s[4:5]
	s_xor_b64 s[28:29], exec, s[28:29]
	s_cbranch_execnz .LBB272_298
; %bb.41:                               ;   in Loop: Header=BB272_13 Depth=1
	s_or_saveexec_b64 s[28:29], s[28:29]
	v_mov_b32_e32 v20, s38
	s_xor_b64 exec, exec, s[28:29]
	s_cbranch_execnz .LBB272_301
.LBB272_42:                             ;   in Loop: Header=BB272_13 Depth=1
	s_or_b64 exec, exec, s[28:29]
	s_and_saveexec_b64 s[28:29], s[26:27]
	s_cbranch_execz .LBB272_44
.LBB272_43:                             ;   in Loop: Header=BB272_13 Depth=1
	v_and_b32_e32 v2, 7, v8
	v_ffbh_u32_e32 v0, v2
	v_min_u32_e32 v4, 32, v0
	v_subrev_u32_e32 v0, 28, v4
	v_bfe_u32 v3, v8, 3, 4
	v_lshlrev_b64 v[0:1], v0, v[8:9]
	v_sub_u32_e32 v1, 29, v4
	v_cmp_eq_u32_e64 s[4:5], 0, v3
	v_and_b32_e32 v0, 7, v0
	s_nop 0
	v_cndmask_b32_e64 v1, v3, v1, s[4:5]
	v_mov_b32_e32 v3, 0x1c00
	v_cndmask_b32_e64 v0, v2, v0, s[4:5]
	v_lshlrev_b32_e32 v2, 8, v8
	v_lshl_add_u32 v1, v1, 10, v3
	v_and_or_b32 v1, v2, s37, v1
	v_lshl_or_b32 v0, v0, 7, v1
	v_cvt_f32_f16_e32 v20, v0
.LBB272_44:                             ;   in Loop: Header=BB272_13 Depth=1
	s_or_b64 exec, exec, s[28:29]
	flat_load_ushort v0, v[38:39] offset:264
	s_mov_b64 s[4:5], 0
                                        ; implicit-def: $sgpr30
	s_waitcnt vmcnt(0) lgkmcnt(0)
	v_cmp_gt_i16_sdwa s[26:27], v0, s35 src0_sel:BYTE_0 src1_sel:DWORD
	s_and_saveexec_b64 s[28:29], s[26:27]
	s_xor_b64 s[26:27], exec, s[28:29]
	s_cbranch_execnz .LBB272_302
; %bb.45:                               ;   in Loop: Header=BB272_13 Depth=1
	s_or_saveexec_b64 s[26:27], s[26:27]
	v_mov_b32_e32 v21, s30
	s_xor_b64 exec, exec, s[26:27]
	s_cbranch_execnz .LBB272_305
.LBB272_46:                             ;   in Loop: Header=BB272_13 Depth=1
	s_or_b64 exec, exec, s[26:27]
	v_and_b32_e32 v8, 0xffff, v0
	s_and_saveexec_b64 s[26:27], s[4:5]
	s_cbranch_execz .LBB272_48
.LBB272_47:                             ;   in Loop: Header=BB272_13 Depth=1
	v_and_b32_e32 v2, 7, v8
	v_ffbh_u32_e32 v0, v2
	v_min_u32_e32 v4, 32, v0
	v_subrev_u32_e32 v0, 28, v4
	v_bfe_u32 v3, v8, 3, 4
	v_lshlrev_b64 v[0:1], v0, v[8:9]
	v_sub_u32_e32 v1, 29, v4
	v_cmp_eq_u32_e64 s[4:5], 0, v3
	v_and_b32_e32 v0, 7, v0
	s_nop 0
	v_cndmask_b32_e64 v1, v3, v1, s[4:5]
	v_mov_b32_e32 v3, 0x1c00
	v_cndmask_b32_e64 v0, v2, v0, s[4:5]
	v_lshlrev_b32_e32 v2, 8, v8
	v_lshl_add_u32 v1, v1, 10, v3
	v_and_or_b32 v1, v2, s37, v1
	v_lshl_or_b32 v0, v0, 7, v1
	v_cvt_f32_f16_e32 v21, v0
.LBB272_48:                             ;   in Loop: Header=BB272_13 Depth=1
	s_or_b64 exec, exec, s[26:27]
	v_lshrrev_b16_e32 v8, 8, v8
	v_cmp_lt_i16_e64 s[4:5], s35, v8
	s_mov_b64 s[26:27], 0
                                        ; implicit-def: $sgpr38
	s_and_saveexec_b64 s[28:29], s[4:5]
	s_xor_b64 s[28:29], exec, s[28:29]
	s_cbranch_execnz .LBB272_306
; %bb.49:                               ;   in Loop: Header=BB272_13 Depth=1
	s_or_saveexec_b64 s[28:29], s[28:29]
	v_mov_b32_e32 v22, s38
	s_xor_b64 exec, exec, s[28:29]
	s_cbranch_execnz .LBB272_309
.LBB272_50:                             ;   in Loop: Header=BB272_13 Depth=1
	s_or_b64 exec, exec, s[28:29]
	s_and_saveexec_b64 s[28:29], s[26:27]
	s_cbranch_execz .LBB272_52
.LBB272_51:                             ;   in Loop: Header=BB272_13 Depth=1
	v_and_b32_e32 v2, 7, v8
	v_ffbh_u32_e32 v0, v2
	v_min_u32_e32 v4, 32, v0
	v_subrev_u32_e32 v0, 28, v4
	v_bfe_u32 v3, v8, 3, 4
	v_lshlrev_b64 v[0:1], v0, v[8:9]
	v_sub_u32_e32 v1, 29, v4
	v_cmp_eq_u32_e64 s[4:5], 0, v3
	v_and_b32_e32 v0, 7, v0
	s_nop 0
	v_cndmask_b32_e64 v1, v3, v1, s[4:5]
	v_mov_b32_e32 v3, 0x1c00
	v_cndmask_b32_e64 v0, v2, v0, s[4:5]
	v_lshlrev_b32_e32 v2, 8, v8
	v_lshl_add_u32 v1, v1, 10, v3
	v_and_or_b32 v1, v2, s37, v1
	v_lshl_or_b32 v0, v0, 7, v1
	v_cvt_f32_f16_e32 v22, v0
.LBB272_52:                             ;   in Loop: Header=BB272_13 Depth=1
	s_or_b64 exec, exec, s[28:29]
	flat_load_ushort v0, v[38:39] offset:512
	s_mov_b64 s[4:5], 0
                                        ; implicit-def: $sgpr30
	s_waitcnt vmcnt(0) lgkmcnt(0)
	v_cmp_gt_i16_sdwa s[26:27], v0, s35 src0_sel:BYTE_0 src1_sel:DWORD
	s_and_saveexec_b64 s[28:29], s[26:27]
	s_xor_b64 s[26:27], exec, s[28:29]
	s_cbranch_execnz .LBB272_310
; %bb.53:                               ;   in Loop: Header=BB272_13 Depth=1
	s_or_saveexec_b64 s[26:27], s[26:27]
	v_mov_b32_e32 v23, s30
	s_xor_b64 exec, exec, s[26:27]
	s_cbranch_execnz .LBB272_313
.LBB272_54:                             ;   in Loop: Header=BB272_13 Depth=1
	s_or_b64 exec, exec, s[26:27]
	v_and_b32_e32 v8, 0xffff, v0
	s_and_saveexec_b64 s[26:27], s[4:5]
	s_cbranch_execz .LBB272_56
.LBB272_55:                             ;   in Loop: Header=BB272_13 Depth=1
	v_and_b32_e32 v2, 7, v8
	v_ffbh_u32_e32 v0, v2
	v_min_u32_e32 v4, 32, v0
	v_subrev_u32_e32 v0, 28, v4
	v_bfe_u32 v3, v8, 3, 4
	v_lshlrev_b64 v[0:1], v0, v[8:9]
	v_sub_u32_e32 v1, 29, v4
	v_cmp_eq_u32_e64 s[4:5], 0, v3
	v_and_b32_e32 v0, 7, v0
	s_nop 0
	v_cndmask_b32_e64 v1, v3, v1, s[4:5]
	v_mov_b32_e32 v3, 0x1c00
	v_cndmask_b32_e64 v0, v2, v0, s[4:5]
	v_lshlrev_b32_e32 v2, 8, v8
	v_lshl_add_u32 v1, v1, 10, v3
	v_and_or_b32 v1, v2, s37, v1
	v_lshl_or_b32 v0, v0, 7, v1
	v_cvt_f32_f16_e32 v23, v0
.LBB272_56:                             ;   in Loop: Header=BB272_13 Depth=1
	s_or_b64 exec, exec, s[26:27]
	v_lshrrev_b16_e32 v8, 8, v8
	v_cmp_lt_i16_e64 s[4:5], s35, v8
	s_mov_b64 s[26:27], 0
                                        ; implicit-def: $sgpr38
	s_and_saveexec_b64 s[28:29], s[4:5]
	s_xor_b64 s[28:29], exec, s[28:29]
	s_cbranch_execnz .LBB272_314
; %bb.57:                               ;   in Loop: Header=BB272_13 Depth=1
	s_or_saveexec_b64 s[28:29], s[28:29]
	v_mov_b32_e32 v24, s38
	s_xor_b64 exec, exec, s[28:29]
	s_cbranch_execnz .LBB272_317
.LBB272_58:                             ;   in Loop: Header=BB272_13 Depth=1
	s_or_b64 exec, exec, s[28:29]
	s_and_saveexec_b64 s[28:29], s[26:27]
	s_cbranch_execz .LBB272_60
.LBB272_59:                             ;   in Loop: Header=BB272_13 Depth=1
	v_and_b32_e32 v2, 7, v8
	v_ffbh_u32_e32 v0, v2
	v_min_u32_e32 v4, 32, v0
	v_subrev_u32_e32 v0, 28, v4
	v_bfe_u32 v3, v8, 3, 4
	v_lshlrev_b64 v[0:1], v0, v[8:9]
	v_sub_u32_e32 v1, 29, v4
	v_cmp_eq_u32_e64 s[4:5], 0, v3
	v_and_b32_e32 v0, 7, v0
	s_nop 0
	v_cndmask_b32_e64 v1, v3, v1, s[4:5]
	v_mov_b32_e32 v3, 0x1c00
	v_cndmask_b32_e64 v0, v2, v0, s[4:5]
	v_lshlrev_b32_e32 v2, 8, v8
	v_lshl_add_u32 v1, v1, 10, v3
	v_and_or_b32 v1, v2, s37, v1
	v_lshl_or_b32 v0, v0, 7, v1
	v_cvt_f32_f16_e32 v24, v0
.LBB272_60:                             ;   in Loop: Header=BB272_13 Depth=1
	s_or_b64 exec, exec, s[28:29]
	flat_load_ushort v0, v[38:39] offset:520
	s_mov_b64 s[4:5], 0
                                        ; implicit-def: $sgpr30
	s_waitcnt vmcnt(0) lgkmcnt(0)
	v_cmp_gt_i16_sdwa s[26:27], v0, s35 src0_sel:BYTE_0 src1_sel:DWORD
	s_and_saveexec_b64 s[28:29], s[26:27]
	s_xor_b64 s[26:27], exec, s[28:29]
	s_cbranch_execnz .LBB272_318
; %bb.61:                               ;   in Loop: Header=BB272_13 Depth=1
	s_or_saveexec_b64 s[26:27], s[26:27]
	v_mov_b32_e32 v25, s30
	s_xor_b64 exec, exec, s[26:27]
	s_cbranch_execnz .LBB272_321
.LBB272_62:                             ;   in Loop: Header=BB272_13 Depth=1
	s_or_b64 exec, exec, s[26:27]
	v_and_b32_e32 v8, 0xffff, v0
	s_and_saveexec_b64 s[26:27], s[4:5]
	s_cbranch_execz .LBB272_64
.LBB272_63:                             ;   in Loop: Header=BB272_13 Depth=1
	v_and_b32_e32 v2, 7, v8
	v_ffbh_u32_e32 v0, v2
	v_min_u32_e32 v4, 32, v0
	v_subrev_u32_e32 v0, 28, v4
	v_bfe_u32 v3, v8, 3, 4
	v_lshlrev_b64 v[0:1], v0, v[8:9]
	v_sub_u32_e32 v1, 29, v4
	v_cmp_eq_u32_e64 s[4:5], 0, v3
	v_and_b32_e32 v0, 7, v0
	s_nop 0
	v_cndmask_b32_e64 v1, v3, v1, s[4:5]
	v_mov_b32_e32 v3, 0x1c00
	v_cndmask_b32_e64 v0, v2, v0, s[4:5]
	v_lshlrev_b32_e32 v2, 8, v8
	v_lshl_add_u32 v1, v1, 10, v3
	v_and_or_b32 v1, v2, s37, v1
	v_lshl_or_b32 v0, v0, 7, v1
	v_cvt_f32_f16_e32 v25, v0
.LBB272_64:                             ;   in Loop: Header=BB272_13 Depth=1
	s_or_b64 exec, exec, s[26:27]
	v_lshrrev_b16_e32 v8, 8, v8
	v_cmp_lt_i16_e64 s[4:5], s35, v8
	s_mov_b64 s[26:27], 0
                                        ; implicit-def: $sgpr38
	s_and_saveexec_b64 s[28:29], s[4:5]
	s_xor_b64 s[28:29], exec, s[28:29]
	s_cbranch_execnz .LBB272_322
; %bb.65:                               ;   in Loop: Header=BB272_13 Depth=1
	s_or_saveexec_b64 s[28:29], s[28:29]
	v_mov_b32_e32 v32, s38
	s_xor_b64 exec, exec, s[28:29]
	s_cbranch_execnz .LBB272_325
.LBB272_66:                             ;   in Loop: Header=BB272_13 Depth=1
	s_or_b64 exec, exec, s[28:29]
	s_and_saveexec_b64 s[28:29], s[26:27]
	s_cbranch_execz .LBB272_68
.LBB272_67:                             ;   in Loop: Header=BB272_13 Depth=1
	v_and_b32_e32 v2, 7, v8
	v_ffbh_u32_e32 v0, v2
	v_min_u32_e32 v4, 32, v0
	v_subrev_u32_e32 v0, 28, v4
	v_bfe_u32 v3, v8, 3, 4
	v_lshlrev_b64 v[0:1], v0, v[8:9]
	v_sub_u32_e32 v1, 29, v4
	v_cmp_eq_u32_e64 s[4:5], 0, v3
	v_and_b32_e32 v0, 7, v0
	s_nop 0
	v_cndmask_b32_e64 v1, v3, v1, s[4:5]
	v_mov_b32_e32 v3, 0x1c00
	v_cndmask_b32_e64 v0, v2, v0, s[4:5]
	v_lshlrev_b32_e32 v2, 8, v8
	v_lshl_add_u32 v1, v1, 10, v3
	v_and_or_b32 v1, v2, s37, v1
	v_lshl_or_b32 v0, v0, 7, v1
	v_cvt_f32_f16_e32 v32, v0
.LBB272_68:                             ;   in Loop: Header=BB272_13 Depth=1
	s_or_b64 exec, exec, s[28:29]
	flat_load_ushort v0, v[38:39] offset:768
	s_mov_b64 s[4:5], 0
                                        ; implicit-def: $sgpr30
	s_waitcnt vmcnt(0) lgkmcnt(0)
	v_cmp_gt_i16_sdwa s[26:27], v0, s35 src0_sel:BYTE_0 src1_sel:DWORD
	s_and_saveexec_b64 s[28:29], s[26:27]
	s_xor_b64 s[26:27], exec, s[28:29]
	s_cbranch_execnz .LBB272_326
; %bb.69:                               ;   in Loop: Header=BB272_13 Depth=1
	s_or_saveexec_b64 s[26:27], s[26:27]
	v_mov_b32_e32 v33, s30
	s_xor_b64 exec, exec, s[26:27]
	s_cbranch_execnz .LBB272_329
.LBB272_70:                             ;   in Loop: Header=BB272_13 Depth=1
	s_or_b64 exec, exec, s[26:27]
	v_and_b32_e32 v8, 0xffff, v0
	s_and_saveexec_b64 s[26:27], s[4:5]
	s_cbranch_execz .LBB272_72
.LBB272_71:                             ;   in Loop: Header=BB272_13 Depth=1
	v_and_b32_e32 v2, 7, v8
	v_ffbh_u32_e32 v0, v2
	v_min_u32_e32 v4, 32, v0
	v_subrev_u32_e32 v0, 28, v4
	v_bfe_u32 v3, v8, 3, 4
	v_lshlrev_b64 v[0:1], v0, v[8:9]
	v_sub_u32_e32 v1, 29, v4
	v_cmp_eq_u32_e64 s[4:5], 0, v3
	v_and_b32_e32 v0, 7, v0
	s_nop 0
	v_cndmask_b32_e64 v1, v3, v1, s[4:5]
	v_mov_b32_e32 v3, 0x1c00
	v_cndmask_b32_e64 v0, v2, v0, s[4:5]
	v_lshlrev_b32_e32 v2, 8, v8
	v_lshl_add_u32 v1, v1, 10, v3
	v_and_or_b32 v1, v2, s37, v1
	v_lshl_or_b32 v0, v0, 7, v1
	v_cvt_f32_f16_e32 v33, v0
.LBB272_72:                             ;   in Loop: Header=BB272_13 Depth=1
	s_or_b64 exec, exec, s[26:27]
	v_lshrrev_b16_e32 v8, 8, v8
	v_cmp_lt_i16_e64 s[4:5], s35, v8
	s_mov_b64 s[26:27], 0
                                        ; implicit-def: $sgpr38
	s_and_saveexec_b64 s[28:29], s[4:5]
	s_xor_b64 s[28:29], exec, s[28:29]
	s_cbranch_execnz .LBB272_330
; %bb.73:                               ;   in Loop: Header=BB272_13 Depth=1
	s_or_saveexec_b64 s[28:29], s[28:29]
	v_mov_b32_e32 v34, s38
	s_xor_b64 exec, exec, s[28:29]
	s_cbranch_execnz .LBB272_333
.LBB272_74:                             ;   in Loop: Header=BB272_13 Depth=1
	s_or_b64 exec, exec, s[28:29]
	s_and_saveexec_b64 s[28:29], s[26:27]
	s_cbranch_execz .LBB272_76
.LBB272_75:                             ;   in Loop: Header=BB272_13 Depth=1
	v_and_b32_e32 v2, 7, v8
	v_ffbh_u32_e32 v0, v2
	v_min_u32_e32 v4, 32, v0
	v_subrev_u32_e32 v0, 28, v4
	v_bfe_u32 v3, v8, 3, 4
	v_lshlrev_b64 v[0:1], v0, v[8:9]
	v_sub_u32_e32 v1, 29, v4
	v_cmp_eq_u32_e64 s[4:5], 0, v3
	v_and_b32_e32 v0, 7, v0
	s_nop 0
	v_cndmask_b32_e64 v1, v3, v1, s[4:5]
	v_mov_b32_e32 v3, 0x1c00
	v_cndmask_b32_e64 v0, v2, v0, s[4:5]
	v_lshlrev_b32_e32 v2, 8, v8
	v_lshl_add_u32 v1, v1, 10, v3
	v_and_or_b32 v1, v2, s37, v1
	v_lshl_or_b32 v0, v0, 7, v1
	v_cvt_f32_f16_e32 v34, v0
.LBB272_76:                             ;   in Loop: Header=BB272_13 Depth=1
	s_or_b64 exec, exec, s[28:29]
	flat_load_ushort v0, v[38:39] offset:776
	s_mov_b64 s[4:5], 0
                                        ; implicit-def: $sgpr30
	s_waitcnt vmcnt(0) lgkmcnt(0)
	v_cmp_gt_i16_sdwa s[26:27], v0, s35 src0_sel:BYTE_0 src1_sel:DWORD
	s_and_saveexec_b64 s[28:29], s[26:27]
	s_xor_b64 s[26:27], exec, s[28:29]
	s_cbranch_execnz .LBB272_334
; %bb.77:                               ;   in Loop: Header=BB272_13 Depth=1
	s_or_saveexec_b64 s[26:27], s[26:27]
	v_mov_b32_e32 v10, s30
	s_xor_b64 exec, exec, s[26:27]
	s_cbranch_execnz .LBB272_337
.LBB272_78:                             ;   in Loop: Header=BB272_13 Depth=1
	s_or_b64 exec, exec, s[26:27]
	v_and_b32_e32 v8, 0xffff, v0
	s_and_saveexec_b64 s[26:27], s[4:5]
	s_cbranch_execz .LBB272_80
.LBB272_79:                             ;   in Loop: Header=BB272_13 Depth=1
	v_and_b32_e32 v2, 7, v8
	v_ffbh_u32_e32 v0, v2
	v_min_u32_e32 v4, 32, v0
	v_subrev_u32_e32 v0, 28, v4
	v_bfe_u32 v3, v8, 3, 4
	v_lshlrev_b64 v[0:1], v0, v[8:9]
	v_sub_u32_e32 v1, 29, v4
	v_cmp_eq_u32_e64 s[4:5], 0, v3
	v_and_b32_e32 v0, 7, v0
	s_nop 0
	v_cndmask_b32_e64 v1, v3, v1, s[4:5]
	v_mov_b32_e32 v3, 0x1c00
	v_cndmask_b32_e64 v0, v2, v0, s[4:5]
	v_lshlrev_b32_e32 v2, 8, v8
	v_lshl_add_u32 v1, v1, 10, v3
	v_and_or_b32 v1, v2, s37, v1
	v_lshl_or_b32 v0, v0, 7, v1
	v_cvt_f32_f16_e32 v10, v0
.LBB272_80:                             ;   in Loop: Header=BB272_13 Depth=1
	s_or_b64 exec, exec, s[26:27]
	v_lshrrev_b16_e32 v8, 8, v8
	v_cmp_lt_i16_e64 s[4:5], s35, v8
	s_mov_b64 s[26:27], 0
                                        ; implicit-def: $sgpr38
	s_and_saveexec_b64 s[28:29], s[4:5]
	s_xor_b64 s[28:29], exec, s[28:29]
	s_cbranch_execnz .LBB272_338
; %bb.81:                               ;   in Loop: Header=BB272_13 Depth=1
	s_or_saveexec_b64 s[28:29], s[28:29]
	v_mov_b32_e32 v0, s38
	s_xor_b64 exec, exec, s[28:29]
	s_cbranch_execnz .LBB272_341
.LBB272_82:                             ;   in Loop: Header=BB272_13 Depth=1
	s_or_b64 exec, exec, s[28:29]
	s_and_saveexec_b64 s[28:29], s[26:27]
	s_cbranch_execz .LBB272_84
.LBB272_83:                             ;   in Loop: Header=BB272_13 Depth=1
	v_and_b32_e32 v2, 7, v8
	v_ffbh_u32_e32 v0, v2
	v_min_u32_e32 v4, 32, v0
	v_subrev_u32_e32 v0, 28, v4
	v_bfe_u32 v3, v8, 3, 4
	v_lshlrev_b64 v[0:1], v0, v[8:9]
	v_sub_u32_e32 v1, 29, v4
	v_cmp_eq_u32_e64 s[4:5], 0, v3
	v_and_b32_e32 v0, 7, v0
	s_nop 0
	v_cndmask_b32_e64 v1, v3, v1, s[4:5]
	v_mov_b32_e32 v3, 0x1c00
	v_cndmask_b32_e64 v0, v2, v0, s[4:5]
	v_lshlrev_b32_e32 v2, 8, v8
	v_lshl_add_u32 v1, v1, 10, v3
	v_and_or_b32 v1, v2, s37, v1
	v_lshl_or_b32 v0, v0, 7, v1
	v_cvt_f32_f16_e32 v0, v0
.LBB272_84:                             ;   in Loop: Header=BB272_13 Depth=1
	s_or_b64 exec, exec, s[28:29]
	v_accvgpr_write_b32 a60, v0
	flat_load_ushort v0, v[38:39] offset:1024
	s_mov_b64 s[4:5], 0
                                        ; implicit-def: $sgpr30
	s_waitcnt vmcnt(0) lgkmcnt(0)
	v_cmp_gt_i16_sdwa s[26:27], v0, s35 src0_sel:BYTE_0 src1_sel:DWORD
	s_and_saveexec_b64 s[28:29], s[26:27]
	s_xor_b64 s[26:27], exec, s[28:29]
	s_cbranch_execnz .LBB272_342
; %bb.85:                               ;   in Loop: Header=BB272_13 Depth=1
	s_or_saveexec_b64 s[26:27], s[26:27]
	v_mov_b32_e32 v50, s30
	s_xor_b64 exec, exec, s[26:27]
	s_cbranch_execnz .LBB272_345
.LBB272_86:                             ;   in Loop: Header=BB272_13 Depth=1
	s_or_b64 exec, exec, s[26:27]
	v_and_b32_e32 v8, 0xffff, v0
	s_and_saveexec_b64 s[26:27], s[4:5]
	s_cbranch_execz .LBB272_88
.LBB272_87:                             ;   in Loop: Header=BB272_13 Depth=1
	v_and_b32_e32 v2, 7, v8
	v_ffbh_u32_e32 v0, v2
	v_min_u32_e32 v4, 32, v0
	v_subrev_u32_e32 v0, 28, v4
	v_bfe_u32 v3, v8, 3, 4
	v_lshlrev_b64 v[0:1], v0, v[8:9]
	v_sub_u32_e32 v1, 29, v4
	v_cmp_eq_u32_e64 s[4:5], 0, v3
	v_and_b32_e32 v0, 7, v0
	s_nop 0
	v_cndmask_b32_e64 v1, v3, v1, s[4:5]
	v_mov_b32_e32 v3, 0x1c00
	v_cndmask_b32_e64 v0, v2, v0, s[4:5]
	v_lshlrev_b32_e32 v2, 8, v8
	v_lshl_add_u32 v1, v1, 10, v3
	v_and_or_b32 v1, v2, s37, v1
	v_lshl_or_b32 v0, v0, 7, v1
	v_cvt_f32_f16_e32 v50, v0
.LBB272_88:                             ;   in Loop: Header=BB272_13 Depth=1
	s_or_b64 exec, exec, s[26:27]
	v_lshrrev_b16_e32 v8, 8, v8
	v_cmp_lt_i16_e64 s[4:5], s35, v8
	s_mov_b64 s[26:27], 0
                                        ; implicit-def: $sgpr38
	s_and_saveexec_b64 s[28:29], s[4:5]
	s_xor_b64 s[28:29], exec, s[28:29]
	s_cbranch_execnz .LBB272_346
; %bb.89:                               ;   in Loop: Header=BB272_13 Depth=1
	s_or_saveexec_b64 s[28:29], s[28:29]
	v_mov_b32_e32 v51, s38
	s_xor_b64 exec, exec, s[28:29]
	s_cbranch_execnz .LBB272_349
.LBB272_90:                             ;   in Loop: Header=BB272_13 Depth=1
	s_or_b64 exec, exec, s[28:29]
	s_and_saveexec_b64 s[28:29], s[26:27]
	s_cbranch_execz .LBB272_92
.LBB272_91:                             ;   in Loop: Header=BB272_13 Depth=1
	v_and_b32_e32 v2, 7, v8
	v_ffbh_u32_e32 v0, v2
	v_min_u32_e32 v4, 32, v0
	v_subrev_u32_e32 v0, 28, v4
	v_bfe_u32 v3, v8, 3, 4
	v_lshlrev_b64 v[0:1], v0, v[8:9]
	v_sub_u32_e32 v1, 29, v4
	v_cmp_eq_u32_e64 s[4:5], 0, v3
	v_and_b32_e32 v0, 7, v0
	s_nop 0
	v_cndmask_b32_e64 v1, v3, v1, s[4:5]
	v_mov_b32_e32 v3, 0x1c00
	v_cndmask_b32_e64 v0, v2, v0, s[4:5]
	v_lshlrev_b32_e32 v2, 8, v8
	v_lshl_add_u32 v1, v1, 10, v3
	v_and_or_b32 v1, v2, s37, v1
	v_lshl_or_b32 v0, v0, 7, v1
	v_cvt_f32_f16_e32 v51, v0
.LBB272_92:                             ;   in Loop: Header=BB272_13 Depth=1
	s_or_b64 exec, exec, s[28:29]
	flat_load_ushort v0, v[38:39] offset:1032
	s_mov_b64 s[4:5], 0
                                        ; implicit-def: $sgpr30
	s_waitcnt vmcnt(0) lgkmcnt(0)
	v_cmp_gt_i16_sdwa s[26:27], v0, s35 src0_sel:BYTE_0 src1_sel:DWORD
	s_and_saveexec_b64 s[28:29], s[26:27]
	s_xor_b64 s[26:27], exec, s[28:29]
	s_cbranch_execnz .LBB272_350
; %bb.93:                               ;   in Loop: Header=BB272_13 Depth=1
	s_or_saveexec_b64 s[26:27], s[26:27]
	v_mov_b32_e32 v54, s30
	s_xor_b64 exec, exec, s[26:27]
	s_cbranch_execnz .LBB272_353
.LBB272_94:                             ;   in Loop: Header=BB272_13 Depth=1
	s_or_b64 exec, exec, s[26:27]
	v_and_b32_e32 v8, 0xffff, v0
	s_and_saveexec_b64 s[26:27], s[4:5]
	s_cbranch_execz .LBB272_96
.LBB272_95:                             ;   in Loop: Header=BB272_13 Depth=1
	v_and_b32_e32 v2, 7, v8
	v_ffbh_u32_e32 v0, v2
	v_min_u32_e32 v4, 32, v0
	v_subrev_u32_e32 v0, 28, v4
	v_bfe_u32 v3, v8, 3, 4
	v_lshlrev_b64 v[0:1], v0, v[8:9]
	v_sub_u32_e32 v1, 29, v4
	v_cmp_eq_u32_e64 s[4:5], 0, v3
	v_and_b32_e32 v0, 7, v0
	s_nop 0
	v_cndmask_b32_e64 v1, v3, v1, s[4:5]
	v_mov_b32_e32 v3, 0x1c00
	v_cndmask_b32_e64 v0, v2, v0, s[4:5]
	v_lshlrev_b32_e32 v2, 8, v8
	v_lshl_add_u32 v1, v1, 10, v3
	v_and_or_b32 v1, v2, s37, v1
	v_lshl_or_b32 v0, v0, 7, v1
	v_cvt_f32_f16_e32 v54, v0
.LBB272_96:                             ;   in Loop: Header=BB272_13 Depth=1
	s_or_b64 exec, exec, s[26:27]
	v_lshrrev_b16_e32 v8, 8, v8
	v_cmp_lt_i16_e64 s[4:5], s35, v8
	s_mov_b64 s[26:27], 0
                                        ; implicit-def: $sgpr38
	s_and_saveexec_b64 s[28:29], s[4:5]
	s_xor_b64 s[28:29], exec, s[28:29]
	s_cbranch_execnz .LBB272_354
; %bb.97:                               ;   in Loop: Header=BB272_13 Depth=1
	s_or_saveexec_b64 s[28:29], s[28:29]
	v_mov_b32_e32 v0, s38
	s_xor_b64 exec, exec, s[28:29]
	s_cbranch_execnz .LBB272_357
.LBB272_98:                             ;   in Loop: Header=BB272_13 Depth=1
	s_or_b64 exec, exec, s[28:29]
	s_and_saveexec_b64 s[28:29], s[26:27]
	s_cbranch_execz .LBB272_100
.LBB272_99:                             ;   in Loop: Header=BB272_13 Depth=1
	v_and_b32_e32 v2, 7, v8
	v_ffbh_u32_e32 v0, v2
	v_min_u32_e32 v4, 32, v0
	v_subrev_u32_e32 v0, 28, v4
	v_bfe_u32 v3, v8, 3, 4
	v_lshlrev_b64 v[0:1], v0, v[8:9]
	v_sub_u32_e32 v1, 29, v4
	v_cmp_eq_u32_e64 s[4:5], 0, v3
	v_and_b32_e32 v0, 7, v0
	s_nop 0
	v_cndmask_b32_e64 v1, v3, v1, s[4:5]
	v_mov_b32_e32 v3, 0x1c00
	v_cndmask_b32_e64 v0, v2, v0, s[4:5]
	v_lshlrev_b32_e32 v2, 8, v8
	v_lshl_add_u32 v1, v1, 10, v3
	v_and_or_b32 v1, v2, s37, v1
	v_lshl_or_b32 v0, v0, 7, v1
	v_cvt_f32_f16_e32 v0, v0
.LBB272_100:                            ;   in Loop: Header=BB272_13 Depth=1
	s_or_b64 exec, exec, s[28:29]
	v_accvgpr_write_b32 a62, v0
	flat_load_ushort v0, v[38:39] offset:1280
	s_mov_b64 s[4:5], 0
                                        ; implicit-def: $sgpr30
	s_waitcnt vmcnt(0) lgkmcnt(0)
	v_cmp_gt_i16_sdwa s[26:27], v0, s35 src0_sel:BYTE_0 src1_sel:DWORD
	s_and_saveexec_b64 s[28:29], s[26:27]
	s_xor_b64 s[26:27], exec, s[28:29]
	s_cbranch_execnz .LBB272_358
; %bb.101:                              ;   in Loop: Header=BB272_13 Depth=1
	s_or_saveexec_b64 s[26:27], s[26:27]
	v_mov_b32_e32 v45, s30
	s_xor_b64 exec, exec, s[26:27]
	s_cbranch_execnz .LBB272_361
.LBB272_102:                            ;   in Loop: Header=BB272_13 Depth=1
	s_or_b64 exec, exec, s[26:27]
	v_and_b32_e32 v8, 0xffff, v0
	s_and_saveexec_b64 s[26:27], s[4:5]
	s_cbranch_execz .LBB272_104
.LBB272_103:                            ;   in Loop: Header=BB272_13 Depth=1
	v_and_b32_e32 v2, 7, v8
	v_ffbh_u32_e32 v0, v2
	v_min_u32_e32 v4, 32, v0
	v_subrev_u32_e32 v0, 28, v4
	v_bfe_u32 v3, v8, 3, 4
	v_lshlrev_b64 v[0:1], v0, v[8:9]
	v_sub_u32_e32 v1, 29, v4
	v_cmp_eq_u32_e64 s[4:5], 0, v3
	v_and_b32_e32 v0, 7, v0
	s_nop 0
	v_cndmask_b32_e64 v1, v3, v1, s[4:5]
	v_mov_b32_e32 v3, 0x1c00
	v_cndmask_b32_e64 v0, v2, v0, s[4:5]
	v_lshlrev_b32_e32 v2, 8, v8
	v_lshl_add_u32 v1, v1, 10, v3
	v_and_or_b32 v1, v2, s37, v1
	v_lshl_or_b32 v0, v0, 7, v1
	v_cvt_f32_f16_e32 v45, v0
.LBB272_104:                            ;   in Loop: Header=BB272_13 Depth=1
	s_or_b64 exec, exec, s[26:27]
	v_lshrrev_b16_e32 v8, 8, v8
	v_cmp_lt_i16_e64 s[4:5], s35, v8
	s_mov_b64 s[26:27], 0
                                        ; implicit-def: $sgpr38
	s_and_saveexec_b64 s[28:29], s[4:5]
	s_xor_b64 s[28:29], exec, s[28:29]
	s_cbranch_execnz .LBB272_362
; %bb.105:                              ;   in Loop: Header=BB272_13 Depth=1
	s_or_saveexec_b64 s[28:29], s[28:29]
	v_mov_b32_e32 v57, s38
	s_xor_b64 exec, exec, s[28:29]
	s_cbranch_execnz .LBB272_365
.LBB272_106:                            ;   in Loop: Header=BB272_13 Depth=1
	s_or_b64 exec, exec, s[28:29]
	s_and_saveexec_b64 s[28:29], s[26:27]
	s_cbranch_execz .LBB272_108
.LBB272_107:                            ;   in Loop: Header=BB272_13 Depth=1
	v_and_b32_e32 v2, 7, v8
	v_ffbh_u32_e32 v0, v2
	v_min_u32_e32 v4, 32, v0
	v_subrev_u32_e32 v0, 28, v4
	v_bfe_u32 v3, v8, 3, 4
	v_lshlrev_b64 v[0:1], v0, v[8:9]
	v_sub_u32_e32 v1, 29, v4
	v_cmp_eq_u32_e64 s[4:5], 0, v3
	v_and_b32_e32 v0, 7, v0
	s_nop 0
	v_cndmask_b32_e64 v1, v3, v1, s[4:5]
	v_mov_b32_e32 v3, 0x1c00
	v_cndmask_b32_e64 v0, v2, v0, s[4:5]
	v_lshlrev_b32_e32 v2, 8, v8
	v_lshl_add_u32 v1, v1, 10, v3
	v_and_or_b32 v1, v2, s37, v1
	v_lshl_or_b32 v0, v0, 7, v1
	v_cvt_f32_f16_e32 v57, v0
.LBB272_108:                            ;   in Loop: Header=BB272_13 Depth=1
	s_or_b64 exec, exec, s[28:29]
	flat_load_ushort v0, v[38:39] offset:1288
	s_mov_b64 s[4:5], 0
                                        ; implicit-def: $sgpr30
	s_waitcnt vmcnt(0) lgkmcnt(0)
	v_cmp_gt_i16_sdwa s[26:27], v0, s35 src0_sel:BYTE_0 src1_sel:DWORD
	s_and_saveexec_b64 s[28:29], s[26:27]
	s_xor_b64 s[26:27], exec, s[28:29]
	s_cbranch_execnz .LBB272_366
; %bb.109:                              ;   in Loop: Header=BB272_13 Depth=1
	s_or_saveexec_b64 s[26:27], s[26:27]
	v_mov_b32_e32 v58, s30
	s_xor_b64 exec, exec, s[26:27]
	s_cbranch_execnz .LBB272_369
.LBB272_110:                            ;   in Loop: Header=BB272_13 Depth=1
	s_or_b64 exec, exec, s[26:27]
	v_and_b32_e32 v8, 0xffff, v0
	s_and_saveexec_b64 s[26:27], s[4:5]
	s_cbranch_execz .LBB272_112
.LBB272_111:                            ;   in Loop: Header=BB272_13 Depth=1
	v_and_b32_e32 v2, 7, v8
	v_ffbh_u32_e32 v0, v2
	v_min_u32_e32 v4, 32, v0
	v_subrev_u32_e32 v0, 28, v4
	v_bfe_u32 v3, v8, 3, 4
	v_lshlrev_b64 v[0:1], v0, v[8:9]
	v_sub_u32_e32 v1, 29, v4
	v_cmp_eq_u32_e64 s[4:5], 0, v3
	v_and_b32_e32 v0, 7, v0
	s_nop 0
	v_cndmask_b32_e64 v1, v3, v1, s[4:5]
	v_mov_b32_e32 v3, 0x1c00
	v_cndmask_b32_e64 v0, v2, v0, s[4:5]
	v_lshlrev_b32_e32 v2, 8, v8
	v_lshl_add_u32 v1, v1, 10, v3
	v_and_or_b32 v1, v2, s37, v1
	v_lshl_or_b32 v0, v0, 7, v1
	v_cvt_f32_f16_e32 v58, v0
.LBB272_112:                            ;   in Loop: Header=BB272_13 Depth=1
	s_or_b64 exec, exec, s[26:27]
	v_lshrrev_b16_e32 v8, 8, v8
	v_cmp_lt_i16_e64 s[4:5], s35, v8
	s_mov_b64 s[26:27], 0
                                        ; implicit-def: $sgpr38
	s_and_saveexec_b64 s[28:29], s[4:5]
	s_xor_b64 s[28:29], exec, s[28:29]
	s_cbranch_execnz .LBB272_370
; %bb.113:                              ;   in Loop: Header=BB272_13 Depth=1
	s_or_saveexec_b64 s[28:29], s[28:29]
	v_mov_b32_e32 v60, s38
	s_xor_b64 exec, exec, s[28:29]
	s_cbranch_execnz .LBB272_373
.LBB272_114:                            ;   in Loop: Header=BB272_13 Depth=1
	s_or_b64 exec, exec, s[28:29]
	s_and_saveexec_b64 s[28:29], s[26:27]
	s_cbranch_execz .LBB272_116
.LBB272_115:                            ;   in Loop: Header=BB272_13 Depth=1
	v_and_b32_e32 v2, 7, v8
	v_ffbh_u32_e32 v0, v2
	v_min_u32_e32 v4, 32, v0
	v_subrev_u32_e32 v0, 28, v4
	v_bfe_u32 v3, v8, 3, 4
	v_lshlrev_b64 v[0:1], v0, v[8:9]
	v_sub_u32_e32 v1, 29, v4
	v_cmp_eq_u32_e64 s[4:5], 0, v3
	v_and_b32_e32 v0, 7, v0
	s_nop 0
	v_cndmask_b32_e64 v1, v3, v1, s[4:5]
	v_mov_b32_e32 v3, 0x1c00
	v_cndmask_b32_e64 v0, v2, v0, s[4:5]
	v_lshlrev_b32_e32 v2, 8, v8
	v_lshl_add_u32 v1, v1, 10, v3
	v_and_or_b32 v1, v2, s37, v1
	v_lshl_or_b32 v0, v0, 7, v1
	v_cvt_f32_f16_e32 v60, v0
.LBB272_116:                            ;   in Loop: Header=BB272_13 Depth=1
	s_or_b64 exec, exec, s[28:29]
	flat_load_ushort v0, v[38:39] offset:1536
	s_mov_b64 s[4:5], 0
                                        ; implicit-def: $sgpr30
	s_waitcnt vmcnt(0) lgkmcnt(0)
	v_cmp_gt_i16_sdwa s[26:27], v0, s35 src0_sel:BYTE_0 src1_sel:DWORD
	s_and_saveexec_b64 s[28:29], s[26:27]
	s_xor_b64 s[26:27], exec, s[28:29]
	s_cbranch_execnz .LBB272_374
; %bb.117:                              ;   in Loop: Header=BB272_13 Depth=1
	s_or_saveexec_b64 s[26:27], s[26:27]
	v_mov_b32_e32 v61, s30
	s_xor_b64 exec, exec, s[26:27]
	s_cbranch_execnz .LBB272_377
.LBB272_118:                            ;   in Loop: Header=BB272_13 Depth=1
	s_or_b64 exec, exec, s[26:27]
	v_and_b32_e32 v8, 0xffff, v0
	s_and_saveexec_b64 s[26:27], s[4:5]
	s_cbranch_execz .LBB272_120
.LBB272_119:                            ;   in Loop: Header=BB272_13 Depth=1
	v_and_b32_e32 v2, 7, v8
	v_ffbh_u32_e32 v0, v2
	v_min_u32_e32 v4, 32, v0
	v_subrev_u32_e32 v0, 28, v4
	v_bfe_u32 v3, v8, 3, 4
	v_lshlrev_b64 v[0:1], v0, v[8:9]
	v_sub_u32_e32 v1, 29, v4
	v_cmp_eq_u32_e64 s[4:5], 0, v3
	v_and_b32_e32 v0, 7, v0
	s_nop 0
	v_cndmask_b32_e64 v1, v3, v1, s[4:5]
	v_mov_b32_e32 v3, 0x1c00
	v_cndmask_b32_e64 v0, v2, v0, s[4:5]
	v_lshlrev_b32_e32 v2, 8, v8
	v_lshl_add_u32 v1, v1, 10, v3
	v_and_or_b32 v1, v2, s37, v1
	v_lshl_or_b32 v0, v0, 7, v1
	v_cvt_f32_f16_e32 v61, v0
.LBB272_120:                            ;   in Loop: Header=BB272_13 Depth=1
	s_or_b64 exec, exec, s[26:27]
	v_lshrrev_b16_e32 v8, 8, v8
	v_cmp_lt_i16_e64 s[4:5], s35, v8
	s_mov_b64 s[26:27], 0
                                        ; implicit-def: $sgpr38
	s_and_saveexec_b64 s[28:29], s[4:5]
	s_xor_b64 s[28:29], exec, s[28:29]
	s_cbranch_execnz .LBB272_378
; %bb.121:                              ;   in Loop: Header=BB272_13 Depth=1
	s_or_saveexec_b64 s[28:29], s[28:29]
	v_mov_b32_e32 v62, s38
	s_xor_b64 exec, exec, s[28:29]
	s_cbranch_execnz .LBB272_381
.LBB272_122:                            ;   in Loop: Header=BB272_13 Depth=1
	s_or_b64 exec, exec, s[28:29]
	s_and_saveexec_b64 s[28:29], s[26:27]
	s_cbranch_execz .LBB272_124
.LBB272_123:                            ;   in Loop: Header=BB272_13 Depth=1
	v_and_b32_e32 v2, 7, v8
	v_ffbh_u32_e32 v0, v2
	v_min_u32_e32 v4, 32, v0
	v_subrev_u32_e32 v0, 28, v4
	v_bfe_u32 v3, v8, 3, 4
	v_lshlrev_b64 v[0:1], v0, v[8:9]
	v_sub_u32_e32 v1, 29, v4
	v_cmp_eq_u32_e64 s[4:5], 0, v3
	v_and_b32_e32 v0, 7, v0
	s_nop 0
	v_cndmask_b32_e64 v1, v3, v1, s[4:5]
	v_mov_b32_e32 v3, 0x1c00
	v_cndmask_b32_e64 v0, v2, v0, s[4:5]
	v_lshlrev_b32_e32 v2, 8, v8
	v_lshl_add_u32 v1, v1, 10, v3
	v_and_or_b32 v1, v2, s37, v1
	v_lshl_or_b32 v0, v0, 7, v1
	v_cvt_f32_f16_e32 v62, v0
.LBB272_124:                            ;   in Loop: Header=BB272_13 Depth=1
	s_or_b64 exec, exec, s[28:29]
	flat_load_ushort v0, v[38:39] offset:1544
	s_mov_b64 s[4:5], 0
                                        ; implicit-def: $sgpr30
	s_waitcnt vmcnt(0) lgkmcnt(0)
	v_cmp_gt_i16_sdwa s[26:27], v0, s35 src0_sel:BYTE_0 src1_sel:DWORD
	s_and_saveexec_b64 s[28:29], s[26:27]
	s_xor_b64 s[26:27], exec, s[28:29]
	s_cbranch_execnz .LBB272_382
; %bb.125:                              ;   in Loop: Header=BB272_13 Depth=1
	s_or_saveexec_b64 s[26:27], s[26:27]
	v_mov_b32_e32 v12, s30
	s_xor_b64 exec, exec, s[26:27]
	s_cbranch_execnz .LBB272_385
.LBB272_126:                            ;   in Loop: Header=BB272_13 Depth=1
	s_or_b64 exec, exec, s[26:27]
	v_and_b32_e32 v8, 0xffff, v0
	s_and_saveexec_b64 s[26:27], s[4:5]
	s_cbranch_execz .LBB272_128
.LBB272_127:                            ;   in Loop: Header=BB272_13 Depth=1
	v_and_b32_e32 v2, 7, v8
	v_ffbh_u32_e32 v0, v2
	v_min_u32_e32 v4, 32, v0
	v_subrev_u32_e32 v0, 28, v4
	v_bfe_u32 v3, v8, 3, 4
	v_lshlrev_b64 v[0:1], v0, v[8:9]
	v_sub_u32_e32 v1, 29, v4
	v_cmp_eq_u32_e64 s[4:5], 0, v3
	v_and_b32_e32 v0, 7, v0
	s_nop 0
	v_cndmask_b32_e64 v1, v3, v1, s[4:5]
	v_mov_b32_e32 v3, 0x1c00
	v_cndmask_b32_e64 v0, v2, v0, s[4:5]
	v_lshlrev_b32_e32 v2, 8, v8
	v_lshl_add_u32 v1, v1, 10, v3
	v_and_or_b32 v1, v2, s37, v1
	v_lshl_or_b32 v0, v0, 7, v1
	v_cvt_f32_f16_e32 v12, v0
.LBB272_128:                            ;   in Loop: Header=BB272_13 Depth=1
	s_or_b64 exec, exec, s[26:27]
	v_lshrrev_b16_e32 v8, 8, v8
	v_cmp_lt_i16_e64 s[4:5], s35, v8
	s_mov_b64 s[26:27], 0
                                        ; implicit-def: $sgpr38
	s_and_saveexec_b64 s[28:29], s[4:5]
	s_xor_b64 s[28:29], exec, s[28:29]
	s_cbranch_execnz .LBB272_386
; %bb.129:                              ;   in Loop: Header=BB272_13 Depth=1
	s_or_saveexec_b64 s[28:29], s[28:29]
	v_mov_b32_e32 v0, s38
	s_xor_b64 exec, exec, s[28:29]
	s_cbranch_execnz .LBB272_389
.LBB272_130:                            ;   in Loop: Header=BB272_13 Depth=1
	s_or_b64 exec, exec, s[28:29]
	s_and_saveexec_b64 s[28:29], s[26:27]
	s_cbranch_execz .LBB272_132
.LBB272_131:                            ;   in Loop: Header=BB272_13 Depth=1
	v_and_b32_e32 v0, 7, v8
	v_ffbh_u32_e32 v2, v0
	v_min_u32_e32 v5, 32, v2
	v_subrev_u32_e32 v2, 28, v5
	v_bfe_u32 v4, v8, 3, 4
	v_lshlrev_b64 v[2:3], v2, v[8:9]
	v_sub_u32_e32 v3, 29, v5
	v_cmp_eq_u32_e64 s[4:5], 0, v4
	v_and_b32_e32 v2, 7, v2
	v_mov_b32_e32 v1, 0x1c00
	v_cndmask_b32_e64 v3, v4, v3, s[4:5]
	v_cndmask_b32_e64 v0, v0, v2, s[4:5]
	v_lshlrev_b32_e32 v2, 8, v8
	v_lshl_add_u32 v3, v3, 10, v1
	v_and_or_b32 v2, v2, s37, v3
	v_lshl_or_b32 v0, v0, 7, v2
	v_cvt_f32_f16_e32 v0, v0
.LBB272_132:                            ;   in Loop: Header=BB272_13 Depth=1
	s_or_b64 exec, exec, s[28:29]
	flat_load_ushort v2, v[38:39] offset:1792
	s_mov_b64 s[4:5], 0
                                        ; implicit-def: $sgpr30
	s_waitcnt vmcnt(0) lgkmcnt(0)
	v_cmp_gt_i16_sdwa s[26:27], v2, s35 src0_sel:BYTE_0 src1_sel:DWORD
	s_and_saveexec_b64 s[28:29], s[26:27]
	s_xor_b64 s[26:27], exec, s[28:29]
	s_cbranch_execnz .LBB272_390
; %bb.133:                              ;   in Loop: Header=BB272_13 Depth=1
	s_or_saveexec_b64 s[26:27], s[26:27]
	v_mov_b32_e32 v3, s30
	s_xor_b64 exec, exec, s[26:27]
	s_cbranch_execnz .LBB272_393
.LBB272_134:                            ;   in Loop: Header=BB272_13 Depth=1
	s_or_b64 exec, exec, s[26:27]
	v_and_b32_e32 v8, 0xffff, v2
	s_and_saveexec_b64 s[26:27], s[4:5]
	s_cbranch_execz .LBB272_136
.LBB272_135:                            ;   in Loop: Header=BB272_13 Depth=1
	v_and_b32_e32 v4, 7, v8
	v_ffbh_u32_e32 v2, v4
	v_min_u32_e32 v6, 32, v2
	v_subrev_u32_e32 v2, 28, v6
	v_bfe_u32 v5, v8, 3, 4
	v_lshlrev_b64 v[2:3], v2, v[8:9]
	v_sub_u32_e32 v3, 29, v6
	v_cmp_eq_u32_e64 s[4:5], 0, v5
	v_and_b32_e32 v2, 7, v2
	v_mov_b32_e32 v1, 0x1c00
	v_cndmask_b32_e64 v3, v5, v3, s[4:5]
	v_cndmask_b32_e64 v2, v4, v2, s[4:5]
	v_lshlrev_b32_e32 v4, 8, v8
	v_lshl_add_u32 v3, v3, 10, v1
	v_and_or_b32 v3, v4, s37, v3
	v_lshl_or_b32 v2, v2, 7, v3
	v_cvt_f32_f16_e32 v3, v2
.LBB272_136:                            ;   in Loop: Header=BB272_13 Depth=1
	s_or_b64 exec, exec, s[26:27]
	v_lshrrev_b16_e32 v8, 8, v8
	v_cmp_lt_i16_e64 s[4:5], s35, v8
	s_mov_b64 s[26:27], 0
                                        ; implicit-def: $sgpr38
	s_and_saveexec_b64 s[28:29], s[4:5]
	s_xor_b64 s[28:29], exec, s[28:29]
	s_cbranch_execnz .LBB272_394
; %bb.137:                              ;   in Loop: Header=BB272_13 Depth=1
	s_or_saveexec_b64 s[28:29], s[28:29]
	v_mov_b32_e32 v2, s38
	s_xor_b64 exec, exec, s[28:29]
	s_cbranch_execnz .LBB272_397
.LBB272_138:                            ;   in Loop: Header=BB272_13 Depth=1
	s_or_b64 exec, exec, s[28:29]
	s_and_saveexec_b64 s[28:29], s[26:27]
	s_cbranch_execz .LBB272_140
.LBB272_139:                            ;   in Loop: Header=BB272_13 Depth=1
	v_and_b32_e32 v2, 7, v8
	v_ffbh_u32_e32 v4, v2
	v_min_u32_e32 v7, 32, v4
	v_subrev_u32_e32 v4, 28, v7
	v_bfe_u32 v6, v8, 3, 4
	v_lshlrev_b64 v[4:5], v4, v[8:9]
	v_sub_u32_e32 v5, 29, v7
	v_cmp_eq_u32_e64 s[4:5], 0, v6
	v_and_b32_e32 v4, 7, v4
	v_mov_b32_e32 v1, 0x1c00
	v_cndmask_b32_e64 v5, v6, v5, s[4:5]
	v_cndmask_b32_e64 v2, v2, v4, s[4:5]
	v_lshlrev_b32_e32 v4, 8, v8
	v_lshl_add_u32 v5, v5, 10, v1
	v_and_or_b32 v4, v4, s37, v5
	v_lshl_or_b32 v2, v2, 7, v4
	v_cvt_f32_f16_e32 v2, v2
.LBB272_140:                            ;   in Loop: Header=BB272_13 Depth=1
	s_or_b64 exec, exec, s[28:29]
	flat_load_ushort v4, v[38:39] offset:1800
	s_mov_b64 s[4:5], 0
                                        ; implicit-def: $sgpr30
	s_waitcnt vmcnt(0) lgkmcnt(0)
	v_cmp_gt_i16_sdwa s[26:27], v4, s35 src0_sel:BYTE_0 src1_sel:DWORD
	s_and_saveexec_b64 s[28:29], s[26:27]
	s_xor_b64 s[26:27], exec, s[28:29]
	s_cbranch_execnz .LBB272_398
; %bb.141:                              ;   in Loop: Header=BB272_13 Depth=1
	s_or_saveexec_b64 s[26:27], s[26:27]
	v_mov_b32_e32 v15, s30
	s_xor_b64 exec, exec, s[26:27]
	s_cbranch_execnz .LBB272_401
.LBB272_142:                            ;   in Loop: Header=BB272_13 Depth=1
	s_or_b64 exec, exec, s[26:27]
	v_and_b32_e32 v8, 0xffff, v4
	s_and_saveexec_b64 s[26:27], s[4:5]
	s_cbranch_execz .LBB272_144
.LBB272_143:                            ;   in Loop: Header=BB272_13 Depth=1
	v_and_b32_e32 v6, 7, v8
	v_ffbh_u32_e32 v4, v6
	v_min_u32_e32 v14, 32, v4
	v_subrev_u32_e32 v4, 28, v14
	v_bfe_u32 v7, v8, 3, 4
	v_lshlrev_b64 v[4:5], v4, v[8:9]
	v_sub_u32_e32 v5, 29, v14
	v_cmp_eq_u32_e64 s[4:5], 0, v7
	v_and_b32_e32 v4, 7, v4
	v_mov_b32_e32 v1, 0x1c00
	v_cndmask_b32_e64 v5, v7, v5, s[4:5]
	v_cndmask_b32_e64 v4, v6, v4, s[4:5]
	v_lshlrev_b32_e32 v6, 8, v8
	v_lshl_add_u32 v5, v5, 10, v1
	v_and_or_b32 v5, v6, s37, v5
	v_lshl_or_b32 v4, v4, 7, v5
	v_cvt_f32_f16_e32 v15, v4
.LBB272_144:                            ;   in Loop: Header=BB272_13 Depth=1
	s_or_b64 exec, exec, s[26:27]
	v_lshrrev_b16_e32 v8, 8, v8
	v_cmp_lt_i16_e64 s[4:5], s35, v8
	s_mov_b64 s[26:27], 0
                                        ; implicit-def: $sgpr38
	s_and_saveexec_b64 s[28:29], s[4:5]
	s_xor_b64 s[28:29], exec, s[28:29]
	s_cbranch_execnz .LBB272_402
; %bb.145:                              ;   in Loop: Header=BB272_13 Depth=1
	s_or_saveexec_b64 s[28:29], s[28:29]
	v_mov_b32_e32 v14, s38
	s_xor_b64 exec, exec, s[28:29]
	s_cbranch_execnz .LBB272_405
.LBB272_146:                            ;   in Loop: Header=BB272_13 Depth=1
	s_or_b64 exec, exec, s[28:29]
	s_and_saveexec_b64 s[28:29], s[26:27]
	s_cbranch_execz .LBB272_148
.LBB272_147:                            ;   in Loop: Header=BB272_13 Depth=1
	v_and_b32_e32 v6, 7, v8
	v_ffbh_u32_e32 v4, v6
	v_min_u32_e32 v14, 32, v4
	v_subrev_u32_e32 v4, 28, v14
	v_bfe_u32 v7, v8, 3, 4
	v_lshlrev_b64 v[4:5], v4, v[8:9]
	v_sub_u32_e32 v5, 29, v14
	v_cmp_eq_u32_e64 s[4:5], 0, v7
	v_and_b32_e32 v4, 7, v4
	v_mov_b32_e32 v1, 0x1c00
	v_cndmask_b32_e64 v5, v7, v5, s[4:5]
	v_cndmask_b32_e64 v4, v6, v4, s[4:5]
	v_lshlrev_b32_e32 v6, 8, v8
	v_lshl_add_u32 v5, v5, 10, v1
	v_and_or_b32 v5, v6, s37, v5
	v_lshl_or_b32 v4, v4, 7, v5
	v_cvt_f32_f16_e32 v14, v4
.LBB272_148:                            ;   in Loop: Header=BB272_13 Depth=1
	s_or_b64 exec, exec, s[28:29]
	flat_load_ushort v4, v[38:39] offset:2048
	s_mov_b64 s[4:5], 0
                                        ; implicit-def: $sgpr30
	s_waitcnt vmcnt(0) lgkmcnt(0)
	v_cmp_gt_i16_sdwa s[26:27], v4, s35 src0_sel:BYTE_0 src1_sel:DWORD
	s_and_saveexec_b64 s[28:29], s[26:27]
	s_xor_b64 s[26:27], exec, s[28:29]
	s_cbranch_execnz .LBB272_406
; %bb.149:                              ;   in Loop: Header=BB272_13 Depth=1
	s_or_saveexec_b64 s[26:27], s[26:27]
	v_mov_b32_e32 v7, s30
	s_xor_b64 exec, exec, s[26:27]
	s_cbranch_execnz .LBB272_409
.LBB272_150:                            ;   in Loop: Header=BB272_13 Depth=1
	s_or_b64 exec, exec, s[26:27]
	v_and_b32_e32 v8, 0xffff, v4
	s_and_saveexec_b64 s[26:27], s[4:5]
	s_cbranch_execz .LBB272_152
.LBB272_151:                            ;   in Loop: Header=BB272_13 Depth=1
	v_and_b32_e32 v6, 7, v8
	v_ffbh_u32_e32 v4, v6
	v_min_u32_e32 v16, 32, v4
	v_subrev_u32_e32 v4, 28, v16
	v_bfe_u32 v7, v8, 3, 4
	v_lshlrev_b64 v[4:5], v4, v[8:9]
	v_sub_u32_e32 v5, 29, v16
	v_cmp_eq_u32_e64 s[4:5], 0, v7
	v_and_b32_e32 v4, 7, v4
	v_mov_b32_e32 v1, 0x1c00
	v_cndmask_b32_e64 v5, v7, v5, s[4:5]
	v_cndmask_b32_e64 v4, v6, v4, s[4:5]
	v_lshlrev_b32_e32 v6, 8, v8
	v_lshl_add_u32 v5, v5, 10, v1
	v_and_or_b32 v5, v6, s37, v5
	v_lshl_or_b32 v4, v4, 7, v5
	v_cvt_f32_f16_e32 v7, v4
.LBB272_152:                            ;   in Loop: Header=BB272_13 Depth=1
	s_or_b64 exec, exec, s[26:27]
	v_lshrrev_b16_e32 v8, 8, v8
	v_cmp_lt_i16_e64 s[4:5], s35, v8
	s_mov_b64 s[26:27], 0
                                        ; implicit-def: $sgpr38
	s_and_saveexec_b64 s[28:29], s[4:5]
	s_xor_b64 s[28:29], exec, s[28:29]
	s_cbranch_execnz .LBB272_410
; %bb.153:                              ;   in Loop: Header=BB272_13 Depth=1
	s_or_saveexec_b64 s[28:29], s[28:29]
	v_mov_b32_e32 v1, s38
	s_xor_b64 exec, exec, s[28:29]
	s_cbranch_execnz .LBB272_413
.LBB272_154:                            ;   in Loop: Header=BB272_13 Depth=1
	s_or_b64 exec, exec, s[28:29]
	s_and_saveexec_b64 s[28:29], s[26:27]
	s_cbranch_execz .LBB272_156
.LBB272_155:                            ;   in Loop: Header=BB272_13 Depth=1
	v_and_b32_e32 v6, 7, v8
	v_ffbh_u32_e32 v4, v6
	v_min_u32_e32 v17, 32, v4
	v_subrev_u32_e32 v4, 28, v17
	v_bfe_u32 v16, v8, 3, 4
	v_lshlrev_b64 v[4:5], v4, v[8:9]
	v_sub_u32_e32 v5, 29, v17
	v_cmp_eq_u32_e64 s[4:5], 0, v16
	v_and_b32_e32 v4, 7, v4
	v_mov_b32_e32 v1, 0x1c00
	v_cndmask_b32_e64 v5, v16, v5, s[4:5]
	v_cndmask_b32_e64 v4, v6, v4, s[4:5]
	v_lshlrev_b32_e32 v6, 8, v8
	v_lshl_add_u32 v5, v5, 10, v1
	v_and_or_b32 v5, v6, s37, v5
	v_lshl_or_b32 v4, v4, 7, v5
	v_cvt_f32_f16_e32 v1, v4
.LBB272_156:                            ;   in Loop: Header=BB272_13 Depth=1
	s_or_b64 exec, exec, s[28:29]
	flat_load_ushort v4, v[38:39] offset:2056
	v_accvgpr_write_b32 a52, v1
	s_mov_b64 s[4:5], 0
                                        ; implicit-def: $sgpr30
	s_waitcnt vmcnt(0) lgkmcnt(0)
	v_cmp_gt_i16_sdwa s[26:27], v4, s35 src0_sel:BYTE_0 src1_sel:DWORD
	s_and_saveexec_b64 s[28:29], s[26:27]
	s_xor_b64 s[26:27], exec, s[28:29]
	s_cbranch_execnz .LBB272_414
; %bb.157:                              ;   in Loop: Header=BB272_13 Depth=1
	s_or_saveexec_b64 s[26:27], s[26:27]
	v_mov_b32_e32 v30, s30
	s_xor_b64 exec, exec, s[26:27]
	s_cbranch_execnz .LBB272_417
.LBB272_158:                            ;   in Loop: Header=BB272_13 Depth=1
	s_or_b64 exec, exec, s[26:27]
	v_and_b32_e32 v8, 0xffff, v4
	s_and_saveexec_b64 s[26:27], s[4:5]
	s_cbranch_execz .LBB272_160
.LBB272_159:                            ;   in Loop: Header=BB272_13 Depth=1
	v_and_b32_e32 v6, 7, v8
	v_ffbh_u32_e32 v4, v6
	v_min_u32_e32 v17, 32, v4
	v_subrev_u32_e32 v4, 28, v17
	v_bfe_u32 v16, v8, 3, 4
	v_lshlrev_b64 v[4:5], v4, v[8:9]
	v_sub_u32_e32 v5, 29, v17
	v_cmp_eq_u32_e64 s[4:5], 0, v16
	v_and_b32_e32 v4, 7, v4
	v_mov_b32_e32 v1, 0x1c00
	v_cndmask_b32_e64 v5, v16, v5, s[4:5]
	v_cndmask_b32_e64 v4, v6, v4, s[4:5]
	v_lshlrev_b32_e32 v6, 8, v8
	v_lshl_add_u32 v5, v5, 10, v1
	v_and_or_b32 v5, v6, s37, v5
	v_lshl_or_b32 v4, v4, 7, v5
	v_cvt_f32_f16_e32 v30, v4
.LBB272_160:                            ;   in Loop: Header=BB272_13 Depth=1
	s_or_b64 exec, exec, s[26:27]
	v_lshrrev_b16_e32 v8, 8, v8
	v_cmp_lt_i16_e64 s[4:5], s35, v8
	s_mov_b64 s[26:27], 0
                                        ; implicit-def: $sgpr38
	s_and_saveexec_b64 s[28:29], s[4:5]
	s_xor_b64 s[28:29], exec, s[28:29]
	s_cbranch_execnz .LBB272_418
; %bb.161:                              ;   in Loop: Header=BB272_13 Depth=1
	s_or_saveexec_b64 s[28:29], s[28:29]
	v_mov_b32_e32 v1, s38
	s_xor_b64 exec, exec, s[28:29]
	s_cbranch_execnz .LBB272_421
.LBB272_162:                            ;   in Loop: Header=BB272_13 Depth=1
	s_or_b64 exec, exec, s[28:29]
	s_and_saveexec_b64 s[28:29], s[26:27]
	s_cbranch_execz .LBB272_164
.LBB272_163:                            ;   in Loop: Header=BB272_13 Depth=1
	v_and_b32_e32 v6, 7, v8
	v_ffbh_u32_e32 v4, v6
	v_min_u32_e32 v17, 32, v4
	v_subrev_u32_e32 v4, 28, v17
	v_bfe_u32 v16, v8, 3, 4
	v_lshlrev_b64 v[4:5], v4, v[8:9]
	v_sub_u32_e32 v5, 29, v17
	v_cmp_eq_u32_e64 s[4:5], 0, v16
	v_and_b32_e32 v4, 7, v4
	v_mov_b32_e32 v1, 0x1c00
	v_cndmask_b32_e64 v5, v16, v5, s[4:5]
	v_cndmask_b32_e64 v4, v6, v4, s[4:5]
	v_lshlrev_b32_e32 v6, 8, v8
	v_lshl_add_u32 v5, v5, 10, v1
	v_and_or_b32 v5, v6, s37, v5
	v_lshl_or_b32 v4, v4, 7, v5
	v_cvt_f32_f16_e32 v1, v4
.LBB272_164:                            ;   in Loop: Header=BB272_13 Depth=1
	s_or_b64 exec, exec, s[28:29]
	flat_load_ushort v4, v[38:39] offset:2304
	v_accvgpr_write_b32 a54, v1
	s_mov_b64 s[4:5], 0
                                        ; implicit-def: $sgpr30
	s_waitcnt vmcnt(0) lgkmcnt(0)
	v_cmp_gt_i16_sdwa s[26:27], v4, s35 src0_sel:BYTE_0 src1_sel:DWORD
	s_and_saveexec_b64 s[28:29], s[26:27]
	s_xor_b64 s[26:27], exec, s[28:29]
	s_cbranch_execnz .LBB272_422
; %bb.165:                              ;   in Loop: Header=BB272_13 Depth=1
	s_or_saveexec_b64 s[26:27], s[26:27]
	v_mov_b32_e32 v52, s30
	s_xor_b64 exec, exec, s[26:27]
	s_cbranch_execnz .LBB272_425
.LBB272_166:                            ;   in Loop: Header=BB272_13 Depth=1
	s_or_b64 exec, exec, s[26:27]
	v_and_b32_e32 v8, 0xffff, v4
	s_and_saveexec_b64 s[26:27], s[4:5]
	s_cbranch_execz .LBB272_168
.LBB272_167:                            ;   in Loop: Header=BB272_13 Depth=1
	v_and_b32_e32 v6, 7, v8
	v_ffbh_u32_e32 v4, v6
	v_min_u32_e32 v17, 32, v4
	v_subrev_u32_e32 v4, 28, v17
	v_bfe_u32 v16, v8, 3, 4
	v_lshlrev_b64 v[4:5], v4, v[8:9]
	v_sub_u32_e32 v5, 29, v17
	v_cmp_eq_u32_e64 s[4:5], 0, v16
	v_and_b32_e32 v4, 7, v4
	v_mov_b32_e32 v1, 0x1c00
	v_cndmask_b32_e64 v5, v16, v5, s[4:5]
	v_cndmask_b32_e64 v4, v6, v4, s[4:5]
	v_lshlrev_b32_e32 v6, 8, v8
	v_lshl_add_u32 v5, v5, 10, v1
	v_and_or_b32 v5, v6, s37, v5
	v_lshl_or_b32 v4, v4, 7, v5
	v_cvt_f32_f16_e32 v52, v4
.LBB272_168:                            ;   in Loop: Header=BB272_13 Depth=1
	s_or_b64 exec, exec, s[26:27]
	v_lshrrev_b16_e32 v8, 8, v8
	v_cmp_lt_i16_e64 s[4:5], s35, v8
	s_mov_b64 s[26:27], 0
                                        ; implicit-def: $sgpr38
	s_and_saveexec_b64 s[28:29], s[4:5]
	s_xor_b64 s[28:29], exec, s[28:29]
	s_cbranch_execnz .LBB272_426
; %bb.169:                              ;   in Loop: Header=BB272_13 Depth=1
	s_or_saveexec_b64 s[28:29], s[28:29]
	v_mov_b32_e32 v1, s38
	s_xor_b64 exec, exec, s[28:29]
	s_cbranch_execnz .LBB272_429
.LBB272_170:                            ;   in Loop: Header=BB272_13 Depth=1
	s_or_b64 exec, exec, s[28:29]
	s_and_saveexec_b64 s[28:29], s[26:27]
	s_cbranch_execz .LBB272_172
.LBB272_171:                            ;   in Loop: Header=BB272_13 Depth=1
	v_and_b32_e32 v6, 7, v8
	v_ffbh_u32_e32 v4, v6
	v_min_u32_e32 v17, 32, v4
	v_subrev_u32_e32 v4, 28, v17
	v_bfe_u32 v16, v8, 3, 4
	v_lshlrev_b64 v[4:5], v4, v[8:9]
	v_sub_u32_e32 v5, 29, v17
	v_cmp_eq_u32_e64 s[4:5], 0, v16
	v_and_b32_e32 v4, 7, v4
	v_mov_b32_e32 v1, 0x1c00
	v_cndmask_b32_e64 v5, v16, v5, s[4:5]
	v_cndmask_b32_e64 v4, v6, v4, s[4:5]
	v_lshlrev_b32_e32 v6, 8, v8
	v_lshl_add_u32 v5, v5, 10, v1
	v_and_or_b32 v5, v6, s37, v5
	v_lshl_or_b32 v4, v4, 7, v5
	v_cvt_f32_f16_e32 v1, v4
.LBB272_172:                            ;   in Loop: Header=BB272_13 Depth=1
	s_or_b64 exec, exec, s[28:29]
	flat_load_ushort v4, v[38:39] offset:2312
	v_accvgpr_write_b32 a56, v1
	s_mov_b64 s[4:5], 0
                                        ; implicit-def: $sgpr30
	s_waitcnt vmcnt(0) lgkmcnt(0)
	v_cmp_gt_i16_sdwa s[26:27], v4, s35 src0_sel:BYTE_0 src1_sel:DWORD
	s_and_saveexec_b64 s[28:29], s[26:27]
	s_xor_b64 s[26:27], exec, s[28:29]
	s_cbranch_execnz .LBB272_430
; %bb.173:                              ;   in Loop: Header=BB272_13 Depth=1
	s_or_saveexec_b64 s[26:27], s[26:27]
	v_mov_b32_e32 v56, s30
	s_xor_b64 exec, exec, s[26:27]
	s_cbranch_execnz .LBB272_433
.LBB272_174:                            ;   in Loop: Header=BB272_13 Depth=1
	s_or_b64 exec, exec, s[26:27]
	v_and_b32_e32 v8, 0xffff, v4
	s_and_saveexec_b64 s[26:27], s[4:5]
	s_cbranch_execz .LBB272_176
.LBB272_175:                            ;   in Loop: Header=BB272_13 Depth=1
	v_and_b32_e32 v6, 7, v8
	v_ffbh_u32_e32 v4, v6
	v_min_u32_e32 v17, 32, v4
	v_subrev_u32_e32 v4, 28, v17
	v_bfe_u32 v16, v8, 3, 4
	v_lshlrev_b64 v[4:5], v4, v[8:9]
	v_sub_u32_e32 v5, 29, v17
	v_cmp_eq_u32_e64 s[4:5], 0, v16
	v_and_b32_e32 v4, 7, v4
	v_mov_b32_e32 v1, 0x1c00
	v_cndmask_b32_e64 v5, v16, v5, s[4:5]
	v_cndmask_b32_e64 v4, v6, v4, s[4:5]
	v_lshlrev_b32_e32 v6, 8, v8
	v_lshl_add_u32 v5, v5, 10, v1
	v_and_or_b32 v5, v6, s37, v5
	v_lshl_or_b32 v4, v4, 7, v5
	v_cvt_f32_f16_e32 v56, v4
.LBB272_176:                            ;   in Loop: Header=BB272_13 Depth=1
	s_or_b64 exec, exec, s[26:27]
	v_lshrrev_b16_e32 v8, 8, v8
	v_cmp_lt_i16_e64 s[4:5], s35, v8
	s_mov_b64 s[26:27], 0
                                        ; implicit-def: $sgpr38
	s_and_saveexec_b64 s[28:29], s[4:5]
	s_xor_b64 s[28:29], exec, s[28:29]
	s_cbranch_execnz .LBB272_434
; %bb.177:                              ;   in Loop: Header=BB272_13 Depth=1
	s_or_saveexec_b64 s[28:29], s[28:29]
	v_mov_b32_e32 v1, s38
	s_xor_b64 exec, exec, s[28:29]
	s_cbranch_execnz .LBB272_437
.LBB272_178:                            ;   in Loop: Header=BB272_13 Depth=1
	s_or_b64 exec, exec, s[28:29]
	s_and_saveexec_b64 s[28:29], s[26:27]
	s_cbranch_execz .LBB272_180
.LBB272_179:                            ;   in Loop: Header=BB272_13 Depth=1
	v_and_b32_e32 v6, 7, v8
	v_ffbh_u32_e32 v4, v6
	v_min_u32_e32 v17, 32, v4
	v_subrev_u32_e32 v4, 28, v17
	v_bfe_u32 v16, v8, 3, 4
	v_lshlrev_b64 v[4:5], v4, v[8:9]
	v_sub_u32_e32 v5, 29, v17
	v_cmp_eq_u32_e64 s[4:5], 0, v16
	v_and_b32_e32 v4, 7, v4
	v_mov_b32_e32 v1, 0x1c00
	v_cndmask_b32_e64 v5, v16, v5, s[4:5]
	v_cndmask_b32_e64 v4, v6, v4, s[4:5]
	v_lshlrev_b32_e32 v6, 8, v8
	v_lshl_add_u32 v5, v5, 10, v1
	v_and_or_b32 v5, v6, s37, v5
	v_lshl_or_b32 v4, v4, 7, v5
	v_cvt_f32_f16_e32 v1, v4
.LBB272_180:                            ;   in Loop: Header=BB272_13 Depth=1
	s_or_b64 exec, exec, s[28:29]
	flat_load_ushort v4, v[38:39] offset:2560
	v_accvgpr_write_b32 a58, v1
	s_mov_b64 s[4:5], 0
                                        ; implicit-def: $sgpr30
	s_waitcnt vmcnt(0) lgkmcnt(0)
	v_cmp_gt_i16_sdwa s[26:27], v4, s35 src0_sel:BYTE_0 src1_sel:DWORD
	s_and_saveexec_b64 s[28:29], s[26:27]
	s_xor_b64 s[26:27], exec, s[28:29]
	s_cbranch_execnz .LBB272_438
; %bb.181:                              ;   in Loop: Header=BB272_13 Depth=1
	s_or_saveexec_b64 s[26:27], s[26:27]
	v_mov_b32_e32 v36, s30
	s_xor_b64 exec, exec, s[26:27]
	s_cbranch_execnz .LBB272_441
.LBB272_182:                            ;   in Loop: Header=BB272_13 Depth=1
	s_or_b64 exec, exec, s[26:27]
	v_and_b32_e32 v8, 0xffff, v4
	s_and_saveexec_b64 s[26:27], s[4:5]
	s_cbranch_execz .LBB272_184
.LBB272_183:                            ;   in Loop: Header=BB272_13 Depth=1
	v_and_b32_e32 v6, 7, v8
	v_ffbh_u32_e32 v4, v6
	v_min_u32_e32 v17, 32, v4
	v_subrev_u32_e32 v4, 28, v17
	v_bfe_u32 v16, v8, 3, 4
	v_lshlrev_b64 v[4:5], v4, v[8:9]
	v_sub_u32_e32 v5, 29, v17
	v_cmp_eq_u32_e64 s[4:5], 0, v16
	v_and_b32_e32 v4, 7, v4
	v_mov_b32_e32 v1, 0x1c00
	v_cndmask_b32_e64 v5, v16, v5, s[4:5]
	v_cndmask_b32_e64 v4, v6, v4, s[4:5]
	v_lshlrev_b32_e32 v6, 8, v8
	v_lshl_add_u32 v5, v5, 10, v1
	v_and_or_b32 v5, v6, s37, v5
	v_lshl_or_b32 v4, v4, 7, v5
	v_cvt_f32_f16_e32 v36, v4
.LBB272_184:                            ;   in Loop: Header=BB272_13 Depth=1
	s_or_b64 exec, exec, s[26:27]
	v_lshrrev_b16_e32 v8, 8, v8
	v_cmp_lt_i16_e64 s[4:5], s35, v8
	s_mov_b64 s[26:27], 0
                                        ; implicit-def: $sgpr38
	s_and_saveexec_b64 s[28:29], s[4:5]
	s_xor_b64 s[28:29], exec, s[28:29]
	s_cbranch_execnz .LBB272_442
; %bb.185:                              ;   in Loop: Header=BB272_13 Depth=1
	s_or_saveexec_b64 s[28:29], s[28:29]
	v_mov_b32_e32 v1, s38
	s_xor_b64 exec, exec, s[28:29]
	s_cbranch_execnz .LBB272_445
.LBB272_186:                            ;   in Loop: Header=BB272_13 Depth=1
	s_or_b64 exec, exec, s[28:29]
	s_and_saveexec_b64 s[28:29], s[26:27]
	s_cbranch_execz .LBB272_188
.LBB272_187:                            ;   in Loop: Header=BB272_13 Depth=1
	v_and_b32_e32 v6, 7, v8
	v_ffbh_u32_e32 v4, v6
	v_min_u32_e32 v17, 32, v4
	v_subrev_u32_e32 v4, 28, v17
	v_bfe_u32 v16, v8, 3, 4
	v_lshlrev_b64 v[4:5], v4, v[8:9]
	v_sub_u32_e32 v5, 29, v17
	v_cmp_eq_u32_e64 s[4:5], 0, v16
	v_and_b32_e32 v4, 7, v4
	v_mov_b32_e32 v1, 0x1c00
	v_cndmask_b32_e64 v5, v16, v5, s[4:5]
	v_cndmask_b32_e64 v4, v6, v4, s[4:5]
	v_lshlrev_b32_e32 v6, 8, v8
	v_lshl_add_u32 v5, v5, 10, v1
	v_and_or_b32 v5, v6, s37, v5
	v_lshl_or_b32 v4, v4, 7, v5
	v_cvt_f32_f16_e32 v1, v4
.LBB272_188:                            ;   in Loop: Header=BB272_13 Depth=1
	s_or_b64 exec, exec, s[28:29]
	flat_load_ushort v4, v[38:39] offset:2568
	v_accvgpr_write_b32 a59, v1
	s_mov_b64 s[4:5], 0
                                        ; implicit-def: $sgpr30
	s_waitcnt vmcnt(0) lgkmcnt(0)
	v_cmp_gt_i16_sdwa s[26:27], v4, s35 src0_sel:BYTE_0 src1_sel:DWORD
	s_and_saveexec_b64 s[28:29], s[26:27]
	s_xor_b64 s[26:27], exec, s[28:29]
	s_cbranch_execnz .LBB272_446
; %bb.189:                              ;   in Loop: Header=BB272_13 Depth=1
	s_or_saveexec_b64 s[26:27], s[26:27]
	v_mov_b32_e32 v37, s30
	s_xor_b64 exec, exec, s[26:27]
	s_cbranch_execnz .LBB272_449
.LBB272_190:                            ;   in Loop: Header=BB272_13 Depth=1
	s_or_b64 exec, exec, s[26:27]
	v_and_b32_e32 v8, 0xffff, v4
	s_and_saveexec_b64 s[26:27], s[4:5]
	s_cbranch_execz .LBB272_192
.LBB272_191:                            ;   in Loop: Header=BB272_13 Depth=1
	v_and_b32_e32 v16, 7, v8
	v_ffbh_u32_e32 v4, v16
	v_min_u32_e32 v26, 32, v4
	v_subrev_u32_e32 v4, 28, v26
	v_bfe_u32 v17, v8, 3, 4
	v_lshlrev_b64 v[4:5], v4, v[8:9]
	v_sub_u32_e32 v5, 29, v26
	v_cmp_eq_u32_e64 s[4:5], 0, v17
	v_and_b32_e32 v4, 7, v4
	v_mov_b32_e32 v1, 0x1c00
	v_cndmask_b32_e64 v5, v17, v5, s[4:5]
	v_cndmask_b32_e64 v4, v16, v4, s[4:5]
	v_lshlrev_b32_e32 v16, 8, v8
	v_lshl_add_u32 v5, v5, 10, v1
	v_and_or_b32 v5, v16, s37, v5
	v_lshl_or_b32 v4, v4, 7, v5
	v_cvt_f32_f16_e32 v37, v4
.LBB272_192:                            ;   in Loop: Header=BB272_13 Depth=1
	s_or_b64 exec, exec, s[26:27]
	v_lshrrev_b16_e32 v8, 8, v8
	v_cmp_lt_i16_e64 s[4:5], s35, v8
	s_mov_b64 s[26:27], 0
                                        ; implicit-def: $sgpr38
	s_and_saveexec_b64 s[28:29], s[4:5]
	s_xor_b64 s[28:29], exec, s[28:29]
	s_cbranch_execnz .LBB272_450
; %bb.193:                              ;   in Loop: Header=BB272_13 Depth=1
	s_or_saveexec_b64 s[28:29], s[28:29]
	v_mov_b32_e32 v1, s38
	s_xor_b64 exec, exec, s[28:29]
	s_cbranch_execnz .LBB272_453
.LBB272_194:                            ;   in Loop: Header=BB272_13 Depth=1
	s_or_b64 exec, exec, s[28:29]
	s_and_saveexec_b64 s[28:29], s[26:27]
	s_cbranch_execz .LBB272_196
.LBB272_195:                            ;   in Loop: Header=BB272_13 Depth=1
	v_and_b32_e32 v16, 7, v8
	v_ffbh_u32_e32 v4, v16
	v_min_u32_e32 v26, 32, v4
	v_subrev_u32_e32 v4, 28, v26
	v_bfe_u32 v17, v8, 3, 4
	v_lshlrev_b64 v[4:5], v4, v[8:9]
	v_sub_u32_e32 v5, 29, v26
	v_cmp_eq_u32_e64 s[4:5], 0, v17
	v_mov_b32_e32 v1, 0x1c00
	v_and_b32_e32 v4, 7, v4
	v_cndmask_b32_e64 v5, v17, v5, s[4:5]
	v_lshlrev_b32_e32 v8, 8, v8
	v_lshl_add_u32 v5, v5, 10, v1
	v_cndmask_b32_e64 v4, v16, v4, s[4:5]
	v_and_or_b32 v5, v8, s37, v5
	v_lshl_or_b32 v4, v4, 7, v5
	v_cvt_f32_f16_e32 v1, v4
.LBB272_196:                            ;   in Loop: Header=BB272_13 Depth=1
	s_or_b64 exec, exec, s[28:29]
	flat_load_ushort v4, v[38:39] offset:2816
	v_accvgpr_write_b32 a61, v1
	s_mov_b64 s[4:5], 0
                                        ; implicit-def: $sgpr30
	s_waitcnt vmcnt(0) lgkmcnt(0)
	v_cmp_gt_i16_sdwa s[26:27], v4, s35 src0_sel:BYTE_0 src1_sel:DWORD
	s_and_saveexec_b64 s[28:29], s[26:27]
	s_xor_b64 s[26:27], exec, s[28:29]
	s_cbranch_execnz .LBB272_454
; %bb.197:                              ;   in Loop: Header=BB272_13 Depth=1
	s_or_saveexec_b64 s[26:27], s[26:27]
	v_mov_b32_e32 v41, s30
	s_xor_b64 exec, exec, s[26:27]
	s_cbranch_execnz .LBB272_457
.LBB272_198:                            ;   in Loop: Header=BB272_13 Depth=1
	s_or_b64 exec, exec, s[26:27]
	v_and_b32_e32 v8, 0xffff, v4
	s_and_saveexec_b64 s[26:27], s[4:5]
	s_cbranch_execz .LBB272_200
.LBB272_199:                            ;   in Loop: Header=BB272_13 Depth=1
	v_and_b32_e32 v16, 7, v8
	v_ffbh_u32_e32 v4, v16
	v_min_u32_e32 v26, 32, v4
	v_subrev_u32_e32 v4, 28, v26
	v_bfe_u32 v17, v8, 3, 4
	v_lshlrev_b64 v[4:5], v4, v[8:9]
	v_sub_u32_e32 v5, 29, v26
	v_cmp_eq_u32_e64 s[4:5], 0, v17
	v_and_b32_e32 v4, 7, v4
	v_mov_b32_e32 v1, 0x1c00
	v_cndmask_b32_e64 v5, v17, v5, s[4:5]
	v_cndmask_b32_e64 v4, v16, v4, s[4:5]
	v_lshlrev_b32_e32 v16, 8, v8
	v_lshl_add_u32 v5, v5, 10, v1
	v_and_or_b32 v5, v16, s37, v5
	v_lshl_or_b32 v4, v4, 7, v5
	v_cvt_f32_f16_e32 v41, v4
.LBB272_200:                            ;   in Loop: Header=BB272_13 Depth=1
	s_or_b64 exec, exec, s[26:27]
	v_lshrrev_b16_e32 v8, 8, v8
	v_cmp_lt_i16_e64 s[4:5], s35, v8
	s_mov_b64 s[26:27], 0
                                        ; implicit-def: $sgpr38
	s_and_saveexec_b64 s[28:29], s[4:5]
	s_xor_b64 s[28:29], exec, s[28:29]
	s_cbranch_execnz .LBB272_458
; %bb.201:                              ;   in Loop: Header=BB272_13 Depth=1
	s_or_saveexec_b64 s[28:29], s[28:29]
	v_mov_b32_e32 v1, s38
	s_xor_b64 exec, exec, s[28:29]
	s_cbranch_execnz .LBB272_461
.LBB272_202:                            ;   in Loop: Header=BB272_13 Depth=1
	s_or_b64 exec, exec, s[28:29]
	s_and_saveexec_b64 s[28:29], s[26:27]
	s_cbranch_execz .LBB272_204
.LBB272_203:                            ;   in Loop: Header=BB272_13 Depth=1
	v_and_b32_e32 v16, 7, v8
	v_ffbh_u32_e32 v4, v16
	v_min_u32_e32 v26, 32, v4
	v_subrev_u32_e32 v4, 28, v26
	v_bfe_u32 v17, v8, 3, 4
	v_lshlrev_b64 v[4:5], v4, v[8:9]
	v_sub_u32_e32 v5, 29, v26
	v_cmp_eq_u32_e64 s[4:5], 0, v17
	v_mov_b32_e32 v1, 0x1c00
	v_and_b32_e32 v4, 7, v4
	v_cndmask_b32_e64 v5, v17, v5, s[4:5]
	v_lshlrev_b32_e32 v8, 8, v8
	v_lshl_add_u32 v5, v5, 10, v1
	v_cndmask_b32_e64 v4, v16, v4, s[4:5]
	v_and_or_b32 v5, v8, s37, v5
	v_lshl_or_b32 v4, v4, 7, v5
	v_cvt_f32_f16_e32 v1, v4
.LBB272_204:                            ;   in Loop: Header=BB272_13 Depth=1
	s_or_b64 exec, exec, s[28:29]
	flat_load_ushort v4, v[38:39] offset:2824
	v_accvgpr_write_b32 a63, v1
	s_mov_b64 s[4:5], 0
                                        ; implicit-def: $sgpr30
	s_waitcnt vmcnt(0) lgkmcnt(0)
	v_cmp_gt_i16_sdwa s[26:27], v4, s35 src0_sel:BYTE_0 src1_sel:DWORD
	s_and_saveexec_b64 s[28:29], s[26:27]
	s_xor_b64 s[26:27], exec, s[28:29]
	s_cbranch_execnz .LBB272_462
; %bb.205:                              ;   in Loop: Header=BB272_13 Depth=1
	s_or_saveexec_b64 s[26:27], s[26:27]
	v_mov_b32_e32 v55, s30
	s_xor_b64 exec, exec, s[26:27]
	s_cbranch_execnz .LBB272_465
.LBB272_206:                            ;   in Loop: Header=BB272_13 Depth=1
	s_or_b64 exec, exec, s[26:27]
	v_and_b32_e32 v8, 0xffff, v4
	s_and_saveexec_b64 s[26:27], s[4:5]
	s_cbranch_execz .LBB272_208
.LBB272_207:                            ;   in Loop: Header=BB272_13 Depth=1
	v_and_b32_e32 v16, 7, v8
	v_ffbh_u32_e32 v4, v16
	v_min_u32_e32 v26, 32, v4
	v_subrev_u32_e32 v4, 28, v26
	v_bfe_u32 v17, v8, 3, 4
	v_lshlrev_b64 v[4:5], v4, v[8:9]
	v_sub_u32_e32 v5, 29, v26
	v_cmp_eq_u32_e64 s[4:5], 0, v17
	v_and_b32_e32 v4, 7, v4
	v_mov_b32_e32 v1, 0x1c00
	v_cndmask_b32_e64 v5, v17, v5, s[4:5]
	v_cndmask_b32_e64 v4, v16, v4, s[4:5]
	v_lshlrev_b32_e32 v16, 8, v8
	v_lshl_add_u32 v5, v5, 10, v1
	v_and_or_b32 v5, v16, s37, v5
	v_lshl_or_b32 v4, v4, 7, v5
	v_cvt_f32_f16_e32 v55, v4
.LBB272_208:                            ;   in Loop: Header=BB272_13 Depth=1
	s_or_b64 exec, exec, s[26:27]
	v_lshrrev_b16_e32 v8, 8, v8
	v_cmp_lt_i16_e64 s[4:5], s35, v8
	s_mov_b64 s[26:27], 0
                                        ; implicit-def: $sgpr38
	s_and_saveexec_b64 s[28:29], s[4:5]
	s_xor_b64 s[28:29], exec, s[28:29]
	s_cbranch_execnz .LBB272_466
; %bb.209:                              ;   in Loop: Header=BB272_13 Depth=1
	s_or_saveexec_b64 s[28:29], s[28:29]
	v_mov_b32_e32 v1, s38
	s_xor_b64 exec, exec, s[28:29]
	s_cbranch_execnz .LBB272_469
.LBB272_210:                            ;   in Loop: Header=BB272_13 Depth=1
	s_or_b64 exec, exec, s[28:29]
	s_and_saveexec_b64 s[28:29], s[26:27]
	s_cbranch_execz .LBB272_212
.LBB272_211:                            ;   in Loop: Header=BB272_13 Depth=1
	v_and_b32_e32 v16, 7, v8
	v_ffbh_u32_e32 v4, v16
	v_min_u32_e32 v26, 32, v4
	v_subrev_u32_e32 v4, 28, v26
	v_bfe_u32 v17, v8, 3, 4
	v_lshlrev_b64 v[4:5], v4, v[8:9]
	v_sub_u32_e32 v5, 29, v26
	v_cmp_eq_u32_e64 s[4:5], 0, v17
	v_mov_b32_e32 v1, 0x1c00
	v_and_b32_e32 v4, 7, v4
	v_cndmask_b32_e64 v5, v17, v5, s[4:5]
	v_lshlrev_b32_e32 v8, 8, v8
	v_lshl_add_u32 v5, v5, 10, v1
	v_cndmask_b32_e64 v4, v16, v4, s[4:5]
	v_and_or_b32 v5, v8, s37, v5
	v_lshl_or_b32 v4, v4, 7, v5
	v_cvt_f32_f16_e32 v1, v4
.LBB272_212:                            ;   in Loop: Header=BB272_13 Depth=1
	s_or_b64 exec, exec, s[28:29]
	flat_load_ushort v4, v[38:39] offset:3072
	v_accvgpr_write_b32 a28, v1
	s_mov_b64 s[4:5], 0
                                        ; implicit-def: $sgpr30
	s_waitcnt vmcnt(0) lgkmcnt(0)
	v_cmp_gt_i16_sdwa s[26:27], v4, s35 src0_sel:BYTE_0 src1_sel:DWORD
	s_and_saveexec_b64 s[28:29], s[26:27]
	s_xor_b64 s[26:27], exec, s[28:29]
	s_cbranch_execnz .LBB272_470
; %bb.213:                              ;   in Loop: Header=BB272_13 Depth=1
	s_or_saveexec_b64 s[26:27], s[26:27]
	v_mov_b32_e32 v53, s30
	s_xor_b64 exec, exec, s[26:27]
	s_cbranch_execnz .LBB272_473
.LBB272_214:                            ;   in Loop: Header=BB272_13 Depth=1
	s_or_b64 exec, exec, s[26:27]
	v_and_b32_e32 v8, 0xffff, v4
	s_and_saveexec_b64 s[26:27], s[4:5]
	s_cbranch_execz .LBB272_216
.LBB272_215:                            ;   in Loop: Header=BB272_13 Depth=1
	v_and_b32_e32 v16, 7, v8
	v_ffbh_u32_e32 v4, v16
	v_min_u32_e32 v26, 32, v4
	v_subrev_u32_e32 v4, 28, v26
	v_bfe_u32 v17, v8, 3, 4
	v_lshlrev_b64 v[4:5], v4, v[8:9]
	v_sub_u32_e32 v5, 29, v26
	v_cmp_eq_u32_e64 s[4:5], 0, v17
	v_and_b32_e32 v4, 7, v4
	v_mov_b32_e32 v1, 0x1c00
	v_cndmask_b32_e64 v5, v17, v5, s[4:5]
	v_cndmask_b32_e64 v4, v16, v4, s[4:5]
	v_lshlrev_b32_e32 v16, 8, v8
	v_lshl_add_u32 v5, v5, 10, v1
	v_and_or_b32 v5, v16, s37, v5
	v_lshl_or_b32 v4, v4, 7, v5
	v_cvt_f32_f16_e32 v53, v4
.LBB272_216:                            ;   in Loop: Header=BB272_13 Depth=1
	s_or_b64 exec, exec, s[26:27]
	v_lshrrev_b16_e32 v8, 8, v8
	v_cmp_lt_i16_e64 s[4:5], s35, v8
	s_mov_b64 s[26:27], 0
                                        ; implicit-def: $sgpr38
	s_and_saveexec_b64 s[28:29], s[4:5]
	s_xor_b64 s[28:29], exec, s[28:29]
	s_cbranch_execnz .LBB272_474
; %bb.217:                              ;   in Loop: Header=BB272_13 Depth=1
	s_or_saveexec_b64 s[28:29], s[28:29]
	v_mov_b32_e32 v48, s38
	s_xor_b64 exec, exec, s[28:29]
	s_cbranch_execnz .LBB272_477
.LBB272_218:                            ;   in Loop: Header=BB272_13 Depth=1
	s_or_b64 exec, exec, s[28:29]
	s_and_saveexec_b64 s[28:29], s[26:27]
	s_cbranch_execz .LBB272_220
.LBB272_219:                            ;   in Loop: Header=BB272_13 Depth=1
	v_and_b32_e32 v16, 7, v8
	v_ffbh_u32_e32 v4, v16
	v_min_u32_e32 v26, 32, v4
	v_subrev_u32_e32 v4, 28, v26
	v_bfe_u32 v17, v8, 3, 4
	v_lshlrev_b64 v[4:5], v4, v[8:9]
	v_sub_u32_e32 v5, 29, v26
	v_cmp_eq_u32_e64 s[4:5], 0, v17
	v_mov_b32_e32 v1, 0x1c00
	v_and_b32_e32 v4, 7, v4
	v_cndmask_b32_e64 v5, v17, v5, s[4:5]
	v_lshlrev_b32_e32 v8, 8, v8
	v_lshl_add_u32 v5, v5, 10, v1
	v_cndmask_b32_e64 v4, v16, v4, s[4:5]
	v_and_or_b32 v5, v8, s37, v5
	v_lshl_or_b32 v4, v4, 7, v5
	v_cvt_f32_f16_e32 v48, v4
.LBB272_220:                            ;   in Loop: Header=BB272_13 Depth=1
	s_or_b64 exec, exec, s[28:29]
	flat_load_ushort v4, v[38:39] offset:3080
	s_mov_b64 s[4:5], 0
                                        ; implicit-def: $sgpr30
	s_waitcnt vmcnt(0) lgkmcnt(0)
	v_cmp_gt_i16_sdwa s[26:27], v4, s35 src0_sel:BYTE_0 src1_sel:DWORD
	s_and_saveexec_b64 s[28:29], s[26:27]
	s_xor_b64 s[26:27], exec, s[28:29]
	s_cbranch_execnz .LBB272_478
; %bb.221:                              ;   in Loop: Header=BB272_13 Depth=1
	s_or_saveexec_b64 s[26:27], s[26:27]
	v_mov_b32_e32 v49, s30
	s_xor_b64 exec, exec, s[26:27]
	s_cbranch_execnz .LBB272_481
.LBB272_222:                            ;   in Loop: Header=BB272_13 Depth=1
	s_or_b64 exec, exec, s[26:27]
	v_and_b32_e32 v8, 0xffff, v4
	s_and_saveexec_b64 s[26:27], s[4:5]
	s_cbranch_execz .LBB272_224
.LBB272_223:                            ;   in Loop: Header=BB272_13 Depth=1
	v_and_b32_e32 v16, 7, v8
	v_ffbh_u32_e32 v4, v16
	v_min_u32_e32 v26, 32, v4
	v_subrev_u32_e32 v4, 28, v26
	v_bfe_u32 v17, v8, 3, 4
	v_lshlrev_b64 v[4:5], v4, v[8:9]
	v_sub_u32_e32 v5, 29, v26
	v_cmp_eq_u32_e64 s[4:5], 0, v17
	v_and_b32_e32 v4, 7, v4
	v_mov_b32_e32 v1, 0x1c00
	v_cndmask_b32_e64 v5, v17, v5, s[4:5]
	v_cndmask_b32_e64 v4, v16, v4, s[4:5]
	v_lshlrev_b32_e32 v16, 8, v8
	v_lshl_add_u32 v5, v5, 10, v1
	v_and_or_b32 v5, v16, s37, v5
	v_lshl_or_b32 v4, v4, 7, v5
	v_cvt_f32_f16_e32 v49, v4
.LBB272_224:                            ;   in Loop: Header=BB272_13 Depth=1
	s_or_b64 exec, exec, s[26:27]
	v_lshrrev_b16_e32 v8, 8, v8
	v_cmp_lt_i16_e64 s[4:5], s35, v8
	s_mov_b64 s[26:27], 0
                                        ; implicit-def: $sgpr38
	s_and_saveexec_b64 s[28:29], s[4:5]
	s_xor_b64 s[28:29], exec, s[28:29]
	s_cbranch_execnz .LBB272_482
; %bb.225:                              ;   in Loop: Header=BB272_13 Depth=1
	s_or_saveexec_b64 s[28:29], s[28:29]
	v_mov_b32_e32 v46, s38
	s_xor_b64 exec, exec, s[28:29]
	s_cbranch_execnz .LBB272_485
.LBB272_226:                            ;   in Loop: Header=BB272_13 Depth=1
	s_or_b64 exec, exec, s[28:29]
	s_and_saveexec_b64 s[28:29], s[26:27]
	s_cbranch_execz .LBB272_228
.LBB272_227:                            ;   in Loop: Header=BB272_13 Depth=1
	v_and_b32_e32 v16, 7, v8
	v_ffbh_u32_e32 v4, v16
	v_min_u32_e32 v26, 32, v4
	v_subrev_u32_e32 v4, 28, v26
	v_bfe_u32 v17, v8, 3, 4
	v_lshlrev_b64 v[4:5], v4, v[8:9]
	v_sub_u32_e32 v5, 29, v26
	v_cmp_eq_u32_e64 s[4:5], 0, v17
	v_mov_b32_e32 v1, 0x1c00
	v_and_b32_e32 v4, 7, v4
	v_cndmask_b32_e64 v5, v17, v5, s[4:5]
	v_lshlrev_b32_e32 v8, 8, v8
	v_lshl_add_u32 v5, v5, 10, v1
	v_cndmask_b32_e64 v4, v16, v4, s[4:5]
	v_and_or_b32 v5, v8, s37, v5
	v_lshl_or_b32 v4, v4, 7, v5
	v_cvt_f32_f16_e32 v46, v4
.LBB272_228:                            ;   in Loop: Header=BB272_13 Depth=1
	s_or_b64 exec, exec, s[28:29]
	flat_load_ushort v4, v[38:39] offset:3328
	s_mov_b64 s[4:5], 0
                                        ; implicit-def: $sgpr30
	s_waitcnt vmcnt(0) lgkmcnt(0)
	v_cmp_gt_i16_sdwa s[26:27], v4, s35 src0_sel:BYTE_0 src1_sel:DWORD
	s_and_saveexec_b64 s[28:29], s[26:27]
	s_xor_b64 s[26:27], exec, s[28:29]
	s_cbranch_execnz .LBB272_486
; %bb.229:                              ;   in Loop: Header=BB272_13 Depth=1
	s_or_saveexec_b64 s[26:27], s[26:27]
	v_mov_b32_e32 v31, s30
	s_xor_b64 exec, exec, s[26:27]
	s_cbranch_execnz .LBB272_489
.LBB272_230:                            ;   in Loop: Header=BB272_13 Depth=1
	s_or_b64 exec, exec, s[26:27]
	v_and_b32_e32 v8, 0xffff, v4
	s_and_saveexec_b64 s[26:27], s[4:5]
	s_cbranch_execz .LBB272_232
.LBB272_231:                            ;   in Loop: Header=BB272_13 Depth=1
	v_and_b32_e32 v16, 7, v8
	v_ffbh_u32_e32 v4, v16
	v_min_u32_e32 v26, 32, v4
	v_subrev_u32_e32 v4, 28, v26
	v_bfe_u32 v17, v8, 3, 4
	v_lshlrev_b64 v[4:5], v4, v[8:9]
	v_sub_u32_e32 v5, 29, v26
	v_cmp_eq_u32_e64 s[4:5], 0, v17
	v_and_b32_e32 v4, 7, v4
	v_mov_b32_e32 v1, 0x1c00
	v_cndmask_b32_e64 v5, v17, v5, s[4:5]
	v_cndmask_b32_e64 v4, v16, v4, s[4:5]
	v_lshlrev_b32_e32 v16, 8, v8
	v_lshl_add_u32 v5, v5, 10, v1
	v_and_or_b32 v5, v16, s37, v5
	v_lshl_or_b32 v4, v4, 7, v5
	v_cvt_f32_f16_e32 v31, v4
.LBB272_232:                            ;   in Loop: Header=BB272_13 Depth=1
	s_or_b64 exec, exec, s[26:27]
	v_lshrrev_b16_e32 v8, 8, v8
	v_cmp_lt_i16_e64 s[4:5], s35, v8
	s_mov_b64 s[26:27], 0
                                        ; implicit-def: $sgpr38
	s_and_saveexec_b64 s[28:29], s[4:5]
	s_xor_b64 s[28:29], exec, s[28:29]
	s_cbranch_execnz .LBB272_490
; %bb.233:                              ;   in Loop: Header=BB272_13 Depth=1
	s_or_saveexec_b64 s[28:29], s[28:29]
	v_mov_b32_e32 v40, s38
	s_xor_b64 exec, exec, s[28:29]
	s_cbranch_execnz .LBB272_493
.LBB272_234:                            ;   in Loop: Header=BB272_13 Depth=1
	s_or_b64 exec, exec, s[28:29]
	s_and_saveexec_b64 s[28:29], s[26:27]
	s_cbranch_execz .LBB272_236
.LBB272_235:                            ;   in Loop: Header=BB272_13 Depth=1
	v_and_b32_e32 v16, 7, v8
	v_ffbh_u32_e32 v4, v16
	v_min_u32_e32 v26, 32, v4
	v_subrev_u32_e32 v4, 28, v26
	v_bfe_u32 v17, v8, 3, 4
	v_lshlrev_b64 v[4:5], v4, v[8:9]
	v_sub_u32_e32 v5, 29, v26
	v_cmp_eq_u32_e64 s[4:5], 0, v17
	v_mov_b32_e32 v1, 0x1c00
	v_and_b32_e32 v4, 7, v4
	v_cndmask_b32_e64 v5, v17, v5, s[4:5]
	v_lshlrev_b32_e32 v8, 8, v8
	v_lshl_add_u32 v5, v5, 10, v1
	v_cndmask_b32_e64 v4, v16, v4, s[4:5]
	v_and_or_b32 v5, v8, s37, v5
	v_lshl_or_b32 v4, v4, 7, v5
	v_cvt_f32_f16_e32 v40, v4
.LBB272_236:                            ;   in Loop: Header=BB272_13 Depth=1
	s_or_b64 exec, exec, s[28:29]
	flat_load_ushort v4, v[38:39] offset:3336
	s_mov_b64 s[4:5], 0
                                        ; implicit-def: $sgpr30
	s_waitcnt vmcnt(0) lgkmcnt(0)
	v_cmp_gt_i16_sdwa s[26:27], v4, s35 src0_sel:BYTE_0 src1_sel:DWORD
	s_and_saveexec_b64 s[28:29], s[26:27]
	s_xor_b64 s[26:27], exec, s[28:29]
	s_cbranch_execnz .LBB272_494
; %bb.237:                              ;   in Loop: Header=BB272_13 Depth=1
	s_or_saveexec_b64 s[26:27], s[26:27]
	v_mov_b32_e32 v17, s30
	s_xor_b64 exec, exec, s[26:27]
	s_cbranch_execnz .LBB272_497
.LBB272_238:                            ;   in Loop: Header=BB272_13 Depth=1
	s_or_b64 exec, exec, s[26:27]
	v_and_b32_e32 v8, 0xffff, v4
	s_and_saveexec_b64 s[26:27], s[4:5]
	s_cbranch_execz .LBB272_240
.LBB272_239:                            ;   in Loop: Header=BB272_13 Depth=1
	v_and_b32_e32 v16, 7, v8
	v_ffbh_u32_e32 v4, v16
	v_min_u32_e32 v26, 32, v4
	v_subrev_u32_e32 v4, 28, v26
	v_bfe_u32 v17, v8, 3, 4
	v_lshlrev_b64 v[4:5], v4, v[8:9]
	v_sub_u32_e32 v5, 29, v26
	v_cmp_eq_u32_e64 s[4:5], 0, v17
	v_and_b32_e32 v4, 7, v4
	v_mov_b32_e32 v1, 0x1c00
	v_cndmask_b32_e64 v5, v17, v5, s[4:5]
	v_cndmask_b32_e64 v4, v16, v4, s[4:5]
	v_lshlrev_b32_e32 v16, 8, v8
	v_lshl_add_u32 v5, v5, 10, v1
	v_and_or_b32 v5, v16, s37, v5
	v_lshl_or_b32 v4, v4, 7, v5
	v_cvt_f32_f16_e32 v17, v4
.LBB272_240:                            ;   in Loop: Header=BB272_13 Depth=1
	s_or_b64 exec, exec, s[26:27]
	v_lshrrev_b16_e32 v8, 8, v8
	v_cmp_lt_i16_e64 s[4:5], s35, v8
	s_mov_b64 s[26:27], 0
                                        ; implicit-def: $sgpr38
	s_and_saveexec_b64 s[28:29], s[4:5]
	s_xor_b64 s[28:29], exec, s[28:29]
	s_cbranch_execnz .LBB272_498
; %bb.241:                              ;   in Loop: Header=BB272_13 Depth=1
	s_or_saveexec_b64 s[28:29], s[28:29]
	v_mov_b32_e32 v28, s38
	s_xor_b64 exec, exec, s[28:29]
	s_cbranch_execnz .LBB272_501
.LBB272_242:                            ;   in Loop: Header=BB272_13 Depth=1
	s_or_b64 exec, exec, s[28:29]
	s_and_saveexec_b64 s[28:29], s[26:27]
	s_cbranch_execz .LBB272_244
.LBB272_243:                            ;   in Loop: Header=BB272_13 Depth=1
	v_and_b32_e32 v16, 7, v8
	v_ffbh_u32_e32 v4, v16
	v_min_u32_e32 v27, 32, v4
	v_subrev_u32_e32 v4, 28, v27
	v_bfe_u32 v26, v8, 3, 4
	v_lshlrev_b64 v[4:5], v4, v[8:9]
	v_sub_u32_e32 v5, 29, v27
	v_cmp_eq_u32_e64 s[4:5], 0, v26
	v_mov_b32_e32 v1, 0x1c00
	v_and_b32_e32 v4, 7, v4
	v_cndmask_b32_e64 v5, v26, v5, s[4:5]
	v_lshlrev_b32_e32 v8, 8, v8
	v_lshl_add_u32 v5, v5, 10, v1
	v_cndmask_b32_e64 v4, v16, v4, s[4:5]
	v_and_or_b32 v5, v8, s37, v5
	v_lshl_or_b32 v4, v4, 7, v5
	v_cvt_f32_f16_e32 v28, v4
.LBB272_244:                            ;   in Loop: Header=BB272_13 Depth=1
	s_or_b64 exec, exec, s[28:29]
	flat_load_ushort v4, v[38:39] offset:3584
	s_mov_b64 s[4:5], 0
                                        ; implicit-def: $sgpr30
	s_waitcnt vmcnt(0) lgkmcnt(0)
	v_cmp_gt_i16_sdwa s[26:27], v4, s35 src0_sel:BYTE_0 src1_sel:DWORD
	s_and_saveexec_b64 s[28:29], s[26:27]
	s_xor_b64 s[26:27], exec, s[28:29]
	s_cbranch_execnz .LBB272_502
; %bb.245:                              ;   in Loop: Header=BB272_13 Depth=1
	s_or_saveexec_b64 s[26:27], s[26:27]
	v_mov_b32_e32 v29, s30
	s_xor_b64 exec, exec, s[26:27]
	s_cbranch_execnz .LBB272_505
.LBB272_246:                            ;   in Loop: Header=BB272_13 Depth=1
	s_or_b64 exec, exec, s[26:27]
	v_and_b32_e32 v8, 0xffff, v4
	s_and_saveexec_b64 s[26:27], s[4:5]
	s_cbranch_execz .LBB272_248
.LBB272_247:                            ;   in Loop: Header=BB272_13 Depth=1
	v_and_b32_e32 v16, 7, v8
	v_ffbh_u32_e32 v4, v16
	v_min_u32_e32 v27, 32, v4
	v_subrev_u32_e32 v4, 28, v27
	v_bfe_u32 v26, v8, 3, 4
	v_lshlrev_b64 v[4:5], v4, v[8:9]
	v_sub_u32_e32 v5, 29, v27
	v_cmp_eq_u32_e64 s[4:5], 0, v26
	v_and_b32_e32 v4, 7, v4
	v_mov_b32_e32 v1, 0x1c00
	v_cndmask_b32_e64 v5, v26, v5, s[4:5]
	v_cndmask_b32_e64 v4, v16, v4, s[4:5]
	v_lshlrev_b32_e32 v16, 8, v8
	v_lshl_add_u32 v5, v5, 10, v1
	v_and_or_b32 v5, v16, s37, v5
	v_lshl_or_b32 v4, v4, 7, v5
	v_cvt_f32_f16_e32 v29, v4
.LBB272_248:                            ;   in Loop: Header=BB272_13 Depth=1
	s_or_b64 exec, exec, s[26:27]
	v_lshrrev_b16_e32 v8, 8, v8
	v_cmp_lt_i16_e64 s[4:5], s35, v8
	s_mov_b64 s[26:27], 0
                                        ; implicit-def: $sgpr38
	s_and_saveexec_b64 s[28:29], s[4:5]
	s_xor_b64 s[28:29], exec, s[28:29]
	s_cbranch_execnz .LBB272_506
; %bb.249:                              ;   in Loop: Header=BB272_13 Depth=1
	s_or_saveexec_b64 s[28:29], s[28:29]
	v_mov_b32_e32 v4, s38
	s_xor_b64 exec, exec, s[28:29]
	s_cbranch_execnz .LBB272_509
.LBB272_250:                            ;   in Loop: Header=BB272_13 Depth=1
	s_or_b64 exec, exec, s[28:29]
	s_and_saveexec_b64 s[28:29], s[26:27]
	s_cbranch_execz .LBB272_252
.LBB272_251:                            ;   in Loop: Header=BB272_13 Depth=1
	v_and_b32_e32 v16, 7, v8
	v_ffbh_u32_e32 v4, v16
	v_min_u32_e32 v27, 32, v4
	v_subrev_u32_e32 v4, 28, v27
	v_bfe_u32 v26, v8, 3, 4
	v_lshlrev_b64 v[4:5], v4, v[8:9]
	v_sub_u32_e32 v5, 29, v27
	v_cmp_eq_u32_e64 s[4:5], 0, v26
	v_mov_b32_e32 v1, 0x1c00
	v_and_b32_e32 v4, 7, v4
	v_cndmask_b32_e64 v5, v26, v5, s[4:5]
	v_lshlrev_b32_e32 v8, 8, v8
	v_lshl_add_u32 v5, v5, 10, v1
	v_cndmask_b32_e64 v4, v16, v4, s[4:5]
	v_and_or_b32 v5, v8, s37, v5
	v_lshl_or_b32 v4, v4, 7, v5
	v_cvt_f32_f16_e32 v4, v4
.LBB272_252:                            ;   in Loop: Header=BB272_13 Depth=1
	s_or_b64 exec, exec, s[28:29]
	flat_load_ushort v5, v[38:39] offset:3592
	s_mov_b64 s[4:5], 0
                                        ; implicit-def: $sgpr30
	s_waitcnt vmcnt(0) lgkmcnt(0)
	v_cmp_gt_i16_sdwa s[26:27], v5, s35 src0_sel:BYTE_0 src1_sel:DWORD
	s_and_saveexec_b64 s[28:29], s[26:27]
	s_xor_b64 s[26:27], exec, s[28:29]
	s_cbranch_execnz .LBB272_510
; %bb.253:                              ;   in Loop: Header=BB272_13 Depth=1
	s_or_saveexec_b64 s[26:27], s[26:27]
	v_mov_b32_e32 v27, s30
	s_xor_b64 exec, exec, s[26:27]
	s_cbranch_execnz .LBB272_513
.LBB272_254:                            ;   in Loop: Header=BB272_13 Depth=1
	s_or_b64 exec, exec, s[26:27]
	v_and_b32_e32 v8, 0xffff, v5
	s_and_saveexec_b64 s[26:27], s[4:5]
	s_cbranch_execz .LBB272_256
.LBB272_255:                            ;   in Loop: Header=BB272_13 Depth=1
	v_and_b32_e32 v5, 7, v8
	v_ffbh_u32_e32 v26, v5
	v_min_u32_e32 v35, 32, v26
	v_subrev_u32_e32 v26, 28, v35
	v_bfe_u32 v16, v8, 3, 4
	v_lshlrev_b64 v[26:27], v26, v[8:9]
	v_sub_u32_e32 v27, 29, v35
	v_cmp_eq_u32_e64 s[4:5], 0, v16
	v_and_b32_e32 v26, 7, v26
	v_mov_b32_e32 v1, 0x1c00
	v_cndmask_b32_e64 v16, v16, v27, s[4:5]
	v_cndmask_b32_e64 v5, v5, v26, s[4:5]
	v_lshlrev_b32_e32 v26, 8, v8
	v_lshl_add_u32 v16, v16, 10, v1
	v_and_or_b32 v16, v26, s37, v16
	v_lshl_or_b32 v5, v5, 7, v16
	v_cvt_f32_f16_e32 v27, v5
.LBB272_256:                            ;   in Loop: Header=BB272_13 Depth=1
	s_or_b64 exec, exec, s[26:27]
	v_lshrrev_b16_e32 v8, 8, v8
	v_cmp_lt_i16_e64 s[4:5], s35, v8
	s_mov_b64 s[26:27], 0
                                        ; implicit-def: $sgpr38
	s_and_saveexec_b64 s[28:29], s[4:5]
	s_xor_b64 s[28:29], exec, s[28:29]
	s_cbranch_execnz .LBB272_514
; %bb.257:                              ;   in Loop: Header=BB272_13 Depth=1
	s_or_saveexec_b64 s[28:29], s[28:29]
	v_mov_b32_e32 v26, s38
	s_xor_b64 exec, exec, s[28:29]
	s_cbranch_execnz .LBB272_517
.LBB272_258:                            ;   in Loop: Header=BB272_13 Depth=1
	s_or_b64 exec, exec, s[28:29]
	s_and_saveexec_b64 s[28:29], s[26:27]
	s_cbranch_execz .LBB272_260
.LBB272_259:                            ;   in Loop: Header=BB272_13 Depth=1
	v_and_b32_e32 v5, 7, v8
	v_ffbh_u32_e32 v26, v5
	v_bfe_u32 v16, v8, 3, 4
	v_min_u32_e32 v26, 32, v26
	v_subrev_u32_e32 v35, 28, v26
	v_sub_u32_e32 v26, 29, v26
	v_cmp_eq_u32_e64 s[4:5], 0, v16
	v_lshlrev_b64 v[42:43], v35, v[8:9]
	v_mov_b32_e32 v1, 0x1c00
	v_cndmask_b32_e64 v16, v16, v26, s[4:5]
	v_and_b32_e32 v35, 7, v42
	v_lshlrev_b32_e32 v8, 8, v8
	v_lshl_add_u32 v16, v16, 10, v1
	v_cndmask_b32_e64 v5, v5, v35, s[4:5]
	v_and_or_b32 v8, v8, s37, v16
	v_lshl_or_b32 v5, v5, 7, v8
	v_cvt_f32_f16_e32 v26, v5
.LBB272_260:                            ;   in Loop: Header=BB272_13 Depth=1
	s_or_b64 exec, exec, s[28:29]
	flat_load_ushort v8, v[38:39] offset:3840
	s_mov_b64 s[4:5], 0
                                        ; implicit-def: $sgpr30
	s_waitcnt vmcnt(0) lgkmcnt(0)
	v_cmp_gt_i16_sdwa s[26:27], v8, s35 src0_sel:BYTE_0 src1_sel:DWORD
	s_and_saveexec_b64 s[28:29], s[26:27]
	s_xor_b64 s[26:27], exec, s[28:29]
	s_cbranch_execnz .LBB272_518
; %bb.261:                              ;   in Loop: Header=BB272_13 Depth=1
	s_or_saveexec_b64 s[26:27], s[26:27]
	v_mov_b32_e32 v5, s30
	s_xor_b64 exec, exec, s[26:27]
	s_cbranch_execnz .LBB272_521
.LBB272_262:                            ;   in Loop: Header=BB272_13 Depth=1
	s_or_b64 exec, exec, s[26:27]
	v_and_b32_e32 v8, 0xffff, v8
	s_and_saveexec_b64 s[26:27], s[4:5]
	s_cbranch_execz .LBB272_264
.LBB272_263:                            ;   in Loop: Header=BB272_13 Depth=1
	v_and_b32_e32 v5, 7, v8
	v_ffbh_u32_e32 v35, v5
	v_bfe_u32 v16, v8, 3, 4
	v_min_u32_e32 v35, 32, v35
	v_subrev_u32_e32 v42, 28, v35
	v_sub_u32_e32 v35, 29, v35
	v_cmp_eq_u32_e64 s[4:5], 0, v16
	v_lshlrev_b64 v[42:43], v42, v[8:9]
	v_mov_b32_e32 v1, 0x1c00
	v_cndmask_b32_e64 v16, v16, v35, s[4:5]
	v_and_b32_e32 v42, 7, v42
	v_lshlrev_b32_e32 v35, 8, v8
	v_lshl_add_u32 v16, v16, 10, v1
	v_cndmask_b32_e64 v5, v5, v42, s[4:5]
	v_and_or_b32 v16, v35, s37, v16
	v_lshl_or_b32 v5, v5, 7, v16
	v_cvt_f32_f16_e32 v5, v5
.LBB272_264:                            ;   in Loop: Header=BB272_13 Depth=1
	s_or_b64 exec, exec, s[26:27]
	v_lshrrev_b16_e32 v8, 8, v8
	v_cmp_lt_i16_e64 s[4:5], s35, v8
	s_mov_b64 s[26:27], 0
                                        ; implicit-def: $sgpr38
	s_and_saveexec_b64 s[28:29], s[4:5]
	s_xor_b64 s[28:29], exec, s[28:29]
	s_cbranch_execnz .LBB272_522
; %bb.265:                              ;   in Loop: Header=BB272_13 Depth=1
	s_or_saveexec_b64 s[28:29], s[28:29]
	v_mov_b32_e32 v47, s38
	s_xor_b64 exec, exec, s[28:29]
	s_cbranch_execnz .LBB272_525
.LBB272_266:                            ;   in Loop: Header=BB272_13 Depth=1
	s_or_b64 exec, exec, s[28:29]
	s_and_saveexec_b64 s[28:29], s[26:27]
	s_cbranch_execz .LBB272_268
.LBB272_267:                            ;   in Loop: Header=BB272_13 Depth=1
	v_and_b32_e32 v16, 7, v8
	v_ffbh_u32_e32 v42, v16
	v_min_u32_e32 v47, 32, v42
	v_subrev_u32_e32 v42, 28, v47
	v_bfe_u32 v35, v8, 3, 4
	v_lshlrev_b64 v[42:43], v42, v[8:9]
	v_sub_u32_e32 v43, 29, v47
	v_cmp_eq_u32_e64 s[4:5], 0, v35
	v_mov_b32_e32 v1, 0x1c00
	v_and_b32_e32 v42, 7, v42
	v_cndmask_b32_e64 v35, v35, v43, s[4:5]
	v_lshlrev_b32_e32 v8, 8, v8
	v_lshl_add_u32 v35, v35, 10, v1
	v_cndmask_b32_e64 v16, v16, v42, s[4:5]
	v_and_or_b32 v8, v8, s37, v35
	v_lshl_or_b32 v8, v16, 7, v8
	v_cvt_f32_f16_e32 v47, v8
.LBB272_268:                            ;   in Loop: Header=BB272_13 Depth=1
	s_or_b64 exec, exec, s[28:29]
	flat_load_ushort v8, v[38:39] offset:3848
	s_mov_b64 s[4:5], 0
                                        ; implicit-def: $sgpr30
	s_waitcnt vmcnt(0) lgkmcnt(0)
	v_cmp_gt_i16_sdwa s[26:27], v8, s35 src0_sel:BYTE_0 src1_sel:DWORD
	s_and_saveexec_b64 s[28:29], s[26:27]
	s_xor_b64 s[26:27], exec, s[28:29]
	s_cbranch_execnz .LBB272_526
; %bb.269:                              ;   in Loop: Header=BB272_13 Depth=1
	s_or_saveexec_b64 s[26:27], s[26:27]
	v_mov_b32_e32 v38, s30
	s_xor_b64 exec, exec, s[26:27]
	s_cbranch_execnz .LBB272_529
.LBB272_270:                            ;   in Loop: Header=BB272_13 Depth=1
	s_or_b64 exec, exec, s[26:27]
	v_and_b32_e32 v8, 0xffff, v8
	s_and_saveexec_b64 s[26:27], s[4:5]
	s_cbranch_execz .LBB272_272
.LBB272_271:                            ;   in Loop: Header=BB272_13 Depth=1
	v_and_b32_e32 v16, 7, v8
	v_ffbh_u32_e32 v38, v16
	v_min_u32_e32 v42, 32, v38
	v_subrev_u32_e32 v38, 28, v42
	v_bfe_u32 v35, v8, 3, 4
	v_lshlrev_b64 v[38:39], v38, v[8:9]
	v_sub_u32_e32 v39, 29, v42
	v_cmp_eq_u32_e64 s[4:5], 0, v35
	v_and_b32_e32 v38, 7, v38
	v_mov_b32_e32 v1, 0x1c00
	v_cndmask_b32_e64 v35, v35, v39, s[4:5]
	v_cndmask_b32_e64 v16, v16, v38, s[4:5]
	v_lshlrev_b32_e32 v38, 8, v8
	v_lshl_add_u32 v35, v35, 10, v1
	v_and_or_b32 v35, v38, s37, v35
	v_lshl_or_b32 v16, v16, 7, v35
	v_cvt_f32_f16_e32 v38, v16
.LBB272_272:                            ;   in Loop: Header=BB272_13 Depth=1
	s_or_b64 exec, exec, s[26:27]
	v_lshrrev_b16_e32 v8, 8, v8
	v_cmp_lt_i16_e64 s[4:5], s35, v8
	s_mov_b64 s[26:27], 0
                                        ; implicit-def: $sgpr38
	s_and_saveexec_b64 s[28:29], s[4:5]
	s_xor_b64 s[28:29], exec, s[28:29]
	s_cbranch_execz .LBB272_276
; %bb.273:                              ;   in Loop: Header=BB272_13 Depth=1
	v_cmp_eq_u16_e64 s[4:5], s36, v8
	s_mov_b64 s[26:27], -1
                                        ; implicit-def: $sgpr38
	s_and_saveexec_b64 s[30:31], s[4:5]
; %bb.274:                              ;   in Loop: Header=BB272_13 Depth=1
	s_mov_b32 s38, 0x7fc02000
	s_xor_b64 s[26:27], exec, -1
; %bb.275:                              ;   in Loop: Header=BB272_13 Depth=1
	s_or_b64 exec, exec, s[30:31]
	s_and_b64 s[26:27], s[26:27], exec
.LBB272_276:                            ;   in Loop: Header=BB272_13 Depth=1
	s_or_saveexec_b64 s[28:29], s[28:29]
	v_mov_b32_e32 v16, s38
	s_xor_b64 exec, exec, s[28:29]
; %bb.277:                              ;   in Loop: Header=BB272_13 Depth=1
	v_cmp_ne_u16_e64 s[4:5], 0, v8
	s_andn2_b64 s[26:27], s[26:27], exec
	s_and_b64 s[4:5], s[4:5], exec
	v_mov_b32_e32 v16, 0
	s_or_b64 s[26:27], s[26:27], s[4:5]
; %bb.278:                              ;   in Loop: Header=BB272_13 Depth=1
	s_or_b64 exec, exec, s[28:29]
	v_accvgpr_write_b32 a57, v56
	v_accvgpr_write_b32 a55, v52
	;; [unrolled: 1-line block ×5, first 2 shown]
	v_mov_b32_e32 v6, v3
	s_and_saveexec_b64 s[28:29], s[26:27]
	s_cbranch_execz .LBB272_280
; %bb.279:                              ;   in Loop: Header=BB272_13 Depth=1
	v_and_b32_e32 v16, 7, v8
	v_ffbh_u32_e32 v39, v16
	v_bfe_u32 v35, v8, 3, 4
	v_min_u32_e32 v39, 32, v39
	v_subrev_u32_e32 v42, 28, v39
	v_sub_u32_e32 v39, 29, v39
	v_cmp_eq_u32_e64 s[4:5], 0, v35
	v_lshlrev_b64 v[42:43], v42, v[8:9]
	v_mov_b32_e32 v1, 0x1c00
	v_cndmask_b32_e64 v35, v35, v39, s[4:5]
	v_and_b32_e32 v42, 7, v42
	v_lshlrev_b32_e32 v8, 8, v8
	v_lshl_add_u32 v35, v35, 10, v1
	v_cndmask_b32_e64 v16, v16, v42, s[4:5]
	v_and_or_b32 v8, v8, s37, v35
	v_lshl_or_b32 v8, v16, 7, v8
	v_cvt_f32_f16_e32 v16, v8
.LBB272_280:                            ;   in Loop: Header=BB272_13 Depth=1
	s_or_b64 exec, exec, s[28:29]
	scratch_load_dword v1, off, s32 offset:196 ; 4-byte Folded Reload
	v_fma_mixlo_f16 v8, v59, v13, 0
	v_accvgpr_read_b32 v13, a37
	ds_read_b32 v42, v13
	v_fma_mixlo_f16 v39, v59, v11, 0
	v_and_b32_e32 v39, 0xffff, v39
	v_and_b32_e32 v8, 0xffff, v8
	v_accvgpr_read_b32 v2, a60
	s_waitcnt lgkmcnt(0)
	v_lshrrev_b32_e32 v43, 16, v42
	v_and_b32_e32 v42, 0xffff, v42
	;;#ASMSTART
	v_cvt_f32_f16 v42, v42;
	;;#ASMEND
	;;#ASMSTART
	v_cvt_f32_f16 v43, v43;
	;;#ASMEND
	v_fma_mixlo_f16 v11, v59, v2, 0
	v_and_b32_e32 v11, 0xffff, v11
	v_fma_mixlo_f16 v51, v59, v51, 0
	v_accvgpr_read_b32 v2, a62
	v_fma_mixlo_f16 v56, v59, v26, 0
	v_fma_mixlo_f16 v26, v59, v45, 0
	;; [unrolled: 1-line block ×3, first 2 shown]
	v_and_b32_e32 v0, 0xffff, v0
	v_fma_mixlo_f16 v55, v59, v55, 0
	v_fma_mixlo_f16 v53, v59, v53, 0
	v_fma_mixlo_f16 v48, v59, v48, 0
	v_fma_mixlo_f16 v4, v59, v4, 0
	v_and_b32_e32 v4, 0xffff, v4
	v_fma_mixlo_f16 v27, v59, v27, 0
	v_fma_mixlo_f16 v5, v59, v5, 0
	v_fma_mixlo_f16 v47, v59, v47, 0
	s_waitcnt vmcnt(0)
	v_fma_mixlo_f16 v35, v59, v1, 0
	v_and_b32_e32 v35, 0xffff, v35
	;;#ASMSTART
	v_cvt_f32_f16 v35, v35;
	;;#ASMEND
	;;#ASMSTART
	v_cvt_f32_f16 v30, v39;
	;;#ASMEND
	ds_read_b32 v39, v13 offset:4
	v_fma_mixlo_f16 v1, v59, v10, 0
	v_and_b32_e32 v1, 0xffff, v1
	v_fma_mixlo_f16 v10, v59, v50, 0
	v_and_b32_e32 v10, 0xffff, v10
	s_waitcnt lgkmcnt(0)
	v_lshrrev_b32_e32 v52, 16, v39
	v_and_b32_e32 v39, 0xffff, v39
	;;#ASMSTART
	v_cvt_f32_f16 v39, v39;
	;;#ASMEND
	;;#ASMSTART
	v_cvt_f32_f16 v52, v52;
	;;#ASMEND
	;;#ASMSTART
	v_cvt_f32_f16 v8, v8;
	;;#ASMEND
	v_fma_mixlo_f16 v50, v59, v2, 0
	v_mul_f32_e32 v8, v39, v8
	v_fmac_f32_e32 v8, v42, v35
	v_fma_mixlo_f16 v35, v59, v18, 0
	v_and_b32_e32 v35, 0xffff, v35
	;;#ASMSTART
	v_cvt_f32_f16 v35, v35;
	;;#ASMEND
	v_fma_mixlo_f16 v42, v59, v33, 0
	v_mul_f32_e32 v39, v52, v35
	ds_read_b32 v35, v13 offset:8
	v_fmac_f32_e32 v39, v43, v30
	v_fma_mixlo_f16 v30, v59, v19, 0
	v_and_b32_e32 v30, 0xffff, v30
	v_fma_mixlo_f16 v43, v59, v34, 0
	s_waitcnt lgkmcnt(0)
	v_lshrrev_b32_e32 v52, 16, v35
	v_and_b32_e32 v35, 0xffff, v35
	;;#ASMSTART
	v_cvt_f32_f16 v35, v35;
	;;#ASMEND
	;;#ASMSTART
	v_cvt_f32_f16 v52, v52;
	;;#ASMEND
	;; [unrolled: 3-line block ×3, first 2 shown]
	v_fma_mixlo_f16 v19, v59, v61, 0
	v_fmac_f32_e32 v8, v35, v30
	v_fma_mixlo_f16 v30, v59, v20, 0
	v_and_b32_e32 v30, 0xffff, v30
	;;#ASMSTART
	v_cvt_f32_f16 v30, v30;
	;;#ASMEND
	ds_read_b32 v35, v13 offset:12
	v_fmac_f32_e32 v39, v52, v30
	v_fma_mixlo_f16 v30, v59, v21, 0
	v_and_b32_e32 v30, 0xffff, v30
	v_fma_mixlo_f16 v21, v59, v54, 0
	s_waitcnt lgkmcnt(0)
	v_lshrrev_b32_e32 v52, 16, v35
	v_and_b32_e32 v35, 0xffff, v35
	;;#ASMSTART
	v_cvt_f32_f16 v35, v35;
	;;#ASMEND
	;;#ASMSTART
	v_cvt_f32_f16 v52, v52;
	;;#ASMEND
	;; [unrolled: 3-line block ×3, first 2 shown]
	v_accvgpr_read_b32 v20, a55
	v_fmac_f32_e32 v8, v35, v30
	v_fma_mixlo_f16 v30, v59, v22, 0
	v_and_b32_e32 v30, 0xffff, v30
	;;#ASMSTART
	v_cvt_f32_f16 v30, v30;
	;;#ASMEND
	ds_read_b32 v35, v13 offset:16
	v_fmac_f32_e32 v39, v52, v30
	v_fma_mixlo_f16 v30, v59, v23, 0
	v_and_b32_e32 v30, 0xffff, v30
	v_accvgpr_read_b32 v23, a57
	s_waitcnt lgkmcnt(0)
	v_lshrrev_b32_e32 v52, 16, v35
	v_and_b32_e32 v35, 0xffff, v35
	;;#ASMSTART
	v_cvt_f32_f16 v35, v35;
	;;#ASMEND
	;;#ASMSTART
	v_cvt_f32_f16 v52, v52;
	;;#ASMEND
	;; [unrolled: 3-line block ×3, first 2 shown]
	v_fma_mixlo_f16 v61, v59, v36, 0
	v_fmac_f32_e32 v8, v35, v30
	v_fma_mixlo_f16 v30, v59, v24, 0
	v_and_b32_e32 v30, 0xffff, v30
	;;#ASMSTART
	v_cvt_f32_f16 v30, v30;
	;;#ASMEND
	v_fma_mixlo_f16 v35, v59, v25, 0
	v_fmac_f32_e32 v39, v52, v30
	ds_read_b32 v30, v13 offset:20
	v_and_b32_e32 v35, 0xffff, v35
	v_accvgpr_read_b32 v36, a61
	v_fma_mixlo_f16 v54, v59, v36, 0
	v_accvgpr_read_b32 v36, a28
	s_waitcnt lgkmcnt(0)
	v_lshrrev_b32_e32 v52, 16, v30
	v_and_b32_e32 v30, 0xffff, v30
	;;#ASMSTART
	v_cvt_f32_f16 v30, v30;
	;;#ASMEND
	;;#ASMSTART
	v_cvt_f32_f16 v52, v52;
	;;#ASMEND
	;; [unrolled: 3-line block ×3, first 2 shown]
	v_fma_mixlo_f16 v36, v59, v36, 0
	v_fmac_f32_e32 v8, v30, v35
	v_fma_mixlo_f16 v30, v59, v32, 0
	v_and_b32_e32 v30, 0xffff, v30
	;;#ASMSTART
	v_cvt_f32_f16 v30, v30;
	;;#ASMEND
	ds_read_b32 v35, v13 offset:24
	v_fmac_f32_e32 v39, v52, v30
	v_and_b32_e32 v52, 0xffff, v42
	v_and_b32_e32 v42, 0xffff, v43
	s_waitcnt lgkmcnt(0)
	v_lshrrev_b32_e32 v30, 16, v35
	v_and_b32_e32 v35, 0xffff, v35
	;;#ASMSTART
	v_cvt_f32_f16 v35, v35;
	;;#ASMEND
	;;#ASMSTART
	v_cvt_f32_f16 v30, v30;
	;;#ASMEND
	;; [unrolled: 3-line block ×4, first 2 shown]
	ds_read_b32 v43, v13 offset:28
	v_fmac_f32_e32 v8, v35, v52
	v_fmac_f32_e32 v39, v30, v42
	s_waitcnt lgkmcnt(0)
	v_lshrrev_b32_e32 v35, 16, v43
	v_and_b32_e32 v52, 0xffff, v43
	;;#ASMSTART
	v_cvt_f32_f16 v52, v52;
	;;#ASMEND
	;;#ASMSTART
	v_cvt_f32_f16 v35, v35;
	;;#ASMEND
	;; [unrolled: 3-line block ×4, first 2 shown]
	ds_read_b32 v43, v13 offset:32
	v_fmac_f32_e32 v8, v52, v1
	v_fmac_f32_e32 v39, v35, v11
	s_waitcnt lgkmcnt(0)
	v_lshrrev_b32_e32 v30, 16, v43
	v_and_b32_e32 v42, 0xffff, v43
	;;#ASMSTART
	v_cvt_f32_f16 v42, v42;
	;;#ASMEND
	;;#ASMSTART
	v_cvt_f32_f16 v30, v30;
	;;#ASMEND
	;; [unrolled: 3-line block ×3, first 2 shown]
	v_and_b32_e32 v10, 0xffff, v51
	;;#ASMSTART
	v_cvt_f32_f16 v51, v10;
	;;#ASMEND
	ds_read_b32 v10, v13 offset:36
	v_fmac_f32_e32 v8, v42, v43
	v_fmac_f32_e32 v39, v30, v51
	v_fma_mixlo_f16 v30, v59, v15, 0
	s_waitcnt lgkmcnt(0)
	v_lshrrev_b32_e32 v1, 16, v10
	v_and_b32_e32 v10, 0xffff, v10
	;;#ASMSTART
	v_cvt_f32_f16 v52, v10;
	;;#ASMEND
	v_and_b32_e32 v10, 0xffff, v21
	;;#ASMSTART
	v_cvt_f32_f16 v1, v1;
	;;#ASMEND
	;;#ASMSTART
	v_cvt_f32_f16 v21, v10;
	;;#ASMEND
	v_and_b32_e32 v10, 0xffff, v50
	;;#ASMSTART
	v_cvt_f32_f16 v3, v10;
	;;#ASMEND
	ds_read_b32 v10, v13 offset:40
	v_fma_mixlo_f16 v50, v59, v57, 0
	v_fmac_f32_e32 v8, v52, v21
	v_fmac_f32_e32 v39, v1, v3
	v_fma_mixlo_f16 v57, v59, v23, 0
	s_waitcnt lgkmcnt(0)
	v_lshrrev_b32_e32 v11, 16, v10
	v_and_b32_e32 v10, 0xffff, v10
	;;#ASMSTART
	v_cvt_f32_f16 v35, v10;
	;;#ASMEND
	v_and_b32_e32 v10, 0xffff, v26
	;;#ASMSTART
	v_cvt_f32_f16 v7, v11;
	;;#ASMEND
	;;#ASMSTART
	v_cvt_f32_f16 v2, v10;
	;;#ASMEND
	v_and_b32_e32 v10, 0xffff, v50
	;;#ASMSTART
	v_cvt_f32_f16 v32, v10;
	;;#ASMEND
	ds_read_b32 v11, v13 offset:44
	v_fma_mixlo_f16 v26, v59, v58, 0
	v_fma_mixlo_f16 v10, v59, v29, 0
	;; [unrolled: 1-line block ×3, first 2 shown]
	v_fmac_f32_e32 v8, v35, v2
	s_waitcnt lgkmcnt(0)
	v_lshrrev_b32_e32 v50, 16, v11
	v_and_b32_e32 v11, 0xffff, v11
	;;#ASMSTART
	v_cvt_f32_f16 v42, v11;
	;;#ASMEND
	v_and_b32_e32 v11, 0xffff, v26
	;;#ASMSTART
	v_cvt_f32_f16 v22, v50;
	;;#ASMEND
	;;#ASMSTART
	v_cvt_f32_f16 v33, v11;
	;;#ASMEND
	v_and_b32_e32 v11, 0xffff, v29
	;;#ASMSTART
	v_cvt_f32_f16 v18, v11;
	;;#ASMEND
	ds_read_b32 v11, v13 offset:48
	v_fma_mixlo_f16 v26, v59, v62, 0
	v_fmac_f32_e32 v39, v7, v32
	v_fmac_f32_e32 v8, v42, v33
	;; [unrolled: 1-line block ×3, first 2 shown]
	s_waitcnt lgkmcnt(0)
	v_lshrrev_b32_e32 v29, 16, v11
	v_and_b32_e32 v11, 0xffff, v11
	;;#ASMSTART
	v_cvt_f32_f16 v25, v11;
	;;#ASMEND
	v_and_b32_e32 v11, 0xffff, v19
	;;#ASMSTART
	v_cvt_f32_f16 v51, v29;
	;;#ASMEND
	;;#ASMSTART
	v_cvt_f32_f16 v19, v11;
	;;#ASMEND
	v_and_b32_e32 v11, 0xffff, v26
	;;#ASMSTART
	v_cvt_f32_f16 v43, v11;
	;;#ASMEND
	ds_read_b32 v26, v13 offset:52
	v_fma_mixlo_f16 v11, v59, v17, 0
	v_fma_mixlo_f16 v17, v59, v12, 0
	v_and_b32_e32 v17, 0xffff, v17
	v_accvgpr_read_b32 v23, a58
	s_waitcnt lgkmcnt(0)
	v_lshrrev_b32_e32 v12, 16, v26
	v_and_b32_e32 v21, 0xffff, v26
	;;#ASMSTART
	v_cvt_f32_f16 v50, v21;
	;;#ASMEND
	;;#ASMSTART
	v_cvt_f32_f16 v12, v12;
	;;#ASMEND
	;; [unrolled: 3-line block ×4, first 2 shown]
	ds_read_b32 v17, v13 offset:56
	v_fma_mixlo_f16 v21, v59, v6, 0
	v_accvgpr_read_b32 v6, a50
	v_fma_mixlo_f16 v0, v59, v28, 0
	v_fma_mixlo_f16 v28, v59, v6, 0
	s_waitcnt lgkmcnt(0)
	v_lshrrev_b32_e32 v1, 16, v17
	v_and_b32_e32 v3, 0xffff, v17
	;;#ASMSTART
	v_cvt_f32_f16 v3, v3;
	;;#ASMEND
	;;#ASMSTART
	v_cvt_f32_f16 v17, v1;
	;;#ASMEND
	v_and_b32_e32 v1, 0xffff, v21
	;;#ASMSTART
	v_cvt_f32_f16 v21, v1;
	;;#ASMEND
	v_and_b32_e32 v1, 0xffff, v28
	;;#ASMSTART
	v_cvt_f32_f16 v28, v1;
	;;#ASMEND
	ds_read_b32 v29, v13 offset:60
	v_fma_mixlo_f16 v1, v59, v31, 0
	v_fma_mixlo_f16 v31, v59, v14, 0
	v_accvgpr_read_b32 v6, a51
	v_fma_mixlo_f16 v35, v59, v6, 0
	s_waitcnt lgkmcnt(0)
	v_lshrrev_b32_e32 v2, 16, v29
	v_and_b32_e32 v14, 0xffff, v29
	;;#ASMSTART
	v_cvt_f32_f16 v14, v14;
	;;#ASMEND
	;;#ASMSTART
	v_cvt_f32_f16 v15, v2;
	;;#ASMEND
	v_and_b32_e32 v2, 0xffff, v30
	;;#ASMSTART
	v_cvt_f32_f16 v29, v2;
	;;#ASMEND
	v_and_b32_e32 v2, 0xffff, v31
	;;#ASMSTART
	v_cvt_f32_f16 v30, v2;
	;;#ASMEND
	ds_read_b32 v31, v13 offset:64
	v_accvgpr_read_b32 v6, a52
	v_fma_mixlo_f16 v34, v59, v6, 0
	v_fma_mixlo_f16 v2, v59, v40, 0
	v_accvgpr_read_b32 v6, a53
	s_waitcnt lgkmcnt(0)
	v_lshrrev_b32_e32 v7, 16, v31
	v_and_b32_e32 v31, 0xffff, v31
	;;#ASMSTART
	v_cvt_f32_f16 v31, v31;
	;;#ASMEND
	;;#ASMSTART
	v_cvt_f32_f16 v32, v7;
	;;#ASMEND
	v_and_b32_e32 v7, 0xffff, v35
	;;#ASMSTART
	v_cvt_f32_f16 v40, v7;
	;;#ASMEND
	v_and_b32_e32 v7, 0xffff, v34
	;;#ASMSTART
	v_cvt_f32_f16 v35, v7;
	;;#ASMEND
	ds_read_b32 v34, v13 offset:68
	v_fma_mixlo_f16 v7, v59, v49, 0
	v_fma_mixlo_f16 v49, v59, v6, 0
	v_accvgpr_read_b32 v6, a54
	v_fma_mixlo_f16 v24, v59, v6, 0
	s_waitcnt lgkmcnt(0)
	v_lshrrev_b32_e32 v42, 16, v34
	v_and_b32_e32 v33, 0xffff, v34
	v_and_b32_e32 v24, 0xffff, v24
	;;#ASMSTART
	v_cvt_f32_f16 v33, v33;
	;;#ASMEND
	;;#ASMSTART
	v_cvt_f32_f16 v34, v42;
	;;#ASMEND
	v_and_b32_e32 v49, 0xffff, v49
	;;#ASMSTART
	v_cvt_f32_f16 v42, v49;
	;;#ASMEND
	;;#ASMSTART
	v_cvt_f32_f16 v24, v24;
	;;#ASMEND
	ds_read_b32 v6, v13 offset:72
	v_fma_mixlo_f16 v49, v59, v46, 0
	v_fma_mixlo_f16 v46, v59, v20, 0
	v_accvgpr_read_b32 v20, a56
	v_fma_mixlo_f16 v20, v59, v20, 0
	s_waitcnt lgkmcnt(0)
	v_lshrrev_b32_e32 v18, 16, v6
	v_and_b32_e32 v6, 0xffff, v6
	;;#ASMSTART
	v_cvt_f32_f16 v22, v6;
	;;#ASMEND
	v_and_b32_e32 v6, 0xffff, v46
	;;#ASMSTART
	v_cvt_f32_f16 v18, v18;
	;;#ASMEND
	;;#ASMSTART
	v_cvt_f32_f16 v46, v6;
	;;#ASMEND
	v_and_b32_e32 v6, 0xffff, v20
	;;#ASMSTART
	v_cvt_f32_f16 v20, v6;
	;;#ASMEND
	ds_read_b32 v6, v13 offset:76
	v_fmac_f32_e32 v8, v25, v19
	v_fma_mixlo_f16 v60, v59, v23, 0
	v_accvgpr_read_b32 v23, a59
	v_fmac_f32_e32 v39, v51, v43
	s_waitcnt lgkmcnt(0)
	v_lshrrev_b32_e32 v19, 16, v6
	v_and_b32_e32 v6, 0xffff, v6
	;;#ASMSTART
	v_cvt_f32_f16 v25, v6;
	;;#ASMEND
	v_and_b32_e32 v6, 0xffff, v57
	;;#ASMSTART
	v_cvt_f32_f16 v19, v19;
	;;#ASMEND
	;;#ASMSTART
	v_cvt_f32_f16 v57, v6;
	;;#ASMEND
	v_and_b32_e32 v6, 0xffff, v60
	;;#ASMSTART
	v_cvt_f32_f16 v60, v6;
	;;#ASMEND
	ds_read_b32 v6, v13 offset:80
	v_fma_mixlo_f16 v23, v59, v23, 0
	v_fma_mixlo_f16 v62, v59, v37, 0
	v_fmac_f32_e32 v8, v50, v52
	v_fma_mixlo_f16 v37, v59, v41, 0
	s_waitcnt lgkmcnt(0)
	v_lshrrev_b32_e32 v51, 16, v6
	v_and_b32_e32 v6, 0xffff, v6
	;;#ASMSTART
	v_cvt_f32_f16 v43, v6;
	;;#ASMEND
	v_and_b32_e32 v6, 0xffff, v61
	;;#ASMSTART
	v_cvt_f32_f16 v51, v51;
	;;#ASMEND
	;;#ASMSTART
	v_cvt_f32_f16 v61, v6;
	;;#ASMEND
	v_and_b32_e32 v6, 0xffff, v23
	;;#ASMSTART
	v_cvt_f32_f16 v23, v6;
	;;#ASMEND
	ds_read_b32 v6, v13 offset:84
	v_accvgpr_read_b32 v41, a63
	v_fmac_f32_e32 v39, v12, v26
	v_fma_mixlo_f16 v45, v59, v41, 0
	v_fmac_f32_e32 v8, v3, v21
	s_waitcnt lgkmcnt(0)
	v_lshrrev_b32_e32 v50, 16, v6
	v_and_b32_e32 v6, 0xffff, v6
	;;#ASMSTART
	v_cvt_f32_f16 v52, v6;
	;;#ASMEND
	v_and_b32_e32 v6, 0xffff, v62
	;;#ASMSTART
	v_cvt_f32_f16 v50, v50;
	;;#ASMEND
	;;#ASMSTART
	v_cvt_f32_f16 v62, v6;
	;;#ASMEND
	v_and_b32_e32 v6, 0xffff, v54
	;;#ASMSTART
	v_cvt_f32_f16 v54, v6;
	;;#ASMEND
	ds_read_b32 v6, v13 offset:88
	v_fmac_f32_e32 v39, v17, v28
	v_and_b32_e32 v17, 0xffff, v55
	v_and_b32_e32 v21, 0xffff, v36
	v_fmac_f32_e32 v8, v14, v29
	s_waitcnt lgkmcnt(0)
	v_lshrrev_b32_e32 v12, 16, v6
	v_and_b32_e32 v6, 0xffff, v6
	;;#ASMSTART
	v_cvt_f32_f16 v26, v6;
	;;#ASMEND
	v_and_b32_e32 v6, 0xffff, v37
	;;#ASMSTART
	v_cvt_f32_f16 v58, v12;
	;;#ASMEND
	;;#ASMSTART
	v_cvt_f32_f16 v37, v6;
	;;#ASMEND
	v_and_b32_e32 v6, 0xffff, v45
	;;#ASMSTART
	v_cvt_f32_f16 v45, v6;
	;;#ASMEND
	ds_read_b32 v41, v13 offset:92
	v_fma_mixlo_f16 v6, v59, v16, 0
	v_fmac_f32_e32 v39, v15, v30
	v_and_b32_e32 v29, 0xffff, v48
	v_fmac_f32_e32 v8, v31, v40
	s_waitcnt lgkmcnt(0)
	v_lshrrev_b32_e32 v3, 16, v41
	v_and_b32_e32 v16, 0xffff, v41
	;;#ASMSTART
	v_cvt_f32_f16 v16, v16;
	;;#ASMEND
	;;#ASMSTART
	v_cvt_f32_f16 v3, v3;
	;;#ASMEND
	;; [unrolled: 3-line block ×4, first 2 shown]
	ds_read_b32 v28, v13 offset:96
	v_fmac_f32_e32 v39, v32, v35
	v_fmac_f32_e32 v8, v33, v42
	;; [unrolled: 1-line block ×4, first 2 shown]
	s_waitcnt lgkmcnt(0)
	v_lshrrev_b32_e32 v14, 16, v28
	v_and_b32_e32 v15, 0xffff, v28
	v_and_b32_e32 v28, 0xffff, v53
	;;#ASMSTART
	v_cvt_f32_f16 v15, v15;
	;;#ASMEND
	;;#ASMSTART
	v_cvt_f32_f16 v14, v14;
	;;#ASMEND
	;; [unrolled: 3-line block ×4, first 2 shown]
	ds_read_b32 v30, v13 offset:100
	v_fmac_f32_e32 v39, v18, v20
	v_and_b32_e32 v7, 0xffff, v7
	v_and_b32_e32 v22, 0xffff, v49
	v_fmac_f32_e32 v39, v19, v60
	s_waitcnt lgkmcnt(0)
	v_lshrrev_b32_e32 v18, 16, v30
	v_and_b32_e32 v20, 0xffff, v30
	;;#ASMSTART
	v_cvt_f32_f16 v20, v20;
	;;#ASMEND
	;;#ASMSTART
	v_cvt_f32_f16 v18, v18;
	;;#ASMEND
	;; [unrolled: 3-line block ×4, first 2 shown]
	ds_read_b32 v24, v13 offset:104
	v_fmac_f32_e32 v39, v51, v23
	v_and_b32_e32 v1, 0xffff, v1
	v_and_b32_e32 v2, 0xffff, v2
	v_fmac_f32_e32 v8, v25, v57
	s_waitcnt lgkmcnt(0)
	v_lshrrev_b32_e32 v19, 16, v24
	v_and_b32_e32 v23, 0xffff, v24
	;;#ASMSTART
	v_cvt_f32_f16 v23, v23;
	;;#ASMEND
	;;#ASMSTART
	v_cvt_f32_f16 v19, v19;
	;;#ASMEND
	;; [unrolled: 3-line block ×4, first 2 shown]
	ds_read_b32 v24, v13 offset:108
	v_fmac_f32_e32 v8, v43, v61
	v_fmac_f32_e32 v8, v52, v62
	v_and_b32_e32 v11, 0xffff, v11
	v_and_b32_e32 v0, 0xffff, v0
	s_waitcnt lgkmcnt(0)
	v_lshrrev_b32_e32 v25, 16, v24
	v_and_b32_e32 v24, 0xffff, v24
	v_fmac_f32_e32 v8, v26, v37
	;;#ASMSTART
	v_cvt_f32_f16 v24, v24;
	;;#ASMEND
	;;#ASMSTART
	v_cvt_f32_f16 v25, v25;
	;;#ASMEND
	;; [unrolled: 3-line block ×4, first 2 shown]
	ds_read_b32 v26, v13 offset:112
	v_fmac_f32_e32 v39, v50, v54
	v_fmac_f32_e32 v39, v58, v45
	;; [unrolled: 1-line block ×5, first 2 shown]
	s_waitcnt lgkmcnt(0)
	v_lshrrev_b32_e32 v3, 16, v26
	v_and_b32_e32 v14, 0xffff, v26
	v_and_b32_e32 v10, 0xffff, v10
	v_fmac_f32_e32 v8, v15, v28
	;;#ASMSTART
	v_cvt_f32_f16 v14, v14;
	;;#ASMEND
	;;#ASMSTART
	v_cvt_f32_f16 v3, v3;
	;;#ASMEND
	;; [unrolled: 3-line block ×4, first 2 shown]
	ds_read_b32 v15, v13 offset:116
	v_fmac_f32_e32 v8, v20, v7
	v_fmac_f32_e32 v39, v18, v22
	;; [unrolled: 1-line block ×4, first 2 shown]
	s_waitcnt lgkmcnt(0)
	v_lshrrev_b32_e32 v1, 16, v15
	v_and_b32_e32 v2, 0xffff, v15
	v_and_b32_e32 v7, 0xffff, v27
	;; [unrolled: 1-line block ×3, first 2 shown]
	;;#ASMSTART
	v_cvt_f32_f16 v2, v2;
	;;#ASMEND
	;;#ASMSTART
	v_cvt_f32_f16 v1, v1;
	;;#ASMEND
	;; [unrolled: 3-line block ×4, first 2 shown]
	ds_read_b32 v15, v13 offset:120
	v_fmac_f32_e32 v39, v25, v0
	v_fmac_f32_e32 v8, v24, v11
	v_fmac_f32_e32 v39, v3, v4
	v_and_b32_e32 v4, 0xffff, v5
	s_waitcnt lgkmcnt(0)
	v_lshrrev_b32_e32 v0, 16, v15
	v_and_b32_e32 v3, 0xffff, v15
	v_and_b32_e32 v5, 0xffff, v47
	v_fmac_f32_e32 v8, v14, v10
	;;#ASMSTART
	v_cvt_f32_f16 v3, v3;
	;;#ASMEND
	;;#ASMSTART
	v_cvt_f32_f16 v0, v0;
	;;#ASMEND
	;; [unrolled: 3-line block ×4, first 2 shown]
	ds_read_b32 v10, v13 offset:124
	v_fma_mixlo_f16 v12, v59, v38, 0
	v_fmac_f32_e32 v8, v2, v7
	v_fmac_f32_e32 v39, v1, v16
	;; [unrolled: 1-line block ×4, first 2 shown]
	s_waitcnt lgkmcnt(0)
	v_lshrrev_b32_e32 v0, 16, v10
	v_and_b32_e32 v1, 0xffff, v10
	v_and_b32_e32 v2, 0xffff, v12
	;; [unrolled: 1-line block ×3, first 2 shown]
	;;#ASMSTART
	v_cvt_f32_f16 v1, v1;
	;;#ASMEND
	;;#ASMSTART
	v_cvt_f32_f16 v0, v0;
	;;#ASMEND
	;; [unrolled: 3-line block ×4, first 2 shown]
	s_nop 0
	v_fmac_f32_e32 v39, v0, v3
	v_accvgpr_read_b32 v3, a48
	v_fmac_f32_e32 v8, v1, v2
	v_and_b32_e32 v1, 64, v3
	v_add_u32_e32 v1, 64, v1
	v_xor_b32_e32 v2, 2, v3
	v_cmp_lt_i32_e64 s[4:5], v2, v1
	v_add_f32_e32 v0, v8, v39
	s_nop 0
	v_cndmask_b32_e64 v2, v3, v2, s[4:5]
	v_lshlrev_b32_e32 v2, 2, v2
	ds_bpermute_b32 v2, v2, v0
	s_waitcnt lgkmcnt(0)
	v_add_f32_e32 v0, v0, v2
	v_xor_b32_e32 v2, 1, v3
	v_cmp_lt_i32_e64 s[4:5], v2, v1
	s_nop 1
	v_cndmask_b32_e64 v1, v3, v2, s[4:5]
	v_lshlrev_b32_e32 v1, 2, v1
	ds_bpermute_b32 v1, v1, v0
	s_and_saveexec_b64 s[26:27], vcc
	s_cbranch_execz .LBB272_11
; %bb.281:                              ;   in Loop: Header=BB272_13 Depth=1
	scratch_load_dword v4, off, s32 offset:204 ; 4-byte Folded Reload
	v_accvgpr_read_b32 v2, a45
	v_add_u32_e32 v2, v2, v44
	v_cvt_f32_i32_e32 v2, v2
	s_waitcnt lgkmcnt(0)
	v_add_f32_e32 v0, v0, v1
	v_accvgpr_read_b32 v1, a34
	s_load_dword s4, s[22:23], 0x0
	v_accvgpr_read_b32 v3, a36
	v_add_u32_e32 v3, v3, v44
	s_waitcnt vmcnt(0)
	v_mul_f32_e32 v2, v4, v2
	v_cndmask_b32_e64 v2, 0, v2, s[2:3]
	v_fmac_f32_e32 v2, v0, v1
	scratch_load_dword v1, off, s32 offset:200 ; 4-byte Folded Reload
	v_accvgpr_read_b32 v4, a43
	v_accvgpr_read_b32 v0, a8
	s_waitcnt lgkmcnt(0)
	v_add_u32_e32 v4, s4, v4
	v_cmp_lt_i32_e64 s[4:5], v3, v0
	s_nop 1
	v_cndmask_b32_e64 v0, 0, v2, s[4:5]
	ds_write_b32 v4, v0
	s_waitcnt vmcnt(0)
	v_max_f32_e32 v0, v1, v1
	v_max_f32_e32 v0, v0, v2
	v_cndmask_b32_e64 v1, v1, v0, s[4:5]
	scratch_store_dword off, v1, s32 offset:200 ; 4-byte Folded Spill
	s_branch .LBB272_11
.LBB272_282:                            ;   in Loop: Header=BB272_13 Depth=1
	v_cmp_eq_u16_e64 s[4:5], s36, v8
	s_mov_b64 s[26:27], -1
                                        ; implicit-def: $sgpr38
	s_and_saveexec_b64 s[30:31], s[4:5]
; %bb.283:                              ;   in Loop: Header=BB272_13 Depth=1
	s_mov_b32 s38, 0x7fc02000
	s_xor_b64 s[26:27], exec, -1
; %bb.284:                              ;   in Loop: Header=BB272_13 Depth=1
	s_or_b64 exec, exec, s[30:31]
	s_and_b64 s[26:27], s[26:27], exec
	s_or_saveexec_b64 s[28:29], s[28:29]
	v_mov_b32_e32 v11, s38
	s_xor_b64 exec, exec, s[28:29]
	s_cbranch_execz .LBB272_26
.LBB272_285:                            ;   in Loop: Header=BB272_13 Depth=1
	v_cmp_ne_u16_e64 s[4:5], 0, v8
	s_andn2_b64 s[26:27], s[26:27], exec
	s_and_b64 s[4:5], s[4:5], exec
	v_mov_b32_e32 v11, 0
	s_or_b64 s[26:27], s[26:27], s[4:5]
	s_or_b64 exec, exec, s[28:29]
	s_and_saveexec_b64 s[28:29], s[26:27]
	s_cbranch_execnz .LBB272_27
	s_branch .LBB272_28
.LBB272_286:                            ;   in Loop: Header=BB272_13 Depth=1
	v_cmp_eq_u16_sdwa s[38:39], v0, s36 src0_sel:BYTE_0 src1_sel:DWORD
	s_mov_b64 s[4:5], -1
                                        ; implicit-def: $sgpr30
	s_and_saveexec_b64 s[28:29], s[38:39]
; %bb.287:                              ;   in Loop: Header=BB272_13 Depth=1
	s_mov_b32 s30, 0x7fc02000
	s_xor_b64 s[4:5], exec, -1
; %bb.288:                              ;   in Loop: Header=BB272_13 Depth=1
	s_or_b64 exec, exec, s[28:29]
	s_and_b64 s[4:5], s[4:5], exec
	s_or_saveexec_b64 s[26:27], s[26:27]
	v_mov_b32_e32 v13, s30
	s_xor_b64 exec, exec, s[26:27]
	s_cbranch_execz .LBB272_30
.LBB272_289:                            ;   in Loop: Header=BB272_13 Depth=1
	v_cmp_ne_u16_sdwa s[28:29], v0, v9 src0_sel:BYTE_0 src1_sel:DWORD
	s_andn2_b64 s[4:5], s[4:5], exec
	s_and_b64 s[28:29], s[28:29], exec
	v_mov_b32_e32 v13, 0
	s_or_b64 s[4:5], s[4:5], s[28:29]
	s_or_b64 exec, exec, s[26:27]
	v_and_b32_e32 v8, 0xffff, v0
	s_and_saveexec_b64 s[26:27], s[4:5]
	s_cbranch_execnz .LBB272_31
	s_branch .LBB272_32
.LBB272_290:                            ;   in Loop: Header=BB272_13 Depth=1
	v_cmp_eq_u16_e64 s[4:5], s36, v8
	s_mov_b64 s[26:27], -1
                                        ; implicit-def: $sgpr38
	s_and_saveexec_b64 s[30:31], s[4:5]
; %bb.291:                              ;   in Loop: Header=BB272_13 Depth=1
	s_mov_b32 s38, 0x7fc02000
	s_xor_b64 s[26:27], exec, -1
; %bb.292:                              ;   in Loop: Header=BB272_13 Depth=1
	s_or_b64 exec, exec, s[30:31]
	s_and_b64 s[26:27], s[26:27], exec
	s_or_saveexec_b64 s[28:29], s[28:29]
	v_mov_b32_e32 v18, s38
	s_xor_b64 exec, exec, s[28:29]
	s_cbranch_execz .LBB272_34
.LBB272_293:                            ;   in Loop: Header=BB272_13 Depth=1
	v_cmp_ne_u16_e64 s[4:5], 0, v8
	s_andn2_b64 s[26:27], s[26:27], exec
	s_and_b64 s[4:5], s[4:5], exec
	v_mov_b32_e32 v18, 0
	s_or_b64 s[26:27], s[26:27], s[4:5]
	s_or_b64 exec, exec, s[28:29]
	s_and_saveexec_b64 s[28:29], s[26:27]
	s_cbranch_execnz .LBB272_35
	s_branch .LBB272_36
.LBB272_294:                            ;   in Loop: Header=BB272_13 Depth=1
	v_cmp_eq_u16_sdwa s[38:39], v0, s36 src0_sel:BYTE_0 src1_sel:DWORD
	s_mov_b64 s[4:5], -1
                                        ; implicit-def: $sgpr30
	s_and_saveexec_b64 s[28:29], s[38:39]
; %bb.295:                              ;   in Loop: Header=BB272_13 Depth=1
	s_mov_b32 s30, 0x7fc02000
	s_xor_b64 s[4:5], exec, -1
; %bb.296:                              ;   in Loop: Header=BB272_13 Depth=1
	s_or_b64 exec, exec, s[28:29]
	s_and_b64 s[4:5], s[4:5], exec
	s_or_saveexec_b64 s[26:27], s[26:27]
	v_mov_b32_e32 v19, s30
	s_xor_b64 exec, exec, s[26:27]
	s_cbranch_execz .LBB272_38
.LBB272_297:                            ;   in Loop: Header=BB272_13 Depth=1
	v_cmp_ne_u16_sdwa s[28:29], v0, v9 src0_sel:BYTE_0 src1_sel:DWORD
	s_andn2_b64 s[4:5], s[4:5], exec
	s_and_b64 s[28:29], s[28:29], exec
	v_mov_b32_e32 v19, 0
	s_or_b64 s[4:5], s[4:5], s[28:29]
	s_or_b64 exec, exec, s[26:27]
	v_and_b32_e32 v8, 0xffff, v0
	s_and_saveexec_b64 s[26:27], s[4:5]
	s_cbranch_execnz .LBB272_39
	s_branch .LBB272_40
.LBB272_298:                            ;   in Loop: Header=BB272_13 Depth=1
	v_cmp_eq_u16_e64 s[4:5], s36, v8
	s_mov_b64 s[26:27], -1
                                        ; implicit-def: $sgpr38
	s_and_saveexec_b64 s[30:31], s[4:5]
; %bb.299:                              ;   in Loop: Header=BB272_13 Depth=1
	s_mov_b32 s38, 0x7fc02000
	s_xor_b64 s[26:27], exec, -1
; %bb.300:                              ;   in Loop: Header=BB272_13 Depth=1
	s_or_b64 exec, exec, s[30:31]
	s_and_b64 s[26:27], s[26:27], exec
	s_or_saveexec_b64 s[28:29], s[28:29]
	v_mov_b32_e32 v20, s38
	s_xor_b64 exec, exec, s[28:29]
	s_cbranch_execz .LBB272_42
.LBB272_301:                            ;   in Loop: Header=BB272_13 Depth=1
	v_cmp_ne_u16_e64 s[4:5], 0, v8
	s_andn2_b64 s[26:27], s[26:27], exec
	s_and_b64 s[4:5], s[4:5], exec
	v_mov_b32_e32 v20, 0
	s_or_b64 s[26:27], s[26:27], s[4:5]
	s_or_b64 exec, exec, s[28:29]
	s_and_saveexec_b64 s[28:29], s[26:27]
	s_cbranch_execnz .LBB272_43
	s_branch .LBB272_44
.LBB272_302:                            ;   in Loop: Header=BB272_13 Depth=1
	v_cmp_eq_u16_sdwa s[38:39], v0, s36 src0_sel:BYTE_0 src1_sel:DWORD
	s_mov_b64 s[4:5], -1
                                        ; implicit-def: $sgpr30
	s_and_saveexec_b64 s[28:29], s[38:39]
; %bb.303:                              ;   in Loop: Header=BB272_13 Depth=1
	s_mov_b32 s30, 0x7fc02000
	s_xor_b64 s[4:5], exec, -1
; %bb.304:                              ;   in Loop: Header=BB272_13 Depth=1
	s_or_b64 exec, exec, s[28:29]
	s_and_b64 s[4:5], s[4:5], exec
	s_or_saveexec_b64 s[26:27], s[26:27]
	v_mov_b32_e32 v21, s30
	s_xor_b64 exec, exec, s[26:27]
	s_cbranch_execz .LBB272_46
.LBB272_305:                            ;   in Loop: Header=BB272_13 Depth=1
	v_cmp_ne_u16_sdwa s[28:29], v0, v9 src0_sel:BYTE_0 src1_sel:DWORD
	s_andn2_b64 s[4:5], s[4:5], exec
	s_and_b64 s[28:29], s[28:29], exec
	v_mov_b32_e32 v21, 0
	s_or_b64 s[4:5], s[4:5], s[28:29]
	s_or_b64 exec, exec, s[26:27]
	v_and_b32_e32 v8, 0xffff, v0
	s_and_saveexec_b64 s[26:27], s[4:5]
	s_cbranch_execnz .LBB272_47
	s_branch .LBB272_48
.LBB272_306:                            ;   in Loop: Header=BB272_13 Depth=1
	v_cmp_eq_u16_e64 s[4:5], s36, v8
	s_mov_b64 s[26:27], -1
                                        ; implicit-def: $sgpr38
	s_and_saveexec_b64 s[30:31], s[4:5]
; %bb.307:                              ;   in Loop: Header=BB272_13 Depth=1
	s_mov_b32 s38, 0x7fc02000
	s_xor_b64 s[26:27], exec, -1
; %bb.308:                              ;   in Loop: Header=BB272_13 Depth=1
	s_or_b64 exec, exec, s[30:31]
	s_and_b64 s[26:27], s[26:27], exec
	s_or_saveexec_b64 s[28:29], s[28:29]
	v_mov_b32_e32 v22, s38
	s_xor_b64 exec, exec, s[28:29]
	s_cbranch_execz .LBB272_50
.LBB272_309:                            ;   in Loop: Header=BB272_13 Depth=1
	v_cmp_ne_u16_e64 s[4:5], 0, v8
	s_andn2_b64 s[26:27], s[26:27], exec
	s_and_b64 s[4:5], s[4:5], exec
	v_mov_b32_e32 v22, 0
	s_or_b64 s[26:27], s[26:27], s[4:5]
	s_or_b64 exec, exec, s[28:29]
	s_and_saveexec_b64 s[28:29], s[26:27]
	s_cbranch_execnz .LBB272_51
	s_branch .LBB272_52
.LBB272_310:                            ;   in Loop: Header=BB272_13 Depth=1
	v_cmp_eq_u16_sdwa s[38:39], v0, s36 src0_sel:BYTE_0 src1_sel:DWORD
	s_mov_b64 s[4:5], -1
                                        ; implicit-def: $sgpr30
	s_and_saveexec_b64 s[28:29], s[38:39]
; %bb.311:                              ;   in Loop: Header=BB272_13 Depth=1
	s_mov_b32 s30, 0x7fc02000
	s_xor_b64 s[4:5], exec, -1
; %bb.312:                              ;   in Loop: Header=BB272_13 Depth=1
	s_or_b64 exec, exec, s[28:29]
	s_and_b64 s[4:5], s[4:5], exec
	s_or_saveexec_b64 s[26:27], s[26:27]
	v_mov_b32_e32 v23, s30
	s_xor_b64 exec, exec, s[26:27]
	s_cbranch_execz .LBB272_54
.LBB272_313:                            ;   in Loop: Header=BB272_13 Depth=1
	v_cmp_ne_u16_sdwa s[28:29], v0, v9 src0_sel:BYTE_0 src1_sel:DWORD
	s_andn2_b64 s[4:5], s[4:5], exec
	s_and_b64 s[28:29], s[28:29], exec
	v_mov_b32_e32 v23, 0
	s_or_b64 s[4:5], s[4:5], s[28:29]
	s_or_b64 exec, exec, s[26:27]
	v_and_b32_e32 v8, 0xffff, v0
	s_and_saveexec_b64 s[26:27], s[4:5]
	s_cbranch_execnz .LBB272_55
	s_branch .LBB272_56
.LBB272_314:                            ;   in Loop: Header=BB272_13 Depth=1
	v_cmp_eq_u16_e64 s[4:5], s36, v8
	s_mov_b64 s[26:27], -1
                                        ; implicit-def: $sgpr38
	s_and_saveexec_b64 s[30:31], s[4:5]
; %bb.315:                              ;   in Loop: Header=BB272_13 Depth=1
	s_mov_b32 s38, 0x7fc02000
	s_xor_b64 s[26:27], exec, -1
; %bb.316:                              ;   in Loop: Header=BB272_13 Depth=1
	s_or_b64 exec, exec, s[30:31]
	s_and_b64 s[26:27], s[26:27], exec
	s_or_saveexec_b64 s[28:29], s[28:29]
	v_mov_b32_e32 v24, s38
	s_xor_b64 exec, exec, s[28:29]
	s_cbranch_execz .LBB272_58
.LBB272_317:                            ;   in Loop: Header=BB272_13 Depth=1
	v_cmp_ne_u16_e64 s[4:5], 0, v8
	s_andn2_b64 s[26:27], s[26:27], exec
	s_and_b64 s[4:5], s[4:5], exec
	v_mov_b32_e32 v24, 0
	s_or_b64 s[26:27], s[26:27], s[4:5]
	s_or_b64 exec, exec, s[28:29]
	s_and_saveexec_b64 s[28:29], s[26:27]
	s_cbranch_execnz .LBB272_59
	s_branch .LBB272_60
.LBB272_318:                            ;   in Loop: Header=BB272_13 Depth=1
	v_cmp_eq_u16_sdwa s[38:39], v0, s36 src0_sel:BYTE_0 src1_sel:DWORD
	s_mov_b64 s[4:5], -1
                                        ; implicit-def: $sgpr30
	s_and_saveexec_b64 s[28:29], s[38:39]
; %bb.319:                              ;   in Loop: Header=BB272_13 Depth=1
	s_mov_b32 s30, 0x7fc02000
	s_xor_b64 s[4:5], exec, -1
; %bb.320:                              ;   in Loop: Header=BB272_13 Depth=1
	s_or_b64 exec, exec, s[28:29]
	s_and_b64 s[4:5], s[4:5], exec
	s_or_saveexec_b64 s[26:27], s[26:27]
	v_mov_b32_e32 v25, s30
	s_xor_b64 exec, exec, s[26:27]
	s_cbranch_execz .LBB272_62
.LBB272_321:                            ;   in Loop: Header=BB272_13 Depth=1
	v_cmp_ne_u16_sdwa s[28:29], v0, v9 src0_sel:BYTE_0 src1_sel:DWORD
	s_andn2_b64 s[4:5], s[4:5], exec
	s_and_b64 s[28:29], s[28:29], exec
	v_mov_b32_e32 v25, 0
	s_or_b64 s[4:5], s[4:5], s[28:29]
	s_or_b64 exec, exec, s[26:27]
	v_and_b32_e32 v8, 0xffff, v0
	s_and_saveexec_b64 s[26:27], s[4:5]
	s_cbranch_execnz .LBB272_63
	s_branch .LBB272_64
.LBB272_322:                            ;   in Loop: Header=BB272_13 Depth=1
	v_cmp_eq_u16_e64 s[4:5], s36, v8
	s_mov_b64 s[26:27], -1
                                        ; implicit-def: $sgpr38
	s_and_saveexec_b64 s[30:31], s[4:5]
; %bb.323:                              ;   in Loop: Header=BB272_13 Depth=1
	s_mov_b32 s38, 0x7fc02000
	s_xor_b64 s[26:27], exec, -1
; %bb.324:                              ;   in Loop: Header=BB272_13 Depth=1
	s_or_b64 exec, exec, s[30:31]
	s_and_b64 s[26:27], s[26:27], exec
	s_or_saveexec_b64 s[28:29], s[28:29]
	v_mov_b32_e32 v32, s38
	s_xor_b64 exec, exec, s[28:29]
	s_cbranch_execz .LBB272_66
.LBB272_325:                            ;   in Loop: Header=BB272_13 Depth=1
	v_cmp_ne_u16_e64 s[4:5], 0, v8
	s_andn2_b64 s[26:27], s[26:27], exec
	s_and_b64 s[4:5], s[4:5], exec
	v_mov_b32_e32 v32, 0
	s_or_b64 s[26:27], s[26:27], s[4:5]
	s_or_b64 exec, exec, s[28:29]
	s_and_saveexec_b64 s[28:29], s[26:27]
	s_cbranch_execnz .LBB272_67
	s_branch .LBB272_68
.LBB272_326:                            ;   in Loop: Header=BB272_13 Depth=1
	v_cmp_eq_u16_sdwa s[38:39], v0, s36 src0_sel:BYTE_0 src1_sel:DWORD
	s_mov_b64 s[4:5], -1
                                        ; implicit-def: $sgpr30
	s_and_saveexec_b64 s[28:29], s[38:39]
; %bb.327:                              ;   in Loop: Header=BB272_13 Depth=1
	s_mov_b32 s30, 0x7fc02000
	s_xor_b64 s[4:5], exec, -1
; %bb.328:                              ;   in Loop: Header=BB272_13 Depth=1
	s_or_b64 exec, exec, s[28:29]
	s_and_b64 s[4:5], s[4:5], exec
	s_or_saveexec_b64 s[26:27], s[26:27]
	v_mov_b32_e32 v33, s30
	s_xor_b64 exec, exec, s[26:27]
	s_cbranch_execz .LBB272_70
.LBB272_329:                            ;   in Loop: Header=BB272_13 Depth=1
	v_cmp_ne_u16_sdwa s[28:29], v0, v9 src0_sel:BYTE_0 src1_sel:DWORD
	s_andn2_b64 s[4:5], s[4:5], exec
	s_and_b64 s[28:29], s[28:29], exec
	v_mov_b32_e32 v33, 0
	s_or_b64 s[4:5], s[4:5], s[28:29]
	s_or_b64 exec, exec, s[26:27]
	v_and_b32_e32 v8, 0xffff, v0
	s_and_saveexec_b64 s[26:27], s[4:5]
	s_cbranch_execnz .LBB272_71
	s_branch .LBB272_72
.LBB272_330:                            ;   in Loop: Header=BB272_13 Depth=1
	v_cmp_eq_u16_e64 s[4:5], s36, v8
	s_mov_b64 s[26:27], -1
                                        ; implicit-def: $sgpr38
	s_and_saveexec_b64 s[30:31], s[4:5]
; %bb.331:                              ;   in Loop: Header=BB272_13 Depth=1
	s_mov_b32 s38, 0x7fc02000
	s_xor_b64 s[26:27], exec, -1
; %bb.332:                              ;   in Loop: Header=BB272_13 Depth=1
	s_or_b64 exec, exec, s[30:31]
	s_and_b64 s[26:27], s[26:27], exec
	s_or_saveexec_b64 s[28:29], s[28:29]
	v_mov_b32_e32 v34, s38
	s_xor_b64 exec, exec, s[28:29]
	s_cbranch_execz .LBB272_74
.LBB272_333:                            ;   in Loop: Header=BB272_13 Depth=1
	v_cmp_ne_u16_e64 s[4:5], 0, v8
	s_andn2_b64 s[26:27], s[26:27], exec
	s_and_b64 s[4:5], s[4:5], exec
	v_mov_b32_e32 v34, 0
	s_or_b64 s[26:27], s[26:27], s[4:5]
	s_or_b64 exec, exec, s[28:29]
	s_and_saveexec_b64 s[28:29], s[26:27]
	s_cbranch_execnz .LBB272_75
	s_branch .LBB272_76
.LBB272_334:                            ;   in Loop: Header=BB272_13 Depth=1
	v_cmp_eq_u16_sdwa s[38:39], v0, s36 src0_sel:BYTE_0 src1_sel:DWORD
	s_mov_b64 s[4:5], -1
                                        ; implicit-def: $sgpr30
	s_and_saveexec_b64 s[28:29], s[38:39]
; %bb.335:                              ;   in Loop: Header=BB272_13 Depth=1
	s_mov_b32 s30, 0x7fc02000
	s_xor_b64 s[4:5], exec, -1
; %bb.336:                              ;   in Loop: Header=BB272_13 Depth=1
	s_or_b64 exec, exec, s[28:29]
	s_and_b64 s[4:5], s[4:5], exec
	s_or_saveexec_b64 s[26:27], s[26:27]
	v_mov_b32_e32 v10, s30
	s_xor_b64 exec, exec, s[26:27]
	s_cbranch_execz .LBB272_78
.LBB272_337:                            ;   in Loop: Header=BB272_13 Depth=1
	v_cmp_ne_u16_sdwa s[28:29], v0, v9 src0_sel:BYTE_0 src1_sel:DWORD
	s_andn2_b64 s[4:5], s[4:5], exec
	s_and_b64 s[28:29], s[28:29], exec
	v_mov_b32_e32 v10, 0
	s_or_b64 s[4:5], s[4:5], s[28:29]
	s_or_b64 exec, exec, s[26:27]
	v_and_b32_e32 v8, 0xffff, v0
	s_and_saveexec_b64 s[26:27], s[4:5]
	s_cbranch_execnz .LBB272_79
	s_branch .LBB272_80
.LBB272_338:                            ;   in Loop: Header=BB272_13 Depth=1
	v_cmp_eq_u16_e64 s[4:5], s36, v8
	s_mov_b64 s[26:27], -1
                                        ; implicit-def: $sgpr38
	s_and_saveexec_b64 s[30:31], s[4:5]
; %bb.339:                              ;   in Loop: Header=BB272_13 Depth=1
	s_mov_b32 s38, 0x7fc02000
	s_xor_b64 s[26:27], exec, -1
; %bb.340:                              ;   in Loop: Header=BB272_13 Depth=1
	s_or_b64 exec, exec, s[30:31]
	s_and_b64 s[26:27], s[26:27], exec
	s_or_saveexec_b64 s[28:29], s[28:29]
	v_mov_b32_e32 v0, s38
	s_xor_b64 exec, exec, s[28:29]
	s_cbranch_execz .LBB272_82
.LBB272_341:                            ;   in Loop: Header=BB272_13 Depth=1
	v_cmp_ne_u16_e64 s[4:5], 0, v8
	s_andn2_b64 s[26:27], s[26:27], exec
	s_and_b64 s[4:5], s[4:5], exec
	v_mov_b32_e32 v0, 0
	s_or_b64 s[26:27], s[26:27], s[4:5]
	s_or_b64 exec, exec, s[28:29]
	s_and_saveexec_b64 s[28:29], s[26:27]
	s_cbranch_execnz .LBB272_83
	s_branch .LBB272_84
.LBB272_342:                            ;   in Loop: Header=BB272_13 Depth=1
	v_cmp_eq_u16_sdwa s[38:39], v0, s36 src0_sel:BYTE_0 src1_sel:DWORD
	s_mov_b64 s[4:5], -1
                                        ; implicit-def: $sgpr30
	s_and_saveexec_b64 s[28:29], s[38:39]
; %bb.343:                              ;   in Loop: Header=BB272_13 Depth=1
	s_mov_b32 s30, 0x7fc02000
	s_xor_b64 s[4:5], exec, -1
; %bb.344:                              ;   in Loop: Header=BB272_13 Depth=1
	s_or_b64 exec, exec, s[28:29]
	s_and_b64 s[4:5], s[4:5], exec
	s_or_saveexec_b64 s[26:27], s[26:27]
	v_mov_b32_e32 v50, s30
	s_xor_b64 exec, exec, s[26:27]
	s_cbranch_execz .LBB272_86
.LBB272_345:                            ;   in Loop: Header=BB272_13 Depth=1
	v_cmp_ne_u16_sdwa s[28:29], v0, v9 src0_sel:BYTE_0 src1_sel:DWORD
	s_andn2_b64 s[4:5], s[4:5], exec
	s_and_b64 s[28:29], s[28:29], exec
	v_mov_b32_e32 v50, 0
	s_or_b64 s[4:5], s[4:5], s[28:29]
	s_or_b64 exec, exec, s[26:27]
	v_and_b32_e32 v8, 0xffff, v0
	s_and_saveexec_b64 s[26:27], s[4:5]
	s_cbranch_execnz .LBB272_87
	s_branch .LBB272_88
.LBB272_346:                            ;   in Loop: Header=BB272_13 Depth=1
	v_cmp_eq_u16_e64 s[4:5], s36, v8
	s_mov_b64 s[26:27], -1
                                        ; implicit-def: $sgpr38
	s_and_saveexec_b64 s[30:31], s[4:5]
; %bb.347:                              ;   in Loop: Header=BB272_13 Depth=1
	s_mov_b32 s38, 0x7fc02000
	s_xor_b64 s[26:27], exec, -1
; %bb.348:                              ;   in Loop: Header=BB272_13 Depth=1
	s_or_b64 exec, exec, s[30:31]
	s_and_b64 s[26:27], s[26:27], exec
	s_or_saveexec_b64 s[28:29], s[28:29]
	v_mov_b32_e32 v51, s38
	s_xor_b64 exec, exec, s[28:29]
	s_cbranch_execz .LBB272_90
.LBB272_349:                            ;   in Loop: Header=BB272_13 Depth=1
	v_cmp_ne_u16_e64 s[4:5], 0, v8
	s_andn2_b64 s[26:27], s[26:27], exec
	s_and_b64 s[4:5], s[4:5], exec
	v_mov_b32_e32 v51, 0
	s_or_b64 s[26:27], s[26:27], s[4:5]
	s_or_b64 exec, exec, s[28:29]
	s_and_saveexec_b64 s[28:29], s[26:27]
	s_cbranch_execnz .LBB272_91
	s_branch .LBB272_92
.LBB272_350:                            ;   in Loop: Header=BB272_13 Depth=1
	v_cmp_eq_u16_sdwa s[38:39], v0, s36 src0_sel:BYTE_0 src1_sel:DWORD
	s_mov_b64 s[4:5], -1
                                        ; implicit-def: $sgpr30
	s_and_saveexec_b64 s[28:29], s[38:39]
; %bb.351:                              ;   in Loop: Header=BB272_13 Depth=1
	s_mov_b32 s30, 0x7fc02000
	s_xor_b64 s[4:5], exec, -1
; %bb.352:                              ;   in Loop: Header=BB272_13 Depth=1
	s_or_b64 exec, exec, s[28:29]
	s_and_b64 s[4:5], s[4:5], exec
	s_or_saveexec_b64 s[26:27], s[26:27]
	v_mov_b32_e32 v54, s30
	s_xor_b64 exec, exec, s[26:27]
	s_cbranch_execz .LBB272_94
.LBB272_353:                            ;   in Loop: Header=BB272_13 Depth=1
	v_cmp_ne_u16_sdwa s[28:29], v0, v9 src0_sel:BYTE_0 src1_sel:DWORD
	s_andn2_b64 s[4:5], s[4:5], exec
	s_and_b64 s[28:29], s[28:29], exec
	v_mov_b32_e32 v54, 0
	s_or_b64 s[4:5], s[4:5], s[28:29]
	s_or_b64 exec, exec, s[26:27]
	v_and_b32_e32 v8, 0xffff, v0
	s_and_saveexec_b64 s[26:27], s[4:5]
	s_cbranch_execnz .LBB272_95
	s_branch .LBB272_96
.LBB272_354:                            ;   in Loop: Header=BB272_13 Depth=1
	v_cmp_eq_u16_e64 s[4:5], s36, v8
	s_mov_b64 s[26:27], -1
                                        ; implicit-def: $sgpr38
	s_and_saveexec_b64 s[30:31], s[4:5]
; %bb.355:                              ;   in Loop: Header=BB272_13 Depth=1
	s_mov_b32 s38, 0x7fc02000
	s_xor_b64 s[26:27], exec, -1
; %bb.356:                              ;   in Loop: Header=BB272_13 Depth=1
	s_or_b64 exec, exec, s[30:31]
	s_and_b64 s[26:27], s[26:27], exec
	s_or_saveexec_b64 s[28:29], s[28:29]
	v_mov_b32_e32 v0, s38
	s_xor_b64 exec, exec, s[28:29]
	s_cbranch_execz .LBB272_98
.LBB272_357:                            ;   in Loop: Header=BB272_13 Depth=1
	v_cmp_ne_u16_e64 s[4:5], 0, v8
	s_andn2_b64 s[26:27], s[26:27], exec
	s_and_b64 s[4:5], s[4:5], exec
	v_mov_b32_e32 v0, 0
	s_or_b64 s[26:27], s[26:27], s[4:5]
	s_or_b64 exec, exec, s[28:29]
	s_and_saveexec_b64 s[28:29], s[26:27]
	s_cbranch_execnz .LBB272_99
	s_branch .LBB272_100
.LBB272_358:                            ;   in Loop: Header=BB272_13 Depth=1
	v_cmp_eq_u16_sdwa s[38:39], v0, s36 src0_sel:BYTE_0 src1_sel:DWORD
	s_mov_b64 s[4:5], -1
                                        ; implicit-def: $sgpr30
	s_and_saveexec_b64 s[28:29], s[38:39]
; %bb.359:                              ;   in Loop: Header=BB272_13 Depth=1
	s_mov_b32 s30, 0x7fc02000
	s_xor_b64 s[4:5], exec, -1
; %bb.360:                              ;   in Loop: Header=BB272_13 Depth=1
	s_or_b64 exec, exec, s[28:29]
	s_and_b64 s[4:5], s[4:5], exec
	s_or_saveexec_b64 s[26:27], s[26:27]
	v_mov_b32_e32 v45, s30
	s_xor_b64 exec, exec, s[26:27]
	s_cbranch_execz .LBB272_102
.LBB272_361:                            ;   in Loop: Header=BB272_13 Depth=1
	v_cmp_ne_u16_sdwa s[28:29], v0, v9 src0_sel:BYTE_0 src1_sel:DWORD
	s_andn2_b64 s[4:5], s[4:5], exec
	s_and_b64 s[28:29], s[28:29], exec
	v_mov_b32_e32 v45, 0
	s_or_b64 s[4:5], s[4:5], s[28:29]
	s_or_b64 exec, exec, s[26:27]
	v_and_b32_e32 v8, 0xffff, v0
	s_and_saveexec_b64 s[26:27], s[4:5]
	s_cbranch_execnz .LBB272_103
	s_branch .LBB272_104
.LBB272_362:                            ;   in Loop: Header=BB272_13 Depth=1
	v_cmp_eq_u16_e64 s[4:5], s36, v8
	s_mov_b64 s[26:27], -1
                                        ; implicit-def: $sgpr38
	s_and_saveexec_b64 s[30:31], s[4:5]
; %bb.363:                              ;   in Loop: Header=BB272_13 Depth=1
	s_mov_b32 s38, 0x7fc02000
	s_xor_b64 s[26:27], exec, -1
; %bb.364:                              ;   in Loop: Header=BB272_13 Depth=1
	s_or_b64 exec, exec, s[30:31]
	s_and_b64 s[26:27], s[26:27], exec
	s_or_saveexec_b64 s[28:29], s[28:29]
	v_mov_b32_e32 v57, s38
	s_xor_b64 exec, exec, s[28:29]
	s_cbranch_execz .LBB272_106
.LBB272_365:                            ;   in Loop: Header=BB272_13 Depth=1
	v_cmp_ne_u16_e64 s[4:5], 0, v8
	s_andn2_b64 s[26:27], s[26:27], exec
	s_and_b64 s[4:5], s[4:5], exec
	v_mov_b32_e32 v57, 0
	s_or_b64 s[26:27], s[26:27], s[4:5]
	s_or_b64 exec, exec, s[28:29]
	s_and_saveexec_b64 s[28:29], s[26:27]
	s_cbranch_execnz .LBB272_107
	s_branch .LBB272_108
.LBB272_366:                            ;   in Loop: Header=BB272_13 Depth=1
	v_cmp_eq_u16_sdwa s[38:39], v0, s36 src0_sel:BYTE_0 src1_sel:DWORD
	s_mov_b64 s[4:5], -1
                                        ; implicit-def: $sgpr30
	s_and_saveexec_b64 s[28:29], s[38:39]
; %bb.367:                              ;   in Loop: Header=BB272_13 Depth=1
	s_mov_b32 s30, 0x7fc02000
	s_xor_b64 s[4:5], exec, -1
; %bb.368:                              ;   in Loop: Header=BB272_13 Depth=1
	s_or_b64 exec, exec, s[28:29]
	s_and_b64 s[4:5], s[4:5], exec
	s_or_saveexec_b64 s[26:27], s[26:27]
	v_mov_b32_e32 v58, s30
	s_xor_b64 exec, exec, s[26:27]
	s_cbranch_execz .LBB272_110
.LBB272_369:                            ;   in Loop: Header=BB272_13 Depth=1
	v_cmp_ne_u16_sdwa s[28:29], v0, v9 src0_sel:BYTE_0 src1_sel:DWORD
	s_andn2_b64 s[4:5], s[4:5], exec
	s_and_b64 s[28:29], s[28:29], exec
	v_mov_b32_e32 v58, 0
	s_or_b64 s[4:5], s[4:5], s[28:29]
	s_or_b64 exec, exec, s[26:27]
	v_and_b32_e32 v8, 0xffff, v0
	s_and_saveexec_b64 s[26:27], s[4:5]
	s_cbranch_execnz .LBB272_111
	s_branch .LBB272_112
.LBB272_370:                            ;   in Loop: Header=BB272_13 Depth=1
	v_cmp_eq_u16_e64 s[4:5], s36, v8
	s_mov_b64 s[26:27], -1
                                        ; implicit-def: $sgpr38
	s_and_saveexec_b64 s[30:31], s[4:5]
; %bb.371:                              ;   in Loop: Header=BB272_13 Depth=1
	s_mov_b32 s38, 0x7fc02000
	s_xor_b64 s[26:27], exec, -1
; %bb.372:                              ;   in Loop: Header=BB272_13 Depth=1
	s_or_b64 exec, exec, s[30:31]
	s_and_b64 s[26:27], s[26:27], exec
	s_or_saveexec_b64 s[28:29], s[28:29]
	v_mov_b32_e32 v60, s38
	s_xor_b64 exec, exec, s[28:29]
	s_cbranch_execz .LBB272_114
.LBB272_373:                            ;   in Loop: Header=BB272_13 Depth=1
	v_cmp_ne_u16_e64 s[4:5], 0, v8
	s_andn2_b64 s[26:27], s[26:27], exec
	s_and_b64 s[4:5], s[4:5], exec
	v_mov_b32_e32 v60, 0
	s_or_b64 s[26:27], s[26:27], s[4:5]
	s_or_b64 exec, exec, s[28:29]
	s_and_saveexec_b64 s[28:29], s[26:27]
	s_cbranch_execnz .LBB272_115
	s_branch .LBB272_116
.LBB272_374:                            ;   in Loop: Header=BB272_13 Depth=1
	v_cmp_eq_u16_sdwa s[38:39], v0, s36 src0_sel:BYTE_0 src1_sel:DWORD
	s_mov_b64 s[4:5], -1
                                        ; implicit-def: $sgpr30
	s_and_saveexec_b64 s[28:29], s[38:39]
; %bb.375:                              ;   in Loop: Header=BB272_13 Depth=1
	s_mov_b32 s30, 0x7fc02000
	s_xor_b64 s[4:5], exec, -1
; %bb.376:                              ;   in Loop: Header=BB272_13 Depth=1
	s_or_b64 exec, exec, s[28:29]
	s_and_b64 s[4:5], s[4:5], exec
	s_or_saveexec_b64 s[26:27], s[26:27]
	v_mov_b32_e32 v61, s30
	s_xor_b64 exec, exec, s[26:27]
	s_cbranch_execz .LBB272_118
.LBB272_377:                            ;   in Loop: Header=BB272_13 Depth=1
	v_cmp_ne_u16_sdwa s[28:29], v0, v9 src0_sel:BYTE_0 src1_sel:DWORD
	s_andn2_b64 s[4:5], s[4:5], exec
	s_and_b64 s[28:29], s[28:29], exec
	v_mov_b32_e32 v61, 0
	s_or_b64 s[4:5], s[4:5], s[28:29]
	s_or_b64 exec, exec, s[26:27]
	v_and_b32_e32 v8, 0xffff, v0
	s_and_saveexec_b64 s[26:27], s[4:5]
	s_cbranch_execnz .LBB272_119
	s_branch .LBB272_120
.LBB272_378:                            ;   in Loop: Header=BB272_13 Depth=1
	v_cmp_eq_u16_e64 s[4:5], s36, v8
	s_mov_b64 s[26:27], -1
                                        ; implicit-def: $sgpr38
	s_and_saveexec_b64 s[30:31], s[4:5]
; %bb.379:                              ;   in Loop: Header=BB272_13 Depth=1
	s_mov_b32 s38, 0x7fc02000
	s_xor_b64 s[26:27], exec, -1
; %bb.380:                              ;   in Loop: Header=BB272_13 Depth=1
	s_or_b64 exec, exec, s[30:31]
	s_and_b64 s[26:27], s[26:27], exec
	s_or_saveexec_b64 s[28:29], s[28:29]
	v_mov_b32_e32 v62, s38
	s_xor_b64 exec, exec, s[28:29]
	s_cbranch_execz .LBB272_122
.LBB272_381:                            ;   in Loop: Header=BB272_13 Depth=1
	v_cmp_ne_u16_e64 s[4:5], 0, v8
	s_andn2_b64 s[26:27], s[26:27], exec
	s_and_b64 s[4:5], s[4:5], exec
	v_mov_b32_e32 v62, 0
	s_or_b64 s[26:27], s[26:27], s[4:5]
	s_or_b64 exec, exec, s[28:29]
	s_and_saveexec_b64 s[28:29], s[26:27]
	s_cbranch_execnz .LBB272_123
	s_branch .LBB272_124
.LBB272_382:                            ;   in Loop: Header=BB272_13 Depth=1
	v_cmp_eq_u16_sdwa s[38:39], v0, s36 src0_sel:BYTE_0 src1_sel:DWORD
	s_mov_b64 s[4:5], -1
                                        ; implicit-def: $sgpr30
	s_and_saveexec_b64 s[28:29], s[38:39]
; %bb.383:                              ;   in Loop: Header=BB272_13 Depth=1
	s_mov_b32 s30, 0x7fc02000
	s_xor_b64 s[4:5], exec, -1
; %bb.384:                              ;   in Loop: Header=BB272_13 Depth=1
	s_or_b64 exec, exec, s[28:29]
	s_and_b64 s[4:5], s[4:5], exec
	s_or_saveexec_b64 s[26:27], s[26:27]
	v_mov_b32_e32 v12, s30
	s_xor_b64 exec, exec, s[26:27]
	s_cbranch_execz .LBB272_126
.LBB272_385:                            ;   in Loop: Header=BB272_13 Depth=1
	v_cmp_ne_u16_sdwa s[28:29], v0, v9 src0_sel:BYTE_0 src1_sel:DWORD
	s_andn2_b64 s[4:5], s[4:5], exec
	s_and_b64 s[28:29], s[28:29], exec
	v_mov_b32_e32 v12, 0
	s_or_b64 s[4:5], s[4:5], s[28:29]
	s_or_b64 exec, exec, s[26:27]
	v_and_b32_e32 v8, 0xffff, v0
	s_and_saveexec_b64 s[26:27], s[4:5]
	s_cbranch_execnz .LBB272_127
	s_branch .LBB272_128
.LBB272_386:                            ;   in Loop: Header=BB272_13 Depth=1
	v_cmp_eq_u16_e64 s[4:5], s36, v8
	s_mov_b64 s[26:27], -1
                                        ; implicit-def: $sgpr38
	s_and_saveexec_b64 s[30:31], s[4:5]
; %bb.387:                              ;   in Loop: Header=BB272_13 Depth=1
	s_mov_b32 s38, 0x7fc02000
	s_xor_b64 s[26:27], exec, -1
; %bb.388:                              ;   in Loop: Header=BB272_13 Depth=1
	s_or_b64 exec, exec, s[30:31]
	s_and_b64 s[26:27], s[26:27], exec
	s_or_saveexec_b64 s[28:29], s[28:29]
	v_mov_b32_e32 v0, s38
	s_xor_b64 exec, exec, s[28:29]
	s_cbranch_execz .LBB272_130
.LBB272_389:                            ;   in Loop: Header=BB272_13 Depth=1
	v_cmp_ne_u16_e64 s[4:5], 0, v8
	s_andn2_b64 s[26:27], s[26:27], exec
	s_and_b64 s[4:5], s[4:5], exec
	v_mov_b32_e32 v0, 0
	s_or_b64 s[26:27], s[26:27], s[4:5]
	s_or_b64 exec, exec, s[28:29]
	s_and_saveexec_b64 s[28:29], s[26:27]
	s_cbranch_execnz .LBB272_131
	s_branch .LBB272_132
.LBB272_390:                            ;   in Loop: Header=BB272_13 Depth=1
	v_cmp_eq_u16_sdwa s[38:39], v2, s36 src0_sel:BYTE_0 src1_sel:DWORD
	s_mov_b64 s[4:5], -1
                                        ; implicit-def: $sgpr30
	s_and_saveexec_b64 s[28:29], s[38:39]
; %bb.391:                              ;   in Loop: Header=BB272_13 Depth=1
	s_mov_b32 s30, 0x7fc02000
	s_xor_b64 s[4:5], exec, -1
; %bb.392:                              ;   in Loop: Header=BB272_13 Depth=1
	s_or_b64 exec, exec, s[28:29]
	s_and_b64 s[4:5], s[4:5], exec
	s_or_saveexec_b64 s[26:27], s[26:27]
	v_mov_b32_e32 v3, s30
	s_xor_b64 exec, exec, s[26:27]
	s_cbranch_execz .LBB272_134
.LBB272_393:                            ;   in Loop: Header=BB272_13 Depth=1
	v_cmp_ne_u16_sdwa s[28:29], v2, v9 src0_sel:BYTE_0 src1_sel:DWORD
	s_andn2_b64 s[4:5], s[4:5], exec
	s_and_b64 s[28:29], s[28:29], exec
	v_mov_b32_e32 v3, 0
	s_or_b64 s[4:5], s[4:5], s[28:29]
	s_or_b64 exec, exec, s[26:27]
	v_and_b32_e32 v8, 0xffff, v2
	s_and_saveexec_b64 s[26:27], s[4:5]
	s_cbranch_execnz .LBB272_135
	s_branch .LBB272_136
.LBB272_394:                            ;   in Loop: Header=BB272_13 Depth=1
	v_cmp_eq_u16_e64 s[4:5], s36, v8
	s_mov_b64 s[26:27], -1
                                        ; implicit-def: $sgpr38
	s_and_saveexec_b64 s[30:31], s[4:5]
; %bb.395:                              ;   in Loop: Header=BB272_13 Depth=1
	s_mov_b32 s38, 0x7fc02000
	s_xor_b64 s[26:27], exec, -1
; %bb.396:                              ;   in Loop: Header=BB272_13 Depth=1
	s_or_b64 exec, exec, s[30:31]
	s_and_b64 s[26:27], s[26:27], exec
	s_or_saveexec_b64 s[28:29], s[28:29]
	v_mov_b32_e32 v2, s38
	s_xor_b64 exec, exec, s[28:29]
	s_cbranch_execz .LBB272_138
.LBB272_397:                            ;   in Loop: Header=BB272_13 Depth=1
	v_cmp_ne_u16_e64 s[4:5], 0, v8
	s_andn2_b64 s[26:27], s[26:27], exec
	s_and_b64 s[4:5], s[4:5], exec
	v_mov_b32_e32 v2, 0
	s_or_b64 s[26:27], s[26:27], s[4:5]
	s_or_b64 exec, exec, s[28:29]
	s_and_saveexec_b64 s[28:29], s[26:27]
	s_cbranch_execnz .LBB272_139
	s_branch .LBB272_140
.LBB272_398:                            ;   in Loop: Header=BB272_13 Depth=1
	v_cmp_eq_u16_sdwa s[38:39], v4, s36 src0_sel:BYTE_0 src1_sel:DWORD
	s_mov_b64 s[4:5], -1
                                        ; implicit-def: $sgpr30
	s_and_saveexec_b64 s[28:29], s[38:39]
; %bb.399:                              ;   in Loop: Header=BB272_13 Depth=1
	s_mov_b32 s30, 0x7fc02000
	s_xor_b64 s[4:5], exec, -1
; %bb.400:                              ;   in Loop: Header=BB272_13 Depth=1
	s_or_b64 exec, exec, s[28:29]
	s_and_b64 s[4:5], s[4:5], exec
	s_or_saveexec_b64 s[26:27], s[26:27]
	v_mov_b32_e32 v15, s30
	s_xor_b64 exec, exec, s[26:27]
	s_cbranch_execz .LBB272_142
.LBB272_401:                            ;   in Loop: Header=BB272_13 Depth=1
	v_cmp_ne_u16_sdwa s[28:29], v4, v9 src0_sel:BYTE_0 src1_sel:DWORD
	s_andn2_b64 s[4:5], s[4:5], exec
	s_and_b64 s[28:29], s[28:29], exec
	v_mov_b32_e32 v15, 0
	s_or_b64 s[4:5], s[4:5], s[28:29]
	s_or_b64 exec, exec, s[26:27]
	v_and_b32_e32 v8, 0xffff, v4
	s_and_saveexec_b64 s[26:27], s[4:5]
	s_cbranch_execnz .LBB272_143
	s_branch .LBB272_144
.LBB272_402:                            ;   in Loop: Header=BB272_13 Depth=1
	v_cmp_eq_u16_e64 s[4:5], s36, v8
	s_mov_b64 s[26:27], -1
                                        ; implicit-def: $sgpr38
	s_and_saveexec_b64 s[30:31], s[4:5]
; %bb.403:                              ;   in Loop: Header=BB272_13 Depth=1
	s_mov_b32 s38, 0x7fc02000
	s_xor_b64 s[26:27], exec, -1
; %bb.404:                              ;   in Loop: Header=BB272_13 Depth=1
	s_or_b64 exec, exec, s[30:31]
	s_and_b64 s[26:27], s[26:27], exec
	s_or_saveexec_b64 s[28:29], s[28:29]
	v_mov_b32_e32 v14, s38
	s_xor_b64 exec, exec, s[28:29]
	s_cbranch_execz .LBB272_146
.LBB272_405:                            ;   in Loop: Header=BB272_13 Depth=1
	v_cmp_ne_u16_e64 s[4:5], 0, v8
	s_andn2_b64 s[26:27], s[26:27], exec
	s_and_b64 s[4:5], s[4:5], exec
	v_mov_b32_e32 v14, 0
	s_or_b64 s[26:27], s[26:27], s[4:5]
	s_or_b64 exec, exec, s[28:29]
	s_and_saveexec_b64 s[28:29], s[26:27]
	s_cbranch_execnz .LBB272_147
	s_branch .LBB272_148
.LBB272_406:                            ;   in Loop: Header=BB272_13 Depth=1
	v_cmp_eq_u16_sdwa s[38:39], v4, s36 src0_sel:BYTE_0 src1_sel:DWORD
	s_mov_b64 s[4:5], -1
                                        ; implicit-def: $sgpr30
	s_and_saveexec_b64 s[28:29], s[38:39]
; %bb.407:                              ;   in Loop: Header=BB272_13 Depth=1
	s_mov_b32 s30, 0x7fc02000
	s_xor_b64 s[4:5], exec, -1
; %bb.408:                              ;   in Loop: Header=BB272_13 Depth=1
	s_or_b64 exec, exec, s[28:29]
	s_and_b64 s[4:5], s[4:5], exec
	s_or_saveexec_b64 s[26:27], s[26:27]
	v_mov_b32_e32 v7, s30
	s_xor_b64 exec, exec, s[26:27]
	s_cbranch_execz .LBB272_150
.LBB272_409:                            ;   in Loop: Header=BB272_13 Depth=1
	v_cmp_ne_u16_sdwa s[28:29], v4, v9 src0_sel:BYTE_0 src1_sel:DWORD
	s_andn2_b64 s[4:5], s[4:5], exec
	s_and_b64 s[28:29], s[28:29], exec
	v_mov_b32_e32 v7, 0
	s_or_b64 s[4:5], s[4:5], s[28:29]
	s_or_b64 exec, exec, s[26:27]
	v_and_b32_e32 v8, 0xffff, v4
	s_and_saveexec_b64 s[26:27], s[4:5]
	s_cbranch_execnz .LBB272_151
	s_branch .LBB272_152
.LBB272_410:                            ;   in Loop: Header=BB272_13 Depth=1
	v_cmp_eq_u16_e64 s[4:5], s36, v8
	s_mov_b64 s[26:27], -1
                                        ; implicit-def: $sgpr38
	s_and_saveexec_b64 s[30:31], s[4:5]
; %bb.411:                              ;   in Loop: Header=BB272_13 Depth=1
	s_mov_b32 s38, 0x7fc02000
	s_xor_b64 s[26:27], exec, -1
; %bb.412:                              ;   in Loop: Header=BB272_13 Depth=1
	s_or_b64 exec, exec, s[30:31]
	s_and_b64 s[26:27], s[26:27], exec
	s_or_saveexec_b64 s[28:29], s[28:29]
	v_mov_b32_e32 v1, s38
	s_xor_b64 exec, exec, s[28:29]
	s_cbranch_execz .LBB272_154
.LBB272_413:                            ;   in Loop: Header=BB272_13 Depth=1
	v_cmp_ne_u16_e64 s[4:5], 0, v8
	s_andn2_b64 s[26:27], s[26:27], exec
	s_and_b64 s[4:5], s[4:5], exec
	v_mov_b32_e32 v1, 0
	s_or_b64 s[26:27], s[26:27], s[4:5]
	s_or_b64 exec, exec, s[28:29]
	s_and_saveexec_b64 s[28:29], s[26:27]
	s_cbranch_execnz .LBB272_155
	s_branch .LBB272_156
.LBB272_414:                            ;   in Loop: Header=BB272_13 Depth=1
	v_cmp_eq_u16_sdwa s[38:39], v4, s36 src0_sel:BYTE_0 src1_sel:DWORD
	s_mov_b64 s[4:5], -1
                                        ; implicit-def: $sgpr30
	s_and_saveexec_b64 s[28:29], s[38:39]
; %bb.415:                              ;   in Loop: Header=BB272_13 Depth=1
	s_mov_b32 s30, 0x7fc02000
	s_xor_b64 s[4:5], exec, -1
; %bb.416:                              ;   in Loop: Header=BB272_13 Depth=1
	s_or_b64 exec, exec, s[28:29]
	s_and_b64 s[4:5], s[4:5], exec
	s_or_saveexec_b64 s[26:27], s[26:27]
	v_mov_b32_e32 v30, s30
	s_xor_b64 exec, exec, s[26:27]
	s_cbranch_execz .LBB272_158
.LBB272_417:                            ;   in Loop: Header=BB272_13 Depth=1
	v_cmp_ne_u16_sdwa s[28:29], v4, v9 src0_sel:BYTE_0 src1_sel:DWORD
	s_andn2_b64 s[4:5], s[4:5], exec
	s_and_b64 s[28:29], s[28:29], exec
	v_mov_b32_e32 v30, 0
	s_or_b64 s[4:5], s[4:5], s[28:29]
	s_or_b64 exec, exec, s[26:27]
	v_and_b32_e32 v8, 0xffff, v4
	s_and_saveexec_b64 s[26:27], s[4:5]
	s_cbranch_execnz .LBB272_159
	s_branch .LBB272_160
.LBB272_418:                            ;   in Loop: Header=BB272_13 Depth=1
	v_cmp_eq_u16_e64 s[4:5], s36, v8
	s_mov_b64 s[26:27], -1
                                        ; implicit-def: $sgpr38
	s_and_saveexec_b64 s[30:31], s[4:5]
; %bb.419:                              ;   in Loop: Header=BB272_13 Depth=1
	s_mov_b32 s38, 0x7fc02000
	s_xor_b64 s[26:27], exec, -1
; %bb.420:                              ;   in Loop: Header=BB272_13 Depth=1
	s_or_b64 exec, exec, s[30:31]
	s_and_b64 s[26:27], s[26:27], exec
	s_or_saveexec_b64 s[28:29], s[28:29]
	v_mov_b32_e32 v1, s38
	s_xor_b64 exec, exec, s[28:29]
	s_cbranch_execz .LBB272_162
.LBB272_421:                            ;   in Loop: Header=BB272_13 Depth=1
	v_cmp_ne_u16_e64 s[4:5], 0, v8
	s_andn2_b64 s[26:27], s[26:27], exec
	s_and_b64 s[4:5], s[4:5], exec
	v_mov_b32_e32 v1, 0
	s_or_b64 s[26:27], s[26:27], s[4:5]
	s_or_b64 exec, exec, s[28:29]
	s_and_saveexec_b64 s[28:29], s[26:27]
	s_cbranch_execnz .LBB272_163
	s_branch .LBB272_164
.LBB272_422:                            ;   in Loop: Header=BB272_13 Depth=1
	v_cmp_eq_u16_sdwa s[38:39], v4, s36 src0_sel:BYTE_0 src1_sel:DWORD
	s_mov_b64 s[4:5], -1
                                        ; implicit-def: $sgpr30
	s_and_saveexec_b64 s[28:29], s[38:39]
; %bb.423:                              ;   in Loop: Header=BB272_13 Depth=1
	s_mov_b32 s30, 0x7fc02000
	s_xor_b64 s[4:5], exec, -1
; %bb.424:                              ;   in Loop: Header=BB272_13 Depth=1
	s_or_b64 exec, exec, s[28:29]
	s_and_b64 s[4:5], s[4:5], exec
	s_or_saveexec_b64 s[26:27], s[26:27]
	v_mov_b32_e32 v52, s30
	s_xor_b64 exec, exec, s[26:27]
	s_cbranch_execz .LBB272_166
.LBB272_425:                            ;   in Loop: Header=BB272_13 Depth=1
	v_cmp_ne_u16_sdwa s[28:29], v4, v9 src0_sel:BYTE_0 src1_sel:DWORD
	s_andn2_b64 s[4:5], s[4:5], exec
	s_and_b64 s[28:29], s[28:29], exec
	v_mov_b32_e32 v52, 0
	s_or_b64 s[4:5], s[4:5], s[28:29]
	s_or_b64 exec, exec, s[26:27]
	v_and_b32_e32 v8, 0xffff, v4
	s_and_saveexec_b64 s[26:27], s[4:5]
	s_cbranch_execnz .LBB272_167
	s_branch .LBB272_168
.LBB272_426:                            ;   in Loop: Header=BB272_13 Depth=1
	v_cmp_eq_u16_e64 s[4:5], s36, v8
	s_mov_b64 s[26:27], -1
                                        ; implicit-def: $sgpr38
	s_and_saveexec_b64 s[30:31], s[4:5]
; %bb.427:                              ;   in Loop: Header=BB272_13 Depth=1
	s_mov_b32 s38, 0x7fc02000
	s_xor_b64 s[26:27], exec, -1
; %bb.428:                              ;   in Loop: Header=BB272_13 Depth=1
	s_or_b64 exec, exec, s[30:31]
	s_and_b64 s[26:27], s[26:27], exec
	s_or_saveexec_b64 s[28:29], s[28:29]
	v_mov_b32_e32 v1, s38
	s_xor_b64 exec, exec, s[28:29]
	s_cbranch_execz .LBB272_170
.LBB272_429:                            ;   in Loop: Header=BB272_13 Depth=1
	v_cmp_ne_u16_e64 s[4:5], 0, v8
	s_andn2_b64 s[26:27], s[26:27], exec
	s_and_b64 s[4:5], s[4:5], exec
	v_mov_b32_e32 v1, 0
	s_or_b64 s[26:27], s[26:27], s[4:5]
	s_or_b64 exec, exec, s[28:29]
	s_and_saveexec_b64 s[28:29], s[26:27]
	s_cbranch_execnz .LBB272_171
	s_branch .LBB272_172
.LBB272_430:                            ;   in Loop: Header=BB272_13 Depth=1
	v_cmp_eq_u16_sdwa s[38:39], v4, s36 src0_sel:BYTE_0 src1_sel:DWORD
	s_mov_b64 s[4:5], -1
                                        ; implicit-def: $sgpr30
	s_and_saveexec_b64 s[28:29], s[38:39]
; %bb.431:                              ;   in Loop: Header=BB272_13 Depth=1
	s_mov_b32 s30, 0x7fc02000
	s_xor_b64 s[4:5], exec, -1
; %bb.432:                              ;   in Loop: Header=BB272_13 Depth=1
	s_or_b64 exec, exec, s[28:29]
	s_and_b64 s[4:5], s[4:5], exec
	s_or_saveexec_b64 s[26:27], s[26:27]
	v_mov_b32_e32 v56, s30
	s_xor_b64 exec, exec, s[26:27]
	s_cbranch_execz .LBB272_174
.LBB272_433:                            ;   in Loop: Header=BB272_13 Depth=1
	v_cmp_ne_u16_sdwa s[28:29], v4, v9 src0_sel:BYTE_0 src1_sel:DWORD
	s_andn2_b64 s[4:5], s[4:5], exec
	s_and_b64 s[28:29], s[28:29], exec
	v_mov_b32_e32 v56, 0
	s_or_b64 s[4:5], s[4:5], s[28:29]
	s_or_b64 exec, exec, s[26:27]
	v_and_b32_e32 v8, 0xffff, v4
	s_and_saveexec_b64 s[26:27], s[4:5]
	s_cbranch_execnz .LBB272_175
	s_branch .LBB272_176
.LBB272_434:                            ;   in Loop: Header=BB272_13 Depth=1
	v_cmp_eq_u16_e64 s[4:5], s36, v8
	s_mov_b64 s[26:27], -1
                                        ; implicit-def: $sgpr38
	s_and_saveexec_b64 s[30:31], s[4:5]
; %bb.435:                              ;   in Loop: Header=BB272_13 Depth=1
	s_mov_b32 s38, 0x7fc02000
	s_xor_b64 s[26:27], exec, -1
; %bb.436:                              ;   in Loop: Header=BB272_13 Depth=1
	s_or_b64 exec, exec, s[30:31]
	s_and_b64 s[26:27], s[26:27], exec
	s_or_saveexec_b64 s[28:29], s[28:29]
	v_mov_b32_e32 v1, s38
	s_xor_b64 exec, exec, s[28:29]
	s_cbranch_execz .LBB272_178
.LBB272_437:                            ;   in Loop: Header=BB272_13 Depth=1
	v_cmp_ne_u16_e64 s[4:5], 0, v8
	s_andn2_b64 s[26:27], s[26:27], exec
	s_and_b64 s[4:5], s[4:5], exec
	v_mov_b32_e32 v1, 0
	s_or_b64 s[26:27], s[26:27], s[4:5]
	s_or_b64 exec, exec, s[28:29]
	s_and_saveexec_b64 s[28:29], s[26:27]
	s_cbranch_execnz .LBB272_179
	s_branch .LBB272_180
.LBB272_438:                            ;   in Loop: Header=BB272_13 Depth=1
	v_cmp_eq_u16_sdwa s[38:39], v4, s36 src0_sel:BYTE_0 src1_sel:DWORD
	s_mov_b64 s[4:5], -1
                                        ; implicit-def: $sgpr30
	s_and_saveexec_b64 s[28:29], s[38:39]
; %bb.439:                              ;   in Loop: Header=BB272_13 Depth=1
	s_mov_b32 s30, 0x7fc02000
	s_xor_b64 s[4:5], exec, -1
; %bb.440:                              ;   in Loop: Header=BB272_13 Depth=1
	s_or_b64 exec, exec, s[28:29]
	s_and_b64 s[4:5], s[4:5], exec
	s_or_saveexec_b64 s[26:27], s[26:27]
	v_mov_b32_e32 v36, s30
	s_xor_b64 exec, exec, s[26:27]
	s_cbranch_execz .LBB272_182
.LBB272_441:                            ;   in Loop: Header=BB272_13 Depth=1
	v_cmp_ne_u16_sdwa s[28:29], v4, v9 src0_sel:BYTE_0 src1_sel:DWORD
	s_andn2_b64 s[4:5], s[4:5], exec
	s_and_b64 s[28:29], s[28:29], exec
	v_mov_b32_e32 v36, 0
	s_or_b64 s[4:5], s[4:5], s[28:29]
	s_or_b64 exec, exec, s[26:27]
	v_and_b32_e32 v8, 0xffff, v4
	s_and_saveexec_b64 s[26:27], s[4:5]
	s_cbranch_execnz .LBB272_183
	s_branch .LBB272_184
.LBB272_442:                            ;   in Loop: Header=BB272_13 Depth=1
	v_cmp_eq_u16_e64 s[4:5], s36, v8
	s_mov_b64 s[26:27], -1
                                        ; implicit-def: $sgpr38
	s_and_saveexec_b64 s[30:31], s[4:5]
; %bb.443:                              ;   in Loop: Header=BB272_13 Depth=1
	s_mov_b32 s38, 0x7fc02000
	s_xor_b64 s[26:27], exec, -1
; %bb.444:                              ;   in Loop: Header=BB272_13 Depth=1
	s_or_b64 exec, exec, s[30:31]
	s_and_b64 s[26:27], s[26:27], exec
	s_or_saveexec_b64 s[28:29], s[28:29]
	v_mov_b32_e32 v1, s38
	s_xor_b64 exec, exec, s[28:29]
	s_cbranch_execz .LBB272_186
.LBB272_445:                            ;   in Loop: Header=BB272_13 Depth=1
	v_cmp_ne_u16_e64 s[4:5], 0, v8
	s_andn2_b64 s[26:27], s[26:27], exec
	s_and_b64 s[4:5], s[4:5], exec
	v_mov_b32_e32 v1, 0
	s_or_b64 s[26:27], s[26:27], s[4:5]
	s_or_b64 exec, exec, s[28:29]
	s_and_saveexec_b64 s[28:29], s[26:27]
	s_cbranch_execnz .LBB272_187
	s_branch .LBB272_188
.LBB272_446:                            ;   in Loop: Header=BB272_13 Depth=1
	v_cmp_eq_u16_sdwa s[38:39], v4, s36 src0_sel:BYTE_0 src1_sel:DWORD
	s_mov_b64 s[4:5], -1
                                        ; implicit-def: $sgpr30
	s_and_saveexec_b64 s[28:29], s[38:39]
; %bb.447:                              ;   in Loop: Header=BB272_13 Depth=1
	s_mov_b32 s30, 0x7fc02000
	s_xor_b64 s[4:5], exec, -1
; %bb.448:                              ;   in Loop: Header=BB272_13 Depth=1
	s_or_b64 exec, exec, s[28:29]
	s_and_b64 s[4:5], s[4:5], exec
	s_or_saveexec_b64 s[26:27], s[26:27]
	v_mov_b32_e32 v37, s30
	s_xor_b64 exec, exec, s[26:27]
	s_cbranch_execz .LBB272_190
.LBB272_449:                            ;   in Loop: Header=BB272_13 Depth=1
	v_cmp_ne_u16_sdwa s[28:29], v4, v9 src0_sel:BYTE_0 src1_sel:DWORD
	s_andn2_b64 s[4:5], s[4:5], exec
	s_and_b64 s[28:29], s[28:29], exec
	v_mov_b32_e32 v37, 0
	s_or_b64 s[4:5], s[4:5], s[28:29]
	s_or_b64 exec, exec, s[26:27]
	v_and_b32_e32 v8, 0xffff, v4
	s_and_saveexec_b64 s[26:27], s[4:5]
	s_cbranch_execnz .LBB272_191
	s_branch .LBB272_192
.LBB272_450:                            ;   in Loop: Header=BB272_13 Depth=1
	v_cmp_eq_u16_e64 s[4:5], s36, v8
	s_mov_b64 s[26:27], -1
                                        ; implicit-def: $sgpr38
	s_and_saveexec_b64 s[30:31], s[4:5]
; %bb.451:                              ;   in Loop: Header=BB272_13 Depth=1
	s_mov_b32 s38, 0x7fc02000
	s_xor_b64 s[26:27], exec, -1
; %bb.452:                              ;   in Loop: Header=BB272_13 Depth=1
	s_or_b64 exec, exec, s[30:31]
	s_and_b64 s[26:27], s[26:27], exec
	s_or_saveexec_b64 s[28:29], s[28:29]
	v_mov_b32_e32 v1, s38
	s_xor_b64 exec, exec, s[28:29]
	s_cbranch_execz .LBB272_194
.LBB272_453:                            ;   in Loop: Header=BB272_13 Depth=1
	v_cmp_ne_u16_e64 s[4:5], 0, v8
	s_andn2_b64 s[26:27], s[26:27], exec
	s_and_b64 s[4:5], s[4:5], exec
	v_mov_b32_e32 v1, 0
	s_or_b64 s[26:27], s[26:27], s[4:5]
	s_or_b64 exec, exec, s[28:29]
	s_and_saveexec_b64 s[28:29], s[26:27]
	s_cbranch_execnz .LBB272_195
	s_branch .LBB272_196
.LBB272_454:                            ;   in Loop: Header=BB272_13 Depth=1
	v_cmp_eq_u16_sdwa s[38:39], v4, s36 src0_sel:BYTE_0 src1_sel:DWORD
	s_mov_b64 s[4:5], -1
                                        ; implicit-def: $sgpr30
	s_and_saveexec_b64 s[28:29], s[38:39]
; %bb.455:                              ;   in Loop: Header=BB272_13 Depth=1
	s_mov_b32 s30, 0x7fc02000
	s_xor_b64 s[4:5], exec, -1
; %bb.456:                              ;   in Loop: Header=BB272_13 Depth=1
	s_or_b64 exec, exec, s[28:29]
	s_and_b64 s[4:5], s[4:5], exec
	s_or_saveexec_b64 s[26:27], s[26:27]
	v_mov_b32_e32 v41, s30
	s_xor_b64 exec, exec, s[26:27]
	s_cbranch_execz .LBB272_198
.LBB272_457:                            ;   in Loop: Header=BB272_13 Depth=1
	v_cmp_ne_u16_sdwa s[28:29], v4, v9 src0_sel:BYTE_0 src1_sel:DWORD
	s_andn2_b64 s[4:5], s[4:5], exec
	s_and_b64 s[28:29], s[28:29], exec
	v_mov_b32_e32 v41, 0
	s_or_b64 s[4:5], s[4:5], s[28:29]
	s_or_b64 exec, exec, s[26:27]
	v_and_b32_e32 v8, 0xffff, v4
	s_and_saveexec_b64 s[26:27], s[4:5]
	s_cbranch_execnz .LBB272_199
	s_branch .LBB272_200
.LBB272_458:                            ;   in Loop: Header=BB272_13 Depth=1
	v_cmp_eq_u16_e64 s[4:5], s36, v8
	s_mov_b64 s[26:27], -1
                                        ; implicit-def: $sgpr38
	s_and_saveexec_b64 s[30:31], s[4:5]
; %bb.459:                              ;   in Loop: Header=BB272_13 Depth=1
	s_mov_b32 s38, 0x7fc02000
	s_xor_b64 s[26:27], exec, -1
; %bb.460:                              ;   in Loop: Header=BB272_13 Depth=1
	s_or_b64 exec, exec, s[30:31]
	s_and_b64 s[26:27], s[26:27], exec
	s_or_saveexec_b64 s[28:29], s[28:29]
	v_mov_b32_e32 v1, s38
	s_xor_b64 exec, exec, s[28:29]
	s_cbranch_execz .LBB272_202
.LBB272_461:                            ;   in Loop: Header=BB272_13 Depth=1
	v_cmp_ne_u16_e64 s[4:5], 0, v8
	s_andn2_b64 s[26:27], s[26:27], exec
	s_and_b64 s[4:5], s[4:5], exec
	v_mov_b32_e32 v1, 0
	s_or_b64 s[26:27], s[26:27], s[4:5]
	s_or_b64 exec, exec, s[28:29]
	s_and_saveexec_b64 s[28:29], s[26:27]
	s_cbranch_execnz .LBB272_203
	s_branch .LBB272_204
.LBB272_462:                            ;   in Loop: Header=BB272_13 Depth=1
	v_cmp_eq_u16_sdwa s[38:39], v4, s36 src0_sel:BYTE_0 src1_sel:DWORD
	s_mov_b64 s[4:5], -1
                                        ; implicit-def: $sgpr30
	s_and_saveexec_b64 s[28:29], s[38:39]
; %bb.463:                              ;   in Loop: Header=BB272_13 Depth=1
	s_mov_b32 s30, 0x7fc02000
	s_xor_b64 s[4:5], exec, -1
; %bb.464:                              ;   in Loop: Header=BB272_13 Depth=1
	s_or_b64 exec, exec, s[28:29]
	s_and_b64 s[4:5], s[4:5], exec
	s_or_saveexec_b64 s[26:27], s[26:27]
	v_mov_b32_e32 v55, s30
	s_xor_b64 exec, exec, s[26:27]
	s_cbranch_execz .LBB272_206
.LBB272_465:                            ;   in Loop: Header=BB272_13 Depth=1
	v_cmp_ne_u16_sdwa s[28:29], v4, v9 src0_sel:BYTE_0 src1_sel:DWORD
	s_andn2_b64 s[4:5], s[4:5], exec
	s_and_b64 s[28:29], s[28:29], exec
	v_mov_b32_e32 v55, 0
	s_or_b64 s[4:5], s[4:5], s[28:29]
	s_or_b64 exec, exec, s[26:27]
	v_and_b32_e32 v8, 0xffff, v4
	s_and_saveexec_b64 s[26:27], s[4:5]
	s_cbranch_execnz .LBB272_207
	s_branch .LBB272_208
.LBB272_466:                            ;   in Loop: Header=BB272_13 Depth=1
	v_cmp_eq_u16_e64 s[4:5], s36, v8
	s_mov_b64 s[26:27], -1
                                        ; implicit-def: $sgpr38
	s_and_saveexec_b64 s[30:31], s[4:5]
; %bb.467:                              ;   in Loop: Header=BB272_13 Depth=1
	s_mov_b32 s38, 0x7fc02000
	s_xor_b64 s[26:27], exec, -1
; %bb.468:                              ;   in Loop: Header=BB272_13 Depth=1
	s_or_b64 exec, exec, s[30:31]
	s_and_b64 s[26:27], s[26:27], exec
	s_or_saveexec_b64 s[28:29], s[28:29]
	v_mov_b32_e32 v1, s38
	s_xor_b64 exec, exec, s[28:29]
	s_cbranch_execz .LBB272_210
.LBB272_469:                            ;   in Loop: Header=BB272_13 Depth=1
	v_cmp_ne_u16_e64 s[4:5], 0, v8
	s_andn2_b64 s[26:27], s[26:27], exec
	s_and_b64 s[4:5], s[4:5], exec
	v_mov_b32_e32 v1, 0
	s_or_b64 s[26:27], s[26:27], s[4:5]
	s_or_b64 exec, exec, s[28:29]
	s_and_saveexec_b64 s[28:29], s[26:27]
	s_cbranch_execnz .LBB272_211
	s_branch .LBB272_212
.LBB272_470:                            ;   in Loop: Header=BB272_13 Depth=1
	v_cmp_eq_u16_sdwa s[38:39], v4, s36 src0_sel:BYTE_0 src1_sel:DWORD
	s_mov_b64 s[4:5], -1
                                        ; implicit-def: $sgpr30
	s_and_saveexec_b64 s[28:29], s[38:39]
; %bb.471:                              ;   in Loop: Header=BB272_13 Depth=1
	s_mov_b32 s30, 0x7fc02000
	s_xor_b64 s[4:5], exec, -1
; %bb.472:                              ;   in Loop: Header=BB272_13 Depth=1
	s_or_b64 exec, exec, s[28:29]
	s_and_b64 s[4:5], s[4:5], exec
	s_or_saveexec_b64 s[26:27], s[26:27]
	v_mov_b32_e32 v53, s30
	s_xor_b64 exec, exec, s[26:27]
	s_cbranch_execz .LBB272_214
.LBB272_473:                            ;   in Loop: Header=BB272_13 Depth=1
	v_cmp_ne_u16_sdwa s[28:29], v4, v9 src0_sel:BYTE_0 src1_sel:DWORD
	s_andn2_b64 s[4:5], s[4:5], exec
	s_and_b64 s[28:29], s[28:29], exec
	v_mov_b32_e32 v53, 0
	s_or_b64 s[4:5], s[4:5], s[28:29]
	s_or_b64 exec, exec, s[26:27]
	v_and_b32_e32 v8, 0xffff, v4
	s_and_saveexec_b64 s[26:27], s[4:5]
	s_cbranch_execnz .LBB272_215
	s_branch .LBB272_216
.LBB272_474:                            ;   in Loop: Header=BB272_13 Depth=1
	v_cmp_eq_u16_e64 s[4:5], s36, v8
	s_mov_b64 s[26:27], -1
                                        ; implicit-def: $sgpr38
	s_and_saveexec_b64 s[30:31], s[4:5]
; %bb.475:                              ;   in Loop: Header=BB272_13 Depth=1
	s_mov_b32 s38, 0x7fc02000
	s_xor_b64 s[26:27], exec, -1
; %bb.476:                              ;   in Loop: Header=BB272_13 Depth=1
	s_or_b64 exec, exec, s[30:31]
	s_and_b64 s[26:27], s[26:27], exec
	s_or_saveexec_b64 s[28:29], s[28:29]
	v_mov_b32_e32 v48, s38
	s_xor_b64 exec, exec, s[28:29]
	s_cbranch_execz .LBB272_218
.LBB272_477:                            ;   in Loop: Header=BB272_13 Depth=1
	v_cmp_ne_u16_e64 s[4:5], 0, v8
	s_andn2_b64 s[26:27], s[26:27], exec
	s_and_b64 s[4:5], s[4:5], exec
	v_mov_b32_e32 v48, 0
	s_or_b64 s[26:27], s[26:27], s[4:5]
	s_or_b64 exec, exec, s[28:29]
	s_and_saveexec_b64 s[28:29], s[26:27]
	s_cbranch_execnz .LBB272_219
	s_branch .LBB272_220
.LBB272_478:                            ;   in Loop: Header=BB272_13 Depth=1
	v_cmp_eq_u16_sdwa s[38:39], v4, s36 src0_sel:BYTE_0 src1_sel:DWORD
	s_mov_b64 s[4:5], -1
                                        ; implicit-def: $sgpr30
	s_and_saveexec_b64 s[28:29], s[38:39]
; %bb.479:                              ;   in Loop: Header=BB272_13 Depth=1
	s_mov_b32 s30, 0x7fc02000
	s_xor_b64 s[4:5], exec, -1
; %bb.480:                              ;   in Loop: Header=BB272_13 Depth=1
	s_or_b64 exec, exec, s[28:29]
	s_and_b64 s[4:5], s[4:5], exec
	s_or_saveexec_b64 s[26:27], s[26:27]
	v_mov_b32_e32 v49, s30
	s_xor_b64 exec, exec, s[26:27]
	s_cbranch_execz .LBB272_222
.LBB272_481:                            ;   in Loop: Header=BB272_13 Depth=1
	v_cmp_ne_u16_sdwa s[28:29], v4, v9 src0_sel:BYTE_0 src1_sel:DWORD
	s_andn2_b64 s[4:5], s[4:5], exec
	s_and_b64 s[28:29], s[28:29], exec
	v_mov_b32_e32 v49, 0
	s_or_b64 s[4:5], s[4:5], s[28:29]
	s_or_b64 exec, exec, s[26:27]
	v_and_b32_e32 v8, 0xffff, v4
	s_and_saveexec_b64 s[26:27], s[4:5]
	s_cbranch_execnz .LBB272_223
	s_branch .LBB272_224
.LBB272_482:                            ;   in Loop: Header=BB272_13 Depth=1
	v_cmp_eq_u16_e64 s[4:5], s36, v8
	s_mov_b64 s[26:27], -1
                                        ; implicit-def: $sgpr38
	s_and_saveexec_b64 s[30:31], s[4:5]
; %bb.483:                              ;   in Loop: Header=BB272_13 Depth=1
	s_mov_b32 s38, 0x7fc02000
	s_xor_b64 s[26:27], exec, -1
; %bb.484:                              ;   in Loop: Header=BB272_13 Depth=1
	s_or_b64 exec, exec, s[30:31]
	s_and_b64 s[26:27], s[26:27], exec
	s_or_saveexec_b64 s[28:29], s[28:29]
	v_mov_b32_e32 v46, s38
	s_xor_b64 exec, exec, s[28:29]
	s_cbranch_execz .LBB272_226
.LBB272_485:                            ;   in Loop: Header=BB272_13 Depth=1
	v_cmp_ne_u16_e64 s[4:5], 0, v8
	s_andn2_b64 s[26:27], s[26:27], exec
	s_and_b64 s[4:5], s[4:5], exec
	v_mov_b32_e32 v46, 0
	s_or_b64 s[26:27], s[26:27], s[4:5]
	s_or_b64 exec, exec, s[28:29]
	s_and_saveexec_b64 s[28:29], s[26:27]
	s_cbranch_execnz .LBB272_227
	s_branch .LBB272_228
.LBB272_486:                            ;   in Loop: Header=BB272_13 Depth=1
	v_cmp_eq_u16_sdwa s[38:39], v4, s36 src0_sel:BYTE_0 src1_sel:DWORD
	s_mov_b64 s[4:5], -1
                                        ; implicit-def: $sgpr30
	s_and_saveexec_b64 s[28:29], s[38:39]
; %bb.487:                              ;   in Loop: Header=BB272_13 Depth=1
	s_mov_b32 s30, 0x7fc02000
	s_xor_b64 s[4:5], exec, -1
; %bb.488:                              ;   in Loop: Header=BB272_13 Depth=1
	s_or_b64 exec, exec, s[28:29]
	s_and_b64 s[4:5], s[4:5], exec
	s_or_saveexec_b64 s[26:27], s[26:27]
	v_mov_b32_e32 v31, s30
	s_xor_b64 exec, exec, s[26:27]
	s_cbranch_execz .LBB272_230
.LBB272_489:                            ;   in Loop: Header=BB272_13 Depth=1
	v_cmp_ne_u16_sdwa s[28:29], v4, v9 src0_sel:BYTE_0 src1_sel:DWORD
	s_andn2_b64 s[4:5], s[4:5], exec
	s_and_b64 s[28:29], s[28:29], exec
	v_mov_b32_e32 v31, 0
	s_or_b64 s[4:5], s[4:5], s[28:29]
	s_or_b64 exec, exec, s[26:27]
	v_and_b32_e32 v8, 0xffff, v4
	s_and_saveexec_b64 s[26:27], s[4:5]
	s_cbranch_execnz .LBB272_231
	s_branch .LBB272_232
.LBB272_490:                            ;   in Loop: Header=BB272_13 Depth=1
	v_cmp_eq_u16_e64 s[4:5], s36, v8
	s_mov_b64 s[26:27], -1
                                        ; implicit-def: $sgpr38
	s_and_saveexec_b64 s[30:31], s[4:5]
; %bb.491:                              ;   in Loop: Header=BB272_13 Depth=1
	s_mov_b32 s38, 0x7fc02000
	s_xor_b64 s[26:27], exec, -1
; %bb.492:                              ;   in Loop: Header=BB272_13 Depth=1
	s_or_b64 exec, exec, s[30:31]
	s_and_b64 s[26:27], s[26:27], exec
	s_or_saveexec_b64 s[28:29], s[28:29]
	v_mov_b32_e32 v40, s38
	s_xor_b64 exec, exec, s[28:29]
	s_cbranch_execz .LBB272_234
.LBB272_493:                            ;   in Loop: Header=BB272_13 Depth=1
	v_cmp_ne_u16_e64 s[4:5], 0, v8
	s_andn2_b64 s[26:27], s[26:27], exec
	s_and_b64 s[4:5], s[4:5], exec
	v_mov_b32_e32 v40, 0
	s_or_b64 s[26:27], s[26:27], s[4:5]
	s_or_b64 exec, exec, s[28:29]
	s_and_saveexec_b64 s[28:29], s[26:27]
	s_cbranch_execnz .LBB272_235
	s_branch .LBB272_236
.LBB272_494:                            ;   in Loop: Header=BB272_13 Depth=1
	v_cmp_eq_u16_sdwa s[38:39], v4, s36 src0_sel:BYTE_0 src1_sel:DWORD
	s_mov_b64 s[4:5], -1
                                        ; implicit-def: $sgpr30
	s_and_saveexec_b64 s[28:29], s[38:39]
; %bb.495:                              ;   in Loop: Header=BB272_13 Depth=1
	s_mov_b32 s30, 0x7fc02000
	s_xor_b64 s[4:5], exec, -1
; %bb.496:                              ;   in Loop: Header=BB272_13 Depth=1
	s_or_b64 exec, exec, s[28:29]
	s_and_b64 s[4:5], s[4:5], exec
	s_or_saveexec_b64 s[26:27], s[26:27]
	v_mov_b32_e32 v17, s30
	s_xor_b64 exec, exec, s[26:27]
	s_cbranch_execz .LBB272_238
.LBB272_497:                            ;   in Loop: Header=BB272_13 Depth=1
	v_cmp_ne_u16_sdwa s[28:29], v4, v9 src0_sel:BYTE_0 src1_sel:DWORD
	s_andn2_b64 s[4:5], s[4:5], exec
	s_and_b64 s[28:29], s[28:29], exec
	v_mov_b32_e32 v17, 0
	s_or_b64 s[4:5], s[4:5], s[28:29]
	s_or_b64 exec, exec, s[26:27]
	v_and_b32_e32 v8, 0xffff, v4
	s_and_saveexec_b64 s[26:27], s[4:5]
	s_cbranch_execnz .LBB272_239
	s_branch .LBB272_240
.LBB272_498:                            ;   in Loop: Header=BB272_13 Depth=1
	v_cmp_eq_u16_e64 s[4:5], s36, v8
	s_mov_b64 s[26:27], -1
                                        ; implicit-def: $sgpr38
	s_and_saveexec_b64 s[30:31], s[4:5]
; %bb.499:                              ;   in Loop: Header=BB272_13 Depth=1
	s_mov_b32 s38, 0x7fc02000
	s_xor_b64 s[26:27], exec, -1
; %bb.500:                              ;   in Loop: Header=BB272_13 Depth=1
	s_or_b64 exec, exec, s[30:31]
	s_and_b64 s[26:27], s[26:27], exec
	s_or_saveexec_b64 s[28:29], s[28:29]
	v_mov_b32_e32 v28, s38
	s_xor_b64 exec, exec, s[28:29]
	s_cbranch_execz .LBB272_242
.LBB272_501:                            ;   in Loop: Header=BB272_13 Depth=1
	v_cmp_ne_u16_e64 s[4:5], 0, v8
	s_andn2_b64 s[26:27], s[26:27], exec
	s_and_b64 s[4:5], s[4:5], exec
	v_mov_b32_e32 v28, 0
	s_or_b64 s[26:27], s[26:27], s[4:5]
	s_or_b64 exec, exec, s[28:29]
	s_and_saveexec_b64 s[28:29], s[26:27]
	s_cbranch_execnz .LBB272_243
	s_branch .LBB272_244
.LBB272_502:                            ;   in Loop: Header=BB272_13 Depth=1
	v_cmp_eq_u16_sdwa s[38:39], v4, s36 src0_sel:BYTE_0 src1_sel:DWORD
	s_mov_b64 s[4:5], -1
                                        ; implicit-def: $sgpr30
	s_and_saveexec_b64 s[28:29], s[38:39]
; %bb.503:                              ;   in Loop: Header=BB272_13 Depth=1
	s_mov_b32 s30, 0x7fc02000
	s_xor_b64 s[4:5], exec, -1
; %bb.504:                              ;   in Loop: Header=BB272_13 Depth=1
	s_or_b64 exec, exec, s[28:29]
	s_and_b64 s[4:5], s[4:5], exec
	s_or_saveexec_b64 s[26:27], s[26:27]
	v_mov_b32_e32 v29, s30
	s_xor_b64 exec, exec, s[26:27]
	s_cbranch_execz .LBB272_246
.LBB272_505:                            ;   in Loop: Header=BB272_13 Depth=1
	v_cmp_ne_u16_sdwa s[28:29], v4, v9 src0_sel:BYTE_0 src1_sel:DWORD
	s_andn2_b64 s[4:5], s[4:5], exec
	s_and_b64 s[28:29], s[28:29], exec
	v_mov_b32_e32 v29, 0
	s_or_b64 s[4:5], s[4:5], s[28:29]
	s_or_b64 exec, exec, s[26:27]
	v_and_b32_e32 v8, 0xffff, v4
	s_and_saveexec_b64 s[26:27], s[4:5]
	s_cbranch_execnz .LBB272_247
	s_branch .LBB272_248
.LBB272_506:                            ;   in Loop: Header=BB272_13 Depth=1
	v_cmp_eq_u16_e64 s[4:5], s36, v8
	s_mov_b64 s[26:27], -1
                                        ; implicit-def: $sgpr38
	s_and_saveexec_b64 s[30:31], s[4:5]
; %bb.507:                              ;   in Loop: Header=BB272_13 Depth=1
	s_mov_b32 s38, 0x7fc02000
	s_xor_b64 s[26:27], exec, -1
; %bb.508:                              ;   in Loop: Header=BB272_13 Depth=1
	s_or_b64 exec, exec, s[30:31]
	s_and_b64 s[26:27], s[26:27], exec
	s_or_saveexec_b64 s[28:29], s[28:29]
	v_mov_b32_e32 v4, s38
	s_xor_b64 exec, exec, s[28:29]
	s_cbranch_execz .LBB272_250
.LBB272_509:                            ;   in Loop: Header=BB272_13 Depth=1
	v_cmp_ne_u16_e64 s[4:5], 0, v8
	s_andn2_b64 s[26:27], s[26:27], exec
	s_and_b64 s[4:5], s[4:5], exec
	v_mov_b32_e32 v4, 0
	s_or_b64 s[26:27], s[26:27], s[4:5]
	s_or_b64 exec, exec, s[28:29]
	s_and_saveexec_b64 s[28:29], s[26:27]
	s_cbranch_execnz .LBB272_251
	s_branch .LBB272_252
.LBB272_510:                            ;   in Loop: Header=BB272_13 Depth=1
	v_cmp_eq_u16_sdwa s[38:39], v5, s36 src0_sel:BYTE_0 src1_sel:DWORD
	s_mov_b64 s[4:5], -1
                                        ; implicit-def: $sgpr30
	s_and_saveexec_b64 s[28:29], s[38:39]
; %bb.511:                              ;   in Loop: Header=BB272_13 Depth=1
	s_mov_b32 s30, 0x7fc02000
	s_xor_b64 s[4:5], exec, -1
; %bb.512:                              ;   in Loop: Header=BB272_13 Depth=1
	s_or_b64 exec, exec, s[28:29]
	s_and_b64 s[4:5], s[4:5], exec
	s_or_saveexec_b64 s[26:27], s[26:27]
	v_mov_b32_e32 v27, s30
	s_xor_b64 exec, exec, s[26:27]
	s_cbranch_execz .LBB272_254
.LBB272_513:                            ;   in Loop: Header=BB272_13 Depth=1
	v_cmp_ne_u16_sdwa s[28:29], v5, v9 src0_sel:BYTE_0 src1_sel:DWORD
	s_andn2_b64 s[4:5], s[4:5], exec
	s_and_b64 s[28:29], s[28:29], exec
	v_mov_b32_e32 v27, 0
	s_or_b64 s[4:5], s[4:5], s[28:29]
	s_or_b64 exec, exec, s[26:27]
	v_and_b32_e32 v8, 0xffff, v5
	s_and_saveexec_b64 s[26:27], s[4:5]
	s_cbranch_execnz .LBB272_255
	s_branch .LBB272_256
.LBB272_514:                            ;   in Loop: Header=BB272_13 Depth=1
	v_cmp_eq_u16_e64 s[4:5], s36, v8
	s_mov_b64 s[26:27], -1
                                        ; implicit-def: $sgpr38
	s_and_saveexec_b64 s[30:31], s[4:5]
; %bb.515:                              ;   in Loop: Header=BB272_13 Depth=1
	s_mov_b32 s38, 0x7fc02000
	s_xor_b64 s[26:27], exec, -1
; %bb.516:                              ;   in Loop: Header=BB272_13 Depth=1
	s_or_b64 exec, exec, s[30:31]
	s_and_b64 s[26:27], s[26:27], exec
	s_or_saveexec_b64 s[28:29], s[28:29]
	v_mov_b32_e32 v26, s38
	s_xor_b64 exec, exec, s[28:29]
	s_cbranch_execz .LBB272_258
.LBB272_517:                            ;   in Loop: Header=BB272_13 Depth=1
	v_cmp_ne_u16_e64 s[4:5], 0, v8
	s_andn2_b64 s[26:27], s[26:27], exec
	s_and_b64 s[4:5], s[4:5], exec
	v_mov_b32_e32 v26, 0
	s_or_b64 s[26:27], s[26:27], s[4:5]
	s_or_b64 exec, exec, s[28:29]
	s_and_saveexec_b64 s[28:29], s[26:27]
	s_cbranch_execnz .LBB272_259
	s_branch .LBB272_260
.LBB272_518:                            ;   in Loop: Header=BB272_13 Depth=1
	v_cmp_eq_u16_sdwa s[38:39], v8, s36 src0_sel:BYTE_0 src1_sel:DWORD
	s_mov_b64 s[4:5], -1
                                        ; implicit-def: $sgpr30
	s_and_saveexec_b64 s[28:29], s[38:39]
; %bb.519:                              ;   in Loop: Header=BB272_13 Depth=1
	s_mov_b32 s30, 0x7fc02000
	s_xor_b64 s[4:5], exec, -1
; %bb.520:                              ;   in Loop: Header=BB272_13 Depth=1
	s_or_b64 exec, exec, s[28:29]
	s_and_b64 s[4:5], s[4:5], exec
	s_or_saveexec_b64 s[26:27], s[26:27]
	v_mov_b32_e32 v5, s30
	s_xor_b64 exec, exec, s[26:27]
	s_cbranch_execz .LBB272_262
.LBB272_521:                            ;   in Loop: Header=BB272_13 Depth=1
	v_cmp_ne_u16_sdwa s[28:29], v8, v9 src0_sel:BYTE_0 src1_sel:DWORD
	s_andn2_b64 s[4:5], s[4:5], exec
	s_and_b64 s[28:29], s[28:29], exec
	v_mov_b32_e32 v5, 0
	s_or_b64 s[4:5], s[4:5], s[28:29]
	s_or_b64 exec, exec, s[26:27]
	v_and_b32_e32 v8, 0xffff, v8
	s_and_saveexec_b64 s[26:27], s[4:5]
	s_cbranch_execnz .LBB272_263
	s_branch .LBB272_264
.LBB272_522:                            ;   in Loop: Header=BB272_13 Depth=1
	v_cmp_eq_u16_e64 s[4:5], s36, v8
	s_mov_b64 s[26:27], -1
                                        ; implicit-def: $sgpr38
	s_and_saveexec_b64 s[30:31], s[4:5]
; %bb.523:                              ;   in Loop: Header=BB272_13 Depth=1
	s_mov_b32 s38, 0x7fc02000
	s_xor_b64 s[26:27], exec, -1
; %bb.524:                              ;   in Loop: Header=BB272_13 Depth=1
	s_or_b64 exec, exec, s[30:31]
	s_and_b64 s[26:27], s[26:27], exec
	s_or_saveexec_b64 s[28:29], s[28:29]
	v_mov_b32_e32 v47, s38
	s_xor_b64 exec, exec, s[28:29]
	s_cbranch_execz .LBB272_266
.LBB272_525:                            ;   in Loop: Header=BB272_13 Depth=1
	v_cmp_ne_u16_e64 s[4:5], 0, v8
	s_andn2_b64 s[26:27], s[26:27], exec
	s_and_b64 s[4:5], s[4:5], exec
	v_mov_b32_e32 v47, 0
	s_or_b64 s[26:27], s[26:27], s[4:5]
	s_or_b64 exec, exec, s[28:29]
	s_and_saveexec_b64 s[28:29], s[26:27]
	s_cbranch_execnz .LBB272_267
	s_branch .LBB272_268
.LBB272_526:                            ;   in Loop: Header=BB272_13 Depth=1
	v_cmp_eq_u16_sdwa s[38:39], v8, s36 src0_sel:BYTE_0 src1_sel:DWORD
	s_mov_b64 s[4:5], -1
                                        ; implicit-def: $sgpr30
	s_and_saveexec_b64 s[28:29], s[38:39]
; %bb.527:                              ;   in Loop: Header=BB272_13 Depth=1
	s_mov_b32 s30, 0x7fc02000
	s_xor_b64 s[4:5], exec, -1
; %bb.528:                              ;   in Loop: Header=BB272_13 Depth=1
	s_or_b64 exec, exec, s[28:29]
	s_and_b64 s[4:5], s[4:5], exec
	s_or_saveexec_b64 s[26:27], s[26:27]
	v_mov_b32_e32 v38, s30
	s_xor_b64 exec, exec, s[26:27]
	s_cbranch_execz .LBB272_270
.LBB272_529:                            ;   in Loop: Header=BB272_13 Depth=1
	v_cmp_ne_u16_sdwa s[28:29], v8, v9 src0_sel:BYTE_0 src1_sel:DWORD
	s_andn2_b64 s[4:5], s[4:5], exec
	s_and_b64 s[28:29], s[28:29], exec
	v_mov_b32_e32 v38, 0
	s_or_b64 s[4:5], s[4:5], s[28:29]
	s_or_b64 exec, exec, s[26:27]
	v_and_b32_e32 v8, 0xffff, v8
	s_and_saveexec_b64 s[26:27], s[4:5]
	s_cbranch_execnz .LBB272_271
	s_branch .LBB272_272
.LBB272_530:
	s_or_b64 exec, exec, s[24:25]
	scratch_load_dword v22, off, s32 offset:208 ; 4-byte Folded Reload
	scratch_load_dword v1, off, s32 offset:200 ; 4-byte Folded Reload
	v_accvgpr_read_b32 v14, a16
	v_accvgpr_read_b32 v25, a21
	v_accvgpr_read_b32 v27, a23
	v_accvgpr_read_b32 v37, a25
	v_accvgpr_read_b32 v49, a27
	v_accvgpr_read_b32 v28, a30
	v_accvgpr_read_b32 v15, a17
	v_accvgpr_read_b32 v30, a18
	v_accvgpr_read_b32 v24, a20
	v_accvgpr_read_b32 v26, a22
	v_accvgpr_read_b32 v36, a24
	v_accvgpr_read_b32 v48, a26
	v_accvgpr_read_b32 v21, a19
	v_accvgpr_read_b32 v29, a31
	v_accvgpr_read_b32 v23, a29
	v_accvgpr_read_b32 v4, a35
.LBB272_531:
	s_or_b64 exec, exec, s[8:9]
	v_mbcnt_hi_u32_b32 v2, -1, v4
	v_and_b32_e32 v0, 64, v2
	v_add_u32_e32 v3, 64, v0
	v_xor_b32_e32 v0, 32, v2
	v_cmp_lt_i32_e32 vcc, v0, v3
	v_xor_b32_e32 v5, 16, v2
	v_xor_b32_e32 v6, 8, v2
	v_cndmask_b32_e32 v0, v2, v0, vcc
	v_lshlrev_b32_e32 v4, 2, v0
	s_waitcnt vmcnt(0)
	ds_bpermute_b32 v0, v4, v1
	v_max_f32_e32 v1, v1, v1
	v_cmp_lt_i32_e32 vcc, v5, v3
	s_waitcnt lgkmcnt(0)
	s_lshr_b32 s24, s34, 16
	v_max_f32_e32 v0, v0, v0
	v_max_f32_e32 v0, v1, v0
	v_cndmask_b32_e32 v1, v2, v5, vcc
	v_lshlrev_b32_e32 v5, 2, v1
	ds_bpermute_b32 v1, v5, v0
	v_cmp_lt_i32_e32 vcc, v6, v3
	s_waitcnt lgkmcnt(0)
	v_max_f32_e32 v1, v1, v1
	v_max_f32_e32 v0, v0, v1
	v_cndmask_b32_e32 v1, v2, v6, vcc
	v_lshlrev_b32_e32 v8, 2, v1
	ds_bpermute_b32 v1, v8, v0
	v_xor_b32_e32 v6, 4, v2
	v_cmp_lt_i32_e32 vcc, v6, v3
	s_waitcnt lgkmcnt(0)
	v_max_f32_e32 v1, v1, v1
	v_max_f32_e32 v0, v0, v1
	v_cndmask_b32_e32 v1, v2, v6, vcc
	v_lshlrev_b32_e32 v10, 2, v1
	ds_bpermute_b32 v1, v10, v0
	v_accvgpr_read_b32 v6, a2
	v_and_b32_e32 v20, 63, v6
	v_cmp_eq_u32_e32 vcc, 0, v20
	v_lshlrev_b32_e32 v6, 2, v21
	s_and_saveexec_b64 s[2:3], vcc
	s_cbranch_execz .LBB272_533
; %bb.532:
	s_waitcnt lgkmcnt(0)
	v_max_f32_e32 v1, v1, v1
	v_max_f32_e32 v0, v0, v0
	;; [unrolled: 1-line block ×3, first 2 shown]
	ds_write_b32 v6, v0 offset:512
.LBB272_533:
	s_or_b64 exec, exec, s[2:3]
	v_cmp_gt_u32_e64 s[2:3], 2, v20
	v_mov_b32_e32 v0, 0xff7fffff
	v_lshlrev_b32_e32 v7, 2, v20
	s_waitcnt lgkmcnt(0)
	s_barrier
	s_and_saveexec_b64 s[4:5], s[2:3]
	s_cbranch_execz .LBB272_535
; %bb.534:
	ds_read_b32 v0, v7 offset:512
.LBB272_535:
	s_or_b64 exec, exec, s[4:5]
	v_xor_b32_e32 v1, 1, v2
	v_cmp_lt_i32_e64 s[4:5], v1, v3
	v_accvgpr_read_b32 v9, a11
	v_subrev_u32_e32 v9, s19, v9
	v_cndmask_b32_e64 v1, v2, v1, s[4:5]
	v_lshlrev_b32_e32 v53, 2, v1
	s_waitcnt lgkmcnt(0)
	ds_bpermute_b32 v1, v53, v0
	v_max_f32_e32 v0, v0, v0
	v_lshl_add_u32 v9, v9, 4, s21
	v_accvgpr_read_b32 v12, a8
	v_min_i32_e32 v9, v9, v12
	s_waitcnt lgkmcnt(0)
	v_max_f32_e32 v1, v1, v1
	v_max_f32_e32 v0, v0, v1
	v_lshlrev_b32_e32 v1, 2, v2
	v_and_b32_e32 v11, 0x100, v1
	ds_bpermute_b32 v0, v11, v0
	v_subrev_u32_e32 v1, s21, v9
	v_accvgpr_read_b32 v12, a2
	v_cmp_lt_i32_e64 s[4:5], v12, v1
	v_mov_b32_e32 v12, 0
	s_and_saveexec_b64 s[8:9], s[4:5]
	s_cbranch_execz .LBB272_539
; %bb.536:
	s_ashr_i32 s11, s10, 31
	s_lshl_b64 s[6:7], s[10:11], 2
	s_getpc_b64 s[22:23]
	s_add_u32 s22, s22, llvm.amdgcn.dynlds.offset.table@rel32@lo+4
	s_addc_u32 s23, s23, llvm.amdgcn.dynlds.offset.table@rel32@hi+12
	s_add_u32 s6, s6, s22
	s_addc_u32 s7, s7, s23
	s_load_dword s6, s[6:7], 0x0
	v_accvgpr_read_b32 v16, a2
	s_mov_b64 s[22:23], 0
	v_mov_b32_e32 v12, 0
	s_waitcnt lgkmcnt(0)
	v_lshl_add_u32 v13, v16, 2, s6
.LBB272_537:                            ; =>This Inner Loop Header: Depth=1
	ds_read_b32 v17, v13
	v_add_u32_e32 v16, 0x80, v16
	v_cmp_ge_i32_e64 s[6:7], v16, v1
	s_or_b64 s[22:23], s[6:7], s[22:23]
	s_waitcnt lgkmcnt(0)
	v_sub_f32_e32 v17, v17, v0
	v_mul_f32_e32 v17, 0x3fb8aa3b, v17
	v_exp_f32_e32 v17, v17
	ds_write_b32 v13, v17
	v_add_f32_e32 v12, v12, v17
	v_add_u32_e32 v13, 0x200, v13
	s_andn2_b64 exec, exec, s[22:23]
	s_cbranch_execnz .LBB272_537
; %bb.538:
	s_or_b64 exec, exec, s[22:23]
.LBB272_539:
	s_or_b64 exec, exec, s[8:9]
	ds_bpermute_b32 v4, v4, v12
	s_waitcnt lgkmcnt(0)
	v_add_f32_e32 v4, v12, v4
	ds_bpermute_b32 v5, v5, v4
	s_waitcnt lgkmcnt(0)
	v_add_f32_e32 v4, v4, v5
	ds_bpermute_b32 v5, v8, v4
	v_xor_b32_e32 v8, 2, v2
	v_cmp_lt_i32_e64 s[6:7], v8, v3
	s_waitcnt lgkmcnt(0)
	v_add_f32_e32 v4, v4, v5
	ds_bpermute_b32 v5, v10, v4
	v_cndmask_b32_e64 v2, v2, v8, s[6:7]
	v_lshlrev_b32_e32 v2, 2, v2
	s_waitcnt lgkmcnt(0)
	v_add_f32_e32 v3, v4, v5
	ds_bpermute_b32 v2, v2, v3
	s_waitcnt lgkmcnt(0)
	v_add_f32_e32 v2, v3, v2
	ds_bpermute_b32 v3, v53, v2
	s_waitcnt lgkmcnt(0)
	v_add_f32_e32 v2, v2, v3
	s_and_saveexec_b64 s[6:7], vcc
	s_cbranch_execz .LBB272_541
; %bb.540:
	ds_write_b32 v6, v2 offset:520
.LBB272_541:
	s_or_b64 exec, exec, s[6:7]
	s_waitcnt lgkmcnt(0)
	s_barrier
	s_and_saveexec_b64 s[6:7], s[2:3]
	s_cbranch_execz .LBB272_543
; %bb.542:
	ds_read_b32 v2, v7 offset:520
.LBB272_543:
	s_or_b64 exec, exec, s[6:7]
	s_waitcnt lgkmcnt(0)
	ds_bpermute_b32 v3, v53, v2
	s_waitcnt lgkmcnt(0)
	v_add_f32_e32 v2, v2, v3
	ds_bpermute_b32 v2, v11, v2
	s_and_saveexec_b64 s[2:3], s[4:5]
	s_cbranch_execz .LBB272_556
; %bb.544:
	s_waitcnt lgkmcnt(0)
	v_add_f32_e32 v3, 0x358637bd, v2
	v_div_scale_f32 v4, s[4:5], v3, v3, 1.0
	v_rcp_f32_e32 v5, v4
	v_div_scale_f32 v6, vcc, 1.0, v3, 1.0
	s_movk_i32 s4, 0x7f
	v_fma_f32 v7, -v4, v5, 1.0
	v_fmac_f32_e32 v5, v7, v5
	v_mul_f32_e32 v7, v6, v5
	v_fma_f32 v8, -v4, v7, v6
	v_fmac_f32_e32 v7, v8, v5
	v_fma_f32 v4, -v4, v7, v6
	v_div_fmas_f32 v4, v4, v5, v7
	v_accvgpr_read_b32 v6, a2
	v_div_fixup_f32 v8, v4, v3, 1.0
	v_xad_u32 v3, v6, -1, v9
	v_subrev_u32_e32 v4, s21, v3
	v_cmp_lt_u32_e32 vcc, s4, v4
	s_mov_b64 s[6:7], -1
	v_accvgpr_read_b32 v3, a2
	s_and_saveexec_b64 s[4:5], vcc
	s_cbranch_execz .LBB272_553
; %bb.545:
	v_lshrrev_b32_e32 v3, 7, v4
	v_add_u32_e32 v5, -1, v3
	v_lshrrev_b32_e32 v4, 1, v5
	v_mov_b32_e32 v9, v8
	v_add_u32_e32 v4, 1, v4
	v_cmp_lt_u32_e32 vcc, 13, v5
	v_mov_b32_e32 v7, 0
	s_and_saveexec_b64 s[6:7], vcc
	s_cbranch_execz .LBB272_549
; %bb.546:
	s_ashr_i32 s11, s10, 31
	s_lshl_b64 s[8:9], s[10:11], 2
	s_getpc_b64 s[22:23]
	s_add_u32 s22, s22, llvm.amdgcn.dynlds.offset.table@rel32@lo+4
	s_addc_u32 s23, s23, llvm.amdgcn.dynlds.offset.table@rel32@hi+12
	s_add_u32 s8, s8, s22
	s_addc_u32 s9, s9, s23
	s_load_dword s8, s[8:9], 0x0
	v_accvgpr_read_b32 v6, a2
	v_and_b32_e32 v5, -8, v4
	s_mov_b32 s11, 0
	s_waitcnt lgkmcnt(0)
	v_lshl_add_u32 v6, v6, 2, s8
	s_mov_b64 s[8:9], 0
.LBB272_547:                            ; =>This Inner Loop Header: Depth=1
	ds_read2st64_b32 v[10:11], v6 offset1:2
	ds_read2st64_b32 v[12:13], v6 offset0:4 offset1:6
	ds_read2st64_b32 v[18:19], v6 offset0:8 offset1:10
	;; [unrolled: 1-line block ×3, first 2 shown]
	v_add_u32_e32 v5, -8, v5
	s_waitcnt lgkmcnt(3)
	v_pk_mul_f32 v[10:11], v[8:9], v[10:11]
	s_waitcnt lgkmcnt(2)
	v_pk_mul_f32 v[12:13], v[8:9], v[12:13]
	ds_write2st64_b32 v6, v10, v11 offset1:2
	ds_write2st64_b32 v6, v12, v13 offset0:4 offset1:6
	ds_read2st64_b32 v[12:13], v6 offset0:16 offset1:18
	s_waitcnt lgkmcnt(4)
	v_pk_mul_f32 v[10:11], v[8:9], v[18:19]
	ds_write2st64_b32 v6, v10, v11 offset0:8 offset1:10
	s_waitcnt lgkmcnt(4)
	v_pk_mul_f32 v[10:11], v[8:9], v[16:17]
	ds_write2st64_b32 v6, v10, v11 offset0:12 offset1:14
	ds_read2st64_b32 v[10:11], v6 offset0:20 offset1:22
	s_waitcnt lgkmcnt(3)
	v_pk_mul_f32 v[12:13], v[8:9], v[12:13]
	ds_read2st64_b32 v[16:17], v6 offset0:24 offset1:26
	ds_write2st64_b32 v6, v12, v13 offset0:16 offset1:18
	ds_read2st64_b32 v[12:13], v6 offset0:28 offset1:30
	s_waitcnt lgkmcnt(3)
	v_pk_mul_f32 v[10:11], v[8:9], v[10:11]
	ds_write2st64_b32 v6, v10, v11 offset0:20 offset1:22
	s_waitcnt lgkmcnt(3)
	v_pk_mul_f32 v[10:11], v[8:9], v[16:17]
	ds_write2st64_b32 v6, v10, v11 offset0:24 offset1:26
	s_waitcnt lgkmcnt(2)
	v_pk_mul_f32 v[10:11], v[8:9], v[12:13]
	s_add_i32 s11, s11, 16
	v_cmp_eq_u32_e32 vcc, 0, v5
	ds_write2st64_b32 v6, v10, v11 offset0:28 offset1:30
	v_add_u32_e32 v6, 0x2000, v6
	s_or_b64 s[8:9], vcc, s[8:9]
	v_mov_b32_e32 v7, s11
	s_andn2_b64 exec, exec, s[8:9]
	s_cbranch_execnz .LBB272_547
; %bb.548:
	s_or_b64 exec, exec, s[8:9]
.LBB272_549:
	s_or_b64 exec, exec, s[6:7]
	v_and_b32_e32 v4, 7, v4
	v_cmp_ne_u32_e32 vcc, 0, v4
	s_and_saveexec_b64 s[6:7], vcc
	s_cbranch_execz .LBB272_552
; %bb.550:
	s_ashr_i32 s11, s10, 31
	s_lshl_b64 s[8:9], s[10:11], 2
	s_getpc_b64 s[22:23]
	s_add_u32 s22, s22, llvm.amdgcn.dynlds.offset.table@rel32@lo+4
	s_addc_u32 s23, s23, llvm.amdgcn.dynlds.offset.table@rel32@hi+12
	s_add_u32 s8, s8, s22
	s_addc_u32 s9, s9, s23
	s_load_dword s8, s[8:9], 0x0
	v_accvgpr_read_b32 v6, a2
	v_lshlrev_b32_e32 v5, 9, v7
	v_lshlrev_b32_e32 v6, 2, v6
	s_waitcnt lgkmcnt(0)
	v_add3_u32 v5, v5, v6, s8
	s_mov_b64 s[8:9], 0
.LBB272_551:                            ; =>This Inner Loop Header: Depth=1
	ds_read2st64_b32 v[6:7], v5 offset1:2
	v_add_u32_e32 v4, -1, v4
	v_cmp_eq_u32_e32 vcc, 0, v4
	s_or_b64 s[8:9], vcc, s[8:9]
	s_waitcnt lgkmcnt(0)
	v_pk_mul_f32 v[6:7], v[8:9], v[6:7]
	ds_write2st64_b32 v5, v6, v7 offset1:2
	v_add_u32_e32 v5, 0x400, v5
	s_andn2_b64 exec, exec, s[8:9]
	s_cbranch_execnz .LBB272_551
.LBB272_552:
	s_or_b64 exec, exec, s[6:7]
	v_add_u32_e32 v4, 1, v3
	v_and_b32_e32 v5, 0x3fffffe, v4
	v_accvgpr_read_b32 v6, a2
	v_cmp_ne_u32_e32 vcc, v4, v5
	v_lshl_add_u32 v3, v5, 7, v6
	s_orn2_b64 s[6:7], vcc, exec
.LBB272_553:
	s_or_b64 exec, exec, s[4:5]
	s_and_b64 exec, exec, s[6:7]
	s_cbranch_execz .LBB272_556
; %bb.554:
	s_ashr_i32 s11, s10, 31
	s_lshl_b64 s[4:5], s[10:11], 2
	s_getpc_b64 s[6:7]
	s_add_u32 s6, s6, llvm.amdgcn.dynlds.offset.table@rel32@lo+4
	s_addc_u32 s7, s7, llvm.amdgcn.dynlds.offset.table@rel32@hi+12
	s_add_u32 s4, s4, s6
	s_addc_u32 s5, s5, s7
	s_load_dword s4, s[4:5], 0x0
	s_waitcnt lgkmcnt(0)
	v_lshl_add_u32 v4, v3, 2, s4
	s_mov_b64 s[4:5], 0
.LBB272_555:                            ; =>This Inner Loop Header: Depth=1
	ds_read_b32 v5, v4
	v_add_u32_e32 v3, 0x80, v3
	v_cmp_ge_i32_e32 vcc, v3, v1
	s_or_b64 s[4:5], vcc, s[4:5]
	s_waitcnt lgkmcnt(0)
	v_mul_f32_e32 v5, v8, v5
	ds_write_b32 v4, v5
	v_add_u32_e32 v4, 0x200, v4
	s_andn2_b64 exec, exec, s[4:5]
	s_cbranch_execnz .LBB272_555
.LBB272_556:
	s_or_b64 exec, exec, s[2:3]
	v_cmp_ne_u16_e64 s[2:3], s24, 0
	s_cmp_lg_u64 s[2:3], 0
	s_addc_u32 s19, s13, 0
	v_accvgpr_read_b32 v4, a2
	s_mul_i32 s2, s19, s20
	v_cmp_eq_u32_e32 vcc, 0, v4
	s_mul_i32 s2, s2, s15
	s_waitcnt lgkmcnt(0)
	s_barrier
	s_and_saveexec_b64 s[4:5], vcc
	s_cbranch_execz .LBB272_558
; %bb.557:
	s_mul_i32 s8, s19, s12
	s_ashr_i32 s3, s2, 31
	s_ashr_i32 s9, s8, 31
	;; [unrolled: 1-line block ×3, first 2 shown]
	s_lshl_b64 s[6:7], s[2:3], 2
	s_lshl_b64 s[8:9], s[8:9], 2
	;; [unrolled: 1-line block ×3, first 2 shown]
	s_add_u32 s3, s12, s8
	s_addc_u32 s8, s13, s9
	s_add_u32 s6, s3, s6
	s_addc_u32 s7, s8, s7
	v_lshl_add_u64 v[4:5], s[6:7], 0, v[36:37]
	flat_store_dword v[4:5], v0
	v_lshl_add_u64 v[0:1], s[6:7], 0, v[26:27]
	flat_store_dword v[0:1], v2
.LBB272_558:
	s_or_b64 exec, exec, s[4:5]
	s_ashr_i32 s11, s10, 31
	s_lshl_b64 s[4:5], s[10:11], 2
	s_getpc_b64 s[6:7]
	s_add_u32 s6, s6, llvm.amdgcn.dynlds.offset.table@rel32@lo+4
	s_addc_u32 s7, s7, llvm.amdgcn.dynlds.offset.table@rel32@hi+12
	s_add_u32 s12, s4, s6
	v_accvgpr_read_b32 v0, a2
	s_addc_u32 s13, s5, s7
	s_mov_b32 s4, 0
	v_mov_b32_e32 v39, 0
	v_and_b32_e32 v12, 1, v0
	v_mov_b32_e32 v38, 0
	v_mov_b32_e32 v37, 0
	;; [unrolled: 1-line block ×7, first 2 shown]
	s_and_saveexec_b64 s[20:21], s[0:1]
	s_cbranch_execz .LBB272_1092
; %bb.559:
	v_max_i32_e32 v55, v30, v23
	v_cvt_f32_u32_e32 v0, v55
	v_accvgpr_read_b32 v2, a2
	v_lshlrev_b32_e32 v2, 3, v2
	s_load_dword s0, s[12:13], 0x0
	v_rcp_iflag_f32_e32 v0, v0
	v_lshl_add_u64 v[4:5], v[24:25], 0, v[28:29]
	v_mov_b32_e32 v1, 0
	v_and_b32_e32 v41, 8, v2
	v_mul_f32_e32 v0, 0x4f7ffffe, v0
	v_cvt_u32_f32_e32 v6, v0
	v_and_b32_e32 v0, 0x1f8, v2
	v_lshl_add_u64 v[8:9], v[4:5], 0, v[0:1]
	v_accvgpr_read_b32 v4, a12
	v_sub_u32_e32 v2, 0, v55
	v_accvgpr_read_b32 v5, a13
	v_mul_lo_u32 v2, v2, v6
	v_lshlrev_b64 v[4:5], 2, v[4:5]
	v_lshlrev_b32_e32 v0, 5, v12
	s_mov_b32 s10, s4
	s_mov_b32 s11, s4
	v_mul_hi_u32 v2, v6, v2
	v_lshl_add_u64 v[4:5], v[48:49], 2, v[4:5]
	v_lshl_or_b32 v0, v21, 6, v0
	s_mov_b32 s5, s4
	s_mov_b32 s6, s4
	;; [unrolled: 1-line block ×5, first 2 shown]
	v_mov_b64_e32 v[38:39], s[10:11]
	v_accvgpr_write_b32 a16, v20
	v_add_u32_e32 v54, -1, v22
	v_accvgpr_read_b32 v3, a8
	v_add_u32_e32 v2, v6, v2
	v_lshl_add_u64 v[10:11], v[14:15], 0, v[4:5]
	v_accvgpr_write_b32 a17, v12
	s_waitcnt lgkmcnt(0)
	v_add_u32_e32 v19, s0, v0
	s_mov_b64 s[22:23], 0
	v_mov_b64_e32 v[36:37], s[8:9]
	v_mov_b64_e32 v[34:35], s[6:7]
	;; [unrolled: 1-line block ×3, first 2 shown]
	s_movk_i32 s3, 0x7f
	s_movk_i32 s15, 0x80
	s_mov_b32 s24, 0x8000
	s_movk_i32 s25, 0x380
	s_mov_b32 s26, 0x3020706
	s_mov_b32 s27, 0x1000504
	;; [unrolled: 1-line block ×3, first 2 shown]
	v_mov_b32_e32 v48, 0x1c00
	v_accvgpr_read_b32 v5, a15
	s_branch .LBB272_562
.LBB272_560:                            ;   in Loop: Header=BB272_562 Depth=1
	s_or_b64 exec, exec, s[0:1]
	v_add_f32_e32 v4, v4, v5
	v_add_f32_e32 v34, v34, v4
	;; [unrolled: 1-line block ×10, first 2 shown]
	;;#ASMSTART
	v_pk_mul_f16 v4, v60, v15;

	;;#ASMEND
	;;#ASMSTART
	v_pk_mul_f16 v0, v59, v0;

	;;#ASMEND
	;; [unrolled: 4-line block ×4, first 2 shown]
	v_add_f32_e32 v14, v61, v62
	;;#ASMSTART
	v_pk_add_f16 v0, v4, v0;

	;;#ASMEND
	v_add_f32_e32 v32, v32, v14
	;;#ASMSTART
	v_pk_add_f16 v0, v0, v5;

	;;#ASMEND
	;; [unrolled: 5-line block ×3, first 2 shown]
	v_add_f32_e32 v33, v33, v14
	v_lshrrev_b32_e32 v4, 16, v0
	v_and_b32_e32 v0, 0xffff, v0
	;;#ASMSTART
	v_cvt_f32_f16 v0, v0;
	;;#ASMEND
	;;#ASMSTART
	v_cvt_f32_f16 v4, v4;
	;;#ASMEND
	s_nop 0
	v_add_f32_e32 v0, v0, v4
	v_add_f32_e32 v39, v39, v0
.LBB272_561:                            ;   in Loop: Header=BB272_562 Depth=1
	s_or_b64 exec, exec, s[4:5]
	v_accvgpr_read_b32 v4, a12
	v_add_u32_e32 v4, 2, v4
	v_accvgpr_read_b32 v0, a11
	v_accvgpr_read_b32 v5, a13
	v_cmp_ge_i32_e32 vcc, v4, v0
	v_lshl_add_u64 v[10:11], v[10:11], 0, 8
	v_add_u32_e32 v5, 32, v5
	v_accvgpr_write_b32 a12, v4
	s_or_b64 s[22:23], vcc, s[22:23]
	v_add_u32_e32 v19, 0x80, v19
	s_andn2_b64 exec, exec, s[22:23]
	s_cbranch_execz .LBB272_1091
.LBB272_562:                            ; =>This Inner Loop Header: Depth=1
	v_ashrrev_i32_e32 v0, 31, v5
	v_accvgpr_read_b32 v4, a9
	v_xor_b32_e32 v0, v0, v4
	v_sub_u32_e32 v4, 0, v5
	v_accvgpr_write_b32 a13, v5
	v_max_i32_e32 v4, v5, v4
	v_accvgpr_read_b32 v5, a7
	v_mul_hi_u32 v5, v4, v5
	v_accvgpr_read_b32 v7, a3
	v_mul_lo_u32 v6, v5, v7
	v_sub_u32_e32 v4, v4, v6
	v_add_u32_e32 v6, 1, v5
	v_cmp_ge_u32_e32 vcc, v4, v7
	s_nop 1
	v_cndmask_b32_e32 v5, v5, v6, vcc
	v_sub_u32_e32 v6, v4, v7
	v_cndmask_b32_e32 v4, v4, v6, vcc
	v_add_u32_e32 v6, 1, v5
	v_cmp_ge_u32_e32 vcc, v4, v7
	s_nop 1
	v_cndmask_b32_e32 v4, v5, v6, vcc
	v_xor_b32_e32 v4, v4, v0
	v_sub_u32_e32 v0, v4, v0
	v_accvgpr_read_b32 v4, a10
	v_add_u32_e32 v4, v0, v4
	v_sub_u32_e32 v6, 0, v4
	v_ashrrev_i32_e32 v5, 31, v4
	v_max_i32_e32 v4, v4, v6
	v_mul_hi_u32 v6, v4, v2
	v_mul_lo_u32 v6, v6, v55
	v_sub_u32_e32 v4, v4, v6
	v_sub_u32_e32 v6, v4, v55
	v_cmp_ge_u32_e32 vcc, v4, v55
	s_nop 1
	v_cndmask_b32_e32 v4, v4, v6, vcc
	v_sub_u32_e32 v6, v4, v55
	v_cmp_ge_u32_e32 vcc, v4, v55
	s_nop 1
	v_cndmask_b32_e32 v4, v4, v6, vcc
	v_xor_b32_e32 v4, v4, v5
	v_sub_u32_e32 v4, v4, v5
	v_cmp_eq_u32_e32 vcc, 0, v4
	v_accvgpr_read_b32 v4, a14
	v_cmp_gt_i32_e64 s[0:1], v0, v4
	s_or_b64 s[0:1], vcc, s[0:1]
	s_and_saveexec_b64 s[4:5], s[0:1]
	s_cbranch_execz .LBB272_561
; %bb.563:                              ;   in Loop: Header=BB272_562 Depth=1
	ds_read2_b64 v[4:7], v19 offset1:1
	ds_read2_b64 v[24:27], v19 offset0:2 offset1:3
	v_accvgpr_read_b32 v12, a6
	v_accvgpr_read_b32 v23, a5
	;; [unrolled: 1-line block ×3, first 2 shown]
	s_waitcnt lgkmcnt(0)
	;;#ASMSTART
	v_cvt_f16_f32 v4, v4;

	;;#ASMEND
	;;#ASMSTART
	v_cvt_f16_f32 v5, v5;

	;;#ASMEND
	;; [unrolled: 4-line block ×8, first 2 shown]
	flat_load_dword v0, v[10:11]
	flat_load_dword v14, v[22:23]
                                        ; implicit-def: $sgpr10
	s_waitcnt vmcnt(0) lgkmcnt(0)
	v_mad_i64_i32 v[12:13], s[0:1], v0, v12, v[8:9]
	flat_load_dwordx2 v[24:25], v[12:13]
	s_mov_b64 s[0:1], 0
	s_waitcnt vmcnt(0) lgkmcnt(0)
	v_cmp_gt_i16_sdwa s[6:7], v24, s3 src0_sel:BYTE_0 src1_sel:DWORD
	s_and_saveexec_b64 s[8:9], s[6:7]
	s_xor_b64 s[6:7], exec, s[8:9]
	s_cbranch_execnz .LBB272_835
; %bb.564:                              ;   in Loop: Header=BB272_562 Depth=1
	s_or_saveexec_b64 s[6:7], s[6:7]
	v_mov_b32_e32 v28, s10
	s_xor_b64 exec, exec, s[6:7]
	s_cbranch_execnz .LBB272_838
.LBB272_565:                            ;   in Loop: Header=BB272_562 Depth=1
	s_or_b64 exec, exec, s[6:7]
	s_and_saveexec_b64 s[6:7], s[0:1]
	s_cbranch_execz .LBB272_567
.LBB272_566:                            ;   in Loop: Header=BB272_562 Depth=1
	v_and_b32_e32 v0, 7, v24
	v_ffbh_u32_e32 v0, v0
	v_bfe_u32 v18, v24, 3, 4
	v_min_u32_e32 v0, 32, v0
	v_subrev_u32_e32 v20, 28, v0
	v_sub_u32_e32 v0, 29, v0
	v_cmp_eq_u32_e32 vcc, 0, v18
	s_nop 1
	v_cndmask_b32_e32 v0, v18, v0, vcc
	v_cndmask_b32_e32 v18, 0, v20, vcc
	v_lshlrev_b64 v[26:27], v18, v[24:25]
	v_lshlrev_b32_e32 v20, 8, v24
	v_lshl_add_u32 v0, v0, 10, v48
	v_lshlrev_b32_e32 v18, 7, v26
	v_and_or_b32 v0, v20, s24, v0
	v_and_or_b32 v0, v18, s25, v0
	v_cvt_f32_f16_e32 v28, v0
.LBB272_567:                            ;   in Loop: Header=BB272_562 Depth=1
	s_or_b64 exec, exec, s[6:7]
	v_lshrrev_b16_e32 v0, 8, v24
	v_cmp_lt_i16_e32 vcc, s3, v0
	s_mov_b64 s[0:1], 0
                                        ; implicit-def: $sgpr10
	s_and_saveexec_b64 s[6:7], vcc
	s_xor_b64 s[6:7], exec, s[6:7]
	s_cbranch_execnz .LBB272_839
; %bb.568:                              ;   in Loop: Header=BB272_562 Depth=1
	s_or_saveexec_b64 s[6:7], s[6:7]
	v_mov_b32_e32 v30, s10
	s_xor_b64 exec, exec, s[6:7]
	s_cbranch_execnz .LBB272_842
.LBB272_569:                            ;   in Loop: Header=BB272_562 Depth=1
	s_or_b64 exec, exec, s[6:7]
	s_and_saveexec_b64 s[6:7], s[0:1]
	s_cbranch_execz .LBB272_571
.LBB272_570:                            ;   in Loop: Header=BB272_562 Depth=1
	v_and_b32_e32 v18, 7, v0
	v_ffbh_u32_e32 v22, v18
	v_bfe_u32 v20, v0, 3, 4
	v_min_u32_e32 v22, 32, v22
	v_subrev_u32_e32 v23, 28, v22
	v_sub_u32_e32 v22, 29, v22
	v_cmp_eq_u32_e32 vcc, 0, v20
	v_lshlrev_b64 v[26:27], v23, v[0:1]
	v_and_b32_e32 v23, 7, v26
	v_cndmask_b32_e32 v20, v20, v22, vcc
	v_lshlrev_b32_e32 v0, 8, v0
	v_lshl_add_u32 v20, v20, 10, v48
	v_cndmask_b32_e32 v18, v18, v23, vcc
	v_and_or_b32 v0, v0, s24, v20
	v_lshl_or_b32 v0, v18, 7, v0
	v_cvt_f32_f16_e32 v30, v0
.LBB272_571:                            ;   in Loop: Header=BB272_562 Depth=1
	s_or_b64 exec, exec, s[6:7]
	v_lshrrev_b32_e32 v0, 16, v24
	v_cmp_gt_i16_sdwa s[6:7], v0, s3 src0_sel:BYTE_0 src1_sel:DWORD
	s_mov_b64 s[0:1], 0
                                        ; implicit-def: $sgpr10
	s_and_saveexec_b64 s[8:9], s[6:7]
	s_xor_b64 s[6:7], exec, s[8:9]
	s_cbranch_execnz .LBB272_843
; %bb.572:                              ;   in Loop: Header=BB272_562 Depth=1
	s_or_saveexec_b64 s[6:7], s[6:7]
	v_mov_b32_e32 v29, s10
	s_xor_b64 exec, exec, s[6:7]
	s_cbranch_execnz .LBB272_846
.LBB272_573:                            ;   in Loop: Header=BB272_562 Depth=1
	s_or_b64 exec, exec, s[6:7]
	s_and_saveexec_b64 s[6:7], s[0:1]
	s_cbranch_execz .LBB272_575
.LBB272_574:                            ;   in Loop: Header=BB272_562 Depth=1
	v_bfe_u32 v18, v24, 16, 3
	v_ffbh_u32_e32 v22, v18
	v_bfe_u32 v20, v24, 19, 4
	v_min_u32_e32 v22, 32, v22
	v_subrev_u32_e32 v23, 28, v22
	v_sub_u32_e32 v22, 29, v22
	v_cmp_eq_u32_e32 vcc, 0, v20
	v_lshlrev_b64 v[26:27], v23, v[0:1]
	v_and_b32_e32 v23, 7, v26
	v_cndmask_b32_e32 v20, v20, v22, vcc
	v_lshlrev_b32_e32 v0, 8, v0
	v_lshl_add_u32 v20, v20, 10, v48
	v_cndmask_b32_e32 v18, v18, v23, vcc
	v_and_or_b32 v0, v0, s24, v20
	v_lshl_or_b32 v0, v18, 7, v0
	v_cvt_f32_f16_e32 v29, v0
.LBB272_575:                            ;   in Loop: Header=BB272_562 Depth=1
	s_or_b64 exec, exec, s[6:7]
	v_lshrrev_b32_e32 v0, 24, v24
	v_cmp_lt_i16_e32 vcc, s3, v0
	s_mov_b64 s[0:1], 0
                                        ; implicit-def: $sgpr10
	s_and_saveexec_b64 s[6:7], vcc
	s_xor_b64 s[6:7], exec, s[6:7]
	s_cbranch_execnz .LBB272_847
; %bb.576:                              ;   in Loop: Header=BB272_562 Depth=1
	s_or_saveexec_b64 s[6:7], s[6:7]
	v_mov_b32_e32 v31, s10
	s_xor_b64 exec, exec, s[6:7]
	s_cbranch_execnz .LBB272_850
.LBB272_577:                            ;   in Loop: Header=BB272_562 Depth=1
	s_or_b64 exec, exec, s[6:7]
	s_and_saveexec_b64 s[6:7], s[0:1]
	s_cbranch_execz .LBB272_579
.LBB272_578:                            ;   in Loop: Header=BB272_562 Depth=1
	v_bfe_u32 v18, v24, 24, 3
	v_ffbh_u32_e32 v22, v18
	v_bfe_u32 v20, v24, 27, 4
	v_min_u32_e32 v22, 32, v22
	v_subrev_u32_e32 v23, 28, v22
	v_sub_u32_e32 v22, 29, v22
	v_cmp_eq_u32_e32 vcc, 0, v20
	v_lshlrev_b64 v[26:27], v23, v[0:1]
	v_and_b32_e32 v23, 7, v26
	v_cndmask_b32_e32 v20, v20, v22, vcc
	v_lshlrev_b32_e32 v0, 8, v0
	v_lshl_add_u32 v20, v20, 10, v48
	v_cndmask_b32_e32 v18, v18, v23, vcc
	v_and_or_b32 v0, v0, s24, v20
	v_lshl_or_b32 v0, v18, 7, v0
	v_cvt_f32_f16_e32 v31, v0
.LBB272_579:                            ;   in Loop: Header=BB272_562 Depth=1
	s_or_b64 exec, exec, s[6:7]
	v_cmp_gt_i16_sdwa s[6:7], v25, s3 src0_sel:BYTE_0 src1_sel:DWORD
	s_mov_b64 s[0:1], 0
                                        ; implicit-def: $sgpr10
	s_and_saveexec_b64 s[8:9], s[6:7]
	s_xor_b64 s[6:7], exec, s[8:9]
	s_cbranch_execnz .LBB272_851
; %bb.580:                              ;   in Loop: Header=BB272_562 Depth=1
	s_or_saveexec_b64 s[6:7], s[6:7]
	v_mov_b32_e32 v22, s10
	s_xor_b64 exec, exec, s[6:7]
	s_cbranch_execnz .LBB272_854
.LBB272_581:                            ;   in Loop: Header=BB272_562 Depth=1
	s_or_b64 exec, exec, s[6:7]
	v_mov_b32_e32 v0, v25
	s_and_saveexec_b64 s[6:7], s[0:1]
	s_cbranch_execz .LBB272_583
.LBB272_582:                            ;   in Loop: Header=BB272_562 Depth=1
	v_and_b32_e32 v18, 7, v25
	v_ffbh_u32_e32 v18, v18
	v_bfe_u32 v20, v25, 3, 4
	v_min_u32_e32 v18, 32, v18
	v_subrev_u32_e32 v22, 28, v18
	v_sub_u32_e32 v18, 29, v18
	v_cmp_eq_u32_e32 vcc, 0, v20
	s_nop 1
	v_cndmask_b32_e32 v18, v20, v18, vcc
	v_cndmask_b32_e32 v20, 0, v22, vcc
	v_lshlrev_b64 v[26:27], v20, v[0:1]
	v_lshlrev_b32_e32 v22, 8, v25
	v_lshl_add_u32 v18, v18, 10, v48
	v_lshlrev_b32_e32 v20, 7, v26
	v_and_or_b32 v18, v22, s24, v18
	v_and_or_b32 v18, v20, s25, v18
	v_cvt_f32_f16_e32 v22, v18
.LBB272_583:                            ;   in Loop: Header=BB272_562 Depth=1
	s_or_b64 exec, exec, s[6:7]
	v_lshrrev_b16_e32 v0, 8, v0
	v_cmp_lt_i16_e32 vcc, s3, v0
	s_mov_b64 s[0:1], 0
                                        ; implicit-def: $sgpr10
	s_and_saveexec_b64 s[6:7], vcc
	s_xor_b64 s[6:7], exec, s[6:7]
	s_cbranch_execnz .LBB272_855
; %bb.584:                              ;   in Loop: Header=BB272_562 Depth=1
	s_or_saveexec_b64 s[6:7], s[6:7]
	v_mov_b32_e32 v24, s10
	s_xor_b64 exec, exec, s[6:7]
	s_cbranch_execnz .LBB272_858
.LBB272_585:                            ;   in Loop: Header=BB272_562 Depth=1
	s_or_b64 exec, exec, s[6:7]
	s_and_saveexec_b64 s[6:7], s[0:1]
	s_cbranch_execz .LBB272_587
.LBB272_586:                            ;   in Loop: Header=BB272_562 Depth=1
	v_and_b32_e32 v18, 7, v0
	v_ffbh_u32_e32 v23, v18
	v_bfe_u32 v20, v0, 3, 4
	v_min_u32_e32 v23, 32, v23
	v_subrev_u32_e32 v24, 28, v23
	v_sub_u32_e32 v23, 29, v23
	v_cmp_eq_u32_e32 vcc, 0, v20
	v_lshlrev_b64 v[26:27], v24, v[0:1]
	v_and_b32_e32 v24, 7, v26
	v_cndmask_b32_e32 v20, v20, v23, vcc
	v_lshlrev_b32_e32 v0, 8, v0
	v_lshl_add_u32 v20, v20, 10, v48
	v_cndmask_b32_e32 v18, v18, v24, vcc
	v_and_or_b32 v0, v0, s24, v20
	v_lshl_or_b32 v0, v18, 7, v0
	v_cvt_f32_f16_e32 v24, v0
.LBB272_587:                            ;   in Loop: Header=BB272_562 Depth=1
	s_or_b64 exec, exec, s[6:7]
	v_lshrrev_b32_e32 v0, 16, v25
	v_cmp_gt_i16_sdwa s[6:7], v0, s3 src0_sel:BYTE_0 src1_sel:DWORD
	s_mov_b64 s[0:1], 0
                                        ; implicit-def: $sgpr10
	s_and_saveexec_b64 s[8:9], s[6:7]
	s_xor_b64 s[6:7], exec, s[8:9]
	s_cbranch_execnz .LBB272_859
; %bb.588:                              ;   in Loop: Header=BB272_562 Depth=1
	s_or_saveexec_b64 s[6:7], s[6:7]
	v_mov_b32_e32 v26, s10
	s_xor_b64 exec, exec, s[6:7]
	s_cbranch_execnz .LBB272_862
.LBB272_589:                            ;   in Loop: Header=BB272_562 Depth=1
	s_or_b64 exec, exec, s[6:7]
	s_and_saveexec_b64 s[6:7], s[0:1]
	s_cbranch_execz .LBB272_591
.LBB272_590:                            ;   in Loop: Header=BB272_562 Depth=1
	v_bfe_u32 v18, v25, 16, 3
	v_ffbh_u32_e32 v23, v18
	v_bfe_u32 v20, v25, 19, 4
	v_min_u32_e32 v23, 32, v23
	v_subrev_u32_e32 v26, 28, v23
	v_sub_u32_e32 v23, 29, v23
	v_cmp_eq_u32_e32 vcc, 0, v20
	v_lshlrev_b64 v[26:27], v26, v[0:1]
	v_and_b32_e32 v26, 7, v26
	v_cndmask_b32_e32 v20, v20, v23, vcc
	v_lshlrev_b32_e32 v0, 8, v0
	v_lshl_add_u32 v20, v20, 10, v48
	v_cndmask_b32_e32 v18, v18, v26, vcc
	v_and_or_b32 v0, v0, s24, v20
	v_lshl_or_b32 v0, v18, 7, v0
	v_cvt_f32_f16_e32 v26, v0
.LBB272_591:                            ;   in Loop: Header=BB272_562 Depth=1
	s_or_b64 exec, exec, s[6:7]
	v_lshrrev_b32_e32 v0, 24, v25
	v_cmp_lt_i16_e32 vcc, s3, v0
	s_mov_b64 s[0:1], 0
                                        ; implicit-def: $sgpr10
	s_and_saveexec_b64 s[6:7], vcc
	s_xor_b64 s[6:7], exec, s[6:7]
	s_cbranch_execnz .LBB272_863
; %bb.592:                              ;   in Loop: Header=BB272_562 Depth=1
	s_or_saveexec_b64 s[6:7], s[6:7]
	v_mov_b32_e32 v27, s10
	s_xor_b64 exec, exec, s[6:7]
	s_cbranch_execnz .LBB272_866
.LBB272_593:                            ;   in Loop: Header=BB272_562 Depth=1
	s_or_b64 exec, exec, s[6:7]
	s_and_saveexec_b64 s[6:7], s[0:1]
	s_cbranch_execz .LBB272_595
.LBB272_594:                            ;   in Loop: Header=BB272_562 Depth=1
	v_bfe_u32 v18, v25, 24, 3
	v_ffbh_u32_e32 v23, v18
	v_bfe_u32 v20, v25, 27, 4
	v_min_u32_e32 v23, 32, v23
	v_subrev_u32_e32 v25, 28, v23
	v_sub_u32_e32 v23, 29, v23
	v_cmp_eq_u32_e32 vcc, 0, v20
	v_lshlrev_b64 v[50:51], v25, v[0:1]
	v_and_b32_e32 v25, 7, v50
	v_cndmask_b32_e32 v20, v20, v23, vcc
	v_lshlrev_b32_e32 v0, 8, v0
	v_lshl_add_u32 v20, v20, 10, v48
	v_cndmask_b32_e32 v18, v18, v25, vcc
	v_and_or_b32 v0, v0, s24, v20
	v_lshl_or_b32 v0, v18, 7, v0
	v_cvt_f32_f16_e32 v27, v0
.LBB272_595:                            ;   in Loop: Header=BB272_562 Depth=1
	s_or_b64 exec, exec, s[6:7]
	v_pk_mul_f32 v[30:31], v[14:15], v[30:31] op_sel_hi:[0,1]
	v_pk_mul_f32 v[28:29], v[14:15], v[28:29] op_sel_hi:[0,1]
	v_cvt_f16_f32_e32 v0, v31
	v_cvt_f16_f32_e32 v18, v30
	v_cvt_f16_f32_e32 v20, v29
	v_cvt_f16_f32_e32 v23, v28
	v_accvgpr_read_b32 v25, a13
	v_pack_b32_f16 v18, v18, v0
	v_add_u32_e32 v43, v41, v25
	v_pack_b32_f16 v20, v23, v20
	v_perm_b32 v0, v20, v18, s26
	v_perm_b32 v25, v20, v18, s27
	v_fma_mixlo_f16 v18, v14, v24, 0
	v_fma_mixlo_f16 v20, v14, v22, 0
	;; [unrolled: 1-line block ×4, first 2 shown]
	v_accvgpr_read_b32 v28, a12
	v_lshlrev_b32_e32 v18, 16, v18
	v_lshlrev_b32_e32 v14, 16, v14
	v_cmp_eq_u32_e32 vcc, v54, v28
	v_or_b32_sdwa v22, v18, v20 dst_sel:DWORD dst_unused:UNUSED_PAD src0_sel:DWORD src1_sel:WORD_0
	v_or_b32_sdwa v14, v14, v24 dst_sel:DWORD dst_unused:UNUSED_PAD src0_sel:DWORD src1_sel:WORD_0
	v_add_u32_e32 v56, 1, v43
	v_or_b32_e32 v47, 3, v43
	v_or_b32_e32 v46, 2, v43
	;; [unrolled: 1-line block ×6, first 2 shown]
	s_and_saveexec_b64 s[6:7], vcc
	s_cbranch_execz .LBB272_597
; %bb.596:                              ;   in Loop: Header=BB272_562 Depth=1
	v_lshrrev_b32_e32 v18, 16, v25
	v_cmp_lt_i32_e64 s[0:1], v56, v3
	v_accvgpr_read_b32 v26, a8
	v_lshrrev_b32_e32 v14, 16, v14
	v_cndmask_b32_e64 v18, 0, v18, s[0:1]
	v_cmp_lt_i32_e64 s[0:1], v43, v26
	s_nop 1
	v_cndmask_b32_e64 v20, 0, v25, s[0:1]
	v_perm_b32 v25, v18, v20, s28
	v_lshrrev_b32_e32 v18, 16, v0
	v_cmp_lt_i32_e64 s[0:1], v47, v3
	s_nop 1
	v_cndmask_b32_e64 v18, 0, v18, s[0:1]
	v_cmp_lt_i32_e64 s[0:1], v46, v26
	s_nop 1
	v_cndmask_b32_e64 v0, 0, v0, s[0:1]
	v_perm_b32 v0, v18, v0, s28
	v_lshrrev_b32_e32 v18, 16, v22
	v_cmp_lt_i32_e64 s[0:1], v45, v3
	s_nop 1
	v_cndmask_b32_e64 v18, 0, v18, s[0:1]
	v_cmp_lt_i32_e64 s[0:1], v44, v26
	s_nop 1
	v_cndmask_b32_e64 v20, 0, v22, s[0:1]
	v_cmp_lt_i32_e64 s[0:1], v42, v3
	v_perm_b32 v22, v18, v20, s28
	s_nop 0
	v_cndmask_b32_e64 v14, 0, v14, s[0:1]
	v_cmp_lt_i32_e64 s[0:1], v49, v26
	s_nop 1
	v_cndmask_b32_e64 v18, 0, v24, s[0:1]
	v_perm_b32 v14, v14, v18, s28
.LBB272_597:                            ;   in Loop: Header=BB272_562 Depth=1
	s_or_b64 exec, exec, s[6:7]
	v_and_b32_e32 v4, 0xffff, v4
	v_lshl_or_b32 v60, v5, 16, v4
	v_and_b32_e32 v4, 0xffff, v6
	v_lshl_or_b32 v59, v7, 16, v4
	;; [unrolled: 2-line block ×4, first 2 shown]
	;;#ASMSTART
	v_pk_mul_f16 v4, v60, v25;

	;;#ASMEND
	;;#ASMSTART
	v_pk_mul_f16 v0, v59, v0;

	;;#ASMEND
	;; [unrolled: 4-line block ×4, first 2 shown]
	s_mov_b64 s[0:1], 0
	;;#ASMSTART
	v_pk_add_f16 v0, v4, v0;

	;;#ASMEND
                                        ; implicit-def: $sgpr10
	s_nop 0
	;;#ASMSTART
	v_pk_add_f16 v0, v0, v5;

	;;#ASMEND
	s_nop 0
	;;#ASMSTART
	v_pk_add_f16 v0, v0, v6;

	;;#ASMEND
	s_nop 0
	v_lshrrev_b32_e32 v4, 16, v0
	v_and_b32_e32 v0, 0xffff, v0
	;;#ASMSTART
	v_cvt_f32_f16 v61, v0;
	;;#ASMEND
	;;#ASMSTART
	v_cvt_f32_f16 v62, v4;
	;;#ASMEND
	v_accvgpr_read_b32 v4, a4
	flat_load_dwordx2 v[24:25], v[12:13] offset:512
	v_accvgpr_read_b32 v5, a5
	flat_load_dword v14, v[4:5]
	s_waitcnt vmcnt(0) lgkmcnt(0)
	v_cmp_gt_i16_sdwa s[6:7], v24, s3 src0_sel:BYTE_0 src1_sel:DWORD
	s_and_saveexec_b64 s[8:9], s[6:7]
	s_xor_b64 s[6:7], exec, s[8:9]
	s_cbranch_execnz .LBB272_867
; %bb.598:                              ;   in Loop: Header=BB272_562 Depth=1
	s_or_saveexec_b64 s[6:7], s[6:7]
	v_mov_b32_e32 v28, s10
	s_xor_b64 exec, exec, s[6:7]
	s_cbranch_execnz .LBB272_870
.LBB272_599:                            ;   in Loop: Header=BB272_562 Depth=1
	s_or_b64 exec, exec, s[6:7]
	s_and_saveexec_b64 s[6:7], s[0:1]
	s_cbranch_execz .LBB272_601
.LBB272_600:                            ;   in Loop: Header=BB272_562 Depth=1
	v_and_b32_e32 v0, 7, v24
	v_ffbh_u32_e32 v0, v0
	v_bfe_u32 v4, v24, 3, 4
	v_min_u32_e32 v0, 32, v0
	v_subrev_u32_e32 v5, 28, v0
	v_sub_u32_e32 v0, 29, v0
	v_cmp_eq_u32_e64 s[0:1], 0, v4
	s_nop 1
	v_cndmask_b32_e64 v0, v4, v0, s[0:1]
	v_cndmask_b32_e64 v4, 0, v5, s[0:1]
	v_lshlrev_b64 v[4:5], v4, v[24:25]
	v_lshlrev_b32_e32 v5, 8, v24
	v_lshl_add_u32 v0, v0, 10, v48
	v_lshlrev_b32_e32 v4, 7, v4
	v_and_or_b32 v0, v5, s24, v0
	v_and_or_b32 v0, v4, s25, v0
	v_cvt_f32_f16_e32 v28, v0
.LBB272_601:                            ;   in Loop: Header=BB272_562 Depth=1
	s_or_b64 exec, exec, s[6:7]
	v_lshrrev_b16_e32 v0, 8, v24
	v_cmp_lt_i16_e64 s[0:1], s3, v0
	s_mov_b64 s[6:7], 0
                                        ; implicit-def: $sgpr29
	s_and_saveexec_b64 s[8:9], s[0:1]
	s_xor_b64 s[8:9], exec, s[8:9]
	s_cbranch_execnz .LBB272_871
; %bb.602:                              ;   in Loop: Header=BB272_562 Depth=1
	s_or_saveexec_b64 s[8:9], s[8:9]
	v_mov_b32_e32 v30, s29
	s_xor_b64 exec, exec, s[8:9]
	s_cbranch_execnz .LBB272_874
.LBB272_603:                            ;   in Loop: Header=BB272_562 Depth=1
	s_or_b64 exec, exec, s[8:9]
	s_and_saveexec_b64 s[8:9], s[6:7]
	s_cbranch_execz .LBB272_605
.LBB272_604:                            ;   in Loop: Header=BB272_562 Depth=1
	v_and_b32_e32 v6, 7, v0
	v_ffbh_u32_e32 v4, v6
	v_min_u32_e32 v15, 32, v4
	v_subrev_u32_e32 v4, 28, v15
	v_bfe_u32 v7, v0, 3, 4
	v_lshlrev_b64 v[4:5], v4, v[0:1]
	v_sub_u32_e32 v5, 29, v15
	v_cmp_eq_u32_e64 s[0:1], 0, v7
	v_and_b32_e32 v4, 7, v4
	v_lshlrev_b32_e32 v0, 8, v0
	v_cndmask_b32_e64 v5, v7, v5, s[0:1]
	v_lshl_add_u32 v5, v5, 10, v48
	v_cndmask_b32_e64 v4, v6, v4, s[0:1]
	v_and_or_b32 v0, v0, s24, v5
	v_lshl_or_b32 v0, v4, 7, v0
	v_cvt_f32_f16_e32 v30, v0
.LBB272_605:                            ;   in Loop: Header=BB272_562 Depth=1
	s_or_b64 exec, exec, s[8:9]
	v_lshrrev_b32_e32 v0, 16, v24
	v_cmp_gt_i16_sdwa s[6:7], v0, s3 src0_sel:BYTE_0 src1_sel:DWORD
	s_mov_b64 s[0:1], 0
                                        ; implicit-def: $sgpr10
	s_and_saveexec_b64 s[8:9], s[6:7]
	s_xor_b64 s[6:7], exec, s[8:9]
	s_cbranch_execnz .LBB272_875
; %bb.606:                              ;   in Loop: Header=BB272_562 Depth=1
	s_or_saveexec_b64 s[6:7], s[6:7]
	v_mov_b32_e32 v29, s10
	s_xor_b64 exec, exec, s[6:7]
	s_cbranch_execnz .LBB272_878
.LBB272_607:                            ;   in Loop: Header=BB272_562 Depth=1
	s_or_b64 exec, exec, s[6:7]
	s_and_saveexec_b64 s[6:7], s[0:1]
	s_cbranch_execz .LBB272_609
.LBB272_608:                            ;   in Loop: Header=BB272_562 Depth=1
	v_bfe_u32 v6, v24, 16, 3
	v_ffbh_u32_e32 v4, v6
	v_min_u32_e32 v15, 32, v4
	v_subrev_u32_e32 v4, 28, v15
	v_bfe_u32 v7, v24, 19, 4
	v_lshlrev_b64 v[4:5], v4, v[0:1]
	v_sub_u32_e32 v5, 29, v15
	v_cmp_eq_u32_e64 s[0:1], 0, v7
	v_and_b32_e32 v4, 7, v4
	v_lshlrev_b32_e32 v0, 8, v0
	v_cndmask_b32_e64 v5, v7, v5, s[0:1]
	v_lshl_add_u32 v5, v5, 10, v48
	v_cndmask_b32_e64 v4, v6, v4, s[0:1]
	v_and_or_b32 v0, v0, s24, v5
	v_lshl_or_b32 v0, v4, 7, v0
	v_cvt_f32_f16_e32 v29, v0
.LBB272_609:                            ;   in Loop: Header=BB272_562 Depth=1
	s_or_b64 exec, exec, s[6:7]
	v_lshrrev_b32_e32 v0, 24, v24
	v_cmp_lt_i16_e64 s[0:1], s3, v0
	s_mov_b64 s[6:7], 0
                                        ; implicit-def: $sgpr29
	s_and_saveexec_b64 s[8:9], s[0:1]
	s_xor_b64 s[8:9], exec, s[8:9]
	s_cbranch_execnz .LBB272_879
; %bb.610:                              ;   in Loop: Header=BB272_562 Depth=1
	s_or_saveexec_b64 s[8:9], s[8:9]
	v_mov_b32_e32 v31, s29
	s_xor_b64 exec, exec, s[8:9]
	s_cbranch_execnz .LBB272_882
.LBB272_611:                            ;   in Loop: Header=BB272_562 Depth=1
	s_or_b64 exec, exec, s[8:9]
	s_and_saveexec_b64 s[8:9], s[6:7]
	s_cbranch_execz .LBB272_613
.LBB272_612:                            ;   in Loop: Header=BB272_562 Depth=1
	v_bfe_u32 v6, v24, 24, 3
	v_ffbh_u32_e32 v4, v6
	v_min_u32_e32 v15, 32, v4
	v_subrev_u32_e32 v4, 28, v15
	v_bfe_u32 v7, v24, 27, 4
	v_lshlrev_b64 v[4:5], v4, v[0:1]
	v_sub_u32_e32 v5, 29, v15
	v_cmp_eq_u32_e64 s[0:1], 0, v7
	v_and_b32_e32 v4, 7, v4
	v_lshlrev_b32_e32 v0, 8, v0
	v_cndmask_b32_e64 v5, v7, v5, s[0:1]
	v_lshl_add_u32 v5, v5, 10, v48
	v_cndmask_b32_e64 v4, v6, v4, s[0:1]
	v_and_or_b32 v0, v0, s24, v5
	v_lshl_or_b32 v0, v4, 7, v0
	v_cvt_f32_f16_e32 v31, v0
.LBB272_613:                            ;   in Loop: Header=BB272_562 Depth=1
	s_or_b64 exec, exec, s[8:9]
	v_cmp_gt_i16_sdwa s[6:7], v25, s3 src0_sel:BYTE_0 src1_sel:DWORD
	s_mov_b64 s[0:1], 0
                                        ; implicit-def: $sgpr10
	s_and_saveexec_b64 s[8:9], s[6:7]
	s_xor_b64 s[6:7], exec, s[8:9]
	s_cbranch_execnz .LBB272_883
; %bb.614:                              ;   in Loop: Header=BB272_562 Depth=1
	s_or_saveexec_b64 s[6:7], s[6:7]
	v_mov_b32_e32 v4, s10
	s_xor_b64 exec, exec, s[6:7]
	s_cbranch_execnz .LBB272_886
.LBB272_615:                            ;   in Loop: Header=BB272_562 Depth=1
	s_or_b64 exec, exec, s[6:7]
	v_mov_b32_e32 v0, v25
	s_and_saveexec_b64 s[6:7], s[0:1]
	s_cbranch_execz .LBB272_617
.LBB272_616:                            ;   in Loop: Header=BB272_562 Depth=1
	v_and_b32_e32 v4, 7, v25
	v_ffbh_u32_e32 v4, v4
	v_bfe_u32 v5, v25, 3, 4
	v_min_u32_e32 v4, 32, v4
	v_subrev_u32_e32 v6, 28, v4
	v_sub_u32_e32 v4, 29, v4
	v_cmp_eq_u32_e64 s[0:1], 0, v5
	s_nop 1
	v_cndmask_b32_e64 v7, v5, v4, s[0:1]
	v_cndmask_b32_e64 v4, 0, v6, s[0:1]
	v_lshlrev_b64 v[4:5], v4, v[0:1]
	v_lshlrev_b32_e32 v5, 8, v25
	v_lshl_add_u32 v6, v7, 10, v48
	v_lshlrev_b32_e32 v4, 7, v4
	v_and_or_b32 v5, v5, s24, v6
	v_and_or_b32 v4, v4, s25, v5
	v_cvt_f32_f16_e32 v4, v4
.LBB272_617:                            ;   in Loop: Header=BB272_562 Depth=1
	s_or_b64 exec, exec, s[6:7]
	v_lshrrev_b16_e32 v0, 8, v0
	v_cmp_lt_i16_e64 s[0:1], s3, v0
	s_mov_b64 s[6:7], 0
                                        ; implicit-def: $sgpr29
	s_and_saveexec_b64 s[8:9], s[0:1]
	s_xor_b64 s[8:9], exec, s[8:9]
	s_cbranch_execnz .LBB272_887
; %bb.618:                              ;   in Loop: Header=BB272_562 Depth=1
	s_or_saveexec_b64 s[8:9], s[8:9]
	v_mov_b32_e32 v5, s29
	s_xor_b64 exec, exec, s[8:9]
	s_cbranch_execnz .LBB272_890
.LBB272_619:                            ;   in Loop: Header=BB272_562 Depth=1
	s_or_b64 exec, exec, s[8:9]
	s_and_saveexec_b64 s[8:9], s[6:7]
	s_cbranch_execz .LBB272_621
.LBB272_620:                            ;   in Loop: Header=BB272_562 Depth=1
	v_and_b32_e32 v5, 7, v0
	v_ffbh_u32_e32 v6, v5
	v_min_u32_e32 v16, 32, v6
	v_subrev_u32_e32 v6, 28, v16
	v_bfe_u32 v15, v0, 3, 4
	v_lshlrev_b64 v[6:7], v6, v[0:1]
	v_sub_u32_e32 v7, 29, v16
	v_cmp_eq_u32_e64 s[0:1], 0, v15
	v_and_b32_e32 v6, 7, v6
	v_lshlrev_b32_e32 v0, 8, v0
	v_cndmask_b32_e64 v7, v15, v7, s[0:1]
	v_cndmask_b32_e64 v5, v5, v6, s[0:1]
	v_lshl_add_u32 v6, v7, 10, v48
	v_and_or_b32 v0, v0, s24, v6
	v_lshl_or_b32 v0, v5, 7, v0
	v_cvt_f32_f16_e32 v5, v0
.LBB272_621:                            ;   in Loop: Header=BB272_562 Depth=1
	s_or_b64 exec, exec, s[8:9]
	v_lshrrev_b32_e32 v0, 16, v25
	v_cmp_gt_i16_sdwa s[6:7], v0, s3 src0_sel:BYTE_0 src1_sel:DWORD
	s_mov_b64 s[0:1], 0
                                        ; implicit-def: $sgpr10
	s_and_saveexec_b64 s[8:9], s[6:7]
	s_xor_b64 s[6:7], exec, s[8:9]
	s_cbranch_execnz .LBB272_891
; %bb.622:                              ;   in Loop: Header=BB272_562 Depth=1
	s_or_saveexec_b64 s[6:7], s[6:7]
	v_mov_b32_e32 v6, s10
	s_xor_b64 exec, exec, s[6:7]
	s_cbranch_execnz .LBB272_894
.LBB272_623:                            ;   in Loop: Header=BB272_562 Depth=1
	s_or_b64 exec, exec, s[6:7]
	s_and_saveexec_b64 s[6:7], s[0:1]
	s_cbranch_execz .LBB272_625
.LBB272_624:                            ;   in Loop: Header=BB272_562 Depth=1
	v_bfe_u32 v15, v25, 16, 3
	v_ffbh_u32_e32 v6, v15
	v_min_u32_e32 v17, 32, v6
	v_subrev_u32_e32 v6, 28, v17
	v_bfe_u32 v16, v25, 19, 4
	v_lshlrev_b64 v[6:7], v6, v[0:1]
	v_sub_u32_e32 v7, 29, v17
	v_cmp_eq_u32_e64 s[0:1], 0, v16
	v_and_b32_e32 v6, 7, v6
	v_lshlrev_b32_e32 v0, 8, v0
	v_cndmask_b32_e64 v7, v16, v7, s[0:1]
	v_lshl_add_u32 v7, v7, 10, v48
	v_cndmask_b32_e64 v6, v15, v6, s[0:1]
	v_and_or_b32 v0, v0, s24, v7
	v_lshl_or_b32 v0, v6, 7, v0
	v_cvt_f32_f16_e32 v6, v0
.LBB272_625:                            ;   in Loop: Header=BB272_562 Depth=1
	s_or_b64 exec, exec, s[6:7]
	v_lshrrev_b32_e32 v0, 24, v25
	v_cmp_lt_i16_e64 s[0:1], s3, v0
	s_mov_b64 s[6:7], 0
                                        ; implicit-def: $sgpr29
	s_and_saveexec_b64 s[8:9], s[0:1]
	s_xor_b64 s[8:9], exec, s[8:9]
	s_cbranch_execnz .LBB272_895
; %bb.626:                              ;   in Loop: Header=BB272_562 Depth=1
	s_or_saveexec_b64 s[8:9], s[8:9]
	v_mov_b32_e32 v15, s29
	s_xor_b64 exec, exec, s[8:9]
	s_cbranch_execnz .LBB272_898
.LBB272_627:                            ;   in Loop: Header=BB272_562 Depth=1
	s_or_b64 exec, exec, s[8:9]
	s_and_saveexec_b64 s[8:9], s[6:7]
	s_cbranch_execz .LBB272_629
.LBB272_628:                            ;   in Loop: Header=BB272_562 Depth=1
	v_bfe_u32 v7, v25, 24, 3
	v_ffbh_u32_e32 v16, v7
	v_min_u32_e32 v18, 32, v16
	v_subrev_u32_e32 v16, 28, v18
	v_bfe_u32 v15, v25, 27, 4
	v_lshlrev_b64 v[16:17], v16, v[0:1]
	v_sub_u32_e32 v17, 29, v18
	v_cmp_eq_u32_e64 s[0:1], 0, v15
	v_and_b32_e32 v16, 7, v16
	v_lshlrev_b32_e32 v0, 8, v0
	v_cndmask_b32_e64 v15, v15, v17, s[0:1]
	v_lshl_add_u32 v15, v15, 10, v48
	v_cndmask_b32_e64 v7, v7, v16, s[0:1]
	v_and_or_b32 v0, v0, s24, v15
	v_lshl_or_b32 v0, v7, 7, v0
	v_cvt_f32_f16_e32 v15, v0
.LBB272_629:                            ;   in Loop: Header=BB272_562 Depth=1
	s_or_b64 exec, exec, s[8:9]
	v_pk_mul_f32 v[16:17], v[14:15], v[30:31] op_sel_hi:[0,1]
	v_pk_mul_f32 v[24:25], v[14:15], v[28:29] op_sel_hi:[0,1]
	v_cvt_f16_f32_e32 v0, v17
	v_cvt_f16_f32_e32 v7, v16
	;; [unrolled: 1-line block ×4, first 2 shown]
	v_fma_mixlo_f16 v5, v14, v5, 0
	v_lshlrev_b32_e32 v5, 16, v5
	v_fma_mixlo_f16 v4, v14, v4, 0
	v_or_b32_sdwa v4, v5, v4 dst_sel:DWORD dst_unused:UNUSED_PAD src0_sel:DWORD src1_sel:WORD_0
	v_fma_mixlo_f16 v5, v14, v15, 0
	v_pack_b32_f16 v7, v7, v0
	v_pack_b32_f16 v16, v17, v16
	v_fma_mixlo_f16 v6, v14, v6, 0
	v_lshlrev_b32_e32 v5, 16, v5
	v_perm_b32 v0, v16, v7, s26
	v_perm_b32 v7, v16, v7, s27
	v_or_b32_sdwa v5, v5, v6 dst_sel:DWORD dst_unused:UNUSED_PAD src0_sel:DWORD src1_sel:WORD_0
	s_and_saveexec_b64 s[6:7], vcc
	s_cbranch_execz .LBB272_631
; %bb.630:                              ;   in Loop: Header=BB272_562 Depth=1
	v_lshrrev_b32_e32 v14, 16, v7
	v_cmp_lt_i32_e64 s[0:1], v56, v3
	v_accvgpr_read_b32 v16, a8
	v_lshrrev_b32_e32 v5, 16, v5
	v_cndmask_b32_e64 v14, 0, v14, s[0:1]
	v_cmp_lt_i32_e64 s[0:1], v43, v16
	s_nop 1
	v_cndmask_b32_e64 v7, 0, v7, s[0:1]
	v_perm_b32 v7, v14, v7, s28
	v_lshrrev_b32_e32 v14, 16, v0
	v_cmp_lt_i32_e64 s[0:1], v47, v3
	s_nop 1
	v_cndmask_b32_e64 v14, 0, v14, s[0:1]
	v_cmp_lt_i32_e64 s[0:1], v46, v16
	s_nop 1
	v_cndmask_b32_e64 v0, 0, v0, s[0:1]
	v_perm_b32 v0, v14, v0, s28
	v_lshrrev_b32_e32 v14, 16, v4
	v_cmp_lt_i32_e64 s[0:1], v45, v3
	s_nop 1
	v_cndmask_b32_e64 v14, 0, v14, s[0:1]
	v_cmp_lt_i32_e64 s[0:1], v44, v16
	s_nop 1
	v_cndmask_b32_e64 v4, 0, v4, s[0:1]
	v_cmp_lt_i32_e64 s[0:1], v42, v3
	v_perm_b32 v4, v14, v4, s28
	s_nop 0
	v_cndmask_b32_e64 v5, 0, v5, s[0:1]
	v_cmp_lt_i32_e64 s[0:1], v49, v16
	s_nop 1
	v_cndmask_b32_e64 v6, 0, v6, s[0:1]
	v_perm_b32 v5, v5, v6, s28
.LBB272_631:                            ;   in Loop: Header=BB272_562 Depth=1
	s_or_b64 exec, exec, s[6:7]
	;;#ASMSTART
	v_pk_mul_f16 v6, v60, v7;

	;;#ASMEND
	;;#ASMSTART
	v_pk_mul_f16 v0, v59, v0;

	;;#ASMEND
	;; [unrolled: 4-line block ×4, first 2 shown]
	s_mov_b64 s[0:1], 0
	;;#ASMSTART
	v_pk_add_f16 v0, v6, v0;

	;;#ASMEND
                                        ; implicit-def: $sgpr10
	s_nop 0
	;;#ASMSTART
	v_pk_add_f16 v0, v0, v4;

	;;#ASMEND
	s_nop 0
	;;#ASMSTART
	v_pk_add_f16 v0, v0, v5;

	;;#ASMEND
	s_nop 0
	v_lshrrev_b32_e32 v4, 16, v0
	v_and_b32_e32 v0, 0xffff, v0
	;;#ASMSTART
	v_cvt_f32_f16 v40, v0;
	;;#ASMEND
	;;#ASMSTART
	v_cvt_f32_f16 v52, v4;
	;;#ASMEND
	v_accvgpr_read_b32 v4, a4
	flat_load_dwordx2 v[24:25], v[12:13] offset:1024
	v_accvgpr_read_b32 v5, a5
	flat_load_dword v14, v[4:5]
	s_waitcnt vmcnt(0) lgkmcnt(0)
	v_cmp_gt_i16_sdwa s[6:7], v24, s3 src0_sel:BYTE_0 src1_sel:DWORD
	s_and_saveexec_b64 s[8:9], s[6:7]
	s_xor_b64 s[6:7], exec, s[8:9]
	s_cbranch_execnz .LBB272_899
; %bb.632:                              ;   in Loop: Header=BB272_562 Depth=1
	s_or_saveexec_b64 s[6:7], s[6:7]
	v_mov_b32_e32 v28, s10
	s_xor_b64 exec, exec, s[6:7]
	s_cbranch_execnz .LBB272_902
.LBB272_633:                            ;   in Loop: Header=BB272_562 Depth=1
	s_or_b64 exec, exec, s[6:7]
	s_and_saveexec_b64 s[6:7], s[0:1]
	s_cbranch_execz .LBB272_635
.LBB272_634:                            ;   in Loop: Header=BB272_562 Depth=1
	v_and_b32_e32 v0, 7, v24
	v_ffbh_u32_e32 v0, v0
	v_bfe_u32 v4, v24, 3, 4
	v_min_u32_e32 v0, 32, v0
	v_subrev_u32_e32 v5, 28, v0
	v_sub_u32_e32 v0, 29, v0
	v_cmp_eq_u32_e64 s[0:1], 0, v4
	s_nop 1
	v_cndmask_b32_e64 v0, v4, v0, s[0:1]
	v_cndmask_b32_e64 v4, 0, v5, s[0:1]
	v_lshlrev_b64 v[4:5], v4, v[24:25]
	v_lshlrev_b32_e32 v5, 8, v24
	v_lshl_add_u32 v0, v0, 10, v48
	v_lshlrev_b32_e32 v4, 7, v4
	v_and_or_b32 v0, v5, s24, v0
	v_and_or_b32 v0, v4, s25, v0
	v_cvt_f32_f16_e32 v28, v0
.LBB272_635:                            ;   in Loop: Header=BB272_562 Depth=1
	s_or_b64 exec, exec, s[6:7]
	v_lshrrev_b16_e32 v0, 8, v24
	v_cmp_lt_i16_e64 s[0:1], s3, v0
	s_mov_b64 s[6:7], 0
                                        ; implicit-def: $sgpr29
	s_and_saveexec_b64 s[8:9], s[0:1]
	s_xor_b64 s[8:9], exec, s[8:9]
	s_cbranch_execnz .LBB272_903
; %bb.636:                              ;   in Loop: Header=BB272_562 Depth=1
	s_or_saveexec_b64 s[8:9], s[8:9]
	v_mov_b32_e32 v30, s29
	s_xor_b64 exec, exec, s[8:9]
	s_cbranch_execnz .LBB272_906
.LBB272_637:                            ;   in Loop: Header=BB272_562 Depth=1
	s_or_b64 exec, exec, s[8:9]
	s_and_saveexec_b64 s[8:9], s[6:7]
	s_cbranch_execz .LBB272_639
.LBB272_638:                            ;   in Loop: Header=BB272_562 Depth=1
	v_and_b32_e32 v6, 7, v0
	v_ffbh_u32_e32 v4, v6
	v_min_u32_e32 v15, 32, v4
	v_subrev_u32_e32 v4, 28, v15
	v_bfe_u32 v7, v0, 3, 4
	v_lshlrev_b64 v[4:5], v4, v[0:1]
	v_sub_u32_e32 v5, 29, v15
	v_cmp_eq_u32_e64 s[0:1], 0, v7
	v_and_b32_e32 v4, 7, v4
	v_lshlrev_b32_e32 v0, 8, v0
	v_cndmask_b32_e64 v5, v7, v5, s[0:1]
	v_lshl_add_u32 v5, v5, 10, v48
	v_cndmask_b32_e64 v4, v6, v4, s[0:1]
	v_and_or_b32 v0, v0, s24, v5
	v_lshl_or_b32 v0, v4, 7, v0
	v_cvt_f32_f16_e32 v30, v0
.LBB272_639:                            ;   in Loop: Header=BB272_562 Depth=1
	s_or_b64 exec, exec, s[8:9]
	v_lshrrev_b32_e32 v0, 16, v24
	v_cmp_gt_i16_sdwa s[6:7], v0, s3 src0_sel:BYTE_0 src1_sel:DWORD
	s_mov_b64 s[0:1], 0
                                        ; implicit-def: $sgpr10
	s_and_saveexec_b64 s[8:9], s[6:7]
	s_xor_b64 s[6:7], exec, s[8:9]
	s_cbranch_execnz .LBB272_907
; %bb.640:                              ;   in Loop: Header=BB272_562 Depth=1
	s_or_saveexec_b64 s[6:7], s[6:7]
	v_mov_b32_e32 v29, s10
	s_xor_b64 exec, exec, s[6:7]
	s_cbranch_execnz .LBB272_910
.LBB272_641:                            ;   in Loop: Header=BB272_562 Depth=1
	s_or_b64 exec, exec, s[6:7]
	s_and_saveexec_b64 s[6:7], s[0:1]
	s_cbranch_execz .LBB272_643
.LBB272_642:                            ;   in Loop: Header=BB272_562 Depth=1
	v_bfe_u32 v6, v24, 16, 3
	v_ffbh_u32_e32 v4, v6
	v_min_u32_e32 v15, 32, v4
	v_subrev_u32_e32 v4, 28, v15
	v_bfe_u32 v7, v24, 19, 4
	v_lshlrev_b64 v[4:5], v4, v[0:1]
	v_sub_u32_e32 v5, 29, v15
	v_cmp_eq_u32_e64 s[0:1], 0, v7
	v_and_b32_e32 v4, 7, v4
	v_lshlrev_b32_e32 v0, 8, v0
	v_cndmask_b32_e64 v5, v7, v5, s[0:1]
	v_lshl_add_u32 v5, v5, 10, v48
	v_cndmask_b32_e64 v4, v6, v4, s[0:1]
	v_and_or_b32 v0, v0, s24, v5
	v_lshl_or_b32 v0, v4, 7, v0
	v_cvt_f32_f16_e32 v29, v0
.LBB272_643:                            ;   in Loop: Header=BB272_562 Depth=1
	s_or_b64 exec, exec, s[6:7]
	v_lshrrev_b32_e32 v0, 24, v24
	v_cmp_lt_i16_e64 s[0:1], s3, v0
	s_mov_b64 s[6:7], 0
                                        ; implicit-def: $sgpr29
	s_and_saveexec_b64 s[8:9], s[0:1]
	s_xor_b64 s[8:9], exec, s[8:9]
	s_cbranch_execnz .LBB272_911
; %bb.644:                              ;   in Loop: Header=BB272_562 Depth=1
	s_or_saveexec_b64 s[8:9], s[8:9]
	v_mov_b32_e32 v31, s29
	s_xor_b64 exec, exec, s[8:9]
	s_cbranch_execnz .LBB272_914
.LBB272_645:                            ;   in Loop: Header=BB272_562 Depth=1
	s_or_b64 exec, exec, s[8:9]
	s_and_saveexec_b64 s[8:9], s[6:7]
	s_cbranch_execz .LBB272_647
.LBB272_646:                            ;   in Loop: Header=BB272_562 Depth=1
	v_bfe_u32 v6, v24, 24, 3
	v_ffbh_u32_e32 v4, v6
	v_min_u32_e32 v15, 32, v4
	v_subrev_u32_e32 v4, 28, v15
	v_bfe_u32 v7, v24, 27, 4
	v_lshlrev_b64 v[4:5], v4, v[0:1]
	v_sub_u32_e32 v5, 29, v15
	v_cmp_eq_u32_e64 s[0:1], 0, v7
	v_and_b32_e32 v4, 7, v4
	v_lshlrev_b32_e32 v0, 8, v0
	v_cndmask_b32_e64 v5, v7, v5, s[0:1]
	v_lshl_add_u32 v5, v5, 10, v48
	v_cndmask_b32_e64 v4, v6, v4, s[0:1]
	v_and_or_b32 v0, v0, s24, v5
	v_lshl_or_b32 v0, v4, 7, v0
	v_cvt_f32_f16_e32 v31, v0
.LBB272_647:                            ;   in Loop: Header=BB272_562 Depth=1
	s_or_b64 exec, exec, s[8:9]
	v_cmp_gt_i16_sdwa s[6:7], v25, s3 src0_sel:BYTE_0 src1_sel:DWORD
	s_mov_b64 s[0:1], 0
                                        ; implicit-def: $sgpr10
	s_and_saveexec_b64 s[8:9], s[6:7]
	s_xor_b64 s[6:7], exec, s[8:9]
	s_cbranch_execnz .LBB272_915
; %bb.648:                              ;   in Loop: Header=BB272_562 Depth=1
	s_or_saveexec_b64 s[6:7], s[6:7]
	v_mov_b32_e32 v4, s10
	s_xor_b64 exec, exec, s[6:7]
	s_cbranch_execnz .LBB272_918
.LBB272_649:                            ;   in Loop: Header=BB272_562 Depth=1
	s_or_b64 exec, exec, s[6:7]
	v_mov_b32_e32 v0, v25
	s_and_saveexec_b64 s[6:7], s[0:1]
	s_cbranch_execz .LBB272_651
.LBB272_650:                            ;   in Loop: Header=BB272_562 Depth=1
	v_and_b32_e32 v4, 7, v25
	v_ffbh_u32_e32 v4, v4
	v_bfe_u32 v5, v25, 3, 4
	v_min_u32_e32 v4, 32, v4
	v_subrev_u32_e32 v6, 28, v4
	v_sub_u32_e32 v4, 29, v4
	v_cmp_eq_u32_e64 s[0:1], 0, v5
	s_nop 1
	v_cndmask_b32_e64 v7, v5, v4, s[0:1]
	v_cndmask_b32_e64 v4, 0, v6, s[0:1]
	v_lshlrev_b64 v[4:5], v4, v[0:1]
	v_lshlrev_b32_e32 v5, 8, v25
	v_lshl_add_u32 v6, v7, 10, v48
	v_lshlrev_b32_e32 v4, 7, v4
	v_and_or_b32 v5, v5, s24, v6
	v_and_or_b32 v4, v4, s25, v5
	v_cvt_f32_f16_e32 v4, v4
.LBB272_651:                            ;   in Loop: Header=BB272_562 Depth=1
	s_or_b64 exec, exec, s[6:7]
	v_lshrrev_b16_e32 v0, 8, v0
	v_cmp_lt_i16_e64 s[0:1], s3, v0
	s_mov_b64 s[6:7], 0
                                        ; implicit-def: $sgpr29
	s_and_saveexec_b64 s[8:9], s[0:1]
	s_xor_b64 s[8:9], exec, s[8:9]
	s_cbranch_execnz .LBB272_919
; %bb.652:                              ;   in Loop: Header=BB272_562 Depth=1
	s_or_saveexec_b64 s[8:9], s[8:9]
	v_mov_b32_e32 v5, s29
	s_xor_b64 exec, exec, s[8:9]
	s_cbranch_execnz .LBB272_922
.LBB272_653:                            ;   in Loop: Header=BB272_562 Depth=1
	s_or_b64 exec, exec, s[8:9]
	s_and_saveexec_b64 s[8:9], s[6:7]
	s_cbranch_execz .LBB272_655
.LBB272_654:                            ;   in Loop: Header=BB272_562 Depth=1
	v_and_b32_e32 v5, 7, v0
	v_ffbh_u32_e32 v6, v5
	v_min_u32_e32 v16, 32, v6
	v_subrev_u32_e32 v6, 28, v16
	v_bfe_u32 v15, v0, 3, 4
	v_lshlrev_b64 v[6:7], v6, v[0:1]
	v_sub_u32_e32 v7, 29, v16
	v_cmp_eq_u32_e64 s[0:1], 0, v15
	v_and_b32_e32 v6, 7, v6
	v_lshlrev_b32_e32 v0, 8, v0
	v_cndmask_b32_e64 v7, v15, v7, s[0:1]
	v_cndmask_b32_e64 v5, v5, v6, s[0:1]
	v_lshl_add_u32 v6, v7, 10, v48
	v_and_or_b32 v0, v0, s24, v6
	v_lshl_or_b32 v0, v5, 7, v0
	v_cvt_f32_f16_e32 v5, v0
.LBB272_655:                            ;   in Loop: Header=BB272_562 Depth=1
	s_or_b64 exec, exec, s[8:9]
	v_lshrrev_b32_e32 v0, 16, v25
	v_cmp_gt_i16_sdwa s[6:7], v0, s3 src0_sel:BYTE_0 src1_sel:DWORD
	s_mov_b64 s[0:1], 0
                                        ; implicit-def: $sgpr10
	s_and_saveexec_b64 s[8:9], s[6:7]
	s_xor_b64 s[6:7], exec, s[8:9]
	s_cbranch_execnz .LBB272_923
; %bb.656:                              ;   in Loop: Header=BB272_562 Depth=1
	s_or_saveexec_b64 s[6:7], s[6:7]
	v_mov_b32_e32 v6, s10
	s_xor_b64 exec, exec, s[6:7]
	s_cbranch_execnz .LBB272_926
.LBB272_657:                            ;   in Loop: Header=BB272_562 Depth=1
	s_or_b64 exec, exec, s[6:7]
	s_and_saveexec_b64 s[6:7], s[0:1]
	s_cbranch_execz .LBB272_659
.LBB272_658:                            ;   in Loop: Header=BB272_562 Depth=1
	v_bfe_u32 v15, v25, 16, 3
	v_ffbh_u32_e32 v6, v15
	v_min_u32_e32 v17, 32, v6
	v_subrev_u32_e32 v6, 28, v17
	v_bfe_u32 v16, v25, 19, 4
	v_lshlrev_b64 v[6:7], v6, v[0:1]
	v_sub_u32_e32 v7, 29, v17
	v_cmp_eq_u32_e64 s[0:1], 0, v16
	v_and_b32_e32 v6, 7, v6
	v_lshlrev_b32_e32 v0, 8, v0
	v_cndmask_b32_e64 v7, v16, v7, s[0:1]
	v_lshl_add_u32 v7, v7, 10, v48
	v_cndmask_b32_e64 v6, v15, v6, s[0:1]
	v_and_or_b32 v0, v0, s24, v7
	v_lshl_or_b32 v0, v6, 7, v0
	v_cvt_f32_f16_e32 v6, v0
.LBB272_659:                            ;   in Loop: Header=BB272_562 Depth=1
	s_or_b64 exec, exec, s[6:7]
	v_lshrrev_b32_e32 v0, 24, v25
	v_cmp_lt_i16_e64 s[0:1], s3, v0
	s_mov_b64 s[6:7], 0
                                        ; implicit-def: $sgpr29
	s_and_saveexec_b64 s[8:9], s[0:1]
	s_xor_b64 s[8:9], exec, s[8:9]
	s_cbranch_execnz .LBB272_927
; %bb.660:                              ;   in Loop: Header=BB272_562 Depth=1
	s_or_saveexec_b64 s[8:9], s[8:9]
	v_mov_b32_e32 v15, s29
	s_xor_b64 exec, exec, s[8:9]
	s_cbranch_execnz .LBB272_930
.LBB272_661:                            ;   in Loop: Header=BB272_562 Depth=1
	s_or_b64 exec, exec, s[8:9]
	s_and_saveexec_b64 s[8:9], s[6:7]
	s_cbranch_execz .LBB272_663
.LBB272_662:                            ;   in Loop: Header=BB272_562 Depth=1
	v_bfe_u32 v7, v25, 24, 3
	v_ffbh_u32_e32 v16, v7
	v_min_u32_e32 v18, 32, v16
	v_subrev_u32_e32 v16, 28, v18
	v_bfe_u32 v15, v25, 27, 4
	v_lshlrev_b64 v[16:17], v16, v[0:1]
	v_sub_u32_e32 v17, 29, v18
	v_cmp_eq_u32_e64 s[0:1], 0, v15
	v_and_b32_e32 v16, 7, v16
	v_lshlrev_b32_e32 v0, 8, v0
	v_cndmask_b32_e64 v15, v15, v17, s[0:1]
	v_lshl_add_u32 v15, v15, 10, v48
	v_cndmask_b32_e64 v7, v7, v16, s[0:1]
	v_and_or_b32 v0, v0, s24, v15
	v_lshl_or_b32 v0, v7, 7, v0
	v_cvt_f32_f16_e32 v15, v0
.LBB272_663:                            ;   in Loop: Header=BB272_562 Depth=1
	s_or_b64 exec, exec, s[8:9]
	v_pk_mul_f32 v[16:17], v[14:15], v[30:31] op_sel_hi:[0,1]
	v_pk_mul_f32 v[24:25], v[14:15], v[28:29] op_sel_hi:[0,1]
	v_cvt_f16_f32_e32 v0, v17
	v_cvt_f16_f32_e32 v7, v16
	;; [unrolled: 1-line block ×4, first 2 shown]
	v_fma_mixlo_f16 v5, v14, v5, 0
	v_lshlrev_b32_e32 v5, 16, v5
	v_fma_mixlo_f16 v4, v14, v4, 0
	v_or_b32_sdwa v4, v5, v4 dst_sel:DWORD dst_unused:UNUSED_PAD src0_sel:DWORD src1_sel:WORD_0
	v_fma_mixlo_f16 v5, v14, v15, 0
	v_pack_b32_f16 v7, v7, v0
	v_pack_b32_f16 v16, v17, v16
	v_fma_mixlo_f16 v6, v14, v6, 0
	v_lshlrev_b32_e32 v5, 16, v5
	v_perm_b32 v0, v16, v7, s26
	v_perm_b32 v7, v16, v7, s27
	v_or_b32_sdwa v5, v5, v6 dst_sel:DWORD dst_unused:UNUSED_PAD src0_sel:DWORD src1_sel:WORD_0
	s_and_saveexec_b64 s[6:7], vcc
	s_cbranch_execz .LBB272_665
; %bb.664:                              ;   in Loop: Header=BB272_562 Depth=1
	v_lshrrev_b32_e32 v14, 16, v7
	v_cmp_lt_i32_e64 s[0:1], v56, v3
	v_accvgpr_read_b32 v16, a8
	v_lshrrev_b32_e32 v5, 16, v5
	v_cndmask_b32_e64 v14, 0, v14, s[0:1]
	v_cmp_lt_i32_e64 s[0:1], v43, v16
	s_nop 1
	v_cndmask_b32_e64 v7, 0, v7, s[0:1]
	v_perm_b32 v7, v14, v7, s28
	v_lshrrev_b32_e32 v14, 16, v0
	v_cmp_lt_i32_e64 s[0:1], v47, v3
	s_nop 1
	v_cndmask_b32_e64 v14, 0, v14, s[0:1]
	v_cmp_lt_i32_e64 s[0:1], v46, v16
	s_nop 1
	v_cndmask_b32_e64 v0, 0, v0, s[0:1]
	v_perm_b32 v0, v14, v0, s28
	v_lshrrev_b32_e32 v14, 16, v4
	v_cmp_lt_i32_e64 s[0:1], v45, v3
	s_nop 1
	v_cndmask_b32_e64 v14, 0, v14, s[0:1]
	v_cmp_lt_i32_e64 s[0:1], v44, v16
	s_nop 1
	v_cndmask_b32_e64 v4, 0, v4, s[0:1]
	v_cmp_lt_i32_e64 s[0:1], v42, v3
	v_perm_b32 v4, v14, v4, s28
	s_nop 0
	v_cndmask_b32_e64 v5, 0, v5, s[0:1]
	v_cmp_lt_i32_e64 s[0:1], v49, v16
	s_nop 1
	v_cndmask_b32_e64 v6, 0, v6, s[0:1]
	v_perm_b32 v5, v5, v6, s28
.LBB272_665:                            ;   in Loop: Header=BB272_562 Depth=1
	s_or_b64 exec, exec, s[6:7]
	;;#ASMSTART
	v_pk_mul_f16 v6, v60, v7;

	;;#ASMEND
	;;#ASMSTART
	v_pk_mul_f16 v0, v59, v0;

	;;#ASMEND
	;; [unrolled: 4-line block ×4, first 2 shown]
	s_mov_b64 s[0:1], 0
	;;#ASMSTART
	v_pk_add_f16 v0, v6, v0;

	;;#ASMEND
	v_accvgpr_read_b32 v7, a5
	;;#ASMSTART
	v_pk_add_f16 v0, v0, v4;

	;;#ASMEND
	v_accvgpr_read_b32 v6, a4
	;;#ASMSTART
	v_pk_add_f16 v0, v0, v5;

	;;#ASMEND
                                        ; implicit-def: $sgpr10
	s_nop 0
	v_lshrrev_b32_e32 v5, 16, v0
	v_and_b32_e32 v0, 0xffff, v0
	;;#ASMSTART
	v_cvt_f32_f16 v4, v0;
	;;#ASMEND
	;;#ASMSTART
	v_cvt_f32_f16 v5, v5;
	;;#ASMEND
	flat_load_dwordx2 v[24:25], v[12:13] offset:1536
	flat_load_dword v14, v[6:7]
	s_waitcnt vmcnt(0) lgkmcnt(0)
	v_cmp_gt_i16_sdwa s[6:7], v24, s3 src0_sel:BYTE_0 src1_sel:DWORD
	s_and_saveexec_b64 s[8:9], s[6:7]
	s_xor_b64 s[6:7], exec, s[8:9]
	s_cbranch_execnz .LBB272_931
; %bb.666:                              ;   in Loop: Header=BB272_562 Depth=1
	s_or_saveexec_b64 s[6:7], s[6:7]
	v_mov_b32_e32 v28, s10
	s_xor_b64 exec, exec, s[6:7]
	s_cbranch_execnz .LBB272_934
.LBB272_667:                            ;   in Loop: Header=BB272_562 Depth=1
	s_or_b64 exec, exec, s[6:7]
	s_and_saveexec_b64 s[6:7], s[0:1]
	s_cbranch_execz .LBB272_669
.LBB272_668:                            ;   in Loop: Header=BB272_562 Depth=1
	v_and_b32_e32 v0, 7, v24
	v_ffbh_u32_e32 v0, v0
	v_bfe_u32 v6, v24, 3, 4
	v_min_u32_e32 v0, 32, v0
	v_subrev_u32_e32 v7, 28, v0
	v_sub_u32_e32 v0, 29, v0
	v_cmp_eq_u32_e64 s[0:1], 0, v6
	s_nop 1
	v_cndmask_b32_e64 v0, v6, v0, s[0:1]
	v_cndmask_b32_e64 v6, 0, v7, s[0:1]
	v_lshlrev_b64 v[6:7], v6, v[24:25]
	v_lshlrev_b32_e32 v7, 8, v24
	v_lshl_add_u32 v0, v0, 10, v48
	v_lshlrev_b32_e32 v6, 7, v6
	v_and_or_b32 v0, v7, s24, v0
	v_and_or_b32 v0, v6, s25, v0
	v_cvt_f32_f16_e32 v28, v0
.LBB272_669:                            ;   in Loop: Header=BB272_562 Depth=1
	s_or_b64 exec, exec, s[6:7]
	v_lshrrev_b16_e32 v0, 8, v24
	v_cmp_lt_i16_e64 s[0:1], s3, v0
	s_mov_b64 s[6:7], 0
                                        ; implicit-def: $sgpr29
	s_and_saveexec_b64 s[8:9], s[0:1]
	s_xor_b64 s[8:9], exec, s[8:9]
	s_cbranch_execnz .LBB272_935
; %bb.670:                              ;   in Loop: Header=BB272_562 Depth=1
	s_or_saveexec_b64 s[8:9], s[8:9]
	v_mov_b32_e32 v30, s29
	s_xor_b64 exec, exec, s[8:9]
	s_cbranch_execnz .LBB272_938
.LBB272_671:                            ;   in Loop: Header=BB272_562 Depth=1
	s_or_b64 exec, exec, s[8:9]
	s_and_saveexec_b64 s[8:9], s[6:7]
	s_cbranch_execz .LBB272_673
.LBB272_672:                            ;   in Loop: Header=BB272_562 Depth=1
	v_and_b32_e32 v15, 7, v0
	v_ffbh_u32_e32 v6, v15
	v_min_u32_e32 v17, 32, v6
	v_subrev_u32_e32 v6, 28, v17
	v_bfe_u32 v16, v0, 3, 4
	v_lshlrev_b64 v[6:7], v6, v[0:1]
	v_sub_u32_e32 v7, 29, v17
	v_cmp_eq_u32_e64 s[0:1], 0, v16
	v_and_b32_e32 v6, 7, v6
	v_lshlrev_b32_e32 v0, 8, v0
	v_cndmask_b32_e64 v7, v16, v7, s[0:1]
	v_lshl_add_u32 v7, v7, 10, v48
	v_cndmask_b32_e64 v6, v15, v6, s[0:1]
	v_and_or_b32 v0, v0, s24, v7
	v_lshl_or_b32 v0, v6, 7, v0
	v_cvt_f32_f16_e32 v30, v0
.LBB272_673:                            ;   in Loop: Header=BB272_562 Depth=1
	s_or_b64 exec, exec, s[8:9]
	v_lshrrev_b32_e32 v0, 16, v24
	v_cmp_gt_i16_sdwa s[6:7], v0, s3 src0_sel:BYTE_0 src1_sel:DWORD
	s_mov_b64 s[0:1], 0
                                        ; implicit-def: $sgpr10
	s_and_saveexec_b64 s[8:9], s[6:7]
	s_xor_b64 s[6:7], exec, s[8:9]
	s_cbranch_execnz .LBB272_939
; %bb.674:                              ;   in Loop: Header=BB272_562 Depth=1
	s_or_saveexec_b64 s[6:7], s[6:7]
	v_mov_b32_e32 v29, s10
	s_xor_b64 exec, exec, s[6:7]
	s_cbranch_execnz .LBB272_942
.LBB272_675:                            ;   in Loop: Header=BB272_562 Depth=1
	s_or_b64 exec, exec, s[6:7]
	s_and_saveexec_b64 s[6:7], s[0:1]
	s_cbranch_execz .LBB272_677
.LBB272_676:                            ;   in Loop: Header=BB272_562 Depth=1
	v_bfe_u32 v15, v24, 16, 3
	v_ffbh_u32_e32 v6, v15
	v_min_u32_e32 v17, 32, v6
	v_subrev_u32_e32 v6, 28, v17
	v_bfe_u32 v16, v24, 19, 4
	v_lshlrev_b64 v[6:7], v6, v[0:1]
	v_sub_u32_e32 v7, 29, v17
	v_cmp_eq_u32_e64 s[0:1], 0, v16
	v_and_b32_e32 v6, 7, v6
	v_lshlrev_b32_e32 v0, 8, v0
	v_cndmask_b32_e64 v7, v16, v7, s[0:1]
	v_lshl_add_u32 v7, v7, 10, v48
	v_cndmask_b32_e64 v6, v15, v6, s[0:1]
	v_and_or_b32 v0, v0, s24, v7
	v_lshl_or_b32 v0, v6, 7, v0
	v_cvt_f32_f16_e32 v29, v0
.LBB272_677:                            ;   in Loop: Header=BB272_562 Depth=1
	s_or_b64 exec, exec, s[6:7]
	v_lshrrev_b32_e32 v0, 24, v24
	v_cmp_lt_i16_e64 s[0:1], s3, v0
	s_mov_b64 s[6:7], 0
                                        ; implicit-def: $sgpr29
	s_and_saveexec_b64 s[8:9], s[0:1]
	s_xor_b64 s[8:9], exec, s[8:9]
	s_cbranch_execnz .LBB272_943
; %bb.678:                              ;   in Loop: Header=BB272_562 Depth=1
	s_or_saveexec_b64 s[8:9], s[8:9]
	v_mov_b32_e32 v31, s29
	s_xor_b64 exec, exec, s[8:9]
	s_cbranch_execnz .LBB272_946
.LBB272_679:                            ;   in Loop: Header=BB272_562 Depth=1
	s_or_b64 exec, exec, s[8:9]
	s_and_saveexec_b64 s[8:9], s[6:7]
	s_cbranch_execz .LBB272_681
.LBB272_680:                            ;   in Loop: Header=BB272_562 Depth=1
	v_bfe_u32 v15, v24, 24, 3
	v_ffbh_u32_e32 v6, v15
	v_min_u32_e32 v17, 32, v6
	v_subrev_u32_e32 v6, 28, v17
	v_bfe_u32 v16, v24, 27, 4
	v_lshlrev_b64 v[6:7], v6, v[0:1]
	v_sub_u32_e32 v7, 29, v17
	v_cmp_eq_u32_e64 s[0:1], 0, v16
	v_and_b32_e32 v6, 7, v6
	v_lshlrev_b32_e32 v0, 8, v0
	v_cndmask_b32_e64 v7, v16, v7, s[0:1]
	v_lshl_add_u32 v7, v7, 10, v48
	v_cndmask_b32_e64 v6, v15, v6, s[0:1]
	v_and_or_b32 v0, v0, s24, v7
	v_lshl_or_b32 v0, v6, 7, v0
	v_cvt_f32_f16_e32 v31, v0
.LBB272_681:                            ;   in Loop: Header=BB272_562 Depth=1
	s_or_b64 exec, exec, s[8:9]
	v_cmp_gt_i16_sdwa s[6:7], v25, s3 src0_sel:BYTE_0 src1_sel:DWORD
	s_mov_b64 s[0:1], 0
                                        ; implicit-def: $sgpr10
	s_and_saveexec_b64 s[8:9], s[6:7]
	s_xor_b64 s[6:7], exec, s[8:9]
	s_cbranch_execnz .LBB272_947
; %bb.682:                              ;   in Loop: Header=BB272_562 Depth=1
	s_or_saveexec_b64 s[6:7], s[6:7]
	v_mov_b32_e32 v6, s10
	s_xor_b64 exec, exec, s[6:7]
	s_cbranch_execnz .LBB272_950
.LBB272_683:                            ;   in Loop: Header=BB272_562 Depth=1
	s_or_b64 exec, exec, s[6:7]
	v_mov_b32_e32 v0, v25
	s_and_saveexec_b64 s[6:7], s[0:1]
	s_cbranch_execz .LBB272_685
.LBB272_684:                            ;   in Loop: Header=BB272_562 Depth=1
	v_and_b32_e32 v6, 7, v25
	v_ffbh_u32_e32 v6, v6
	v_bfe_u32 v7, v25, 3, 4
	v_min_u32_e32 v6, 32, v6
	v_subrev_u32_e32 v15, 28, v6
	v_sub_u32_e32 v6, 29, v6
	v_cmp_eq_u32_e64 s[0:1], 0, v7
	s_nop 1
	v_cndmask_b32_e64 v16, v7, v6, s[0:1]
	v_cndmask_b32_e64 v6, 0, v15, s[0:1]
	v_lshlrev_b64 v[6:7], v6, v[0:1]
	v_lshlrev_b32_e32 v7, 8, v25
	v_lshl_add_u32 v15, v16, 10, v48
	v_lshlrev_b32_e32 v6, 7, v6
	v_and_or_b32 v7, v7, s24, v15
	v_and_or_b32 v6, v6, s25, v7
	v_cvt_f32_f16_e32 v6, v6
.LBB272_685:                            ;   in Loop: Header=BB272_562 Depth=1
	s_or_b64 exec, exec, s[6:7]
	v_lshrrev_b16_e32 v0, 8, v0
	v_cmp_lt_i16_e64 s[0:1], s3, v0
	s_mov_b64 s[6:7], 0
                                        ; implicit-def: $sgpr29
	s_and_saveexec_b64 s[8:9], s[0:1]
	s_xor_b64 s[8:9], exec, s[8:9]
	s_cbranch_execnz .LBB272_951
; %bb.686:                              ;   in Loop: Header=BB272_562 Depth=1
	s_or_saveexec_b64 s[8:9], s[8:9]
	v_mov_b32_e32 v7, s29
	s_xor_b64 exec, exec, s[8:9]
	s_cbranch_execnz .LBB272_954
.LBB272_687:                            ;   in Loop: Header=BB272_562 Depth=1
	s_or_b64 exec, exec, s[8:9]
	s_and_saveexec_b64 s[8:9], s[6:7]
	s_cbranch_execz .LBB272_689
.LBB272_688:                            ;   in Loop: Header=BB272_562 Depth=1
	v_and_b32_e32 v7, 7, v0
	v_ffbh_u32_e32 v16, v7
	v_min_u32_e32 v18, 32, v16
	v_subrev_u32_e32 v16, 28, v18
	v_bfe_u32 v15, v0, 3, 4
	v_lshlrev_b64 v[16:17], v16, v[0:1]
	v_sub_u32_e32 v17, 29, v18
	v_cmp_eq_u32_e64 s[0:1], 0, v15
	v_and_b32_e32 v16, 7, v16
	v_lshlrev_b32_e32 v0, 8, v0
	v_cndmask_b32_e64 v15, v15, v17, s[0:1]
	v_lshl_add_u32 v15, v15, 10, v48
	v_cndmask_b32_e64 v7, v7, v16, s[0:1]
	v_and_or_b32 v0, v0, s24, v15
	v_lshl_or_b32 v0, v7, 7, v0
	v_cvt_f32_f16_e32 v7, v0
.LBB272_689:                            ;   in Loop: Header=BB272_562 Depth=1
	s_or_b64 exec, exec, s[8:9]
	v_lshrrev_b32_e32 v0, 16, v25
	v_cmp_gt_i16_sdwa s[6:7], v0, s3 src0_sel:BYTE_0 src1_sel:DWORD
	s_mov_b64 s[0:1], 0
                                        ; implicit-def: $sgpr10
	s_and_saveexec_b64 s[8:9], s[6:7]
	s_xor_b64 s[6:7], exec, s[8:9]
	s_cbranch_execnz .LBB272_955
; %bb.690:                              ;   in Loop: Header=BB272_562 Depth=1
	s_or_saveexec_b64 s[6:7], s[6:7]
	v_mov_b32_e32 v15, s10
	s_xor_b64 exec, exec, s[6:7]
	s_cbranch_execnz .LBB272_958
.LBB272_691:                            ;   in Loop: Header=BB272_562 Depth=1
	s_or_b64 exec, exec, s[6:7]
	s_and_saveexec_b64 s[6:7], s[0:1]
	s_cbranch_execz .LBB272_693
.LBB272_692:                            ;   in Loop: Header=BB272_562 Depth=1
	v_bfe_u32 v15, v25, 16, 3
	v_ffbh_u32_e32 v16, v15
	v_min_u32_e32 v20, 32, v16
	v_subrev_u32_e32 v16, 28, v20
	v_bfe_u32 v18, v25, 19, 4
	v_lshlrev_b64 v[16:17], v16, v[0:1]
	v_sub_u32_e32 v17, 29, v20
	v_cmp_eq_u32_e64 s[0:1], 0, v18
	v_and_b32_e32 v16, 7, v16
	v_lshlrev_b32_e32 v0, 8, v0
	v_cndmask_b32_e64 v17, v18, v17, s[0:1]
	v_cndmask_b32_e64 v15, v15, v16, s[0:1]
	v_lshl_add_u32 v16, v17, 10, v48
	v_and_or_b32 v0, v0, s24, v16
	v_lshl_or_b32 v0, v15, 7, v0
	v_cvt_f32_f16_e32 v15, v0
.LBB272_693:                            ;   in Loop: Header=BB272_562 Depth=1
	s_or_b64 exec, exec, s[6:7]
	v_lshrrev_b32_e32 v0, 24, v25
	v_cmp_lt_i16_e64 s[0:1], s3, v0
	s_mov_b64 s[6:7], 0
                                        ; implicit-def: $sgpr29
	s_and_saveexec_b64 s[8:9], s[0:1]
	s_xor_b64 s[8:9], exec, s[8:9]
	s_cbranch_execnz .LBB272_959
; %bb.694:                              ;   in Loop: Header=BB272_562 Depth=1
	s_or_saveexec_b64 s[8:9], s[8:9]
	v_mov_b32_e32 v17, s29
	s_xor_b64 exec, exec, s[8:9]
	s_cbranch_execnz .LBB272_962
.LBB272_695:                            ;   in Loop: Header=BB272_562 Depth=1
	s_or_b64 exec, exec, s[8:9]
	s_and_saveexec_b64 s[8:9], s[6:7]
	s_cbranch_execz .LBB272_697
.LBB272_696:                            ;   in Loop: Header=BB272_562 Depth=1
	v_bfe_u32 v18, v25, 24, 3
	v_ffbh_u32_e32 v16, v18
	v_min_u32_e32 v21, 32, v16
	v_subrev_u32_e32 v16, 28, v21
	v_bfe_u32 v20, v25, 27, 4
	v_lshlrev_b64 v[16:17], v16, v[0:1]
	v_sub_u32_e32 v17, 29, v21
	v_cmp_eq_u32_e64 s[0:1], 0, v20
	v_and_b32_e32 v16, 7, v16
	v_lshlrev_b32_e32 v0, 8, v0
	v_cndmask_b32_e64 v17, v20, v17, s[0:1]
	v_lshl_add_u32 v17, v17, 10, v48
	v_cndmask_b32_e64 v16, v18, v16, s[0:1]
	v_and_or_b32 v0, v0, s24, v17
	v_lshl_or_b32 v0, v16, 7, v0
	v_cvt_f32_f16_e32 v17, v0
.LBB272_697:                            ;   in Loop: Header=BB272_562 Depth=1
	s_or_b64 exec, exec, s[8:9]
	v_pk_mul_f32 v[24:25], v[14:15], v[30:31] op_sel_hi:[0,1]
	v_pk_mul_f32 v[26:27], v[14:15], v[28:29] op_sel_hi:[0,1]
	v_cvt_f16_f32_e32 v0, v25
	v_cvt_f16_f32_e32 v16, v24
	;; [unrolled: 1-line block ×4, first 2 shown]
	v_fma_mixlo_f16 v7, v14, v7, 0
	v_lshlrev_b32_e32 v7, 16, v7
	v_fma_mixlo_f16 v6, v14, v6, 0
	v_or_b32_sdwa v6, v7, v6 dst_sel:DWORD dst_unused:UNUSED_PAD src0_sel:DWORD src1_sel:WORD_0
	v_fma_mixlo_f16 v7, v14, v17, 0
	v_pack_b32_f16 v16, v16, v0
	v_pack_b32_f16 v18, v20, v18
	v_fma_mixlo_f16 v15, v14, v15, 0
	v_lshlrev_b32_e32 v7, 16, v7
	v_perm_b32 v0, v18, v16, s26
	v_perm_b32 v16, v18, v16, s27
	v_or_b32_sdwa v7, v7, v15 dst_sel:DWORD dst_unused:UNUSED_PAD src0_sel:DWORD src1_sel:WORD_0
	s_and_saveexec_b64 s[6:7], vcc
	s_cbranch_execz .LBB272_699
; %bb.698:                              ;   in Loop: Header=BB272_562 Depth=1
	v_lshrrev_b32_e32 v14, 16, v16
	v_cmp_lt_i32_e64 s[0:1], v56, v3
	v_accvgpr_read_b32 v18, a8
	v_lshrrev_b32_e32 v7, 16, v7
	v_cndmask_b32_e64 v14, 0, v14, s[0:1]
	v_cmp_lt_i32_e64 s[0:1], v43, v18
	s_nop 1
	v_cndmask_b32_e64 v16, 0, v16, s[0:1]
	v_perm_b32 v16, v14, v16, s28
	v_lshrrev_b32_e32 v14, 16, v0
	v_cmp_lt_i32_e64 s[0:1], v47, v3
	s_nop 1
	v_cndmask_b32_e64 v14, 0, v14, s[0:1]
	v_cmp_lt_i32_e64 s[0:1], v46, v18
	s_nop 1
	v_cndmask_b32_e64 v0, 0, v0, s[0:1]
	v_perm_b32 v0, v14, v0, s28
	v_lshrrev_b32_e32 v14, 16, v6
	v_cmp_lt_i32_e64 s[0:1], v45, v3
	s_nop 1
	v_cndmask_b32_e64 v14, 0, v14, s[0:1]
	v_cmp_lt_i32_e64 s[0:1], v44, v18
	s_nop 1
	v_cndmask_b32_e64 v6, 0, v6, s[0:1]
	v_cmp_lt_i32_e64 s[0:1], v42, v3
	v_perm_b32 v6, v14, v6, s28
	s_nop 0
	v_cndmask_b32_e64 v7, 0, v7, s[0:1]
	v_cmp_lt_i32_e64 s[0:1], v49, v18
	s_nop 1
	v_cndmask_b32_e64 v14, 0, v15, s[0:1]
	v_perm_b32 v7, v7, v14, s28
.LBB272_699:                            ;   in Loop: Header=BB272_562 Depth=1
	s_or_b64 exec, exec, s[6:7]
	;;#ASMSTART
	v_pk_mul_f16 v14, v60, v16;

	;;#ASMEND
	;;#ASMSTART
	v_pk_mul_f16 v0, v59, v0;

	;;#ASMEND
	;; [unrolled: 4-line block ×4, first 2 shown]
	s_mov_b64 s[0:1], 0
	;;#ASMSTART
	v_pk_add_f16 v0, v14, v0;

	;;#ASMEND
                                        ; implicit-def: $sgpr10
	s_nop 0
	;;#ASMSTART
	v_pk_add_f16 v0, v0, v6;

	;;#ASMEND
	s_nop 0
	;;#ASMSTART
	v_pk_add_f16 v0, v0, v7;

	;;#ASMEND
	s_nop 0
	v_lshrrev_b32_e32 v6, 16, v0
	v_and_b32_e32 v0, 0xffff, v0
	;;#ASMSTART
	v_cvt_f32_f16 v16, v0;
	;;#ASMEND
	;;#ASMSTART
	v_cvt_f32_f16 v21, v6;
	;;#ASMEND
	v_accvgpr_read_b32 v7, a5
	flat_load_dwordx2 v[24:25], v[12:13] offset:2048
	v_accvgpr_read_b32 v6, a4
	flat_load_dword v14, v[6:7]
	s_waitcnt vmcnt(0) lgkmcnt(0)
	v_cmp_gt_i16_sdwa s[6:7], v24, s3 src0_sel:BYTE_0 src1_sel:DWORD
	s_and_saveexec_b64 s[8:9], s[6:7]
	s_xor_b64 s[6:7], exec, s[8:9]
	s_cbranch_execnz .LBB272_963
; %bb.700:                              ;   in Loop: Header=BB272_562 Depth=1
	s_or_saveexec_b64 s[6:7], s[6:7]
	v_mov_b32_e32 v28, s10
	s_xor_b64 exec, exec, s[6:7]
	s_cbranch_execnz .LBB272_966
.LBB272_701:                            ;   in Loop: Header=BB272_562 Depth=1
	s_or_b64 exec, exec, s[6:7]
	s_and_saveexec_b64 s[6:7], s[0:1]
	s_cbranch_execz .LBB272_703
.LBB272_702:                            ;   in Loop: Header=BB272_562 Depth=1
	v_and_b32_e32 v0, 7, v24
	v_ffbh_u32_e32 v0, v0
	v_bfe_u32 v6, v24, 3, 4
	v_min_u32_e32 v0, 32, v0
	v_subrev_u32_e32 v7, 28, v0
	v_sub_u32_e32 v0, 29, v0
	v_cmp_eq_u32_e64 s[0:1], 0, v6
	s_nop 1
	v_cndmask_b32_e64 v0, v6, v0, s[0:1]
	v_cndmask_b32_e64 v6, 0, v7, s[0:1]
	v_lshlrev_b64 v[6:7], v6, v[24:25]
	v_lshlrev_b32_e32 v7, 8, v24
	v_lshl_add_u32 v0, v0, 10, v48
	v_lshlrev_b32_e32 v6, 7, v6
	v_and_or_b32 v0, v7, s24, v0
	v_and_or_b32 v0, v6, s25, v0
	v_cvt_f32_f16_e32 v28, v0
.LBB272_703:                            ;   in Loop: Header=BB272_562 Depth=1
	s_or_b64 exec, exec, s[6:7]
	v_lshrrev_b16_e32 v0, 8, v24
	v_cmp_lt_i16_e64 s[0:1], s3, v0
	s_mov_b64 s[6:7], 0
                                        ; implicit-def: $sgpr29
	s_and_saveexec_b64 s[8:9], s[0:1]
	s_xor_b64 s[8:9], exec, s[8:9]
	s_cbranch_execnz .LBB272_967
; %bb.704:                              ;   in Loop: Header=BB272_562 Depth=1
	s_or_saveexec_b64 s[8:9], s[8:9]
	v_mov_b32_e32 v30, s29
	s_xor_b64 exec, exec, s[8:9]
	s_cbranch_execnz .LBB272_970
.LBB272_705:                            ;   in Loop: Header=BB272_562 Depth=1
	s_or_b64 exec, exec, s[8:9]
	s_and_saveexec_b64 s[8:9], s[6:7]
	s_cbranch_execz .LBB272_707
.LBB272_706:                            ;   in Loop: Header=BB272_562 Depth=1
	v_and_b32_e32 v15, 7, v0
	v_ffbh_u32_e32 v6, v15
	v_min_u32_e32 v18, 32, v6
	v_subrev_u32_e32 v6, 28, v18
	v_bfe_u32 v17, v0, 3, 4
	v_lshlrev_b64 v[6:7], v6, v[0:1]
	v_sub_u32_e32 v7, 29, v18
	v_cmp_eq_u32_e64 s[0:1], 0, v17
	v_and_b32_e32 v6, 7, v6
	v_lshlrev_b32_e32 v0, 8, v0
	v_cndmask_b32_e64 v7, v17, v7, s[0:1]
	v_lshl_add_u32 v7, v7, 10, v48
	v_cndmask_b32_e64 v6, v15, v6, s[0:1]
	v_and_or_b32 v0, v0, s24, v7
	v_lshl_or_b32 v0, v6, 7, v0
	v_cvt_f32_f16_e32 v30, v0
.LBB272_707:                            ;   in Loop: Header=BB272_562 Depth=1
	s_or_b64 exec, exec, s[8:9]
	v_lshrrev_b32_e32 v0, 16, v24
	v_cmp_gt_i16_sdwa s[6:7], v0, s3 src0_sel:BYTE_0 src1_sel:DWORD
	s_mov_b64 s[0:1], 0
                                        ; implicit-def: $sgpr10
	s_and_saveexec_b64 s[8:9], s[6:7]
	s_xor_b64 s[6:7], exec, s[8:9]
	s_cbranch_execnz .LBB272_971
; %bb.708:                              ;   in Loop: Header=BB272_562 Depth=1
	s_or_saveexec_b64 s[6:7], s[6:7]
	v_mov_b32_e32 v29, s10
	s_xor_b64 exec, exec, s[6:7]
	s_cbranch_execnz .LBB272_974
.LBB272_709:                            ;   in Loop: Header=BB272_562 Depth=1
	s_or_b64 exec, exec, s[6:7]
	s_and_saveexec_b64 s[6:7], s[0:1]
	s_cbranch_execz .LBB272_711
.LBB272_710:                            ;   in Loop: Header=BB272_562 Depth=1
	v_bfe_u32 v15, v24, 16, 3
	v_ffbh_u32_e32 v6, v15
	v_min_u32_e32 v18, 32, v6
	v_subrev_u32_e32 v6, 28, v18
	v_bfe_u32 v17, v24, 19, 4
	v_lshlrev_b64 v[6:7], v6, v[0:1]
	v_sub_u32_e32 v7, 29, v18
	v_cmp_eq_u32_e64 s[0:1], 0, v17
	v_and_b32_e32 v6, 7, v6
	v_lshlrev_b32_e32 v0, 8, v0
	v_cndmask_b32_e64 v7, v17, v7, s[0:1]
	v_lshl_add_u32 v7, v7, 10, v48
	v_cndmask_b32_e64 v6, v15, v6, s[0:1]
	v_and_or_b32 v0, v0, s24, v7
	v_lshl_or_b32 v0, v6, 7, v0
	v_cvt_f32_f16_e32 v29, v0
.LBB272_711:                            ;   in Loop: Header=BB272_562 Depth=1
	s_or_b64 exec, exec, s[6:7]
	v_lshrrev_b32_e32 v0, 24, v24
	v_cmp_lt_i16_e64 s[0:1], s3, v0
	s_mov_b64 s[6:7], 0
                                        ; implicit-def: $sgpr29
	s_and_saveexec_b64 s[8:9], s[0:1]
	s_xor_b64 s[8:9], exec, s[8:9]
	s_cbranch_execnz .LBB272_975
; %bb.712:                              ;   in Loop: Header=BB272_562 Depth=1
	s_or_saveexec_b64 s[8:9], s[8:9]
	v_mov_b32_e32 v31, s29
	s_xor_b64 exec, exec, s[8:9]
	s_cbranch_execnz .LBB272_978
.LBB272_713:                            ;   in Loop: Header=BB272_562 Depth=1
	s_or_b64 exec, exec, s[8:9]
	s_and_saveexec_b64 s[8:9], s[6:7]
	s_cbranch_execz .LBB272_715
.LBB272_714:                            ;   in Loop: Header=BB272_562 Depth=1
	v_bfe_u32 v15, v24, 24, 3
	v_ffbh_u32_e32 v6, v15
	v_min_u32_e32 v18, 32, v6
	v_subrev_u32_e32 v6, 28, v18
	v_bfe_u32 v17, v24, 27, 4
	v_lshlrev_b64 v[6:7], v6, v[0:1]
	v_sub_u32_e32 v7, 29, v18
	v_cmp_eq_u32_e64 s[0:1], 0, v17
	v_and_b32_e32 v6, 7, v6
	v_lshlrev_b32_e32 v0, 8, v0
	v_cndmask_b32_e64 v7, v17, v7, s[0:1]
	v_lshl_add_u32 v7, v7, 10, v48
	v_cndmask_b32_e64 v6, v15, v6, s[0:1]
	v_and_or_b32 v0, v0, s24, v7
	v_lshl_or_b32 v0, v6, 7, v0
	v_cvt_f32_f16_e32 v31, v0
.LBB272_715:                            ;   in Loop: Header=BB272_562 Depth=1
	s_or_b64 exec, exec, s[8:9]
	v_cmp_gt_i16_sdwa s[6:7], v25, s3 src0_sel:BYTE_0 src1_sel:DWORD
	s_mov_b64 s[0:1], 0
                                        ; implicit-def: $sgpr10
	s_and_saveexec_b64 s[8:9], s[6:7]
	s_xor_b64 s[6:7], exec, s[8:9]
	s_cbranch_execnz .LBB272_979
; %bb.716:                              ;   in Loop: Header=BB272_562 Depth=1
	s_or_saveexec_b64 s[6:7], s[6:7]
	v_mov_b32_e32 v6, s10
	s_xor_b64 exec, exec, s[6:7]
	s_cbranch_execnz .LBB272_982
.LBB272_717:                            ;   in Loop: Header=BB272_562 Depth=1
	s_or_b64 exec, exec, s[6:7]
	v_mov_b32_e32 v0, v25
	s_and_saveexec_b64 s[6:7], s[0:1]
	s_cbranch_execz .LBB272_719
.LBB272_718:                            ;   in Loop: Header=BB272_562 Depth=1
	v_and_b32_e32 v6, 7, v25
	v_ffbh_u32_e32 v6, v6
	v_bfe_u32 v7, v25, 3, 4
	v_min_u32_e32 v6, 32, v6
	v_subrev_u32_e32 v15, 28, v6
	v_sub_u32_e32 v6, 29, v6
	v_cmp_eq_u32_e64 s[0:1], 0, v7
	s_nop 1
	v_cndmask_b32_e64 v17, v7, v6, s[0:1]
	v_cndmask_b32_e64 v6, 0, v15, s[0:1]
	v_lshlrev_b64 v[6:7], v6, v[0:1]
	v_lshlrev_b32_e32 v7, 8, v25
	v_lshl_add_u32 v15, v17, 10, v48
	v_lshlrev_b32_e32 v6, 7, v6
	v_and_or_b32 v7, v7, s24, v15
	v_and_or_b32 v6, v6, s25, v7
	v_cvt_f32_f16_e32 v6, v6
.LBB272_719:                            ;   in Loop: Header=BB272_562 Depth=1
	s_or_b64 exec, exec, s[6:7]
	v_lshrrev_b16_e32 v0, 8, v0
	v_cmp_lt_i16_e64 s[0:1], s3, v0
	s_mov_b64 s[6:7], 0
                                        ; implicit-def: $sgpr29
	s_and_saveexec_b64 s[8:9], s[0:1]
	s_xor_b64 s[8:9], exec, s[8:9]
	s_cbranch_execnz .LBB272_983
; %bb.720:                              ;   in Loop: Header=BB272_562 Depth=1
	s_or_saveexec_b64 s[8:9], s[8:9]
	v_mov_b32_e32 v7, s29
	s_xor_b64 exec, exec, s[8:9]
	s_cbranch_execnz .LBB272_986
.LBB272_721:                            ;   in Loop: Header=BB272_562 Depth=1
	s_or_b64 exec, exec, s[8:9]
	s_and_saveexec_b64 s[8:9], s[6:7]
	s_cbranch_execz .LBB272_723
.LBB272_722:                            ;   in Loop: Header=BB272_562 Depth=1
	v_and_b32_e32 v7, 7, v0
	v_ffbh_u32_e32 v17, v7
	v_bfe_u32 v15, v0, 3, 4
	v_min_u32_e32 v17, 32, v17
	v_subrev_u32_e32 v18, 28, v17
	v_sub_u32_e32 v17, 29, v17
	v_cmp_eq_u32_e64 s[0:1], 0, v15
	v_lshlrev_b64 v[26:27], v18, v[0:1]
	v_and_b32_e32 v18, 7, v26
	v_cndmask_b32_e64 v15, v15, v17, s[0:1]
	v_lshlrev_b32_e32 v0, 8, v0
	v_lshl_add_u32 v15, v15, 10, v48
	v_cndmask_b32_e64 v7, v7, v18, s[0:1]
	v_and_or_b32 v0, v0, s24, v15
	v_lshl_or_b32 v0, v7, 7, v0
	v_cvt_f32_f16_e32 v7, v0
.LBB272_723:                            ;   in Loop: Header=BB272_562 Depth=1
	s_or_b64 exec, exec, s[8:9]
	v_lshrrev_b32_e32 v0, 16, v25
	v_cmp_gt_i16_sdwa s[6:7], v0, s3 src0_sel:BYTE_0 src1_sel:DWORD
	s_mov_b64 s[0:1], 0
                                        ; implicit-def: $sgpr10
	s_and_saveexec_b64 s[8:9], s[6:7]
	s_xor_b64 s[6:7], exec, s[8:9]
	s_cbranch_execnz .LBB272_987
; %bb.724:                              ;   in Loop: Header=BB272_562 Depth=1
	s_or_saveexec_b64 s[6:7], s[6:7]
	v_mov_b32_e32 v15, s10
	s_xor_b64 exec, exec, s[6:7]
	s_cbranch_execnz .LBB272_990
.LBB272_725:                            ;   in Loop: Header=BB272_562 Depth=1
	s_or_b64 exec, exec, s[6:7]
	s_and_saveexec_b64 s[6:7], s[0:1]
	s_cbranch_execz .LBB272_727
.LBB272_726:                            ;   in Loop: Header=BB272_562 Depth=1
	v_bfe_u32 v15, v25, 16, 3
	v_ffbh_u32_e32 v18, v15
	v_bfe_u32 v17, v25, 19, 4
	v_min_u32_e32 v18, 32, v18
	v_subrev_u32_e32 v20, 28, v18
	v_sub_u32_e32 v18, 29, v18
	v_cmp_eq_u32_e64 s[0:1], 0, v17
	v_lshlrev_b64 v[26:27], v20, v[0:1]
	v_and_b32_e32 v20, 7, v26
	v_cndmask_b32_e64 v17, v17, v18, s[0:1]
	v_lshlrev_b32_e32 v0, 8, v0
	v_lshl_add_u32 v17, v17, 10, v48
	v_cndmask_b32_e64 v15, v15, v20, s[0:1]
	v_and_or_b32 v0, v0, s24, v17
	v_lshl_or_b32 v0, v15, 7, v0
	v_cvt_f32_f16_e32 v15, v0
.LBB272_727:                            ;   in Loop: Header=BB272_562 Depth=1
	s_or_b64 exec, exec, s[6:7]
	v_lshrrev_b32_e32 v0, 24, v25
	v_cmp_lt_i16_e64 s[0:1], s3, v0
	s_mov_b64 s[6:7], 0
                                        ; implicit-def: $sgpr29
	s_and_saveexec_b64 s[8:9], s[0:1]
	s_xor_b64 s[8:9], exec, s[8:9]
	s_cbranch_execnz .LBB272_991
; %bb.728:                              ;   in Loop: Header=BB272_562 Depth=1
	s_or_saveexec_b64 s[8:9], s[8:9]
	v_mov_b32_e32 v22, s29
	s_xor_b64 exec, exec, s[8:9]
	s_cbranch_execnz .LBB272_994
.LBB272_729:                            ;   in Loop: Header=BB272_562 Depth=1
	s_or_b64 exec, exec, s[8:9]
	s_and_saveexec_b64 s[8:9], s[6:7]
	s_cbranch_execz .LBB272_731
.LBB272_730:                            ;   in Loop: Header=BB272_562 Depth=1
	v_bfe_u32 v17, v25, 24, 3
	v_ffbh_u32_e32 v20, v17
	v_bfe_u32 v18, v25, 27, 4
	v_min_u32_e32 v20, 32, v20
	v_subrev_u32_e32 v22, 28, v20
	v_sub_u32_e32 v20, 29, v20
	v_cmp_eq_u32_e64 s[0:1], 0, v18
	v_lshlrev_b64 v[24:25], v22, v[0:1]
	v_and_b32_e32 v22, 7, v24
	v_cndmask_b32_e64 v18, v18, v20, s[0:1]
	v_lshlrev_b32_e32 v0, 8, v0
	v_lshl_add_u32 v18, v18, 10, v48
	v_cndmask_b32_e64 v17, v17, v22, s[0:1]
	v_and_or_b32 v0, v0, s24, v18
	v_lshl_or_b32 v0, v17, 7, v0
	v_cvt_f32_f16_e32 v22, v0
.LBB272_731:                            ;   in Loop: Header=BB272_562 Depth=1
	s_or_b64 exec, exec, s[8:9]
	v_pk_mul_f32 v[24:25], v[14:15], v[30:31] op_sel_hi:[0,1]
	v_pk_mul_f32 v[26:27], v[14:15], v[28:29] op_sel_hi:[0,1]
	v_cvt_f16_f32_e32 v0, v25
	v_cvt_f16_f32_e32 v17, v24
	;; [unrolled: 1-line block ×4, first 2 shown]
	v_fma_mixlo_f16 v7, v14, v7, 0
	v_lshlrev_b32_e32 v7, 16, v7
	v_fma_mixlo_f16 v6, v14, v6, 0
	v_or_b32_sdwa v6, v7, v6 dst_sel:DWORD dst_unused:UNUSED_PAD src0_sel:DWORD src1_sel:WORD_0
	v_fma_mixlo_f16 v7, v14, v22, 0
	v_pack_b32_f16 v17, v17, v0
	v_pack_b32_f16 v18, v20, v18
	v_fma_mixlo_f16 v15, v14, v15, 0
	v_lshlrev_b32_e32 v7, 16, v7
	v_perm_b32 v0, v18, v17, s26
	v_perm_b32 v17, v18, v17, s27
	v_or_b32_sdwa v7, v7, v15 dst_sel:DWORD dst_unused:UNUSED_PAD src0_sel:DWORD src1_sel:WORD_0
	s_and_saveexec_b64 s[6:7], vcc
	s_cbranch_execz .LBB272_733
; %bb.732:                              ;   in Loop: Header=BB272_562 Depth=1
	v_lshrrev_b32_e32 v14, 16, v17
	v_cmp_lt_i32_e64 s[0:1], v56, v3
	v_accvgpr_read_b32 v18, a8
	v_lshrrev_b32_e32 v7, 16, v7
	v_cndmask_b32_e64 v14, 0, v14, s[0:1]
	v_cmp_lt_i32_e64 s[0:1], v43, v18
	s_nop 1
	v_cndmask_b32_e64 v17, 0, v17, s[0:1]
	v_perm_b32 v17, v14, v17, s28
	v_lshrrev_b32_e32 v14, 16, v0
	v_cmp_lt_i32_e64 s[0:1], v47, v3
	s_nop 1
	v_cndmask_b32_e64 v14, 0, v14, s[0:1]
	v_cmp_lt_i32_e64 s[0:1], v46, v18
	s_nop 1
	v_cndmask_b32_e64 v0, 0, v0, s[0:1]
	v_perm_b32 v0, v14, v0, s28
	v_lshrrev_b32_e32 v14, 16, v6
	v_cmp_lt_i32_e64 s[0:1], v45, v3
	s_nop 1
	v_cndmask_b32_e64 v14, 0, v14, s[0:1]
	v_cmp_lt_i32_e64 s[0:1], v44, v18
	s_nop 1
	v_cndmask_b32_e64 v6, 0, v6, s[0:1]
	v_cmp_lt_i32_e64 s[0:1], v42, v3
	v_perm_b32 v6, v14, v6, s28
	s_nop 0
	v_cndmask_b32_e64 v7, 0, v7, s[0:1]
	v_cmp_lt_i32_e64 s[0:1], v49, v18
	s_nop 1
	v_cndmask_b32_e64 v14, 0, v15, s[0:1]
	v_perm_b32 v7, v7, v14, s28
.LBB272_733:                            ;   in Loop: Header=BB272_562 Depth=1
	s_or_b64 exec, exec, s[6:7]
	;;#ASMSTART
	v_pk_mul_f16 v14, v60, v17;

	;;#ASMEND
	;;#ASMSTART
	v_pk_mul_f16 v0, v59, v0;

	;;#ASMEND
	;; [unrolled: 4-line block ×4, first 2 shown]
	s_mov_b64 s[0:1], 0
	;;#ASMSTART
	v_pk_add_f16 v0, v14, v0;

	;;#ASMEND
	v_accvgpr_read_b32 v15, a5
	;;#ASMSTART
	v_pk_add_f16 v0, v0, v6;

	;;#ASMEND
	v_accvgpr_read_b32 v14, a4
	;;#ASMSTART
	v_pk_add_f16 v0, v0, v7;

	;;#ASMEND
                                        ; implicit-def: $sgpr10
	s_nop 0
	v_lshrrev_b32_e32 v6, 16, v0
	v_and_b32_e32 v0, 0xffff, v0
	;;#ASMSTART
	v_cvt_f32_f16 v7, v0;
	;;#ASMEND
	;;#ASMSTART
	v_cvt_f32_f16 v22, v6;
	;;#ASMEND
	flat_load_dwordx2 v[24:25], v[12:13] offset:2560
	s_waitcnt vmcnt(0) lgkmcnt(0)
	v_cmp_gt_i16_sdwa s[6:7], v24, s3 src0_sel:BYTE_0 src1_sel:DWORD
	flat_load_dword v14, v[14:15]
	s_and_saveexec_b64 s[8:9], s[6:7]
	s_xor_b64 s[6:7], exec, s[8:9]
	s_cbranch_execnz .LBB272_995
; %bb.734:                              ;   in Loop: Header=BB272_562 Depth=1
	s_or_saveexec_b64 s[6:7], s[6:7]
	v_mov_b32_e32 v28, s10
	s_xor_b64 exec, exec, s[6:7]
	s_cbranch_execnz .LBB272_998
.LBB272_735:                            ;   in Loop: Header=BB272_562 Depth=1
	s_or_b64 exec, exec, s[6:7]
	s_and_saveexec_b64 s[6:7], s[0:1]
	s_cbranch_execz .LBB272_737
.LBB272_736:                            ;   in Loop: Header=BB272_562 Depth=1
	v_and_b32_e32 v0, 7, v24
	v_ffbh_u32_e32 v0, v0
	v_bfe_u32 v6, v24, 3, 4
	v_min_u32_e32 v0, 32, v0
	v_subrev_u32_e32 v15, 28, v0
	v_sub_u32_e32 v0, 29, v0
	v_cmp_eq_u32_e64 s[0:1], 0, v6
	s_nop 1
	v_cndmask_b32_e64 v0, v6, v0, s[0:1]
	v_cndmask_b32_e64 v6, 0, v15, s[0:1]
	v_lshlrev_b64 v[26:27], v6, v[24:25]
	v_lshlrev_b32_e32 v15, 8, v24
	v_lshl_add_u32 v0, v0, 10, v48
	v_lshlrev_b32_e32 v6, 7, v26
	v_and_or_b32 v0, v15, s24, v0
	v_and_or_b32 v0, v6, s25, v0
	v_cvt_f32_f16_e32 v28, v0
.LBB272_737:                            ;   in Loop: Header=BB272_562 Depth=1
	s_or_b64 exec, exec, s[6:7]
	v_lshrrev_b16_e32 v0, 8, v24
	v_cmp_lt_i16_e64 s[0:1], s3, v0
	s_mov_b64 s[6:7], 0
                                        ; implicit-def: $sgpr29
	s_and_saveexec_b64 s[8:9], s[0:1]
	s_xor_b64 s[8:9], exec, s[8:9]
	s_cbranch_execnz .LBB272_999
; %bb.738:                              ;   in Loop: Header=BB272_562 Depth=1
	s_or_saveexec_b64 s[8:9], s[8:9]
	v_mov_b32_e32 v30, s29
	s_xor_b64 exec, exec, s[8:9]
	s_cbranch_execnz .LBB272_1002
.LBB272_739:                            ;   in Loop: Header=BB272_562 Depth=1
	s_or_b64 exec, exec, s[8:9]
	s_and_saveexec_b64 s[8:9], s[6:7]
	s_cbranch_execz .LBB272_741
.LBB272_740:                            ;   in Loop: Header=BB272_562 Depth=1
	v_and_b32_e32 v6, 7, v0
	v_ffbh_u32_e32 v17, v6
	v_bfe_u32 v15, v0, 3, 4
	v_min_u32_e32 v17, 32, v17
	v_subrev_u32_e32 v18, 28, v17
	v_sub_u32_e32 v17, 29, v17
	v_cmp_eq_u32_e64 s[0:1], 0, v15
	v_lshlrev_b64 v[26:27], v18, v[0:1]
	v_and_b32_e32 v18, 7, v26
	v_cndmask_b32_e64 v15, v15, v17, s[0:1]
	v_lshlrev_b32_e32 v0, 8, v0
	v_lshl_add_u32 v15, v15, 10, v48
	v_cndmask_b32_e64 v6, v6, v18, s[0:1]
	v_and_or_b32 v0, v0, s24, v15
	v_lshl_or_b32 v0, v6, 7, v0
	v_cvt_f32_f16_e32 v30, v0
.LBB272_741:                            ;   in Loop: Header=BB272_562 Depth=1
	s_or_b64 exec, exec, s[8:9]
	v_lshrrev_b32_e32 v0, 16, v24
	v_cmp_gt_i16_sdwa s[6:7], v0, s3 src0_sel:BYTE_0 src1_sel:DWORD
	s_mov_b64 s[0:1], 0
                                        ; implicit-def: $sgpr10
	s_and_saveexec_b64 s[8:9], s[6:7]
	s_xor_b64 s[6:7], exec, s[8:9]
	s_cbranch_execnz .LBB272_1003
; %bb.742:                              ;   in Loop: Header=BB272_562 Depth=1
	s_or_saveexec_b64 s[6:7], s[6:7]
	v_mov_b32_e32 v29, s10
	s_xor_b64 exec, exec, s[6:7]
	s_cbranch_execnz .LBB272_1006
.LBB272_743:                            ;   in Loop: Header=BB272_562 Depth=1
	s_or_b64 exec, exec, s[6:7]
	s_and_saveexec_b64 s[6:7], s[0:1]
	s_cbranch_execz .LBB272_745
.LBB272_744:                            ;   in Loop: Header=BB272_562 Depth=1
	v_bfe_u32 v6, v24, 16, 3
	v_ffbh_u32_e32 v17, v6
	v_bfe_u32 v15, v24, 19, 4
	v_min_u32_e32 v17, 32, v17
	v_subrev_u32_e32 v18, 28, v17
	v_sub_u32_e32 v17, 29, v17
	v_cmp_eq_u32_e64 s[0:1], 0, v15
	v_lshlrev_b64 v[26:27], v18, v[0:1]
	v_and_b32_e32 v18, 7, v26
	v_cndmask_b32_e64 v15, v15, v17, s[0:1]
	v_lshlrev_b32_e32 v0, 8, v0
	v_lshl_add_u32 v15, v15, 10, v48
	v_cndmask_b32_e64 v6, v6, v18, s[0:1]
	v_and_or_b32 v0, v0, s24, v15
	v_lshl_or_b32 v0, v6, 7, v0
	v_cvt_f32_f16_e32 v29, v0
.LBB272_745:                            ;   in Loop: Header=BB272_562 Depth=1
	s_or_b64 exec, exec, s[6:7]
	v_lshrrev_b32_e32 v0, 24, v24
	v_cmp_lt_i16_e64 s[0:1], s3, v0
	s_mov_b64 s[6:7], 0
                                        ; implicit-def: $sgpr29
	s_and_saveexec_b64 s[8:9], s[0:1]
	s_xor_b64 s[8:9], exec, s[8:9]
	s_cbranch_execnz .LBB272_1007
; %bb.746:                              ;   in Loop: Header=BB272_562 Depth=1
	s_or_saveexec_b64 s[8:9], s[8:9]
	v_mov_b32_e32 v31, s29
	s_xor_b64 exec, exec, s[8:9]
	s_cbranch_execnz .LBB272_1010
.LBB272_747:                            ;   in Loop: Header=BB272_562 Depth=1
	s_or_b64 exec, exec, s[8:9]
	s_and_saveexec_b64 s[8:9], s[6:7]
	s_cbranch_execz .LBB272_749
.LBB272_748:                            ;   in Loop: Header=BB272_562 Depth=1
	v_bfe_u32 v6, v24, 24, 3
	v_ffbh_u32_e32 v17, v6
	v_bfe_u32 v15, v24, 27, 4
	v_min_u32_e32 v17, 32, v17
	v_subrev_u32_e32 v18, 28, v17
	v_sub_u32_e32 v17, 29, v17
	v_cmp_eq_u32_e64 s[0:1], 0, v15
	v_lshlrev_b64 v[26:27], v18, v[0:1]
	v_and_b32_e32 v18, 7, v26
	v_cndmask_b32_e64 v15, v15, v17, s[0:1]
	v_lshlrev_b32_e32 v0, 8, v0
	v_lshl_add_u32 v15, v15, 10, v48
	v_cndmask_b32_e64 v6, v6, v18, s[0:1]
	v_and_or_b32 v0, v0, s24, v15
	v_lshl_or_b32 v0, v6, 7, v0
	v_cvt_f32_f16_e32 v31, v0
.LBB272_749:                            ;   in Loop: Header=BB272_562 Depth=1
	s_or_b64 exec, exec, s[8:9]
	v_cmp_gt_i16_sdwa s[6:7], v25, s3 src0_sel:BYTE_0 src1_sel:DWORD
	s_mov_b64 s[0:1], 0
                                        ; implicit-def: $sgpr10
	s_and_saveexec_b64 s[8:9], s[6:7]
	s_xor_b64 s[6:7], exec, s[8:9]
	s_cbranch_execnz .LBB272_1011
; %bb.750:                              ;   in Loop: Header=BB272_562 Depth=1
	s_or_saveexec_b64 s[6:7], s[6:7]
	v_mov_b32_e32 v6, s10
	s_xor_b64 exec, exec, s[6:7]
	s_cbranch_execnz .LBB272_1014
.LBB272_751:                            ;   in Loop: Header=BB272_562 Depth=1
	s_or_b64 exec, exec, s[6:7]
	v_mov_b32_e32 v0, v25
	s_and_saveexec_b64 s[6:7], s[0:1]
	s_cbranch_execz .LBB272_753
.LBB272_752:                            ;   in Loop: Header=BB272_562 Depth=1
	v_and_b32_e32 v6, 7, v25
	v_ffbh_u32_e32 v6, v6
	v_bfe_u32 v15, v25, 3, 4
	v_min_u32_e32 v6, 32, v6
	v_subrev_u32_e32 v17, 28, v6
	v_sub_u32_e32 v6, 29, v6
	v_cmp_eq_u32_e64 s[0:1], 0, v15
	s_nop 1
	v_cndmask_b32_e64 v6, v15, v6, s[0:1]
	v_cndmask_b32_e64 v15, 0, v17, s[0:1]
	v_lshlrev_b64 v[26:27], v15, v[0:1]
	v_lshlrev_b32_e32 v17, 8, v25
	v_lshl_add_u32 v6, v6, 10, v48
	v_lshlrev_b32_e32 v15, 7, v26
	v_and_or_b32 v6, v17, s24, v6
	v_and_or_b32 v6, v15, s25, v6
	v_cvt_f32_f16_e32 v6, v6
.LBB272_753:                            ;   in Loop: Header=BB272_562 Depth=1
	s_or_b64 exec, exec, s[6:7]
	v_lshrrev_b16_e32 v0, 8, v0
	v_cmp_lt_i16_e64 s[0:1], s3, v0
	s_mov_b64 s[6:7], 0
                                        ; implicit-def: $sgpr29
	s_and_saveexec_b64 s[8:9], s[0:1]
	s_xor_b64 s[8:9], exec, s[8:9]
	s_cbranch_execnz .LBB272_1015
; %bb.754:                              ;   in Loop: Header=BB272_562 Depth=1
	s_or_saveexec_b64 s[8:9], s[8:9]
	v_mov_b32_e32 v15, s29
	s_xor_b64 exec, exec, s[8:9]
	s_cbranch_execnz .LBB272_1018
.LBB272_755:                            ;   in Loop: Header=BB272_562 Depth=1
	s_or_b64 exec, exec, s[8:9]
	s_and_saveexec_b64 s[8:9], s[6:7]
	s_cbranch_execz .LBB272_757
.LBB272_756:                            ;   in Loop: Header=BB272_562 Depth=1
	v_and_b32_e32 v15, 7, v0
	v_ffbh_u32_e32 v18, v15
	v_bfe_u32 v17, v0, 3, 4
	v_min_u32_e32 v18, 32, v18
	v_subrev_u32_e32 v20, 28, v18
	v_sub_u32_e32 v18, 29, v18
	v_cmp_eq_u32_e64 s[0:1], 0, v17
	v_lshlrev_b64 v[26:27], v20, v[0:1]
	v_and_b32_e32 v20, 7, v26
	v_cndmask_b32_e64 v17, v17, v18, s[0:1]
	v_lshlrev_b32_e32 v0, 8, v0
	v_lshl_add_u32 v17, v17, 10, v48
	v_cndmask_b32_e64 v15, v15, v20, s[0:1]
	v_and_or_b32 v0, v0, s24, v17
	v_lshl_or_b32 v0, v15, 7, v0
	v_cvt_f32_f16_e32 v15, v0
.LBB272_757:                            ;   in Loop: Header=BB272_562 Depth=1
	s_or_b64 exec, exec, s[8:9]
	v_lshrrev_b32_e32 v0, 16, v25
	v_cmp_gt_i16_sdwa s[6:7], v0, s3 src0_sel:BYTE_0 src1_sel:DWORD
	s_mov_b64 s[0:1], 0
                                        ; implicit-def: $sgpr10
	s_and_saveexec_b64 s[8:9], s[6:7]
	s_xor_b64 s[6:7], exec, s[8:9]
	s_cbranch_execnz .LBB272_1019
; %bb.758:                              ;   in Loop: Header=BB272_562 Depth=1
	s_or_saveexec_b64 s[6:7], s[6:7]
	v_mov_b32_e32 v17, s10
	s_xor_b64 exec, exec, s[6:7]
	s_cbranch_execnz .LBB272_1022
.LBB272_759:                            ;   in Loop: Header=BB272_562 Depth=1
	s_or_b64 exec, exec, s[6:7]
	s_and_saveexec_b64 s[6:7], s[0:1]
	s_cbranch_execz .LBB272_761
.LBB272_760:                            ;   in Loop: Header=BB272_562 Depth=1
	v_bfe_u32 v17, v25, 16, 3
	v_ffbh_u32_e32 v20, v17
	v_bfe_u32 v18, v25, 19, 4
	v_min_u32_e32 v20, 32, v20
	v_subrev_u32_e32 v23, 28, v20
	v_sub_u32_e32 v20, 29, v20
	v_cmp_eq_u32_e64 s[0:1], 0, v18
	v_lshlrev_b64 v[26:27], v23, v[0:1]
	v_and_b32_e32 v23, 7, v26
	v_cndmask_b32_e64 v18, v18, v20, s[0:1]
	v_lshlrev_b32_e32 v0, 8, v0
	v_lshl_add_u32 v18, v18, 10, v48
	v_cndmask_b32_e64 v17, v17, v23, s[0:1]
	v_and_or_b32 v0, v0, s24, v18
	v_lshl_or_b32 v0, v17, 7, v0
	v_cvt_f32_f16_e32 v17, v0
.LBB272_761:                            ;   in Loop: Header=BB272_562 Depth=1
	s_or_b64 exec, exec, s[6:7]
	v_lshrrev_b32_e32 v0, 24, v25
	v_cmp_lt_i16_e64 s[0:1], s3, v0
	s_mov_b64 s[6:7], 0
                                        ; implicit-def: $sgpr29
	s_and_saveexec_b64 s[8:9], s[0:1]
	s_xor_b64 s[8:9], exec, s[8:9]
	s_cbranch_execnz .LBB272_1023
; %bb.762:                              ;   in Loop: Header=BB272_562 Depth=1
	s_or_saveexec_b64 s[8:9], s[8:9]
	v_mov_b32_e32 v26, s29
	s_xor_b64 exec, exec, s[8:9]
	s_cbranch_execnz .LBB272_1026
.LBB272_763:                            ;   in Loop: Header=BB272_562 Depth=1
	s_or_b64 exec, exec, s[8:9]
	s_and_saveexec_b64 s[8:9], s[6:7]
	s_cbranch_execz .LBB272_765
.LBB272_764:                            ;   in Loop: Header=BB272_562 Depth=1
	v_bfe_u32 v18, v25, 24, 3
	v_ffbh_u32_e32 v23, v18
	v_bfe_u32 v20, v25, 27, 4
	v_min_u32_e32 v23, 32, v23
	v_subrev_u32_e32 v24, 28, v23
	v_sub_u32_e32 v23, 29, v23
	v_cmp_eq_u32_e64 s[0:1], 0, v20
	v_lshlrev_b64 v[24:25], v24, v[0:1]
	v_and_b32_e32 v24, 7, v24
	v_cndmask_b32_e64 v20, v20, v23, s[0:1]
	v_lshlrev_b32_e32 v0, 8, v0
	v_lshl_add_u32 v20, v20, 10, v48
	v_cndmask_b32_e64 v18, v18, v24, s[0:1]
	v_and_or_b32 v0, v0, s24, v20
	v_lshl_or_b32 v0, v18, 7, v0
	v_cvt_f32_f16_e32 v26, v0
.LBB272_765:                            ;   in Loop: Header=BB272_562 Depth=1
	s_or_b64 exec, exec, s[8:9]
	s_waitcnt vmcnt(0) lgkmcnt(0)
	v_pk_mul_f32 v[24:25], v[14:15], v[30:31] op_sel_hi:[0,1]
	v_pk_mul_f32 v[28:29], v[14:15], v[28:29] op_sel_hi:[0,1]
	v_cvt_f16_f32_e32 v0, v25
	v_cvt_f16_f32_e32 v18, v24
	;; [unrolled: 1-line block ×4, first 2 shown]
	v_fma_mixlo_f16 v15, v14, v15, 0
	v_lshlrev_b32_e32 v15, 16, v15
	v_fma_mixlo_f16 v6, v14, v6, 0
	v_or_b32_sdwa v6, v15, v6 dst_sel:DWORD dst_unused:UNUSED_PAD src0_sel:DWORD src1_sel:WORD_0
	v_fma_mixlo_f16 v15, v14, v17, 0
	v_fma_mixlo_f16 v14, v14, v26, 0
	v_pack_b32_f16 v18, v18, v0
	v_pack_b32_f16 v20, v23, v20
	v_lshlrev_b32_e32 v14, 16, v14
	v_perm_b32 v0, v20, v18, s26
	v_perm_b32 v24, v20, v18, s27
	v_or_b32_sdwa v14, v14, v15 dst_sel:DWORD dst_unused:UNUSED_PAD src0_sel:DWORD src1_sel:WORD_0
	s_and_saveexec_b64 s[6:7], vcc
	s_cbranch_execz .LBB272_767
; %bb.766:                              ;   in Loop: Header=BB272_562 Depth=1
	v_lshrrev_b32_e32 v17, 16, v24
	v_cmp_lt_i32_e64 s[0:1], v56, v3
	v_accvgpr_read_b32 v20, a8
	v_lshrrev_b32_e32 v14, 16, v14
	v_cndmask_b32_e64 v17, 0, v17, s[0:1]
	v_cmp_lt_i32_e64 s[0:1], v43, v20
	s_nop 1
	v_cndmask_b32_e64 v18, 0, v24, s[0:1]
	v_perm_b32 v24, v17, v18, s28
	v_lshrrev_b32_e32 v17, 16, v0
	v_cmp_lt_i32_e64 s[0:1], v47, v3
	s_nop 1
	v_cndmask_b32_e64 v17, 0, v17, s[0:1]
	v_cmp_lt_i32_e64 s[0:1], v46, v20
	s_nop 1
	v_cndmask_b32_e64 v0, 0, v0, s[0:1]
	v_perm_b32 v0, v17, v0, s28
	v_lshrrev_b32_e32 v17, 16, v6
	v_cmp_lt_i32_e64 s[0:1], v45, v3
	s_nop 1
	v_cndmask_b32_e64 v17, 0, v17, s[0:1]
	v_cmp_lt_i32_e64 s[0:1], v44, v20
	s_nop 1
	v_cndmask_b32_e64 v6, 0, v6, s[0:1]
	v_cmp_lt_i32_e64 s[0:1], v42, v3
	v_perm_b32 v6, v17, v6, s28
	s_nop 0
	v_cndmask_b32_e64 v14, 0, v14, s[0:1]
	v_cmp_lt_i32_e64 s[0:1], v49, v20
	s_nop 1
	v_cndmask_b32_e64 v15, 0, v15, s[0:1]
	v_perm_b32 v14, v14, v15, s28
.LBB272_767:                            ;   in Loop: Header=BB272_562 Depth=1
	s_or_b64 exec, exec, s[6:7]
	;;#ASMSTART
	v_pk_mul_f16 v15, v60, v24;

	;;#ASMEND
	;;#ASMSTART
	v_pk_mul_f16 v0, v59, v0;

	;;#ASMEND
	;; [unrolled: 4-line block ×4, first 2 shown]
	s_mov_b64 s[0:1], 0
	;;#ASMSTART
	v_pk_add_f16 v0, v15, v0;

	;;#ASMEND
                                        ; implicit-def: $sgpr10
	s_nop 0
	;;#ASMSTART
	v_pk_add_f16 v0, v0, v6;

	;;#ASMEND
	s_nop 0
	;;#ASMSTART
	v_pk_add_f16 v0, v0, v14;

	;;#ASMEND
	s_nop 0
	v_lshrrev_b32_e32 v14, 16, v0
	v_and_b32_e32 v0, 0xffff, v0
	;;#ASMSTART
	v_cvt_f32_f16 v6, v0;
	;;#ASMEND
	;;#ASMSTART
	v_cvt_f32_f16 v50, v14;
	;;#ASMEND
	v_accvgpr_read_b32 v15, a5
	flat_load_dwordx2 v[24:25], v[12:13] offset:3072
	v_accvgpr_read_b32 v14, a4
	flat_load_dword v14, v[14:15]
	s_waitcnt vmcnt(0) lgkmcnt(0)
	v_cmp_gt_i16_sdwa s[6:7], v24, s3 src0_sel:BYTE_0 src1_sel:DWORD
	s_and_saveexec_b64 s[8:9], s[6:7]
	s_xor_b64 s[6:7], exec, s[8:9]
	s_cbranch_execnz .LBB272_1027
; %bb.768:                              ;   in Loop: Header=BB272_562 Depth=1
	s_or_saveexec_b64 s[6:7], s[6:7]
	v_mov_b32_e32 v28, s10
	s_xor_b64 exec, exec, s[6:7]
	s_cbranch_execnz .LBB272_1030
.LBB272_769:                            ;   in Loop: Header=BB272_562 Depth=1
	s_or_b64 exec, exec, s[6:7]
	s_and_saveexec_b64 s[6:7], s[0:1]
	s_cbranch_execz .LBB272_771
.LBB272_770:                            ;   in Loop: Header=BB272_562 Depth=1
	v_and_b32_e32 v0, 7, v24
	v_ffbh_u32_e32 v0, v0
	v_bfe_u32 v15, v24, 3, 4
	v_min_u32_e32 v0, 32, v0
	v_subrev_u32_e32 v17, 28, v0
	v_sub_u32_e32 v0, 29, v0
	v_cmp_eq_u32_e64 s[0:1], 0, v15
	s_nop 1
	v_cndmask_b32_e64 v0, v15, v0, s[0:1]
	v_cndmask_b32_e64 v15, 0, v17, s[0:1]
	v_lshlrev_b64 v[26:27], v15, v[24:25]
	v_lshlrev_b32_e32 v17, 8, v24
	v_lshl_add_u32 v0, v0, 10, v48
	v_lshlrev_b32_e32 v15, 7, v26
	v_and_or_b32 v0, v17, s24, v0
	v_and_or_b32 v0, v15, s25, v0
	v_cvt_f32_f16_e32 v28, v0
.LBB272_771:                            ;   in Loop: Header=BB272_562 Depth=1
	s_or_b64 exec, exec, s[6:7]
	v_lshrrev_b16_e32 v0, 8, v24
	v_cmp_lt_i16_e64 s[0:1], s3, v0
	s_mov_b64 s[6:7], 0
                                        ; implicit-def: $sgpr29
	s_and_saveexec_b64 s[8:9], s[0:1]
	s_xor_b64 s[8:9], exec, s[8:9]
	s_cbranch_execnz .LBB272_1031
; %bb.772:                              ;   in Loop: Header=BB272_562 Depth=1
	s_or_saveexec_b64 s[8:9], s[8:9]
	v_mov_b32_e32 v30, s29
	s_xor_b64 exec, exec, s[8:9]
	s_cbranch_execnz .LBB272_1034
.LBB272_773:                            ;   in Loop: Header=BB272_562 Depth=1
	s_or_b64 exec, exec, s[8:9]
	s_and_saveexec_b64 s[8:9], s[6:7]
	s_cbranch_execz .LBB272_775
.LBB272_774:                            ;   in Loop: Header=BB272_562 Depth=1
	v_and_b32_e32 v15, 7, v0
	v_ffbh_u32_e32 v18, v15
	v_bfe_u32 v17, v0, 3, 4
	v_min_u32_e32 v18, 32, v18
	v_subrev_u32_e32 v20, 28, v18
	v_sub_u32_e32 v18, 29, v18
	v_cmp_eq_u32_e64 s[0:1], 0, v17
	v_lshlrev_b64 v[26:27], v20, v[0:1]
	v_and_b32_e32 v20, 7, v26
	v_cndmask_b32_e64 v17, v17, v18, s[0:1]
	v_lshlrev_b32_e32 v0, 8, v0
	v_lshl_add_u32 v17, v17, 10, v48
	v_cndmask_b32_e64 v15, v15, v20, s[0:1]
	v_and_or_b32 v0, v0, s24, v17
	v_lshl_or_b32 v0, v15, 7, v0
	v_cvt_f32_f16_e32 v30, v0
.LBB272_775:                            ;   in Loop: Header=BB272_562 Depth=1
	s_or_b64 exec, exec, s[8:9]
	v_lshrrev_b32_e32 v0, 16, v24
	v_cmp_gt_i16_sdwa s[6:7], v0, s3 src0_sel:BYTE_0 src1_sel:DWORD
	s_mov_b64 s[0:1], 0
                                        ; implicit-def: $sgpr10
	s_and_saveexec_b64 s[8:9], s[6:7]
	s_xor_b64 s[6:7], exec, s[8:9]
	s_cbranch_execnz .LBB272_1035
; %bb.776:                              ;   in Loop: Header=BB272_562 Depth=1
	s_or_saveexec_b64 s[6:7], s[6:7]
	v_mov_b32_e32 v29, s10
	s_xor_b64 exec, exec, s[6:7]
	s_cbranch_execnz .LBB272_1038
.LBB272_777:                            ;   in Loop: Header=BB272_562 Depth=1
	s_or_b64 exec, exec, s[6:7]
	s_and_saveexec_b64 s[6:7], s[0:1]
	s_cbranch_execz .LBB272_779
.LBB272_778:                            ;   in Loop: Header=BB272_562 Depth=1
	v_bfe_u32 v15, v24, 16, 3
	v_ffbh_u32_e32 v18, v15
	v_bfe_u32 v17, v24, 19, 4
	v_min_u32_e32 v18, 32, v18
	v_subrev_u32_e32 v20, 28, v18
	v_sub_u32_e32 v18, 29, v18
	v_cmp_eq_u32_e64 s[0:1], 0, v17
	v_lshlrev_b64 v[26:27], v20, v[0:1]
	v_and_b32_e32 v20, 7, v26
	v_cndmask_b32_e64 v17, v17, v18, s[0:1]
	v_lshlrev_b32_e32 v0, 8, v0
	v_lshl_add_u32 v17, v17, 10, v48
	v_cndmask_b32_e64 v15, v15, v20, s[0:1]
	v_and_or_b32 v0, v0, s24, v17
	v_lshl_or_b32 v0, v15, 7, v0
	v_cvt_f32_f16_e32 v29, v0
.LBB272_779:                            ;   in Loop: Header=BB272_562 Depth=1
	s_or_b64 exec, exec, s[6:7]
	v_lshrrev_b32_e32 v0, 24, v24
	v_cmp_lt_i16_e64 s[0:1], s3, v0
	s_mov_b64 s[6:7], 0
                                        ; implicit-def: $sgpr29
	s_and_saveexec_b64 s[8:9], s[0:1]
	s_xor_b64 s[8:9], exec, s[8:9]
	s_cbranch_execnz .LBB272_1039
; %bb.780:                              ;   in Loop: Header=BB272_562 Depth=1
	s_or_saveexec_b64 s[8:9], s[8:9]
	v_mov_b32_e32 v31, s29
	s_xor_b64 exec, exec, s[8:9]
	s_cbranch_execnz .LBB272_1042
.LBB272_781:                            ;   in Loop: Header=BB272_562 Depth=1
	s_or_b64 exec, exec, s[8:9]
	s_and_saveexec_b64 s[8:9], s[6:7]
	s_cbranch_execz .LBB272_783
.LBB272_782:                            ;   in Loop: Header=BB272_562 Depth=1
	v_bfe_u32 v15, v24, 24, 3
	v_ffbh_u32_e32 v18, v15
	v_bfe_u32 v17, v24, 27, 4
	v_min_u32_e32 v18, 32, v18
	v_subrev_u32_e32 v20, 28, v18
	v_sub_u32_e32 v18, 29, v18
	v_cmp_eq_u32_e64 s[0:1], 0, v17
	v_lshlrev_b64 v[26:27], v20, v[0:1]
	v_and_b32_e32 v20, 7, v26
	v_cndmask_b32_e64 v17, v17, v18, s[0:1]
	v_lshlrev_b32_e32 v0, 8, v0
	v_lshl_add_u32 v17, v17, 10, v48
	v_cndmask_b32_e64 v15, v15, v20, s[0:1]
	v_and_or_b32 v0, v0, s24, v17
	v_lshl_or_b32 v0, v15, 7, v0
	v_cvt_f32_f16_e32 v31, v0
.LBB272_783:                            ;   in Loop: Header=BB272_562 Depth=1
	s_or_b64 exec, exec, s[8:9]
	v_cmp_gt_i16_sdwa s[6:7], v25, s3 src0_sel:BYTE_0 src1_sel:DWORD
	s_mov_b64 s[0:1], 0
                                        ; implicit-def: $sgpr10
	s_and_saveexec_b64 s[8:9], s[6:7]
	s_xor_b64 s[6:7], exec, s[8:9]
	s_cbranch_execnz .LBB272_1043
; %bb.784:                              ;   in Loop: Header=BB272_562 Depth=1
	s_or_saveexec_b64 s[6:7], s[6:7]
	v_mov_b32_e32 v15, s10
	s_xor_b64 exec, exec, s[6:7]
	s_cbranch_execnz .LBB272_1046
.LBB272_785:                            ;   in Loop: Header=BB272_562 Depth=1
	s_or_b64 exec, exec, s[6:7]
	v_mov_b32_e32 v0, v25
	s_and_saveexec_b64 s[6:7], s[0:1]
	s_cbranch_execz .LBB272_787
.LBB272_786:                            ;   in Loop: Header=BB272_562 Depth=1
	v_and_b32_e32 v15, 7, v25
	v_ffbh_u32_e32 v15, v15
	v_bfe_u32 v17, v25, 3, 4
	v_min_u32_e32 v15, 32, v15
	v_subrev_u32_e32 v18, 28, v15
	v_sub_u32_e32 v15, 29, v15
	v_cmp_eq_u32_e64 s[0:1], 0, v17
	s_nop 1
	v_cndmask_b32_e64 v15, v17, v15, s[0:1]
	v_cndmask_b32_e64 v17, 0, v18, s[0:1]
	v_lshlrev_b64 v[26:27], v17, v[0:1]
	v_lshlrev_b32_e32 v18, 8, v25
	v_lshl_add_u32 v15, v15, 10, v48
	v_lshlrev_b32_e32 v17, 7, v26
	v_and_or_b32 v15, v18, s24, v15
	v_and_or_b32 v15, v17, s25, v15
	v_cvt_f32_f16_e32 v15, v15
.LBB272_787:                            ;   in Loop: Header=BB272_562 Depth=1
	s_or_b64 exec, exec, s[6:7]
	v_lshrrev_b16_e32 v0, 8, v0
	v_cmp_lt_i16_e64 s[0:1], s3, v0
	s_mov_b64 s[6:7], 0
                                        ; implicit-def: $sgpr29
	s_and_saveexec_b64 s[8:9], s[0:1]
	s_xor_b64 s[8:9], exec, s[8:9]
	s_cbranch_execnz .LBB272_1047
; %bb.788:                              ;   in Loop: Header=BB272_562 Depth=1
	s_or_saveexec_b64 s[8:9], s[8:9]
	v_mov_b32_e32 v17, s29
	s_xor_b64 exec, exec, s[8:9]
	s_cbranch_execnz .LBB272_1050
.LBB272_789:                            ;   in Loop: Header=BB272_562 Depth=1
	s_or_b64 exec, exec, s[8:9]
	s_and_saveexec_b64 s[8:9], s[6:7]
	s_cbranch_execz .LBB272_791
.LBB272_790:                            ;   in Loop: Header=BB272_562 Depth=1
	v_and_b32_e32 v17, 7, v0
	v_ffbh_u32_e32 v20, v17
	v_bfe_u32 v18, v0, 3, 4
	v_min_u32_e32 v20, 32, v20
	v_subrev_u32_e32 v23, 28, v20
	v_sub_u32_e32 v20, 29, v20
	v_cmp_eq_u32_e64 s[0:1], 0, v18
	v_lshlrev_b64 v[26:27], v23, v[0:1]
	v_and_b32_e32 v23, 7, v26
	v_cndmask_b32_e64 v18, v18, v20, s[0:1]
	v_lshlrev_b32_e32 v0, 8, v0
	v_lshl_add_u32 v18, v18, 10, v48
	v_cndmask_b32_e64 v17, v17, v23, s[0:1]
	v_and_or_b32 v0, v0, s24, v18
	v_lshl_or_b32 v0, v17, 7, v0
	v_cvt_f32_f16_e32 v17, v0
.LBB272_791:                            ;   in Loop: Header=BB272_562 Depth=1
	s_or_b64 exec, exec, s[8:9]
	v_lshrrev_b32_e32 v0, 16, v25
	v_cmp_gt_i16_sdwa s[6:7], v0, s3 src0_sel:BYTE_0 src1_sel:DWORD
	s_mov_b64 s[0:1], 0
                                        ; implicit-def: $sgpr10
	s_and_saveexec_b64 s[8:9], s[6:7]
	s_xor_b64 s[6:7], exec, s[8:9]
	s_cbranch_execnz .LBB272_1051
; %bb.792:                              ;   in Loop: Header=BB272_562 Depth=1
	s_or_saveexec_b64 s[6:7], s[6:7]
	v_mov_b32_e32 v24, s10
	s_xor_b64 exec, exec, s[6:7]
	s_cbranch_execnz .LBB272_1054
.LBB272_793:                            ;   in Loop: Header=BB272_562 Depth=1
	s_or_b64 exec, exec, s[6:7]
	s_and_saveexec_b64 s[6:7], s[0:1]
	s_cbranch_execz .LBB272_795
.LBB272_794:                            ;   in Loop: Header=BB272_562 Depth=1
	v_bfe_u32 v18, v25, 16, 3
	v_ffbh_u32_e32 v23, v18
	v_bfe_u32 v20, v25, 19, 4
	v_min_u32_e32 v23, 32, v23
	v_subrev_u32_e32 v24, 28, v23
	v_sub_u32_e32 v23, 29, v23
	v_cmp_eq_u32_e64 s[0:1], 0, v20
	v_lshlrev_b64 v[26:27], v24, v[0:1]
	v_and_b32_e32 v24, 7, v26
	v_cndmask_b32_e64 v20, v20, v23, s[0:1]
	v_lshlrev_b32_e32 v0, 8, v0
	v_lshl_add_u32 v20, v20, 10, v48
	v_cndmask_b32_e64 v18, v18, v24, s[0:1]
	v_and_or_b32 v0, v0, s24, v20
	v_lshl_or_b32 v0, v18, 7, v0
	v_cvt_f32_f16_e32 v24, v0
.LBB272_795:                            ;   in Loop: Header=BB272_562 Depth=1
	s_or_b64 exec, exec, s[6:7]
	v_lshrrev_b32_e32 v0, 24, v25
	v_cmp_lt_i16_e64 s[0:1], s3, v0
	s_mov_b64 s[6:7], 0
                                        ; implicit-def: $sgpr29
	s_and_saveexec_b64 s[8:9], s[0:1]
	s_xor_b64 s[8:9], exec, s[8:9]
	s_cbranch_execnz .LBB272_1055
; %bb.796:                              ;   in Loop: Header=BB272_562 Depth=1
	s_or_saveexec_b64 s[8:9], s[8:9]
	v_mov_b32_e32 v26, s29
	s_xor_b64 exec, exec, s[8:9]
	s_cbranch_execnz .LBB272_1058
.LBB272_797:                            ;   in Loop: Header=BB272_562 Depth=1
	s_or_b64 exec, exec, s[8:9]
	s_and_saveexec_b64 s[8:9], s[6:7]
	s_cbranch_execz .LBB272_799
.LBB272_798:                            ;   in Loop: Header=BB272_562 Depth=1
	v_bfe_u32 v18, v25, 24, 3
	v_ffbh_u32_e32 v23, v18
	v_bfe_u32 v20, v25, 27, 4
	v_min_u32_e32 v23, 32, v23
	v_subrev_u32_e32 v25, 28, v23
	v_sub_u32_e32 v23, 29, v23
	v_cmp_eq_u32_e64 s[0:1], 0, v20
	v_lshlrev_b64 v[26:27], v25, v[0:1]
	v_and_b32_e32 v25, 7, v26
	v_cndmask_b32_e64 v20, v20, v23, s[0:1]
	v_lshlrev_b32_e32 v0, 8, v0
	v_lshl_add_u32 v20, v20, 10, v48
	v_cndmask_b32_e64 v18, v18, v25, s[0:1]
	v_and_or_b32 v0, v0, s24, v20
	v_lshl_or_b32 v0, v18, 7, v0
	v_cvt_f32_f16_e32 v26, v0
.LBB272_799:                            ;   in Loop: Header=BB272_562 Depth=1
	s_or_b64 exec, exec, s[8:9]
	v_pk_mul_f32 v[30:31], v[14:15], v[30:31] op_sel_hi:[0,1]
	v_pk_mul_f32 v[28:29], v[14:15], v[28:29] op_sel_hi:[0,1]
	v_cvt_f16_f32_e32 v0, v31
	v_cvt_f16_f32_e32 v18, v30
	;; [unrolled: 1-line block ×4, first 2 shown]
	v_fma_mixlo_f16 v17, v14, v17, 0
	v_lshlrev_b32_e32 v17, 16, v17
	v_fma_mixlo_f16 v15, v14, v15, 0
	v_or_b32_sdwa v15, v17, v15 dst_sel:DWORD dst_unused:UNUSED_PAD src0_sel:DWORD src1_sel:WORD_0
	v_fma_mixlo_f16 v17, v14, v24, 0
	v_fma_mixlo_f16 v14, v14, v26, 0
	v_pack_b32_f16 v18, v18, v0
	v_pack_b32_f16 v20, v23, v20
	v_lshlrev_b32_e32 v14, 16, v14
	v_perm_b32 v0, v20, v18, s26
	v_perm_b32 v25, v20, v18, s27
	v_or_b32_sdwa v14, v14, v17 dst_sel:DWORD dst_unused:UNUSED_PAD src0_sel:DWORD src1_sel:WORD_0
	s_and_saveexec_b64 s[6:7], vcc
	s_cbranch_execz .LBB272_801
; %bb.800:                              ;   in Loop: Header=BB272_562 Depth=1
	v_lshrrev_b32_e32 v18, 16, v25
	v_cmp_lt_i32_e64 s[0:1], v56, v3
	v_accvgpr_read_b32 v24, a8
	v_lshrrev_b32_e32 v14, 16, v14
	v_cndmask_b32_e64 v18, 0, v18, s[0:1]
	v_cmp_lt_i32_e64 s[0:1], v43, v24
	s_nop 1
	v_cndmask_b32_e64 v20, 0, v25, s[0:1]
	v_perm_b32 v25, v18, v20, s28
	v_lshrrev_b32_e32 v18, 16, v0
	v_cmp_lt_i32_e64 s[0:1], v47, v3
	s_nop 1
	v_cndmask_b32_e64 v18, 0, v18, s[0:1]
	v_cmp_lt_i32_e64 s[0:1], v46, v24
	s_nop 1
	v_cndmask_b32_e64 v0, 0, v0, s[0:1]
	v_perm_b32 v0, v18, v0, s28
	v_lshrrev_b32_e32 v18, 16, v15
	v_cmp_lt_i32_e64 s[0:1], v45, v3
	s_nop 1
	v_cndmask_b32_e64 v18, 0, v18, s[0:1]
	v_cmp_lt_i32_e64 s[0:1], v44, v24
	s_nop 1
	v_cndmask_b32_e64 v15, 0, v15, s[0:1]
	v_cmp_lt_i32_e64 s[0:1], v42, v3
	v_perm_b32 v15, v18, v15, s28
	s_nop 0
	v_cndmask_b32_e64 v14, 0, v14, s[0:1]
	v_cmp_lt_i32_e64 s[0:1], v49, v24
	s_nop 1
	v_cndmask_b32_e64 v17, 0, v17, s[0:1]
	v_perm_b32 v14, v14, v17, s28
.LBB272_801:                            ;   in Loop: Header=BB272_562 Depth=1
	s_or_b64 exec, exec, s[6:7]
	;;#ASMSTART
	v_pk_mul_f16 v17, v60, v25;

	;;#ASMEND
	;;#ASMSTART
	v_pk_mul_f16 v0, v59, v0;

	;;#ASMEND
	;; [unrolled: 4-line block ×4, first 2 shown]
	s_mov_b64 s[0:1], 0
	;;#ASMSTART
	v_pk_add_f16 v0, v17, v0;

	;;#ASMEND
                                        ; implicit-def: $sgpr10
	s_nop 0
	;;#ASMSTART
	v_pk_add_f16 v0, v0, v15;

	;;#ASMEND
	s_nop 0
	;;#ASMSTART
	v_pk_add_f16 v0, v0, v14;

	;;#ASMEND
	s_nop 0
	v_lshrrev_b32_e32 v14, 16, v0
	v_and_b32_e32 v0, 0xffff, v0
	;;#ASMSTART
	v_cvt_f32_f16 v17, v0;
	;;#ASMEND
	;;#ASMSTART
	v_cvt_f32_f16 v26, v14;
	;;#ASMEND
	flat_load_dwordx2 v[14:15], v[12:13] offset:3584
	v_accvgpr_read_b32 v13, a5
	v_accvgpr_read_b32 v12, a4
	flat_load_dword v12, v[12:13]
	s_waitcnt vmcnt(0) lgkmcnt(0)
	v_cmp_gt_i16_sdwa s[6:7], v14, s3 src0_sel:BYTE_0 src1_sel:DWORD
	s_and_saveexec_b64 s[8:9], s[6:7]
	s_xor_b64 s[6:7], exec, s[8:9]
	s_cbranch_execnz .LBB272_1059
; %bb.802:                              ;   in Loop: Header=BB272_562 Depth=1
	s_or_saveexec_b64 s[6:7], s[6:7]
	v_mov_b32_e32 v24, s10
	s_xor_b64 exec, exec, s[6:7]
	s_cbranch_execnz .LBB272_1062
.LBB272_803:                            ;   in Loop: Header=BB272_562 Depth=1
	s_or_b64 exec, exec, s[6:7]
	s_and_saveexec_b64 s[6:7], s[0:1]
	s_cbranch_execz .LBB272_805
.LBB272_804:                            ;   in Loop: Header=BB272_562 Depth=1
	v_and_b32_e32 v0, 7, v14
	v_ffbh_u32_e32 v0, v0
	v_bfe_u32 v13, v14, 3, 4
	v_min_u32_e32 v0, 32, v0
	v_subrev_u32_e32 v18, 28, v0
	v_sub_u32_e32 v0, 29, v0
	v_cmp_eq_u32_e64 s[0:1], 0, v13
	s_nop 1
	v_cndmask_b32_e64 v0, v13, v0, s[0:1]
	v_cndmask_b32_e64 v13, 0, v18, s[0:1]
	v_lshlrev_b64 v[24:25], v13, v[14:15]
	v_lshlrev_b32_e32 v18, 8, v14
	v_lshl_add_u32 v0, v0, 10, v48
	v_lshlrev_b32_e32 v13, 7, v24
	v_and_or_b32 v0, v18, s24, v0
	v_and_or_b32 v0, v13, s25, v0
	v_cvt_f32_f16_e32 v24, v0
.LBB272_805:                            ;   in Loop: Header=BB272_562 Depth=1
	s_or_b64 exec, exec, s[6:7]
	v_lshrrev_b16_e32 v0, 8, v14
	v_cmp_lt_i16_e64 s[0:1], s3, v0
	s_mov_b64 s[6:7], 0
                                        ; implicit-def: $sgpr29
	s_and_saveexec_b64 s[8:9], s[0:1]
	s_xor_b64 s[8:9], exec, s[8:9]
	s_cbranch_execnz .LBB272_1063
; %bb.806:                              ;   in Loop: Header=BB272_562 Depth=1
	s_or_saveexec_b64 s[8:9], s[8:9]
	v_mov_b32_e32 v28, s29
	s_xor_b64 exec, exec, s[8:9]
	s_cbranch_execnz .LBB272_1066
.LBB272_807:                            ;   in Loop: Header=BB272_562 Depth=1
	s_or_b64 exec, exec, s[8:9]
	s_and_saveexec_b64 s[8:9], s[6:7]
	s_cbranch_execz .LBB272_809
.LBB272_808:                            ;   in Loop: Header=BB272_562 Depth=1
	v_and_b32_e32 v13, 7, v0
	v_ffbh_u32_e32 v20, v13
	v_bfe_u32 v18, v0, 3, 4
	v_min_u32_e32 v20, 32, v20
	v_subrev_u32_e32 v23, 28, v20
	v_sub_u32_e32 v20, 29, v20
	v_cmp_eq_u32_e64 s[0:1], 0, v18
	v_lshlrev_b64 v[28:29], v23, v[0:1]
	v_and_b32_e32 v23, 7, v28
	v_cndmask_b32_e64 v18, v18, v20, s[0:1]
	v_lshlrev_b32_e32 v0, 8, v0
	v_lshl_add_u32 v18, v18, 10, v48
	v_cndmask_b32_e64 v13, v13, v23, s[0:1]
	v_and_or_b32 v0, v0, s24, v18
	v_lshl_or_b32 v0, v13, 7, v0
	v_cvt_f32_f16_e32 v28, v0
.LBB272_809:                            ;   in Loop: Header=BB272_562 Depth=1
	s_or_b64 exec, exec, s[8:9]
	v_lshrrev_b32_e32 v0, 16, v14
	v_cmp_gt_i16_sdwa s[6:7], v0, s3 src0_sel:BYTE_0 src1_sel:DWORD
	s_mov_b64 s[0:1], 0
                                        ; implicit-def: $sgpr10
	s_and_saveexec_b64 s[8:9], s[6:7]
	s_xor_b64 s[6:7], exec, s[8:9]
	s_cbranch_execnz .LBB272_1067
; %bb.810:                              ;   in Loop: Header=BB272_562 Depth=1
	s_or_saveexec_b64 s[6:7], s[6:7]
	v_mov_b32_e32 v25, s10
	s_xor_b64 exec, exec, s[6:7]
	s_cbranch_execnz .LBB272_1070
.LBB272_811:                            ;   in Loop: Header=BB272_562 Depth=1
	s_or_b64 exec, exec, s[6:7]
	s_and_saveexec_b64 s[6:7], s[0:1]
	s_cbranch_execz .LBB272_813
.LBB272_812:                            ;   in Loop: Header=BB272_562 Depth=1
	v_bfe_u32 v13, v14, 16, 3
	v_ffbh_u32_e32 v20, v13
	v_bfe_u32 v18, v14, 19, 4
	v_min_u32_e32 v20, 32, v20
	v_subrev_u32_e32 v23, 28, v20
	v_sub_u32_e32 v20, 29, v20
	v_cmp_eq_u32_e64 s[0:1], 0, v18
	v_lshlrev_b64 v[30:31], v23, v[0:1]
	v_and_b32_e32 v23, 7, v30
	v_cndmask_b32_e64 v18, v18, v20, s[0:1]
	v_lshlrev_b32_e32 v0, 8, v0
	v_lshl_add_u32 v18, v18, 10, v48
	v_cndmask_b32_e64 v13, v13, v23, s[0:1]
	v_and_or_b32 v0, v0, s24, v18
	v_lshl_or_b32 v0, v13, 7, v0
	v_cvt_f32_f16_e32 v25, v0
.LBB272_813:                            ;   in Loop: Header=BB272_562 Depth=1
	s_or_b64 exec, exec, s[6:7]
	v_lshrrev_b32_e32 v0, 24, v14
	v_cmp_lt_i16_e64 s[0:1], s3, v0
	s_mov_b64 s[6:7], 0
                                        ; implicit-def: $sgpr29
	s_and_saveexec_b64 s[8:9], s[0:1]
	s_xor_b64 s[8:9], exec, s[8:9]
	s_cbranch_execnz .LBB272_1071
; %bb.814:                              ;   in Loop: Header=BB272_562 Depth=1
	s_or_saveexec_b64 s[8:9], s[8:9]
	v_mov_b32_e32 v29, s29
	s_xor_b64 exec, exec, s[8:9]
	s_cbranch_execnz .LBB272_1074
.LBB272_815:                            ;   in Loop: Header=BB272_562 Depth=1
	s_or_b64 exec, exec, s[8:9]
	s_and_saveexec_b64 s[8:9], s[6:7]
	s_cbranch_execz .LBB272_817
.LBB272_816:                            ;   in Loop: Header=BB272_562 Depth=1
	v_bfe_u32 v13, v14, 24, 3
	v_ffbh_u32_e32 v18, v13
	v_bfe_u32 v14, v14, 27, 4
	v_min_u32_e32 v18, 32, v18
	v_subrev_u32_e32 v20, 28, v18
	v_sub_u32_e32 v18, 29, v18
	v_cmp_eq_u32_e64 s[0:1], 0, v14
	v_lshlrev_b64 v[30:31], v20, v[0:1]
	v_and_b32_e32 v20, 7, v30
	v_cndmask_b32_e64 v14, v14, v18, s[0:1]
	v_lshlrev_b32_e32 v0, 8, v0
	v_lshl_add_u32 v14, v14, 10, v48
	v_cndmask_b32_e64 v13, v13, v20, s[0:1]
	v_and_or_b32 v0, v0, s24, v14
	v_lshl_or_b32 v0, v13, 7, v0
	v_cvt_f32_f16_e32 v29, v0
.LBB272_817:                            ;   in Loop: Header=BB272_562 Depth=1
	s_or_b64 exec, exec, s[8:9]
	v_cmp_gt_i16_sdwa s[6:7], v15, s3 src0_sel:BYTE_0 src1_sel:DWORD
	s_mov_b64 s[0:1], 0
                                        ; implicit-def: $sgpr10
	s_and_saveexec_b64 s[8:9], s[6:7]
	s_xor_b64 s[6:7], exec, s[8:9]
	s_cbranch_execnz .LBB272_1075
; %bb.818:                              ;   in Loop: Header=BB272_562 Depth=1
	s_or_saveexec_b64 s[6:7], s[6:7]
	v_mov_b32_e32 v13, s10
	s_xor_b64 exec, exec, s[6:7]
	s_cbranch_execnz .LBB272_1078
.LBB272_819:                            ;   in Loop: Header=BB272_562 Depth=1
	s_or_b64 exec, exec, s[6:7]
	v_mov_b32_e32 v0, v15
	s_and_saveexec_b64 s[6:7], s[0:1]
	s_cbranch_execz .LBB272_821
.LBB272_820:                            ;   in Loop: Header=BB272_562 Depth=1
	v_and_b32_e32 v13, 7, v15
	v_ffbh_u32_e32 v13, v13
	v_bfe_u32 v14, v15, 3, 4
	v_min_u32_e32 v13, 32, v13
	v_subrev_u32_e32 v18, 28, v13
	v_sub_u32_e32 v13, 29, v13
	v_cmp_eq_u32_e64 s[0:1], 0, v14
	s_nop 1
	v_cndmask_b32_e64 v13, v14, v13, s[0:1]
	v_cndmask_b32_e64 v14, 0, v18, s[0:1]
	v_lshlrev_b64 v[30:31], v14, v[0:1]
	v_lshlrev_b32_e32 v18, 8, v15
	v_lshl_add_u32 v13, v13, 10, v48
	v_lshlrev_b32_e32 v14, 7, v30
	v_and_or_b32 v13, v18, s24, v13
	v_and_or_b32 v13, v14, s25, v13
	v_cvt_f32_f16_e32 v13, v13
.LBB272_821:                            ;   in Loop: Header=BB272_562 Depth=1
	s_or_b64 exec, exec, s[6:7]
	v_lshrrev_b16_e32 v0, 8, v0
	v_cmp_lt_i16_e64 s[0:1], s3, v0
	s_mov_b64 s[6:7], 0
                                        ; implicit-def: $sgpr29
	s_and_saveexec_b64 s[8:9], s[0:1]
	s_xor_b64 s[8:9], exec, s[8:9]
	s_cbranch_execnz .LBB272_1079
; %bb.822:                              ;   in Loop: Header=BB272_562 Depth=1
	s_or_saveexec_b64 s[8:9], s[8:9]
	v_mov_b32_e32 v14, s29
	s_xor_b64 exec, exec, s[8:9]
	s_cbranch_execnz .LBB272_1082
.LBB272_823:                            ;   in Loop: Header=BB272_562 Depth=1
	s_or_b64 exec, exec, s[8:9]
	s_and_saveexec_b64 s[8:9], s[6:7]
	s_cbranch_execz .LBB272_825
.LBB272_824:                            ;   in Loop: Header=BB272_562 Depth=1
	v_and_b32_e32 v14, 7, v0
	v_ffbh_u32_e32 v20, v14
	v_bfe_u32 v18, v0, 3, 4
	v_min_u32_e32 v20, 32, v20
	v_subrev_u32_e32 v23, 28, v20
	v_sub_u32_e32 v20, 29, v20
	v_cmp_eq_u32_e64 s[0:1], 0, v18
	v_lshlrev_b64 v[30:31], v23, v[0:1]
	v_and_b32_e32 v23, 7, v30
	v_cndmask_b32_e64 v18, v18, v20, s[0:1]
	v_lshlrev_b32_e32 v0, 8, v0
	v_lshl_add_u32 v18, v18, 10, v48
	v_cndmask_b32_e64 v14, v14, v23, s[0:1]
	v_and_or_b32 v0, v0, s24, v18
	v_lshl_or_b32 v0, v14, 7, v0
	v_cvt_f32_f16_e32 v14, v0
.LBB272_825:                            ;   in Loop: Header=BB272_562 Depth=1
	s_or_b64 exec, exec, s[8:9]
	v_lshrrev_b32_e32 v0, 16, v15
	v_cmp_gt_i16_sdwa s[6:7], v0, s3 src0_sel:BYTE_0 src1_sel:DWORD
	s_mov_b64 s[0:1], 0
                                        ; implicit-def: $sgpr10
	s_and_saveexec_b64 s[8:9], s[6:7]
	s_xor_b64 s[6:7], exec, s[8:9]
	s_cbranch_execnz .LBB272_1083
; %bb.826:                              ;   in Loop: Header=BB272_562 Depth=1
	s_or_saveexec_b64 s[6:7], s[6:7]
	v_mov_b32_e32 v27, s10
	s_xor_b64 exec, exec, s[6:7]
	s_cbranch_execnz .LBB272_1086
.LBB272_827:                            ;   in Loop: Header=BB272_562 Depth=1
	s_or_b64 exec, exec, s[6:7]
	s_and_saveexec_b64 s[6:7], s[0:1]
	s_cbranch_execz .LBB272_829
.LBB272_828:                            ;   in Loop: Header=BB272_562 Depth=1
	v_bfe_u32 v18, v15, 16, 3
	v_ffbh_u32_e32 v23, v18
	v_bfe_u32 v20, v15, 19, 4
	v_min_u32_e32 v23, 32, v23
	v_subrev_u32_e32 v27, 28, v23
	v_sub_u32_e32 v23, 29, v23
	v_cmp_eq_u32_e64 s[0:1], 0, v20
	v_lshlrev_b64 v[30:31], v27, v[0:1]
	v_and_b32_e32 v27, 7, v30
	v_cndmask_b32_e64 v20, v20, v23, s[0:1]
	v_lshlrev_b32_e32 v0, 8, v0
	v_lshl_add_u32 v20, v20, 10, v48
	v_cndmask_b32_e64 v18, v18, v27, s[0:1]
	v_and_or_b32 v0, v0, s24, v20
	v_lshl_or_b32 v0, v18, 7, v0
	v_cvt_f32_f16_e32 v27, v0
.LBB272_829:                            ;   in Loop: Header=BB272_562 Depth=1
	s_or_b64 exec, exec, s[6:7]
	v_lshrrev_b32_e32 v0, 24, v15
	v_cmp_lt_i16_e64 s[0:1], s3, v0
	s_mov_b64 s[6:7], 0
                                        ; implicit-def: $sgpr29
	s_and_saveexec_b64 s[8:9], s[0:1]
	s_xor_b64 s[8:9], exec, s[8:9]
	s_cbranch_execnz .LBB272_1087
; %bb.830:                              ;   in Loop: Header=BB272_562 Depth=1
	s_or_saveexec_b64 s[8:9], s[8:9]
	v_mov_b32_e32 v30, s29
	s_xor_b64 exec, exec, s[8:9]
	s_cbranch_execnz .LBB272_1090
.LBB272_831:                            ;   in Loop: Header=BB272_562 Depth=1
	s_or_b64 exec, exec, s[8:9]
	s_and_saveexec_b64 s[8:9], s[6:7]
	s_cbranch_execz .LBB272_833
.LBB272_832:                            ;   in Loop: Header=BB272_562 Depth=1
	v_bfe_u32 v18, v15, 24, 3
	v_ffbh_u32_e32 v20, v18
	v_bfe_u32 v15, v15, 27, 4
	v_min_u32_e32 v20, 32, v20
	v_subrev_u32_e32 v23, 28, v20
	v_sub_u32_e32 v20, 29, v20
	v_cmp_eq_u32_e64 s[0:1], 0, v15
	v_lshlrev_b64 v[30:31], v23, v[0:1]
	v_and_b32_e32 v23, 7, v30
	v_cndmask_b32_e64 v15, v15, v20, s[0:1]
	v_lshlrev_b32_e32 v0, 8, v0
	v_lshl_add_u32 v15, v15, 10, v48
	v_cndmask_b32_e64 v18, v18, v23, s[0:1]
	v_and_or_b32 v0, v0, s24, v15
	v_lshl_or_b32 v0, v18, 7, v0
	v_cvt_f32_f16_e32 v30, v0
.LBB272_833:                            ;   in Loop: Header=BB272_562 Depth=1
	s_or_b64 exec, exec, s[8:9]
	v_pk_mul_f32 v[28:29], v[12:13], v[28:29] op_sel_hi:[0,1]
	v_pk_mul_f32 v[24:25], v[12:13], v[24:25] op_sel_hi:[0,1]
	v_cvt_f16_f32_e32 v0, v29
	v_cvt_f16_f32_e32 v15, v28
	;; [unrolled: 1-line block ×4, first 2 shown]
	v_fma_mixlo_f16 v14, v12, v14, 0
	v_lshlrev_b32_e32 v14, 16, v14
	v_fma_mixlo_f16 v13, v12, v13, 0
	v_or_b32_sdwa v13, v14, v13 dst_sel:DWORD dst_unused:UNUSED_PAD src0_sel:DWORD src1_sel:WORD_0
	v_fma_mixlo_f16 v14, v12, v27, 0
	v_fma_mixlo_f16 v12, v12, v30, 0
	v_pack_b32_f16 v15, v15, v0
	v_pack_b32_f16 v18, v20, v18
	v_lshlrev_b32_e32 v12, 16, v12
	v_perm_b32 v0, v18, v15, s26
	v_perm_b32 v15, v18, v15, s27
	v_or_b32_sdwa v12, v12, v14 dst_sel:DWORD dst_unused:UNUSED_PAD src0_sel:DWORD src1_sel:WORD_0
	s_and_saveexec_b64 s[0:1], vcc
	s_cbranch_execz .LBB272_560
; %bb.834:                              ;   in Loop: Header=BB272_562 Depth=1
	v_lshrrev_b32_e32 v18, 16, v15
	v_cmp_lt_i32_e32 vcc, v56, v3
	v_accvgpr_read_b32 v20, a8
	v_lshrrev_b32_e32 v12, 16, v12
	v_cndmask_b32_e32 v18, 0, v18, vcc
	v_cmp_lt_i32_e32 vcc, v43, v20
	s_nop 1
	v_cndmask_b32_e32 v15, 0, v15, vcc
	v_perm_b32 v15, v18, v15, s28
	v_lshrrev_b32_e32 v18, 16, v0
	v_cmp_lt_i32_e32 vcc, v47, v3
	s_nop 1
	v_cndmask_b32_e32 v18, 0, v18, vcc
	v_cmp_lt_i32_e32 vcc, v46, v20
	s_nop 1
	v_cndmask_b32_e32 v0, 0, v0, vcc
	v_perm_b32 v0, v18, v0, s28
	v_lshrrev_b32_e32 v18, 16, v13
	v_cmp_lt_i32_e32 vcc, v45, v3
	s_nop 1
	v_cndmask_b32_e32 v18, 0, v18, vcc
	v_cmp_lt_i32_e32 vcc, v44, v20
	s_nop 1
	v_cndmask_b32_e32 v13, 0, v13, vcc
	v_cmp_lt_i32_e32 vcc, v42, v3
	v_perm_b32 v13, v18, v13, s28
	s_nop 0
	v_cndmask_b32_e32 v12, 0, v12, vcc
	v_cmp_lt_i32_e32 vcc, v49, v20
	s_nop 1
	v_cndmask_b32_e32 v14, 0, v14, vcc
	v_perm_b32 v12, v12, v14, s28
	s_branch .LBB272_560
.LBB272_835:                            ;   in Loop: Header=BB272_562 Depth=1
	v_cmp_eq_u16_sdwa vcc, v24, s15 src0_sel:BYTE_0 src1_sel:DWORD
	s_mov_b64 s[0:1], -1
                                        ; implicit-def: $sgpr10
	s_and_saveexec_b64 s[8:9], vcc
; %bb.836:                              ;   in Loop: Header=BB272_562 Depth=1
	s_mov_b32 s10, 0x7fc02000
	s_xor_b64 s[0:1], exec, -1
; %bb.837:                              ;   in Loop: Header=BB272_562 Depth=1
	s_or_b64 exec, exec, s[8:9]
	s_and_b64 s[0:1], s[0:1], exec
	s_or_saveexec_b64 s[6:7], s[6:7]
	v_mov_b32_e32 v28, s10
	s_xor_b64 exec, exec, s[6:7]
	s_cbranch_execz .LBB272_565
.LBB272_838:                            ;   in Loop: Header=BB272_562 Depth=1
	v_cmp_ne_u16_sdwa s[8:9], v24, v1 src0_sel:BYTE_0 src1_sel:DWORD
	s_andn2_b64 s[0:1], s[0:1], exec
	s_and_b64 s[8:9], s[8:9], exec
	v_mov_b32_e32 v28, 0
	s_or_b64 s[0:1], s[0:1], s[8:9]
	s_or_b64 exec, exec, s[6:7]
	s_and_saveexec_b64 s[6:7], s[0:1]
	s_cbranch_execnz .LBB272_566
	s_branch .LBB272_567
.LBB272_839:                            ;   in Loop: Header=BB272_562 Depth=1
	v_cmp_eq_u16_e32 vcc, s15, v0
	s_mov_b64 s[0:1], -1
                                        ; implicit-def: $sgpr10
	s_and_saveexec_b64 s[8:9], vcc
; %bb.840:                              ;   in Loop: Header=BB272_562 Depth=1
	s_mov_b32 s10, 0x7fc02000
	s_xor_b64 s[0:1], exec, -1
; %bb.841:                              ;   in Loop: Header=BB272_562 Depth=1
	s_or_b64 exec, exec, s[8:9]
	s_and_b64 s[0:1], s[0:1], exec
	s_or_saveexec_b64 s[6:7], s[6:7]
	v_mov_b32_e32 v30, s10
	s_xor_b64 exec, exec, s[6:7]
	s_cbranch_execz .LBB272_569
.LBB272_842:                            ;   in Loop: Header=BB272_562 Depth=1
	v_cmp_ne_u16_e32 vcc, 0, v0
	s_andn2_b64 s[0:1], s[0:1], exec
	s_and_b64 s[8:9], vcc, exec
	v_mov_b32_e32 v30, 0
	s_or_b64 s[0:1], s[0:1], s[8:9]
	s_or_b64 exec, exec, s[6:7]
	s_and_saveexec_b64 s[6:7], s[0:1]
	s_cbranch_execnz .LBB272_570
	s_branch .LBB272_571
.LBB272_843:                            ;   in Loop: Header=BB272_562 Depth=1
	v_cmp_eq_u16_sdwa vcc, v0, s15 src0_sel:BYTE_0 src1_sel:DWORD
	s_mov_b64 s[0:1], -1
                                        ; implicit-def: $sgpr10
	s_and_saveexec_b64 s[8:9], vcc
; %bb.844:                              ;   in Loop: Header=BB272_562 Depth=1
	s_mov_b32 s10, 0x7fc02000
	s_xor_b64 s[0:1], exec, -1
; %bb.845:                              ;   in Loop: Header=BB272_562 Depth=1
	s_or_b64 exec, exec, s[8:9]
	s_and_b64 s[0:1], s[0:1], exec
	s_or_saveexec_b64 s[6:7], s[6:7]
	v_mov_b32_e32 v29, s10
	s_xor_b64 exec, exec, s[6:7]
	s_cbranch_execz .LBB272_573
.LBB272_846:                            ;   in Loop: Header=BB272_562 Depth=1
	v_cmp_ne_u16_sdwa s[8:9], v0, v1 src0_sel:BYTE_0 src1_sel:DWORD
	s_andn2_b64 s[0:1], s[0:1], exec
	s_and_b64 s[8:9], s[8:9], exec
	v_mov_b32_e32 v29, 0
	s_or_b64 s[0:1], s[0:1], s[8:9]
	s_or_b64 exec, exec, s[6:7]
	s_and_saveexec_b64 s[6:7], s[0:1]
	s_cbranch_execnz .LBB272_574
	s_branch .LBB272_575
.LBB272_847:                            ;   in Loop: Header=BB272_562 Depth=1
	v_cmp_eq_u16_e32 vcc, s15, v0
	s_mov_b64 s[0:1], -1
                                        ; implicit-def: $sgpr10
	s_and_saveexec_b64 s[8:9], vcc
; %bb.848:                              ;   in Loop: Header=BB272_562 Depth=1
	s_mov_b32 s10, 0x7fc02000
	s_xor_b64 s[0:1], exec, -1
; %bb.849:                              ;   in Loop: Header=BB272_562 Depth=1
	s_or_b64 exec, exec, s[8:9]
	s_and_b64 s[0:1], s[0:1], exec
	s_or_saveexec_b64 s[6:7], s[6:7]
	v_mov_b32_e32 v31, s10
	s_xor_b64 exec, exec, s[6:7]
	s_cbranch_execz .LBB272_577
.LBB272_850:                            ;   in Loop: Header=BB272_562 Depth=1
	v_cmp_ne_u16_e32 vcc, 0, v0
	s_andn2_b64 s[0:1], s[0:1], exec
	s_and_b64 s[8:9], vcc, exec
	v_mov_b32_e32 v31, 0
	s_or_b64 s[0:1], s[0:1], s[8:9]
	s_or_b64 exec, exec, s[6:7]
	s_and_saveexec_b64 s[6:7], s[0:1]
	s_cbranch_execnz .LBB272_578
	s_branch .LBB272_579
.LBB272_851:                            ;   in Loop: Header=BB272_562 Depth=1
	v_cmp_eq_u16_sdwa vcc, v25, s15 src0_sel:BYTE_0 src1_sel:DWORD
	s_mov_b64 s[0:1], -1
                                        ; implicit-def: $sgpr10
	s_and_saveexec_b64 s[8:9], vcc
; %bb.852:                              ;   in Loop: Header=BB272_562 Depth=1
	s_mov_b32 s10, 0x7fc02000
	s_xor_b64 s[0:1], exec, -1
; %bb.853:                              ;   in Loop: Header=BB272_562 Depth=1
	s_or_b64 exec, exec, s[8:9]
	s_and_b64 s[0:1], s[0:1], exec
	s_or_saveexec_b64 s[6:7], s[6:7]
	v_mov_b32_e32 v22, s10
	s_xor_b64 exec, exec, s[6:7]
	s_cbranch_execz .LBB272_581
.LBB272_854:                            ;   in Loop: Header=BB272_562 Depth=1
	v_cmp_ne_u16_sdwa s[8:9], v25, v1 src0_sel:BYTE_0 src1_sel:DWORD
	s_andn2_b64 s[0:1], s[0:1], exec
	s_and_b64 s[8:9], s[8:9], exec
	v_mov_b32_e32 v22, 0
	s_or_b64 s[0:1], s[0:1], s[8:9]
	s_or_b64 exec, exec, s[6:7]
	v_mov_b32_e32 v0, v25
	s_and_saveexec_b64 s[6:7], s[0:1]
	s_cbranch_execnz .LBB272_582
	s_branch .LBB272_583
.LBB272_855:                            ;   in Loop: Header=BB272_562 Depth=1
	v_cmp_eq_u16_e32 vcc, s15, v0
	s_mov_b64 s[0:1], -1
                                        ; implicit-def: $sgpr10
	s_and_saveexec_b64 s[8:9], vcc
; %bb.856:                              ;   in Loop: Header=BB272_562 Depth=1
	s_mov_b32 s10, 0x7fc02000
	s_xor_b64 s[0:1], exec, -1
; %bb.857:                              ;   in Loop: Header=BB272_562 Depth=1
	s_or_b64 exec, exec, s[8:9]
	s_and_b64 s[0:1], s[0:1], exec
	s_or_saveexec_b64 s[6:7], s[6:7]
	v_mov_b32_e32 v24, s10
	s_xor_b64 exec, exec, s[6:7]
	s_cbranch_execz .LBB272_585
.LBB272_858:                            ;   in Loop: Header=BB272_562 Depth=1
	v_cmp_ne_u16_e32 vcc, 0, v0
	s_andn2_b64 s[0:1], s[0:1], exec
	s_and_b64 s[8:9], vcc, exec
	v_mov_b32_e32 v24, 0
	s_or_b64 s[0:1], s[0:1], s[8:9]
	s_or_b64 exec, exec, s[6:7]
	s_and_saveexec_b64 s[6:7], s[0:1]
	s_cbranch_execnz .LBB272_586
	s_branch .LBB272_587
.LBB272_859:                            ;   in Loop: Header=BB272_562 Depth=1
	v_cmp_eq_u16_sdwa vcc, v0, s15 src0_sel:BYTE_0 src1_sel:DWORD
	s_mov_b64 s[0:1], -1
                                        ; implicit-def: $sgpr10
	s_and_saveexec_b64 s[8:9], vcc
; %bb.860:                              ;   in Loop: Header=BB272_562 Depth=1
	s_mov_b32 s10, 0x7fc02000
	s_xor_b64 s[0:1], exec, -1
; %bb.861:                              ;   in Loop: Header=BB272_562 Depth=1
	s_or_b64 exec, exec, s[8:9]
	s_and_b64 s[0:1], s[0:1], exec
	s_or_saveexec_b64 s[6:7], s[6:7]
	v_mov_b32_e32 v26, s10
	s_xor_b64 exec, exec, s[6:7]
	s_cbranch_execz .LBB272_589
.LBB272_862:                            ;   in Loop: Header=BB272_562 Depth=1
	v_cmp_ne_u16_sdwa s[8:9], v0, v1 src0_sel:BYTE_0 src1_sel:DWORD
	s_andn2_b64 s[0:1], s[0:1], exec
	s_and_b64 s[8:9], s[8:9], exec
	v_mov_b32_e32 v26, 0
	s_or_b64 s[0:1], s[0:1], s[8:9]
	s_or_b64 exec, exec, s[6:7]
	s_and_saveexec_b64 s[6:7], s[0:1]
	s_cbranch_execnz .LBB272_590
	s_branch .LBB272_591
.LBB272_863:                            ;   in Loop: Header=BB272_562 Depth=1
	v_cmp_eq_u16_e32 vcc, s15, v0
	s_mov_b64 s[0:1], -1
                                        ; implicit-def: $sgpr10
	s_and_saveexec_b64 s[8:9], vcc
; %bb.864:                              ;   in Loop: Header=BB272_562 Depth=1
	s_mov_b32 s10, 0x7fc02000
	s_xor_b64 s[0:1], exec, -1
; %bb.865:                              ;   in Loop: Header=BB272_562 Depth=1
	s_or_b64 exec, exec, s[8:9]
	s_and_b64 s[0:1], s[0:1], exec
	s_or_saveexec_b64 s[6:7], s[6:7]
	v_mov_b32_e32 v27, s10
	s_xor_b64 exec, exec, s[6:7]
	s_cbranch_execz .LBB272_593
.LBB272_866:                            ;   in Loop: Header=BB272_562 Depth=1
	v_cmp_ne_u16_e32 vcc, 0, v0
	s_andn2_b64 s[0:1], s[0:1], exec
	s_and_b64 s[8:9], vcc, exec
	v_mov_b32_e32 v27, 0
	s_or_b64 s[0:1], s[0:1], s[8:9]
	s_or_b64 exec, exec, s[6:7]
	s_and_saveexec_b64 s[6:7], s[0:1]
	s_cbranch_execnz .LBB272_594
	s_branch .LBB272_595
.LBB272_867:                            ;   in Loop: Header=BB272_562 Depth=1
	v_cmp_eq_u16_sdwa s[30:31], v24, s15 src0_sel:BYTE_0 src1_sel:DWORD
	s_mov_b64 s[0:1], -1
                                        ; implicit-def: $sgpr10
	s_and_saveexec_b64 s[8:9], s[30:31]
; %bb.868:                              ;   in Loop: Header=BB272_562 Depth=1
	s_mov_b32 s10, 0x7fc02000
	s_xor_b64 s[0:1], exec, -1
; %bb.869:                              ;   in Loop: Header=BB272_562 Depth=1
	s_or_b64 exec, exec, s[8:9]
	s_and_b64 s[0:1], s[0:1], exec
	s_or_saveexec_b64 s[6:7], s[6:7]
	v_mov_b32_e32 v28, s10
	s_xor_b64 exec, exec, s[6:7]
	s_cbranch_execz .LBB272_599
.LBB272_870:                            ;   in Loop: Header=BB272_562 Depth=1
	v_cmp_ne_u16_sdwa s[8:9], v24, v1 src0_sel:BYTE_0 src1_sel:DWORD
	s_andn2_b64 s[0:1], s[0:1], exec
	s_and_b64 s[8:9], s[8:9], exec
	v_mov_b32_e32 v28, 0
	s_or_b64 s[0:1], s[0:1], s[8:9]
	s_or_b64 exec, exec, s[6:7]
	s_and_saveexec_b64 s[6:7], s[0:1]
	s_cbranch_execnz .LBB272_600
	s_branch .LBB272_601
.LBB272_871:                            ;   in Loop: Header=BB272_562 Depth=1
	v_cmp_eq_u16_e64 s[0:1], s15, v0
	s_mov_b64 s[6:7], -1
                                        ; implicit-def: $sgpr29
	s_and_saveexec_b64 s[10:11], s[0:1]
; %bb.872:                              ;   in Loop: Header=BB272_562 Depth=1
	s_mov_b32 s29, 0x7fc02000
	s_xor_b64 s[6:7], exec, -1
; %bb.873:                              ;   in Loop: Header=BB272_562 Depth=1
	s_or_b64 exec, exec, s[10:11]
	s_and_b64 s[6:7], s[6:7], exec
	s_or_saveexec_b64 s[8:9], s[8:9]
	v_mov_b32_e32 v30, s29
	s_xor_b64 exec, exec, s[8:9]
	s_cbranch_execz .LBB272_603
.LBB272_874:                            ;   in Loop: Header=BB272_562 Depth=1
	v_cmp_ne_u16_e64 s[0:1], 0, v0
	s_andn2_b64 s[6:7], s[6:7], exec
	s_and_b64 s[0:1], s[0:1], exec
	v_mov_b32_e32 v30, 0
	s_or_b64 s[6:7], s[6:7], s[0:1]
	s_or_b64 exec, exec, s[8:9]
	s_and_saveexec_b64 s[8:9], s[6:7]
	s_cbranch_execnz .LBB272_604
	s_branch .LBB272_605
.LBB272_875:                            ;   in Loop: Header=BB272_562 Depth=1
	v_cmp_eq_u16_sdwa s[30:31], v0, s15 src0_sel:BYTE_0 src1_sel:DWORD
	s_mov_b64 s[0:1], -1
                                        ; implicit-def: $sgpr10
	s_and_saveexec_b64 s[8:9], s[30:31]
; %bb.876:                              ;   in Loop: Header=BB272_562 Depth=1
	s_mov_b32 s10, 0x7fc02000
	s_xor_b64 s[0:1], exec, -1
; %bb.877:                              ;   in Loop: Header=BB272_562 Depth=1
	s_or_b64 exec, exec, s[8:9]
	s_and_b64 s[0:1], s[0:1], exec
	s_or_saveexec_b64 s[6:7], s[6:7]
	v_mov_b32_e32 v29, s10
	s_xor_b64 exec, exec, s[6:7]
	s_cbranch_execz .LBB272_607
.LBB272_878:                            ;   in Loop: Header=BB272_562 Depth=1
	v_cmp_ne_u16_sdwa s[8:9], v0, v1 src0_sel:BYTE_0 src1_sel:DWORD
	s_andn2_b64 s[0:1], s[0:1], exec
	s_and_b64 s[8:9], s[8:9], exec
	v_mov_b32_e32 v29, 0
	s_or_b64 s[0:1], s[0:1], s[8:9]
	s_or_b64 exec, exec, s[6:7]
	s_and_saveexec_b64 s[6:7], s[0:1]
	s_cbranch_execnz .LBB272_608
	s_branch .LBB272_609
.LBB272_879:                            ;   in Loop: Header=BB272_562 Depth=1
	v_cmp_eq_u16_e64 s[0:1], s15, v0
	s_mov_b64 s[6:7], -1
                                        ; implicit-def: $sgpr29
	s_and_saveexec_b64 s[10:11], s[0:1]
; %bb.880:                              ;   in Loop: Header=BB272_562 Depth=1
	s_mov_b32 s29, 0x7fc02000
	s_xor_b64 s[6:7], exec, -1
; %bb.881:                              ;   in Loop: Header=BB272_562 Depth=1
	s_or_b64 exec, exec, s[10:11]
	s_and_b64 s[6:7], s[6:7], exec
	s_or_saveexec_b64 s[8:9], s[8:9]
	v_mov_b32_e32 v31, s29
	s_xor_b64 exec, exec, s[8:9]
	s_cbranch_execz .LBB272_611
.LBB272_882:                            ;   in Loop: Header=BB272_562 Depth=1
	v_cmp_ne_u16_e64 s[0:1], 0, v0
	s_andn2_b64 s[6:7], s[6:7], exec
	s_and_b64 s[0:1], s[0:1], exec
	v_mov_b32_e32 v31, 0
	s_or_b64 s[6:7], s[6:7], s[0:1]
	s_or_b64 exec, exec, s[8:9]
	s_and_saveexec_b64 s[8:9], s[6:7]
	s_cbranch_execnz .LBB272_612
	s_branch .LBB272_613
.LBB272_883:                            ;   in Loop: Header=BB272_562 Depth=1
	v_cmp_eq_u16_sdwa s[30:31], v25, s15 src0_sel:BYTE_0 src1_sel:DWORD
	s_mov_b64 s[0:1], -1
                                        ; implicit-def: $sgpr10
	s_and_saveexec_b64 s[8:9], s[30:31]
; %bb.884:                              ;   in Loop: Header=BB272_562 Depth=1
	s_mov_b32 s10, 0x7fc02000
	s_xor_b64 s[0:1], exec, -1
; %bb.885:                              ;   in Loop: Header=BB272_562 Depth=1
	s_or_b64 exec, exec, s[8:9]
	s_and_b64 s[0:1], s[0:1], exec
	s_or_saveexec_b64 s[6:7], s[6:7]
	v_mov_b32_e32 v4, s10
	s_xor_b64 exec, exec, s[6:7]
	s_cbranch_execz .LBB272_615
.LBB272_886:                            ;   in Loop: Header=BB272_562 Depth=1
	v_cmp_ne_u16_sdwa s[8:9], v25, v1 src0_sel:BYTE_0 src1_sel:DWORD
	s_andn2_b64 s[0:1], s[0:1], exec
	s_and_b64 s[8:9], s[8:9], exec
	v_mov_b32_e32 v4, 0
	s_or_b64 s[0:1], s[0:1], s[8:9]
	s_or_b64 exec, exec, s[6:7]
	v_mov_b32_e32 v0, v25
	s_and_saveexec_b64 s[6:7], s[0:1]
	s_cbranch_execnz .LBB272_616
	s_branch .LBB272_617
.LBB272_887:                            ;   in Loop: Header=BB272_562 Depth=1
	v_cmp_eq_u16_e64 s[0:1], s15, v0
	s_mov_b64 s[6:7], -1
                                        ; implicit-def: $sgpr29
	s_and_saveexec_b64 s[10:11], s[0:1]
; %bb.888:                              ;   in Loop: Header=BB272_562 Depth=1
	s_mov_b32 s29, 0x7fc02000
	s_xor_b64 s[6:7], exec, -1
; %bb.889:                              ;   in Loop: Header=BB272_562 Depth=1
	s_or_b64 exec, exec, s[10:11]
	s_and_b64 s[6:7], s[6:7], exec
	s_or_saveexec_b64 s[8:9], s[8:9]
	v_mov_b32_e32 v5, s29
	s_xor_b64 exec, exec, s[8:9]
	s_cbranch_execz .LBB272_619
.LBB272_890:                            ;   in Loop: Header=BB272_562 Depth=1
	v_cmp_ne_u16_e64 s[0:1], 0, v0
	s_andn2_b64 s[6:7], s[6:7], exec
	s_and_b64 s[0:1], s[0:1], exec
	v_mov_b32_e32 v5, 0
	s_or_b64 s[6:7], s[6:7], s[0:1]
	s_or_b64 exec, exec, s[8:9]
	s_and_saveexec_b64 s[8:9], s[6:7]
	s_cbranch_execnz .LBB272_620
	s_branch .LBB272_621
.LBB272_891:                            ;   in Loop: Header=BB272_562 Depth=1
	v_cmp_eq_u16_sdwa s[30:31], v0, s15 src0_sel:BYTE_0 src1_sel:DWORD
	s_mov_b64 s[0:1], -1
                                        ; implicit-def: $sgpr10
	s_and_saveexec_b64 s[8:9], s[30:31]
; %bb.892:                              ;   in Loop: Header=BB272_562 Depth=1
	s_mov_b32 s10, 0x7fc02000
	s_xor_b64 s[0:1], exec, -1
; %bb.893:                              ;   in Loop: Header=BB272_562 Depth=1
	s_or_b64 exec, exec, s[8:9]
	s_and_b64 s[0:1], s[0:1], exec
	s_or_saveexec_b64 s[6:7], s[6:7]
	v_mov_b32_e32 v6, s10
	s_xor_b64 exec, exec, s[6:7]
	s_cbranch_execz .LBB272_623
.LBB272_894:                            ;   in Loop: Header=BB272_562 Depth=1
	v_cmp_ne_u16_sdwa s[8:9], v0, v1 src0_sel:BYTE_0 src1_sel:DWORD
	s_andn2_b64 s[0:1], s[0:1], exec
	s_and_b64 s[8:9], s[8:9], exec
	v_mov_b32_e32 v6, 0
	s_or_b64 s[0:1], s[0:1], s[8:9]
	s_or_b64 exec, exec, s[6:7]
	s_and_saveexec_b64 s[6:7], s[0:1]
	s_cbranch_execnz .LBB272_624
	s_branch .LBB272_625
.LBB272_895:                            ;   in Loop: Header=BB272_562 Depth=1
	v_cmp_eq_u16_e64 s[0:1], s15, v0
	s_mov_b64 s[6:7], -1
                                        ; implicit-def: $sgpr29
	s_and_saveexec_b64 s[10:11], s[0:1]
; %bb.896:                              ;   in Loop: Header=BB272_562 Depth=1
	s_mov_b32 s29, 0x7fc02000
	s_xor_b64 s[6:7], exec, -1
; %bb.897:                              ;   in Loop: Header=BB272_562 Depth=1
	s_or_b64 exec, exec, s[10:11]
	s_and_b64 s[6:7], s[6:7], exec
	s_or_saveexec_b64 s[8:9], s[8:9]
	v_mov_b32_e32 v15, s29
	s_xor_b64 exec, exec, s[8:9]
	s_cbranch_execz .LBB272_627
.LBB272_898:                            ;   in Loop: Header=BB272_562 Depth=1
	v_cmp_ne_u16_e64 s[0:1], 0, v0
	s_andn2_b64 s[6:7], s[6:7], exec
	s_and_b64 s[0:1], s[0:1], exec
	v_mov_b32_e32 v15, 0
	s_or_b64 s[6:7], s[6:7], s[0:1]
	s_or_b64 exec, exec, s[8:9]
	s_and_saveexec_b64 s[8:9], s[6:7]
	s_cbranch_execnz .LBB272_628
	s_branch .LBB272_629
.LBB272_899:                            ;   in Loop: Header=BB272_562 Depth=1
	v_cmp_eq_u16_sdwa s[30:31], v24, s15 src0_sel:BYTE_0 src1_sel:DWORD
	s_mov_b64 s[0:1], -1
                                        ; implicit-def: $sgpr10
	s_and_saveexec_b64 s[8:9], s[30:31]
; %bb.900:                              ;   in Loop: Header=BB272_562 Depth=1
	s_mov_b32 s10, 0x7fc02000
	s_xor_b64 s[0:1], exec, -1
; %bb.901:                              ;   in Loop: Header=BB272_562 Depth=1
	s_or_b64 exec, exec, s[8:9]
	s_and_b64 s[0:1], s[0:1], exec
	s_or_saveexec_b64 s[6:7], s[6:7]
	v_mov_b32_e32 v28, s10
	s_xor_b64 exec, exec, s[6:7]
	s_cbranch_execz .LBB272_633
.LBB272_902:                            ;   in Loop: Header=BB272_562 Depth=1
	v_cmp_ne_u16_sdwa s[8:9], v24, v1 src0_sel:BYTE_0 src1_sel:DWORD
	s_andn2_b64 s[0:1], s[0:1], exec
	s_and_b64 s[8:9], s[8:9], exec
	v_mov_b32_e32 v28, 0
	s_or_b64 s[0:1], s[0:1], s[8:9]
	s_or_b64 exec, exec, s[6:7]
	s_and_saveexec_b64 s[6:7], s[0:1]
	s_cbranch_execnz .LBB272_634
	s_branch .LBB272_635
.LBB272_903:                            ;   in Loop: Header=BB272_562 Depth=1
	v_cmp_eq_u16_e64 s[0:1], s15, v0
	s_mov_b64 s[6:7], -1
                                        ; implicit-def: $sgpr29
	s_and_saveexec_b64 s[10:11], s[0:1]
; %bb.904:                              ;   in Loop: Header=BB272_562 Depth=1
	s_mov_b32 s29, 0x7fc02000
	s_xor_b64 s[6:7], exec, -1
; %bb.905:                              ;   in Loop: Header=BB272_562 Depth=1
	s_or_b64 exec, exec, s[10:11]
	s_and_b64 s[6:7], s[6:7], exec
	s_or_saveexec_b64 s[8:9], s[8:9]
	v_mov_b32_e32 v30, s29
	s_xor_b64 exec, exec, s[8:9]
	s_cbranch_execz .LBB272_637
.LBB272_906:                            ;   in Loop: Header=BB272_562 Depth=1
	v_cmp_ne_u16_e64 s[0:1], 0, v0
	s_andn2_b64 s[6:7], s[6:7], exec
	s_and_b64 s[0:1], s[0:1], exec
	v_mov_b32_e32 v30, 0
	s_or_b64 s[6:7], s[6:7], s[0:1]
	s_or_b64 exec, exec, s[8:9]
	s_and_saveexec_b64 s[8:9], s[6:7]
	s_cbranch_execnz .LBB272_638
	s_branch .LBB272_639
.LBB272_907:                            ;   in Loop: Header=BB272_562 Depth=1
	v_cmp_eq_u16_sdwa s[30:31], v0, s15 src0_sel:BYTE_0 src1_sel:DWORD
	s_mov_b64 s[0:1], -1
                                        ; implicit-def: $sgpr10
	s_and_saveexec_b64 s[8:9], s[30:31]
; %bb.908:                              ;   in Loop: Header=BB272_562 Depth=1
	s_mov_b32 s10, 0x7fc02000
	s_xor_b64 s[0:1], exec, -1
; %bb.909:                              ;   in Loop: Header=BB272_562 Depth=1
	s_or_b64 exec, exec, s[8:9]
	s_and_b64 s[0:1], s[0:1], exec
	s_or_saveexec_b64 s[6:7], s[6:7]
	v_mov_b32_e32 v29, s10
	s_xor_b64 exec, exec, s[6:7]
	s_cbranch_execz .LBB272_641
.LBB272_910:                            ;   in Loop: Header=BB272_562 Depth=1
	v_cmp_ne_u16_sdwa s[8:9], v0, v1 src0_sel:BYTE_0 src1_sel:DWORD
	s_andn2_b64 s[0:1], s[0:1], exec
	s_and_b64 s[8:9], s[8:9], exec
	v_mov_b32_e32 v29, 0
	s_or_b64 s[0:1], s[0:1], s[8:9]
	s_or_b64 exec, exec, s[6:7]
	s_and_saveexec_b64 s[6:7], s[0:1]
	s_cbranch_execnz .LBB272_642
	s_branch .LBB272_643
.LBB272_911:                            ;   in Loop: Header=BB272_562 Depth=1
	v_cmp_eq_u16_e64 s[0:1], s15, v0
	s_mov_b64 s[6:7], -1
                                        ; implicit-def: $sgpr29
	s_and_saveexec_b64 s[10:11], s[0:1]
; %bb.912:                              ;   in Loop: Header=BB272_562 Depth=1
	s_mov_b32 s29, 0x7fc02000
	s_xor_b64 s[6:7], exec, -1
; %bb.913:                              ;   in Loop: Header=BB272_562 Depth=1
	s_or_b64 exec, exec, s[10:11]
	s_and_b64 s[6:7], s[6:7], exec
	s_or_saveexec_b64 s[8:9], s[8:9]
	v_mov_b32_e32 v31, s29
	s_xor_b64 exec, exec, s[8:9]
	s_cbranch_execz .LBB272_645
.LBB272_914:                            ;   in Loop: Header=BB272_562 Depth=1
	v_cmp_ne_u16_e64 s[0:1], 0, v0
	s_andn2_b64 s[6:7], s[6:7], exec
	s_and_b64 s[0:1], s[0:1], exec
	v_mov_b32_e32 v31, 0
	s_or_b64 s[6:7], s[6:7], s[0:1]
	s_or_b64 exec, exec, s[8:9]
	s_and_saveexec_b64 s[8:9], s[6:7]
	s_cbranch_execnz .LBB272_646
	s_branch .LBB272_647
.LBB272_915:                            ;   in Loop: Header=BB272_562 Depth=1
	v_cmp_eq_u16_sdwa s[30:31], v25, s15 src0_sel:BYTE_0 src1_sel:DWORD
	s_mov_b64 s[0:1], -1
                                        ; implicit-def: $sgpr10
	s_and_saveexec_b64 s[8:9], s[30:31]
; %bb.916:                              ;   in Loop: Header=BB272_562 Depth=1
	s_mov_b32 s10, 0x7fc02000
	s_xor_b64 s[0:1], exec, -1
; %bb.917:                              ;   in Loop: Header=BB272_562 Depth=1
	s_or_b64 exec, exec, s[8:9]
	s_and_b64 s[0:1], s[0:1], exec
	s_or_saveexec_b64 s[6:7], s[6:7]
	v_mov_b32_e32 v4, s10
	s_xor_b64 exec, exec, s[6:7]
	s_cbranch_execz .LBB272_649
.LBB272_918:                            ;   in Loop: Header=BB272_562 Depth=1
	v_cmp_ne_u16_sdwa s[8:9], v25, v1 src0_sel:BYTE_0 src1_sel:DWORD
	s_andn2_b64 s[0:1], s[0:1], exec
	s_and_b64 s[8:9], s[8:9], exec
	v_mov_b32_e32 v4, 0
	s_or_b64 s[0:1], s[0:1], s[8:9]
	s_or_b64 exec, exec, s[6:7]
	v_mov_b32_e32 v0, v25
	s_and_saveexec_b64 s[6:7], s[0:1]
	s_cbranch_execnz .LBB272_650
	s_branch .LBB272_651
.LBB272_919:                            ;   in Loop: Header=BB272_562 Depth=1
	v_cmp_eq_u16_e64 s[0:1], s15, v0
	s_mov_b64 s[6:7], -1
                                        ; implicit-def: $sgpr29
	s_and_saveexec_b64 s[10:11], s[0:1]
; %bb.920:                              ;   in Loop: Header=BB272_562 Depth=1
	s_mov_b32 s29, 0x7fc02000
	s_xor_b64 s[6:7], exec, -1
; %bb.921:                              ;   in Loop: Header=BB272_562 Depth=1
	s_or_b64 exec, exec, s[10:11]
	s_and_b64 s[6:7], s[6:7], exec
	s_or_saveexec_b64 s[8:9], s[8:9]
	v_mov_b32_e32 v5, s29
	s_xor_b64 exec, exec, s[8:9]
	s_cbranch_execz .LBB272_653
.LBB272_922:                            ;   in Loop: Header=BB272_562 Depth=1
	v_cmp_ne_u16_e64 s[0:1], 0, v0
	s_andn2_b64 s[6:7], s[6:7], exec
	s_and_b64 s[0:1], s[0:1], exec
	v_mov_b32_e32 v5, 0
	s_or_b64 s[6:7], s[6:7], s[0:1]
	s_or_b64 exec, exec, s[8:9]
	s_and_saveexec_b64 s[8:9], s[6:7]
	s_cbranch_execnz .LBB272_654
	s_branch .LBB272_655
.LBB272_923:                            ;   in Loop: Header=BB272_562 Depth=1
	v_cmp_eq_u16_sdwa s[30:31], v0, s15 src0_sel:BYTE_0 src1_sel:DWORD
	s_mov_b64 s[0:1], -1
                                        ; implicit-def: $sgpr10
	s_and_saveexec_b64 s[8:9], s[30:31]
; %bb.924:                              ;   in Loop: Header=BB272_562 Depth=1
	s_mov_b32 s10, 0x7fc02000
	s_xor_b64 s[0:1], exec, -1
; %bb.925:                              ;   in Loop: Header=BB272_562 Depth=1
	s_or_b64 exec, exec, s[8:9]
	s_and_b64 s[0:1], s[0:1], exec
	s_or_saveexec_b64 s[6:7], s[6:7]
	v_mov_b32_e32 v6, s10
	s_xor_b64 exec, exec, s[6:7]
	s_cbranch_execz .LBB272_657
.LBB272_926:                            ;   in Loop: Header=BB272_562 Depth=1
	v_cmp_ne_u16_sdwa s[8:9], v0, v1 src0_sel:BYTE_0 src1_sel:DWORD
	s_andn2_b64 s[0:1], s[0:1], exec
	s_and_b64 s[8:9], s[8:9], exec
	v_mov_b32_e32 v6, 0
	s_or_b64 s[0:1], s[0:1], s[8:9]
	s_or_b64 exec, exec, s[6:7]
	s_and_saveexec_b64 s[6:7], s[0:1]
	s_cbranch_execnz .LBB272_658
	s_branch .LBB272_659
.LBB272_927:                            ;   in Loop: Header=BB272_562 Depth=1
	v_cmp_eq_u16_e64 s[0:1], s15, v0
	s_mov_b64 s[6:7], -1
                                        ; implicit-def: $sgpr29
	s_and_saveexec_b64 s[10:11], s[0:1]
; %bb.928:                              ;   in Loop: Header=BB272_562 Depth=1
	s_mov_b32 s29, 0x7fc02000
	s_xor_b64 s[6:7], exec, -1
; %bb.929:                              ;   in Loop: Header=BB272_562 Depth=1
	s_or_b64 exec, exec, s[10:11]
	s_and_b64 s[6:7], s[6:7], exec
	s_or_saveexec_b64 s[8:9], s[8:9]
	v_mov_b32_e32 v15, s29
	s_xor_b64 exec, exec, s[8:9]
	s_cbranch_execz .LBB272_661
.LBB272_930:                            ;   in Loop: Header=BB272_562 Depth=1
	v_cmp_ne_u16_e64 s[0:1], 0, v0
	s_andn2_b64 s[6:7], s[6:7], exec
	s_and_b64 s[0:1], s[0:1], exec
	v_mov_b32_e32 v15, 0
	s_or_b64 s[6:7], s[6:7], s[0:1]
	s_or_b64 exec, exec, s[8:9]
	s_and_saveexec_b64 s[8:9], s[6:7]
	s_cbranch_execnz .LBB272_662
	s_branch .LBB272_663
.LBB272_931:                            ;   in Loop: Header=BB272_562 Depth=1
	v_cmp_eq_u16_sdwa s[30:31], v24, s15 src0_sel:BYTE_0 src1_sel:DWORD
	s_mov_b64 s[0:1], -1
                                        ; implicit-def: $sgpr10
	s_and_saveexec_b64 s[8:9], s[30:31]
; %bb.932:                              ;   in Loop: Header=BB272_562 Depth=1
	s_mov_b32 s10, 0x7fc02000
	s_xor_b64 s[0:1], exec, -1
; %bb.933:                              ;   in Loop: Header=BB272_562 Depth=1
	s_or_b64 exec, exec, s[8:9]
	s_and_b64 s[0:1], s[0:1], exec
	s_or_saveexec_b64 s[6:7], s[6:7]
	v_mov_b32_e32 v28, s10
	s_xor_b64 exec, exec, s[6:7]
	s_cbranch_execz .LBB272_667
.LBB272_934:                            ;   in Loop: Header=BB272_562 Depth=1
	v_cmp_ne_u16_sdwa s[8:9], v24, v1 src0_sel:BYTE_0 src1_sel:DWORD
	s_andn2_b64 s[0:1], s[0:1], exec
	s_and_b64 s[8:9], s[8:9], exec
	v_mov_b32_e32 v28, 0
	s_or_b64 s[0:1], s[0:1], s[8:9]
	s_or_b64 exec, exec, s[6:7]
	s_and_saveexec_b64 s[6:7], s[0:1]
	s_cbranch_execnz .LBB272_668
	s_branch .LBB272_669
.LBB272_935:                            ;   in Loop: Header=BB272_562 Depth=1
	v_cmp_eq_u16_e64 s[0:1], s15, v0
	s_mov_b64 s[6:7], -1
                                        ; implicit-def: $sgpr29
	s_and_saveexec_b64 s[10:11], s[0:1]
; %bb.936:                              ;   in Loop: Header=BB272_562 Depth=1
	s_mov_b32 s29, 0x7fc02000
	s_xor_b64 s[6:7], exec, -1
; %bb.937:                              ;   in Loop: Header=BB272_562 Depth=1
	s_or_b64 exec, exec, s[10:11]
	s_and_b64 s[6:7], s[6:7], exec
	s_or_saveexec_b64 s[8:9], s[8:9]
	v_mov_b32_e32 v30, s29
	s_xor_b64 exec, exec, s[8:9]
	s_cbranch_execz .LBB272_671
.LBB272_938:                            ;   in Loop: Header=BB272_562 Depth=1
	v_cmp_ne_u16_e64 s[0:1], 0, v0
	s_andn2_b64 s[6:7], s[6:7], exec
	s_and_b64 s[0:1], s[0:1], exec
	v_mov_b32_e32 v30, 0
	s_or_b64 s[6:7], s[6:7], s[0:1]
	s_or_b64 exec, exec, s[8:9]
	s_and_saveexec_b64 s[8:9], s[6:7]
	s_cbranch_execnz .LBB272_672
	s_branch .LBB272_673
.LBB272_939:                            ;   in Loop: Header=BB272_562 Depth=1
	v_cmp_eq_u16_sdwa s[30:31], v0, s15 src0_sel:BYTE_0 src1_sel:DWORD
	s_mov_b64 s[0:1], -1
                                        ; implicit-def: $sgpr10
	s_and_saveexec_b64 s[8:9], s[30:31]
; %bb.940:                              ;   in Loop: Header=BB272_562 Depth=1
	s_mov_b32 s10, 0x7fc02000
	s_xor_b64 s[0:1], exec, -1
; %bb.941:                              ;   in Loop: Header=BB272_562 Depth=1
	s_or_b64 exec, exec, s[8:9]
	s_and_b64 s[0:1], s[0:1], exec
	s_or_saveexec_b64 s[6:7], s[6:7]
	v_mov_b32_e32 v29, s10
	s_xor_b64 exec, exec, s[6:7]
	s_cbranch_execz .LBB272_675
.LBB272_942:                            ;   in Loop: Header=BB272_562 Depth=1
	v_cmp_ne_u16_sdwa s[8:9], v0, v1 src0_sel:BYTE_0 src1_sel:DWORD
	s_andn2_b64 s[0:1], s[0:1], exec
	s_and_b64 s[8:9], s[8:9], exec
	v_mov_b32_e32 v29, 0
	s_or_b64 s[0:1], s[0:1], s[8:9]
	s_or_b64 exec, exec, s[6:7]
	s_and_saveexec_b64 s[6:7], s[0:1]
	s_cbranch_execnz .LBB272_676
	s_branch .LBB272_677
.LBB272_943:                            ;   in Loop: Header=BB272_562 Depth=1
	v_cmp_eq_u16_e64 s[0:1], s15, v0
	s_mov_b64 s[6:7], -1
                                        ; implicit-def: $sgpr29
	s_and_saveexec_b64 s[10:11], s[0:1]
; %bb.944:                              ;   in Loop: Header=BB272_562 Depth=1
	s_mov_b32 s29, 0x7fc02000
	s_xor_b64 s[6:7], exec, -1
; %bb.945:                              ;   in Loop: Header=BB272_562 Depth=1
	s_or_b64 exec, exec, s[10:11]
	s_and_b64 s[6:7], s[6:7], exec
	s_or_saveexec_b64 s[8:9], s[8:9]
	v_mov_b32_e32 v31, s29
	s_xor_b64 exec, exec, s[8:9]
	s_cbranch_execz .LBB272_679
.LBB272_946:                            ;   in Loop: Header=BB272_562 Depth=1
	v_cmp_ne_u16_e64 s[0:1], 0, v0
	s_andn2_b64 s[6:7], s[6:7], exec
	s_and_b64 s[0:1], s[0:1], exec
	v_mov_b32_e32 v31, 0
	s_or_b64 s[6:7], s[6:7], s[0:1]
	s_or_b64 exec, exec, s[8:9]
	s_and_saveexec_b64 s[8:9], s[6:7]
	s_cbranch_execnz .LBB272_680
	s_branch .LBB272_681
.LBB272_947:                            ;   in Loop: Header=BB272_562 Depth=1
	v_cmp_eq_u16_sdwa s[30:31], v25, s15 src0_sel:BYTE_0 src1_sel:DWORD
	s_mov_b64 s[0:1], -1
                                        ; implicit-def: $sgpr10
	s_and_saveexec_b64 s[8:9], s[30:31]
; %bb.948:                              ;   in Loop: Header=BB272_562 Depth=1
	s_mov_b32 s10, 0x7fc02000
	s_xor_b64 s[0:1], exec, -1
; %bb.949:                              ;   in Loop: Header=BB272_562 Depth=1
	s_or_b64 exec, exec, s[8:9]
	s_and_b64 s[0:1], s[0:1], exec
	s_or_saveexec_b64 s[6:7], s[6:7]
	v_mov_b32_e32 v6, s10
	s_xor_b64 exec, exec, s[6:7]
	s_cbranch_execz .LBB272_683
.LBB272_950:                            ;   in Loop: Header=BB272_562 Depth=1
	v_cmp_ne_u16_sdwa s[8:9], v25, v1 src0_sel:BYTE_0 src1_sel:DWORD
	s_andn2_b64 s[0:1], s[0:1], exec
	s_and_b64 s[8:9], s[8:9], exec
	v_mov_b32_e32 v6, 0
	s_or_b64 s[0:1], s[0:1], s[8:9]
	s_or_b64 exec, exec, s[6:7]
	v_mov_b32_e32 v0, v25
	s_and_saveexec_b64 s[6:7], s[0:1]
	s_cbranch_execnz .LBB272_684
	s_branch .LBB272_685
.LBB272_951:                            ;   in Loop: Header=BB272_562 Depth=1
	v_cmp_eq_u16_e64 s[0:1], s15, v0
	s_mov_b64 s[6:7], -1
                                        ; implicit-def: $sgpr29
	s_and_saveexec_b64 s[10:11], s[0:1]
; %bb.952:                              ;   in Loop: Header=BB272_562 Depth=1
	s_mov_b32 s29, 0x7fc02000
	s_xor_b64 s[6:7], exec, -1
; %bb.953:                              ;   in Loop: Header=BB272_562 Depth=1
	s_or_b64 exec, exec, s[10:11]
	s_and_b64 s[6:7], s[6:7], exec
	s_or_saveexec_b64 s[8:9], s[8:9]
	v_mov_b32_e32 v7, s29
	s_xor_b64 exec, exec, s[8:9]
	s_cbranch_execz .LBB272_687
.LBB272_954:                            ;   in Loop: Header=BB272_562 Depth=1
	v_cmp_ne_u16_e64 s[0:1], 0, v0
	s_andn2_b64 s[6:7], s[6:7], exec
	s_and_b64 s[0:1], s[0:1], exec
	v_mov_b32_e32 v7, 0
	s_or_b64 s[6:7], s[6:7], s[0:1]
	s_or_b64 exec, exec, s[8:9]
	s_and_saveexec_b64 s[8:9], s[6:7]
	s_cbranch_execnz .LBB272_688
	s_branch .LBB272_689
.LBB272_955:                            ;   in Loop: Header=BB272_562 Depth=1
	v_cmp_eq_u16_sdwa s[30:31], v0, s15 src0_sel:BYTE_0 src1_sel:DWORD
	s_mov_b64 s[0:1], -1
                                        ; implicit-def: $sgpr10
	s_and_saveexec_b64 s[8:9], s[30:31]
; %bb.956:                              ;   in Loop: Header=BB272_562 Depth=1
	s_mov_b32 s10, 0x7fc02000
	s_xor_b64 s[0:1], exec, -1
; %bb.957:                              ;   in Loop: Header=BB272_562 Depth=1
	s_or_b64 exec, exec, s[8:9]
	s_and_b64 s[0:1], s[0:1], exec
	s_or_saveexec_b64 s[6:7], s[6:7]
	v_mov_b32_e32 v15, s10
	s_xor_b64 exec, exec, s[6:7]
	s_cbranch_execz .LBB272_691
.LBB272_958:                            ;   in Loop: Header=BB272_562 Depth=1
	v_cmp_ne_u16_sdwa s[8:9], v0, v1 src0_sel:BYTE_0 src1_sel:DWORD
	s_andn2_b64 s[0:1], s[0:1], exec
	s_and_b64 s[8:9], s[8:9], exec
	v_mov_b32_e32 v15, 0
	s_or_b64 s[0:1], s[0:1], s[8:9]
	s_or_b64 exec, exec, s[6:7]
	s_and_saveexec_b64 s[6:7], s[0:1]
	s_cbranch_execnz .LBB272_692
	s_branch .LBB272_693
.LBB272_959:                            ;   in Loop: Header=BB272_562 Depth=1
	v_cmp_eq_u16_e64 s[0:1], s15, v0
	s_mov_b64 s[6:7], -1
                                        ; implicit-def: $sgpr29
	s_and_saveexec_b64 s[10:11], s[0:1]
; %bb.960:                              ;   in Loop: Header=BB272_562 Depth=1
	s_mov_b32 s29, 0x7fc02000
	s_xor_b64 s[6:7], exec, -1
; %bb.961:                              ;   in Loop: Header=BB272_562 Depth=1
	s_or_b64 exec, exec, s[10:11]
	s_and_b64 s[6:7], s[6:7], exec
	s_or_saveexec_b64 s[8:9], s[8:9]
	v_mov_b32_e32 v17, s29
	s_xor_b64 exec, exec, s[8:9]
	s_cbranch_execz .LBB272_695
.LBB272_962:                            ;   in Loop: Header=BB272_562 Depth=1
	v_cmp_ne_u16_e64 s[0:1], 0, v0
	s_andn2_b64 s[6:7], s[6:7], exec
	s_and_b64 s[0:1], s[0:1], exec
	v_mov_b32_e32 v17, 0
	s_or_b64 s[6:7], s[6:7], s[0:1]
	s_or_b64 exec, exec, s[8:9]
	s_and_saveexec_b64 s[8:9], s[6:7]
	s_cbranch_execnz .LBB272_696
	s_branch .LBB272_697
.LBB272_963:                            ;   in Loop: Header=BB272_562 Depth=1
	v_cmp_eq_u16_sdwa s[30:31], v24, s15 src0_sel:BYTE_0 src1_sel:DWORD
	s_mov_b64 s[0:1], -1
                                        ; implicit-def: $sgpr10
	s_and_saveexec_b64 s[8:9], s[30:31]
; %bb.964:                              ;   in Loop: Header=BB272_562 Depth=1
	s_mov_b32 s10, 0x7fc02000
	s_xor_b64 s[0:1], exec, -1
; %bb.965:                              ;   in Loop: Header=BB272_562 Depth=1
	s_or_b64 exec, exec, s[8:9]
	s_and_b64 s[0:1], s[0:1], exec
	s_or_saveexec_b64 s[6:7], s[6:7]
	v_mov_b32_e32 v28, s10
	s_xor_b64 exec, exec, s[6:7]
	s_cbranch_execz .LBB272_701
.LBB272_966:                            ;   in Loop: Header=BB272_562 Depth=1
	v_cmp_ne_u16_sdwa s[8:9], v24, v1 src0_sel:BYTE_0 src1_sel:DWORD
	s_andn2_b64 s[0:1], s[0:1], exec
	s_and_b64 s[8:9], s[8:9], exec
	v_mov_b32_e32 v28, 0
	s_or_b64 s[0:1], s[0:1], s[8:9]
	s_or_b64 exec, exec, s[6:7]
	s_and_saveexec_b64 s[6:7], s[0:1]
	s_cbranch_execnz .LBB272_702
	s_branch .LBB272_703
.LBB272_967:                            ;   in Loop: Header=BB272_562 Depth=1
	v_cmp_eq_u16_e64 s[0:1], s15, v0
	s_mov_b64 s[6:7], -1
                                        ; implicit-def: $sgpr29
	s_and_saveexec_b64 s[10:11], s[0:1]
; %bb.968:                              ;   in Loop: Header=BB272_562 Depth=1
	s_mov_b32 s29, 0x7fc02000
	s_xor_b64 s[6:7], exec, -1
; %bb.969:                              ;   in Loop: Header=BB272_562 Depth=1
	s_or_b64 exec, exec, s[10:11]
	s_and_b64 s[6:7], s[6:7], exec
	s_or_saveexec_b64 s[8:9], s[8:9]
	v_mov_b32_e32 v30, s29
	s_xor_b64 exec, exec, s[8:9]
	s_cbranch_execz .LBB272_705
.LBB272_970:                            ;   in Loop: Header=BB272_562 Depth=1
	v_cmp_ne_u16_e64 s[0:1], 0, v0
	s_andn2_b64 s[6:7], s[6:7], exec
	s_and_b64 s[0:1], s[0:1], exec
	v_mov_b32_e32 v30, 0
	s_or_b64 s[6:7], s[6:7], s[0:1]
	s_or_b64 exec, exec, s[8:9]
	s_and_saveexec_b64 s[8:9], s[6:7]
	s_cbranch_execnz .LBB272_706
	s_branch .LBB272_707
.LBB272_971:                            ;   in Loop: Header=BB272_562 Depth=1
	v_cmp_eq_u16_sdwa s[30:31], v0, s15 src0_sel:BYTE_0 src1_sel:DWORD
	s_mov_b64 s[0:1], -1
                                        ; implicit-def: $sgpr10
	s_and_saveexec_b64 s[8:9], s[30:31]
; %bb.972:                              ;   in Loop: Header=BB272_562 Depth=1
	s_mov_b32 s10, 0x7fc02000
	s_xor_b64 s[0:1], exec, -1
; %bb.973:                              ;   in Loop: Header=BB272_562 Depth=1
	s_or_b64 exec, exec, s[8:9]
	s_and_b64 s[0:1], s[0:1], exec
	s_or_saveexec_b64 s[6:7], s[6:7]
	v_mov_b32_e32 v29, s10
	s_xor_b64 exec, exec, s[6:7]
	s_cbranch_execz .LBB272_709
.LBB272_974:                            ;   in Loop: Header=BB272_562 Depth=1
	v_cmp_ne_u16_sdwa s[8:9], v0, v1 src0_sel:BYTE_0 src1_sel:DWORD
	s_andn2_b64 s[0:1], s[0:1], exec
	s_and_b64 s[8:9], s[8:9], exec
	v_mov_b32_e32 v29, 0
	s_or_b64 s[0:1], s[0:1], s[8:9]
	s_or_b64 exec, exec, s[6:7]
	s_and_saveexec_b64 s[6:7], s[0:1]
	s_cbranch_execnz .LBB272_710
	s_branch .LBB272_711
.LBB272_975:                            ;   in Loop: Header=BB272_562 Depth=1
	v_cmp_eq_u16_e64 s[0:1], s15, v0
	s_mov_b64 s[6:7], -1
                                        ; implicit-def: $sgpr29
	s_and_saveexec_b64 s[10:11], s[0:1]
; %bb.976:                              ;   in Loop: Header=BB272_562 Depth=1
	s_mov_b32 s29, 0x7fc02000
	s_xor_b64 s[6:7], exec, -1
; %bb.977:                              ;   in Loop: Header=BB272_562 Depth=1
	s_or_b64 exec, exec, s[10:11]
	s_and_b64 s[6:7], s[6:7], exec
	s_or_saveexec_b64 s[8:9], s[8:9]
	v_mov_b32_e32 v31, s29
	s_xor_b64 exec, exec, s[8:9]
	s_cbranch_execz .LBB272_713
.LBB272_978:                            ;   in Loop: Header=BB272_562 Depth=1
	v_cmp_ne_u16_e64 s[0:1], 0, v0
	s_andn2_b64 s[6:7], s[6:7], exec
	s_and_b64 s[0:1], s[0:1], exec
	v_mov_b32_e32 v31, 0
	s_or_b64 s[6:7], s[6:7], s[0:1]
	s_or_b64 exec, exec, s[8:9]
	s_and_saveexec_b64 s[8:9], s[6:7]
	s_cbranch_execnz .LBB272_714
	s_branch .LBB272_715
.LBB272_979:                            ;   in Loop: Header=BB272_562 Depth=1
	v_cmp_eq_u16_sdwa s[30:31], v25, s15 src0_sel:BYTE_0 src1_sel:DWORD
	s_mov_b64 s[0:1], -1
                                        ; implicit-def: $sgpr10
	s_and_saveexec_b64 s[8:9], s[30:31]
; %bb.980:                              ;   in Loop: Header=BB272_562 Depth=1
	s_mov_b32 s10, 0x7fc02000
	s_xor_b64 s[0:1], exec, -1
; %bb.981:                              ;   in Loop: Header=BB272_562 Depth=1
	s_or_b64 exec, exec, s[8:9]
	s_and_b64 s[0:1], s[0:1], exec
	s_or_saveexec_b64 s[6:7], s[6:7]
	v_mov_b32_e32 v6, s10
	s_xor_b64 exec, exec, s[6:7]
	s_cbranch_execz .LBB272_717
.LBB272_982:                            ;   in Loop: Header=BB272_562 Depth=1
	v_cmp_ne_u16_sdwa s[8:9], v25, v1 src0_sel:BYTE_0 src1_sel:DWORD
	s_andn2_b64 s[0:1], s[0:1], exec
	s_and_b64 s[8:9], s[8:9], exec
	v_mov_b32_e32 v6, 0
	s_or_b64 s[0:1], s[0:1], s[8:9]
	s_or_b64 exec, exec, s[6:7]
	v_mov_b32_e32 v0, v25
	s_and_saveexec_b64 s[6:7], s[0:1]
	s_cbranch_execnz .LBB272_718
	s_branch .LBB272_719
.LBB272_983:                            ;   in Loop: Header=BB272_562 Depth=1
	v_cmp_eq_u16_e64 s[0:1], s15, v0
	s_mov_b64 s[6:7], -1
                                        ; implicit-def: $sgpr29
	s_and_saveexec_b64 s[10:11], s[0:1]
; %bb.984:                              ;   in Loop: Header=BB272_562 Depth=1
	s_mov_b32 s29, 0x7fc02000
	s_xor_b64 s[6:7], exec, -1
; %bb.985:                              ;   in Loop: Header=BB272_562 Depth=1
	s_or_b64 exec, exec, s[10:11]
	s_and_b64 s[6:7], s[6:7], exec
	s_or_saveexec_b64 s[8:9], s[8:9]
	v_mov_b32_e32 v7, s29
	s_xor_b64 exec, exec, s[8:9]
	s_cbranch_execz .LBB272_721
.LBB272_986:                            ;   in Loop: Header=BB272_562 Depth=1
	v_cmp_ne_u16_e64 s[0:1], 0, v0
	s_andn2_b64 s[6:7], s[6:7], exec
	s_and_b64 s[0:1], s[0:1], exec
	v_mov_b32_e32 v7, 0
	s_or_b64 s[6:7], s[6:7], s[0:1]
	s_or_b64 exec, exec, s[8:9]
	s_and_saveexec_b64 s[8:9], s[6:7]
	s_cbranch_execnz .LBB272_722
	s_branch .LBB272_723
.LBB272_987:                            ;   in Loop: Header=BB272_562 Depth=1
	v_cmp_eq_u16_sdwa s[30:31], v0, s15 src0_sel:BYTE_0 src1_sel:DWORD
	s_mov_b64 s[0:1], -1
                                        ; implicit-def: $sgpr10
	s_and_saveexec_b64 s[8:9], s[30:31]
; %bb.988:                              ;   in Loop: Header=BB272_562 Depth=1
	s_mov_b32 s10, 0x7fc02000
	s_xor_b64 s[0:1], exec, -1
; %bb.989:                              ;   in Loop: Header=BB272_562 Depth=1
	s_or_b64 exec, exec, s[8:9]
	s_and_b64 s[0:1], s[0:1], exec
	s_or_saveexec_b64 s[6:7], s[6:7]
	v_mov_b32_e32 v15, s10
	s_xor_b64 exec, exec, s[6:7]
	s_cbranch_execz .LBB272_725
.LBB272_990:                            ;   in Loop: Header=BB272_562 Depth=1
	v_cmp_ne_u16_sdwa s[8:9], v0, v1 src0_sel:BYTE_0 src1_sel:DWORD
	s_andn2_b64 s[0:1], s[0:1], exec
	s_and_b64 s[8:9], s[8:9], exec
	v_mov_b32_e32 v15, 0
	s_or_b64 s[0:1], s[0:1], s[8:9]
	s_or_b64 exec, exec, s[6:7]
	s_and_saveexec_b64 s[6:7], s[0:1]
	s_cbranch_execnz .LBB272_726
	s_branch .LBB272_727
.LBB272_991:                            ;   in Loop: Header=BB272_562 Depth=1
	v_cmp_eq_u16_e64 s[0:1], s15, v0
	s_mov_b64 s[6:7], -1
                                        ; implicit-def: $sgpr29
	s_and_saveexec_b64 s[10:11], s[0:1]
; %bb.992:                              ;   in Loop: Header=BB272_562 Depth=1
	s_mov_b32 s29, 0x7fc02000
	s_xor_b64 s[6:7], exec, -1
; %bb.993:                              ;   in Loop: Header=BB272_562 Depth=1
	s_or_b64 exec, exec, s[10:11]
	s_and_b64 s[6:7], s[6:7], exec
	s_or_saveexec_b64 s[8:9], s[8:9]
	v_mov_b32_e32 v22, s29
	s_xor_b64 exec, exec, s[8:9]
	s_cbranch_execz .LBB272_729
.LBB272_994:                            ;   in Loop: Header=BB272_562 Depth=1
	v_cmp_ne_u16_e64 s[0:1], 0, v0
	s_andn2_b64 s[6:7], s[6:7], exec
	s_and_b64 s[0:1], s[0:1], exec
	v_mov_b32_e32 v22, 0
	s_or_b64 s[6:7], s[6:7], s[0:1]
	s_or_b64 exec, exec, s[8:9]
	s_and_saveexec_b64 s[8:9], s[6:7]
	s_cbranch_execnz .LBB272_730
	s_branch .LBB272_731
.LBB272_995:                            ;   in Loop: Header=BB272_562 Depth=1
	v_cmp_eq_u16_sdwa s[30:31], v24, s15 src0_sel:BYTE_0 src1_sel:DWORD
	s_mov_b64 s[0:1], -1
                                        ; implicit-def: $sgpr10
	s_and_saveexec_b64 s[8:9], s[30:31]
; %bb.996:                              ;   in Loop: Header=BB272_562 Depth=1
	s_mov_b32 s10, 0x7fc02000
	s_xor_b64 s[0:1], exec, -1
; %bb.997:                              ;   in Loop: Header=BB272_562 Depth=1
	s_or_b64 exec, exec, s[8:9]
	s_and_b64 s[0:1], s[0:1], exec
	s_or_saveexec_b64 s[6:7], s[6:7]
	v_mov_b32_e32 v28, s10
	s_xor_b64 exec, exec, s[6:7]
	s_cbranch_execz .LBB272_735
.LBB272_998:                            ;   in Loop: Header=BB272_562 Depth=1
	v_cmp_ne_u16_sdwa s[8:9], v24, v1 src0_sel:BYTE_0 src1_sel:DWORD
	s_andn2_b64 s[0:1], s[0:1], exec
	s_and_b64 s[8:9], s[8:9], exec
	v_mov_b32_e32 v28, 0
	s_or_b64 s[0:1], s[0:1], s[8:9]
	s_or_b64 exec, exec, s[6:7]
	s_and_saveexec_b64 s[6:7], s[0:1]
	s_cbranch_execnz .LBB272_736
	s_branch .LBB272_737
.LBB272_999:                            ;   in Loop: Header=BB272_562 Depth=1
	v_cmp_eq_u16_e64 s[0:1], s15, v0
	s_mov_b64 s[6:7], -1
                                        ; implicit-def: $sgpr29
	s_and_saveexec_b64 s[10:11], s[0:1]
; %bb.1000:                             ;   in Loop: Header=BB272_562 Depth=1
	s_mov_b32 s29, 0x7fc02000
	s_xor_b64 s[6:7], exec, -1
; %bb.1001:                             ;   in Loop: Header=BB272_562 Depth=1
	s_or_b64 exec, exec, s[10:11]
	s_and_b64 s[6:7], s[6:7], exec
	s_or_saveexec_b64 s[8:9], s[8:9]
	v_mov_b32_e32 v30, s29
	s_xor_b64 exec, exec, s[8:9]
	s_cbranch_execz .LBB272_739
.LBB272_1002:                           ;   in Loop: Header=BB272_562 Depth=1
	v_cmp_ne_u16_e64 s[0:1], 0, v0
	s_andn2_b64 s[6:7], s[6:7], exec
	s_and_b64 s[0:1], s[0:1], exec
	v_mov_b32_e32 v30, 0
	s_or_b64 s[6:7], s[6:7], s[0:1]
	s_or_b64 exec, exec, s[8:9]
	s_and_saveexec_b64 s[8:9], s[6:7]
	s_cbranch_execnz .LBB272_740
	s_branch .LBB272_741
.LBB272_1003:                           ;   in Loop: Header=BB272_562 Depth=1
	v_cmp_eq_u16_sdwa s[30:31], v0, s15 src0_sel:BYTE_0 src1_sel:DWORD
	s_mov_b64 s[0:1], -1
                                        ; implicit-def: $sgpr10
	s_and_saveexec_b64 s[8:9], s[30:31]
; %bb.1004:                             ;   in Loop: Header=BB272_562 Depth=1
	s_mov_b32 s10, 0x7fc02000
	s_xor_b64 s[0:1], exec, -1
; %bb.1005:                             ;   in Loop: Header=BB272_562 Depth=1
	s_or_b64 exec, exec, s[8:9]
	s_and_b64 s[0:1], s[0:1], exec
	s_or_saveexec_b64 s[6:7], s[6:7]
	v_mov_b32_e32 v29, s10
	s_xor_b64 exec, exec, s[6:7]
	s_cbranch_execz .LBB272_743
.LBB272_1006:                           ;   in Loop: Header=BB272_562 Depth=1
	v_cmp_ne_u16_sdwa s[8:9], v0, v1 src0_sel:BYTE_0 src1_sel:DWORD
	s_andn2_b64 s[0:1], s[0:1], exec
	s_and_b64 s[8:9], s[8:9], exec
	v_mov_b32_e32 v29, 0
	s_or_b64 s[0:1], s[0:1], s[8:9]
	s_or_b64 exec, exec, s[6:7]
	s_and_saveexec_b64 s[6:7], s[0:1]
	s_cbranch_execnz .LBB272_744
	s_branch .LBB272_745
.LBB272_1007:                           ;   in Loop: Header=BB272_562 Depth=1
	v_cmp_eq_u16_e64 s[0:1], s15, v0
	s_mov_b64 s[6:7], -1
                                        ; implicit-def: $sgpr29
	s_and_saveexec_b64 s[10:11], s[0:1]
; %bb.1008:                             ;   in Loop: Header=BB272_562 Depth=1
	s_mov_b32 s29, 0x7fc02000
	s_xor_b64 s[6:7], exec, -1
; %bb.1009:                             ;   in Loop: Header=BB272_562 Depth=1
	s_or_b64 exec, exec, s[10:11]
	s_and_b64 s[6:7], s[6:7], exec
	s_or_saveexec_b64 s[8:9], s[8:9]
	v_mov_b32_e32 v31, s29
	s_xor_b64 exec, exec, s[8:9]
	s_cbranch_execz .LBB272_747
.LBB272_1010:                           ;   in Loop: Header=BB272_562 Depth=1
	v_cmp_ne_u16_e64 s[0:1], 0, v0
	s_andn2_b64 s[6:7], s[6:7], exec
	s_and_b64 s[0:1], s[0:1], exec
	v_mov_b32_e32 v31, 0
	s_or_b64 s[6:7], s[6:7], s[0:1]
	s_or_b64 exec, exec, s[8:9]
	s_and_saveexec_b64 s[8:9], s[6:7]
	s_cbranch_execnz .LBB272_748
	s_branch .LBB272_749
.LBB272_1011:                           ;   in Loop: Header=BB272_562 Depth=1
	v_cmp_eq_u16_sdwa s[30:31], v25, s15 src0_sel:BYTE_0 src1_sel:DWORD
	s_mov_b64 s[0:1], -1
                                        ; implicit-def: $sgpr10
	s_and_saveexec_b64 s[8:9], s[30:31]
; %bb.1012:                             ;   in Loop: Header=BB272_562 Depth=1
	s_mov_b32 s10, 0x7fc02000
	s_xor_b64 s[0:1], exec, -1
; %bb.1013:                             ;   in Loop: Header=BB272_562 Depth=1
	s_or_b64 exec, exec, s[8:9]
	s_and_b64 s[0:1], s[0:1], exec
	s_or_saveexec_b64 s[6:7], s[6:7]
	v_mov_b32_e32 v6, s10
	s_xor_b64 exec, exec, s[6:7]
	s_cbranch_execz .LBB272_751
.LBB272_1014:                           ;   in Loop: Header=BB272_562 Depth=1
	v_cmp_ne_u16_sdwa s[8:9], v25, v1 src0_sel:BYTE_0 src1_sel:DWORD
	s_andn2_b64 s[0:1], s[0:1], exec
	s_and_b64 s[8:9], s[8:9], exec
	v_mov_b32_e32 v6, 0
	s_or_b64 s[0:1], s[0:1], s[8:9]
	s_or_b64 exec, exec, s[6:7]
	v_mov_b32_e32 v0, v25
	s_and_saveexec_b64 s[6:7], s[0:1]
	s_cbranch_execnz .LBB272_752
	s_branch .LBB272_753
.LBB272_1015:                           ;   in Loop: Header=BB272_562 Depth=1
	v_cmp_eq_u16_e64 s[0:1], s15, v0
	s_mov_b64 s[6:7], -1
                                        ; implicit-def: $sgpr29
	s_and_saveexec_b64 s[10:11], s[0:1]
; %bb.1016:                             ;   in Loop: Header=BB272_562 Depth=1
	s_mov_b32 s29, 0x7fc02000
	s_xor_b64 s[6:7], exec, -1
; %bb.1017:                             ;   in Loop: Header=BB272_562 Depth=1
	s_or_b64 exec, exec, s[10:11]
	s_and_b64 s[6:7], s[6:7], exec
	s_or_saveexec_b64 s[8:9], s[8:9]
	v_mov_b32_e32 v15, s29
	s_xor_b64 exec, exec, s[8:9]
	s_cbranch_execz .LBB272_755
.LBB272_1018:                           ;   in Loop: Header=BB272_562 Depth=1
	v_cmp_ne_u16_e64 s[0:1], 0, v0
	s_andn2_b64 s[6:7], s[6:7], exec
	s_and_b64 s[0:1], s[0:1], exec
	v_mov_b32_e32 v15, 0
	s_or_b64 s[6:7], s[6:7], s[0:1]
	s_or_b64 exec, exec, s[8:9]
	s_and_saveexec_b64 s[8:9], s[6:7]
	s_cbranch_execnz .LBB272_756
	s_branch .LBB272_757
.LBB272_1019:                           ;   in Loop: Header=BB272_562 Depth=1
	v_cmp_eq_u16_sdwa s[30:31], v0, s15 src0_sel:BYTE_0 src1_sel:DWORD
	s_mov_b64 s[0:1], -1
                                        ; implicit-def: $sgpr10
	s_and_saveexec_b64 s[8:9], s[30:31]
; %bb.1020:                             ;   in Loop: Header=BB272_562 Depth=1
	s_mov_b32 s10, 0x7fc02000
	s_xor_b64 s[0:1], exec, -1
; %bb.1021:                             ;   in Loop: Header=BB272_562 Depth=1
	s_or_b64 exec, exec, s[8:9]
	s_and_b64 s[0:1], s[0:1], exec
	s_or_saveexec_b64 s[6:7], s[6:7]
	v_mov_b32_e32 v17, s10
	s_xor_b64 exec, exec, s[6:7]
	s_cbranch_execz .LBB272_759
.LBB272_1022:                           ;   in Loop: Header=BB272_562 Depth=1
	v_cmp_ne_u16_sdwa s[8:9], v0, v1 src0_sel:BYTE_0 src1_sel:DWORD
	s_andn2_b64 s[0:1], s[0:1], exec
	s_and_b64 s[8:9], s[8:9], exec
	v_mov_b32_e32 v17, 0
	s_or_b64 s[0:1], s[0:1], s[8:9]
	s_or_b64 exec, exec, s[6:7]
	s_and_saveexec_b64 s[6:7], s[0:1]
	s_cbranch_execnz .LBB272_760
	s_branch .LBB272_761
.LBB272_1023:                           ;   in Loop: Header=BB272_562 Depth=1
	v_cmp_eq_u16_e64 s[0:1], s15, v0
	s_mov_b64 s[6:7], -1
                                        ; implicit-def: $sgpr29
	s_and_saveexec_b64 s[10:11], s[0:1]
; %bb.1024:                             ;   in Loop: Header=BB272_562 Depth=1
	s_mov_b32 s29, 0x7fc02000
	s_xor_b64 s[6:7], exec, -1
; %bb.1025:                             ;   in Loop: Header=BB272_562 Depth=1
	s_or_b64 exec, exec, s[10:11]
	s_and_b64 s[6:7], s[6:7], exec
	s_or_saveexec_b64 s[8:9], s[8:9]
	v_mov_b32_e32 v26, s29
	s_xor_b64 exec, exec, s[8:9]
	s_cbranch_execz .LBB272_763
.LBB272_1026:                           ;   in Loop: Header=BB272_562 Depth=1
	v_cmp_ne_u16_e64 s[0:1], 0, v0
	s_andn2_b64 s[6:7], s[6:7], exec
	s_and_b64 s[0:1], s[0:1], exec
	v_mov_b32_e32 v26, 0
	s_or_b64 s[6:7], s[6:7], s[0:1]
	s_or_b64 exec, exec, s[8:9]
	s_and_saveexec_b64 s[8:9], s[6:7]
	s_cbranch_execnz .LBB272_764
	s_branch .LBB272_765
.LBB272_1027:                           ;   in Loop: Header=BB272_562 Depth=1
	v_cmp_eq_u16_sdwa s[30:31], v24, s15 src0_sel:BYTE_0 src1_sel:DWORD
	s_mov_b64 s[0:1], -1
                                        ; implicit-def: $sgpr10
	s_and_saveexec_b64 s[8:9], s[30:31]
; %bb.1028:                             ;   in Loop: Header=BB272_562 Depth=1
	s_mov_b32 s10, 0x7fc02000
	s_xor_b64 s[0:1], exec, -1
; %bb.1029:                             ;   in Loop: Header=BB272_562 Depth=1
	s_or_b64 exec, exec, s[8:9]
	s_and_b64 s[0:1], s[0:1], exec
	s_or_saveexec_b64 s[6:7], s[6:7]
	v_mov_b32_e32 v28, s10
	s_xor_b64 exec, exec, s[6:7]
	s_cbranch_execz .LBB272_769
.LBB272_1030:                           ;   in Loop: Header=BB272_562 Depth=1
	v_cmp_ne_u16_sdwa s[8:9], v24, v1 src0_sel:BYTE_0 src1_sel:DWORD
	s_andn2_b64 s[0:1], s[0:1], exec
	s_and_b64 s[8:9], s[8:9], exec
	v_mov_b32_e32 v28, 0
	s_or_b64 s[0:1], s[0:1], s[8:9]
	s_or_b64 exec, exec, s[6:7]
	s_and_saveexec_b64 s[6:7], s[0:1]
	s_cbranch_execnz .LBB272_770
	s_branch .LBB272_771
.LBB272_1031:                           ;   in Loop: Header=BB272_562 Depth=1
	v_cmp_eq_u16_e64 s[0:1], s15, v0
	s_mov_b64 s[6:7], -1
                                        ; implicit-def: $sgpr29
	s_and_saveexec_b64 s[10:11], s[0:1]
; %bb.1032:                             ;   in Loop: Header=BB272_562 Depth=1
	s_mov_b32 s29, 0x7fc02000
	s_xor_b64 s[6:7], exec, -1
; %bb.1033:                             ;   in Loop: Header=BB272_562 Depth=1
	s_or_b64 exec, exec, s[10:11]
	s_and_b64 s[6:7], s[6:7], exec
	s_or_saveexec_b64 s[8:9], s[8:9]
	v_mov_b32_e32 v30, s29
	s_xor_b64 exec, exec, s[8:9]
	s_cbranch_execz .LBB272_773
.LBB272_1034:                           ;   in Loop: Header=BB272_562 Depth=1
	v_cmp_ne_u16_e64 s[0:1], 0, v0
	s_andn2_b64 s[6:7], s[6:7], exec
	s_and_b64 s[0:1], s[0:1], exec
	v_mov_b32_e32 v30, 0
	s_or_b64 s[6:7], s[6:7], s[0:1]
	s_or_b64 exec, exec, s[8:9]
	s_and_saveexec_b64 s[8:9], s[6:7]
	s_cbranch_execnz .LBB272_774
	s_branch .LBB272_775
.LBB272_1035:                           ;   in Loop: Header=BB272_562 Depth=1
	v_cmp_eq_u16_sdwa s[30:31], v0, s15 src0_sel:BYTE_0 src1_sel:DWORD
	s_mov_b64 s[0:1], -1
                                        ; implicit-def: $sgpr10
	s_and_saveexec_b64 s[8:9], s[30:31]
; %bb.1036:                             ;   in Loop: Header=BB272_562 Depth=1
	s_mov_b32 s10, 0x7fc02000
	s_xor_b64 s[0:1], exec, -1
; %bb.1037:                             ;   in Loop: Header=BB272_562 Depth=1
	s_or_b64 exec, exec, s[8:9]
	s_and_b64 s[0:1], s[0:1], exec
	s_or_saveexec_b64 s[6:7], s[6:7]
	v_mov_b32_e32 v29, s10
	s_xor_b64 exec, exec, s[6:7]
	s_cbranch_execz .LBB272_777
.LBB272_1038:                           ;   in Loop: Header=BB272_562 Depth=1
	v_cmp_ne_u16_sdwa s[8:9], v0, v1 src0_sel:BYTE_0 src1_sel:DWORD
	s_andn2_b64 s[0:1], s[0:1], exec
	s_and_b64 s[8:9], s[8:9], exec
	v_mov_b32_e32 v29, 0
	s_or_b64 s[0:1], s[0:1], s[8:9]
	s_or_b64 exec, exec, s[6:7]
	s_and_saveexec_b64 s[6:7], s[0:1]
	s_cbranch_execnz .LBB272_778
	s_branch .LBB272_779
.LBB272_1039:                           ;   in Loop: Header=BB272_562 Depth=1
	v_cmp_eq_u16_e64 s[0:1], s15, v0
	s_mov_b64 s[6:7], -1
                                        ; implicit-def: $sgpr29
	s_and_saveexec_b64 s[10:11], s[0:1]
; %bb.1040:                             ;   in Loop: Header=BB272_562 Depth=1
	s_mov_b32 s29, 0x7fc02000
	s_xor_b64 s[6:7], exec, -1
; %bb.1041:                             ;   in Loop: Header=BB272_562 Depth=1
	s_or_b64 exec, exec, s[10:11]
	s_and_b64 s[6:7], s[6:7], exec
	s_or_saveexec_b64 s[8:9], s[8:9]
	v_mov_b32_e32 v31, s29
	s_xor_b64 exec, exec, s[8:9]
	s_cbranch_execz .LBB272_781
.LBB272_1042:                           ;   in Loop: Header=BB272_562 Depth=1
	v_cmp_ne_u16_e64 s[0:1], 0, v0
	s_andn2_b64 s[6:7], s[6:7], exec
	s_and_b64 s[0:1], s[0:1], exec
	v_mov_b32_e32 v31, 0
	s_or_b64 s[6:7], s[6:7], s[0:1]
	s_or_b64 exec, exec, s[8:9]
	s_and_saveexec_b64 s[8:9], s[6:7]
	s_cbranch_execnz .LBB272_782
	s_branch .LBB272_783
.LBB272_1043:                           ;   in Loop: Header=BB272_562 Depth=1
	v_cmp_eq_u16_sdwa s[30:31], v25, s15 src0_sel:BYTE_0 src1_sel:DWORD
	s_mov_b64 s[0:1], -1
                                        ; implicit-def: $sgpr10
	s_and_saveexec_b64 s[8:9], s[30:31]
; %bb.1044:                             ;   in Loop: Header=BB272_562 Depth=1
	s_mov_b32 s10, 0x7fc02000
	s_xor_b64 s[0:1], exec, -1
; %bb.1045:                             ;   in Loop: Header=BB272_562 Depth=1
	s_or_b64 exec, exec, s[8:9]
	s_and_b64 s[0:1], s[0:1], exec
	s_or_saveexec_b64 s[6:7], s[6:7]
	v_mov_b32_e32 v15, s10
	s_xor_b64 exec, exec, s[6:7]
	s_cbranch_execz .LBB272_785
.LBB272_1046:                           ;   in Loop: Header=BB272_562 Depth=1
	v_cmp_ne_u16_sdwa s[8:9], v25, v1 src0_sel:BYTE_0 src1_sel:DWORD
	s_andn2_b64 s[0:1], s[0:1], exec
	s_and_b64 s[8:9], s[8:9], exec
	v_mov_b32_e32 v15, 0
	s_or_b64 s[0:1], s[0:1], s[8:9]
	s_or_b64 exec, exec, s[6:7]
	v_mov_b32_e32 v0, v25
	s_and_saveexec_b64 s[6:7], s[0:1]
	s_cbranch_execnz .LBB272_786
	s_branch .LBB272_787
.LBB272_1047:                           ;   in Loop: Header=BB272_562 Depth=1
	v_cmp_eq_u16_e64 s[0:1], s15, v0
	s_mov_b64 s[6:7], -1
                                        ; implicit-def: $sgpr29
	s_and_saveexec_b64 s[10:11], s[0:1]
; %bb.1048:                             ;   in Loop: Header=BB272_562 Depth=1
	s_mov_b32 s29, 0x7fc02000
	s_xor_b64 s[6:7], exec, -1
; %bb.1049:                             ;   in Loop: Header=BB272_562 Depth=1
	s_or_b64 exec, exec, s[10:11]
	s_and_b64 s[6:7], s[6:7], exec
	s_or_saveexec_b64 s[8:9], s[8:9]
	v_mov_b32_e32 v17, s29
	s_xor_b64 exec, exec, s[8:9]
	s_cbranch_execz .LBB272_789
.LBB272_1050:                           ;   in Loop: Header=BB272_562 Depth=1
	v_cmp_ne_u16_e64 s[0:1], 0, v0
	s_andn2_b64 s[6:7], s[6:7], exec
	s_and_b64 s[0:1], s[0:1], exec
	v_mov_b32_e32 v17, 0
	s_or_b64 s[6:7], s[6:7], s[0:1]
	s_or_b64 exec, exec, s[8:9]
	s_and_saveexec_b64 s[8:9], s[6:7]
	s_cbranch_execnz .LBB272_790
	s_branch .LBB272_791
.LBB272_1051:                           ;   in Loop: Header=BB272_562 Depth=1
	v_cmp_eq_u16_sdwa s[30:31], v0, s15 src0_sel:BYTE_0 src1_sel:DWORD
	s_mov_b64 s[0:1], -1
                                        ; implicit-def: $sgpr10
	s_and_saveexec_b64 s[8:9], s[30:31]
; %bb.1052:                             ;   in Loop: Header=BB272_562 Depth=1
	s_mov_b32 s10, 0x7fc02000
	s_xor_b64 s[0:1], exec, -1
; %bb.1053:                             ;   in Loop: Header=BB272_562 Depth=1
	s_or_b64 exec, exec, s[8:9]
	s_and_b64 s[0:1], s[0:1], exec
	s_or_saveexec_b64 s[6:7], s[6:7]
	v_mov_b32_e32 v24, s10
	s_xor_b64 exec, exec, s[6:7]
	s_cbranch_execz .LBB272_793
.LBB272_1054:                           ;   in Loop: Header=BB272_562 Depth=1
	v_cmp_ne_u16_sdwa s[8:9], v0, v1 src0_sel:BYTE_0 src1_sel:DWORD
	s_andn2_b64 s[0:1], s[0:1], exec
	s_and_b64 s[8:9], s[8:9], exec
	v_mov_b32_e32 v24, 0
	s_or_b64 s[0:1], s[0:1], s[8:9]
	s_or_b64 exec, exec, s[6:7]
	s_and_saveexec_b64 s[6:7], s[0:1]
	s_cbranch_execnz .LBB272_794
	s_branch .LBB272_795
.LBB272_1055:                           ;   in Loop: Header=BB272_562 Depth=1
	v_cmp_eq_u16_e64 s[0:1], s15, v0
	s_mov_b64 s[6:7], -1
                                        ; implicit-def: $sgpr29
	s_and_saveexec_b64 s[10:11], s[0:1]
; %bb.1056:                             ;   in Loop: Header=BB272_562 Depth=1
	s_mov_b32 s29, 0x7fc02000
	s_xor_b64 s[6:7], exec, -1
; %bb.1057:                             ;   in Loop: Header=BB272_562 Depth=1
	s_or_b64 exec, exec, s[10:11]
	s_and_b64 s[6:7], s[6:7], exec
	s_or_saveexec_b64 s[8:9], s[8:9]
	v_mov_b32_e32 v26, s29
	s_xor_b64 exec, exec, s[8:9]
	s_cbranch_execz .LBB272_797
.LBB272_1058:                           ;   in Loop: Header=BB272_562 Depth=1
	v_cmp_ne_u16_e64 s[0:1], 0, v0
	s_andn2_b64 s[6:7], s[6:7], exec
	s_and_b64 s[0:1], s[0:1], exec
	v_mov_b32_e32 v26, 0
	s_or_b64 s[6:7], s[6:7], s[0:1]
	s_or_b64 exec, exec, s[8:9]
	s_and_saveexec_b64 s[8:9], s[6:7]
	s_cbranch_execnz .LBB272_798
	s_branch .LBB272_799
.LBB272_1059:                           ;   in Loop: Header=BB272_562 Depth=1
	v_cmp_eq_u16_sdwa s[30:31], v14, s15 src0_sel:BYTE_0 src1_sel:DWORD
	s_mov_b64 s[0:1], -1
                                        ; implicit-def: $sgpr10
	s_and_saveexec_b64 s[8:9], s[30:31]
; %bb.1060:                             ;   in Loop: Header=BB272_562 Depth=1
	s_mov_b32 s10, 0x7fc02000
	s_xor_b64 s[0:1], exec, -1
; %bb.1061:                             ;   in Loop: Header=BB272_562 Depth=1
	s_or_b64 exec, exec, s[8:9]
	s_and_b64 s[0:1], s[0:1], exec
	s_or_saveexec_b64 s[6:7], s[6:7]
	v_mov_b32_e32 v24, s10
	s_xor_b64 exec, exec, s[6:7]
	s_cbranch_execz .LBB272_803
.LBB272_1062:                           ;   in Loop: Header=BB272_562 Depth=1
	v_cmp_ne_u16_sdwa s[8:9], v14, v1 src0_sel:BYTE_0 src1_sel:DWORD
	s_andn2_b64 s[0:1], s[0:1], exec
	s_and_b64 s[8:9], s[8:9], exec
	v_mov_b32_e32 v24, 0
	s_or_b64 s[0:1], s[0:1], s[8:9]
	s_or_b64 exec, exec, s[6:7]
	s_and_saveexec_b64 s[6:7], s[0:1]
	s_cbranch_execnz .LBB272_804
	s_branch .LBB272_805
.LBB272_1063:                           ;   in Loop: Header=BB272_562 Depth=1
	v_cmp_eq_u16_e64 s[0:1], s15, v0
	s_mov_b64 s[6:7], -1
                                        ; implicit-def: $sgpr29
	s_and_saveexec_b64 s[10:11], s[0:1]
; %bb.1064:                             ;   in Loop: Header=BB272_562 Depth=1
	s_mov_b32 s29, 0x7fc02000
	s_xor_b64 s[6:7], exec, -1
; %bb.1065:                             ;   in Loop: Header=BB272_562 Depth=1
	s_or_b64 exec, exec, s[10:11]
	s_and_b64 s[6:7], s[6:7], exec
	s_or_saveexec_b64 s[8:9], s[8:9]
	v_mov_b32_e32 v28, s29
	s_xor_b64 exec, exec, s[8:9]
	s_cbranch_execz .LBB272_807
.LBB272_1066:                           ;   in Loop: Header=BB272_562 Depth=1
	v_cmp_ne_u16_e64 s[0:1], 0, v0
	s_andn2_b64 s[6:7], s[6:7], exec
	s_and_b64 s[0:1], s[0:1], exec
	v_mov_b32_e32 v28, 0
	s_or_b64 s[6:7], s[6:7], s[0:1]
	s_or_b64 exec, exec, s[8:9]
	s_and_saveexec_b64 s[8:9], s[6:7]
	s_cbranch_execnz .LBB272_808
	s_branch .LBB272_809
.LBB272_1067:                           ;   in Loop: Header=BB272_562 Depth=1
	v_cmp_eq_u16_sdwa s[30:31], v0, s15 src0_sel:BYTE_0 src1_sel:DWORD
	s_mov_b64 s[0:1], -1
                                        ; implicit-def: $sgpr10
	s_and_saveexec_b64 s[8:9], s[30:31]
; %bb.1068:                             ;   in Loop: Header=BB272_562 Depth=1
	s_mov_b32 s10, 0x7fc02000
	s_xor_b64 s[0:1], exec, -1
; %bb.1069:                             ;   in Loop: Header=BB272_562 Depth=1
	s_or_b64 exec, exec, s[8:9]
	s_and_b64 s[0:1], s[0:1], exec
	s_or_saveexec_b64 s[6:7], s[6:7]
	v_mov_b32_e32 v25, s10
	s_xor_b64 exec, exec, s[6:7]
	s_cbranch_execz .LBB272_811
.LBB272_1070:                           ;   in Loop: Header=BB272_562 Depth=1
	v_cmp_ne_u16_sdwa s[8:9], v0, v1 src0_sel:BYTE_0 src1_sel:DWORD
	s_andn2_b64 s[0:1], s[0:1], exec
	s_and_b64 s[8:9], s[8:9], exec
	v_mov_b32_e32 v25, 0
	s_or_b64 s[0:1], s[0:1], s[8:9]
	s_or_b64 exec, exec, s[6:7]
	s_and_saveexec_b64 s[6:7], s[0:1]
	s_cbranch_execnz .LBB272_812
	s_branch .LBB272_813
.LBB272_1071:                           ;   in Loop: Header=BB272_562 Depth=1
	v_cmp_eq_u16_e64 s[0:1], s15, v0
	s_mov_b64 s[6:7], -1
                                        ; implicit-def: $sgpr29
	s_and_saveexec_b64 s[10:11], s[0:1]
; %bb.1072:                             ;   in Loop: Header=BB272_562 Depth=1
	s_mov_b32 s29, 0x7fc02000
	s_xor_b64 s[6:7], exec, -1
; %bb.1073:                             ;   in Loop: Header=BB272_562 Depth=1
	s_or_b64 exec, exec, s[10:11]
	s_and_b64 s[6:7], s[6:7], exec
	s_or_saveexec_b64 s[8:9], s[8:9]
	v_mov_b32_e32 v29, s29
	s_xor_b64 exec, exec, s[8:9]
	s_cbranch_execz .LBB272_815
.LBB272_1074:                           ;   in Loop: Header=BB272_562 Depth=1
	v_cmp_ne_u16_e64 s[0:1], 0, v0
	s_andn2_b64 s[6:7], s[6:7], exec
	s_and_b64 s[0:1], s[0:1], exec
	v_mov_b32_e32 v29, 0
	s_or_b64 s[6:7], s[6:7], s[0:1]
	s_or_b64 exec, exec, s[8:9]
	s_and_saveexec_b64 s[8:9], s[6:7]
	s_cbranch_execnz .LBB272_816
	s_branch .LBB272_817
.LBB272_1075:                           ;   in Loop: Header=BB272_562 Depth=1
	v_cmp_eq_u16_sdwa s[30:31], v15, s15 src0_sel:BYTE_0 src1_sel:DWORD
	s_mov_b64 s[0:1], -1
                                        ; implicit-def: $sgpr10
	s_and_saveexec_b64 s[8:9], s[30:31]
; %bb.1076:                             ;   in Loop: Header=BB272_562 Depth=1
	s_mov_b32 s10, 0x7fc02000
	s_xor_b64 s[0:1], exec, -1
; %bb.1077:                             ;   in Loop: Header=BB272_562 Depth=1
	s_or_b64 exec, exec, s[8:9]
	s_and_b64 s[0:1], s[0:1], exec
	s_or_saveexec_b64 s[6:7], s[6:7]
	v_mov_b32_e32 v13, s10
	s_xor_b64 exec, exec, s[6:7]
	s_cbranch_execz .LBB272_819
.LBB272_1078:                           ;   in Loop: Header=BB272_562 Depth=1
	v_cmp_ne_u16_sdwa s[8:9], v15, v1 src0_sel:BYTE_0 src1_sel:DWORD
	s_andn2_b64 s[0:1], s[0:1], exec
	s_and_b64 s[8:9], s[8:9], exec
	v_mov_b32_e32 v13, 0
	s_or_b64 s[0:1], s[0:1], s[8:9]
	s_or_b64 exec, exec, s[6:7]
	v_mov_b32_e32 v0, v15
	s_and_saveexec_b64 s[6:7], s[0:1]
	s_cbranch_execnz .LBB272_820
	s_branch .LBB272_821
.LBB272_1079:                           ;   in Loop: Header=BB272_562 Depth=1
	v_cmp_eq_u16_e64 s[0:1], s15, v0
	s_mov_b64 s[6:7], -1
                                        ; implicit-def: $sgpr29
	s_and_saveexec_b64 s[10:11], s[0:1]
; %bb.1080:                             ;   in Loop: Header=BB272_562 Depth=1
	s_mov_b32 s29, 0x7fc02000
	s_xor_b64 s[6:7], exec, -1
; %bb.1081:                             ;   in Loop: Header=BB272_562 Depth=1
	s_or_b64 exec, exec, s[10:11]
	s_and_b64 s[6:7], s[6:7], exec
	s_or_saveexec_b64 s[8:9], s[8:9]
	v_mov_b32_e32 v14, s29
	s_xor_b64 exec, exec, s[8:9]
	s_cbranch_execz .LBB272_823
.LBB272_1082:                           ;   in Loop: Header=BB272_562 Depth=1
	v_cmp_ne_u16_e64 s[0:1], 0, v0
	s_andn2_b64 s[6:7], s[6:7], exec
	s_and_b64 s[0:1], s[0:1], exec
	v_mov_b32_e32 v14, 0
	s_or_b64 s[6:7], s[6:7], s[0:1]
	s_or_b64 exec, exec, s[8:9]
	s_and_saveexec_b64 s[8:9], s[6:7]
	s_cbranch_execnz .LBB272_824
	s_branch .LBB272_825
.LBB272_1083:                           ;   in Loop: Header=BB272_562 Depth=1
	v_cmp_eq_u16_sdwa s[30:31], v0, s15 src0_sel:BYTE_0 src1_sel:DWORD
	s_mov_b64 s[0:1], -1
                                        ; implicit-def: $sgpr10
	s_and_saveexec_b64 s[8:9], s[30:31]
; %bb.1084:                             ;   in Loop: Header=BB272_562 Depth=1
	s_mov_b32 s10, 0x7fc02000
	s_xor_b64 s[0:1], exec, -1
; %bb.1085:                             ;   in Loop: Header=BB272_562 Depth=1
	s_or_b64 exec, exec, s[8:9]
	s_and_b64 s[0:1], s[0:1], exec
	s_or_saveexec_b64 s[6:7], s[6:7]
	v_mov_b32_e32 v27, s10
	s_xor_b64 exec, exec, s[6:7]
	s_cbranch_execz .LBB272_827
.LBB272_1086:                           ;   in Loop: Header=BB272_562 Depth=1
	v_cmp_ne_u16_sdwa s[8:9], v0, v1 src0_sel:BYTE_0 src1_sel:DWORD
	s_andn2_b64 s[0:1], s[0:1], exec
	s_and_b64 s[8:9], s[8:9], exec
	v_mov_b32_e32 v27, 0
	s_or_b64 s[0:1], s[0:1], s[8:9]
	s_or_b64 exec, exec, s[6:7]
	s_and_saveexec_b64 s[6:7], s[0:1]
	s_cbranch_execnz .LBB272_828
	s_branch .LBB272_829
.LBB272_1087:                           ;   in Loop: Header=BB272_562 Depth=1
	v_cmp_eq_u16_e64 s[0:1], s15, v0
	s_mov_b64 s[6:7], -1
                                        ; implicit-def: $sgpr29
	s_and_saveexec_b64 s[10:11], s[0:1]
; %bb.1088:                             ;   in Loop: Header=BB272_562 Depth=1
	s_mov_b32 s29, 0x7fc02000
	s_xor_b64 s[6:7], exec, -1
; %bb.1089:                             ;   in Loop: Header=BB272_562 Depth=1
	s_or_b64 exec, exec, s[10:11]
	s_and_b64 s[6:7], s[6:7], exec
	s_or_saveexec_b64 s[8:9], s[8:9]
	v_mov_b32_e32 v30, s29
	s_xor_b64 exec, exec, s[8:9]
	s_cbranch_execz .LBB272_831
.LBB272_1090:                           ;   in Loop: Header=BB272_562 Depth=1
	v_cmp_ne_u16_e64 s[0:1], 0, v0
	s_andn2_b64 s[6:7], s[6:7], exec
	s_and_b64 s[0:1], s[0:1], exec
	v_mov_b32_e32 v30, 0
	s_or_b64 s[6:7], s[6:7], s[0:1]
	s_or_b64 exec, exec, s[8:9]
	s_and_saveexec_b64 s[8:9], s[6:7]
	s_cbranch_execnz .LBB272_832
	s_branch .LBB272_833
.LBB272_1091:
	s_or_b64 exec, exec, s[22:23]
	v_accvgpr_read_b32 v20, a16
	v_accvgpr_read_b32 v12, a17
.LBB272_1092:
	s_or_b64 exec, exec, s[20:21]
	ds_bpermute_b32 v2, v53, v34
	ds_bpermute_b32 v3, v53, v35
	;; [unrolled: 1-line block ×8, first 2 shown]
	s_waitcnt lgkmcnt(0)
	v_pk_add_f32 v[6:7], v[34:35], v[2:3]
	v_pk_add_f32 v[2:3], v[36:37], v[4:5]
	v_accvgpr_read_b32 v4, a2
	v_and_b32_e32 v4, 0x3c1, v4
	v_pk_add_f32 v[8:9], v[32:33], v[0:1]
	v_pk_add_f32 v[0:1], v[38:39], v[10:11]
	v_cmp_eq_u32_e32 vcc, 64, v4
	s_barrier
	s_and_saveexec_b64 s[0:1], vcc
	s_cbranch_execz .LBB272_1094
; %bb.1093:
	s_load_dword s3, s[12:13], 0x0
	s_waitcnt lgkmcnt(0)
	v_lshl_add_u32 v5, v20, 1, s3
	ds_write2_b32 v5, v8, v9 offset1:32
	ds_write2_b32 v5, v6, v7 offset0:64 offset1:96
	ds_write2_b32 v5, v2, v3 offset0:128 offset1:160
	;; [unrolled: 1-line block ×3, first 2 shown]
.LBB272_1094:
	s_or_b64 exec, exec, s[0:1]
	v_accvgpr_read_b32 v10, a2
	v_cmp_gt_u32_e32 vcc, 64, v10
	s_waitcnt lgkmcnt(0)
	s_barrier
	s_and_saveexec_b64 s[0:1], vcc
	s_cbranch_execz .LBB272_1105
; %bb.1095:
	v_accvgpr_read_b32 v10, a2
	v_cmp_eq_u32_e32 vcc, 0, v12
	v_lshrrev_b32_e32 v5, 1, v10
	s_and_saveexec_b64 s[4:5], vcc
	s_cbranch_execnz .LBB272_1108
; %bb.1096:
	s_or_b64 exec, exec, s[4:5]
	s_and_saveexec_b64 s[4:5], vcc
	s_cbranch_execnz .LBB272_1109
.LBB272_1097:
	s_or_b64 exec, exec, s[4:5]
	s_and_saveexec_b64 s[4:5], vcc
	s_cbranch_execnz .LBB272_1110
.LBB272_1098:
	s_or_b64 exec, exec, s[4:5]
	s_and_saveexec_b64 s[4:5], vcc
	s_cbranch_execnz .LBB272_1111
.LBB272_1099:
	s_or_b64 exec, exec, s[4:5]
	s_and_saveexec_b64 s[4:5], vcc
	s_cbranch_execnz .LBB272_1112
.LBB272_1100:
	s_or_b64 exec, exec, s[4:5]
	s_and_saveexec_b64 s[4:5], vcc
	s_cbranch_execnz .LBB272_1113
.LBB272_1101:
	s_or_b64 exec, exec, s[4:5]
	s_and_saveexec_b64 s[4:5], vcc
	s_cbranch_execnz .LBB272_1114
.LBB272_1102:
	s_or_b64 exec, exec, s[4:5]
	s_and_saveexec_b64 s[4:5], vcc
	s_cbranch_execz .LBB272_1104
.LBB272_1103:
	s_load_dword s3, s[12:13], 0x0
	s_waitcnt lgkmcnt(0)
	v_lshl_add_u32 v5, v5, 2, s3
	ds_read_b32 v5, v5 offset:896
	s_waitcnt lgkmcnt(0)
	v_add_f32_e32 v1, v1, v5
.LBB272_1104:
	s_or_b64 exec, exec, s[4:5]
.LBB272_1105:
	s_or_b64 exec, exec, s[0:1]
	v_cmp_eq_u32_e32 vcc, 0, v4
	s_barrier
	s_and_b64 exec, exec, vcc
	s_cbranch_execz .LBB272_1107
; %bb.1106:
	s_lshl_b32 s0, s2, 8
	s_mul_i32 s2, s18, s19
	s_lshl_b32 s4, s14, 8
	s_ashr_i32 s1, s0, 31
	s_ashr_i32 s3, s2, 31
	;; [unrolled: 1-line block ×3, first 2 shown]
	s_lshl_b64 s[0:1], s[0:1], 1
	s_lshl_b64 s[2:3], s[2:3], 1
	s_lshl_b64 s[4:5], s[4:5], 1
	s_add_u32 s2, s4, s2
	s_addc_u32 s3, s5, s3
	s_add_u32 s0, s2, s0
	v_accvgpr_read_b32 v5, a1
	s_addc_u32 s1, s3, s1
	v_accvgpr_read_b32 v4, a0
	v_lshl_add_u64 v[4:5], s[0:1], 0, v[4:5]
	v_accvgpr_read_b32 v10, a2
	v_mov_b32_e32 v11, 0
	v_lshl_add_u64 v[4:5], v[4:5], 0, v[10:11]
	;;#ASMSTART
	v_cvt_f16_f32 v8, v8;

	;;#ASMEND
	flat_store_short v[4:5], v8
	;;#ASMSTART
	v_cvt_f16_f32 v8, v9;

	;;#ASMEND
	flat_store_short v[4:5], v8 offset:64
	;;#ASMSTART
	v_cvt_f16_f32 v6, v6;

	;;#ASMEND
	flat_store_short v[4:5], v6 offset:128
	;; [unrolled: 5-line block ×7, first 2 shown]
.LBB272_1107:
	s_or_b64 exec, exec, s[16:17]
	scratch_load_dword a63, off, s32 offset:8 ; 4-byte Folded Reload
	scratch_load_dword a62, off, s32 offset:12 ; 4-byte Folded Reload
	;; [unrolled: 1-line block ×47, first 2 shown]
	v_readlane_b32 s30, v63, 6
	v_readlane_b32 s31, v63, 7
	;; [unrolled: 1-line block ×8, first 2 shown]
	s_or_saveexec_b64 s[0:1], -1
	scratch_load_dword v63, off, s32 offset:212 ; 4-byte Folded Reload
	s_mov_b64 exec, s[0:1]
	s_waitcnt vmcnt(0) lgkmcnt(0)
	s_setpc_b64 s[30:31]
.LBB272_1108:
	s_load_dword s3, s[12:13], 0x0
	s_waitcnt lgkmcnt(0)
	v_lshl_add_u32 v10, v5, 2, s3
	ds_read_b32 v10, v10
	s_waitcnt lgkmcnt(0)
	v_add_f32_e32 v8, v8, v10
	s_or_b64 exec, exec, s[4:5]
	s_and_saveexec_b64 s[4:5], vcc
	s_cbranch_execz .LBB272_1097
.LBB272_1109:
	s_load_dword s3, s[12:13], 0x0
	s_waitcnt lgkmcnt(0)
	v_lshl_add_u32 v10, v5, 2, s3
	ds_read_b32 v10, v10 offset:128
	s_waitcnt lgkmcnt(0)
	v_add_f32_e32 v9, v9, v10
	s_or_b64 exec, exec, s[4:5]
	s_and_saveexec_b64 s[4:5], vcc
	s_cbranch_execz .LBB272_1098
.LBB272_1110:
	s_load_dword s3, s[12:13], 0x0
	s_waitcnt lgkmcnt(0)
	v_lshl_add_u32 v10, v5, 2, s3
	ds_read_b32 v10, v10 offset:256
	s_waitcnt lgkmcnt(0)
	v_add_f32_e32 v6, v6, v10
	s_or_b64 exec, exec, s[4:5]
	s_and_saveexec_b64 s[4:5], vcc
	s_cbranch_execz .LBB272_1099
.LBB272_1111:
	s_load_dword s3, s[12:13], 0x0
	s_waitcnt lgkmcnt(0)
	v_lshl_add_u32 v10, v5, 2, s3
	ds_read_b32 v10, v10 offset:384
	s_waitcnt lgkmcnt(0)
	v_add_f32_e32 v7, v7, v10
	s_or_b64 exec, exec, s[4:5]
	s_and_saveexec_b64 s[4:5], vcc
	s_cbranch_execz .LBB272_1100
.LBB272_1112:
	s_load_dword s3, s[12:13], 0x0
	s_waitcnt lgkmcnt(0)
	v_lshl_add_u32 v10, v5, 2, s3
	ds_read_b32 v10, v10 offset:512
	s_waitcnt lgkmcnt(0)
	v_add_f32_e32 v2, v2, v10
	s_or_b64 exec, exec, s[4:5]
	s_and_saveexec_b64 s[4:5], vcc
	s_cbranch_execz .LBB272_1101
.LBB272_1113:
	s_load_dword s3, s[12:13], 0x0
	s_waitcnt lgkmcnt(0)
	v_lshl_add_u32 v10, v5, 2, s3
	ds_read_b32 v10, v10 offset:640
	s_waitcnt lgkmcnt(0)
	v_add_f32_e32 v3, v3, v10
	s_or_b64 exec, exec, s[4:5]
	s_and_saveexec_b64 s[4:5], vcc
	s_cbranch_execz .LBB272_1102
.LBB272_1114:
	s_load_dword s3, s[12:13], 0x0
	s_waitcnt lgkmcnt(0)
	v_lshl_add_u32 v10, v5, 2, s3
	ds_read_b32 v10, v10 offset:768
	s_waitcnt lgkmcnt(0)
	v_add_f32_e32 v0, v0, v10
	s_or_b64 exec, exec, s[4:5]
	s_and_saveexec_b64 s[4:5], vcc
	s_cbranch_execnz .LBB272_1103
	s_branch .LBB272_1104
.Lfunc_end272:
	.size	_ZN4vllm22paged_attention_kernelIthLi256ELi16ELi128ELNS_18Fp8KVCacheDataTypeE1ELb1ELi512EEEvPfS2_PT_PKS3_PKT0_S9_ifPKiSB_iPKfiiiSD_SD_iiiii, .Lfunc_end272-_ZN4vllm22paged_attention_kernelIthLi256ELi16ELi128ELNS_18Fp8KVCacheDataTypeE1ELb1ELi512EEEvPfS2_PT_PKS3_PKT0_S9_ifPKiSB_iPKfiiiSD_SD_iiiii
                                        ; -- End function
	.section	.AMDGPU.csdata,"",@progbits
; Function info:
; codeLenInByte = 47492
; NumSgprs: 46
; NumVgprs: 64
; NumAgprs: 64
; TotalNumVgprs: 128
; ScratchSize: 220
; MemoryBound: 0
	.section	.text._ZN4vllm25paged_attention_v2_kernelIthLi256ELi16ELi128ELNS_18Fp8KVCacheDataTypeE1ELb1ELi512EEEvPfS2_PT_PKS3_PKT0_S9_ifPKiSB_iPKfiiiSD_SD_iiiii,"axG",@progbits,_ZN4vllm25paged_attention_v2_kernelIthLi256ELi16ELi128ELNS_18Fp8KVCacheDataTypeE1ELb1ELi512EEEvPfS2_PT_PKS3_PKT0_S9_ifPKiSB_iPKfiiiSD_SD_iiiii,comdat
	.protected	_ZN4vllm25paged_attention_v2_kernelIthLi256ELi16ELi128ELNS_18Fp8KVCacheDataTypeE1ELb1ELi512EEEvPfS2_PT_PKS3_PKT0_S9_ifPKiSB_iPKfiiiSD_SD_iiiii ; -- Begin function _ZN4vllm25paged_attention_v2_kernelIthLi256ELi16ELi128ELNS_18Fp8KVCacheDataTypeE1ELb1ELi512EEEvPfS2_PT_PKS3_PKT0_S9_ifPKiSB_iPKfiiiSD_SD_iiiii
	.globl	_ZN4vllm25paged_attention_v2_kernelIthLi256ELi16ELi128ELNS_18Fp8KVCacheDataTypeE1ELb1ELi512EEEvPfS2_PT_PKS3_PKT0_S9_ifPKiSB_iPKfiiiSD_SD_iiiii
	.p2align	8
	.type	_ZN4vllm25paged_attention_v2_kernelIthLi256ELi16ELi128ELNS_18Fp8KVCacheDataTypeE1ELb1ELi512EEEvPfS2_PT_PKS3_PKT0_S9_ifPKiSB_iPKfiiiSD_SD_iiiii,@function
_ZN4vllm25paged_attention_v2_kernelIthLi256ELi16ELi128ELNS_18Fp8KVCacheDataTypeE1ELb1ELi512EEEvPfS2_PT_PKS3_PKT0_S9_ifPKiSB_iPKfiiiSD_SD_iiiii: ; @_ZN4vllm25paged_attention_v2_kernelIthLi256ELi16ELi128ELNS_18Fp8KVCacheDataTypeE1ELb1ELi512EEEvPfS2_PT_PKS3_PKT0_S9_ifPKiSB_iPKfiiiSD_SD_iiiii
; %bb.0:
	s_load_dwordx8 s[24:31], s[0:1], 0x0
	s_load_dwordx8 s[16:23], s[0:1], 0x20
	s_load_dwordx2 s[6:7], s[0:1], 0x40
	s_load_dwordx4 s[44:47], s[0:1], 0x78
	s_load_dword s5, s[0:1], 0x88
	s_load_dwordx2 s[10:11], s[0:1], 0x50
	s_load_dword s33, s[0:1], 0x48
	s_load_dwordx8 s[36:43], s[0:1], 0x58
	s_mov_b32 s32, 0
	s_waitcnt lgkmcnt(0)
	v_mov_b32_e32 v2, s47
	v_mov_b32_e32 v3, s5
	s_add_u32 s8, s0, 0x90
	scratch_store_dwordx2 off, v[2:3], s32
	s_addc_u32 s9, s1, 0
	s_mov_b32 s12, s2
	s_mov_b32 s13, s3
	;; [unrolled: 1-line block ×4, first 2 shown]
	v_mov_b32_e32 v31, v0
	v_mov_b32_e32 v0, s24
	;; [unrolled: 1-line block ×32, first 2 shown]
	s_getpc_b64 s[0:1]
	s_add_u32 s0, s0, _ZN4vllm22paged_attention_kernelIthLi256ELi16ELi128ELNS_18Fp8KVCacheDataTypeE1ELb1ELi512EEEvPfS2_PT_PKS3_PKT0_S9_ifPKiSB_iPKfiiiSD_SD_iiiii@rel32@lo+4
	s_addc_u32 s1, s1, _ZN4vllm22paged_attention_kernelIthLi256ELi16ELi128ELNS_18Fp8KVCacheDataTypeE1ELb1ELi512EEEvPfS2_PT_PKS3_PKT0_S9_ifPKiSB_iPKfiiiSD_SD_iiiii@rel32@hi+12
	s_swappc_b64 s[30:31], s[0:1]
	s_endpgm
	.section	.rodata,"a",@progbits
	.p2align	6, 0x0
	.amdhsa_kernel _ZN4vllm25paged_attention_v2_kernelIthLi256ELi16ELi128ELNS_18Fp8KVCacheDataTypeE1ELb1ELi512EEEvPfS2_PT_PKS3_PKT0_S9_ifPKiSB_iPKfiiiSD_SD_iiiii
		.amdhsa_group_segment_fixed_size 528
		.amdhsa_private_segment_fixed_size 220
		.amdhsa_kernarg_size 400
		.amdhsa_user_sgpr_count 2
		.amdhsa_user_sgpr_dispatch_ptr 0
		.amdhsa_user_sgpr_queue_ptr 0
		.amdhsa_user_sgpr_kernarg_segment_ptr 1
		.amdhsa_user_sgpr_dispatch_id 0
		.amdhsa_user_sgpr_kernarg_preload_length 0
		.amdhsa_user_sgpr_kernarg_preload_offset 0
		.amdhsa_user_sgpr_private_segment_size 0
		.amdhsa_uses_dynamic_stack 0
		.amdhsa_enable_private_segment 1
		.amdhsa_system_sgpr_workgroup_id_x 1
		.amdhsa_system_sgpr_workgroup_id_y 1
		.amdhsa_system_sgpr_workgroup_id_z 1
		.amdhsa_system_sgpr_workgroup_info 0
		.amdhsa_system_vgpr_workitem_id 0
		.amdhsa_next_free_vgpr 128
		.amdhsa_next_free_sgpr 48
		.amdhsa_accum_offset 64
		.amdhsa_reserve_vcc 1
		.amdhsa_float_round_mode_32 0
		.amdhsa_float_round_mode_16_64 0
		.amdhsa_float_denorm_mode_32 3
		.amdhsa_float_denorm_mode_16_64 3
		.amdhsa_dx10_clamp 1
		.amdhsa_ieee_mode 1
		.amdhsa_fp16_overflow 0
		.amdhsa_tg_split 0
		.amdhsa_exception_fp_ieee_invalid_op 0
		.amdhsa_exception_fp_denorm_src 0
		.amdhsa_exception_fp_ieee_div_zero 0
		.amdhsa_exception_fp_ieee_overflow 0
		.amdhsa_exception_fp_ieee_underflow 0
		.amdhsa_exception_fp_ieee_inexact 0
		.amdhsa_exception_int_div_zero 0
	.end_amdhsa_kernel
	.section	.text._ZN4vllm25paged_attention_v2_kernelIthLi256ELi16ELi128ELNS_18Fp8KVCacheDataTypeE1ELb1ELi512EEEvPfS2_PT_PKS3_PKT0_S9_ifPKiSB_iPKfiiiSD_SD_iiiii,"axG",@progbits,_ZN4vllm25paged_attention_v2_kernelIthLi256ELi16ELi128ELNS_18Fp8KVCacheDataTypeE1ELb1ELi512EEEvPfS2_PT_PKS3_PKT0_S9_ifPKiSB_iPKfiiiSD_SD_iiiii,comdat
.Lfunc_end273:
	.size	_ZN4vllm25paged_attention_v2_kernelIthLi256ELi16ELi128ELNS_18Fp8KVCacheDataTypeE1ELb1ELi512EEEvPfS2_PT_PKS3_PKT0_S9_ifPKiSB_iPKfiiiSD_SD_iiiii, .Lfunc_end273-_ZN4vllm25paged_attention_v2_kernelIthLi256ELi16ELi128ELNS_18Fp8KVCacheDataTypeE1ELb1ELi512EEEvPfS2_PT_PKS3_PKT0_S9_ifPKiSB_iPKfiiiSD_SD_iiiii
                                        ; -- End function
	.section	.AMDGPU.csdata,"",@progbits
; Kernel info:
; codeLenInByte = 272
; NumSgprs: 54
; NumVgprs: 64
; NumAgprs: 64
; TotalNumVgprs: 128
; ScratchSize: 220
; MemoryBound: 0
; FloatMode: 240
; IeeeMode: 1
; LDSByteSize: 528 bytes/workgroup (compile time only)
; SGPRBlocks: 6
; VGPRBlocks: 15
; NumSGPRsForWavesPerEU: 54
; NumVGPRsForWavesPerEU: 128
; AccumOffset: 64
; Occupancy: 4
; WaveLimiterHint : 1
; COMPUTE_PGM_RSRC2:SCRATCH_EN: 1
; COMPUTE_PGM_RSRC2:USER_SGPR: 2
; COMPUTE_PGM_RSRC2:TRAP_HANDLER: 0
; COMPUTE_PGM_RSRC2:TGID_X_EN: 1
; COMPUTE_PGM_RSRC2:TGID_Y_EN: 1
; COMPUTE_PGM_RSRC2:TGID_Z_EN: 1
; COMPUTE_PGM_RSRC2:TIDIG_COMP_CNT: 0
; COMPUTE_PGM_RSRC3_GFX90A:ACCUM_OFFSET: 15
; COMPUTE_PGM_RSRC3_GFX90A:TG_SPLIT: 0
	.section	.text._ZN4vllm25paged_attention_v2_kernelIthLi32ELi16ELi128ELNS_18Fp8KVCacheDataTypeE1ELb0ELi512EEEvPfS2_PT_PKS3_PKT0_S9_ifPKiSB_iPKfiiiSD_SD_iiiii,"axG",@progbits,_ZN4vllm25paged_attention_v2_kernelIthLi32ELi16ELi128ELNS_18Fp8KVCacheDataTypeE1ELb0ELi512EEEvPfS2_PT_PKS3_PKT0_S9_ifPKiSB_iPKfiiiSD_SD_iiiii,comdat
	.protected	_ZN4vllm25paged_attention_v2_kernelIthLi32ELi16ELi128ELNS_18Fp8KVCacheDataTypeE1ELb0ELi512EEEvPfS2_PT_PKS3_PKT0_S9_ifPKiSB_iPKfiiiSD_SD_iiiii ; -- Begin function _ZN4vllm25paged_attention_v2_kernelIthLi32ELi16ELi128ELNS_18Fp8KVCacheDataTypeE1ELb0ELi512EEEvPfS2_PT_PKS3_PKT0_S9_ifPKiSB_iPKfiiiSD_SD_iiiii
	.globl	_ZN4vllm25paged_attention_v2_kernelIthLi32ELi16ELi128ELNS_18Fp8KVCacheDataTypeE1ELb0ELi512EEEvPfS2_PT_PKS3_PKT0_S9_ifPKiSB_iPKfiiiSD_SD_iiiii
	.p2align	8
	.type	_ZN4vllm25paged_attention_v2_kernelIthLi32ELi16ELi128ELNS_18Fp8KVCacheDataTypeE1ELb0ELi512EEEvPfS2_PT_PKS3_PKT0_S9_ifPKiSB_iPKfiiiSD_SD_iiiii,@function
_ZN4vllm25paged_attention_v2_kernelIthLi32ELi16ELi128ELNS_18Fp8KVCacheDataTypeE1ELb0ELi512EEEvPfS2_PT_PKS3_PKT0_S9_ifPKiSB_iPKfiiiSD_SD_iiiii: ; @_ZN4vllm25paged_attention_v2_kernelIthLi32ELi16ELi128ELNS_18Fp8KVCacheDataTypeE1ELb0ELi512EEEvPfS2_PT_PKS3_PKT0_S9_ifPKiSB_iPKfiiiSD_SD_iiiii
; %bb.0:
	s_load_dwordx2 s[6:7], s[0:1], 0x40
	s_mov_b32 s28, s3
	s_ashr_i32 s29, s3, 31
	s_lshl_b64 s[8:9], s[28:29], 2
	s_waitcnt lgkmcnt(0)
	s_add_u32 s6, s6, s8
	s_addc_u32 s7, s7, s9
	s_load_dword s29, s[6:7], 0x0
	s_lshl_b32 s46, s4, 9
	s_waitcnt lgkmcnt(0)
	s_cmp_ge_i32 s46, s29
	s_cbranch_scc1 .LBB274_180
; %bb.1:
	s_load_dword s5, s[0:1], 0x90
	s_load_dwordx2 s[10:11], s[0:1], 0x30
	s_waitcnt lgkmcnt(0)
	s_abs_i32 s7, s5
	s_abs_i32 s3, s10
	v_cvt_f32_u32_e32 v1, s3
	s_sub_i32 s8, 0, s3
	s_xor_b32 s6, s5, s10
	s_ashr_i32 s6, s6, 31
	v_rcp_iflag_f32_e32 v1, v1
	s_nop 0
	v_mul_f32_e32 v1, 0x4f7ffffe, v1
	v_cvt_u32_f32_e32 v1, v1
	s_nop 0
	v_readfirstlane_b32 s9, v1
	s_mul_i32 s8, s8, s9
	s_mul_hi_u32 s8, s9, s8
	s_add_i32 s9, s9, s8
	s_mul_hi_u32 s8, s7, s9
	s_mul_i32 s9, s8, s3
	s_sub_i32 s7, s7, s9
	s_add_i32 s10, s8, 1
	s_sub_i32 s9, s7, s3
	s_cmp_ge_u32 s7, s3
	s_cselect_b32 s8, s10, s8
	s_cselect_b32 s7, s9, s7
	s_add_i32 s9, s8, 1
	s_cmp_ge_u32 s7, s3
	s_cselect_b32 s3, s9, s8
	s_xor_b32 s3, s3, s6
	s_sub_i32 s13, s3, s6
	s_abs_i32 s8, s13
	v_cvt_f32_u32_e32 v1, s8
	s_load_dwordx2 s[6:7], s[0:1], 0x50
	s_sub_i32 s10, 0, s8
	s_abs_i32 s9, s2
	v_rcp_iflag_f32_e32 v1, v1
	s_mov_b32 s3, 0
	v_mul_f32_e32 v1, 0x4f7ffffe, v1
	v_cvt_u32_f32_e32 v1, v1
	s_nop 0
	v_readfirstlane_b32 s12, v1
	s_mul_i32 s10, s10, s12
	s_mul_hi_u32 s10, s12, s10
	s_add_i32 s12, s12, s10
	s_waitcnt lgkmcnt(0)
	s_cmp_eq_u64 s[6:7], 0
	s_mul_hi_u32 s10, s9, s12
	s_cbranch_scc1 .LBB274_3
; %bb.2:
	s_ashr_i32 s3, s2, 31
	s_lshl_b64 s[14:15], s[2:3], 2
	s_add_u32 s6, s6, s14
	s_addc_u32 s7, s7, s15
	s_load_dword s3, s[6:7], 0x0
.LBB274_3:
	s_load_dwordx4 s[16:19], s[0:1], 0x58
	s_ashr_i32 s12, s2, 31
	s_ashr_i32 s13, s13, 31
	v_and_b32_e32 v9, 3, v0
	s_lshl_b32 s24, s2, 5
	v_cmp_gt_u32_e32 vcc, 16, v0
	s_and_saveexec_b64 s[6:7], vcc
	s_cbranch_execz .LBB274_5
; %bb.4:
	s_load_dwordx2 s[14:15], s[0:1], 0x18
	s_waitcnt lgkmcnt(0)
	s_mul_i32 s20, s28, s16
	s_ashr_i32 s21, s20, 31
	s_lshl_b64 s[20:21], s[20:21], 1
	v_lshlrev_b32_e32 v1, 2, v0
	s_add_u32 s16, s14, s20
	s_addc_u32 s19, s15, s21
	s_ashr_i32 s25, s24, 31
	s_lshl_b64 s[14:15], s[24:25], 1
	s_add_u32 s14, s16, s14
	s_addc_u32 s15, s19, s15
	global_load_dword v1, v1, s[14:15]
	v_and_b32_e32 v2, 0x3fc, v0
	v_lshl_add_u32 v2, v9, 4, v2
	s_waitcnt vmcnt(0)
	ds_write_b32 v2, v1
.LBB274_5:
	s_or_b64 exec, exec, s[6:7]
	s_add_i32 s6, s29, 15
	s_ashr_i32 s7, s6, 31
	s_lshr_b32 s7, s7, 28
	s_add_i32 s6, s6, s7
	s_waitcnt lgkmcnt(0)
	s_lshl_b32 s16, s4, 5
	s_mul_i32 s7, s10, s8
	s_ashr_i32 s47, s6, 4
	s_add_i32 s6, s16, 32
	s_sub_i32 s7, s9, s7
	s_min_i32 s33, s6, s47
	s_xor_b32 s6, s12, s13
	s_add_i32 s9, s10, 1
	s_sub_i32 s12, s7, s8
	s_cmp_ge_u32 s7, s8
	s_cselect_b32 s9, s9, s10
	s_cselect_b32 s7, s12, s7
	s_add_i32 s10, s9, 1
	s_cmp_ge_u32 s7, s8
	s_load_dwordx2 s[30:31], s[0:1], 0x38
	s_load_dword s8, s[0:1], 0x48
	v_lshrrev_b32_e32 v1, 6, v0
	s_cselect_b32 s7, s10, s9
	s_xor_b32 s7, s7, s6
	v_or_b32_e32 v2, s16, v1
	s_waitcnt lgkmcnt(0)
	s_mul_i32 s34, s28, s8
	s_sub_i32 s48, s7, s6
	s_ashr_i32 s35, s34, 31
	v_cmp_gt_i32_e64 s[8:9], s33, v2
	v_cmp_le_i32_e32 vcc, s33, v2
	v_mbcnt_lo_u32_b32 v12, -1, 0
	s_barrier
	s_waitcnt lgkmcnt(0)
                                        ; implicit-def: $sgpr10
                                        ; implicit-def: $vgpr15
                                        ; implicit-def: $vgpr4
	s_and_saveexec_b64 s[6:7], vcc
	s_xor_b64 s[6:7], exec, s[6:7]
; %bb.6:
	v_mbcnt_hi_u32_b32 v15, -1, v12
	v_and_b32_e32 v3, 64, v15
	v_add_u32_e32 v4, 64, v3
	s_mov_b32 s10, 0xff7fffff
                                        ; implicit-def: $vgpr9
                                        ; implicit-def: $vgpr12
; %bb.7:
	s_or_saveexec_b64 s[38:39], s[6:7]
	s_load_dwordx4 s[20:23], s[0:1], 0x0
	s_load_dwordx2 s[26:27], s[0:1], 0x10
	s_load_dword s25, s[0:1], 0x98
	s_load_dwordx2 s[36:37], s[0:1], 0x28
	s_load_dwordx4 s[12:15], s[0:1], 0x68
	v_mov_b32_e32 v16, s10
	s_mul_i32 s48, s48, s18
	v_ashrrev_i32_e32 v3, 31, v2
	v_lshlrev_b32_e32 v14, 4, v1
	s_xor_b64 exec, exec, s[38:39]
	s_cbranch_execz .LBB274_77
; %bb.8:
	s_load_dwordx2 s[0:1], s[0:1], 0x20
	s_ashr_i32 s6, s48, 31
	v_bfe_u32 v10, v0, 2, 4
	v_lshlrev_b32_e32 v4, 4, v10
	v_mov_b32_e32 v5, 0
	s_waitcnt lgkmcnt(0)
	s_add_u32 s0, s0, s48
	s_addc_u32 s1, s1, s6
	v_lshl_add_u64 v[6:7], s[0:1], 0, v[4:5]
	s_sub_i32 s49, 1, s29
	s_lshl_b64 s[0:1], s[34:35], 2
	v_lshlrev_b32_e32 v4, 2, v10
	s_add_u32 s0, s30, s0
	v_lshl_or_b32 v4, v1, 6, v4
	s_addc_u32 s1, s31, s1
	s_mov_b32 s10, s17
	v_lshlrev_b32_e32 v8, 1, v9
	v_lshlrev_b32_e32 v17, 4, v9
	v_cmp_eq_u32_e32 vcc, 0, v9
	v_cmp_neq_f32_e64 s[6:7], s3, 0
	v_mov_b32_e32 v9, v5
	v_add3_u32 v18, s46, v14, v10
	v_add_u32_e32 v19, 0x50, v4
	v_lshl_add_u64 v[10:11], v[2:3], 2, s[0:1]
	s_mov_b64 s[18:19], 0
	v_mov_b32_e32 v16, 0xff7fffff
	s_movk_i32 s50, 0x7f
	s_movk_i32 s51, 0x80
	s_mov_b32 s52, 0x8000
	v_mbcnt_hi_u32_b32 v15, -1, v12
	v_mov_b32_e32 v20, 0x1c00
	v_mov_b32_e32 v21, v2
	s_branch .LBB274_10
.LBB274_9:                              ;   in Loop: Header=BB274_10 Depth=1
	s_or_b64 exec, exec, s[40:41]
	v_add_u32_e32 v21, 2, v21
	v_cmp_le_i32_e64 s[0:1], s33, v21
	v_add_u32_e32 v18, 32, v18
	v_add_u32_e32 v19, 0x80, v19
	s_or_b64 s[18:19], s[0:1], s[18:19]
	v_lshl_add_u64 v[10:11], v[10:11], 0, 8
	s_andn2_b64 exec, exec, s[18:19]
	s_cbranch_execz .LBB274_76
.LBB274_10:                             ; =>This Inner Loop Header: Depth=1
	global_load_dword v4, v[10:11], off
                                        ; implicit-def: $sgpr44
	s_waitcnt vmcnt(0) lgkmcnt(0)
	v_mad_i64_i32 v[12:13], s[0:1], v4, s10, v[6:7]
	v_lshl_add_u64 v[12:13], v[12:13], 0, v[8:9]
	global_load_ushort v4, v[12:13], off
	global_load_dword v22, v5, s[12:13]
	s_mov_b64 s[0:1], 0
	s_waitcnt vmcnt(1)
	v_cmp_gt_i16_sdwa s[40:41], v4, s50 src0_sel:BYTE_0 src1_sel:DWORD
	s_and_saveexec_b64 s[42:43], s[40:41]
	s_xor_b64 s[40:41], exec, s[42:43]
	s_cbranch_execnz .LBB274_44
; %bb.11:                               ;   in Loop: Header=BB274_10 Depth=1
	s_or_saveexec_b64 s[40:41], s[40:41]
	v_mov_b32_e32 v23, s44
	s_xor_b64 exec, exec, s[40:41]
	s_cbranch_execnz .LBB274_47
.LBB274_12:                             ;   in Loop: Header=BB274_10 Depth=1
	s_or_b64 exec, exec, s[40:41]
	v_and_b32_e32 v4, 0xffff, v4
	s_and_saveexec_b64 s[40:41], s[0:1]
	s_cbranch_execz .LBB274_14
.LBB274_13:                             ;   in Loop: Header=BB274_10 Depth=1
	v_and_b32_e32 v23, 7, v4
	v_ffbh_u32_e32 v24, v23
	v_min_u32_e32 v27, 32, v24
	v_subrev_u32_e32 v24, 28, v27
	v_bfe_u32 v26, v4, 3, 4
	v_lshlrev_b64 v[24:25], v24, v[4:5]
	v_sub_u32_e32 v25, 29, v27
	v_cmp_eq_u32_e64 s[0:1], 0, v26
	v_and_b32_e32 v24, 7, v24
	s_nop 0
	v_cndmask_b32_e64 v25, v26, v25, s[0:1]
	v_cndmask_b32_e64 v23, v23, v24, s[0:1]
	v_lshlrev_b32_e32 v24, 8, v4
	v_lshl_add_u32 v25, v25, 10, v20
	v_and_or_b32 v24, v24, s52, v25
	v_lshl_or_b32 v23, v23, 7, v24
	v_cvt_f32_f16_e32 v23, v23
.LBB274_14:                             ;   in Loop: Header=BB274_10 Depth=1
	s_or_b64 exec, exec, s[40:41]
	v_lshrrev_b16_e32 v4, 8, v4
	v_cmp_lt_i16_e64 s[0:1], s50, v4
	s_mov_b64 s[40:41], 0
                                        ; implicit-def: $sgpr53
	s_and_saveexec_b64 s[42:43], s[0:1]
	s_xor_b64 s[42:43], exec, s[42:43]
	s_cbranch_execnz .LBB274_48
; %bb.15:                               ;   in Loop: Header=BB274_10 Depth=1
	s_or_saveexec_b64 s[42:43], s[42:43]
	v_mov_b32_e32 v24, s53
	s_xor_b64 exec, exec, s[42:43]
	s_cbranch_execnz .LBB274_51
.LBB274_16:                             ;   in Loop: Header=BB274_10 Depth=1
	s_or_b64 exec, exec, s[42:43]
	s_and_saveexec_b64 s[42:43], s[40:41]
	s_cbranch_execz .LBB274_18
.LBB274_17:                             ;   in Loop: Header=BB274_10 Depth=1
	v_and_b32_e32 v26, 7, v4
	v_ffbh_u32_e32 v24, v26
	v_min_u32_e32 v28, 32, v24
	v_subrev_u32_e32 v24, 28, v28
	v_bfe_u32 v27, v4, 3, 4
	v_lshlrev_b64 v[24:25], v24, v[4:5]
	v_sub_u32_e32 v25, 29, v28
	v_cmp_eq_u32_e64 s[0:1], 0, v27
	v_and_b32_e32 v24, 7, v24
	v_lshlrev_b32_e32 v4, 8, v4
	v_cndmask_b32_e64 v25, v27, v25, s[0:1]
	v_lshl_add_u32 v25, v25, 10, v20
	v_cndmask_b32_e64 v24, v26, v24, s[0:1]
	v_and_or_b32 v4, v4, s52, v25
	v_lshl_or_b32 v4, v24, 7, v4
	v_cvt_f32_f16_e32 v24, v4
.LBB274_18:                             ;   in Loop: Header=BB274_10 Depth=1
	s_or_b64 exec, exec, s[42:43]
	global_load_ushort v4, v[12:13], off offset:8
	s_mov_b64 s[0:1], 0
                                        ; implicit-def: $sgpr44
	s_waitcnt vmcnt(0)
	v_cmp_gt_i16_sdwa s[40:41], v4, s50 src0_sel:BYTE_0 src1_sel:DWORD
	s_and_saveexec_b64 s[42:43], s[40:41]
	s_xor_b64 s[40:41], exec, s[42:43]
	s_cbranch_execnz .LBB274_52
; %bb.19:                               ;   in Loop: Header=BB274_10 Depth=1
	s_or_saveexec_b64 s[40:41], s[40:41]
	v_mov_b32_e32 v25, s44
	s_xor_b64 exec, exec, s[40:41]
	s_cbranch_execnz .LBB274_55
.LBB274_20:                             ;   in Loop: Header=BB274_10 Depth=1
	s_or_b64 exec, exec, s[40:41]
	v_and_b32_e32 v4, 0xffff, v4
	s_and_saveexec_b64 s[40:41], s[0:1]
	s_cbranch_execz .LBB274_22
.LBB274_21:                             ;   in Loop: Header=BB274_10 Depth=1
	v_and_b32_e32 v25, 7, v4
	v_ffbh_u32_e32 v26, v25
	v_min_u32_e32 v29, 32, v26
	v_subrev_u32_e32 v26, 28, v29
	v_bfe_u32 v28, v4, 3, 4
	v_lshlrev_b64 v[26:27], v26, v[4:5]
	v_sub_u32_e32 v27, 29, v29
	v_cmp_eq_u32_e64 s[0:1], 0, v28
	v_and_b32_e32 v26, 7, v26
	s_nop 0
	v_cndmask_b32_e64 v27, v28, v27, s[0:1]
	v_cndmask_b32_e64 v25, v25, v26, s[0:1]
	v_lshlrev_b32_e32 v26, 8, v4
	v_lshl_add_u32 v27, v27, 10, v20
	v_and_or_b32 v26, v26, s52, v27
	v_lshl_or_b32 v25, v25, 7, v26
	v_cvt_f32_f16_e32 v25, v25
.LBB274_22:                             ;   in Loop: Header=BB274_10 Depth=1
	s_or_b64 exec, exec, s[40:41]
	v_lshrrev_b16_e32 v4, 8, v4
	v_cmp_lt_i16_e64 s[0:1], s50, v4
	s_mov_b64 s[40:41], 0
                                        ; implicit-def: $sgpr53
	s_and_saveexec_b64 s[42:43], s[0:1]
	s_xor_b64 s[42:43], exec, s[42:43]
	s_cbranch_execnz .LBB274_56
; %bb.23:                               ;   in Loop: Header=BB274_10 Depth=1
	s_or_saveexec_b64 s[42:43], s[42:43]
	v_mov_b32_e32 v26, s53
	s_xor_b64 exec, exec, s[42:43]
	s_cbranch_execnz .LBB274_59
.LBB274_24:                             ;   in Loop: Header=BB274_10 Depth=1
	s_or_b64 exec, exec, s[42:43]
	s_and_saveexec_b64 s[42:43], s[40:41]
	s_cbranch_execz .LBB274_26
.LBB274_25:                             ;   in Loop: Header=BB274_10 Depth=1
	v_and_b32_e32 v28, 7, v4
	v_ffbh_u32_e32 v26, v28
	v_min_u32_e32 v30, 32, v26
	v_subrev_u32_e32 v26, 28, v30
	v_bfe_u32 v29, v4, 3, 4
	v_lshlrev_b64 v[26:27], v26, v[4:5]
	v_sub_u32_e32 v27, 29, v30
	v_cmp_eq_u32_e64 s[0:1], 0, v29
	v_and_b32_e32 v26, 7, v26
	v_lshlrev_b32_e32 v4, 8, v4
	v_cndmask_b32_e64 v27, v29, v27, s[0:1]
	v_lshl_add_u32 v27, v27, 10, v20
	v_cndmask_b32_e64 v26, v28, v26, s[0:1]
	v_and_or_b32 v4, v4, s52, v27
	v_lshl_or_b32 v4, v26, 7, v4
	v_cvt_f32_f16_e32 v26, v4
.LBB274_26:                             ;   in Loop: Header=BB274_10 Depth=1
	s_or_b64 exec, exec, s[42:43]
	global_load_ushort v4, v[12:13], off offset:256
	s_mov_b64 s[0:1], 0
                                        ; implicit-def: $sgpr44
	s_waitcnt vmcnt(0)
	v_cmp_gt_i16_sdwa s[40:41], v4, s50 src0_sel:BYTE_0 src1_sel:DWORD
	s_and_saveexec_b64 s[42:43], s[40:41]
	s_xor_b64 s[40:41], exec, s[42:43]
	s_cbranch_execnz .LBB274_60
; %bb.27:                               ;   in Loop: Header=BB274_10 Depth=1
	s_or_saveexec_b64 s[40:41], s[40:41]
	v_mov_b32_e32 v27, s44
	s_xor_b64 exec, exec, s[40:41]
	s_cbranch_execnz .LBB274_63
.LBB274_28:                             ;   in Loop: Header=BB274_10 Depth=1
	s_or_b64 exec, exec, s[40:41]
	v_and_b32_e32 v4, 0xffff, v4
	s_and_saveexec_b64 s[40:41], s[0:1]
	s_cbranch_execz .LBB274_30
.LBB274_29:                             ;   in Loop: Header=BB274_10 Depth=1
	v_and_b32_e32 v27, 7, v4
	v_ffbh_u32_e32 v28, v27
	v_min_u32_e32 v31, 32, v28
	v_subrev_u32_e32 v28, 28, v31
	v_bfe_u32 v30, v4, 3, 4
	v_lshlrev_b64 v[28:29], v28, v[4:5]
	v_sub_u32_e32 v29, 29, v31
	v_cmp_eq_u32_e64 s[0:1], 0, v30
	v_and_b32_e32 v28, 7, v28
	s_nop 0
	v_cndmask_b32_e64 v29, v30, v29, s[0:1]
	v_cndmask_b32_e64 v27, v27, v28, s[0:1]
	v_lshlrev_b32_e32 v28, 8, v4
	v_lshl_add_u32 v29, v29, 10, v20
	v_and_or_b32 v28, v28, s52, v29
	v_lshl_or_b32 v27, v27, 7, v28
	v_cvt_f32_f16_e32 v27, v27
.LBB274_30:                             ;   in Loop: Header=BB274_10 Depth=1
	s_or_b64 exec, exec, s[40:41]
	v_lshrrev_b16_e32 v4, 8, v4
	v_cmp_lt_i16_e64 s[0:1], s50, v4
	s_mov_b64 s[40:41], 0
                                        ; implicit-def: $sgpr53
	s_and_saveexec_b64 s[42:43], s[0:1]
	s_xor_b64 s[42:43], exec, s[42:43]
	s_cbranch_execnz .LBB274_64
; %bb.31:                               ;   in Loop: Header=BB274_10 Depth=1
	s_or_saveexec_b64 s[42:43], s[42:43]
	v_mov_b32_e32 v28, s53
	s_xor_b64 exec, exec, s[42:43]
	s_cbranch_execnz .LBB274_67
.LBB274_32:                             ;   in Loop: Header=BB274_10 Depth=1
	s_or_b64 exec, exec, s[42:43]
	s_and_saveexec_b64 s[42:43], s[40:41]
	s_cbranch_execz .LBB274_34
.LBB274_33:                             ;   in Loop: Header=BB274_10 Depth=1
	v_and_b32_e32 v30, 7, v4
	v_ffbh_u32_e32 v28, v30
	v_min_u32_e32 v32, 32, v28
	v_subrev_u32_e32 v28, 28, v32
	v_bfe_u32 v31, v4, 3, 4
	v_lshlrev_b64 v[28:29], v28, v[4:5]
	v_sub_u32_e32 v29, 29, v32
	v_cmp_eq_u32_e64 s[0:1], 0, v31
	v_and_b32_e32 v28, 7, v28
	v_lshlrev_b32_e32 v4, 8, v4
	v_cndmask_b32_e64 v29, v31, v29, s[0:1]
	v_lshl_add_u32 v29, v29, 10, v20
	v_cndmask_b32_e64 v28, v30, v28, s[0:1]
	v_and_or_b32 v4, v4, s52, v29
	v_lshl_or_b32 v4, v28, 7, v4
	v_cvt_f32_f16_e32 v28, v4
.LBB274_34:                             ;   in Loop: Header=BB274_10 Depth=1
	s_or_b64 exec, exec, s[42:43]
	global_load_ushort v4, v[12:13], off offset:264
	s_mov_b64 s[0:1], 0
                                        ; implicit-def: $sgpr44
	s_waitcnt vmcnt(0)
	v_cmp_gt_i16_sdwa s[40:41], v4, s50 src0_sel:BYTE_0 src1_sel:DWORD
	s_and_saveexec_b64 s[42:43], s[40:41]
	s_xor_b64 s[40:41], exec, s[42:43]
	s_cbranch_execnz .LBB274_68
; %bb.35:                               ;   in Loop: Header=BB274_10 Depth=1
	s_or_saveexec_b64 s[40:41], s[40:41]
	v_mov_b32_e32 v12, s44
	s_xor_b64 exec, exec, s[40:41]
	s_cbranch_execnz .LBB274_71
.LBB274_36:                             ;   in Loop: Header=BB274_10 Depth=1
	s_or_b64 exec, exec, s[40:41]
	v_and_b32_e32 v4, 0xffff, v4
	s_and_saveexec_b64 s[40:41], s[0:1]
	s_cbranch_execz .LBB274_38
.LBB274_37:                             ;   in Loop: Header=BB274_10 Depth=1
	v_and_b32_e32 v29, 7, v4
	v_ffbh_u32_e32 v12, v29
	v_min_u32_e32 v31, 32, v12
	v_subrev_u32_e32 v12, 28, v31
	v_bfe_u32 v30, v4, 3, 4
	v_lshlrev_b64 v[12:13], v12, v[4:5]
	v_sub_u32_e32 v13, 29, v31
	v_cmp_eq_u32_e64 s[0:1], 0, v30
	v_and_b32_e32 v12, 7, v12
	s_nop 0
	v_cndmask_b32_e64 v13, v30, v13, s[0:1]
	v_cndmask_b32_e64 v12, v29, v12, s[0:1]
	v_lshlrev_b32_e32 v29, 8, v4
	v_lshl_add_u32 v13, v13, 10, v20
	v_and_or_b32 v13, v29, s52, v13
	v_lshl_or_b32 v12, v12, 7, v13
	v_cvt_f32_f16_e32 v12, v12
.LBB274_38:                             ;   in Loop: Header=BB274_10 Depth=1
	s_or_b64 exec, exec, s[40:41]
	v_lshrrev_b16_e32 v4, 8, v4
	v_cmp_lt_i16_e64 s[0:1], s50, v4
	s_mov_b64 s[40:41], 0
                                        ; implicit-def: $sgpr53
	s_and_saveexec_b64 s[42:43], s[0:1]
	s_xor_b64 s[42:43], exec, s[42:43]
	s_cbranch_execnz .LBB274_72
; %bb.39:                               ;   in Loop: Header=BB274_10 Depth=1
	s_or_saveexec_b64 s[42:43], s[42:43]
	v_mov_b32_e32 v13, s53
	s_xor_b64 exec, exec, s[42:43]
	s_cbranch_execnz .LBB274_75
.LBB274_40:                             ;   in Loop: Header=BB274_10 Depth=1
	s_or_b64 exec, exec, s[42:43]
	s_and_saveexec_b64 s[42:43], s[40:41]
	s_cbranch_execz .LBB274_42
.LBB274_41:                             ;   in Loop: Header=BB274_10 Depth=1
	v_and_b32_e32 v13, 7, v4
	v_ffbh_u32_e32 v30, v13
	v_min_u32_e32 v32, 32, v30
	v_subrev_u32_e32 v30, 28, v32
	v_bfe_u32 v29, v4, 3, 4
	v_lshlrev_b64 v[30:31], v30, v[4:5]
	v_sub_u32_e32 v31, 29, v32
	v_cmp_eq_u32_e64 s[0:1], 0, v29
	v_and_b32_e32 v30, 7, v30
	v_lshlrev_b32_e32 v4, 8, v4
	v_cndmask_b32_e64 v29, v29, v31, s[0:1]
	v_lshl_add_u32 v29, v29, 10, v20
	v_cndmask_b32_e64 v13, v13, v30, s[0:1]
	v_and_or_b32 v4, v4, s52, v29
	v_lshl_or_b32 v4, v13, 7, v4
	v_cvt_f32_f16_e32 v13, v4
.LBB274_42:                             ;   in Loop: Header=BB274_10 Depth=1
	s_or_b64 exec, exec, s[42:43]
	ds_read_b32 v4, v17
	v_fma_mixlo_f16 v23, v22, v23, 0
	v_fma_mixlo_f16 v24, v22, v24, 0
	v_and_b32_e32 v23, 0xffff, v23
	v_and_b32_e32 v24, 0xffff, v24
	s_waitcnt lgkmcnt(0)
	v_lshrrev_b32_e32 v29, 16, v4
	v_and_b32_e32 v4, 0xffff, v4
	;;#ASMSTART
	v_cvt_f32_f16 v4, v4;
	;;#ASMEND
	;;#ASMSTART
	v_cvt_f32_f16 v29, v29;
	;;#ASMEND
	;; [unrolled: 3-line block ×4, first 2 shown]
	ds_read_b32 v30, v17 offset:4
	v_fma_mixlo_f16 v25, v22, v25, 0
	v_fma_mixlo_f16 v26, v22, v26, 0
	v_and_b32_e32 v25, 0xffff, v25
	v_and_b32_e32 v26, 0xffff, v26
	s_waitcnt lgkmcnt(0)
	v_lshrrev_b32_e32 v31, 16, v30
	v_and_b32_e32 v30, 0xffff, v30
	;;#ASMSTART
	v_cvt_f32_f16 v30, v30;
	;;#ASMEND
	;;#ASMSTART
	v_cvt_f32_f16 v31, v31;
	;;#ASMEND
	;; [unrolled: 3-line block ×4, first 2 shown]
	ds_read_b32 v32, v17 offset:8
	v_fma_mixlo_f16 v27, v22, v27, 0
	v_fma_mixlo_f16 v28, v22, v28, 0
	;; [unrolled: 1-line block ×4, first 2 shown]
	v_mul_f32_e32 v22, v30, v25
	v_fmac_f32_e32 v22, v4, v23
	s_waitcnt lgkmcnt(0)
	v_lshrrev_b32_e32 v4, 16, v32
	v_and_b32_e32 v23, 0xffff, v32
	v_and_b32_e32 v25, 0xffff, v27
	v_and_b32_e32 v27, 0xffff, v28
	;;#ASMSTART
	v_cvt_f32_f16 v23, v23;
	;;#ASMEND
	;;#ASMSTART
	v_cvt_f32_f16 v4, v4;
	;;#ASMEND
	;; [unrolled: 3-line block ×4, first 2 shown]
	ds_read_b32 v28, v17 offset:12
	v_mul_f32_e32 v26, v31, v26
	v_fmac_f32_e32 v26, v29, v24
	v_fmac_f32_e32 v22, v23, v25
	;; [unrolled: 1-line block ×3, first 2 shown]
	s_waitcnt lgkmcnt(0)
	v_lshrrev_b32_e32 v4, 16, v28
	v_and_b32_e32 v23, 0xffff, v28
	;;#ASMSTART
	v_cvt_f32_f16 v23, v23;
	;;#ASMEND
	;;#ASMSTART
	v_cvt_f32_f16 v4, v4;
	;;#ASMEND
	v_and_b32_e32 v12, 0xffff, v12
	v_and_b32_e32 v13, 0xffff, v13
	;;#ASMSTART
	v_cvt_f32_f16 v12, v12;
	;;#ASMEND
	;;#ASMSTART
	v_cvt_f32_f16 v13, v13;
	;;#ASMEND
	s_nop 0
	v_fmac_f32_e32 v26, v4, v13
	v_and_b32_e32 v4, 64, v15
	v_add_u32_e32 v4, 64, v4
	v_xor_b32_e32 v13, 2, v15
	v_cmp_lt_i32_e64 s[0:1], v13, v4
	v_fmac_f32_e32 v22, v23, v12
	v_add_f32_e32 v12, v22, v26
	v_cndmask_b32_e64 v13, v15, v13, s[0:1]
	v_lshlrev_b32_e32 v13, 2, v13
	ds_bpermute_b32 v13, v13, v12
	s_waitcnt lgkmcnt(0)
	v_add_f32_e32 v12, v12, v13
	v_xor_b32_e32 v13, 1, v15
	v_cmp_lt_i32_e64 s[0:1], v13, v4
	s_nop 1
	v_cndmask_b32_e64 v13, v15, v13, s[0:1]
	v_lshlrev_b32_e32 v13, 2, v13
	ds_bpermute_b32 v13, v13, v12
	s_and_saveexec_b64 s[40:41], vcc
	s_cbranch_execz .LBB274_9
; %bb.43:                               ;   in Loop: Header=BB274_10 Depth=1
	v_add_u32_e32 v22, s49, v18
	v_cvt_f32_i32_e32 v22, v22
	s_waitcnt lgkmcnt(0)
	v_add_f32_e32 v12, v12, v13
	v_cmp_gt_i32_e64 s[0:1], s29, v18
	v_max_f32_e32 v13, v16, v16
	v_mul_f32_e32 v22, s3, v22
	v_cndmask_b32_e64 v22, 0, v22, s[6:7]
	v_fmac_f32_e32 v22, s11, v12
	v_cndmask_b32_e64 v12, 0, v22, s[0:1]
	ds_write_b32 v19, v12
	v_max_f32_e32 v12, v13, v22
	v_cndmask_b32_e64 v16, v16, v12, s[0:1]
	s_branch .LBB274_9
.LBB274_44:                             ;   in Loop: Header=BB274_10 Depth=1
	v_cmp_eq_u16_sdwa s[54:55], v4, s51 src0_sel:BYTE_0 src1_sel:DWORD
	s_mov_b64 s[0:1], -1
                                        ; implicit-def: $sgpr44
	s_and_saveexec_b64 s[42:43], s[54:55]
; %bb.45:                               ;   in Loop: Header=BB274_10 Depth=1
	s_mov_b32 s44, 0x7fc02000
	s_xor_b64 s[0:1], exec, -1
; %bb.46:                               ;   in Loop: Header=BB274_10 Depth=1
	s_or_b64 exec, exec, s[42:43]
	s_and_b64 s[0:1], s[0:1], exec
	s_or_saveexec_b64 s[40:41], s[40:41]
	v_mov_b32_e32 v23, s44
	s_xor_b64 exec, exec, s[40:41]
	s_cbranch_execz .LBB274_12
.LBB274_47:                             ;   in Loop: Header=BB274_10 Depth=1
	v_cmp_ne_u16_sdwa s[42:43], v4, v5 src0_sel:BYTE_0 src1_sel:DWORD
	s_andn2_b64 s[0:1], s[0:1], exec
	s_and_b64 s[42:43], s[42:43], exec
	v_mov_b32_e32 v23, 0
	s_or_b64 s[0:1], s[0:1], s[42:43]
	s_or_b64 exec, exec, s[40:41]
	v_and_b32_e32 v4, 0xffff, v4
	s_and_saveexec_b64 s[40:41], s[0:1]
	s_cbranch_execnz .LBB274_13
	s_branch .LBB274_14
.LBB274_48:                             ;   in Loop: Header=BB274_10 Depth=1
	v_cmp_eq_u16_e64 s[0:1], s51, v4
	s_mov_b64 s[40:41], -1
                                        ; implicit-def: $sgpr53
	s_and_saveexec_b64 s[44:45], s[0:1]
; %bb.49:                               ;   in Loop: Header=BB274_10 Depth=1
	s_mov_b32 s53, 0x7fc02000
	s_xor_b64 s[40:41], exec, -1
; %bb.50:                               ;   in Loop: Header=BB274_10 Depth=1
	s_or_b64 exec, exec, s[44:45]
	s_and_b64 s[40:41], s[40:41], exec
	s_or_saveexec_b64 s[42:43], s[42:43]
	v_mov_b32_e32 v24, s53
	s_xor_b64 exec, exec, s[42:43]
	s_cbranch_execz .LBB274_16
.LBB274_51:                             ;   in Loop: Header=BB274_10 Depth=1
	v_cmp_ne_u16_e64 s[0:1], 0, v4
	s_andn2_b64 s[40:41], s[40:41], exec
	s_and_b64 s[0:1], s[0:1], exec
	v_mov_b32_e32 v24, 0
	s_or_b64 s[40:41], s[40:41], s[0:1]
	s_or_b64 exec, exec, s[42:43]
	s_and_saveexec_b64 s[42:43], s[40:41]
	s_cbranch_execnz .LBB274_17
	s_branch .LBB274_18
.LBB274_52:                             ;   in Loop: Header=BB274_10 Depth=1
	v_cmp_eq_u16_sdwa s[54:55], v4, s51 src0_sel:BYTE_0 src1_sel:DWORD
	s_mov_b64 s[0:1], -1
                                        ; implicit-def: $sgpr44
	s_and_saveexec_b64 s[42:43], s[54:55]
; %bb.53:                               ;   in Loop: Header=BB274_10 Depth=1
	s_mov_b32 s44, 0x7fc02000
	s_xor_b64 s[0:1], exec, -1
; %bb.54:                               ;   in Loop: Header=BB274_10 Depth=1
	s_or_b64 exec, exec, s[42:43]
	s_and_b64 s[0:1], s[0:1], exec
	s_or_saveexec_b64 s[40:41], s[40:41]
	v_mov_b32_e32 v25, s44
	s_xor_b64 exec, exec, s[40:41]
	s_cbranch_execz .LBB274_20
.LBB274_55:                             ;   in Loop: Header=BB274_10 Depth=1
	v_cmp_ne_u16_sdwa s[42:43], v4, v5 src0_sel:BYTE_0 src1_sel:DWORD
	s_andn2_b64 s[0:1], s[0:1], exec
	s_and_b64 s[42:43], s[42:43], exec
	v_mov_b32_e32 v25, 0
	s_or_b64 s[0:1], s[0:1], s[42:43]
	s_or_b64 exec, exec, s[40:41]
	v_and_b32_e32 v4, 0xffff, v4
	s_and_saveexec_b64 s[40:41], s[0:1]
	s_cbranch_execnz .LBB274_21
	s_branch .LBB274_22
.LBB274_56:                             ;   in Loop: Header=BB274_10 Depth=1
	v_cmp_eq_u16_e64 s[0:1], s51, v4
	s_mov_b64 s[40:41], -1
                                        ; implicit-def: $sgpr53
	s_and_saveexec_b64 s[44:45], s[0:1]
; %bb.57:                               ;   in Loop: Header=BB274_10 Depth=1
	s_mov_b32 s53, 0x7fc02000
	s_xor_b64 s[40:41], exec, -1
; %bb.58:                               ;   in Loop: Header=BB274_10 Depth=1
	s_or_b64 exec, exec, s[44:45]
	s_and_b64 s[40:41], s[40:41], exec
	s_or_saveexec_b64 s[42:43], s[42:43]
	v_mov_b32_e32 v26, s53
	s_xor_b64 exec, exec, s[42:43]
	s_cbranch_execz .LBB274_24
.LBB274_59:                             ;   in Loop: Header=BB274_10 Depth=1
	v_cmp_ne_u16_e64 s[0:1], 0, v4
	s_andn2_b64 s[40:41], s[40:41], exec
	s_and_b64 s[0:1], s[0:1], exec
	v_mov_b32_e32 v26, 0
	s_or_b64 s[40:41], s[40:41], s[0:1]
	s_or_b64 exec, exec, s[42:43]
	s_and_saveexec_b64 s[42:43], s[40:41]
	s_cbranch_execnz .LBB274_25
	s_branch .LBB274_26
.LBB274_60:                             ;   in Loop: Header=BB274_10 Depth=1
	v_cmp_eq_u16_sdwa s[54:55], v4, s51 src0_sel:BYTE_0 src1_sel:DWORD
	s_mov_b64 s[0:1], -1
                                        ; implicit-def: $sgpr44
	s_and_saveexec_b64 s[42:43], s[54:55]
; %bb.61:                               ;   in Loop: Header=BB274_10 Depth=1
	s_mov_b32 s44, 0x7fc02000
	s_xor_b64 s[0:1], exec, -1
; %bb.62:                               ;   in Loop: Header=BB274_10 Depth=1
	s_or_b64 exec, exec, s[42:43]
	s_and_b64 s[0:1], s[0:1], exec
	s_or_saveexec_b64 s[40:41], s[40:41]
	v_mov_b32_e32 v27, s44
	s_xor_b64 exec, exec, s[40:41]
	s_cbranch_execz .LBB274_28
.LBB274_63:                             ;   in Loop: Header=BB274_10 Depth=1
	v_cmp_ne_u16_sdwa s[42:43], v4, v5 src0_sel:BYTE_0 src1_sel:DWORD
	s_andn2_b64 s[0:1], s[0:1], exec
	s_and_b64 s[42:43], s[42:43], exec
	v_mov_b32_e32 v27, 0
	s_or_b64 s[0:1], s[0:1], s[42:43]
	s_or_b64 exec, exec, s[40:41]
	v_and_b32_e32 v4, 0xffff, v4
	s_and_saveexec_b64 s[40:41], s[0:1]
	s_cbranch_execnz .LBB274_29
	s_branch .LBB274_30
.LBB274_64:                             ;   in Loop: Header=BB274_10 Depth=1
	v_cmp_eq_u16_e64 s[0:1], s51, v4
	s_mov_b64 s[40:41], -1
                                        ; implicit-def: $sgpr53
	s_and_saveexec_b64 s[44:45], s[0:1]
; %bb.65:                               ;   in Loop: Header=BB274_10 Depth=1
	s_mov_b32 s53, 0x7fc02000
	s_xor_b64 s[40:41], exec, -1
; %bb.66:                               ;   in Loop: Header=BB274_10 Depth=1
	s_or_b64 exec, exec, s[44:45]
	s_and_b64 s[40:41], s[40:41], exec
	s_or_saveexec_b64 s[42:43], s[42:43]
	v_mov_b32_e32 v28, s53
	s_xor_b64 exec, exec, s[42:43]
	s_cbranch_execz .LBB274_32
.LBB274_67:                             ;   in Loop: Header=BB274_10 Depth=1
	v_cmp_ne_u16_e64 s[0:1], 0, v4
	s_andn2_b64 s[40:41], s[40:41], exec
	s_and_b64 s[0:1], s[0:1], exec
	v_mov_b32_e32 v28, 0
	s_or_b64 s[40:41], s[40:41], s[0:1]
	s_or_b64 exec, exec, s[42:43]
	s_and_saveexec_b64 s[42:43], s[40:41]
	s_cbranch_execnz .LBB274_33
	s_branch .LBB274_34
.LBB274_68:                             ;   in Loop: Header=BB274_10 Depth=1
	v_cmp_eq_u16_sdwa s[54:55], v4, s51 src0_sel:BYTE_0 src1_sel:DWORD
	s_mov_b64 s[0:1], -1
                                        ; implicit-def: $sgpr44
	s_and_saveexec_b64 s[42:43], s[54:55]
; %bb.69:                               ;   in Loop: Header=BB274_10 Depth=1
	s_mov_b32 s44, 0x7fc02000
	s_xor_b64 s[0:1], exec, -1
; %bb.70:                               ;   in Loop: Header=BB274_10 Depth=1
	s_or_b64 exec, exec, s[42:43]
	s_and_b64 s[0:1], s[0:1], exec
	s_or_saveexec_b64 s[40:41], s[40:41]
	v_mov_b32_e32 v12, s44
	s_xor_b64 exec, exec, s[40:41]
	s_cbranch_execz .LBB274_36
.LBB274_71:                             ;   in Loop: Header=BB274_10 Depth=1
	v_cmp_ne_u16_sdwa s[42:43], v4, v5 src0_sel:BYTE_0 src1_sel:DWORD
	s_andn2_b64 s[0:1], s[0:1], exec
	s_and_b64 s[42:43], s[42:43], exec
	v_mov_b32_e32 v12, 0
	s_or_b64 s[0:1], s[0:1], s[42:43]
	s_or_b64 exec, exec, s[40:41]
	v_and_b32_e32 v4, 0xffff, v4
	s_and_saveexec_b64 s[40:41], s[0:1]
	s_cbranch_execnz .LBB274_37
	s_branch .LBB274_38
.LBB274_72:                             ;   in Loop: Header=BB274_10 Depth=1
	v_cmp_eq_u16_e64 s[0:1], s51, v4
	s_mov_b64 s[40:41], -1
                                        ; implicit-def: $sgpr53
	s_and_saveexec_b64 s[44:45], s[0:1]
; %bb.73:                               ;   in Loop: Header=BB274_10 Depth=1
	s_mov_b32 s53, 0x7fc02000
	s_xor_b64 s[40:41], exec, -1
; %bb.74:                               ;   in Loop: Header=BB274_10 Depth=1
	s_or_b64 exec, exec, s[44:45]
	s_and_b64 s[40:41], s[40:41], exec
	s_or_saveexec_b64 s[42:43], s[42:43]
	v_mov_b32_e32 v13, s53
	s_xor_b64 exec, exec, s[42:43]
	s_cbranch_execz .LBB274_40
.LBB274_75:                             ;   in Loop: Header=BB274_10 Depth=1
	v_cmp_ne_u16_e64 s[0:1], 0, v4
	s_andn2_b64 s[40:41], s[40:41], exec
	s_and_b64 s[0:1], s[0:1], exec
	v_mov_b32_e32 v13, 0
	s_or_b64 s[40:41], s[40:41], s[0:1]
	s_or_b64 exec, exec, s[42:43]
	s_and_saveexec_b64 s[42:43], s[40:41]
	s_cbranch_execnz .LBB274_41
	s_branch .LBB274_42
.LBB274_76:
	s_or_b64 exec, exec, s[18:19]
.LBB274_77:
	s_or_b64 exec, exec, s[38:39]
	v_xor_b32_e32 v5, 32, v15
	v_cmp_lt_i32_e32 vcc, v5, v4
	v_xor_b32_e32 v8, 16, v15
	v_max_f32_e32 v7, v16, v16
	v_cndmask_b32_e32 v5, v15, v5, vcc
	v_lshlrev_b32_e32 v5, 2, v5
	ds_bpermute_b32 v6, v5, v16
	v_cmp_lt_i32_e32 vcc, v8, v4
	v_xor_b32_e32 v9, 8, v15
	v_and_b32_e32 v11, 63, v0
	s_waitcnt lgkmcnt(0)
	v_max_f32_e32 v6, v6, v6
	v_max_f32_e32 v6, v7, v6
	v_cndmask_b32_e32 v7, v15, v8, vcc
	v_lshlrev_b32_e32 v7, 2, v7
	ds_bpermute_b32 v8, v7, v6
	v_cmp_lt_i32_e32 vcc, v9, v4
	s_waitcnt lgkmcnt(0)
	v_max_f32_e32 v8, v8, v8
	v_max_f32_e32 v6, v6, v8
	v_cndmask_b32_e32 v8, v15, v9, vcc
	v_lshlrev_b32_e32 v10, 2, v8
	ds_bpermute_b32 v8, v10, v6
	v_xor_b32_e32 v9, 4, v15
	v_cmp_lt_i32_e32 vcc, v9, v4
	s_waitcnt lgkmcnt(0)
	v_max_f32_e32 v8, v8, v8
	v_max_f32_e32 v6, v6, v8
	v_cndmask_b32_e32 v8, v15, v9, vcc
	v_lshlrev_b32_e32 v12, 2, v8
	ds_bpermute_b32 v9, v12, v6
	v_cmp_eq_u32_e32 vcc, 0, v11
	v_lshlrev_b32_e32 v8, 2, v1
	s_and_saveexec_b64 s[0:1], vcc
	s_cbranch_execz .LBB274_79
; %bb.78:
	s_waitcnt lgkmcnt(0)
	v_max_f32_e32 v9, v9, v9
	v_max_f32_e32 v6, v6, v6
	;; [unrolled: 1-line block ×3, first 2 shown]
	ds_write_b32 v8, v6 offset:64
.LBB274_79:
	s_or_b64 exec, exec, s[0:1]
	v_cmp_gt_u32_e64 s[0:1], 2, v11
	v_mov_b32_e32 v6, 0xff7fffff
	s_waitcnt lgkmcnt(0)
	v_lshlrev_b32_e32 v9, 2, v11
	s_barrier
	s_and_saveexec_b64 s[6:7], s[0:1]
	s_cbranch_execz .LBB274_81
; %bb.80:
	ds_read_b32 v6, v9 offset:64
.LBB274_81:
	s_or_b64 exec, exec, s[6:7]
	v_xor_b32_e32 v13, 1, v15
	v_cmp_lt_i32_e64 s[6:7], v13, v4
	s_sub_i32 s3, s33, s16
	s_lshl_b32 s3, s3, 4
	v_cndmask_b32_e64 v13, v15, v13, s[6:7]
	v_lshlrev_b32_e32 v18, 2, v13
	s_waitcnt lgkmcnt(0)
	ds_bpermute_b32 v13, v18, v6
	v_max_f32_e32 v6, v6, v6
	s_add_i32 s3, s3, s46
	s_min_i32 s38, s3, s29
	s_sub_i32 s3, s38, s46
	s_waitcnt lgkmcnt(0)
	v_max_f32_e32 v13, v13, v13
	v_max_f32_e32 v6, v6, v13
	v_lshlrev_b32_e32 v13, 2, v15
	v_and_b32_e32 v13, 0xffffff00, v13
	ds_bpermute_b32 v6, v13, v6
	v_cmp_gt_i32_e64 s[6:7], s3, v0
	v_mov_b32_e32 v16, 0
	s_and_saveexec_b64 s[12:13], s[6:7]
	s_cbranch_execz .LBB274_85
; %bb.82:
	v_mov_b32_e32 v16, 0x50
	v_lshl_add_u32 v17, v0, 2, v16
	s_mov_b64 s[18:19], 0
	v_mov_b32_e32 v16, 0
	v_mov_b32_e32 v19, v0
.LBB274_83:                             ; =>This Inner Loop Header: Depth=1
	ds_read_b32 v20, v17
	v_add_u32_e32 v19, 0x80, v19
	v_cmp_le_i32_e64 s[10:11], s3, v19
	s_or_b64 s[18:19], s[10:11], s[18:19]
	s_waitcnt lgkmcnt(0)
	v_sub_f32_e32 v20, v20, v6
	v_mul_f32_e32 v20, 0x3fb8aa3b, v20
	v_exp_f32_e32 v20, v20
	ds_write_b32 v17, v20
	v_add_f32_e32 v16, v16, v20
	v_add_u32_e32 v17, 0x200, v17
	s_andn2_b64 exec, exec, s[18:19]
	s_cbranch_execnz .LBB274_83
; %bb.84:
	s_or_b64 exec, exec, s[18:19]
.LBB274_85:
	s_or_b64 exec, exec, s[12:13]
	ds_bpermute_b32 v5, v5, v16
	s_waitcnt lgkmcnt(0)
	v_add_f32_e32 v5, v16, v5
	ds_bpermute_b32 v7, v7, v5
	s_waitcnt lgkmcnt(0)
	v_add_f32_e32 v5, v5, v7
	ds_bpermute_b32 v7, v10, v5
	v_xor_b32_e32 v10, 2, v15
	v_cmp_lt_i32_e64 s[10:11], v10, v4
	s_waitcnt lgkmcnt(0)
	v_add_f32_e32 v5, v5, v7
	ds_bpermute_b32 v7, v12, v5
	v_cndmask_b32_e64 v4, v15, v10, s[10:11]
	v_lshlrev_b32_e32 v4, 2, v4
	s_waitcnt lgkmcnt(0)
	v_add_f32_e32 v5, v5, v7
	ds_bpermute_b32 v4, v4, v5
	s_waitcnt lgkmcnt(0)
	v_add_f32_e32 v4, v5, v4
	ds_bpermute_b32 v5, v18, v4
	s_waitcnt lgkmcnt(0)
	v_add_f32_e32 v4, v4, v5
	s_and_saveexec_b64 s[10:11], vcc
	s_cbranch_execz .LBB274_87
; %bb.86:
	ds_write_b32 v8, v4 offset:72
.LBB274_87:
	s_or_b64 exec, exec, s[10:11]
	s_waitcnt lgkmcnt(0)
	s_barrier
	s_and_saveexec_b64 s[10:11], s[0:1]
	s_cbranch_execz .LBB274_89
; %bb.88:
	ds_read_b32 v4, v9 offset:72
.LBB274_89:
	s_or_b64 exec, exec, s[10:11]
	s_waitcnt lgkmcnt(0)
	ds_bpermute_b32 v5, v18, v4
	s_waitcnt lgkmcnt(0)
	v_add_f32_e32 v4, v4, v5
	ds_bpermute_b32 v7, v13, v4
	s_and_saveexec_b64 s[0:1], s[6:7]
	s_cbranch_execz .LBB274_102
; %bb.90:
	s_waitcnt lgkmcnt(0)
	v_add_f32_e32 v4, 0x358637bd, v7
	v_div_scale_f32 v5, s[6:7], v4, v4, 1.0
	v_rcp_f32_e32 v8, v5
	v_div_scale_f32 v9, vcc, 1.0, v4, 1.0
	s_movk_i32 s6, 0x7f
	v_fma_f32 v10, -v5, v8, 1.0
	v_fmac_f32_e32 v8, v10, v8
	v_mul_f32_e32 v10, v9, v8
	v_fma_f32 v12, -v5, v10, v9
	v_fmac_f32_e32 v10, v12, v8
	v_fma_f32 v5, -v5, v10, v9
	v_div_fmas_f32 v5, v5, v8, v10
	v_div_fixup_f32 v4, v5, v4, 1.0
	v_xad_u32 v5, v0, -1, s38
	v_subrev_u32_e32 v8, s46, v5
	v_cmp_lt_u32_e32 vcc, s6, v8
	s_mov_b64 s[10:11], -1
	v_mov_b32_e32 v5, v0
	s_and_saveexec_b64 s[6:7], vcc
	s_cbranch_execz .LBB274_99
; %bb.91:
	v_lshrrev_b32_e32 v8, 7, v8
	v_add_u32_e32 v10, -1, v8
	v_lshrrev_b32_e32 v9, 1, v10
	v_mov_b32_e32 v5, v4
	v_add_u32_e32 v9, 1, v9
	v_cmp_lt_u32_e32 vcc, 13, v10
	v_mov_b32_e32 v13, 0
	s_and_saveexec_b64 s[10:11], vcc
	s_cbranch_execz .LBB274_95
; %bb.92:
	v_mov_b32_e32 v12, 0x50
	v_and_b32_e32 v10, -8, v9
	v_lshl_add_u32 v12, v0, 2, v12
	s_mov_b32 s18, 0
	s_mov_b64 s[12:13], 0
.LBB274_93:                             ; =>This Inner Loop Header: Depth=1
	ds_read2st64_b32 v[16:17], v12 offset1:2
	ds_read2st64_b32 v[20:21], v12 offset0:4 offset1:6
	ds_read2st64_b32 v[22:23], v12 offset0:8 offset1:10
	;; [unrolled: 1-line block ×3, first 2 shown]
	v_add_u32_e32 v10, -8, v10
	s_waitcnt lgkmcnt(3)
	v_pk_mul_f32 v[16:17], v[4:5], v[16:17]
	s_waitcnt lgkmcnt(2)
	v_pk_mul_f32 v[20:21], v[4:5], v[20:21]
	ds_write2st64_b32 v12, v16, v17 offset1:2
	ds_write2st64_b32 v12, v20, v21 offset0:4 offset1:6
	ds_read2st64_b32 v[20:21], v12 offset0:16 offset1:18
	s_waitcnt lgkmcnt(4)
	v_pk_mul_f32 v[16:17], v[4:5], v[22:23]
	ds_write2st64_b32 v12, v16, v17 offset0:8 offset1:10
	s_waitcnt lgkmcnt(4)
	v_pk_mul_f32 v[16:17], v[4:5], v[24:25]
	ds_write2st64_b32 v12, v16, v17 offset0:12 offset1:14
	ds_read2st64_b32 v[16:17], v12 offset0:20 offset1:22
	s_waitcnt lgkmcnt(3)
	v_pk_mul_f32 v[20:21], v[4:5], v[20:21]
	ds_read2st64_b32 v[22:23], v12 offset0:24 offset1:26
	ds_write2st64_b32 v12, v20, v21 offset0:16 offset1:18
	ds_read2st64_b32 v[20:21], v12 offset0:28 offset1:30
	s_waitcnt lgkmcnt(3)
	v_pk_mul_f32 v[16:17], v[4:5], v[16:17]
	ds_write2st64_b32 v12, v16, v17 offset0:20 offset1:22
	s_waitcnt lgkmcnt(3)
	v_pk_mul_f32 v[16:17], v[4:5], v[22:23]
	ds_write2st64_b32 v12, v16, v17 offset0:24 offset1:26
	s_waitcnt lgkmcnt(2)
	v_pk_mul_f32 v[16:17], v[4:5], v[20:21]
	s_add_i32 s18, s18, 16
	v_cmp_eq_u32_e32 vcc, 0, v10
	ds_write2st64_b32 v12, v16, v17 offset0:28 offset1:30
	v_add_u32_e32 v12, 0x2000, v12
	s_or_b64 s[12:13], vcc, s[12:13]
	v_mov_b32_e32 v13, s18
	s_andn2_b64 exec, exec, s[12:13]
	s_cbranch_execnz .LBB274_93
; %bb.94:
	s_or_b64 exec, exec, s[12:13]
.LBB274_95:
	s_or_b64 exec, exec, s[10:11]
	v_and_b32_e32 v9, 7, v9
	v_cmp_ne_u32_e32 vcc, 0, v9
	s_and_saveexec_b64 s[10:11], vcc
	s_cbranch_execz .LBB274_98
; %bb.96:
	v_lshlrev_b32_e32 v10, 9, v13
	v_lshlrev_b32_e32 v12, 2, v0
	s_movk_i32 s12, 0x50
	v_add3_u32 v10, v10, v12, s12
	s_mov_b64 s[12:13], 0
.LBB274_97:                             ; =>This Inner Loop Header: Depth=1
	ds_read2st64_b32 v[12:13], v10 offset1:2
	v_add_u32_e32 v9, -1, v9
	v_cmp_eq_u32_e32 vcc, 0, v9
	s_or_b64 s[12:13], vcc, s[12:13]
	s_waitcnt lgkmcnt(0)
	v_pk_mul_f32 v[12:13], v[4:5], v[12:13]
	ds_write2st64_b32 v10, v12, v13 offset1:2
	v_add_u32_e32 v10, 0x400, v10
	s_andn2_b64 exec, exec, s[12:13]
	s_cbranch_execnz .LBB274_97
.LBB274_98:
	s_or_b64 exec, exec, s[10:11]
	v_add_u32_e32 v8, 1, v8
	v_and_b32_e32 v9, 0x3fffffe, v8
	v_cmp_ne_u32_e32 vcc, v8, v9
	v_lshl_add_u32 v5, v9, 7, v0
	s_orn2_b64 s[10:11], vcc, exec
.LBB274_99:
	s_or_b64 exec, exec, s[6:7]
	s_and_b64 exec, exec, s[10:11]
	s_cbranch_execz .LBB274_102
; %bb.100:
	v_mov_b32_e32 v8, 0x50
	v_lshl_add_u32 v8, v5, 2, v8
	s_mov_b64 s[6:7], 0
.LBB274_101:                            ; =>This Inner Loop Header: Depth=1
	ds_read_b32 v9, v8
	v_add_u32_e32 v5, 0x80, v5
	v_cmp_le_i32_e32 vcc, s3, v5
	s_or_b64 s[6:7], vcc, s[6:7]
	s_waitcnt lgkmcnt(0)
	v_mul_f32_e32 v9, v4, v9
	ds_write_b32 v8, v9
	v_add_u32_e32 v8, 0x200, v8
	s_andn2_b64 exec, exec, s[6:7]
	s_cbranch_execnz .LBB274_101
.LBB274_102:
	s_or_b64 exec, exec, s[0:1]
	s_mul_i32 s0, s25, s28
	v_cmp_eq_u32_e32 vcc, 0, v0
	s_mul_i32 s0, s0, s5
	s_waitcnt lgkmcnt(0)
	s_barrier
	s_and_saveexec_b64 s[6:7], vcc
	s_cbranch_execz .LBB274_104
; %bb.103:
	s_ashr_i32 s1, s0, 31
	s_lshl_b64 s[10:11], s[0:1], 2
	s_add_u32 s1, s22, s10
	s_mul_i32 s2, s25, s2
	s_addc_u32 s5, s23, s11
	s_ashr_i32 s3, s2, 31
	s_lshl_b64 s[2:3], s[2:3], 2
	s_add_u32 s1, s1, s2
	s_addc_u32 s13, s5, s3
	s_ashr_i32 s5, s4, 31
	s_lshl_b64 s[4:5], s[4:5], 2
	s_add_u32 s12, s1, s4
	s_addc_u32 s13, s13, s5
	s_add_u32 s1, s20, s10
	s_addc_u32 s10, s21, s11
	;; [unrolled: 2-line block ×3, first 2 shown]
	s_add_u32 s2, s1, s4
	v_mov_b32_e32 v4, 0
	s_addc_u32 s3, s3, s5
	global_store_dword v4, v6, s[12:13]
	global_store_dword v4, v7, s[2:3]
.LBB274_104:
	s_or_b64 exec, exec, s[6:7]
	v_mov_b32_e32 v20, 0
	s_and_saveexec_b64 s[2:3], s[8:9]
	s_cbranch_execz .LBB274_174
; %bb.105:
	s_ashr_i32 s5, s48, 31
	v_lshlrev_b32_e32 v4, 3, v0
	s_add_u32 s4, s36, s48
	v_and_b32_e32 v8, 8, v4
	s_addc_u32 s5, s37, s5
	v_and_b32_e32 v4, 0x1f8, v4
	v_mov_b32_e32 v5, 0
	v_lshl_add_u64 v[6:7], s[4:5], 0, v[4:5]
	s_add_i32 s47, s47, -1
	v_and_b32_e32 v4, 1, v0
	s_lshl_b64 s[4:5], s[34:35], 2
	v_lshlrev_b32_e32 v4, 5, v4
	s_add_u32 s4, s30, s4
	v_lshl_or_b32 v1, v1, 6, v4
	s_addc_u32 s5, s31, s5
	s_mov_b32 s1, s17
	s_mov_b32 s12, s29
	v_add3_u32 v19, s46, v14, v8
	v_add_u32_e32 v1, 0x50, v1
	v_lshl_add_u64 v[8:9], v[2:3], 2, s[4:5]
	s_mov_b64 s[4:5], 0
	s_movk_i32 s13, 0x7f
	s_movk_i32 s17, 0x80
	s_mov_b32 s18, 0x8000
	s_movk_i32 s19, 0x380
	s_mov_b32 s20, 0x3020706
	s_mov_b32 s21, 0x1000504
	;; [unrolled: 1-line block ×3, first 2 shown]
	v_mov_b32_e32 v3, 0x1c00
	v_mov_b32_e32 v20, 0
	s_branch .LBB274_107
.LBB274_106:                            ;   in Loop: Header=BB274_107 Depth=1
	s_or_b64 exec, exec, s[6:7]
	v_and_b32_e32 v14, 0xffff, v21
	v_and_b32_e32 v15, 0xffff, v23
	v_lshl_or_b32 v14, v22, 16, v14
	v_lshl_or_b32 v15, v24, 16, v15
	v_and_b32_e32 v16, 0xffff, v25
	v_and_b32_e32 v17, 0xffff, v27
	;;#ASMSTART
	v_pk_mul_f16 v13, v14, v13;

	;;#ASMEND
	;;#ASMSTART
	v_pk_mul_f16 v4, v15, v4;

	;;#ASMEND
	v_lshl_or_b32 v16, v26, 16, v16
	v_lshl_or_b32 v17, v28, 16, v17
	;;#ASMSTART
	v_pk_mul_f16 v12, v16, v12;

	;;#ASMEND
	;;#ASMSTART
	v_pk_mul_f16 v10, v17, v10;

	;;#ASMEND
	;;#ASMSTART
	v_pk_add_f16 v4, v13, v4;

	;;#ASMEND
	v_add_u32_e32 v2, 2, v2
	;;#ASMSTART
	v_pk_add_f16 v4, v4, v12;

	;;#ASMEND
	v_cmp_le_i32_e32 vcc, s33, v2
	;;#ASMSTART
	v_pk_add_f16 v4, v4, v10;

	;;#ASMEND
	v_add_u32_e32 v19, 32, v19
	v_lshrrev_b32_e32 v10, 16, v4
	v_and_b32_e32 v4, 0xffff, v4
	;;#ASMSTART
	v_cvt_f32_f16 v4, v4;
	;;#ASMEND
	;;#ASMSTART
	v_cvt_f32_f16 v10, v10;
	;;#ASMEND
	v_add_u32_e32 v1, 0x80, v1
	v_add_f32_e32 v4, v4, v10
	v_add_f32_e32 v20, v20, v4
	s_or_b64 s[4:5], vcc, s[4:5]
	v_lshl_add_u64 v[8:9], v[8:9], 0, 8
	s_andn2_b64 exec, exec, s[4:5]
	s_cbranch_execz .LBB274_173
.LBB274_107:                            ; =>This Inner Loop Header: Depth=1
	ds_read2_b64 v[12:15], v1 offset1:1
	ds_read2_b64 v[26:29], v1 offset0:2 offset1:3
                                        ; implicit-def: $sgpr23
	s_waitcnt lgkmcnt(1)
	;;#ASMSTART
	v_cvt_f16_f32 v21, v12;

	;;#ASMEND
	;;#ASMSTART
	v_cvt_f16_f32 v22, v13;

	;;#ASMEND
	;; [unrolled: 4-line block ×4, first 2 shown]
	s_waitcnt lgkmcnt(0)
	;;#ASMSTART
	v_cvt_f16_f32 v25, v26;

	;;#ASMEND
	;;#ASMSTART
	v_cvt_f16_f32 v26, v27;

	;;#ASMEND
	;; [unrolled: 4-line block ×4, first 2 shown]
	global_load_dword v4, v[8:9], off
	s_waitcnt vmcnt(0)
	v_mad_i64_i32 v[14:15], s[6:7], v4, s1, v[6:7]
	global_load_dwordx2 v[12:13], v[14:15], off
	global_load_dword v10, v5, s[14:15]
	s_mov_b64 s[6:7], 0
	s_waitcnt vmcnt(1)
	v_cmp_gt_i16_sdwa s[8:9], v12, s13 src0_sel:BYTE_0 src1_sel:DWORD
	s_and_saveexec_b64 s[10:11], s[8:9]
	s_xor_b64 s[8:9], exec, s[10:11]
	s_cbranch_execnz .LBB274_141
; %bb.108:                              ;   in Loop: Header=BB274_107 Depth=1
	s_or_saveexec_b64 s[8:9], s[8:9]
	v_mov_b32_e32 v14, s23
	s_xor_b64 exec, exec, s[8:9]
	s_cbranch_execnz .LBB274_144
.LBB274_109:                            ;   in Loop: Header=BB274_107 Depth=1
	s_or_b64 exec, exec, s[8:9]
	s_and_saveexec_b64 s[8:9], s[6:7]
	s_cbranch_execz .LBB274_111
.LBB274_110:                            ;   in Loop: Header=BB274_107 Depth=1
	v_and_b32_e32 v4, 7, v12
	v_ffbh_u32_e32 v4, v4
	v_bfe_u32 v14, v12, 3, 4
	v_min_u32_e32 v4, 32, v4
	v_subrev_u32_e32 v15, 28, v4
	v_sub_u32_e32 v4, 29, v4
	v_cmp_eq_u32_e32 vcc, 0, v14
	s_nop 1
	v_cndmask_b32_e32 v4, v14, v4, vcc
	v_cndmask_b32_e32 v14, 0, v15, vcc
	v_lshlrev_b64 v[14:15], v14, v[12:13]
	v_lshlrev_b32_e32 v15, 8, v12
	v_lshl_add_u32 v4, v4, 10, v3
	v_lshlrev_b32_e32 v14, 7, v14
	v_and_or_b32 v4, v15, s18, v4
	v_and_or_b32 v4, v14, s19, v4
	v_cvt_f32_f16_e32 v14, v4
.LBB274_111:                            ;   in Loop: Header=BB274_107 Depth=1
	s_or_b64 exec, exec, s[8:9]
	v_lshrrev_b16_e32 v4, 8, v12
	v_cmp_lt_i16_e32 vcc, s13, v4
	s_mov_b64 s[6:7], 0
                                        ; implicit-def: $sgpr23
	s_and_saveexec_b64 s[8:9], vcc
	s_xor_b64 s[8:9], exec, s[8:9]
	s_cbranch_execnz .LBB274_145
; %bb.112:                              ;   in Loop: Header=BB274_107 Depth=1
	s_or_saveexec_b64 s[8:9], s[8:9]
	v_mov_b32_e32 v16, s23
	s_xor_b64 exec, exec, s[8:9]
	s_cbranch_execnz .LBB274_148
.LBB274_113:                            ;   in Loop: Header=BB274_107 Depth=1
	s_or_b64 exec, exec, s[8:9]
	s_and_saveexec_b64 s[8:9], s[6:7]
	s_cbranch_execz .LBB274_115
.LBB274_114:                            ;   in Loop: Header=BB274_107 Depth=1
	v_and_b32_e32 v15, 7, v4
	v_ffbh_u32_e32 v16, v15
	v_min_u32_e32 v30, 32, v16
	v_subrev_u32_e32 v16, 28, v30
	v_bfe_u32 v29, v4, 3, 4
	v_lshlrev_b64 v[16:17], v16, v[4:5]
	v_sub_u32_e32 v17, 29, v30
	v_cmp_eq_u32_e32 vcc, 0, v29
	v_and_b32_e32 v16, 7, v16
	v_lshlrev_b32_e32 v4, 8, v4
	v_cndmask_b32_e32 v17, v29, v17, vcc
	v_cndmask_b32_e32 v15, v15, v16, vcc
	v_lshl_add_u32 v16, v17, 10, v3
	v_and_or_b32 v4, v4, s18, v16
	v_lshl_or_b32 v4, v15, 7, v4
	v_cvt_f32_f16_e32 v16, v4
.LBB274_115:                            ;   in Loop: Header=BB274_107 Depth=1
	s_or_b64 exec, exec, s[8:9]
	v_lshrrev_b32_e32 v4, 16, v12
	v_cmp_gt_i16_sdwa s[8:9], v4, s13 src0_sel:BYTE_0 src1_sel:DWORD
	s_mov_b64 s[6:7], 0
                                        ; implicit-def: $sgpr23
	s_and_saveexec_b64 s[10:11], s[8:9]
	s_xor_b64 s[8:9], exec, s[10:11]
	s_cbranch_execnz .LBB274_149
; %bb.116:                              ;   in Loop: Header=BB274_107 Depth=1
	s_or_saveexec_b64 s[8:9], s[8:9]
	v_mov_b32_e32 v15, s23
	s_xor_b64 exec, exec, s[8:9]
	s_cbranch_execnz .LBB274_152
.LBB274_117:                            ;   in Loop: Header=BB274_107 Depth=1
	s_or_b64 exec, exec, s[8:9]
	s_and_saveexec_b64 s[8:9], s[6:7]
	s_cbranch_execz .LBB274_119
.LBB274_118:                            ;   in Loop: Header=BB274_107 Depth=1
	v_bfe_u32 v15, v12, 16, 3
	v_ffbh_u32_e32 v29, v15
	v_bfe_u32 v17, v12, 19, 4
	v_min_u32_e32 v29, 32, v29
	v_subrev_u32_e32 v30, 28, v29
	v_sub_u32_e32 v29, 29, v29
	v_cmp_eq_u32_e32 vcc, 0, v17
	v_lshlrev_b64 v[30:31], v30, v[4:5]
	v_and_b32_e32 v30, 7, v30
	v_cndmask_b32_e32 v17, v17, v29, vcc
	v_lshlrev_b32_e32 v4, 8, v4
	v_lshl_add_u32 v17, v17, 10, v3
	v_cndmask_b32_e32 v15, v15, v30, vcc
	v_and_or_b32 v4, v4, s18, v17
	v_lshl_or_b32 v4, v15, 7, v4
	v_cvt_f32_f16_e32 v15, v4
.LBB274_119:                            ;   in Loop: Header=BB274_107 Depth=1
	s_or_b64 exec, exec, s[8:9]
	v_lshrrev_b32_e32 v4, 24, v12
	v_cmp_lt_i16_e32 vcc, s13, v4
	s_mov_b64 s[6:7], 0
                                        ; implicit-def: $sgpr23
	s_and_saveexec_b64 s[8:9], vcc
	s_xor_b64 s[8:9], exec, s[8:9]
	s_cbranch_execnz .LBB274_153
; %bb.120:                              ;   in Loop: Header=BB274_107 Depth=1
	s_or_saveexec_b64 s[8:9], s[8:9]
	v_mov_b32_e32 v17, s23
	s_xor_b64 exec, exec, s[8:9]
	s_cbranch_execnz .LBB274_156
.LBB274_121:                            ;   in Loop: Header=BB274_107 Depth=1
	s_or_b64 exec, exec, s[8:9]
	s_and_saveexec_b64 s[8:9], s[6:7]
	s_cbranch_execz .LBB274_123
.LBB274_122:                            ;   in Loop: Header=BB274_107 Depth=1
	v_bfe_u32 v17, v12, 24, 3
	v_ffbh_u32_e32 v29, v17
	v_bfe_u32 v12, v12, 27, 4
	v_min_u32_e32 v29, 32, v29
	v_subrev_u32_e32 v30, 28, v29
	v_sub_u32_e32 v29, 29, v29
	v_cmp_eq_u32_e32 vcc, 0, v12
	v_lshlrev_b64 v[30:31], v30, v[4:5]
	v_and_b32_e32 v30, 7, v30
	v_cndmask_b32_e32 v12, v12, v29, vcc
	v_lshlrev_b32_e32 v4, 8, v4
	v_lshl_add_u32 v12, v12, 10, v3
	v_cndmask_b32_e32 v17, v17, v30, vcc
	v_and_or_b32 v4, v4, s18, v12
	v_lshl_or_b32 v4, v17, 7, v4
	v_cvt_f32_f16_e32 v17, v4
.LBB274_123:                            ;   in Loop: Header=BB274_107 Depth=1
	s_or_b64 exec, exec, s[8:9]
	v_cmp_gt_i16_sdwa s[8:9], v13, s13 src0_sel:BYTE_0 src1_sel:DWORD
	s_mov_b64 s[6:7], 0
                                        ; implicit-def: $sgpr23
	s_and_saveexec_b64 s[10:11], s[8:9]
	s_xor_b64 s[8:9], exec, s[10:11]
	s_cbranch_execnz .LBB274_157
; %bb.124:                              ;   in Loop: Header=BB274_107 Depth=1
	s_or_saveexec_b64 s[8:9], s[8:9]
	v_mov_b32_e32 v12, s23
	s_xor_b64 exec, exec, s[8:9]
	s_cbranch_execnz .LBB274_160
.LBB274_125:                            ;   in Loop: Header=BB274_107 Depth=1
	s_or_b64 exec, exec, s[8:9]
	v_mov_b32_e32 v4, v13
	s_and_saveexec_b64 s[8:9], s[6:7]
	s_cbranch_execz .LBB274_127
.LBB274_126:                            ;   in Loop: Header=BB274_107 Depth=1
	v_and_b32_e32 v12, 7, v13
	v_ffbh_u32_e32 v12, v12
	v_bfe_u32 v29, v13, 3, 4
	v_min_u32_e32 v12, 32, v12
	v_subrev_u32_e32 v30, 28, v12
	v_sub_u32_e32 v12, 29, v12
	v_cmp_eq_u32_e32 vcc, 0, v29
	s_nop 1
	v_cndmask_b32_e32 v12, v29, v12, vcc
	v_cndmask_b32_e32 v29, 0, v30, vcc
	v_lshlrev_b64 v[30:31], v29, v[4:5]
	v_lshlrev_b32_e32 v29, 7, v30
	v_lshlrev_b32_e32 v30, 8, v13
	v_lshl_add_u32 v12, v12, 10, v3
	v_and_or_b32 v12, v30, s18, v12
	v_and_or_b32 v12, v29, s19, v12
	v_cvt_f32_f16_e32 v12, v12
.LBB274_127:                            ;   in Loop: Header=BB274_107 Depth=1
	s_or_b64 exec, exec, s[8:9]
	v_lshrrev_b16_e32 v4, 8, v4
	v_cmp_lt_i16_e32 vcc, s13, v4
	s_mov_b64 s[6:7], 0
                                        ; implicit-def: $sgpr23
	s_and_saveexec_b64 s[8:9], vcc
	s_xor_b64 s[8:9], exec, s[8:9]
	s_cbranch_execnz .LBB274_161
; %bb.128:                              ;   in Loop: Header=BB274_107 Depth=1
	s_or_saveexec_b64 s[8:9], s[8:9]
	v_mov_b32_e32 v29, s23
	s_xor_b64 exec, exec, s[8:9]
	s_cbranch_execnz .LBB274_164
.LBB274_129:                            ;   in Loop: Header=BB274_107 Depth=1
	s_or_b64 exec, exec, s[8:9]
	s_and_saveexec_b64 s[8:9], s[6:7]
	s_cbranch_execz .LBB274_131
.LBB274_130:                            ;   in Loop: Header=BB274_107 Depth=1
	v_and_b32_e32 v29, 7, v4
	v_ffbh_u32_e32 v30, v29
	v_min_u32_e32 v33, 32, v30
	v_subrev_u32_e32 v30, 28, v33
	v_bfe_u32 v32, v4, 3, 4
	v_lshlrev_b64 v[30:31], v30, v[4:5]
	v_sub_u32_e32 v31, 29, v33
	v_cmp_eq_u32_e32 vcc, 0, v32
	v_and_b32_e32 v30, 7, v30
	v_lshlrev_b32_e32 v4, 8, v4
	v_cndmask_b32_e32 v31, v32, v31, vcc
	v_cndmask_b32_e32 v29, v29, v30, vcc
	v_lshl_add_u32 v30, v31, 10, v3
	v_and_or_b32 v4, v4, s18, v30
	v_lshl_or_b32 v4, v29, 7, v4
	v_cvt_f32_f16_e32 v29, v4
.LBB274_131:                            ;   in Loop: Header=BB274_107 Depth=1
	s_or_b64 exec, exec, s[8:9]
	v_lshrrev_b32_e32 v4, 16, v13
	v_cmp_gt_i16_sdwa s[8:9], v4, s13 src0_sel:BYTE_0 src1_sel:DWORD
	s_mov_b64 s[6:7], 0
                                        ; implicit-def: $sgpr23
	s_and_saveexec_b64 s[10:11], s[8:9]
	s_xor_b64 s[8:9], exec, s[10:11]
	s_cbranch_execnz .LBB274_165
; %bb.132:                              ;   in Loop: Header=BB274_107 Depth=1
	s_or_saveexec_b64 s[8:9], s[8:9]
	v_mov_b32_e32 v30, s23
	s_xor_b64 exec, exec, s[8:9]
	s_cbranch_execnz .LBB274_168
.LBB274_133:                            ;   in Loop: Header=BB274_107 Depth=1
	s_or_b64 exec, exec, s[8:9]
	s_and_saveexec_b64 s[8:9], s[6:7]
	s_cbranch_execz .LBB274_135
.LBB274_134:                            ;   in Loop: Header=BB274_107 Depth=1
	v_bfe_u32 v32, v13, 16, 3
	v_ffbh_u32_e32 v30, v32
	v_min_u32_e32 v34, 32, v30
	v_subrev_u32_e32 v30, 28, v34
	v_bfe_u32 v33, v13, 19, 4
	v_lshlrev_b64 v[30:31], v30, v[4:5]
	v_sub_u32_e32 v31, 29, v34
	v_cmp_eq_u32_e32 vcc, 0, v33
	v_and_b32_e32 v30, 7, v30
	v_lshlrev_b32_e32 v4, 8, v4
	v_cndmask_b32_e32 v31, v33, v31, vcc
	v_lshl_add_u32 v31, v31, 10, v3
	v_cndmask_b32_e32 v30, v32, v30, vcc
	v_and_or_b32 v4, v4, s18, v31
	v_lshl_or_b32 v4, v30, 7, v4
	v_cvt_f32_f16_e32 v30, v4
.LBB274_135:                            ;   in Loop: Header=BB274_107 Depth=1
	s_or_b64 exec, exec, s[8:9]
	v_lshrrev_b32_e32 v4, 24, v13
	v_cmp_lt_i16_e32 vcc, s13, v4
	s_mov_b64 s[6:7], 0
                                        ; implicit-def: $sgpr23
	s_and_saveexec_b64 s[8:9], vcc
	s_xor_b64 s[8:9], exec, s[8:9]
	s_cbranch_execnz .LBB274_169
; %bb.136:                              ;   in Loop: Header=BB274_107 Depth=1
	s_or_saveexec_b64 s[8:9], s[8:9]
	v_mov_b32_e32 v31, s23
	s_xor_b64 exec, exec, s[8:9]
	s_cbranch_execnz .LBB274_172
.LBB274_137:                            ;   in Loop: Header=BB274_107 Depth=1
	s_or_b64 exec, exec, s[8:9]
	s_and_saveexec_b64 s[8:9], s[6:7]
	s_cbranch_execz .LBB274_139
.LBB274_138:                            ;   in Loop: Header=BB274_107 Depth=1
	v_bfe_u32 v31, v13, 24, 3
	v_ffbh_u32_e32 v32, v31
	v_min_u32_e32 v34, 32, v32
	v_subrev_u32_e32 v32, 28, v34
	v_bfe_u32 v13, v13, 27, 4
	v_lshlrev_b64 v[32:33], v32, v[4:5]
	v_sub_u32_e32 v33, 29, v34
	v_cmp_eq_u32_e32 vcc, 0, v13
	v_and_b32_e32 v32, 7, v32
	v_lshlrev_b32_e32 v4, 8, v4
	v_cndmask_b32_e32 v13, v13, v33, vcc
	v_lshl_add_u32 v13, v13, 10, v3
	v_cndmask_b32_e32 v31, v31, v32, vcc
	v_and_or_b32 v4, v4, s18, v13
	v_lshl_or_b32 v4, v31, 7, v4
	v_cvt_f32_f16_e32 v31, v4
.LBB274_139:                            ;   in Loop: Header=BB274_107 Depth=1
	s_or_b64 exec, exec, s[8:9]
	s_waitcnt vmcnt(0)
	v_pk_mul_f32 v[16:17], v[10:11], v[16:17] op_sel_hi:[0,1]
	v_pk_mul_f32 v[14:15], v[10:11], v[14:15] op_sel_hi:[0,1]
	v_cvt_f16_f32_e32 v4, v17
	v_cvt_f16_f32_e32 v13, v16
	;; [unrolled: 1-line block ×4, first 2 shown]
	v_fma_mixlo_f16 v12, v10, v12, 0
	v_pack_b32_f16 v13, v13, v4
	v_cmp_eq_u32_e32 vcc, s47, v2
	v_pack_b32_f16 v14, v14, v15
	v_perm_b32 v4, v14, v13, s20
	v_perm_b32 v13, v14, v13, s21
	v_fma_mixlo_f16 v14, v10, v29, 0
	v_lshlrev_b32_e32 v14, 16, v14
	v_or_b32_sdwa v12, v14, v12 dst_sel:DWORD dst_unused:UNUSED_PAD src0_sel:DWORD src1_sel:WORD_0
	v_fma_mixlo_f16 v14, v10, v30, 0
	v_fma_mixlo_f16 v10, v10, v31, 0
	v_lshlrev_b32_e32 v10, 16, v10
	v_or_b32_sdwa v10, v10, v14 dst_sel:DWORD dst_unused:UNUSED_PAD src0_sel:DWORD src1_sel:WORD_0
	s_and_saveexec_b64 s[6:7], vcc
	s_cbranch_execz .LBB274_106
; %bb.140:                              ;   in Loop: Header=BB274_107 Depth=1
	v_add_u32_e32 v15, 1, v19
	v_lshrrev_b32_e32 v16, 16, v13
	v_cmp_gt_i32_e32 vcc, s12, v15
	v_lshrrev_b32_e32 v17, 16, v4
	v_lshrrev_b32_e32 v10, 16, v10
	v_cndmask_b32_e32 v15, 0, v16, vcc
	v_cmp_gt_i32_e32 vcc, s29, v19
	v_or_b32_e32 v16, 2, v19
	s_nop 0
	v_cndmask_b32_e32 v13, 0, v13, vcc
	v_perm_b32 v13, v15, v13, s22
	v_or_b32_e32 v15, 3, v19
	v_cmp_gt_i32_e32 vcc, s12, v15
	s_nop 1
	v_cndmask_b32_e32 v15, 0, v17, vcc
	v_cmp_gt_i32_e32 vcc, s29, v16
	v_or_b32_e32 v16, 4, v19
	v_lshrrev_b32_e32 v17, 16, v12
	v_cndmask_b32_e32 v4, 0, v4, vcc
	v_perm_b32 v4, v15, v4, s22
	v_or_b32_e32 v15, 5, v19
	v_cmp_gt_i32_e32 vcc, s12, v15
	s_nop 1
	v_cndmask_b32_e32 v15, 0, v17, vcc
	v_cmp_gt_i32_e32 vcc, s29, v16
	v_or_b32_e32 v16, 6, v19
	s_nop 0
	v_cndmask_b32_e32 v12, 0, v12, vcc
	v_perm_b32 v12, v15, v12, s22
	v_or_b32_e32 v15, 7, v19
	v_cmp_gt_i32_e32 vcc, s12, v15
	s_nop 1
	v_cndmask_b32_e32 v10, 0, v10, vcc
	v_cmp_gt_i32_e32 vcc, s29, v16
	s_nop 1
	v_cndmask_b32_e32 v14, 0, v14, vcc
	v_perm_b32 v10, v10, v14, s22
	s_branch .LBB274_106
.LBB274_141:                            ;   in Loop: Header=BB274_107 Depth=1
	v_cmp_eq_u16_sdwa s[30:31], v12, s17 src0_sel:BYTE_0 src1_sel:DWORD
	s_mov_b64 s[6:7], -1
                                        ; implicit-def: $sgpr23
	s_and_saveexec_b64 s[10:11], s[30:31]
; %bb.142:                              ;   in Loop: Header=BB274_107 Depth=1
	s_mov_b32 s23, 0x7fc02000
	s_xor_b64 s[6:7], exec, -1
; %bb.143:                              ;   in Loop: Header=BB274_107 Depth=1
	s_or_b64 exec, exec, s[10:11]
	s_and_b64 s[6:7], s[6:7], exec
	s_or_saveexec_b64 s[8:9], s[8:9]
	v_mov_b32_e32 v14, s23
	s_xor_b64 exec, exec, s[8:9]
	s_cbranch_execz .LBB274_109
.LBB274_144:                            ;   in Loop: Header=BB274_107 Depth=1
	v_cmp_ne_u16_sdwa s[10:11], v12, v5 src0_sel:BYTE_0 src1_sel:DWORD
	s_andn2_b64 s[6:7], s[6:7], exec
	s_and_b64 s[10:11], s[10:11], exec
	v_mov_b32_e32 v14, 0
	s_or_b64 s[6:7], s[6:7], s[10:11]
	s_or_b64 exec, exec, s[8:9]
	s_and_saveexec_b64 s[8:9], s[6:7]
	s_cbranch_execnz .LBB274_110
	s_branch .LBB274_111
.LBB274_145:                            ;   in Loop: Header=BB274_107 Depth=1
	v_cmp_eq_u16_e32 vcc, s17, v4
	s_mov_b64 s[6:7], -1
                                        ; implicit-def: $sgpr23
	s_and_saveexec_b64 s[10:11], vcc
; %bb.146:                              ;   in Loop: Header=BB274_107 Depth=1
	s_mov_b32 s23, 0x7fc02000
	s_xor_b64 s[6:7], exec, -1
; %bb.147:                              ;   in Loop: Header=BB274_107 Depth=1
	s_or_b64 exec, exec, s[10:11]
	s_and_b64 s[6:7], s[6:7], exec
	s_or_saveexec_b64 s[8:9], s[8:9]
	v_mov_b32_e32 v16, s23
	s_xor_b64 exec, exec, s[8:9]
	s_cbranch_execz .LBB274_113
.LBB274_148:                            ;   in Loop: Header=BB274_107 Depth=1
	v_cmp_ne_u16_e32 vcc, 0, v4
	s_andn2_b64 s[6:7], s[6:7], exec
	s_and_b64 s[10:11], vcc, exec
	v_mov_b32_e32 v16, 0
	s_or_b64 s[6:7], s[6:7], s[10:11]
	s_or_b64 exec, exec, s[8:9]
	s_and_saveexec_b64 s[8:9], s[6:7]
	s_cbranch_execnz .LBB274_114
	s_branch .LBB274_115
.LBB274_149:                            ;   in Loop: Header=BB274_107 Depth=1
	v_cmp_eq_u16_sdwa s[30:31], v4, s17 src0_sel:BYTE_0 src1_sel:DWORD
	s_mov_b64 s[6:7], -1
                                        ; implicit-def: $sgpr23
	s_and_saveexec_b64 s[10:11], s[30:31]
; %bb.150:                              ;   in Loop: Header=BB274_107 Depth=1
	s_mov_b32 s23, 0x7fc02000
	s_xor_b64 s[6:7], exec, -1
; %bb.151:                              ;   in Loop: Header=BB274_107 Depth=1
	s_or_b64 exec, exec, s[10:11]
	s_and_b64 s[6:7], s[6:7], exec
	s_or_saveexec_b64 s[8:9], s[8:9]
	v_mov_b32_e32 v15, s23
	s_xor_b64 exec, exec, s[8:9]
	s_cbranch_execz .LBB274_117
.LBB274_152:                            ;   in Loop: Header=BB274_107 Depth=1
	v_cmp_ne_u16_sdwa s[10:11], v4, v5 src0_sel:BYTE_0 src1_sel:DWORD
	s_andn2_b64 s[6:7], s[6:7], exec
	s_and_b64 s[10:11], s[10:11], exec
	v_mov_b32_e32 v15, 0
	s_or_b64 s[6:7], s[6:7], s[10:11]
	s_or_b64 exec, exec, s[8:9]
	s_and_saveexec_b64 s[8:9], s[6:7]
	s_cbranch_execnz .LBB274_118
	s_branch .LBB274_119
.LBB274_153:                            ;   in Loop: Header=BB274_107 Depth=1
	v_cmp_eq_u16_e32 vcc, s17, v4
	s_mov_b64 s[6:7], -1
                                        ; implicit-def: $sgpr23
	s_and_saveexec_b64 s[10:11], vcc
; %bb.154:                              ;   in Loop: Header=BB274_107 Depth=1
	s_mov_b32 s23, 0x7fc02000
	s_xor_b64 s[6:7], exec, -1
; %bb.155:                              ;   in Loop: Header=BB274_107 Depth=1
	s_or_b64 exec, exec, s[10:11]
	s_and_b64 s[6:7], s[6:7], exec
	s_or_saveexec_b64 s[8:9], s[8:9]
	v_mov_b32_e32 v17, s23
	s_xor_b64 exec, exec, s[8:9]
	s_cbranch_execz .LBB274_121
.LBB274_156:                            ;   in Loop: Header=BB274_107 Depth=1
	v_cmp_ne_u16_e32 vcc, 0, v4
	s_andn2_b64 s[6:7], s[6:7], exec
	s_and_b64 s[10:11], vcc, exec
	v_mov_b32_e32 v17, 0
	s_or_b64 s[6:7], s[6:7], s[10:11]
	s_or_b64 exec, exec, s[8:9]
	s_and_saveexec_b64 s[8:9], s[6:7]
	s_cbranch_execnz .LBB274_122
	s_branch .LBB274_123
.LBB274_157:                            ;   in Loop: Header=BB274_107 Depth=1
	v_cmp_eq_u16_sdwa s[30:31], v13, s17 src0_sel:BYTE_0 src1_sel:DWORD
	s_mov_b64 s[6:7], -1
                                        ; implicit-def: $sgpr23
	s_and_saveexec_b64 s[10:11], s[30:31]
; %bb.158:                              ;   in Loop: Header=BB274_107 Depth=1
	s_mov_b32 s23, 0x7fc02000
	s_xor_b64 s[6:7], exec, -1
; %bb.159:                              ;   in Loop: Header=BB274_107 Depth=1
	s_or_b64 exec, exec, s[10:11]
	s_and_b64 s[6:7], s[6:7], exec
	s_or_saveexec_b64 s[8:9], s[8:9]
	v_mov_b32_e32 v12, s23
	s_xor_b64 exec, exec, s[8:9]
	s_cbranch_execz .LBB274_125
.LBB274_160:                            ;   in Loop: Header=BB274_107 Depth=1
	v_cmp_ne_u16_sdwa s[10:11], v13, v5 src0_sel:BYTE_0 src1_sel:DWORD
	s_andn2_b64 s[6:7], s[6:7], exec
	s_and_b64 s[10:11], s[10:11], exec
	v_mov_b32_e32 v12, 0
	s_or_b64 s[6:7], s[6:7], s[10:11]
	s_or_b64 exec, exec, s[8:9]
	v_mov_b32_e32 v4, v13
	s_and_saveexec_b64 s[8:9], s[6:7]
	s_cbranch_execnz .LBB274_126
	s_branch .LBB274_127
.LBB274_161:                            ;   in Loop: Header=BB274_107 Depth=1
	v_cmp_eq_u16_e32 vcc, s17, v4
	s_mov_b64 s[6:7], -1
                                        ; implicit-def: $sgpr23
	s_and_saveexec_b64 s[10:11], vcc
; %bb.162:                              ;   in Loop: Header=BB274_107 Depth=1
	s_mov_b32 s23, 0x7fc02000
	s_xor_b64 s[6:7], exec, -1
; %bb.163:                              ;   in Loop: Header=BB274_107 Depth=1
	s_or_b64 exec, exec, s[10:11]
	s_and_b64 s[6:7], s[6:7], exec
	s_or_saveexec_b64 s[8:9], s[8:9]
	v_mov_b32_e32 v29, s23
	s_xor_b64 exec, exec, s[8:9]
	s_cbranch_execz .LBB274_129
.LBB274_164:                            ;   in Loop: Header=BB274_107 Depth=1
	v_cmp_ne_u16_e32 vcc, 0, v4
	s_andn2_b64 s[6:7], s[6:7], exec
	s_and_b64 s[10:11], vcc, exec
	v_mov_b32_e32 v29, 0
	s_or_b64 s[6:7], s[6:7], s[10:11]
	s_or_b64 exec, exec, s[8:9]
	s_and_saveexec_b64 s[8:9], s[6:7]
	s_cbranch_execnz .LBB274_130
	s_branch .LBB274_131
.LBB274_165:                            ;   in Loop: Header=BB274_107 Depth=1
	v_cmp_eq_u16_sdwa s[30:31], v4, s17 src0_sel:BYTE_0 src1_sel:DWORD
	s_mov_b64 s[6:7], -1
                                        ; implicit-def: $sgpr23
	s_and_saveexec_b64 s[10:11], s[30:31]
; %bb.166:                              ;   in Loop: Header=BB274_107 Depth=1
	s_mov_b32 s23, 0x7fc02000
	s_xor_b64 s[6:7], exec, -1
; %bb.167:                              ;   in Loop: Header=BB274_107 Depth=1
	s_or_b64 exec, exec, s[10:11]
	s_and_b64 s[6:7], s[6:7], exec
	s_or_saveexec_b64 s[8:9], s[8:9]
	v_mov_b32_e32 v30, s23
	s_xor_b64 exec, exec, s[8:9]
	s_cbranch_execz .LBB274_133
.LBB274_168:                            ;   in Loop: Header=BB274_107 Depth=1
	v_cmp_ne_u16_sdwa s[10:11], v4, v5 src0_sel:BYTE_0 src1_sel:DWORD
	s_andn2_b64 s[6:7], s[6:7], exec
	s_and_b64 s[10:11], s[10:11], exec
	v_mov_b32_e32 v30, 0
	s_or_b64 s[6:7], s[6:7], s[10:11]
	s_or_b64 exec, exec, s[8:9]
	s_and_saveexec_b64 s[8:9], s[6:7]
	s_cbranch_execnz .LBB274_134
	s_branch .LBB274_135
.LBB274_169:                            ;   in Loop: Header=BB274_107 Depth=1
	v_cmp_eq_u16_e32 vcc, s17, v4
	s_mov_b64 s[6:7], -1
                                        ; implicit-def: $sgpr23
	s_and_saveexec_b64 s[10:11], vcc
; %bb.170:                              ;   in Loop: Header=BB274_107 Depth=1
	s_mov_b32 s23, 0x7fc02000
	s_xor_b64 s[6:7], exec, -1
; %bb.171:                              ;   in Loop: Header=BB274_107 Depth=1
	s_or_b64 exec, exec, s[10:11]
	s_and_b64 s[6:7], s[6:7], exec
	s_or_saveexec_b64 s[8:9], s[8:9]
	v_mov_b32_e32 v31, s23
	s_xor_b64 exec, exec, s[8:9]
	s_cbranch_execz .LBB274_137
.LBB274_172:                            ;   in Loop: Header=BB274_107 Depth=1
	v_cmp_ne_u16_e32 vcc, 0, v4
	s_andn2_b64 s[6:7], s[6:7], exec
	s_and_b64 s[10:11], vcc, exec
	v_mov_b32_e32 v31, 0
	s_or_b64 s[6:7], s[6:7], s[10:11]
	s_or_b64 exec, exec, s[8:9]
	s_and_saveexec_b64 s[8:9], s[6:7]
	s_cbranch_execnz .LBB274_138
	s_branch .LBB274_139
.LBB274_173:
	s_or_b64 exec, exec, s[4:5]
.LBB274_174:
	s_or_b64 exec, exec, s[2:3]
	ds_bpermute_b32 v1, v18, v20
	v_and_b32_e32 v2, 0x3c1, v0
	v_cmp_eq_u32_e32 vcc, 64, v2
	s_waitcnt lgkmcnt(0)
	s_barrier
	v_add_f32_e32 v1, v20, v1
	s_and_saveexec_b64 s[2:3], vcc
	s_cbranch_execz .LBB274_176
; %bb.175:
	v_mov_b32_e32 v3, 0x50
	v_lshl_add_u32 v3, v11, 1, v3
	ds_write_b32 v3, v1
.LBB274_176:
	s_or_b64 exec, exec, s[2:3]
	v_cmp_eq_u32_e32 vcc, 0, v2
	s_waitcnt lgkmcnt(0)
	s_barrier
	s_and_saveexec_b64 s[2:3], vcc
	s_cbranch_execz .LBB274_178
; %bb.177:
	v_mov_b32_e32 v2, 0x50
	v_lshl_add_u32 v2, v0, 1, v2
	ds_read_b32 v2, v2
	s_waitcnt lgkmcnt(0)
	v_add_f32_e32 v1, v1, v2
.LBB274_178:
	s_or_b64 exec, exec, s[2:3]
	s_barrier
	s_and_saveexec_b64 s[2:3], vcc
	s_cbranch_execz .LBB274_180
; %bb.179:
	s_lshl_b32 s0, s0, 5
	s_ashr_i32 s1, s0, 31
	s_lshl_b64 s[0:1], s[0:1], 1
	s_add_u32 s2, s26, s0
	s_mul_i32 s0, s25, s24
	s_addc_u32 s3, s27, s1
	s_ashr_i32 s1, s0, 31
	s_lshl_b64 s[0:1], s[0:1], 1
	s_add_u32 s2, s2, s0
	s_addc_u32 s3, s3, s1
	s_ashr_i32 s17, s16, 31
	s_lshl_b64 s[0:1], s[16:17], 1
	s_add_u32 s0, s2, s0
	s_addc_u32 s1, s3, s1
	;;#ASMSTART
	v_cvt_f16_f32 v1, v1;

	;;#ASMEND
	global_store_short v0, v1, s[0:1]
.LBB274_180:
	s_endpgm
	.section	.rodata,"a",@progbits
	.p2align	6, 0x0
	.amdhsa_kernel _ZN4vllm25paged_attention_v2_kernelIthLi32ELi16ELi128ELNS_18Fp8KVCacheDataTypeE1ELb0ELi512EEEvPfS2_PT_PKS3_PKT0_S9_ifPKiSB_iPKfiiiSD_SD_iiiii
		.amdhsa_group_segment_fixed_size 80
		.amdhsa_private_segment_fixed_size 0
		.amdhsa_kernarg_size 400
		.amdhsa_user_sgpr_count 2
		.amdhsa_user_sgpr_dispatch_ptr 0
		.amdhsa_user_sgpr_queue_ptr 0
		.amdhsa_user_sgpr_kernarg_segment_ptr 1
		.amdhsa_user_sgpr_dispatch_id 0
		.amdhsa_user_sgpr_kernarg_preload_length 0
		.amdhsa_user_sgpr_kernarg_preload_offset 0
		.amdhsa_user_sgpr_private_segment_size 0
		.amdhsa_uses_dynamic_stack 0
		.amdhsa_enable_private_segment 0
		.amdhsa_system_sgpr_workgroup_id_x 1
		.amdhsa_system_sgpr_workgroup_id_y 1
		.amdhsa_system_sgpr_workgroup_id_z 1
		.amdhsa_system_sgpr_workgroup_info 0
		.amdhsa_system_vgpr_workitem_id 0
		.amdhsa_next_free_vgpr 35
		.amdhsa_next_free_sgpr 56
		.amdhsa_accum_offset 36
		.amdhsa_reserve_vcc 1
		.amdhsa_float_round_mode_32 0
		.amdhsa_float_round_mode_16_64 0
		.amdhsa_float_denorm_mode_32 3
		.amdhsa_float_denorm_mode_16_64 3
		.amdhsa_dx10_clamp 1
		.amdhsa_ieee_mode 1
		.amdhsa_fp16_overflow 0
		.amdhsa_tg_split 0
		.amdhsa_exception_fp_ieee_invalid_op 0
		.amdhsa_exception_fp_denorm_src 0
		.amdhsa_exception_fp_ieee_div_zero 0
		.amdhsa_exception_fp_ieee_overflow 0
		.amdhsa_exception_fp_ieee_underflow 0
		.amdhsa_exception_fp_ieee_inexact 0
		.amdhsa_exception_int_div_zero 0
	.end_amdhsa_kernel
	.section	.text._ZN4vllm25paged_attention_v2_kernelIthLi32ELi16ELi128ELNS_18Fp8KVCacheDataTypeE1ELb0ELi512EEEvPfS2_PT_PKS3_PKT0_S9_ifPKiSB_iPKfiiiSD_SD_iiiii,"axG",@progbits,_ZN4vllm25paged_attention_v2_kernelIthLi32ELi16ELi128ELNS_18Fp8KVCacheDataTypeE1ELb0ELi512EEEvPfS2_PT_PKS3_PKT0_S9_ifPKiSB_iPKfiiiSD_SD_iiiii,comdat
.Lfunc_end274:
	.size	_ZN4vllm25paged_attention_v2_kernelIthLi32ELi16ELi128ELNS_18Fp8KVCacheDataTypeE1ELb0ELi512EEEvPfS2_PT_PKS3_PKT0_S9_ifPKiSB_iPKfiiiSD_SD_iiiii, .Lfunc_end274-_ZN4vllm25paged_attention_v2_kernelIthLi32ELi16ELi128ELNS_18Fp8KVCacheDataTypeE1ELb0ELi512EEEvPfS2_PT_PKS3_PKT0_S9_ifPKiSB_iPKfiiiSD_SD_iiiii
                                        ; -- End function
	.section	.AMDGPU.csdata,"",@progbits
; Kernel info:
; codeLenInByte = 7960
; NumSgprs: 62
; NumVgprs: 35
; NumAgprs: 0
; TotalNumVgprs: 35
; ScratchSize: 0
; MemoryBound: 0
; FloatMode: 240
; IeeeMode: 1
; LDSByteSize: 80 bytes/workgroup (compile time only)
; SGPRBlocks: 7
; VGPRBlocks: 4
; NumSGPRsForWavesPerEU: 62
; NumVGPRsForWavesPerEU: 35
; AccumOffset: 36
; Occupancy: 8
; WaveLimiterHint : 1
; COMPUTE_PGM_RSRC2:SCRATCH_EN: 0
; COMPUTE_PGM_RSRC2:USER_SGPR: 2
; COMPUTE_PGM_RSRC2:TRAP_HANDLER: 0
; COMPUTE_PGM_RSRC2:TGID_X_EN: 1
; COMPUTE_PGM_RSRC2:TGID_Y_EN: 1
; COMPUTE_PGM_RSRC2:TGID_Z_EN: 1
; COMPUTE_PGM_RSRC2:TIDIG_COMP_CNT: 0
; COMPUTE_PGM_RSRC3_GFX90A:ACCUM_OFFSET: 8
; COMPUTE_PGM_RSRC3_GFX90A:TG_SPLIT: 0
	.section	.text._ZN4vllm25paged_attention_v2_kernelIthLi64ELi16ELi128ELNS_18Fp8KVCacheDataTypeE1ELb0ELi512EEEvPfS2_PT_PKS3_PKT0_S9_ifPKiSB_iPKfiiiSD_SD_iiiii,"axG",@progbits,_ZN4vllm25paged_attention_v2_kernelIthLi64ELi16ELi128ELNS_18Fp8KVCacheDataTypeE1ELb0ELi512EEEvPfS2_PT_PKS3_PKT0_S9_ifPKiSB_iPKfiiiSD_SD_iiiii,comdat
	.protected	_ZN4vllm25paged_attention_v2_kernelIthLi64ELi16ELi128ELNS_18Fp8KVCacheDataTypeE1ELb0ELi512EEEvPfS2_PT_PKS3_PKT0_S9_ifPKiSB_iPKfiiiSD_SD_iiiii ; -- Begin function _ZN4vllm25paged_attention_v2_kernelIthLi64ELi16ELi128ELNS_18Fp8KVCacheDataTypeE1ELb0ELi512EEEvPfS2_PT_PKS3_PKT0_S9_ifPKiSB_iPKfiiiSD_SD_iiiii
	.globl	_ZN4vllm25paged_attention_v2_kernelIthLi64ELi16ELi128ELNS_18Fp8KVCacheDataTypeE1ELb0ELi512EEEvPfS2_PT_PKS3_PKT0_S9_ifPKiSB_iPKfiiiSD_SD_iiiii
	.p2align	8
	.type	_ZN4vllm25paged_attention_v2_kernelIthLi64ELi16ELi128ELNS_18Fp8KVCacheDataTypeE1ELb0ELi512EEEvPfS2_PT_PKS3_PKT0_S9_ifPKiSB_iPKfiiiSD_SD_iiiii,@function
_ZN4vllm25paged_attention_v2_kernelIthLi64ELi16ELi128ELNS_18Fp8KVCacheDataTypeE1ELb0ELi512EEEvPfS2_PT_PKS3_PKT0_S9_ifPKiSB_iPKfiiiSD_SD_iiiii: ; @_ZN4vllm25paged_attention_v2_kernelIthLi64ELi16ELi128ELNS_18Fp8KVCacheDataTypeE1ELb0ELi512EEEvPfS2_PT_PKS3_PKT0_S9_ifPKiSB_iPKfiiiSD_SD_iiiii
; %bb.0:
	s_load_dwordx2 s[6:7], s[0:1], 0x40
	s_mov_b32 s28, s3
	s_ashr_i32 s29, s3, 31
	s_lshl_b64 s[8:9], s[28:29], 2
	s_waitcnt lgkmcnt(0)
	s_add_u32 s6, s6, s8
	s_addc_u32 s7, s7, s9
	s_load_dword s29, s[6:7], 0x0
	s_lshl_b32 s46, s4, 9
	s_waitcnt lgkmcnt(0)
	s_cmp_ge_i32 s46, s29
	s_cbranch_scc1 .LBB275_314
; %bb.1:
	s_load_dword s5, s[0:1], 0x90
	s_load_dwordx2 s[10:11], s[0:1], 0x30
	s_waitcnt lgkmcnt(0)
	s_abs_i32 s7, s5
	s_abs_i32 s3, s10
	v_cvt_f32_u32_e32 v1, s3
	s_sub_i32 s8, 0, s3
	s_xor_b32 s6, s5, s10
	s_ashr_i32 s6, s6, 31
	v_rcp_iflag_f32_e32 v1, v1
	s_nop 0
	v_mul_f32_e32 v1, 0x4f7ffffe, v1
	v_cvt_u32_f32_e32 v1, v1
	s_nop 0
	v_readfirstlane_b32 s9, v1
	s_mul_i32 s8, s8, s9
	s_mul_hi_u32 s8, s9, s8
	s_add_i32 s9, s9, s8
	s_mul_hi_u32 s8, s7, s9
	s_mul_i32 s9, s8, s3
	s_sub_i32 s7, s7, s9
	s_add_i32 s10, s8, 1
	s_sub_i32 s9, s7, s3
	s_cmp_ge_u32 s7, s3
	s_cselect_b32 s8, s10, s8
	s_cselect_b32 s7, s9, s7
	s_add_i32 s9, s8, 1
	s_cmp_ge_u32 s7, s3
	s_cselect_b32 s3, s9, s8
	s_xor_b32 s3, s3, s6
	s_sub_i32 s14, s3, s6
	s_abs_i32 s8, s14
	v_cvt_f32_u32_e32 v1, s8
	s_load_dwordx2 s[6:7], s[0:1], 0x50
	s_sub_i32 s3, 0, s8
	s_abs_i32 s9, s2
	v_rcp_iflag_f32_e32 v1, v1
	s_mov_b32 s10, 0
	v_mul_f32_e32 v1, 0x4f7ffffe, v1
	v_cvt_u32_f32_e32 v1, v1
	s_nop 0
	v_readfirstlane_b32 s12, v1
	s_mul_i32 s3, s3, s12
	s_mul_hi_u32 s3, s12, s3
	s_add_i32 s12, s12, s3
	s_waitcnt lgkmcnt(0)
	s_cmp_eq_u64 s[6:7], 0
	s_mul_hi_u32 s12, s9, s12
	s_cbranch_scc1 .LBB275_3
; %bb.2:
	s_ashr_i32 s3, s2, 31
	s_lshl_b64 s[16:17], s[2:3], 2
	s_add_u32 s6, s6, s16
	s_addc_u32 s7, s7, s17
	s_load_dword s10, s[6:7], 0x0
.LBB275_3:
	s_load_dwordx4 s[16:19], s[0:1], 0x58
	s_ashr_i32 s13, s2, 31
	s_ashr_i32 s14, s14, 31
	v_and_b32_e32 v9, 3, v0
	s_lshl_b32 s24, s2, 6
	v_cmp_gt_u32_e32 vcc, 32, v0
	s_and_saveexec_b64 s[6:7], vcc
	s_cbranch_execz .LBB275_5
; %bb.4:
	s_load_dwordx2 s[20:21], s[0:1], 0x18
	s_waitcnt lgkmcnt(0)
	s_mul_i32 s22, s28, s16
	s_ashr_i32 s23, s22, 31
	s_lshl_b64 s[22:23], s[22:23], 1
	v_lshlrev_b32_e32 v1, 2, v0
	s_add_u32 s3, s20, s22
	s_addc_u32 s15, s21, s23
	s_ashr_i32 s25, s24, 31
	s_lshl_b64 s[20:21], s[24:25], 1
	s_add_u32 s20, s3, s20
	s_addc_u32 s21, s15, s21
	global_load_dword v1, v1, s[20:21]
	v_and_b32_e32 v2, 0x3fc, v0
	v_lshl_add_u32 v2, v9, 5, v2
	s_waitcnt vmcnt(0)
	ds_write_b32 v2, v1
.LBB275_5:
	s_or_b64 exec, exec, s[6:7]
	s_add_i32 s3, s29, 15
	s_ashr_i32 s6, s3, 31
	s_lshr_b32 s6, s6, 28
	s_add_i32 s3, s3, s6
	s_waitcnt lgkmcnt(0)
	s_ashr_i32 s16, s3, 4
	s_lshl_b32 s3, s4, 5
	s_mul_i32 s7, s12, s8
	s_add_i32 s6, s3, 32
	s_sub_i32 s7, s9, s7
	s_min_i32 s33, s6, s16
	s_xor_b32 s6, s13, s14
	s_add_i32 s9, s12, 1
	s_sub_i32 s13, s7, s8
	s_cmp_ge_u32 s7, s8
	s_cselect_b32 s9, s9, s12
	s_cselect_b32 s7, s13, s7
	s_add_i32 s12, s9, 1
	s_cmp_ge_u32 s7, s8
	s_load_dwordx2 s[30:31], s[0:1], 0x38
	s_load_dword s8, s[0:1], 0x48
	v_lshrrev_b32_e32 v1, 6, v0
	s_cselect_b32 s7, s12, s9
	s_xor_b32 s7, s7, s6
	v_or_b32_e32 v2, s3, v1
	s_waitcnt lgkmcnt(0)
	s_mul_i32 s34, s28, s8
	s_sub_i32 s47, s7, s6
	s_ashr_i32 s35, s34, 31
	v_cmp_gt_i32_e64 s[8:9], s33, v2
	v_cmp_le_i32_e32 vcc, s33, v2
	v_mbcnt_lo_u32_b32 v12, -1, 0
	s_barrier
	s_waitcnt lgkmcnt(0)
                                        ; implicit-def: $sgpr19
                                        ; implicit-def: $vgpr16
                                        ; implicit-def: $vgpr4
	s_and_saveexec_b64 s[6:7], vcc
	s_xor_b64 s[6:7], exec, s[6:7]
; %bb.6:
	v_mbcnt_hi_u32_b32 v16, -1, v12
	v_and_b32_e32 v3, 64, v16
	v_add_u32_e32 v4, 64, v3
	s_mov_b32 s19, 0xff7fffff
                                        ; implicit-def: $vgpr9
                                        ; implicit-def: $vgpr12
; %bb.7:
	s_or_saveexec_b64 s[38:39], s[6:7]
	s_load_dwordx4 s[20:23], s[0:1], 0x0
	s_load_dwordx2 s[26:27], s[0:1], 0x10
	s_load_dword s25, s[0:1], 0x98
	s_load_dwordx2 s[36:37], s[0:1], 0x28
	s_load_dwordx4 s[12:15], s[0:1], 0x68
	v_mov_b32_e32 v15, s19
	s_mul_i32 s47, s47, s18
	v_ashrrev_i32_e32 v3, 31, v2
	v_lshlrev_b32_e32 v14, 4, v1
	s_xor_b64 exec, exec, s[38:39]
	s_cbranch_execz .LBB275_141
; %bb.8:
	s_load_dwordx2 s[0:1], s[0:1], 0x20
	s_ashr_i32 s6, s47, 31
	v_bfe_u32 v10, v0, 2, 4
	v_lshlrev_b32_e32 v4, 4, v10
	v_mov_b32_e32 v5, 0
	s_waitcnt lgkmcnt(0)
	s_add_u32 s0, s0, s47
	s_addc_u32 s1, s1, s6
	v_lshl_add_u64 v[6:7], s[0:1], 0, v[4:5]
	s_sub_i32 s49, 1, s29
	s_lshl_b64 s[0:1], s[34:35], 2
	v_lshlrev_b32_e32 v4, 2, v10
	s_add_u32 s0, s30, s0
	v_lshl_or_b32 v4, v1, 6, v4
	s_addc_u32 s1, s31, s1
	s_mov_b32 s48, s17
	v_lshlrev_b32_e32 v8, 1, v9
	v_lshlrev_b32_e32 v17, 5, v9
	v_cmp_eq_u32_e32 vcc, 0, v9
	v_cmp_neq_f32_e64 s[6:7], s10, 0
	v_mov_b32_e32 v9, v5
	v_add3_u32 v18, s46, v14, v10
	v_add_u32_e32 v19, 0x90, v4
	v_lshl_add_u64 v[10:11], v[2:3], 2, s[0:1]
	s_mov_b64 s[18:19], 0
	v_mov_b32_e32 v15, 0xff7fffff
	s_movk_i32 s50, 0x7f
	s_movk_i32 s51, 0x80
	s_mov_b32 s52, 0x8000
	v_mbcnt_hi_u32_b32 v16, -1, v12
	v_mov_b32_e32 v20, 0x1c00
	v_mov_b32_e32 v21, v2
	s_branch .LBB275_10
.LBB275_9:                              ;   in Loop: Header=BB275_10 Depth=1
	s_or_b64 exec, exec, s[40:41]
	v_add_u32_e32 v21, 2, v21
	v_cmp_le_i32_e64 s[0:1], s33, v21
	v_add_u32_e32 v18, 32, v18
	v_add_u32_e32 v19, 0x80, v19
	s_or_b64 s[18:19], s[0:1], s[18:19]
	v_lshl_add_u64 v[10:11], v[10:11], 0, 8
	s_andn2_b64 exec, exec, s[18:19]
	s_cbranch_execz .LBB275_140
.LBB275_10:                             ; =>This Inner Loop Header: Depth=1
	global_load_dword v4, v[10:11], off
                                        ; implicit-def: $sgpr44
	s_waitcnt vmcnt(0) lgkmcnt(0)
	v_mad_i64_i32 v[12:13], s[0:1], v4, s48, v[6:7]
	v_lshl_add_u64 v[12:13], v[12:13], 0, v[8:9]
	global_load_ushort v4, v[12:13], off
	global_load_dword v22, v5, s[12:13]
	s_mov_b64 s[0:1], 0
	s_waitcnt vmcnt(1)
	v_cmp_gt_i16_sdwa s[40:41], v4, s50 src0_sel:BYTE_0 src1_sel:DWORD
	s_and_saveexec_b64 s[42:43], s[40:41]
	s_xor_b64 s[40:41], exec, s[42:43]
	s_cbranch_execnz .LBB275_76
; %bb.11:                               ;   in Loop: Header=BB275_10 Depth=1
	s_or_saveexec_b64 s[40:41], s[40:41]
	v_mov_b32_e32 v23, s44
	s_xor_b64 exec, exec, s[40:41]
	s_cbranch_execnz .LBB275_79
.LBB275_12:                             ;   in Loop: Header=BB275_10 Depth=1
	s_or_b64 exec, exec, s[40:41]
	v_and_b32_e32 v4, 0xffff, v4
	s_and_saveexec_b64 s[40:41], s[0:1]
	s_cbranch_execz .LBB275_14
.LBB275_13:                             ;   in Loop: Header=BB275_10 Depth=1
	v_and_b32_e32 v23, 7, v4
	v_ffbh_u32_e32 v24, v23
	v_min_u32_e32 v27, 32, v24
	v_subrev_u32_e32 v24, 28, v27
	v_bfe_u32 v26, v4, 3, 4
	v_lshlrev_b64 v[24:25], v24, v[4:5]
	v_sub_u32_e32 v25, 29, v27
	v_cmp_eq_u32_e64 s[0:1], 0, v26
	v_and_b32_e32 v24, 7, v24
	s_nop 0
	v_cndmask_b32_e64 v25, v26, v25, s[0:1]
	v_cndmask_b32_e64 v23, v23, v24, s[0:1]
	v_lshlrev_b32_e32 v24, 8, v4
	v_lshl_add_u32 v25, v25, 10, v20
	v_and_or_b32 v24, v24, s52, v25
	v_lshl_or_b32 v23, v23, 7, v24
	v_cvt_f32_f16_e32 v23, v23
.LBB275_14:                             ;   in Loop: Header=BB275_10 Depth=1
	s_or_b64 exec, exec, s[40:41]
	v_lshrrev_b16_e32 v4, 8, v4
	v_cmp_lt_i16_e64 s[0:1], s50, v4
	s_mov_b64 s[40:41], 0
                                        ; implicit-def: $sgpr53
	s_and_saveexec_b64 s[42:43], s[0:1]
	s_xor_b64 s[42:43], exec, s[42:43]
	s_cbranch_execnz .LBB275_80
; %bb.15:                               ;   in Loop: Header=BB275_10 Depth=1
	s_or_saveexec_b64 s[42:43], s[42:43]
	v_mov_b32_e32 v24, s53
	s_xor_b64 exec, exec, s[42:43]
	s_cbranch_execnz .LBB275_83
.LBB275_16:                             ;   in Loop: Header=BB275_10 Depth=1
	s_or_b64 exec, exec, s[42:43]
	s_and_saveexec_b64 s[42:43], s[40:41]
	s_cbranch_execz .LBB275_18
.LBB275_17:                             ;   in Loop: Header=BB275_10 Depth=1
	v_and_b32_e32 v26, 7, v4
	v_ffbh_u32_e32 v24, v26
	v_min_u32_e32 v28, 32, v24
	v_subrev_u32_e32 v24, 28, v28
	v_bfe_u32 v27, v4, 3, 4
	v_lshlrev_b64 v[24:25], v24, v[4:5]
	v_sub_u32_e32 v25, 29, v28
	v_cmp_eq_u32_e64 s[0:1], 0, v27
	v_and_b32_e32 v24, 7, v24
	v_lshlrev_b32_e32 v4, 8, v4
	v_cndmask_b32_e64 v25, v27, v25, s[0:1]
	v_lshl_add_u32 v25, v25, 10, v20
	v_cndmask_b32_e64 v24, v26, v24, s[0:1]
	v_and_or_b32 v4, v4, s52, v25
	v_lshl_or_b32 v4, v24, 7, v4
	v_cvt_f32_f16_e32 v24, v4
.LBB275_18:                             ;   in Loop: Header=BB275_10 Depth=1
	s_or_b64 exec, exec, s[42:43]
	global_load_ushort v4, v[12:13], off offset:8
	s_mov_b64 s[0:1], 0
                                        ; implicit-def: $sgpr44
	s_waitcnt vmcnt(0)
	v_cmp_gt_i16_sdwa s[40:41], v4, s50 src0_sel:BYTE_0 src1_sel:DWORD
	s_and_saveexec_b64 s[42:43], s[40:41]
	s_xor_b64 s[40:41], exec, s[42:43]
	s_cbranch_execnz .LBB275_84
; %bb.19:                               ;   in Loop: Header=BB275_10 Depth=1
	s_or_saveexec_b64 s[40:41], s[40:41]
	v_mov_b32_e32 v25, s44
	s_xor_b64 exec, exec, s[40:41]
	s_cbranch_execnz .LBB275_87
.LBB275_20:                             ;   in Loop: Header=BB275_10 Depth=1
	s_or_b64 exec, exec, s[40:41]
	v_and_b32_e32 v4, 0xffff, v4
	s_and_saveexec_b64 s[40:41], s[0:1]
	s_cbranch_execz .LBB275_22
.LBB275_21:                             ;   in Loop: Header=BB275_10 Depth=1
	v_and_b32_e32 v25, 7, v4
	v_ffbh_u32_e32 v26, v25
	v_min_u32_e32 v29, 32, v26
	v_subrev_u32_e32 v26, 28, v29
	v_bfe_u32 v28, v4, 3, 4
	v_lshlrev_b64 v[26:27], v26, v[4:5]
	v_sub_u32_e32 v27, 29, v29
	v_cmp_eq_u32_e64 s[0:1], 0, v28
	v_and_b32_e32 v26, 7, v26
	s_nop 0
	v_cndmask_b32_e64 v27, v28, v27, s[0:1]
	v_cndmask_b32_e64 v25, v25, v26, s[0:1]
	v_lshlrev_b32_e32 v26, 8, v4
	v_lshl_add_u32 v27, v27, 10, v20
	v_and_or_b32 v26, v26, s52, v27
	v_lshl_or_b32 v25, v25, 7, v26
	v_cvt_f32_f16_e32 v25, v25
.LBB275_22:                             ;   in Loop: Header=BB275_10 Depth=1
	s_or_b64 exec, exec, s[40:41]
	v_lshrrev_b16_e32 v4, 8, v4
	v_cmp_lt_i16_e64 s[0:1], s50, v4
	s_mov_b64 s[40:41], 0
                                        ; implicit-def: $sgpr53
	s_and_saveexec_b64 s[42:43], s[0:1]
	s_xor_b64 s[42:43], exec, s[42:43]
	s_cbranch_execnz .LBB275_88
; %bb.23:                               ;   in Loop: Header=BB275_10 Depth=1
	s_or_saveexec_b64 s[42:43], s[42:43]
	v_mov_b32_e32 v26, s53
	s_xor_b64 exec, exec, s[42:43]
	s_cbranch_execnz .LBB275_91
.LBB275_24:                             ;   in Loop: Header=BB275_10 Depth=1
	s_or_b64 exec, exec, s[42:43]
	s_and_saveexec_b64 s[42:43], s[40:41]
	s_cbranch_execz .LBB275_26
.LBB275_25:                             ;   in Loop: Header=BB275_10 Depth=1
	v_and_b32_e32 v28, 7, v4
	v_ffbh_u32_e32 v26, v28
	v_min_u32_e32 v30, 32, v26
	v_subrev_u32_e32 v26, 28, v30
	v_bfe_u32 v29, v4, 3, 4
	v_lshlrev_b64 v[26:27], v26, v[4:5]
	v_sub_u32_e32 v27, 29, v30
	v_cmp_eq_u32_e64 s[0:1], 0, v29
	v_and_b32_e32 v26, 7, v26
	v_lshlrev_b32_e32 v4, 8, v4
	v_cndmask_b32_e64 v27, v29, v27, s[0:1]
	v_lshl_add_u32 v27, v27, 10, v20
	v_cndmask_b32_e64 v26, v28, v26, s[0:1]
	v_and_or_b32 v4, v4, s52, v27
	v_lshl_or_b32 v4, v26, 7, v4
	v_cvt_f32_f16_e32 v26, v4
.LBB275_26:                             ;   in Loop: Header=BB275_10 Depth=1
	s_or_b64 exec, exec, s[42:43]
	global_load_ushort v4, v[12:13], off offset:256
	s_mov_b64 s[0:1], 0
                                        ; implicit-def: $sgpr44
	s_waitcnt vmcnt(0)
	v_cmp_gt_i16_sdwa s[40:41], v4, s50 src0_sel:BYTE_0 src1_sel:DWORD
	s_and_saveexec_b64 s[42:43], s[40:41]
	s_xor_b64 s[40:41], exec, s[42:43]
	s_cbranch_execnz .LBB275_92
; %bb.27:                               ;   in Loop: Header=BB275_10 Depth=1
	s_or_saveexec_b64 s[40:41], s[40:41]
	v_mov_b32_e32 v27, s44
	s_xor_b64 exec, exec, s[40:41]
	s_cbranch_execnz .LBB275_95
.LBB275_28:                             ;   in Loop: Header=BB275_10 Depth=1
	s_or_b64 exec, exec, s[40:41]
	v_and_b32_e32 v4, 0xffff, v4
	s_and_saveexec_b64 s[40:41], s[0:1]
	s_cbranch_execz .LBB275_30
.LBB275_29:                             ;   in Loop: Header=BB275_10 Depth=1
	v_and_b32_e32 v27, 7, v4
	v_ffbh_u32_e32 v28, v27
	v_min_u32_e32 v31, 32, v28
	v_subrev_u32_e32 v28, 28, v31
	v_bfe_u32 v30, v4, 3, 4
	v_lshlrev_b64 v[28:29], v28, v[4:5]
	v_sub_u32_e32 v29, 29, v31
	v_cmp_eq_u32_e64 s[0:1], 0, v30
	v_and_b32_e32 v28, 7, v28
	s_nop 0
	v_cndmask_b32_e64 v29, v30, v29, s[0:1]
	v_cndmask_b32_e64 v27, v27, v28, s[0:1]
	v_lshlrev_b32_e32 v28, 8, v4
	v_lshl_add_u32 v29, v29, 10, v20
	v_and_or_b32 v28, v28, s52, v29
	v_lshl_or_b32 v27, v27, 7, v28
	v_cvt_f32_f16_e32 v27, v27
.LBB275_30:                             ;   in Loop: Header=BB275_10 Depth=1
	s_or_b64 exec, exec, s[40:41]
	v_lshrrev_b16_e32 v4, 8, v4
	v_cmp_lt_i16_e64 s[0:1], s50, v4
	s_mov_b64 s[40:41], 0
                                        ; implicit-def: $sgpr53
	s_and_saveexec_b64 s[42:43], s[0:1]
	s_xor_b64 s[42:43], exec, s[42:43]
	s_cbranch_execnz .LBB275_96
; %bb.31:                               ;   in Loop: Header=BB275_10 Depth=1
	s_or_saveexec_b64 s[42:43], s[42:43]
	v_mov_b32_e32 v28, s53
	s_xor_b64 exec, exec, s[42:43]
	s_cbranch_execnz .LBB275_99
.LBB275_32:                             ;   in Loop: Header=BB275_10 Depth=1
	s_or_b64 exec, exec, s[42:43]
	s_and_saveexec_b64 s[42:43], s[40:41]
	s_cbranch_execz .LBB275_34
.LBB275_33:                             ;   in Loop: Header=BB275_10 Depth=1
	v_and_b32_e32 v30, 7, v4
	v_ffbh_u32_e32 v28, v30
	v_min_u32_e32 v32, 32, v28
	v_subrev_u32_e32 v28, 28, v32
	v_bfe_u32 v31, v4, 3, 4
	v_lshlrev_b64 v[28:29], v28, v[4:5]
	v_sub_u32_e32 v29, 29, v32
	v_cmp_eq_u32_e64 s[0:1], 0, v31
	v_and_b32_e32 v28, 7, v28
	v_lshlrev_b32_e32 v4, 8, v4
	v_cndmask_b32_e64 v29, v31, v29, s[0:1]
	v_lshl_add_u32 v29, v29, 10, v20
	v_cndmask_b32_e64 v28, v30, v28, s[0:1]
	v_and_or_b32 v4, v4, s52, v29
	v_lshl_or_b32 v4, v28, 7, v4
	v_cvt_f32_f16_e32 v28, v4
.LBB275_34:                             ;   in Loop: Header=BB275_10 Depth=1
	s_or_b64 exec, exec, s[42:43]
	global_load_ushort v4, v[12:13], off offset:264
	s_mov_b64 s[0:1], 0
                                        ; implicit-def: $sgpr44
	s_waitcnt vmcnt(0)
	v_cmp_gt_i16_sdwa s[40:41], v4, s50 src0_sel:BYTE_0 src1_sel:DWORD
	s_and_saveexec_b64 s[42:43], s[40:41]
	s_xor_b64 s[40:41], exec, s[42:43]
	s_cbranch_execnz .LBB275_100
; %bb.35:                               ;   in Loop: Header=BB275_10 Depth=1
	s_or_saveexec_b64 s[40:41], s[40:41]
	v_mov_b32_e32 v29, s44
	s_xor_b64 exec, exec, s[40:41]
	s_cbranch_execnz .LBB275_103
.LBB275_36:                             ;   in Loop: Header=BB275_10 Depth=1
	s_or_b64 exec, exec, s[40:41]
	v_and_b32_e32 v4, 0xffff, v4
	s_and_saveexec_b64 s[40:41], s[0:1]
	s_cbranch_execz .LBB275_38
.LBB275_37:                             ;   in Loop: Header=BB275_10 Depth=1
	v_and_b32_e32 v29, 7, v4
	v_ffbh_u32_e32 v30, v29
	v_min_u32_e32 v33, 32, v30
	v_subrev_u32_e32 v30, 28, v33
	v_bfe_u32 v32, v4, 3, 4
	v_lshlrev_b64 v[30:31], v30, v[4:5]
	v_sub_u32_e32 v31, 29, v33
	v_cmp_eq_u32_e64 s[0:1], 0, v32
	v_and_b32_e32 v30, 7, v30
	s_nop 0
	v_cndmask_b32_e64 v31, v32, v31, s[0:1]
	v_cndmask_b32_e64 v29, v29, v30, s[0:1]
	v_lshlrev_b32_e32 v30, 8, v4
	v_lshl_add_u32 v31, v31, 10, v20
	v_and_or_b32 v30, v30, s52, v31
	v_lshl_or_b32 v29, v29, 7, v30
	v_cvt_f32_f16_e32 v29, v29
.LBB275_38:                             ;   in Loop: Header=BB275_10 Depth=1
	s_or_b64 exec, exec, s[40:41]
	v_lshrrev_b16_e32 v4, 8, v4
	v_cmp_lt_i16_e64 s[0:1], s50, v4
	s_mov_b64 s[40:41], 0
                                        ; implicit-def: $sgpr53
	s_and_saveexec_b64 s[42:43], s[0:1]
	s_xor_b64 s[42:43], exec, s[42:43]
	s_cbranch_execnz .LBB275_104
; %bb.39:                               ;   in Loop: Header=BB275_10 Depth=1
	s_or_saveexec_b64 s[42:43], s[42:43]
	v_mov_b32_e32 v30, s53
	s_xor_b64 exec, exec, s[42:43]
	s_cbranch_execnz .LBB275_107
.LBB275_40:                             ;   in Loop: Header=BB275_10 Depth=1
	s_or_b64 exec, exec, s[42:43]
	s_and_saveexec_b64 s[42:43], s[40:41]
	s_cbranch_execz .LBB275_42
.LBB275_41:                             ;   in Loop: Header=BB275_10 Depth=1
	v_and_b32_e32 v32, 7, v4
	v_ffbh_u32_e32 v30, v32
	v_min_u32_e32 v34, 32, v30
	v_subrev_u32_e32 v30, 28, v34
	v_bfe_u32 v33, v4, 3, 4
	v_lshlrev_b64 v[30:31], v30, v[4:5]
	v_sub_u32_e32 v31, 29, v34
	v_cmp_eq_u32_e64 s[0:1], 0, v33
	v_and_b32_e32 v30, 7, v30
	v_lshlrev_b32_e32 v4, 8, v4
	v_cndmask_b32_e64 v31, v33, v31, s[0:1]
	v_lshl_add_u32 v31, v31, 10, v20
	v_cndmask_b32_e64 v30, v32, v30, s[0:1]
	v_and_or_b32 v4, v4, s52, v31
	v_lshl_or_b32 v4, v30, 7, v4
	v_cvt_f32_f16_e32 v30, v4
.LBB275_42:                             ;   in Loop: Header=BB275_10 Depth=1
	s_or_b64 exec, exec, s[42:43]
	global_load_ushort v4, v[12:13], off offset:512
	s_mov_b64 s[0:1], 0
                                        ; implicit-def: $sgpr44
	s_waitcnt vmcnt(0)
	v_cmp_gt_i16_sdwa s[40:41], v4, s50 src0_sel:BYTE_0 src1_sel:DWORD
	s_and_saveexec_b64 s[42:43], s[40:41]
	s_xor_b64 s[40:41], exec, s[42:43]
	s_cbranch_execnz .LBB275_108
; %bb.43:                               ;   in Loop: Header=BB275_10 Depth=1
	s_or_saveexec_b64 s[40:41], s[40:41]
	v_mov_b32_e32 v31, s44
	s_xor_b64 exec, exec, s[40:41]
	s_cbranch_execnz .LBB275_111
.LBB275_44:                             ;   in Loop: Header=BB275_10 Depth=1
	s_or_b64 exec, exec, s[40:41]
	v_and_b32_e32 v4, 0xffff, v4
	s_and_saveexec_b64 s[40:41], s[0:1]
	s_cbranch_execz .LBB275_46
.LBB275_45:                             ;   in Loop: Header=BB275_10 Depth=1
	v_and_b32_e32 v31, 7, v4
	v_ffbh_u32_e32 v32, v31
	v_min_u32_e32 v35, 32, v32
	v_subrev_u32_e32 v32, 28, v35
	v_bfe_u32 v34, v4, 3, 4
	v_lshlrev_b64 v[32:33], v32, v[4:5]
	v_sub_u32_e32 v33, 29, v35
	v_cmp_eq_u32_e64 s[0:1], 0, v34
	v_and_b32_e32 v32, 7, v32
	s_nop 0
	v_cndmask_b32_e64 v33, v34, v33, s[0:1]
	v_cndmask_b32_e64 v31, v31, v32, s[0:1]
	v_lshlrev_b32_e32 v32, 8, v4
	v_lshl_add_u32 v33, v33, 10, v20
	v_and_or_b32 v32, v32, s52, v33
	v_lshl_or_b32 v31, v31, 7, v32
	v_cvt_f32_f16_e32 v31, v31
.LBB275_46:                             ;   in Loop: Header=BB275_10 Depth=1
	s_or_b64 exec, exec, s[40:41]
	v_lshrrev_b16_e32 v4, 8, v4
	v_cmp_lt_i16_e64 s[0:1], s50, v4
	s_mov_b64 s[40:41], 0
                                        ; implicit-def: $sgpr53
	s_and_saveexec_b64 s[42:43], s[0:1]
	s_xor_b64 s[42:43], exec, s[42:43]
	s_cbranch_execnz .LBB275_112
; %bb.47:                               ;   in Loop: Header=BB275_10 Depth=1
	s_or_saveexec_b64 s[42:43], s[42:43]
	v_mov_b32_e32 v32, s53
	s_xor_b64 exec, exec, s[42:43]
	s_cbranch_execnz .LBB275_115
.LBB275_48:                             ;   in Loop: Header=BB275_10 Depth=1
	s_or_b64 exec, exec, s[42:43]
	s_and_saveexec_b64 s[42:43], s[40:41]
	s_cbranch_execz .LBB275_50
.LBB275_49:                             ;   in Loop: Header=BB275_10 Depth=1
	v_and_b32_e32 v34, 7, v4
	v_ffbh_u32_e32 v32, v34
	v_min_u32_e32 v36, 32, v32
	v_subrev_u32_e32 v32, 28, v36
	v_bfe_u32 v35, v4, 3, 4
	v_lshlrev_b64 v[32:33], v32, v[4:5]
	v_sub_u32_e32 v33, 29, v36
	v_cmp_eq_u32_e64 s[0:1], 0, v35
	v_and_b32_e32 v32, 7, v32
	v_lshlrev_b32_e32 v4, 8, v4
	v_cndmask_b32_e64 v33, v35, v33, s[0:1]
	v_lshl_add_u32 v33, v33, 10, v20
	v_cndmask_b32_e64 v32, v34, v32, s[0:1]
	v_and_or_b32 v4, v4, s52, v33
	v_lshl_or_b32 v4, v32, 7, v4
	v_cvt_f32_f16_e32 v32, v4
.LBB275_50:                             ;   in Loop: Header=BB275_10 Depth=1
	s_or_b64 exec, exec, s[42:43]
	global_load_ushort v4, v[12:13], off offset:520
	s_mov_b64 s[0:1], 0
                                        ; implicit-def: $sgpr44
	s_waitcnt vmcnt(0)
	v_cmp_gt_i16_sdwa s[40:41], v4, s50 src0_sel:BYTE_0 src1_sel:DWORD
	s_and_saveexec_b64 s[42:43], s[40:41]
	s_xor_b64 s[40:41], exec, s[42:43]
	s_cbranch_execnz .LBB275_116
; %bb.51:                               ;   in Loop: Header=BB275_10 Depth=1
	s_or_saveexec_b64 s[40:41], s[40:41]
	v_mov_b32_e32 v33, s44
	s_xor_b64 exec, exec, s[40:41]
	s_cbranch_execnz .LBB275_119
.LBB275_52:                             ;   in Loop: Header=BB275_10 Depth=1
	s_or_b64 exec, exec, s[40:41]
	v_and_b32_e32 v4, 0xffff, v4
	s_and_saveexec_b64 s[40:41], s[0:1]
	s_cbranch_execz .LBB275_54
.LBB275_53:                             ;   in Loop: Header=BB275_10 Depth=1
	v_and_b32_e32 v33, 7, v4
	v_ffbh_u32_e32 v34, v33
	v_min_u32_e32 v37, 32, v34
	v_subrev_u32_e32 v34, 28, v37
	v_bfe_u32 v36, v4, 3, 4
	v_lshlrev_b64 v[34:35], v34, v[4:5]
	v_sub_u32_e32 v35, 29, v37
	v_cmp_eq_u32_e64 s[0:1], 0, v36
	v_and_b32_e32 v34, 7, v34
	s_nop 0
	v_cndmask_b32_e64 v35, v36, v35, s[0:1]
	v_cndmask_b32_e64 v33, v33, v34, s[0:1]
	v_lshlrev_b32_e32 v34, 8, v4
	v_lshl_add_u32 v35, v35, 10, v20
	v_and_or_b32 v34, v34, s52, v35
	v_lshl_or_b32 v33, v33, 7, v34
	v_cvt_f32_f16_e32 v33, v33
.LBB275_54:                             ;   in Loop: Header=BB275_10 Depth=1
	s_or_b64 exec, exec, s[40:41]
	v_lshrrev_b16_e32 v4, 8, v4
	v_cmp_lt_i16_e64 s[0:1], s50, v4
	s_mov_b64 s[40:41], 0
                                        ; implicit-def: $sgpr53
	s_and_saveexec_b64 s[42:43], s[0:1]
	s_xor_b64 s[42:43], exec, s[42:43]
	s_cbranch_execnz .LBB275_120
; %bb.55:                               ;   in Loop: Header=BB275_10 Depth=1
	s_or_saveexec_b64 s[42:43], s[42:43]
	v_mov_b32_e32 v34, s53
	s_xor_b64 exec, exec, s[42:43]
	s_cbranch_execnz .LBB275_123
.LBB275_56:                             ;   in Loop: Header=BB275_10 Depth=1
	s_or_b64 exec, exec, s[42:43]
	s_and_saveexec_b64 s[42:43], s[40:41]
	s_cbranch_execz .LBB275_58
.LBB275_57:                             ;   in Loop: Header=BB275_10 Depth=1
	v_and_b32_e32 v36, 7, v4
	v_ffbh_u32_e32 v34, v36
	v_min_u32_e32 v38, 32, v34
	v_subrev_u32_e32 v34, 28, v38
	v_bfe_u32 v37, v4, 3, 4
	v_lshlrev_b64 v[34:35], v34, v[4:5]
	v_sub_u32_e32 v35, 29, v38
	v_cmp_eq_u32_e64 s[0:1], 0, v37
	v_and_b32_e32 v34, 7, v34
	v_lshlrev_b32_e32 v4, 8, v4
	v_cndmask_b32_e64 v35, v37, v35, s[0:1]
	v_lshl_add_u32 v35, v35, 10, v20
	v_cndmask_b32_e64 v34, v36, v34, s[0:1]
	v_and_or_b32 v4, v4, s52, v35
	v_lshl_or_b32 v4, v34, 7, v4
	v_cvt_f32_f16_e32 v34, v4
.LBB275_58:                             ;   in Loop: Header=BB275_10 Depth=1
	s_or_b64 exec, exec, s[42:43]
	global_load_ushort v4, v[12:13], off offset:768
	s_mov_b64 s[0:1], 0
                                        ; implicit-def: $sgpr44
	s_waitcnt vmcnt(0)
	v_cmp_gt_i16_sdwa s[40:41], v4, s50 src0_sel:BYTE_0 src1_sel:DWORD
	s_and_saveexec_b64 s[42:43], s[40:41]
	s_xor_b64 s[40:41], exec, s[42:43]
	s_cbranch_execnz .LBB275_124
; %bb.59:                               ;   in Loop: Header=BB275_10 Depth=1
	s_or_saveexec_b64 s[40:41], s[40:41]
	v_mov_b32_e32 v35, s44
	s_xor_b64 exec, exec, s[40:41]
	s_cbranch_execnz .LBB275_127
.LBB275_60:                             ;   in Loop: Header=BB275_10 Depth=1
	s_or_b64 exec, exec, s[40:41]
	v_and_b32_e32 v4, 0xffff, v4
	s_and_saveexec_b64 s[40:41], s[0:1]
	s_cbranch_execz .LBB275_62
.LBB275_61:                             ;   in Loop: Header=BB275_10 Depth=1
	v_and_b32_e32 v35, 7, v4
	v_ffbh_u32_e32 v36, v35
	v_min_u32_e32 v39, 32, v36
	v_subrev_u32_e32 v36, 28, v39
	v_bfe_u32 v38, v4, 3, 4
	v_lshlrev_b64 v[36:37], v36, v[4:5]
	v_sub_u32_e32 v37, 29, v39
	v_cmp_eq_u32_e64 s[0:1], 0, v38
	v_and_b32_e32 v36, 7, v36
	s_nop 0
	v_cndmask_b32_e64 v37, v38, v37, s[0:1]
	v_cndmask_b32_e64 v35, v35, v36, s[0:1]
	v_lshlrev_b32_e32 v36, 8, v4
	v_lshl_add_u32 v37, v37, 10, v20
	v_and_or_b32 v36, v36, s52, v37
	v_lshl_or_b32 v35, v35, 7, v36
	v_cvt_f32_f16_e32 v35, v35
.LBB275_62:                             ;   in Loop: Header=BB275_10 Depth=1
	s_or_b64 exec, exec, s[40:41]
	v_lshrrev_b16_e32 v4, 8, v4
	v_cmp_lt_i16_e64 s[0:1], s50, v4
	s_mov_b64 s[40:41], 0
                                        ; implicit-def: $sgpr53
	s_and_saveexec_b64 s[42:43], s[0:1]
	s_xor_b64 s[42:43], exec, s[42:43]
	s_cbranch_execnz .LBB275_128
; %bb.63:                               ;   in Loop: Header=BB275_10 Depth=1
	s_or_saveexec_b64 s[42:43], s[42:43]
	v_mov_b32_e32 v36, s53
	s_xor_b64 exec, exec, s[42:43]
	s_cbranch_execnz .LBB275_131
.LBB275_64:                             ;   in Loop: Header=BB275_10 Depth=1
	s_or_b64 exec, exec, s[42:43]
	s_and_saveexec_b64 s[42:43], s[40:41]
	s_cbranch_execz .LBB275_66
.LBB275_65:                             ;   in Loop: Header=BB275_10 Depth=1
	v_and_b32_e32 v38, 7, v4
	v_ffbh_u32_e32 v36, v38
	v_min_u32_e32 v40, 32, v36
	v_subrev_u32_e32 v36, 28, v40
	v_bfe_u32 v39, v4, 3, 4
	v_lshlrev_b64 v[36:37], v36, v[4:5]
	v_sub_u32_e32 v37, 29, v40
	v_cmp_eq_u32_e64 s[0:1], 0, v39
	v_and_b32_e32 v36, 7, v36
	v_lshlrev_b32_e32 v4, 8, v4
	v_cndmask_b32_e64 v37, v39, v37, s[0:1]
	v_lshl_add_u32 v37, v37, 10, v20
	v_cndmask_b32_e64 v36, v38, v36, s[0:1]
	v_and_or_b32 v4, v4, s52, v37
	v_lshl_or_b32 v4, v36, 7, v4
	v_cvt_f32_f16_e32 v36, v4
.LBB275_66:                             ;   in Loop: Header=BB275_10 Depth=1
	s_or_b64 exec, exec, s[42:43]
	global_load_ushort v4, v[12:13], off offset:776
	s_mov_b64 s[0:1], 0
                                        ; implicit-def: $sgpr44
	s_waitcnt vmcnt(0)
	v_cmp_gt_i16_sdwa s[40:41], v4, s50 src0_sel:BYTE_0 src1_sel:DWORD
	s_and_saveexec_b64 s[42:43], s[40:41]
	s_xor_b64 s[40:41], exec, s[42:43]
	s_cbranch_execnz .LBB275_132
; %bb.67:                               ;   in Loop: Header=BB275_10 Depth=1
	s_or_saveexec_b64 s[40:41], s[40:41]
	v_mov_b32_e32 v12, s44
	s_xor_b64 exec, exec, s[40:41]
	s_cbranch_execnz .LBB275_135
.LBB275_68:                             ;   in Loop: Header=BB275_10 Depth=1
	s_or_b64 exec, exec, s[40:41]
	v_and_b32_e32 v4, 0xffff, v4
	s_and_saveexec_b64 s[40:41], s[0:1]
	s_cbranch_execz .LBB275_70
.LBB275_69:                             ;   in Loop: Header=BB275_10 Depth=1
	v_and_b32_e32 v37, 7, v4
	v_ffbh_u32_e32 v12, v37
	v_min_u32_e32 v39, 32, v12
	v_subrev_u32_e32 v12, 28, v39
	v_bfe_u32 v38, v4, 3, 4
	v_lshlrev_b64 v[12:13], v12, v[4:5]
	v_sub_u32_e32 v13, 29, v39
	v_cmp_eq_u32_e64 s[0:1], 0, v38
	v_and_b32_e32 v12, 7, v12
	s_nop 0
	v_cndmask_b32_e64 v13, v38, v13, s[0:1]
	v_cndmask_b32_e64 v12, v37, v12, s[0:1]
	v_lshlrev_b32_e32 v37, 8, v4
	v_lshl_add_u32 v13, v13, 10, v20
	v_and_or_b32 v13, v37, s52, v13
	v_lshl_or_b32 v12, v12, 7, v13
	v_cvt_f32_f16_e32 v12, v12
.LBB275_70:                             ;   in Loop: Header=BB275_10 Depth=1
	s_or_b64 exec, exec, s[40:41]
	v_lshrrev_b16_e32 v4, 8, v4
	v_cmp_lt_i16_e64 s[0:1], s50, v4
	s_mov_b64 s[40:41], 0
                                        ; implicit-def: $sgpr53
	s_and_saveexec_b64 s[42:43], s[0:1]
	s_xor_b64 s[42:43], exec, s[42:43]
	s_cbranch_execnz .LBB275_136
; %bb.71:                               ;   in Loop: Header=BB275_10 Depth=1
	s_or_saveexec_b64 s[42:43], s[42:43]
	v_mov_b32_e32 v13, s53
	s_xor_b64 exec, exec, s[42:43]
	s_cbranch_execnz .LBB275_139
.LBB275_72:                             ;   in Loop: Header=BB275_10 Depth=1
	s_or_b64 exec, exec, s[42:43]
	s_and_saveexec_b64 s[42:43], s[40:41]
	s_cbranch_execz .LBB275_74
.LBB275_73:                             ;   in Loop: Header=BB275_10 Depth=1
	v_and_b32_e32 v13, 7, v4
	v_ffbh_u32_e32 v38, v13
	v_min_u32_e32 v40, 32, v38
	v_subrev_u32_e32 v38, 28, v40
	v_bfe_u32 v37, v4, 3, 4
	v_lshlrev_b64 v[38:39], v38, v[4:5]
	v_sub_u32_e32 v39, 29, v40
	v_cmp_eq_u32_e64 s[0:1], 0, v37
	v_and_b32_e32 v38, 7, v38
	v_lshlrev_b32_e32 v4, 8, v4
	v_cndmask_b32_e64 v37, v37, v39, s[0:1]
	v_lshl_add_u32 v37, v37, 10, v20
	v_cndmask_b32_e64 v13, v13, v38, s[0:1]
	v_and_or_b32 v4, v4, s52, v37
	v_lshl_or_b32 v4, v13, 7, v4
	v_cvt_f32_f16_e32 v13, v4
.LBB275_74:                             ;   in Loop: Header=BB275_10 Depth=1
	s_or_b64 exec, exec, s[42:43]
	ds_read_b32 v4, v17
	v_fma_mixlo_f16 v23, v22, v23, 0
	v_fma_mixlo_f16 v24, v22, v24, 0
	v_and_b32_e32 v23, 0xffff, v23
	v_and_b32_e32 v24, 0xffff, v24
	s_waitcnt lgkmcnt(0)
	v_lshrrev_b32_e32 v37, 16, v4
	v_and_b32_e32 v4, 0xffff, v4
	;;#ASMSTART
	v_cvt_f32_f16 v4, v4;
	;;#ASMEND
	;;#ASMSTART
	v_cvt_f32_f16 v37, v37;
	;;#ASMEND
	;;#ASMSTART
	v_cvt_f32_f16 v23, v23;
	;;#ASMEND
	;;#ASMSTART
	v_cvt_f32_f16 v24, v24;
	;;#ASMEND
	ds_read_b32 v38, v17 offset:4
	v_fma_mixlo_f16 v25, v22, v25, 0
	v_fma_mixlo_f16 v26, v22, v26, 0
	v_and_b32_e32 v25, 0xffff, v25
	v_and_b32_e32 v26, 0xffff, v26
	s_waitcnt lgkmcnt(0)
	v_lshrrev_b32_e32 v39, 16, v38
	v_and_b32_e32 v38, 0xffff, v38
	;;#ASMSTART
	v_cvt_f32_f16 v38, v38;
	;;#ASMEND
	;;#ASMSTART
	v_cvt_f32_f16 v39, v39;
	;;#ASMEND
	;;#ASMSTART
	v_cvt_f32_f16 v25, v25;
	;;#ASMEND
	;;#ASMSTART
	v_cvt_f32_f16 v26, v26;
	;;#ASMEND
	ds_read_b32 v40, v17 offset:8
	;; [unrolled: 20-line block ×4, first 2 shown]
	v_fma_mixlo_f16 v35, v22, v35, 0
	v_fma_mixlo_f16 v36, v22, v36, 0
	;; [unrolled: 1-line block ×8, first 2 shown]
	v_mul_f32_e32 v22, v38, v25
	v_fmac_f32_e32 v22, v4, v23
	s_waitcnt lgkmcnt(0)
	v_lshrrev_b32_e32 v4, 16, v44
	v_and_b32_e32 v23, 0xffff, v44
	v_and_b32_e32 v25, 0xffff, v31
	;; [unrolled: 1-line block ×3, first 2 shown]
	;;#ASMSTART
	v_cvt_f32_f16 v23, v23;
	;;#ASMEND
	;;#ASMSTART
	v_cvt_f32_f16 v4, v4;
	;;#ASMEND
	;; [unrolled: 3-line block ×4, first 2 shown]
	ds_read_b32 v32, v17 offset:20
	v_mul_f32_e32 v26, v39, v26
	v_fmac_f32_e32 v26, v37, v24
	v_fmac_f32_e32 v22, v40, v27
	;; [unrolled: 1-line block ×3, first 2 shown]
	s_waitcnt lgkmcnt(0)
	v_lshrrev_b32_e32 v24, 16, v32
	v_and_b32_e32 v27, 0xffff, v32
	v_and_b32_e32 v28, 0xffff, v33
	;; [unrolled: 1-line block ×3, first 2 shown]
	;;#ASMSTART
	v_cvt_f32_f16 v27, v27;
	;;#ASMEND
	;;#ASMSTART
	v_cvt_f32_f16 v24, v24;
	;;#ASMEND
	;; [unrolled: 3-line block ×4, first 2 shown]
	ds_read_b32 v33, v17 offset:24
	v_fmac_f32_e32 v22, v42, v29
	v_fmac_f32_e32 v26, v43, v30
	;; [unrolled: 1-line block ×4, first 2 shown]
	s_waitcnt lgkmcnt(0)
	v_lshrrev_b32_e32 v4, 16, v33
	v_and_b32_e32 v23, 0xffff, v33
	v_and_b32_e32 v25, 0xffff, v35
	;; [unrolled: 1-line block ×3, first 2 shown]
	;;#ASMSTART
	v_cvt_f32_f16 v23, v23;
	;;#ASMEND
	;;#ASMSTART
	v_cvt_f32_f16 v4, v4;
	;;#ASMEND
	;; [unrolled: 3-line block ×4, first 2 shown]
	ds_read_b32 v30, v17 offset:28
	v_fmac_f32_e32 v22, v27, v28
	v_fmac_f32_e32 v26, v24, v32
	;; [unrolled: 1-line block ×4, first 2 shown]
	s_waitcnt lgkmcnt(0)
	v_lshrrev_b32_e32 v4, 16, v30
	v_and_b32_e32 v23, 0xffff, v30
	;;#ASMSTART
	v_cvt_f32_f16 v23, v23;
	;;#ASMEND
	;;#ASMSTART
	v_cvt_f32_f16 v4, v4;
	;;#ASMEND
	v_and_b32_e32 v12, 0xffff, v12
	v_and_b32_e32 v13, 0xffff, v13
	;;#ASMSTART
	v_cvt_f32_f16 v12, v12;
	;;#ASMEND
	;;#ASMSTART
	v_cvt_f32_f16 v13, v13;
	;;#ASMEND
	s_nop 0
	v_fmac_f32_e32 v26, v4, v13
	v_and_b32_e32 v4, 64, v16
	v_add_u32_e32 v4, 64, v4
	v_xor_b32_e32 v13, 2, v16
	v_cmp_lt_i32_e64 s[0:1], v13, v4
	v_fmac_f32_e32 v22, v23, v12
	v_add_f32_e32 v12, v22, v26
	v_cndmask_b32_e64 v13, v16, v13, s[0:1]
	v_lshlrev_b32_e32 v13, 2, v13
	ds_bpermute_b32 v13, v13, v12
	s_waitcnt lgkmcnt(0)
	v_add_f32_e32 v12, v12, v13
	v_xor_b32_e32 v13, 1, v16
	v_cmp_lt_i32_e64 s[0:1], v13, v4
	s_nop 1
	v_cndmask_b32_e64 v13, v16, v13, s[0:1]
	v_lshlrev_b32_e32 v13, 2, v13
	ds_bpermute_b32 v13, v13, v12
	s_and_saveexec_b64 s[40:41], vcc
	s_cbranch_execz .LBB275_9
; %bb.75:                               ;   in Loop: Header=BB275_10 Depth=1
	v_add_u32_e32 v22, s49, v18
	v_cvt_f32_i32_e32 v22, v22
	s_waitcnt lgkmcnt(0)
	v_add_f32_e32 v12, v12, v13
	v_cmp_gt_i32_e64 s[0:1], s29, v18
	v_max_f32_e32 v13, v15, v15
	v_mul_f32_e32 v22, s10, v22
	v_cndmask_b32_e64 v22, 0, v22, s[6:7]
	v_fmac_f32_e32 v22, s11, v12
	v_cndmask_b32_e64 v12, 0, v22, s[0:1]
	ds_write_b32 v19, v12
	v_max_f32_e32 v12, v13, v22
	v_cndmask_b32_e64 v15, v15, v12, s[0:1]
	s_branch .LBB275_9
.LBB275_76:                             ;   in Loop: Header=BB275_10 Depth=1
	v_cmp_eq_u16_sdwa s[54:55], v4, s51 src0_sel:BYTE_0 src1_sel:DWORD
	s_mov_b64 s[0:1], -1
                                        ; implicit-def: $sgpr44
	s_and_saveexec_b64 s[42:43], s[54:55]
; %bb.77:                               ;   in Loop: Header=BB275_10 Depth=1
	s_mov_b32 s44, 0x7fc02000
	s_xor_b64 s[0:1], exec, -1
; %bb.78:                               ;   in Loop: Header=BB275_10 Depth=1
	s_or_b64 exec, exec, s[42:43]
	s_and_b64 s[0:1], s[0:1], exec
	s_or_saveexec_b64 s[40:41], s[40:41]
	v_mov_b32_e32 v23, s44
	s_xor_b64 exec, exec, s[40:41]
	s_cbranch_execz .LBB275_12
.LBB275_79:                             ;   in Loop: Header=BB275_10 Depth=1
	v_cmp_ne_u16_sdwa s[42:43], v4, v5 src0_sel:BYTE_0 src1_sel:DWORD
	s_andn2_b64 s[0:1], s[0:1], exec
	s_and_b64 s[42:43], s[42:43], exec
	v_mov_b32_e32 v23, 0
	s_or_b64 s[0:1], s[0:1], s[42:43]
	s_or_b64 exec, exec, s[40:41]
	v_and_b32_e32 v4, 0xffff, v4
	s_and_saveexec_b64 s[40:41], s[0:1]
	s_cbranch_execnz .LBB275_13
	s_branch .LBB275_14
.LBB275_80:                             ;   in Loop: Header=BB275_10 Depth=1
	v_cmp_eq_u16_e64 s[0:1], s51, v4
	s_mov_b64 s[40:41], -1
                                        ; implicit-def: $sgpr53
	s_and_saveexec_b64 s[44:45], s[0:1]
; %bb.81:                               ;   in Loop: Header=BB275_10 Depth=1
	s_mov_b32 s53, 0x7fc02000
	s_xor_b64 s[40:41], exec, -1
; %bb.82:                               ;   in Loop: Header=BB275_10 Depth=1
	s_or_b64 exec, exec, s[44:45]
	s_and_b64 s[40:41], s[40:41], exec
	s_or_saveexec_b64 s[42:43], s[42:43]
	v_mov_b32_e32 v24, s53
	s_xor_b64 exec, exec, s[42:43]
	s_cbranch_execz .LBB275_16
.LBB275_83:                             ;   in Loop: Header=BB275_10 Depth=1
	v_cmp_ne_u16_e64 s[0:1], 0, v4
	s_andn2_b64 s[40:41], s[40:41], exec
	s_and_b64 s[0:1], s[0:1], exec
	v_mov_b32_e32 v24, 0
	s_or_b64 s[40:41], s[40:41], s[0:1]
	s_or_b64 exec, exec, s[42:43]
	s_and_saveexec_b64 s[42:43], s[40:41]
	s_cbranch_execnz .LBB275_17
	s_branch .LBB275_18
.LBB275_84:                             ;   in Loop: Header=BB275_10 Depth=1
	v_cmp_eq_u16_sdwa s[54:55], v4, s51 src0_sel:BYTE_0 src1_sel:DWORD
	s_mov_b64 s[0:1], -1
                                        ; implicit-def: $sgpr44
	s_and_saveexec_b64 s[42:43], s[54:55]
; %bb.85:                               ;   in Loop: Header=BB275_10 Depth=1
	s_mov_b32 s44, 0x7fc02000
	s_xor_b64 s[0:1], exec, -1
; %bb.86:                               ;   in Loop: Header=BB275_10 Depth=1
	s_or_b64 exec, exec, s[42:43]
	s_and_b64 s[0:1], s[0:1], exec
	s_or_saveexec_b64 s[40:41], s[40:41]
	v_mov_b32_e32 v25, s44
	s_xor_b64 exec, exec, s[40:41]
	s_cbranch_execz .LBB275_20
.LBB275_87:                             ;   in Loop: Header=BB275_10 Depth=1
	v_cmp_ne_u16_sdwa s[42:43], v4, v5 src0_sel:BYTE_0 src1_sel:DWORD
	s_andn2_b64 s[0:1], s[0:1], exec
	s_and_b64 s[42:43], s[42:43], exec
	v_mov_b32_e32 v25, 0
	s_or_b64 s[0:1], s[0:1], s[42:43]
	s_or_b64 exec, exec, s[40:41]
	v_and_b32_e32 v4, 0xffff, v4
	s_and_saveexec_b64 s[40:41], s[0:1]
	s_cbranch_execnz .LBB275_21
	s_branch .LBB275_22
.LBB275_88:                             ;   in Loop: Header=BB275_10 Depth=1
	v_cmp_eq_u16_e64 s[0:1], s51, v4
	s_mov_b64 s[40:41], -1
                                        ; implicit-def: $sgpr53
	s_and_saveexec_b64 s[44:45], s[0:1]
; %bb.89:                               ;   in Loop: Header=BB275_10 Depth=1
	s_mov_b32 s53, 0x7fc02000
	s_xor_b64 s[40:41], exec, -1
; %bb.90:                               ;   in Loop: Header=BB275_10 Depth=1
	s_or_b64 exec, exec, s[44:45]
	s_and_b64 s[40:41], s[40:41], exec
	s_or_saveexec_b64 s[42:43], s[42:43]
	v_mov_b32_e32 v26, s53
	s_xor_b64 exec, exec, s[42:43]
	s_cbranch_execz .LBB275_24
.LBB275_91:                             ;   in Loop: Header=BB275_10 Depth=1
	v_cmp_ne_u16_e64 s[0:1], 0, v4
	s_andn2_b64 s[40:41], s[40:41], exec
	s_and_b64 s[0:1], s[0:1], exec
	v_mov_b32_e32 v26, 0
	s_or_b64 s[40:41], s[40:41], s[0:1]
	s_or_b64 exec, exec, s[42:43]
	s_and_saveexec_b64 s[42:43], s[40:41]
	s_cbranch_execnz .LBB275_25
	s_branch .LBB275_26
.LBB275_92:                             ;   in Loop: Header=BB275_10 Depth=1
	v_cmp_eq_u16_sdwa s[54:55], v4, s51 src0_sel:BYTE_0 src1_sel:DWORD
	s_mov_b64 s[0:1], -1
                                        ; implicit-def: $sgpr44
	s_and_saveexec_b64 s[42:43], s[54:55]
; %bb.93:                               ;   in Loop: Header=BB275_10 Depth=1
	s_mov_b32 s44, 0x7fc02000
	s_xor_b64 s[0:1], exec, -1
; %bb.94:                               ;   in Loop: Header=BB275_10 Depth=1
	s_or_b64 exec, exec, s[42:43]
	s_and_b64 s[0:1], s[0:1], exec
	s_or_saveexec_b64 s[40:41], s[40:41]
	v_mov_b32_e32 v27, s44
	s_xor_b64 exec, exec, s[40:41]
	s_cbranch_execz .LBB275_28
.LBB275_95:                             ;   in Loop: Header=BB275_10 Depth=1
	v_cmp_ne_u16_sdwa s[42:43], v4, v5 src0_sel:BYTE_0 src1_sel:DWORD
	s_andn2_b64 s[0:1], s[0:1], exec
	s_and_b64 s[42:43], s[42:43], exec
	v_mov_b32_e32 v27, 0
	s_or_b64 s[0:1], s[0:1], s[42:43]
	s_or_b64 exec, exec, s[40:41]
	v_and_b32_e32 v4, 0xffff, v4
	s_and_saveexec_b64 s[40:41], s[0:1]
	s_cbranch_execnz .LBB275_29
	s_branch .LBB275_30
.LBB275_96:                             ;   in Loop: Header=BB275_10 Depth=1
	v_cmp_eq_u16_e64 s[0:1], s51, v4
	s_mov_b64 s[40:41], -1
                                        ; implicit-def: $sgpr53
	s_and_saveexec_b64 s[44:45], s[0:1]
; %bb.97:                               ;   in Loop: Header=BB275_10 Depth=1
	s_mov_b32 s53, 0x7fc02000
	s_xor_b64 s[40:41], exec, -1
; %bb.98:                               ;   in Loop: Header=BB275_10 Depth=1
	s_or_b64 exec, exec, s[44:45]
	s_and_b64 s[40:41], s[40:41], exec
	s_or_saveexec_b64 s[42:43], s[42:43]
	v_mov_b32_e32 v28, s53
	s_xor_b64 exec, exec, s[42:43]
	s_cbranch_execz .LBB275_32
.LBB275_99:                             ;   in Loop: Header=BB275_10 Depth=1
	v_cmp_ne_u16_e64 s[0:1], 0, v4
	s_andn2_b64 s[40:41], s[40:41], exec
	s_and_b64 s[0:1], s[0:1], exec
	v_mov_b32_e32 v28, 0
	s_or_b64 s[40:41], s[40:41], s[0:1]
	s_or_b64 exec, exec, s[42:43]
	s_and_saveexec_b64 s[42:43], s[40:41]
	s_cbranch_execnz .LBB275_33
	s_branch .LBB275_34
.LBB275_100:                            ;   in Loop: Header=BB275_10 Depth=1
	v_cmp_eq_u16_sdwa s[54:55], v4, s51 src0_sel:BYTE_0 src1_sel:DWORD
	s_mov_b64 s[0:1], -1
                                        ; implicit-def: $sgpr44
	s_and_saveexec_b64 s[42:43], s[54:55]
; %bb.101:                              ;   in Loop: Header=BB275_10 Depth=1
	s_mov_b32 s44, 0x7fc02000
	s_xor_b64 s[0:1], exec, -1
; %bb.102:                              ;   in Loop: Header=BB275_10 Depth=1
	s_or_b64 exec, exec, s[42:43]
	s_and_b64 s[0:1], s[0:1], exec
	s_or_saveexec_b64 s[40:41], s[40:41]
	v_mov_b32_e32 v29, s44
	s_xor_b64 exec, exec, s[40:41]
	s_cbranch_execz .LBB275_36
.LBB275_103:                            ;   in Loop: Header=BB275_10 Depth=1
	v_cmp_ne_u16_sdwa s[42:43], v4, v5 src0_sel:BYTE_0 src1_sel:DWORD
	s_andn2_b64 s[0:1], s[0:1], exec
	s_and_b64 s[42:43], s[42:43], exec
	v_mov_b32_e32 v29, 0
	s_or_b64 s[0:1], s[0:1], s[42:43]
	s_or_b64 exec, exec, s[40:41]
	v_and_b32_e32 v4, 0xffff, v4
	s_and_saveexec_b64 s[40:41], s[0:1]
	s_cbranch_execnz .LBB275_37
	s_branch .LBB275_38
.LBB275_104:                            ;   in Loop: Header=BB275_10 Depth=1
	v_cmp_eq_u16_e64 s[0:1], s51, v4
	s_mov_b64 s[40:41], -1
                                        ; implicit-def: $sgpr53
	s_and_saveexec_b64 s[44:45], s[0:1]
; %bb.105:                              ;   in Loop: Header=BB275_10 Depth=1
	s_mov_b32 s53, 0x7fc02000
	s_xor_b64 s[40:41], exec, -1
; %bb.106:                              ;   in Loop: Header=BB275_10 Depth=1
	s_or_b64 exec, exec, s[44:45]
	s_and_b64 s[40:41], s[40:41], exec
	s_or_saveexec_b64 s[42:43], s[42:43]
	v_mov_b32_e32 v30, s53
	s_xor_b64 exec, exec, s[42:43]
	s_cbranch_execz .LBB275_40
.LBB275_107:                            ;   in Loop: Header=BB275_10 Depth=1
	v_cmp_ne_u16_e64 s[0:1], 0, v4
	s_andn2_b64 s[40:41], s[40:41], exec
	s_and_b64 s[0:1], s[0:1], exec
	v_mov_b32_e32 v30, 0
	s_or_b64 s[40:41], s[40:41], s[0:1]
	s_or_b64 exec, exec, s[42:43]
	s_and_saveexec_b64 s[42:43], s[40:41]
	s_cbranch_execnz .LBB275_41
	s_branch .LBB275_42
.LBB275_108:                            ;   in Loop: Header=BB275_10 Depth=1
	v_cmp_eq_u16_sdwa s[54:55], v4, s51 src0_sel:BYTE_0 src1_sel:DWORD
	s_mov_b64 s[0:1], -1
                                        ; implicit-def: $sgpr44
	s_and_saveexec_b64 s[42:43], s[54:55]
; %bb.109:                              ;   in Loop: Header=BB275_10 Depth=1
	s_mov_b32 s44, 0x7fc02000
	s_xor_b64 s[0:1], exec, -1
; %bb.110:                              ;   in Loop: Header=BB275_10 Depth=1
	s_or_b64 exec, exec, s[42:43]
	s_and_b64 s[0:1], s[0:1], exec
	s_or_saveexec_b64 s[40:41], s[40:41]
	v_mov_b32_e32 v31, s44
	s_xor_b64 exec, exec, s[40:41]
	s_cbranch_execz .LBB275_44
.LBB275_111:                            ;   in Loop: Header=BB275_10 Depth=1
	v_cmp_ne_u16_sdwa s[42:43], v4, v5 src0_sel:BYTE_0 src1_sel:DWORD
	s_andn2_b64 s[0:1], s[0:1], exec
	s_and_b64 s[42:43], s[42:43], exec
	v_mov_b32_e32 v31, 0
	s_or_b64 s[0:1], s[0:1], s[42:43]
	s_or_b64 exec, exec, s[40:41]
	v_and_b32_e32 v4, 0xffff, v4
	s_and_saveexec_b64 s[40:41], s[0:1]
	s_cbranch_execnz .LBB275_45
	s_branch .LBB275_46
.LBB275_112:                            ;   in Loop: Header=BB275_10 Depth=1
	v_cmp_eq_u16_e64 s[0:1], s51, v4
	s_mov_b64 s[40:41], -1
                                        ; implicit-def: $sgpr53
	s_and_saveexec_b64 s[44:45], s[0:1]
; %bb.113:                              ;   in Loop: Header=BB275_10 Depth=1
	s_mov_b32 s53, 0x7fc02000
	s_xor_b64 s[40:41], exec, -1
; %bb.114:                              ;   in Loop: Header=BB275_10 Depth=1
	s_or_b64 exec, exec, s[44:45]
	s_and_b64 s[40:41], s[40:41], exec
	s_or_saveexec_b64 s[42:43], s[42:43]
	v_mov_b32_e32 v32, s53
	s_xor_b64 exec, exec, s[42:43]
	s_cbranch_execz .LBB275_48
.LBB275_115:                            ;   in Loop: Header=BB275_10 Depth=1
	v_cmp_ne_u16_e64 s[0:1], 0, v4
	s_andn2_b64 s[40:41], s[40:41], exec
	s_and_b64 s[0:1], s[0:1], exec
	v_mov_b32_e32 v32, 0
	s_or_b64 s[40:41], s[40:41], s[0:1]
	s_or_b64 exec, exec, s[42:43]
	s_and_saveexec_b64 s[42:43], s[40:41]
	s_cbranch_execnz .LBB275_49
	s_branch .LBB275_50
.LBB275_116:                            ;   in Loop: Header=BB275_10 Depth=1
	v_cmp_eq_u16_sdwa s[54:55], v4, s51 src0_sel:BYTE_0 src1_sel:DWORD
	s_mov_b64 s[0:1], -1
                                        ; implicit-def: $sgpr44
	s_and_saveexec_b64 s[42:43], s[54:55]
; %bb.117:                              ;   in Loop: Header=BB275_10 Depth=1
	s_mov_b32 s44, 0x7fc02000
	s_xor_b64 s[0:1], exec, -1
; %bb.118:                              ;   in Loop: Header=BB275_10 Depth=1
	s_or_b64 exec, exec, s[42:43]
	s_and_b64 s[0:1], s[0:1], exec
	s_or_saveexec_b64 s[40:41], s[40:41]
	v_mov_b32_e32 v33, s44
	s_xor_b64 exec, exec, s[40:41]
	s_cbranch_execz .LBB275_52
.LBB275_119:                            ;   in Loop: Header=BB275_10 Depth=1
	v_cmp_ne_u16_sdwa s[42:43], v4, v5 src0_sel:BYTE_0 src1_sel:DWORD
	s_andn2_b64 s[0:1], s[0:1], exec
	s_and_b64 s[42:43], s[42:43], exec
	v_mov_b32_e32 v33, 0
	s_or_b64 s[0:1], s[0:1], s[42:43]
	s_or_b64 exec, exec, s[40:41]
	v_and_b32_e32 v4, 0xffff, v4
	s_and_saveexec_b64 s[40:41], s[0:1]
	s_cbranch_execnz .LBB275_53
	s_branch .LBB275_54
.LBB275_120:                            ;   in Loop: Header=BB275_10 Depth=1
	v_cmp_eq_u16_e64 s[0:1], s51, v4
	s_mov_b64 s[40:41], -1
                                        ; implicit-def: $sgpr53
	s_and_saveexec_b64 s[44:45], s[0:1]
; %bb.121:                              ;   in Loop: Header=BB275_10 Depth=1
	s_mov_b32 s53, 0x7fc02000
	s_xor_b64 s[40:41], exec, -1
; %bb.122:                              ;   in Loop: Header=BB275_10 Depth=1
	s_or_b64 exec, exec, s[44:45]
	s_and_b64 s[40:41], s[40:41], exec
	s_or_saveexec_b64 s[42:43], s[42:43]
	v_mov_b32_e32 v34, s53
	s_xor_b64 exec, exec, s[42:43]
	s_cbranch_execz .LBB275_56
.LBB275_123:                            ;   in Loop: Header=BB275_10 Depth=1
	v_cmp_ne_u16_e64 s[0:1], 0, v4
	s_andn2_b64 s[40:41], s[40:41], exec
	s_and_b64 s[0:1], s[0:1], exec
	v_mov_b32_e32 v34, 0
	s_or_b64 s[40:41], s[40:41], s[0:1]
	s_or_b64 exec, exec, s[42:43]
	s_and_saveexec_b64 s[42:43], s[40:41]
	s_cbranch_execnz .LBB275_57
	s_branch .LBB275_58
.LBB275_124:                            ;   in Loop: Header=BB275_10 Depth=1
	v_cmp_eq_u16_sdwa s[54:55], v4, s51 src0_sel:BYTE_0 src1_sel:DWORD
	s_mov_b64 s[0:1], -1
                                        ; implicit-def: $sgpr44
	s_and_saveexec_b64 s[42:43], s[54:55]
; %bb.125:                              ;   in Loop: Header=BB275_10 Depth=1
	s_mov_b32 s44, 0x7fc02000
	s_xor_b64 s[0:1], exec, -1
; %bb.126:                              ;   in Loop: Header=BB275_10 Depth=1
	s_or_b64 exec, exec, s[42:43]
	s_and_b64 s[0:1], s[0:1], exec
	s_or_saveexec_b64 s[40:41], s[40:41]
	v_mov_b32_e32 v35, s44
	s_xor_b64 exec, exec, s[40:41]
	s_cbranch_execz .LBB275_60
.LBB275_127:                            ;   in Loop: Header=BB275_10 Depth=1
	v_cmp_ne_u16_sdwa s[42:43], v4, v5 src0_sel:BYTE_0 src1_sel:DWORD
	s_andn2_b64 s[0:1], s[0:1], exec
	s_and_b64 s[42:43], s[42:43], exec
	v_mov_b32_e32 v35, 0
	s_or_b64 s[0:1], s[0:1], s[42:43]
	s_or_b64 exec, exec, s[40:41]
	v_and_b32_e32 v4, 0xffff, v4
	s_and_saveexec_b64 s[40:41], s[0:1]
	s_cbranch_execnz .LBB275_61
	s_branch .LBB275_62
.LBB275_128:                            ;   in Loop: Header=BB275_10 Depth=1
	v_cmp_eq_u16_e64 s[0:1], s51, v4
	s_mov_b64 s[40:41], -1
                                        ; implicit-def: $sgpr53
	s_and_saveexec_b64 s[44:45], s[0:1]
; %bb.129:                              ;   in Loop: Header=BB275_10 Depth=1
	s_mov_b32 s53, 0x7fc02000
	s_xor_b64 s[40:41], exec, -1
; %bb.130:                              ;   in Loop: Header=BB275_10 Depth=1
	s_or_b64 exec, exec, s[44:45]
	s_and_b64 s[40:41], s[40:41], exec
	s_or_saveexec_b64 s[42:43], s[42:43]
	v_mov_b32_e32 v36, s53
	s_xor_b64 exec, exec, s[42:43]
	s_cbranch_execz .LBB275_64
.LBB275_131:                            ;   in Loop: Header=BB275_10 Depth=1
	v_cmp_ne_u16_e64 s[0:1], 0, v4
	s_andn2_b64 s[40:41], s[40:41], exec
	s_and_b64 s[0:1], s[0:1], exec
	v_mov_b32_e32 v36, 0
	s_or_b64 s[40:41], s[40:41], s[0:1]
	s_or_b64 exec, exec, s[42:43]
	s_and_saveexec_b64 s[42:43], s[40:41]
	s_cbranch_execnz .LBB275_65
	s_branch .LBB275_66
.LBB275_132:                            ;   in Loop: Header=BB275_10 Depth=1
	v_cmp_eq_u16_sdwa s[54:55], v4, s51 src0_sel:BYTE_0 src1_sel:DWORD
	s_mov_b64 s[0:1], -1
                                        ; implicit-def: $sgpr44
	s_and_saveexec_b64 s[42:43], s[54:55]
; %bb.133:                              ;   in Loop: Header=BB275_10 Depth=1
	s_mov_b32 s44, 0x7fc02000
	s_xor_b64 s[0:1], exec, -1
; %bb.134:                              ;   in Loop: Header=BB275_10 Depth=1
	s_or_b64 exec, exec, s[42:43]
	s_and_b64 s[0:1], s[0:1], exec
	s_or_saveexec_b64 s[40:41], s[40:41]
	v_mov_b32_e32 v12, s44
	s_xor_b64 exec, exec, s[40:41]
	s_cbranch_execz .LBB275_68
.LBB275_135:                            ;   in Loop: Header=BB275_10 Depth=1
	v_cmp_ne_u16_sdwa s[42:43], v4, v5 src0_sel:BYTE_0 src1_sel:DWORD
	s_andn2_b64 s[0:1], s[0:1], exec
	s_and_b64 s[42:43], s[42:43], exec
	v_mov_b32_e32 v12, 0
	s_or_b64 s[0:1], s[0:1], s[42:43]
	s_or_b64 exec, exec, s[40:41]
	v_and_b32_e32 v4, 0xffff, v4
	s_and_saveexec_b64 s[40:41], s[0:1]
	s_cbranch_execnz .LBB275_69
	s_branch .LBB275_70
.LBB275_136:                            ;   in Loop: Header=BB275_10 Depth=1
	v_cmp_eq_u16_e64 s[0:1], s51, v4
	s_mov_b64 s[40:41], -1
                                        ; implicit-def: $sgpr53
	s_and_saveexec_b64 s[44:45], s[0:1]
; %bb.137:                              ;   in Loop: Header=BB275_10 Depth=1
	s_mov_b32 s53, 0x7fc02000
	s_xor_b64 s[40:41], exec, -1
; %bb.138:                              ;   in Loop: Header=BB275_10 Depth=1
	s_or_b64 exec, exec, s[44:45]
	s_and_b64 s[40:41], s[40:41], exec
	s_or_saveexec_b64 s[42:43], s[42:43]
	v_mov_b32_e32 v13, s53
	s_xor_b64 exec, exec, s[42:43]
	s_cbranch_execz .LBB275_72
.LBB275_139:                            ;   in Loop: Header=BB275_10 Depth=1
	v_cmp_ne_u16_e64 s[0:1], 0, v4
	s_andn2_b64 s[40:41], s[40:41], exec
	s_and_b64 s[0:1], s[0:1], exec
	v_mov_b32_e32 v13, 0
	s_or_b64 s[40:41], s[40:41], s[0:1]
	s_or_b64 exec, exec, s[42:43]
	s_and_saveexec_b64 s[42:43], s[40:41]
	s_cbranch_execnz .LBB275_73
	s_branch .LBB275_74
.LBB275_140:
	s_or_b64 exec, exec, s[18:19]
.LBB275_141:
	s_or_b64 exec, exec, s[38:39]
	v_xor_b32_e32 v5, 32, v16
	v_cmp_lt_i32_e32 vcc, v5, v4
	v_xor_b32_e32 v8, 16, v16
	v_max_f32_e32 v7, v15, v15
	v_cndmask_b32_e32 v5, v16, v5, vcc
	v_lshlrev_b32_e32 v5, 2, v5
	ds_bpermute_b32 v6, v5, v15
	v_cmp_lt_i32_e32 vcc, v8, v4
	v_xor_b32_e32 v9, 8, v16
	v_and_b32_e32 v15, 63, v0
	s_waitcnt lgkmcnt(0)
	v_max_f32_e32 v6, v6, v6
	v_max_f32_e32 v6, v7, v6
	v_cndmask_b32_e32 v7, v16, v8, vcc
	v_lshlrev_b32_e32 v7, 2, v7
	ds_bpermute_b32 v8, v7, v6
	v_cmp_lt_i32_e32 vcc, v9, v4
	s_waitcnt lgkmcnt(0)
	v_max_f32_e32 v8, v8, v8
	v_max_f32_e32 v6, v6, v8
	v_cndmask_b32_e32 v8, v16, v9, vcc
	v_lshlrev_b32_e32 v10, 2, v8
	ds_bpermute_b32 v8, v10, v6
	v_xor_b32_e32 v9, 4, v16
	v_cmp_lt_i32_e32 vcc, v9, v4
	s_waitcnt lgkmcnt(0)
	v_max_f32_e32 v8, v8, v8
	v_max_f32_e32 v6, v6, v8
	v_cndmask_b32_e32 v8, v16, v9, vcc
	v_lshlrev_b32_e32 v11, 2, v8
	ds_bpermute_b32 v9, v11, v6
	v_cmp_eq_u32_e32 vcc, 0, v15
	v_lshlrev_b32_e32 v8, 2, v1
	s_and_saveexec_b64 s[0:1], vcc
	s_cbranch_execz .LBB275_143
; %bb.142:
	s_waitcnt lgkmcnt(0)
	v_max_f32_e32 v9, v9, v9
	v_max_f32_e32 v6, v6, v6
	;; [unrolled: 1-line block ×3, first 2 shown]
	ds_write_b32 v8, v6 offset:128
.LBB275_143:
	s_or_b64 exec, exec, s[0:1]
	v_cmp_gt_u32_e64 s[0:1], 2, v15
	v_mov_b32_e32 v6, 0xff7fffff
	s_waitcnt lgkmcnt(0)
	v_lshlrev_b32_e32 v9, 2, v15
	s_barrier
	s_and_saveexec_b64 s[6:7], s[0:1]
	s_cbranch_execz .LBB275_145
; %bb.144:
	ds_read_b32 v6, v9 offset:128
.LBB275_145:
	s_or_b64 exec, exec, s[6:7]
	v_xor_b32_e32 v12, 1, v16
	v_cmp_lt_i32_e64 s[6:7], v12, v4
	s_sub_i32 s3, s33, s3
	s_lshl_b32 s3, s3, 4
	v_cndmask_b32_e64 v12, v16, v12, s[6:7]
	v_lshlrev_b32_e32 v22, 2, v12
	s_waitcnt lgkmcnt(0)
	ds_bpermute_b32 v12, v22, v6
	v_max_f32_e32 v6, v6, v6
	s_add_i32 s3, s3, s46
	s_min_i32 s38, s3, s29
	s_sub_i32 s3, s38, s46
	s_waitcnt lgkmcnt(0)
	v_max_f32_e32 v12, v12, v12
	v_max_f32_e32 v6, v6, v12
	v_lshlrev_b32_e32 v12, 2, v16
	v_and_b32_e32 v12, 0xffffff00, v12
	ds_bpermute_b32 v6, v12, v6
	v_cmp_gt_i32_e64 s[6:7], s3, v0
	v_mov_b32_e32 v13, 0
	s_and_saveexec_b64 s[12:13], s[6:7]
	s_cbranch_execz .LBB275_149
; %bb.146:
	v_mov_b32_e32 v13, 0x90
	v_lshl_add_u32 v17, v0, 2, v13
	s_mov_b64 s[18:19], 0
	v_mov_b32_e32 v13, 0
	v_mov_b32_e32 v18, v0
.LBB275_147:                            ; =>This Inner Loop Header: Depth=1
	ds_read_b32 v19, v17
	v_add_u32_e32 v18, 0x80, v18
	v_cmp_le_i32_e64 s[10:11], s3, v18
	s_or_b64 s[18:19], s[10:11], s[18:19]
	s_waitcnt lgkmcnt(0)
	v_sub_f32_e32 v19, v19, v6
	v_mul_f32_e32 v19, 0x3fb8aa3b, v19
	v_exp_f32_e32 v19, v19
	ds_write_b32 v17, v19
	v_add_f32_e32 v13, v13, v19
	v_add_u32_e32 v17, 0x200, v17
	s_andn2_b64 exec, exec, s[18:19]
	s_cbranch_execnz .LBB275_147
; %bb.148:
	s_or_b64 exec, exec, s[18:19]
.LBB275_149:
	s_or_b64 exec, exec, s[12:13]
	ds_bpermute_b32 v5, v5, v13
	s_waitcnt lgkmcnt(0)
	v_add_f32_e32 v5, v13, v5
	ds_bpermute_b32 v7, v7, v5
	s_waitcnt lgkmcnt(0)
	v_add_f32_e32 v5, v5, v7
	ds_bpermute_b32 v7, v10, v5
	v_xor_b32_e32 v10, 2, v16
	v_cmp_lt_i32_e64 s[10:11], v10, v4
	s_waitcnt lgkmcnt(0)
	v_add_f32_e32 v5, v5, v7
	ds_bpermute_b32 v7, v11, v5
	v_cndmask_b32_e64 v4, v16, v10, s[10:11]
	v_lshlrev_b32_e32 v4, 2, v4
	s_waitcnt lgkmcnt(0)
	v_add_f32_e32 v5, v5, v7
	ds_bpermute_b32 v4, v4, v5
	s_waitcnt lgkmcnt(0)
	v_add_f32_e32 v4, v5, v4
	ds_bpermute_b32 v5, v22, v4
	s_waitcnt lgkmcnt(0)
	v_add_f32_e32 v4, v4, v5
	s_and_saveexec_b64 s[10:11], vcc
	s_cbranch_execz .LBB275_151
; %bb.150:
	ds_write_b32 v8, v4 offset:136
.LBB275_151:
	s_or_b64 exec, exec, s[10:11]
	s_waitcnt lgkmcnt(0)
	s_barrier
	s_and_saveexec_b64 s[10:11], s[0:1]
	s_cbranch_execz .LBB275_153
; %bb.152:
	ds_read_b32 v4, v9 offset:136
.LBB275_153:
	s_or_b64 exec, exec, s[10:11]
	s_waitcnt lgkmcnt(0)
	ds_bpermute_b32 v5, v22, v4
	s_waitcnt lgkmcnt(0)
	v_add_f32_e32 v4, v4, v5
	ds_bpermute_b32 v7, v12, v4
	s_and_saveexec_b64 s[0:1], s[6:7]
	s_cbranch_execz .LBB275_166
; %bb.154:
	s_waitcnt lgkmcnt(0)
	v_add_f32_e32 v4, 0x358637bd, v7
	v_div_scale_f32 v5, s[6:7], v4, v4, 1.0
	v_rcp_f32_e32 v8, v5
	v_div_scale_f32 v9, vcc, 1.0, v4, 1.0
	s_movk_i32 s6, 0x7f
	v_fma_f32 v10, -v5, v8, 1.0
	v_fmac_f32_e32 v8, v10, v8
	v_mul_f32_e32 v10, v9, v8
	v_fma_f32 v11, -v5, v10, v9
	v_fmac_f32_e32 v10, v11, v8
	v_fma_f32 v5, -v5, v10, v9
	v_div_fmas_f32 v5, v5, v8, v10
	v_div_fixup_f32 v4, v5, v4, 1.0
	v_xad_u32 v5, v0, -1, s38
	v_subrev_u32_e32 v8, s46, v5
	v_cmp_lt_u32_e32 vcc, s6, v8
	s_mov_b64 s[10:11], -1
	v_mov_b32_e32 v5, v0
	s_and_saveexec_b64 s[6:7], vcc
	s_cbranch_execz .LBB275_163
; %bb.155:
	v_lshrrev_b32_e32 v8, 7, v8
	v_add_u32_e32 v10, -1, v8
	v_lshrrev_b32_e32 v9, 1, v10
	v_mov_b32_e32 v5, v4
	v_add_u32_e32 v9, 1, v9
	v_cmp_lt_u32_e32 vcc, 13, v10
	v_mov_b32_e32 v12, 0
	s_and_saveexec_b64 s[10:11], vcc
	s_cbranch_execz .LBB275_159
; %bb.156:
	v_mov_b32_e32 v11, 0x90
	v_and_b32_e32 v10, -8, v9
	v_lshl_add_u32 v11, v0, 2, v11
	s_mov_b32 s18, 0
	s_mov_b64 s[12:13], 0
.LBB275_157:                            ; =>This Inner Loop Header: Depth=1
	ds_read2st64_b32 v[12:13], v11 offset1:2
	ds_read2st64_b32 v[16:17], v11 offset0:4 offset1:6
	ds_read2st64_b32 v[18:19], v11 offset0:8 offset1:10
	;; [unrolled: 1-line block ×3, first 2 shown]
	v_add_u32_e32 v10, -8, v10
	s_waitcnt lgkmcnt(3)
	v_pk_mul_f32 v[12:13], v[4:5], v[12:13]
	s_waitcnt lgkmcnt(2)
	v_pk_mul_f32 v[16:17], v[4:5], v[16:17]
	ds_write2st64_b32 v11, v12, v13 offset1:2
	ds_write2st64_b32 v11, v16, v17 offset0:4 offset1:6
	ds_read2st64_b32 v[16:17], v11 offset0:16 offset1:18
	s_waitcnt lgkmcnt(4)
	v_pk_mul_f32 v[12:13], v[4:5], v[18:19]
	ds_write2st64_b32 v11, v12, v13 offset0:8 offset1:10
	s_waitcnt lgkmcnt(4)
	v_pk_mul_f32 v[12:13], v[4:5], v[20:21]
	ds_write2st64_b32 v11, v12, v13 offset0:12 offset1:14
	ds_read2st64_b32 v[12:13], v11 offset0:20 offset1:22
	s_waitcnt lgkmcnt(3)
	v_pk_mul_f32 v[16:17], v[4:5], v[16:17]
	ds_read2st64_b32 v[18:19], v11 offset0:24 offset1:26
	ds_write2st64_b32 v11, v16, v17 offset0:16 offset1:18
	ds_read2st64_b32 v[16:17], v11 offset0:28 offset1:30
	s_waitcnt lgkmcnt(3)
	v_pk_mul_f32 v[12:13], v[4:5], v[12:13]
	ds_write2st64_b32 v11, v12, v13 offset0:20 offset1:22
	s_waitcnt lgkmcnt(3)
	v_pk_mul_f32 v[12:13], v[4:5], v[18:19]
	ds_write2st64_b32 v11, v12, v13 offset0:24 offset1:26
	s_waitcnt lgkmcnt(2)
	v_pk_mul_f32 v[12:13], v[4:5], v[16:17]
	s_add_i32 s18, s18, 16
	v_cmp_eq_u32_e32 vcc, 0, v10
	ds_write2st64_b32 v11, v12, v13 offset0:28 offset1:30
	v_add_u32_e32 v11, 0x2000, v11
	s_or_b64 s[12:13], vcc, s[12:13]
	v_mov_b32_e32 v12, s18
	s_andn2_b64 exec, exec, s[12:13]
	s_cbranch_execnz .LBB275_157
; %bb.158:
	s_or_b64 exec, exec, s[12:13]
.LBB275_159:
	s_or_b64 exec, exec, s[10:11]
	v_and_b32_e32 v9, 7, v9
	v_cmp_ne_u32_e32 vcc, 0, v9
	s_and_saveexec_b64 s[10:11], vcc
	s_cbranch_execz .LBB275_162
; %bb.160:
	v_lshlrev_b32_e32 v10, 9, v12
	v_lshlrev_b32_e32 v11, 2, v0
	s_movk_i32 s12, 0x90
	v_add3_u32 v10, v10, v11, s12
	s_mov_b64 s[12:13], 0
.LBB275_161:                            ; =>This Inner Loop Header: Depth=1
	ds_read2st64_b32 v[12:13], v10 offset1:2
	v_add_u32_e32 v9, -1, v9
	v_cmp_eq_u32_e32 vcc, 0, v9
	s_or_b64 s[12:13], vcc, s[12:13]
	s_waitcnt lgkmcnt(0)
	v_pk_mul_f32 v[12:13], v[4:5], v[12:13]
	ds_write2st64_b32 v10, v12, v13 offset1:2
	v_add_u32_e32 v10, 0x400, v10
	s_andn2_b64 exec, exec, s[12:13]
	s_cbranch_execnz .LBB275_161
.LBB275_162:
	s_or_b64 exec, exec, s[10:11]
	v_add_u32_e32 v8, 1, v8
	v_and_b32_e32 v9, 0x3fffffe, v8
	v_cmp_ne_u32_e32 vcc, v8, v9
	v_lshl_add_u32 v5, v9, 7, v0
	s_orn2_b64 s[10:11], vcc, exec
.LBB275_163:
	s_or_b64 exec, exec, s[6:7]
	s_and_b64 exec, exec, s[10:11]
	s_cbranch_execz .LBB275_166
; %bb.164:
	v_mov_b32_e32 v8, 0x90
	v_lshl_add_u32 v8, v5, 2, v8
	s_mov_b64 s[6:7], 0
.LBB275_165:                            ; =>This Inner Loop Header: Depth=1
	ds_read_b32 v9, v8
	v_add_u32_e32 v5, 0x80, v5
	v_cmp_le_i32_e32 vcc, s3, v5
	s_or_b64 s[6:7], vcc, s[6:7]
	s_waitcnt lgkmcnt(0)
	v_mul_f32_e32 v9, v4, v9
	ds_write_b32 v8, v9
	v_add_u32_e32 v8, 0x200, v8
	s_andn2_b64 exec, exec, s[6:7]
	s_cbranch_execnz .LBB275_165
.LBB275_166:
	s_or_b64 exec, exec, s[0:1]
	s_mul_i32 s0, s25, s28
	v_cmp_eq_u32_e32 vcc, 0, v0
	s_mul_i32 s6, s0, s5
	s_waitcnt lgkmcnt(0)
	s_barrier
	s_and_saveexec_b64 s[0:1], vcc
	s_cbranch_execz .LBB275_168
; %bb.167:
	s_ashr_i32 s7, s6, 31
	s_lshl_b64 s[10:11], s[6:7], 2
	s_add_u32 s5, s22, s10
	s_mul_i32 s2, s25, s2
	s_addc_u32 s7, s23, s11
	s_ashr_i32 s3, s2, 31
	s_lshl_b64 s[2:3], s[2:3], 2
	s_add_u32 s18, s5, s2
	s_addc_u32 s7, s7, s3
	s_ashr_i32 s5, s4, 31
	s_lshl_b64 s[12:13], s[4:5], 2
	s_add_u32 s18, s18, s12
	s_addc_u32 s19, s7, s13
	s_add_u32 s5, s20, s10
	s_addc_u32 s7, s21, s11
	;; [unrolled: 2-line block ×3, first 2 shown]
	s_add_u32 s2, s2, s12
	v_mov_b32_e32 v4, 0
	s_addc_u32 s3, s3, s13
	global_store_dword v4, v6, s[18:19]
	global_store_dword v4, v7, s[2:3]
.LBB275_168:
	s_or_b64 exec, exec, s[0:1]
	v_mov_b32_e32 v7, 0
	v_and_b32_e32 v23, 1, v0
	v_mov_b32_e32 v6, 0
	s_and_saveexec_b64 s[2:3], s[8:9]
	s_cbranch_execz .LBB275_304
; %bb.169:
	s_ashr_i32 s1, s47, 31
	v_lshlrev_b32_e32 v4, 3, v0
	s_add_u32 s0, s36, s47
	v_and_b32_e32 v6, 8, v4
	s_addc_u32 s1, s37, s1
	v_and_b32_e32 v4, 0x1f8, v4
	v_mov_b32_e32 v5, 0
	s_add_i32 s7, s16, -1
	v_lshl_add_u64 v[8:9], s[0:1], 0, v[4:5]
	s_lshl_b64 s[0:1], s[34:35], 2
	v_lshlrev_b32_e32 v4, 5, v23
	s_add_u32 s0, s30, s0
	v_lshl_or_b32 v1, v1, 6, v4
	s_addc_u32 s1, s31, s1
	s_mov_b32 s5, s17
	s_mov_b32 s18, s29
	v_add3_u32 v24, s46, v14, v6
	v_add_u32_e32 v1, 0x90, v1
	v_lshl_add_u64 v[10:11], v[2:3], 2, s[0:1]
	s_mov_b64 s[8:9], 0
	s_movk_i32 s19, 0x7f
	s_movk_i32 s20, 0x80
	s_mov_b32 s21, 0x8000
	s_movk_i32 s22, 0x380
	s_mov_b32 s23, 0x3020706
	s_mov_b32 s28, 0x1000504
	;; [unrolled: 1-line block ×3, first 2 shown]
	v_mov_b32_e32 v3, 0x1c00
	v_mov_b32_e32 v7, 0
	;; [unrolled: 1-line block ×3, first 2 shown]
	s_branch .LBB275_171
.LBB275_170:                            ;   in Loop: Header=BB275_171 Depth=1
	s_or_b64 exec, exec, s[0:1]
	;;#ASMSTART
	v_pk_mul_f16 v12, v30, v12;

	;;#ASMEND
	;;#ASMSTART
	v_pk_mul_f16 v4, v31, v4;

	;;#ASMEND
	;; [unrolled: 4-line block ×4, first 2 shown]
	v_add_u32_e32 v2, 2, v2
	;;#ASMSTART
	v_pk_add_f16 v4, v12, v4;

	;;#ASMEND
	v_add_f32_e32 v16, v34, v35
	;;#ASMSTART
	v_pk_add_f16 v4, v4, v13;

	;;#ASMEND
	v_cmp_le_i32_e32 vcc, s33, v2
	;;#ASMSTART
	v_pk_add_f16 v4, v4, v14;

	;;#ASMEND
	v_add_f32_e32 v6, v6, v16
	v_lshrrev_b32_e32 v12, 16, v4
	v_and_b32_e32 v4, 0xffff, v4
	;;#ASMSTART
	v_cvt_f32_f16 v4, v4;
	;;#ASMEND
	;;#ASMSTART
	v_cvt_f32_f16 v12, v12;
	;;#ASMEND
	v_add_u32_e32 v24, 32, v24
	v_add_f32_e32 v4, v4, v12
	v_add_f32_e32 v7, v7, v4
	v_add_u32_e32 v1, 0x80, v1
	s_or_b64 s[8:9], vcc, s[8:9]
	v_lshl_add_u64 v[10:11], v[10:11], 0, 8
	s_andn2_b64 exec, exec, s[8:9]
	s_cbranch_execz .LBB275_303
.LBB275_171:                            ; =>This Inner Loop Header: Depth=1
	ds_read2_b64 v[16:19], v1 offset1:1
	ds_read2_b64 v[26:29], v1 offset0:2 offset1:3
                                        ; implicit-def: $sgpr16
	s_waitcnt lgkmcnt(1)
	;;#ASMSTART
	v_cvt_f16_f32 v30, v16;

	;;#ASMEND
	;;#ASMSTART
	v_cvt_f16_f32 v31, v17;

	;;#ASMEND
	;;#ASMSTART
	v_cvt_f16_f32 v32, v18;

	;;#ASMEND
	;;#ASMSTART
	v_cvt_f16_f32 v33, v19;

	;;#ASMEND
	s_waitcnt lgkmcnt(0)
	;;#ASMSTART
	v_cvt_f16_f32 v34, v26;

	;;#ASMEND
	;;#ASMSTART
	v_cvt_f16_f32 v35, v27;

	;;#ASMEND
	;; [unrolled: 4-line block ×4, first 2 shown]
	global_load_dword v4, v[10:11], off
	s_waitcnt vmcnt(0)
	v_mad_i64_i32 v[12:13], s[0:1], v4, s5, v[8:9]
	global_load_dwordx2 v[16:17], v[12:13], off
	global_load_dword v14, v5, s[14:15]
	s_mov_b64 s[0:1], 0
	s_waitcnt vmcnt(1)
	v_cmp_gt_i16_sdwa s[10:11], v16, s19 src0_sel:BYTE_0 src1_sel:DWORD
	s_and_saveexec_b64 s[12:13], s[10:11]
	s_xor_b64 s[10:11], exec, s[12:13]
	s_cbranch_execnz .LBB275_239
; %bb.172:                              ;   in Loop: Header=BB275_171 Depth=1
	s_or_saveexec_b64 s[10:11], s[10:11]
	v_mov_b32_e32 v18, s16
	s_xor_b64 exec, exec, s[10:11]
	s_cbranch_execnz .LBB275_242
.LBB275_173:                            ;   in Loop: Header=BB275_171 Depth=1
	s_or_b64 exec, exec, s[10:11]
	s_and_saveexec_b64 s[10:11], s[0:1]
	s_cbranch_execz .LBB275_175
.LBB275_174:                            ;   in Loop: Header=BB275_171 Depth=1
	v_and_b32_e32 v4, 7, v16
	v_ffbh_u32_e32 v4, v4
	v_bfe_u32 v18, v16, 3, 4
	v_min_u32_e32 v4, 32, v4
	v_subrev_u32_e32 v19, 28, v4
	v_sub_u32_e32 v4, 29, v4
	v_cmp_eq_u32_e32 vcc, 0, v18
	s_nop 1
	v_cndmask_b32_e32 v4, v18, v4, vcc
	v_cndmask_b32_e32 v18, 0, v19, vcc
	v_lshlrev_b64 v[18:19], v18, v[16:17]
	v_lshlrev_b32_e32 v19, 8, v16
	v_lshl_add_u32 v4, v4, 10, v3
	v_lshlrev_b32_e32 v18, 7, v18
	v_and_or_b32 v4, v19, s21, v4
	v_and_or_b32 v4, v18, s22, v4
	v_cvt_f32_f16_e32 v18, v4
.LBB275_175:                            ;   in Loop: Header=BB275_171 Depth=1
	s_or_b64 exec, exec, s[10:11]
	v_lshrrev_b16_e32 v4, 8, v16
	v_cmp_lt_i16_e32 vcc, s19, v4
	s_mov_b64 s[0:1], 0
                                        ; implicit-def: $sgpr16
	s_and_saveexec_b64 s[10:11], vcc
	s_xor_b64 s[10:11], exec, s[10:11]
	s_cbranch_execnz .LBB275_243
; %bb.176:                              ;   in Loop: Header=BB275_171 Depth=1
	s_or_saveexec_b64 s[10:11], s[10:11]
	v_mov_b32_e32 v20, s16
	s_xor_b64 exec, exec, s[10:11]
	s_cbranch_execnz .LBB275_246
.LBB275_177:                            ;   in Loop: Header=BB275_171 Depth=1
	s_or_b64 exec, exec, s[10:11]
	s_and_saveexec_b64 s[10:11], s[0:1]
	s_cbranch_execz .LBB275_179
.LBB275_178:                            ;   in Loop: Header=BB275_171 Depth=1
	v_and_b32_e32 v19, 7, v4
	v_ffbh_u32_e32 v20, v19
	v_min_u32_e32 v26, 32, v20
	v_subrev_u32_e32 v20, 28, v26
	v_bfe_u32 v25, v4, 3, 4
	v_lshlrev_b64 v[20:21], v20, v[4:5]
	v_sub_u32_e32 v21, 29, v26
	v_cmp_eq_u32_e32 vcc, 0, v25
	v_and_b32_e32 v20, 7, v20
	v_lshlrev_b32_e32 v4, 8, v4
	v_cndmask_b32_e32 v21, v25, v21, vcc
	v_cndmask_b32_e32 v19, v19, v20, vcc
	v_lshl_add_u32 v20, v21, 10, v3
	v_and_or_b32 v4, v4, s21, v20
	v_lshl_or_b32 v4, v19, 7, v4
	v_cvt_f32_f16_e32 v20, v4
.LBB275_179:                            ;   in Loop: Header=BB275_171 Depth=1
	s_or_b64 exec, exec, s[10:11]
	v_lshrrev_b32_e32 v4, 16, v16
	v_cmp_gt_i16_sdwa s[10:11], v4, s19 src0_sel:BYTE_0 src1_sel:DWORD
	s_mov_b64 s[0:1], 0
                                        ; implicit-def: $sgpr16
	s_and_saveexec_b64 s[12:13], s[10:11]
	s_xor_b64 s[10:11], exec, s[12:13]
	s_cbranch_execnz .LBB275_247
; %bb.180:                              ;   in Loop: Header=BB275_171 Depth=1
	s_or_saveexec_b64 s[10:11], s[10:11]
	v_mov_b32_e32 v19, s16
	s_xor_b64 exec, exec, s[10:11]
	s_cbranch_execnz .LBB275_250
.LBB275_181:                            ;   in Loop: Header=BB275_171 Depth=1
	s_or_b64 exec, exec, s[10:11]
	s_and_saveexec_b64 s[10:11], s[0:1]
	s_cbranch_execz .LBB275_183
.LBB275_182:                            ;   in Loop: Header=BB275_171 Depth=1
	v_bfe_u32 v19, v16, 16, 3
	v_ffbh_u32_e32 v25, v19
	v_bfe_u32 v21, v16, 19, 4
	v_min_u32_e32 v25, 32, v25
	v_subrev_u32_e32 v26, 28, v25
	v_sub_u32_e32 v25, 29, v25
	v_cmp_eq_u32_e32 vcc, 0, v21
	v_lshlrev_b64 v[26:27], v26, v[4:5]
	v_and_b32_e32 v26, 7, v26
	v_cndmask_b32_e32 v21, v21, v25, vcc
	v_lshlrev_b32_e32 v4, 8, v4
	v_lshl_add_u32 v21, v21, 10, v3
	v_cndmask_b32_e32 v19, v19, v26, vcc
	v_and_or_b32 v4, v4, s21, v21
	v_lshl_or_b32 v4, v19, 7, v4
	v_cvt_f32_f16_e32 v19, v4
.LBB275_183:                            ;   in Loop: Header=BB275_171 Depth=1
	s_or_b64 exec, exec, s[10:11]
	v_lshrrev_b32_e32 v4, 24, v16
	v_cmp_lt_i16_e32 vcc, s19, v4
	s_mov_b64 s[0:1], 0
                                        ; implicit-def: $sgpr16
	s_and_saveexec_b64 s[10:11], vcc
	s_xor_b64 s[10:11], exec, s[10:11]
	s_cbranch_execnz .LBB275_251
; %bb.184:                              ;   in Loop: Header=BB275_171 Depth=1
	s_or_saveexec_b64 s[10:11], s[10:11]
	v_mov_b32_e32 v21, s16
	s_xor_b64 exec, exec, s[10:11]
	s_cbranch_execnz .LBB275_254
.LBB275_185:                            ;   in Loop: Header=BB275_171 Depth=1
	s_or_b64 exec, exec, s[10:11]
	s_and_saveexec_b64 s[10:11], s[0:1]
	s_cbranch_execz .LBB275_187
.LBB275_186:                            ;   in Loop: Header=BB275_171 Depth=1
	v_bfe_u32 v21, v16, 24, 3
	v_ffbh_u32_e32 v25, v21
	v_bfe_u32 v16, v16, 27, 4
	v_min_u32_e32 v25, 32, v25
	v_subrev_u32_e32 v26, 28, v25
	v_sub_u32_e32 v25, 29, v25
	v_cmp_eq_u32_e32 vcc, 0, v16
	v_lshlrev_b64 v[26:27], v26, v[4:5]
	v_and_b32_e32 v26, 7, v26
	v_cndmask_b32_e32 v16, v16, v25, vcc
	v_lshlrev_b32_e32 v4, 8, v4
	v_lshl_add_u32 v16, v16, 10, v3
	v_cndmask_b32_e32 v21, v21, v26, vcc
	v_and_or_b32 v4, v4, s21, v16
	v_lshl_or_b32 v4, v21, 7, v4
	v_cvt_f32_f16_e32 v21, v4
.LBB275_187:                            ;   in Loop: Header=BB275_171 Depth=1
	s_or_b64 exec, exec, s[10:11]
	v_cmp_gt_i16_sdwa s[10:11], v17, s19 src0_sel:BYTE_0 src1_sel:DWORD
	s_mov_b64 s[0:1], 0
                                        ; implicit-def: $sgpr16
	s_and_saveexec_b64 s[12:13], s[10:11]
	s_xor_b64 s[10:11], exec, s[12:13]
	s_cbranch_execnz .LBB275_255
; %bb.188:                              ;   in Loop: Header=BB275_171 Depth=1
	s_or_saveexec_b64 s[10:11], s[10:11]
	v_mov_b32_e32 v16, s16
	s_xor_b64 exec, exec, s[10:11]
	s_cbranch_execnz .LBB275_258
.LBB275_189:                            ;   in Loop: Header=BB275_171 Depth=1
	s_or_b64 exec, exec, s[10:11]
	v_mov_b32_e32 v4, v17
	s_and_saveexec_b64 s[10:11], s[0:1]
	s_cbranch_execz .LBB275_191
.LBB275_190:                            ;   in Loop: Header=BB275_171 Depth=1
	v_and_b32_e32 v16, 7, v17
	v_ffbh_u32_e32 v16, v16
	v_bfe_u32 v25, v17, 3, 4
	v_min_u32_e32 v16, 32, v16
	v_subrev_u32_e32 v26, 28, v16
	v_sub_u32_e32 v16, 29, v16
	v_cmp_eq_u32_e32 vcc, 0, v25
	s_nop 1
	v_cndmask_b32_e32 v16, v25, v16, vcc
	v_cndmask_b32_e32 v25, 0, v26, vcc
	v_lshlrev_b64 v[26:27], v25, v[4:5]
	v_lshlrev_b32_e32 v25, 7, v26
	v_lshlrev_b32_e32 v26, 8, v17
	v_lshl_add_u32 v16, v16, 10, v3
	v_and_or_b32 v16, v26, s21, v16
	v_and_or_b32 v16, v25, s22, v16
	v_cvt_f32_f16_e32 v16, v16
.LBB275_191:                            ;   in Loop: Header=BB275_171 Depth=1
	s_or_b64 exec, exec, s[10:11]
	v_lshrrev_b16_e32 v4, 8, v4
	v_cmp_lt_i16_e32 vcc, s19, v4
	s_mov_b64 s[0:1], 0
                                        ; implicit-def: $sgpr16
	s_and_saveexec_b64 s[10:11], vcc
	s_xor_b64 s[10:11], exec, s[10:11]
	s_cbranch_execnz .LBB275_259
; %bb.192:                              ;   in Loop: Header=BB275_171 Depth=1
	s_or_saveexec_b64 s[10:11], s[10:11]
	v_mov_b32_e32 v25, s16
	s_xor_b64 exec, exec, s[10:11]
	s_cbranch_execnz .LBB275_262
.LBB275_193:                            ;   in Loop: Header=BB275_171 Depth=1
	s_or_b64 exec, exec, s[10:11]
	s_and_saveexec_b64 s[10:11], s[0:1]
	s_cbranch_execz .LBB275_195
.LBB275_194:                            ;   in Loop: Header=BB275_171 Depth=1
	v_and_b32_e32 v25, 7, v4
	v_ffbh_u32_e32 v26, v25
	v_min_u32_e32 v29, 32, v26
	v_subrev_u32_e32 v26, 28, v29
	v_bfe_u32 v28, v4, 3, 4
	v_lshlrev_b64 v[26:27], v26, v[4:5]
	v_sub_u32_e32 v27, 29, v29
	v_cmp_eq_u32_e32 vcc, 0, v28
	v_and_b32_e32 v26, 7, v26
	v_lshlrev_b32_e32 v4, 8, v4
	v_cndmask_b32_e32 v27, v28, v27, vcc
	v_cndmask_b32_e32 v25, v25, v26, vcc
	v_lshl_add_u32 v26, v27, 10, v3
	v_and_or_b32 v4, v4, s21, v26
	v_lshl_or_b32 v4, v25, 7, v4
	v_cvt_f32_f16_e32 v25, v4
.LBB275_195:                            ;   in Loop: Header=BB275_171 Depth=1
	s_or_b64 exec, exec, s[10:11]
	v_lshrrev_b32_e32 v4, 16, v17
	v_cmp_gt_i16_sdwa s[10:11], v4, s19 src0_sel:BYTE_0 src1_sel:DWORD
	s_mov_b64 s[0:1], 0
                                        ; implicit-def: $sgpr16
	s_and_saveexec_b64 s[12:13], s[10:11]
	s_xor_b64 s[10:11], exec, s[12:13]
	s_cbranch_execnz .LBB275_263
; %bb.196:                              ;   in Loop: Header=BB275_171 Depth=1
	s_or_saveexec_b64 s[10:11], s[10:11]
	v_mov_b32_e32 v26, s16
	s_xor_b64 exec, exec, s[10:11]
	s_cbranch_execnz .LBB275_266
.LBB275_197:                            ;   in Loop: Header=BB275_171 Depth=1
	s_or_b64 exec, exec, s[10:11]
	s_and_saveexec_b64 s[10:11], s[0:1]
	s_cbranch_execz .LBB275_199
.LBB275_198:                            ;   in Loop: Header=BB275_171 Depth=1
	v_bfe_u32 v28, v17, 16, 3
	v_ffbh_u32_e32 v26, v28
	v_min_u32_e32 v38, 32, v26
	v_subrev_u32_e32 v26, 28, v38
	v_bfe_u32 v29, v17, 19, 4
	v_lshlrev_b64 v[26:27], v26, v[4:5]
	v_sub_u32_e32 v27, 29, v38
	v_cmp_eq_u32_e32 vcc, 0, v29
	v_and_b32_e32 v26, 7, v26
	v_lshlrev_b32_e32 v4, 8, v4
	v_cndmask_b32_e32 v27, v29, v27, vcc
	v_lshl_add_u32 v27, v27, 10, v3
	v_cndmask_b32_e32 v26, v28, v26, vcc
	v_and_or_b32 v4, v4, s21, v27
	v_lshl_or_b32 v4, v26, 7, v4
	v_cvt_f32_f16_e32 v26, v4
.LBB275_199:                            ;   in Loop: Header=BB275_171 Depth=1
	s_or_b64 exec, exec, s[10:11]
	v_lshrrev_b32_e32 v4, 24, v17
	v_cmp_lt_i16_e32 vcc, s19, v4
	s_mov_b64 s[0:1], 0
                                        ; implicit-def: $sgpr16
	s_and_saveexec_b64 s[10:11], vcc
	s_xor_b64 s[10:11], exec, s[10:11]
	s_cbranch_execnz .LBB275_267
; %bb.200:                              ;   in Loop: Header=BB275_171 Depth=1
	s_or_saveexec_b64 s[10:11], s[10:11]
	v_mov_b32_e32 v27, s16
	s_xor_b64 exec, exec, s[10:11]
	s_cbranch_execnz .LBB275_270
.LBB275_201:                            ;   in Loop: Header=BB275_171 Depth=1
	s_or_b64 exec, exec, s[10:11]
	s_and_saveexec_b64 s[10:11], s[0:1]
	s_cbranch_execz .LBB275_203
.LBB275_202:                            ;   in Loop: Header=BB275_171 Depth=1
	v_bfe_u32 v27, v17, 24, 3
	v_ffbh_u32_e32 v28, v27
	v_min_u32_e32 v38, 32, v28
	v_subrev_u32_e32 v28, 28, v38
	v_bfe_u32 v17, v17, 27, 4
	v_lshlrev_b64 v[28:29], v28, v[4:5]
	v_sub_u32_e32 v29, 29, v38
	v_cmp_eq_u32_e32 vcc, 0, v17
	v_and_b32_e32 v28, 7, v28
	v_lshlrev_b32_e32 v4, 8, v4
	v_cndmask_b32_e32 v17, v17, v29, vcc
	v_lshl_add_u32 v17, v17, 10, v3
	v_cndmask_b32_e32 v27, v27, v28, vcc
	v_and_or_b32 v4, v4, s21, v17
	v_lshl_or_b32 v4, v27, 7, v4
	v_cvt_f32_f16_e32 v27, v4
.LBB275_203:                            ;   in Loop: Header=BB275_171 Depth=1
	s_or_b64 exec, exec, s[10:11]
	s_waitcnt vmcnt(0)
	v_pk_mul_f32 v[20:21], v[14:15], v[20:21] op_sel_hi:[0,1]
	v_pk_mul_f32 v[18:19], v[14:15], v[18:19] op_sel_hi:[0,1]
	v_cvt_f16_f32_e32 v4, v21
	v_cvt_f16_f32_e32 v17, v20
	;; [unrolled: 1-line block ×4, first 2 shown]
	v_fma_mixlo_f16 v16, v14, v16, 0
	v_pack_b32_f16 v17, v17, v4
	v_cmp_eq_u32_e32 vcc, s7, v2
	v_pack_b32_f16 v18, v18, v19
	v_perm_b32 v4, v18, v17, s23
	v_perm_b32 v17, v18, v17, s28
	v_fma_mixlo_f16 v18, v14, v25, 0
	v_lshlrev_b32_e32 v18, 16, v18
	v_or_b32_sdwa v16, v18, v16 dst_sel:DWORD dst_unused:UNUSED_PAD src0_sel:DWORD src1_sel:WORD_0
	v_fma_mixlo_f16 v18, v14, v26, 0
	v_fma_mixlo_f16 v14, v14, v27, 0
	v_lshlrev_b32_e32 v14, 16, v14
	v_or_b32_sdwa v14, v14, v18 dst_sel:DWORD dst_unused:UNUSED_PAD src0_sel:DWORD src1_sel:WORD_0
	v_add_u32_e32 v29, 1, v24
	v_or_b32_e32 v28, 3, v24
	v_or_b32_e32 v27, 2, v24
	;; [unrolled: 1-line block ×6, first 2 shown]
	s_and_saveexec_b64 s[10:11], vcc
	s_cbranch_execz .LBB275_205
; %bb.204:                              ;   in Loop: Header=BB275_171 Depth=1
	v_lshrrev_b32_e32 v19, 16, v17
	v_cmp_gt_i32_e64 s[0:1], s18, v29
	v_lshrrev_b32_e32 v14, 16, v14
	s_nop 0
	v_cndmask_b32_e64 v19, 0, v19, s[0:1]
	v_cmp_gt_i32_e64 s[0:1], s29, v24
	s_nop 1
	v_cndmask_b32_e64 v17, 0, v17, s[0:1]
	v_perm_b32 v17, v19, v17, s30
	v_lshrrev_b32_e32 v19, 16, v4
	v_cmp_gt_i32_e64 s[0:1], s18, v28
	s_nop 1
	v_cndmask_b32_e64 v19, 0, v19, s[0:1]
	v_cmp_gt_i32_e64 s[0:1], s29, v27
	s_nop 1
	v_cndmask_b32_e64 v4, 0, v4, s[0:1]
	v_perm_b32 v4, v19, v4, s30
	v_lshrrev_b32_e32 v19, 16, v16
	v_cmp_gt_i32_e64 s[0:1], s18, v26
	s_nop 1
	v_cndmask_b32_e64 v19, 0, v19, s[0:1]
	v_cmp_gt_i32_e64 s[0:1], s29, v25
	s_nop 1
	v_cndmask_b32_e64 v16, 0, v16, s[0:1]
	v_cmp_gt_i32_e64 s[0:1], s18, v21
	v_perm_b32 v16, v19, v16, s30
	s_nop 0
	v_cndmask_b32_e64 v14, 0, v14, s[0:1]
	v_cmp_gt_i32_e64 s[0:1], s29, v20
	s_nop 1
	v_cndmask_b32_e64 v18, 0, v18, s[0:1]
	v_perm_b32 v14, v14, v18, s30
.LBB275_205:                            ;   in Loop: Header=BB275_171 Depth=1
	s_or_b64 exec, exec, s[10:11]
	v_and_b32_e32 v18, 0xffff, v30
	v_lshl_or_b32 v30, v31, 16, v18
	v_and_b32_e32 v18, 0xffff, v32
	v_lshl_or_b32 v31, v33, 16, v18
	;; [unrolled: 2-line block ×3, first 2 shown]
	v_and_b32_e32 v18, 0xffff, v36
	;;#ASMSTART
	v_pk_mul_f16 v17, v30, v17;

	;;#ASMEND
	;;#ASMSTART
	v_pk_mul_f16 v4, v31, v4;

	;;#ASMEND
	v_lshl_or_b32 v33, v37, 16, v18
	;;#ASMSTART
	v_pk_mul_f16 v16, v32, v16;

	;;#ASMEND
	;;#ASMSTART
	v_pk_mul_f16 v14, v33, v14;

	;;#ASMEND
	;;#ASMSTART
	v_pk_add_f16 v4, v17, v4;

	;;#ASMEND
	s_mov_b64 s[0:1], 0
	;;#ASMSTART
	v_pk_add_f16 v4, v4, v16;

	;;#ASMEND
                                        ; implicit-def: $sgpr16
	s_nop 0
	;;#ASMSTART
	v_pk_add_f16 v4, v4, v14;

	;;#ASMEND
	s_nop 0
	v_lshrrev_b32_e32 v14, 16, v4
	v_and_b32_e32 v4, 0xffff, v4
	;;#ASMSTART
	v_cvt_f32_f16 v34, v4;
	;;#ASMEND
	;;#ASMSTART
	v_cvt_f32_f16 v35, v14;
	;;#ASMEND
	global_load_dwordx2 v[16:17], v[12:13], off offset:512
	global_load_dword v14, v5, s[14:15]
	s_waitcnt vmcnt(1)
	v_cmp_gt_i16_sdwa s[10:11], v16, s19 src0_sel:BYTE_0 src1_sel:DWORD
	s_and_saveexec_b64 s[12:13], s[10:11]
	s_xor_b64 s[10:11], exec, s[12:13]
	s_cbranch_execnz .LBB275_271
; %bb.206:                              ;   in Loop: Header=BB275_171 Depth=1
	s_or_saveexec_b64 s[10:11], s[10:11]
	v_mov_b32_e32 v12, s16
	s_xor_b64 exec, exec, s[10:11]
	s_cbranch_execnz .LBB275_274
.LBB275_207:                            ;   in Loop: Header=BB275_171 Depth=1
	s_or_b64 exec, exec, s[10:11]
	s_and_saveexec_b64 s[10:11], s[0:1]
	s_cbranch_execz .LBB275_209
.LBB275_208:                            ;   in Loop: Header=BB275_171 Depth=1
	v_and_b32_e32 v4, 7, v16
	v_ffbh_u32_e32 v4, v4
	v_bfe_u32 v12, v16, 3, 4
	v_min_u32_e32 v4, 32, v4
	v_subrev_u32_e32 v13, 28, v4
	v_sub_u32_e32 v4, 29, v4
	v_cmp_eq_u32_e64 s[0:1], 0, v12
	s_nop 1
	v_cndmask_b32_e64 v4, v12, v4, s[0:1]
	v_cndmask_b32_e64 v12, 0, v13, s[0:1]
	v_lshlrev_b64 v[12:13], v12, v[16:17]
	v_lshlrev_b32_e32 v13, 8, v16
	v_lshl_add_u32 v4, v4, 10, v3
	v_lshlrev_b32_e32 v12, 7, v12
	v_and_or_b32 v4, v13, s21, v4
	v_and_or_b32 v4, v12, s22, v4
	v_cvt_f32_f16_e32 v12, v4
.LBB275_209:                            ;   in Loop: Header=BB275_171 Depth=1
	s_or_b64 exec, exec, s[10:11]
	v_lshrrev_b16_e32 v4, 8, v16
	v_cmp_lt_i16_e64 s[0:1], s19, v4
	s_mov_b64 s[10:11], 0
                                        ; implicit-def: $sgpr31
	s_and_saveexec_b64 s[12:13], s[0:1]
	s_xor_b64 s[12:13], exec, s[12:13]
	s_cbranch_execnz .LBB275_275
; %bb.210:                              ;   in Loop: Header=BB275_171 Depth=1
	s_or_saveexec_b64 s[12:13], s[12:13]
	v_mov_b32_e32 v18, s31
	s_xor_b64 exec, exec, s[12:13]
	s_cbranch_execnz .LBB275_278
.LBB275_211:                            ;   in Loop: Header=BB275_171 Depth=1
	s_or_b64 exec, exec, s[12:13]
	s_and_saveexec_b64 s[12:13], s[10:11]
	s_cbranch_execz .LBB275_213
.LBB275_212:                            ;   in Loop: Header=BB275_171 Depth=1
	v_and_b32_e32 v13, 7, v4
	v_ffbh_u32_e32 v18, v13
	v_min_u32_e32 v37, 32, v18
	v_subrev_u32_e32 v18, 28, v37
	v_bfe_u32 v36, v4, 3, 4
	v_lshlrev_b64 v[18:19], v18, v[4:5]
	v_sub_u32_e32 v19, 29, v37
	v_cmp_eq_u32_e64 s[0:1], 0, v36
	v_and_b32_e32 v18, 7, v18
	v_lshlrev_b32_e32 v4, 8, v4
	v_cndmask_b32_e64 v19, v36, v19, s[0:1]
	v_cndmask_b32_e64 v13, v13, v18, s[0:1]
	v_lshl_add_u32 v18, v19, 10, v3
	v_and_or_b32 v4, v4, s21, v18
	v_lshl_or_b32 v4, v13, 7, v4
	v_cvt_f32_f16_e32 v18, v4
.LBB275_213:                            ;   in Loop: Header=BB275_171 Depth=1
	s_or_b64 exec, exec, s[12:13]
	v_lshrrev_b32_e32 v4, 16, v16
	v_cmp_gt_i16_sdwa s[10:11], v4, s19 src0_sel:BYTE_0 src1_sel:DWORD
	s_mov_b64 s[0:1], 0
                                        ; implicit-def: $sgpr16
	s_and_saveexec_b64 s[12:13], s[10:11]
	s_xor_b64 s[10:11], exec, s[12:13]
	s_cbranch_execnz .LBB275_279
; %bb.214:                              ;   in Loop: Header=BB275_171 Depth=1
	s_or_saveexec_b64 s[10:11], s[10:11]
	v_mov_b32_e32 v13, s16
	s_xor_b64 exec, exec, s[10:11]
	s_cbranch_execnz .LBB275_282
.LBB275_215:                            ;   in Loop: Header=BB275_171 Depth=1
	s_or_b64 exec, exec, s[10:11]
	s_and_saveexec_b64 s[10:11], s[0:1]
	s_cbranch_execz .LBB275_217
.LBB275_216:                            ;   in Loop: Header=BB275_171 Depth=1
	v_bfe_u32 v13, v16, 16, 3
	v_ffbh_u32_e32 v36, v13
	v_min_u32_e32 v38, 32, v36
	v_subrev_u32_e32 v36, 28, v38
	v_bfe_u32 v19, v16, 19, 4
	v_lshlrev_b64 v[36:37], v36, v[4:5]
	v_sub_u32_e32 v37, 29, v38
	v_cmp_eq_u32_e64 s[0:1], 0, v19
	v_and_b32_e32 v36, 7, v36
	v_lshlrev_b32_e32 v4, 8, v4
	v_cndmask_b32_e64 v19, v19, v37, s[0:1]
	v_lshl_add_u32 v19, v19, 10, v3
	v_cndmask_b32_e64 v13, v13, v36, s[0:1]
	v_and_or_b32 v4, v4, s21, v19
	v_lshl_or_b32 v4, v13, 7, v4
	v_cvt_f32_f16_e32 v13, v4
.LBB275_217:                            ;   in Loop: Header=BB275_171 Depth=1
	s_or_b64 exec, exec, s[10:11]
	v_lshrrev_b32_e32 v4, 24, v16
	v_cmp_lt_i16_e64 s[0:1], s19, v4
	s_mov_b64 s[10:11], 0
                                        ; implicit-def: $sgpr31
	s_and_saveexec_b64 s[12:13], s[0:1]
	s_xor_b64 s[12:13], exec, s[12:13]
	s_cbranch_execnz .LBB275_283
; %bb.218:                              ;   in Loop: Header=BB275_171 Depth=1
	s_or_saveexec_b64 s[12:13], s[12:13]
	v_mov_b32_e32 v19, s31
	s_xor_b64 exec, exec, s[12:13]
	s_cbranch_execnz .LBB275_286
.LBB275_219:                            ;   in Loop: Header=BB275_171 Depth=1
	s_or_b64 exec, exec, s[12:13]
	s_and_saveexec_b64 s[12:13], s[10:11]
	s_cbranch_execz .LBB275_221
.LBB275_220:                            ;   in Loop: Header=BB275_171 Depth=1
	v_bfe_u32 v19, v16, 24, 3
	v_ffbh_u32_e32 v36, v19
	v_min_u32_e32 v38, 32, v36
	v_subrev_u32_e32 v36, 28, v38
	v_bfe_u32 v16, v16, 27, 4
	v_lshlrev_b64 v[36:37], v36, v[4:5]
	v_sub_u32_e32 v37, 29, v38
	v_cmp_eq_u32_e64 s[0:1], 0, v16
	v_and_b32_e32 v36, 7, v36
	v_lshlrev_b32_e32 v4, 8, v4
	v_cndmask_b32_e64 v16, v16, v37, s[0:1]
	v_lshl_add_u32 v16, v16, 10, v3
	v_cndmask_b32_e64 v19, v19, v36, s[0:1]
	v_and_or_b32 v4, v4, s21, v16
	v_lshl_or_b32 v4, v19, 7, v4
	v_cvt_f32_f16_e32 v19, v4
.LBB275_221:                            ;   in Loop: Header=BB275_171 Depth=1
	s_or_b64 exec, exec, s[12:13]
	v_cmp_gt_i16_sdwa s[10:11], v17, s19 src0_sel:BYTE_0 src1_sel:DWORD
	s_mov_b64 s[0:1], 0
                                        ; implicit-def: $sgpr16
	s_and_saveexec_b64 s[12:13], s[10:11]
	s_xor_b64 s[10:11], exec, s[12:13]
	s_cbranch_execnz .LBB275_287
; %bb.222:                              ;   in Loop: Header=BB275_171 Depth=1
	s_or_saveexec_b64 s[10:11], s[10:11]
	v_mov_b32_e32 v16, s16
	s_xor_b64 exec, exec, s[10:11]
	s_cbranch_execnz .LBB275_290
.LBB275_223:                            ;   in Loop: Header=BB275_171 Depth=1
	s_or_b64 exec, exec, s[10:11]
	v_mov_b32_e32 v4, v17
	s_and_saveexec_b64 s[10:11], s[0:1]
	s_cbranch_execz .LBB275_225
.LBB275_224:                            ;   in Loop: Header=BB275_171 Depth=1
	v_and_b32_e32 v16, 7, v17
	v_ffbh_u32_e32 v16, v16
	v_bfe_u32 v36, v17, 3, 4
	v_min_u32_e32 v16, 32, v16
	v_subrev_u32_e32 v37, 28, v16
	v_sub_u32_e32 v16, 29, v16
	v_cmp_eq_u32_e64 s[0:1], 0, v36
	s_nop 1
	v_cndmask_b32_e64 v16, v36, v16, s[0:1]
	v_cndmask_b32_e64 v36, 0, v37, s[0:1]
	v_lshlrev_b64 v[36:37], v36, v[4:5]
	v_lshlrev_b32_e32 v37, 8, v17
	v_lshl_add_u32 v16, v16, 10, v3
	v_lshlrev_b32_e32 v36, 7, v36
	v_and_or_b32 v16, v37, s21, v16
	v_and_or_b32 v16, v36, s22, v16
	v_cvt_f32_f16_e32 v16, v16
.LBB275_225:                            ;   in Loop: Header=BB275_171 Depth=1
	s_or_b64 exec, exec, s[10:11]
	v_lshrrev_b16_e32 v4, 8, v4
	v_cmp_lt_i16_e64 s[0:1], s19, v4
	s_mov_b64 s[10:11], 0
                                        ; implicit-def: $sgpr31
	s_and_saveexec_b64 s[12:13], s[0:1]
	s_xor_b64 s[12:13], exec, s[12:13]
	s_cbranch_execnz .LBB275_291
; %bb.226:                              ;   in Loop: Header=BB275_171 Depth=1
	s_or_saveexec_b64 s[12:13], s[12:13]
	v_mov_b32_e32 v36, s31
	s_xor_b64 exec, exec, s[12:13]
	s_cbranch_execnz .LBB275_294
.LBB275_227:                            ;   in Loop: Header=BB275_171 Depth=1
	s_or_b64 exec, exec, s[12:13]
	s_and_saveexec_b64 s[12:13], s[10:11]
	s_cbranch_execz .LBB275_229
.LBB275_228:                            ;   in Loop: Header=BB275_171 Depth=1
	v_and_b32_e32 v38, 7, v4
	v_ffbh_u32_e32 v36, v38
	v_min_u32_e32 v40, 32, v36
	v_subrev_u32_e32 v36, 28, v40
	v_bfe_u32 v39, v4, 3, 4
	v_lshlrev_b64 v[36:37], v36, v[4:5]
	v_sub_u32_e32 v37, 29, v40
	v_cmp_eq_u32_e64 s[0:1], 0, v39
	v_and_b32_e32 v36, 7, v36
	v_lshlrev_b32_e32 v4, 8, v4
	v_cndmask_b32_e64 v37, v39, v37, s[0:1]
	v_lshl_add_u32 v37, v37, 10, v3
	v_cndmask_b32_e64 v36, v38, v36, s[0:1]
	v_and_or_b32 v4, v4, s21, v37
	v_lshl_or_b32 v4, v36, 7, v4
	v_cvt_f32_f16_e32 v36, v4
.LBB275_229:                            ;   in Loop: Header=BB275_171 Depth=1
	s_or_b64 exec, exec, s[12:13]
	v_lshrrev_b32_e32 v4, 16, v17
	v_cmp_gt_i16_sdwa s[10:11], v4, s19 src0_sel:BYTE_0 src1_sel:DWORD
	s_mov_b64 s[0:1], 0
                                        ; implicit-def: $sgpr16
	s_and_saveexec_b64 s[12:13], s[10:11]
	s_xor_b64 s[10:11], exec, s[12:13]
	s_cbranch_execnz .LBB275_295
; %bb.230:                              ;   in Loop: Header=BB275_171 Depth=1
	s_or_saveexec_b64 s[10:11], s[10:11]
	v_mov_b32_e32 v37, s16
	s_xor_b64 exec, exec, s[10:11]
	s_cbranch_execnz .LBB275_298
.LBB275_231:                            ;   in Loop: Header=BB275_171 Depth=1
	s_or_b64 exec, exec, s[10:11]
	s_and_saveexec_b64 s[10:11], s[0:1]
	s_cbranch_execz .LBB275_233
.LBB275_232:                            ;   in Loop: Header=BB275_171 Depth=1
	v_bfe_u32 v37, v17, 16, 3
	v_ffbh_u32_e32 v38, v37
	v_min_u32_e32 v41, 32, v38
	v_subrev_u32_e32 v38, 28, v41
	v_bfe_u32 v40, v17, 19, 4
	v_lshlrev_b64 v[38:39], v38, v[4:5]
	v_sub_u32_e32 v39, 29, v41
	v_cmp_eq_u32_e64 s[0:1], 0, v40
	v_and_b32_e32 v38, 7, v38
	v_lshlrev_b32_e32 v4, 8, v4
	v_cndmask_b32_e64 v39, v40, v39, s[0:1]
	v_cndmask_b32_e64 v37, v37, v38, s[0:1]
	v_lshl_add_u32 v38, v39, 10, v3
	v_and_or_b32 v4, v4, s21, v38
	v_lshl_or_b32 v4, v37, 7, v4
	v_cvt_f32_f16_e32 v37, v4
.LBB275_233:                            ;   in Loop: Header=BB275_171 Depth=1
	s_or_b64 exec, exec, s[10:11]
	v_lshrrev_b32_e32 v4, 24, v17
	v_cmp_lt_i16_e64 s[0:1], s19, v4
	s_mov_b64 s[10:11], 0
                                        ; implicit-def: $sgpr31
	s_and_saveexec_b64 s[12:13], s[0:1]
	s_xor_b64 s[12:13], exec, s[12:13]
	s_cbranch_execnz .LBB275_299
; %bb.234:                              ;   in Loop: Header=BB275_171 Depth=1
	s_or_saveexec_b64 s[12:13], s[12:13]
	v_mov_b32_e32 v38, s31
	s_xor_b64 exec, exec, s[12:13]
	s_cbranch_execnz .LBB275_302
.LBB275_235:                            ;   in Loop: Header=BB275_171 Depth=1
	s_or_b64 exec, exec, s[12:13]
	s_and_saveexec_b64 s[12:13], s[10:11]
	s_cbranch_execz .LBB275_237
.LBB275_236:                            ;   in Loop: Header=BB275_171 Depth=1
	v_bfe_u32 v40, v17, 24, 3
	v_ffbh_u32_e32 v38, v40
	v_min_u32_e32 v41, 32, v38
	v_subrev_u32_e32 v38, 28, v41
	v_bfe_u32 v17, v17, 27, 4
	v_lshlrev_b64 v[38:39], v38, v[4:5]
	v_sub_u32_e32 v39, 29, v41
	v_cmp_eq_u32_e64 s[0:1], 0, v17
	v_and_b32_e32 v38, 7, v38
	v_lshlrev_b32_e32 v4, 8, v4
	v_cndmask_b32_e64 v17, v17, v39, s[0:1]
	v_lshl_add_u32 v17, v17, 10, v3
	v_cndmask_b32_e64 v38, v40, v38, s[0:1]
	v_and_or_b32 v4, v4, s21, v17
	v_lshl_or_b32 v4, v38, 7, v4
	v_cvt_f32_f16_e32 v38, v4
.LBB275_237:                            ;   in Loop: Header=BB275_171 Depth=1
	s_or_b64 exec, exec, s[12:13]
	s_waitcnt vmcnt(0)
	v_pk_mul_f32 v[12:13], v[14:15], v[12:13] op_sel_hi:[0,1]
	v_cvt_f16_f32_e32 v13, v13
	v_cvt_f16_f32_e32 v12, v12
	v_pk_mul_f32 v[18:19], v[14:15], v[18:19] op_sel_hi:[0,1]
	v_cvt_f16_f32_e32 v4, v19
	v_cvt_f16_f32_e32 v17, v18
	v_pack_b32_f16 v12, v12, v13
	v_fma_mixlo_f16 v13, v14, v36, 0
	v_lshlrev_b32_e32 v13, 16, v13
	v_fma_mixlo_f16 v16, v14, v16, 0
	v_or_b32_sdwa v13, v13, v16 dst_sel:DWORD dst_unused:UNUSED_PAD src0_sel:DWORD src1_sel:WORD_0
	v_fma_mixlo_f16 v16, v14, v37, 0
	v_fma_mixlo_f16 v14, v14, v38, 0
	v_pack_b32_f16 v17, v17, v4
	v_lshlrev_b32_e32 v14, 16, v14
	v_perm_b32 v4, v12, v17, s23
	v_perm_b32 v12, v12, v17, s28
	v_or_b32_sdwa v14, v14, v16 dst_sel:DWORD dst_unused:UNUSED_PAD src0_sel:DWORD src1_sel:WORD_0
	s_and_saveexec_b64 s[0:1], vcc
	s_cbranch_execz .LBB275_170
; %bb.238:                              ;   in Loop: Header=BB275_171 Depth=1
	v_lshrrev_b32_e32 v17, 16, v12
	v_cmp_gt_i32_e32 vcc, s18, v29
	v_lshrrev_b32_e32 v14, 16, v14
	s_nop 0
	v_cndmask_b32_e32 v17, 0, v17, vcc
	v_cmp_gt_i32_e32 vcc, s29, v24
	s_nop 1
	v_cndmask_b32_e32 v12, 0, v12, vcc
	v_perm_b32 v12, v17, v12, s30
	v_lshrrev_b32_e32 v17, 16, v4
	v_cmp_gt_i32_e32 vcc, s18, v28
	s_nop 1
	v_cndmask_b32_e32 v17, 0, v17, vcc
	v_cmp_gt_i32_e32 vcc, s29, v27
	s_nop 1
	v_cndmask_b32_e32 v4, 0, v4, vcc
	v_perm_b32 v4, v17, v4, s30
	v_lshrrev_b32_e32 v17, 16, v13
	v_cmp_gt_i32_e32 vcc, s18, v26
	s_nop 1
	v_cndmask_b32_e32 v17, 0, v17, vcc
	v_cmp_gt_i32_e32 vcc, s29, v25
	s_nop 1
	v_cndmask_b32_e32 v13, 0, v13, vcc
	v_cmp_gt_i32_e32 vcc, s18, v21
	v_perm_b32 v13, v17, v13, s30
	s_nop 0
	v_cndmask_b32_e32 v14, 0, v14, vcc
	v_cmp_gt_i32_e32 vcc, s29, v20
	s_nop 1
	v_cndmask_b32_e32 v16, 0, v16, vcc
	v_perm_b32 v14, v14, v16, s30
	s_branch .LBB275_170
.LBB275_239:                            ;   in Loop: Header=BB275_171 Depth=1
	v_cmp_eq_u16_sdwa s[34:35], v16, s20 src0_sel:BYTE_0 src1_sel:DWORD
	s_mov_b64 s[0:1], -1
                                        ; implicit-def: $sgpr16
	s_and_saveexec_b64 s[12:13], s[34:35]
; %bb.240:                              ;   in Loop: Header=BB275_171 Depth=1
	s_mov_b32 s16, 0x7fc02000
	s_xor_b64 s[0:1], exec, -1
; %bb.241:                              ;   in Loop: Header=BB275_171 Depth=1
	s_or_b64 exec, exec, s[12:13]
	s_and_b64 s[0:1], s[0:1], exec
	s_or_saveexec_b64 s[10:11], s[10:11]
	v_mov_b32_e32 v18, s16
	s_xor_b64 exec, exec, s[10:11]
	s_cbranch_execz .LBB275_173
.LBB275_242:                            ;   in Loop: Header=BB275_171 Depth=1
	v_cmp_ne_u16_sdwa s[12:13], v16, v5 src0_sel:BYTE_0 src1_sel:DWORD
	s_andn2_b64 s[0:1], s[0:1], exec
	s_and_b64 s[12:13], s[12:13], exec
	v_mov_b32_e32 v18, 0
	s_or_b64 s[0:1], s[0:1], s[12:13]
	s_or_b64 exec, exec, s[10:11]
	s_and_saveexec_b64 s[10:11], s[0:1]
	s_cbranch_execnz .LBB275_174
	s_branch .LBB275_175
.LBB275_243:                            ;   in Loop: Header=BB275_171 Depth=1
	v_cmp_eq_u16_e32 vcc, s20, v4
	s_mov_b64 s[0:1], -1
                                        ; implicit-def: $sgpr16
	s_and_saveexec_b64 s[12:13], vcc
; %bb.244:                              ;   in Loop: Header=BB275_171 Depth=1
	s_mov_b32 s16, 0x7fc02000
	s_xor_b64 s[0:1], exec, -1
; %bb.245:                              ;   in Loop: Header=BB275_171 Depth=1
	s_or_b64 exec, exec, s[12:13]
	s_and_b64 s[0:1], s[0:1], exec
	s_or_saveexec_b64 s[10:11], s[10:11]
	v_mov_b32_e32 v20, s16
	s_xor_b64 exec, exec, s[10:11]
	s_cbranch_execz .LBB275_177
.LBB275_246:                            ;   in Loop: Header=BB275_171 Depth=1
	v_cmp_ne_u16_e32 vcc, 0, v4
	s_andn2_b64 s[0:1], s[0:1], exec
	s_and_b64 s[12:13], vcc, exec
	v_mov_b32_e32 v20, 0
	s_or_b64 s[0:1], s[0:1], s[12:13]
	s_or_b64 exec, exec, s[10:11]
	s_and_saveexec_b64 s[10:11], s[0:1]
	s_cbranch_execnz .LBB275_178
	s_branch .LBB275_179
.LBB275_247:                            ;   in Loop: Header=BB275_171 Depth=1
	v_cmp_eq_u16_sdwa s[34:35], v4, s20 src0_sel:BYTE_0 src1_sel:DWORD
	s_mov_b64 s[0:1], -1
                                        ; implicit-def: $sgpr16
	s_and_saveexec_b64 s[12:13], s[34:35]
; %bb.248:                              ;   in Loop: Header=BB275_171 Depth=1
	s_mov_b32 s16, 0x7fc02000
	s_xor_b64 s[0:1], exec, -1
; %bb.249:                              ;   in Loop: Header=BB275_171 Depth=1
	s_or_b64 exec, exec, s[12:13]
	s_and_b64 s[0:1], s[0:1], exec
	s_or_saveexec_b64 s[10:11], s[10:11]
	v_mov_b32_e32 v19, s16
	s_xor_b64 exec, exec, s[10:11]
	s_cbranch_execz .LBB275_181
.LBB275_250:                            ;   in Loop: Header=BB275_171 Depth=1
	v_cmp_ne_u16_sdwa s[12:13], v4, v5 src0_sel:BYTE_0 src1_sel:DWORD
	s_andn2_b64 s[0:1], s[0:1], exec
	s_and_b64 s[12:13], s[12:13], exec
	v_mov_b32_e32 v19, 0
	s_or_b64 s[0:1], s[0:1], s[12:13]
	s_or_b64 exec, exec, s[10:11]
	s_and_saveexec_b64 s[10:11], s[0:1]
	s_cbranch_execnz .LBB275_182
	s_branch .LBB275_183
.LBB275_251:                            ;   in Loop: Header=BB275_171 Depth=1
	v_cmp_eq_u16_e32 vcc, s20, v4
	s_mov_b64 s[0:1], -1
                                        ; implicit-def: $sgpr16
	s_and_saveexec_b64 s[12:13], vcc
; %bb.252:                              ;   in Loop: Header=BB275_171 Depth=1
	s_mov_b32 s16, 0x7fc02000
	s_xor_b64 s[0:1], exec, -1
; %bb.253:                              ;   in Loop: Header=BB275_171 Depth=1
	s_or_b64 exec, exec, s[12:13]
	s_and_b64 s[0:1], s[0:1], exec
	s_or_saveexec_b64 s[10:11], s[10:11]
	v_mov_b32_e32 v21, s16
	s_xor_b64 exec, exec, s[10:11]
	s_cbranch_execz .LBB275_185
.LBB275_254:                            ;   in Loop: Header=BB275_171 Depth=1
	v_cmp_ne_u16_e32 vcc, 0, v4
	s_andn2_b64 s[0:1], s[0:1], exec
	s_and_b64 s[12:13], vcc, exec
	v_mov_b32_e32 v21, 0
	s_or_b64 s[0:1], s[0:1], s[12:13]
	s_or_b64 exec, exec, s[10:11]
	s_and_saveexec_b64 s[10:11], s[0:1]
	s_cbranch_execnz .LBB275_186
	s_branch .LBB275_187
.LBB275_255:                            ;   in Loop: Header=BB275_171 Depth=1
	v_cmp_eq_u16_sdwa s[34:35], v17, s20 src0_sel:BYTE_0 src1_sel:DWORD
	s_mov_b64 s[0:1], -1
                                        ; implicit-def: $sgpr16
	s_and_saveexec_b64 s[12:13], s[34:35]
; %bb.256:                              ;   in Loop: Header=BB275_171 Depth=1
	s_mov_b32 s16, 0x7fc02000
	s_xor_b64 s[0:1], exec, -1
; %bb.257:                              ;   in Loop: Header=BB275_171 Depth=1
	s_or_b64 exec, exec, s[12:13]
	s_and_b64 s[0:1], s[0:1], exec
	s_or_saveexec_b64 s[10:11], s[10:11]
	v_mov_b32_e32 v16, s16
	s_xor_b64 exec, exec, s[10:11]
	s_cbranch_execz .LBB275_189
.LBB275_258:                            ;   in Loop: Header=BB275_171 Depth=1
	v_cmp_ne_u16_sdwa s[12:13], v17, v5 src0_sel:BYTE_0 src1_sel:DWORD
	s_andn2_b64 s[0:1], s[0:1], exec
	s_and_b64 s[12:13], s[12:13], exec
	v_mov_b32_e32 v16, 0
	s_or_b64 s[0:1], s[0:1], s[12:13]
	s_or_b64 exec, exec, s[10:11]
	v_mov_b32_e32 v4, v17
	s_and_saveexec_b64 s[10:11], s[0:1]
	s_cbranch_execnz .LBB275_190
	s_branch .LBB275_191
.LBB275_259:                            ;   in Loop: Header=BB275_171 Depth=1
	v_cmp_eq_u16_e32 vcc, s20, v4
	s_mov_b64 s[0:1], -1
                                        ; implicit-def: $sgpr16
	s_and_saveexec_b64 s[12:13], vcc
; %bb.260:                              ;   in Loop: Header=BB275_171 Depth=1
	s_mov_b32 s16, 0x7fc02000
	s_xor_b64 s[0:1], exec, -1
; %bb.261:                              ;   in Loop: Header=BB275_171 Depth=1
	s_or_b64 exec, exec, s[12:13]
	s_and_b64 s[0:1], s[0:1], exec
	s_or_saveexec_b64 s[10:11], s[10:11]
	v_mov_b32_e32 v25, s16
	s_xor_b64 exec, exec, s[10:11]
	s_cbranch_execz .LBB275_193
.LBB275_262:                            ;   in Loop: Header=BB275_171 Depth=1
	v_cmp_ne_u16_e32 vcc, 0, v4
	s_andn2_b64 s[0:1], s[0:1], exec
	s_and_b64 s[12:13], vcc, exec
	v_mov_b32_e32 v25, 0
	s_or_b64 s[0:1], s[0:1], s[12:13]
	s_or_b64 exec, exec, s[10:11]
	s_and_saveexec_b64 s[10:11], s[0:1]
	s_cbranch_execnz .LBB275_194
	s_branch .LBB275_195
.LBB275_263:                            ;   in Loop: Header=BB275_171 Depth=1
	v_cmp_eq_u16_sdwa s[34:35], v4, s20 src0_sel:BYTE_0 src1_sel:DWORD
	s_mov_b64 s[0:1], -1
                                        ; implicit-def: $sgpr16
	s_and_saveexec_b64 s[12:13], s[34:35]
; %bb.264:                              ;   in Loop: Header=BB275_171 Depth=1
	s_mov_b32 s16, 0x7fc02000
	s_xor_b64 s[0:1], exec, -1
; %bb.265:                              ;   in Loop: Header=BB275_171 Depth=1
	s_or_b64 exec, exec, s[12:13]
	s_and_b64 s[0:1], s[0:1], exec
	s_or_saveexec_b64 s[10:11], s[10:11]
	v_mov_b32_e32 v26, s16
	s_xor_b64 exec, exec, s[10:11]
	s_cbranch_execz .LBB275_197
.LBB275_266:                            ;   in Loop: Header=BB275_171 Depth=1
	v_cmp_ne_u16_sdwa s[12:13], v4, v5 src0_sel:BYTE_0 src1_sel:DWORD
	s_andn2_b64 s[0:1], s[0:1], exec
	s_and_b64 s[12:13], s[12:13], exec
	v_mov_b32_e32 v26, 0
	s_or_b64 s[0:1], s[0:1], s[12:13]
	s_or_b64 exec, exec, s[10:11]
	s_and_saveexec_b64 s[10:11], s[0:1]
	s_cbranch_execnz .LBB275_198
	s_branch .LBB275_199
.LBB275_267:                            ;   in Loop: Header=BB275_171 Depth=1
	v_cmp_eq_u16_e32 vcc, s20, v4
	s_mov_b64 s[0:1], -1
                                        ; implicit-def: $sgpr16
	s_and_saveexec_b64 s[12:13], vcc
; %bb.268:                              ;   in Loop: Header=BB275_171 Depth=1
	s_mov_b32 s16, 0x7fc02000
	s_xor_b64 s[0:1], exec, -1
; %bb.269:                              ;   in Loop: Header=BB275_171 Depth=1
	s_or_b64 exec, exec, s[12:13]
	s_and_b64 s[0:1], s[0:1], exec
	s_or_saveexec_b64 s[10:11], s[10:11]
	v_mov_b32_e32 v27, s16
	s_xor_b64 exec, exec, s[10:11]
	s_cbranch_execz .LBB275_201
.LBB275_270:                            ;   in Loop: Header=BB275_171 Depth=1
	v_cmp_ne_u16_e32 vcc, 0, v4
	s_andn2_b64 s[0:1], s[0:1], exec
	s_and_b64 s[12:13], vcc, exec
	v_mov_b32_e32 v27, 0
	s_or_b64 s[0:1], s[0:1], s[12:13]
	s_or_b64 exec, exec, s[10:11]
	s_and_saveexec_b64 s[10:11], s[0:1]
	s_cbranch_execnz .LBB275_202
	s_branch .LBB275_203
.LBB275_271:                            ;   in Loop: Header=BB275_171 Depth=1
	v_cmp_eq_u16_sdwa s[34:35], v16, s20 src0_sel:BYTE_0 src1_sel:DWORD
	s_mov_b64 s[0:1], -1
                                        ; implicit-def: $sgpr16
	s_and_saveexec_b64 s[12:13], s[34:35]
; %bb.272:                              ;   in Loop: Header=BB275_171 Depth=1
	s_mov_b32 s16, 0x7fc02000
	s_xor_b64 s[0:1], exec, -1
; %bb.273:                              ;   in Loop: Header=BB275_171 Depth=1
	s_or_b64 exec, exec, s[12:13]
	s_and_b64 s[0:1], s[0:1], exec
	s_or_saveexec_b64 s[10:11], s[10:11]
	v_mov_b32_e32 v12, s16
	s_xor_b64 exec, exec, s[10:11]
	s_cbranch_execz .LBB275_207
.LBB275_274:                            ;   in Loop: Header=BB275_171 Depth=1
	v_cmp_ne_u16_sdwa s[12:13], v16, v5 src0_sel:BYTE_0 src1_sel:DWORD
	s_andn2_b64 s[0:1], s[0:1], exec
	s_and_b64 s[12:13], s[12:13], exec
	v_mov_b32_e32 v12, 0
	s_or_b64 s[0:1], s[0:1], s[12:13]
	s_or_b64 exec, exec, s[10:11]
	s_and_saveexec_b64 s[10:11], s[0:1]
	s_cbranch_execnz .LBB275_208
	s_branch .LBB275_209
.LBB275_275:                            ;   in Loop: Header=BB275_171 Depth=1
	v_cmp_eq_u16_e64 s[0:1], s20, v4
	s_mov_b64 s[10:11], -1
                                        ; implicit-def: $sgpr31
	s_and_saveexec_b64 s[16:17], s[0:1]
; %bb.276:                              ;   in Loop: Header=BB275_171 Depth=1
	s_mov_b32 s31, 0x7fc02000
	s_xor_b64 s[10:11], exec, -1
; %bb.277:                              ;   in Loop: Header=BB275_171 Depth=1
	s_or_b64 exec, exec, s[16:17]
	s_and_b64 s[10:11], s[10:11], exec
	s_or_saveexec_b64 s[12:13], s[12:13]
	v_mov_b32_e32 v18, s31
	s_xor_b64 exec, exec, s[12:13]
	s_cbranch_execz .LBB275_211
.LBB275_278:                            ;   in Loop: Header=BB275_171 Depth=1
	v_cmp_ne_u16_e64 s[0:1], 0, v4
	s_andn2_b64 s[10:11], s[10:11], exec
	s_and_b64 s[0:1], s[0:1], exec
	v_mov_b32_e32 v18, 0
	s_or_b64 s[10:11], s[10:11], s[0:1]
	s_or_b64 exec, exec, s[12:13]
	s_and_saveexec_b64 s[12:13], s[10:11]
	s_cbranch_execnz .LBB275_212
	s_branch .LBB275_213
.LBB275_279:                            ;   in Loop: Header=BB275_171 Depth=1
	v_cmp_eq_u16_sdwa s[34:35], v4, s20 src0_sel:BYTE_0 src1_sel:DWORD
	s_mov_b64 s[0:1], -1
                                        ; implicit-def: $sgpr16
	s_and_saveexec_b64 s[12:13], s[34:35]
; %bb.280:                              ;   in Loop: Header=BB275_171 Depth=1
	s_mov_b32 s16, 0x7fc02000
	s_xor_b64 s[0:1], exec, -1
; %bb.281:                              ;   in Loop: Header=BB275_171 Depth=1
	s_or_b64 exec, exec, s[12:13]
	s_and_b64 s[0:1], s[0:1], exec
	s_or_saveexec_b64 s[10:11], s[10:11]
	v_mov_b32_e32 v13, s16
	s_xor_b64 exec, exec, s[10:11]
	s_cbranch_execz .LBB275_215
.LBB275_282:                            ;   in Loop: Header=BB275_171 Depth=1
	v_cmp_ne_u16_sdwa s[12:13], v4, v5 src0_sel:BYTE_0 src1_sel:DWORD
	s_andn2_b64 s[0:1], s[0:1], exec
	s_and_b64 s[12:13], s[12:13], exec
	v_mov_b32_e32 v13, 0
	s_or_b64 s[0:1], s[0:1], s[12:13]
	s_or_b64 exec, exec, s[10:11]
	s_and_saveexec_b64 s[10:11], s[0:1]
	s_cbranch_execnz .LBB275_216
	s_branch .LBB275_217
.LBB275_283:                            ;   in Loop: Header=BB275_171 Depth=1
	v_cmp_eq_u16_e64 s[0:1], s20, v4
	s_mov_b64 s[10:11], -1
                                        ; implicit-def: $sgpr31
	s_and_saveexec_b64 s[16:17], s[0:1]
; %bb.284:                              ;   in Loop: Header=BB275_171 Depth=1
	s_mov_b32 s31, 0x7fc02000
	s_xor_b64 s[10:11], exec, -1
; %bb.285:                              ;   in Loop: Header=BB275_171 Depth=1
	s_or_b64 exec, exec, s[16:17]
	s_and_b64 s[10:11], s[10:11], exec
	s_or_saveexec_b64 s[12:13], s[12:13]
	v_mov_b32_e32 v19, s31
	s_xor_b64 exec, exec, s[12:13]
	s_cbranch_execz .LBB275_219
.LBB275_286:                            ;   in Loop: Header=BB275_171 Depth=1
	v_cmp_ne_u16_e64 s[0:1], 0, v4
	s_andn2_b64 s[10:11], s[10:11], exec
	s_and_b64 s[0:1], s[0:1], exec
	v_mov_b32_e32 v19, 0
	s_or_b64 s[10:11], s[10:11], s[0:1]
	s_or_b64 exec, exec, s[12:13]
	s_and_saveexec_b64 s[12:13], s[10:11]
	s_cbranch_execnz .LBB275_220
	s_branch .LBB275_221
.LBB275_287:                            ;   in Loop: Header=BB275_171 Depth=1
	v_cmp_eq_u16_sdwa s[34:35], v17, s20 src0_sel:BYTE_0 src1_sel:DWORD
	s_mov_b64 s[0:1], -1
                                        ; implicit-def: $sgpr16
	s_and_saveexec_b64 s[12:13], s[34:35]
; %bb.288:                              ;   in Loop: Header=BB275_171 Depth=1
	s_mov_b32 s16, 0x7fc02000
	s_xor_b64 s[0:1], exec, -1
; %bb.289:                              ;   in Loop: Header=BB275_171 Depth=1
	s_or_b64 exec, exec, s[12:13]
	s_and_b64 s[0:1], s[0:1], exec
	s_or_saveexec_b64 s[10:11], s[10:11]
	v_mov_b32_e32 v16, s16
	s_xor_b64 exec, exec, s[10:11]
	s_cbranch_execz .LBB275_223
.LBB275_290:                            ;   in Loop: Header=BB275_171 Depth=1
	v_cmp_ne_u16_sdwa s[12:13], v17, v5 src0_sel:BYTE_0 src1_sel:DWORD
	s_andn2_b64 s[0:1], s[0:1], exec
	s_and_b64 s[12:13], s[12:13], exec
	v_mov_b32_e32 v16, 0
	s_or_b64 s[0:1], s[0:1], s[12:13]
	s_or_b64 exec, exec, s[10:11]
	v_mov_b32_e32 v4, v17
	s_and_saveexec_b64 s[10:11], s[0:1]
	s_cbranch_execnz .LBB275_224
	s_branch .LBB275_225
.LBB275_291:                            ;   in Loop: Header=BB275_171 Depth=1
	v_cmp_eq_u16_e64 s[0:1], s20, v4
	s_mov_b64 s[10:11], -1
                                        ; implicit-def: $sgpr31
	s_and_saveexec_b64 s[16:17], s[0:1]
; %bb.292:                              ;   in Loop: Header=BB275_171 Depth=1
	s_mov_b32 s31, 0x7fc02000
	s_xor_b64 s[10:11], exec, -1
; %bb.293:                              ;   in Loop: Header=BB275_171 Depth=1
	s_or_b64 exec, exec, s[16:17]
	s_and_b64 s[10:11], s[10:11], exec
	s_or_saveexec_b64 s[12:13], s[12:13]
	v_mov_b32_e32 v36, s31
	s_xor_b64 exec, exec, s[12:13]
	s_cbranch_execz .LBB275_227
.LBB275_294:                            ;   in Loop: Header=BB275_171 Depth=1
	v_cmp_ne_u16_e64 s[0:1], 0, v4
	s_andn2_b64 s[10:11], s[10:11], exec
	s_and_b64 s[0:1], s[0:1], exec
	v_mov_b32_e32 v36, 0
	s_or_b64 s[10:11], s[10:11], s[0:1]
	s_or_b64 exec, exec, s[12:13]
	s_and_saveexec_b64 s[12:13], s[10:11]
	s_cbranch_execnz .LBB275_228
	s_branch .LBB275_229
.LBB275_295:                            ;   in Loop: Header=BB275_171 Depth=1
	v_cmp_eq_u16_sdwa s[34:35], v4, s20 src0_sel:BYTE_0 src1_sel:DWORD
	s_mov_b64 s[0:1], -1
                                        ; implicit-def: $sgpr16
	s_and_saveexec_b64 s[12:13], s[34:35]
; %bb.296:                              ;   in Loop: Header=BB275_171 Depth=1
	s_mov_b32 s16, 0x7fc02000
	s_xor_b64 s[0:1], exec, -1
; %bb.297:                              ;   in Loop: Header=BB275_171 Depth=1
	s_or_b64 exec, exec, s[12:13]
	s_and_b64 s[0:1], s[0:1], exec
	s_or_saveexec_b64 s[10:11], s[10:11]
	v_mov_b32_e32 v37, s16
	s_xor_b64 exec, exec, s[10:11]
	s_cbranch_execz .LBB275_231
.LBB275_298:                            ;   in Loop: Header=BB275_171 Depth=1
	v_cmp_ne_u16_sdwa s[12:13], v4, v5 src0_sel:BYTE_0 src1_sel:DWORD
	s_andn2_b64 s[0:1], s[0:1], exec
	s_and_b64 s[12:13], s[12:13], exec
	v_mov_b32_e32 v37, 0
	s_or_b64 s[0:1], s[0:1], s[12:13]
	s_or_b64 exec, exec, s[10:11]
	s_and_saveexec_b64 s[10:11], s[0:1]
	s_cbranch_execnz .LBB275_232
	s_branch .LBB275_233
.LBB275_299:                            ;   in Loop: Header=BB275_171 Depth=1
	v_cmp_eq_u16_e64 s[0:1], s20, v4
	s_mov_b64 s[10:11], -1
                                        ; implicit-def: $sgpr31
	s_and_saveexec_b64 s[16:17], s[0:1]
; %bb.300:                              ;   in Loop: Header=BB275_171 Depth=1
	s_mov_b32 s31, 0x7fc02000
	s_xor_b64 s[10:11], exec, -1
; %bb.301:                              ;   in Loop: Header=BB275_171 Depth=1
	s_or_b64 exec, exec, s[16:17]
	s_and_b64 s[10:11], s[10:11], exec
	s_or_saveexec_b64 s[12:13], s[12:13]
	v_mov_b32_e32 v38, s31
	s_xor_b64 exec, exec, s[12:13]
	s_cbranch_execz .LBB275_235
.LBB275_302:                            ;   in Loop: Header=BB275_171 Depth=1
	v_cmp_ne_u16_e64 s[0:1], 0, v4
	s_andn2_b64 s[10:11], s[10:11], exec
	s_and_b64 s[0:1], s[0:1], exec
	v_mov_b32_e32 v38, 0
	s_or_b64 s[10:11], s[10:11], s[0:1]
	s_or_b64 exec, exec, s[12:13]
	s_and_saveexec_b64 s[12:13], s[10:11]
	s_cbranch_execnz .LBB275_236
	s_branch .LBB275_237
.LBB275_303:
	s_or_b64 exec, exec, s[8:9]
.LBB275_304:
	s_or_b64 exec, exec, s[2:3]
	ds_bpermute_b32 v2, v22, v6
	ds_bpermute_b32 v3, v22, v7
	v_and_b32_e32 v1, 0x3c1, v0
	v_cmp_eq_u32_e32 vcc, 64, v1
	s_waitcnt lgkmcnt(0)
	s_barrier
	v_pk_add_f32 v[2:3], v[6:7], v[2:3]
	s_and_saveexec_b64 s[0:1], vcc
	s_cbranch_execz .LBB275_306
; %bb.305:
	v_mov_b32_e32 v4, 0x90
	v_lshl_add_u32 v4, v15, 1, v4
	ds_write2_b32 v4, v2, v3 offset1:32
.LBB275_306:
	s_or_b64 exec, exec, s[0:1]
	v_cmp_gt_u32_e32 vcc, 64, v0
	s_waitcnt lgkmcnt(0)
	s_barrier
	s_and_saveexec_b64 s[0:1], vcc
	s_cbranch_execz .LBB275_312
; %bb.307:
	v_cmp_eq_u32_e32 vcc, 0, v23
	v_lshrrev_b32_e32 v4, 1, v0
	s_and_saveexec_b64 s[2:3], vcc
	s_cbranch_execz .LBB275_309
; %bb.308:
	v_mov_b32_e32 v5, 0x90
	v_lshl_add_u32 v5, v4, 2, v5
	ds_read_b32 v5, v5
	s_waitcnt lgkmcnt(0)
	v_add_f32_e32 v2, v2, v5
.LBB275_309:
	s_or_b64 exec, exec, s[2:3]
	s_and_saveexec_b64 s[2:3], vcc
	s_cbranch_execz .LBB275_311
; %bb.310:
	v_mov_b32_e32 v5, 0x90
	v_lshl_add_u32 v4, v4, 2, v5
	ds_read_b32 v4, v4 offset:128
	s_waitcnt lgkmcnt(0)
	v_add_f32_e32 v3, v3, v4
.LBB275_311:
	s_or_b64 exec, exec, s[2:3]
.LBB275_312:
	s_or_b64 exec, exec, s[0:1]
	v_cmp_eq_u32_e32 vcc, 0, v1
	s_barrier
	s_and_saveexec_b64 s[0:1], vcc
	s_cbranch_execz .LBB275_314
; %bb.313:
	s_lshl_b32 s0, s6, 6
	s_ashr_i32 s1, s0, 31
	s_lshl_b64 s[0:1], s[0:1], 1
	s_add_u32 s2, s26, s0
	s_mul_i32 s0, s25, s24
	s_addc_u32 s3, s27, s1
	s_ashr_i32 s1, s0, 31
	s_lshl_b64 s[0:1], s[0:1], 1
	s_add_u32 s2, s2, s0
	s_addc_u32 s3, s3, s1
	s_lshl_b32 s0, s4, 6
	s_ashr_i32 s1, s0, 31
	s_lshl_b64 s[0:1], s[0:1], 1
	s_add_u32 s0, s2, s0
	s_addc_u32 s1, s3, s1
	;;#ASMSTART
	v_cvt_f16_f32 v1, v2;

	;;#ASMEND
	global_store_short v0, v1, s[0:1]
	;;#ASMSTART
	v_cvt_f16_f32 v1, v3;

	;;#ASMEND
	global_store_short v0, v1, s[0:1] offset:64
.LBB275_314:
	s_endpgm
	.section	.rodata,"a",@progbits
	.p2align	6, 0x0
	.amdhsa_kernel _ZN4vllm25paged_attention_v2_kernelIthLi64ELi16ELi128ELNS_18Fp8KVCacheDataTypeE1ELb0ELi512EEEvPfS2_PT_PKS3_PKT0_S9_ifPKiSB_iPKfiiiSD_SD_iiiii
		.amdhsa_group_segment_fixed_size 144
		.amdhsa_private_segment_fixed_size 0
		.amdhsa_kernarg_size 400
		.amdhsa_user_sgpr_count 2
		.amdhsa_user_sgpr_dispatch_ptr 0
		.amdhsa_user_sgpr_queue_ptr 0
		.amdhsa_user_sgpr_kernarg_segment_ptr 1
		.amdhsa_user_sgpr_dispatch_id 0
		.amdhsa_user_sgpr_kernarg_preload_length 0
		.amdhsa_user_sgpr_kernarg_preload_offset 0
		.amdhsa_user_sgpr_private_segment_size 0
		.amdhsa_uses_dynamic_stack 0
		.amdhsa_enable_private_segment 0
		.amdhsa_system_sgpr_workgroup_id_x 1
		.amdhsa_system_sgpr_workgroup_id_y 1
		.amdhsa_system_sgpr_workgroup_id_z 1
		.amdhsa_system_sgpr_workgroup_info 0
		.amdhsa_system_vgpr_workitem_id 0
		.amdhsa_next_free_vgpr 45
		.amdhsa_next_free_sgpr 56
		.amdhsa_accum_offset 48
		.amdhsa_reserve_vcc 1
		.amdhsa_float_round_mode_32 0
		.amdhsa_float_round_mode_16_64 0
		.amdhsa_float_denorm_mode_32 3
		.amdhsa_float_denorm_mode_16_64 3
		.amdhsa_dx10_clamp 1
		.amdhsa_ieee_mode 1
		.amdhsa_fp16_overflow 0
		.amdhsa_tg_split 0
		.amdhsa_exception_fp_ieee_invalid_op 0
		.amdhsa_exception_fp_denorm_src 0
		.amdhsa_exception_fp_ieee_div_zero 0
		.amdhsa_exception_fp_ieee_overflow 0
		.amdhsa_exception_fp_ieee_underflow 0
		.amdhsa_exception_fp_ieee_inexact 0
		.amdhsa_exception_int_div_zero 0
	.end_amdhsa_kernel
	.section	.text._ZN4vllm25paged_attention_v2_kernelIthLi64ELi16ELi128ELNS_18Fp8KVCacheDataTypeE1ELb0ELi512EEEvPfS2_PT_PKS3_PKT0_S9_ifPKiSB_iPKfiiiSD_SD_iiiii,"axG",@progbits,_ZN4vllm25paged_attention_v2_kernelIthLi64ELi16ELi128ELNS_18Fp8KVCacheDataTypeE1ELb0ELi512EEEvPfS2_PT_PKS3_PKT0_S9_ifPKiSB_iPKfiiiSD_SD_iiiii,comdat
.Lfunc_end275:
	.size	_ZN4vllm25paged_attention_v2_kernelIthLi64ELi16ELi128ELNS_18Fp8KVCacheDataTypeE1ELb0ELi512EEEvPfS2_PT_PKS3_PKT0_S9_ifPKiSB_iPKfiiiSD_SD_iiiii, .Lfunc_end275-_ZN4vllm25paged_attention_v2_kernelIthLi64ELi16ELi128ELNS_18Fp8KVCacheDataTypeE1ELb0ELi512EEEvPfS2_PT_PKS3_PKT0_S9_ifPKiSB_iPKfiiiSD_SD_iiiii
                                        ; -- End function
	.section	.AMDGPU.csdata,"",@progbits
; Kernel info:
; codeLenInByte = 13028
; NumSgprs: 62
; NumVgprs: 45
; NumAgprs: 0
; TotalNumVgprs: 45
; ScratchSize: 0
; MemoryBound: 0
; FloatMode: 240
; IeeeMode: 1
; LDSByteSize: 144 bytes/workgroup (compile time only)
; SGPRBlocks: 7
; VGPRBlocks: 5
; NumSGPRsForWavesPerEU: 62
; NumVGPRsForWavesPerEU: 45
; AccumOffset: 48
; Occupancy: 8
; WaveLimiterHint : 1
; COMPUTE_PGM_RSRC2:SCRATCH_EN: 0
; COMPUTE_PGM_RSRC2:USER_SGPR: 2
; COMPUTE_PGM_RSRC2:TRAP_HANDLER: 0
; COMPUTE_PGM_RSRC2:TGID_X_EN: 1
; COMPUTE_PGM_RSRC2:TGID_Y_EN: 1
; COMPUTE_PGM_RSRC2:TGID_Z_EN: 1
; COMPUTE_PGM_RSRC2:TIDIG_COMP_CNT: 0
; COMPUTE_PGM_RSRC3_GFX90A:ACCUM_OFFSET: 11
; COMPUTE_PGM_RSRC3_GFX90A:TG_SPLIT: 0
	.section	.text._ZN4vllm25paged_attention_v2_kernelIthLi80ELi16ELi128ELNS_18Fp8KVCacheDataTypeE1ELb0ELi512EEEvPfS2_PT_PKS3_PKT0_S9_ifPKiSB_iPKfiiiSD_SD_iiiii,"axG",@progbits,_ZN4vllm25paged_attention_v2_kernelIthLi80ELi16ELi128ELNS_18Fp8KVCacheDataTypeE1ELb0ELi512EEEvPfS2_PT_PKS3_PKT0_S9_ifPKiSB_iPKfiiiSD_SD_iiiii,comdat
	.protected	_ZN4vllm25paged_attention_v2_kernelIthLi80ELi16ELi128ELNS_18Fp8KVCacheDataTypeE1ELb0ELi512EEEvPfS2_PT_PKS3_PKT0_S9_ifPKiSB_iPKfiiiSD_SD_iiiii ; -- Begin function _ZN4vllm25paged_attention_v2_kernelIthLi80ELi16ELi128ELNS_18Fp8KVCacheDataTypeE1ELb0ELi512EEEvPfS2_PT_PKS3_PKT0_S9_ifPKiSB_iPKfiiiSD_SD_iiiii
	.globl	_ZN4vllm25paged_attention_v2_kernelIthLi80ELi16ELi128ELNS_18Fp8KVCacheDataTypeE1ELb0ELi512EEEvPfS2_PT_PKS3_PKT0_S9_ifPKiSB_iPKfiiiSD_SD_iiiii
	.p2align	8
	.type	_ZN4vllm25paged_attention_v2_kernelIthLi80ELi16ELi128ELNS_18Fp8KVCacheDataTypeE1ELb0ELi512EEEvPfS2_PT_PKS3_PKT0_S9_ifPKiSB_iPKfiiiSD_SD_iiiii,@function
_ZN4vllm25paged_attention_v2_kernelIthLi80ELi16ELi128ELNS_18Fp8KVCacheDataTypeE1ELb0ELi512EEEvPfS2_PT_PKS3_PKT0_S9_ifPKiSB_iPKfiiiSD_SD_iiiii: ; @_ZN4vllm25paged_attention_v2_kernelIthLi80ELi16ELi128ELNS_18Fp8KVCacheDataTypeE1ELb0ELi512EEEvPfS2_PT_PKS3_PKT0_S9_ifPKiSB_iPKfiiiSD_SD_iiiii
; %bb.0:
	s_load_dwordx2 s[6:7], s[0:1], 0x40
	s_mov_b32 s28, s3
	s_ashr_i32 s29, s3, 31
	s_lshl_b64 s[8:9], s[28:29], 2
	s_waitcnt lgkmcnt(0)
	s_add_u32 s6, s6, s8
	s_addc_u32 s7, s7, s9
	s_load_dword s29, s[6:7], 0x0
	s_lshl_b32 s46, s4, 9
	s_waitcnt lgkmcnt(0)
	s_cmp_ge_i32 s46, s29
	s_cbranch_scc1 .LBB276_422
; %bb.1:
	s_load_dword s5, s[0:1], 0x90
	s_load_dwordx2 s[10:11], s[0:1], 0x30
	s_mov_b32 s47, 0
	s_waitcnt lgkmcnt(0)
	s_abs_i32 s7, s5
	s_abs_i32 s3, s10
	v_cvt_f32_u32_e32 v1, s3
	s_sub_i32 s8, 0, s3
	s_xor_b32 s6, s5, s10
	s_ashr_i32 s6, s6, 31
	v_rcp_iflag_f32_e32 v1, v1
	s_nop 0
	v_mul_f32_e32 v1, 0x4f7ffffe, v1
	v_cvt_u32_f32_e32 v1, v1
	s_nop 0
	v_readfirstlane_b32 s9, v1
	s_mul_i32 s8, s8, s9
	s_mul_hi_u32 s8, s9, s8
	s_add_i32 s9, s9, s8
	s_mul_hi_u32 s8, s7, s9
	s_mul_i32 s9, s8, s3
	s_sub_i32 s7, s7, s9
	s_add_i32 s10, s8, 1
	s_sub_i32 s9, s7, s3
	s_cmp_ge_u32 s7, s3
	s_cselect_b32 s8, s10, s8
	s_cselect_b32 s7, s9, s7
	s_add_i32 s9, s8, 1
	s_cmp_ge_u32 s7, s3
	s_cselect_b32 s3, s9, s8
	s_xor_b32 s3, s3, s6
	s_sub_i32 s10, s3, s6
	s_abs_i32 s8, s10
	v_cvt_f32_u32_e32 v1, s8
	s_load_dwordx2 s[6:7], s[0:1], 0x50
	s_sub_i32 s3, 0, s8
	s_abs_i32 s9, s2
	v_rcp_iflag_f32_e32 v1, v1
	s_nop 0
	v_mul_f32_e32 v1, 0x4f7ffffe, v1
	v_cvt_u32_f32_e32 v1, v1
	s_nop 0
	v_readfirstlane_b32 s12, v1
	s_mul_i32 s3, s3, s12
	s_mul_hi_u32 s3, s12, s3
	s_add_i32 s12, s12, s3
	s_waitcnt lgkmcnt(0)
	s_cmp_eq_u64 s[6:7], 0
	s_mul_hi_u32 s12, s9, s12
	s_cbranch_scc1 .LBB276_3
; %bb.2:
	s_ashr_i32 s3, s2, 31
	s_lshl_b64 s[14:15], s[2:3], 2
	s_add_u32 s6, s6, s14
	s_addc_u32 s7, s7, s15
	s_load_dword s47, s[6:7], 0x0
.LBB276_3:
	s_load_dwordx4 s[16:19], s[0:1], 0x58
	s_ashr_i32 s13, s2, 31
	s_ashr_i32 s14, s10, 31
	v_and_b32_e32 v9, 3, v0
	s_mul_i32 s24, s2, 0x50
	v_cmp_gt_u32_e32 vcc, 40, v0
	s_and_saveexec_b64 s[6:7], vcc
	s_cbranch_execz .LBB276_5
; %bb.4:
	s_load_dwordx2 s[20:21], s[0:1], 0x18
	s_waitcnt lgkmcnt(0)
	s_mul_i32 s22, s28, s16
	s_ashr_i32 s23, s22, 31
	s_lshl_b64 s[22:23], s[22:23], 1
	v_lshlrev_b32_e32 v1, 2, v0
	s_add_u32 s3, s20, s22
	s_addc_u32 s10, s21, s23
	s_ashr_i32 s25, s24, 31
	s_lshl_b64 s[20:21], s[24:25], 1
	s_add_u32 s20, s3, s20
	s_addc_u32 s21, s10, s21
	global_load_dword v1, v1, s[20:21]
	v_and_b32_e32 v2, 0x3fc, v0
	v_mad_u32_u24 v2, v9, 40, v2
	s_waitcnt vmcnt(0)
	ds_write_b32 v2, v1
.LBB276_5:
	s_or_b64 exec, exec, s[6:7]
	s_add_i32 s3, s29, 15
	s_ashr_i32 s6, s3, 31
	s_lshr_b32 s6, s6, 28
	s_add_i32 s3, s3, s6
	s_lshl_b32 s10, s4, 5
	s_mul_i32 s7, s12, s8
	s_ashr_i32 s3, s3, 4
	s_add_i32 s6, s10, 32
	s_sub_i32 s7, s9, s7
	s_min_i32 s33, s6, s3
	s_xor_b32 s6, s13, s14
	s_add_i32 s9, s12, 1
	s_sub_i32 s13, s7, s8
	s_cmp_ge_u32 s7, s8
	s_cselect_b32 s9, s9, s12
	s_cselect_b32 s7, s13, s7
	s_add_i32 s12, s9, 1
	s_cmp_ge_u32 s7, s8
	s_load_dwordx2 s[30:31], s[0:1], 0x38
	s_load_dword s8, s[0:1], 0x48
	v_lshrrev_b32_e32 v14, 6, v0
	s_cselect_b32 s7, s12, s9
	s_xor_b32 s7, s7, s6
	v_or_b32_e32 v4, s10, v14
	s_waitcnt lgkmcnt(0)
	s_mul_i32 s34, s28, s8
	s_sub_i32 s16, s7, s6
	s_ashr_i32 s35, s34, 31
	v_cmp_gt_i32_e64 s[8:9], s33, v4
	v_cmp_le_i32_e32 vcc, s33, v4
	v_mbcnt_lo_u32_b32 v12, -1, 0
	s_barrier
	s_waitcnt lgkmcnt(0)
                                        ; implicit-def: $sgpr19
                                        ; implicit-def: $vgpr16
                                        ; implicit-def: $vgpr2
	s_and_saveexec_b64 s[6:7], vcc
	s_xor_b64 s[6:7], exec, s[6:7]
; %bb.6:
	v_mbcnt_hi_u32_b32 v16, -1, v12
	v_and_b32_e32 v1, 64, v16
	v_add_u32_e32 v2, 64, v1
	s_mov_b32 s19, 0xff7fffff
                                        ; implicit-def: $vgpr9
                                        ; implicit-def: $vgpr12
; %bb.7:
	s_or_saveexec_b64 s[38:39], s[6:7]
	s_load_dwordx4 s[20:23], s[0:1], 0x0
	s_load_dwordx2 s[26:27], s[0:1], 0x10
	s_load_dword s25, s[0:1], 0x98
	s_load_dwordx2 s[36:37], s[0:1], 0x28
	s_load_dwordx4 s[12:15], s[0:1], 0x68
	v_mov_b32_e32 v1, s19
	s_mul_i32 s16, s16, s18
	v_ashrrev_i32_e32 v5, 31, v4
	v_lshlrev_b32_e32 v15, 4, v14
	s_xor_b64 exec, exec, s[38:39]
	s_cbranch_execz .LBB276_173
; %bb.8:
	s_load_dwordx2 s[0:1], s[0:1], 0x20
	s_ashr_i32 s6, s16, 31
	v_bfe_u32 v1, v0, 2, 4
	v_lshlrev_b32_e32 v2, 4, v1
	v_mov_b32_e32 v3, 0
	s_waitcnt lgkmcnt(0)
	s_add_u32 s0, s0, s16
	s_addc_u32 s1, s1, s6
	v_lshl_add_u64 v[6:7], s[0:1], 0, v[2:3]
	s_sub_i32 s49, 1, s29
	s_lshl_b64 s[0:1], s[34:35], 2
	v_add3_u32 v18, s46, v15, v1
	v_lshlrev_b32_e32 v1, 2, v1
	s_add_u32 s0, s30, s0
	v_lshl_or_b32 v1, v14, 6, v1
	s_addc_u32 s1, s31, s1
	s_mov_b32 s48, s17
	v_lshlrev_b32_e32 v8, 1, v9
	v_mul_u32_u24_e32 v17, 40, v9
	v_cmp_eq_u32_e32 vcc, 0, v9
	v_cmp_neq_f32_e64 s[6:7], s47, 0
	v_mov_b32_e32 v9, v3
	v_add_u32_e32 v19, 0xb0, v1
	v_lshl_add_u64 v[10:11], v[4:5], 2, s[0:1]
	s_mov_b64 s[18:19], 0
	v_mov_b32_e32 v1, 0xff7fffff
	s_movk_i32 s50, 0x7f
	s_movk_i32 s51, 0x80
	s_mov_b32 s52, 0x8000
	v_mbcnt_hi_u32_b32 v16, -1, v12
	v_mov_b32_e32 v20, 0x1c00
	v_mov_b32_e32 v21, v4
	s_branch .LBB276_10
.LBB276_9:                              ;   in Loop: Header=BB276_10 Depth=1
	s_or_b64 exec, exec, s[40:41]
	v_add_u32_e32 v21, 2, v21
	v_cmp_le_i32_e64 s[0:1], s33, v21
	v_add_u32_e32 v18, 32, v18
	v_add_u32_e32 v19, 0x80, v19
	s_or_b64 s[18:19], s[0:1], s[18:19]
	v_lshl_add_u64 v[10:11], v[10:11], 0, 8
	s_andn2_b64 exec, exec, s[18:19]
	s_cbranch_execz .LBB276_172
.LBB276_10:                             ; =>This Inner Loop Header: Depth=1
	global_load_dword v2, v[10:11], off
                                        ; implicit-def: $sgpr44
	s_waitcnt vmcnt(0) lgkmcnt(0)
	v_mad_i64_i32 v[12:13], s[0:1], v2, s48, v[6:7]
	v_lshl_add_u64 v[12:13], v[12:13], 0, v[8:9]
	global_load_ushort v2, v[12:13], off
	global_load_dword v22, v3, s[12:13]
	s_mov_b64 s[0:1], 0
	s_waitcnt vmcnt(1)
	v_cmp_gt_i16_sdwa s[40:41], v2, s50 src0_sel:BYTE_0 src1_sel:DWORD
	s_and_saveexec_b64 s[42:43], s[40:41]
	s_xor_b64 s[40:41], exec, s[42:43]
	s_cbranch_execnz .LBB276_92
; %bb.11:                               ;   in Loop: Header=BB276_10 Depth=1
	s_or_saveexec_b64 s[40:41], s[40:41]
	v_mov_b32_e32 v23, s44
	s_xor_b64 exec, exec, s[40:41]
	s_cbranch_execnz .LBB276_95
.LBB276_12:                             ;   in Loop: Header=BB276_10 Depth=1
	s_or_b64 exec, exec, s[40:41]
	v_and_b32_e32 v2, 0xffff, v2
	s_and_saveexec_b64 s[40:41], s[0:1]
	s_cbranch_execz .LBB276_14
.LBB276_13:                             ;   in Loop: Header=BB276_10 Depth=1
	v_and_b32_e32 v23, 7, v2
	v_ffbh_u32_e32 v24, v23
	v_min_u32_e32 v27, 32, v24
	v_subrev_u32_e32 v24, 28, v27
	v_bfe_u32 v26, v2, 3, 4
	v_lshlrev_b64 v[24:25], v24, v[2:3]
	v_sub_u32_e32 v25, 29, v27
	v_cmp_eq_u32_e64 s[0:1], 0, v26
	v_and_b32_e32 v24, 7, v24
	s_nop 0
	v_cndmask_b32_e64 v25, v26, v25, s[0:1]
	v_cndmask_b32_e64 v23, v23, v24, s[0:1]
	v_lshlrev_b32_e32 v24, 8, v2
	v_lshl_add_u32 v25, v25, 10, v20
	v_and_or_b32 v24, v24, s52, v25
	v_lshl_or_b32 v23, v23, 7, v24
	v_cvt_f32_f16_e32 v23, v23
.LBB276_14:                             ;   in Loop: Header=BB276_10 Depth=1
	s_or_b64 exec, exec, s[40:41]
	v_lshrrev_b16_e32 v2, 8, v2
	v_cmp_lt_i16_e64 s[0:1], s50, v2
	s_mov_b64 s[40:41], 0
                                        ; implicit-def: $sgpr53
	s_and_saveexec_b64 s[42:43], s[0:1]
	s_xor_b64 s[42:43], exec, s[42:43]
	s_cbranch_execnz .LBB276_96
; %bb.15:                               ;   in Loop: Header=BB276_10 Depth=1
	s_or_saveexec_b64 s[42:43], s[42:43]
	v_mov_b32_e32 v24, s53
	s_xor_b64 exec, exec, s[42:43]
	s_cbranch_execnz .LBB276_99
.LBB276_16:                             ;   in Loop: Header=BB276_10 Depth=1
	s_or_b64 exec, exec, s[42:43]
	s_and_saveexec_b64 s[42:43], s[40:41]
	s_cbranch_execz .LBB276_18
.LBB276_17:                             ;   in Loop: Header=BB276_10 Depth=1
	v_and_b32_e32 v26, 7, v2
	v_ffbh_u32_e32 v24, v26
	v_min_u32_e32 v28, 32, v24
	v_subrev_u32_e32 v24, 28, v28
	v_bfe_u32 v27, v2, 3, 4
	v_lshlrev_b64 v[24:25], v24, v[2:3]
	v_sub_u32_e32 v25, 29, v28
	v_cmp_eq_u32_e64 s[0:1], 0, v27
	v_and_b32_e32 v24, 7, v24
	v_lshlrev_b32_e32 v2, 8, v2
	v_cndmask_b32_e64 v25, v27, v25, s[0:1]
	v_lshl_add_u32 v25, v25, 10, v20
	v_cndmask_b32_e64 v24, v26, v24, s[0:1]
	v_and_or_b32 v2, v2, s52, v25
	v_lshl_or_b32 v2, v24, 7, v2
	v_cvt_f32_f16_e32 v24, v2
.LBB276_18:                             ;   in Loop: Header=BB276_10 Depth=1
	s_or_b64 exec, exec, s[42:43]
	global_load_ushort v2, v[12:13], off offset:8
	s_mov_b64 s[0:1], 0
                                        ; implicit-def: $sgpr44
	s_waitcnt vmcnt(0)
	v_cmp_gt_i16_sdwa s[40:41], v2, s50 src0_sel:BYTE_0 src1_sel:DWORD
	s_and_saveexec_b64 s[42:43], s[40:41]
	s_xor_b64 s[40:41], exec, s[42:43]
	s_cbranch_execnz .LBB276_100
; %bb.19:                               ;   in Loop: Header=BB276_10 Depth=1
	s_or_saveexec_b64 s[40:41], s[40:41]
	v_mov_b32_e32 v25, s44
	s_xor_b64 exec, exec, s[40:41]
	s_cbranch_execnz .LBB276_103
.LBB276_20:                             ;   in Loop: Header=BB276_10 Depth=1
	s_or_b64 exec, exec, s[40:41]
	v_and_b32_e32 v2, 0xffff, v2
	s_and_saveexec_b64 s[40:41], s[0:1]
	s_cbranch_execz .LBB276_22
.LBB276_21:                             ;   in Loop: Header=BB276_10 Depth=1
	v_and_b32_e32 v25, 7, v2
	v_ffbh_u32_e32 v26, v25
	v_min_u32_e32 v29, 32, v26
	v_subrev_u32_e32 v26, 28, v29
	v_bfe_u32 v28, v2, 3, 4
	v_lshlrev_b64 v[26:27], v26, v[2:3]
	v_sub_u32_e32 v27, 29, v29
	v_cmp_eq_u32_e64 s[0:1], 0, v28
	v_and_b32_e32 v26, 7, v26
	s_nop 0
	v_cndmask_b32_e64 v27, v28, v27, s[0:1]
	v_cndmask_b32_e64 v25, v25, v26, s[0:1]
	v_lshlrev_b32_e32 v26, 8, v2
	v_lshl_add_u32 v27, v27, 10, v20
	v_and_or_b32 v26, v26, s52, v27
	v_lshl_or_b32 v25, v25, 7, v26
	v_cvt_f32_f16_e32 v25, v25
.LBB276_22:                             ;   in Loop: Header=BB276_10 Depth=1
	s_or_b64 exec, exec, s[40:41]
	v_lshrrev_b16_e32 v2, 8, v2
	v_cmp_lt_i16_e64 s[0:1], s50, v2
	s_mov_b64 s[40:41], 0
                                        ; implicit-def: $sgpr53
	s_and_saveexec_b64 s[42:43], s[0:1]
	s_xor_b64 s[42:43], exec, s[42:43]
	s_cbranch_execnz .LBB276_104
; %bb.23:                               ;   in Loop: Header=BB276_10 Depth=1
	s_or_saveexec_b64 s[42:43], s[42:43]
	v_mov_b32_e32 v26, s53
	s_xor_b64 exec, exec, s[42:43]
	s_cbranch_execnz .LBB276_107
.LBB276_24:                             ;   in Loop: Header=BB276_10 Depth=1
	s_or_b64 exec, exec, s[42:43]
	s_and_saveexec_b64 s[42:43], s[40:41]
	s_cbranch_execz .LBB276_26
.LBB276_25:                             ;   in Loop: Header=BB276_10 Depth=1
	v_and_b32_e32 v28, 7, v2
	v_ffbh_u32_e32 v26, v28
	v_min_u32_e32 v30, 32, v26
	v_subrev_u32_e32 v26, 28, v30
	v_bfe_u32 v29, v2, 3, 4
	v_lshlrev_b64 v[26:27], v26, v[2:3]
	v_sub_u32_e32 v27, 29, v30
	v_cmp_eq_u32_e64 s[0:1], 0, v29
	v_and_b32_e32 v26, 7, v26
	v_lshlrev_b32_e32 v2, 8, v2
	v_cndmask_b32_e64 v27, v29, v27, s[0:1]
	v_lshl_add_u32 v27, v27, 10, v20
	v_cndmask_b32_e64 v26, v28, v26, s[0:1]
	v_and_or_b32 v2, v2, s52, v27
	v_lshl_or_b32 v2, v26, 7, v2
	v_cvt_f32_f16_e32 v26, v2
.LBB276_26:                             ;   in Loop: Header=BB276_10 Depth=1
	s_or_b64 exec, exec, s[42:43]
	global_load_ushort v2, v[12:13], off offset:256
	s_mov_b64 s[0:1], 0
                                        ; implicit-def: $sgpr44
	s_waitcnt vmcnt(0)
	v_cmp_gt_i16_sdwa s[40:41], v2, s50 src0_sel:BYTE_0 src1_sel:DWORD
	s_and_saveexec_b64 s[42:43], s[40:41]
	s_xor_b64 s[40:41], exec, s[42:43]
	s_cbranch_execnz .LBB276_108
; %bb.27:                               ;   in Loop: Header=BB276_10 Depth=1
	s_or_saveexec_b64 s[40:41], s[40:41]
	v_mov_b32_e32 v27, s44
	s_xor_b64 exec, exec, s[40:41]
	s_cbranch_execnz .LBB276_111
.LBB276_28:                             ;   in Loop: Header=BB276_10 Depth=1
	s_or_b64 exec, exec, s[40:41]
	v_and_b32_e32 v2, 0xffff, v2
	s_and_saveexec_b64 s[40:41], s[0:1]
	s_cbranch_execz .LBB276_30
.LBB276_29:                             ;   in Loop: Header=BB276_10 Depth=1
	v_and_b32_e32 v27, 7, v2
	v_ffbh_u32_e32 v28, v27
	v_min_u32_e32 v31, 32, v28
	v_subrev_u32_e32 v28, 28, v31
	v_bfe_u32 v30, v2, 3, 4
	v_lshlrev_b64 v[28:29], v28, v[2:3]
	v_sub_u32_e32 v29, 29, v31
	v_cmp_eq_u32_e64 s[0:1], 0, v30
	v_and_b32_e32 v28, 7, v28
	s_nop 0
	v_cndmask_b32_e64 v29, v30, v29, s[0:1]
	v_cndmask_b32_e64 v27, v27, v28, s[0:1]
	v_lshlrev_b32_e32 v28, 8, v2
	v_lshl_add_u32 v29, v29, 10, v20
	v_and_or_b32 v28, v28, s52, v29
	v_lshl_or_b32 v27, v27, 7, v28
	v_cvt_f32_f16_e32 v27, v27
.LBB276_30:                             ;   in Loop: Header=BB276_10 Depth=1
	s_or_b64 exec, exec, s[40:41]
	v_lshrrev_b16_e32 v2, 8, v2
	v_cmp_lt_i16_e64 s[0:1], s50, v2
	s_mov_b64 s[40:41], 0
                                        ; implicit-def: $sgpr53
	s_and_saveexec_b64 s[42:43], s[0:1]
	s_xor_b64 s[42:43], exec, s[42:43]
	s_cbranch_execnz .LBB276_112
; %bb.31:                               ;   in Loop: Header=BB276_10 Depth=1
	s_or_saveexec_b64 s[42:43], s[42:43]
	v_mov_b32_e32 v28, s53
	s_xor_b64 exec, exec, s[42:43]
	s_cbranch_execnz .LBB276_115
.LBB276_32:                             ;   in Loop: Header=BB276_10 Depth=1
	s_or_b64 exec, exec, s[42:43]
	s_and_saveexec_b64 s[42:43], s[40:41]
	s_cbranch_execz .LBB276_34
.LBB276_33:                             ;   in Loop: Header=BB276_10 Depth=1
	v_and_b32_e32 v30, 7, v2
	v_ffbh_u32_e32 v28, v30
	v_min_u32_e32 v32, 32, v28
	v_subrev_u32_e32 v28, 28, v32
	v_bfe_u32 v31, v2, 3, 4
	v_lshlrev_b64 v[28:29], v28, v[2:3]
	v_sub_u32_e32 v29, 29, v32
	v_cmp_eq_u32_e64 s[0:1], 0, v31
	v_and_b32_e32 v28, 7, v28
	v_lshlrev_b32_e32 v2, 8, v2
	v_cndmask_b32_e64 v29, v31, v29, s[0:1]
	v_lshl_add_u32 v29, v29, 10, v20
	v_cndmask_b32_e64 v28, v30, v28, s[0:1]
	v_and_or_b32 v2, v2, s52, v29
	v_lshl_or_b32 v2, v28, 7, v2
	v_cvt_f32_f16_e32 v28, v2
.LBB276_34:                             ;   in Loop: Header=BB276_10 Depth=1
	s_or_b64 exec, exec, s[42:43]
	global_load_ushort v2, v[12:13], off offset:264
	s_mov_b64 s[0:1], 0
                                        ; implicit-def: $sgpr44
	s_waitcnt vmcnt(0)
	v_cmp_gt_i16_sdwa s[40:41], v2, s50 src0_sel:BYTE_0 src1_sel:DWORD
	s_and_saveexec_b64 s[42:43], s[40:41]
	s_xor_b64 s[40:41], exec, s[42:43]
	s_cbranch_execnz .LBB276_116
; %bb.35:                               ;   in Loop: Header=BB276_10 Depth=1
	s_or_saveexec_b64 s[40:41], s[40:41]
	v_mov_b32_e32 v29, s44
	s_xor_b64 exec, exec, s[40:41]
	s_cbranch_execnz .LBB276_119
.LBB276_36:                             ;   in Loop: Header=BB276_10 Depth=1
	s_or_b64 exec, exec, s[40:41]
	v_and_b32_e32 v2, 0xffff, v2
	s_and_saveexec_b64 s[40:41], s[0:1]
	s_cbranch_execz .LBB276_38
.LBB276_37:                             ;   in Loop: Header=BB276_10 Depth=1
	v_and_b32_e32 v29, 7, v2
	v_ffbh_u32_e32 v30, v29
	v_min_u32_e32 v33, 32, v30
	v_subrev_u32_e32 v30, 28, v33
	v_bfe_u32 v32, v2, 3, 4
	v_lshlrev_b64 v[30:31], v30, v[2:3]
	v_sub_u32_e32 v31, 29, v33
	v_cmp_eq_u32_e64 s[0:1], 0, v32
	v_and_b32_e32 v30, 7, v30
	s_nop 0
	v_cndmask_b32_e64 v31, v32, v31, s[0:1]
	v_cndmask_b32_e64 v29, v29, v30, s[0:1]
	v_lshlrev_b32_e32 v30, 8, v2
	v_lshl_add_u32 v31, v31, 10, v20
	v_and_or_b32 v30, v30, s52, v31
	v_lshl_or_b32 v29, v29, 7, v30
	v_cvt_f32_f16_e32 v29, v29
.LBB276_38:                             ;   in Loop: Header=BB276_10 Depth=1
	s_or_b64 exec, exec, s[40:41]
	v_lshrrev_b16_e32 v2, 8, v2
	v_cmp_lt_i16_e64 s[0:1], s50, v2
	s_mov_b64 s[40:41], 0
                                        ; implicit-def: $sgpr53
	s_and_saveexec_b64 s[42:43], s[0:1]
	s_xor_b64 s[42:43], exec, s[42:43]
	s_cbranch_execnz .LBB276_120
; %bb.39:                               ;   in Loop: Header=BB276_10 Depth=1
	s_or_saveexec_b64 s[42:43], s[42:43]
	v_mov_b32_e32 v30, s53
	s_xor_b64 exec, exec, s[42:43]
	s_cbranch_execnz .LBB276_123
.LBB276_40:                             ;   in Loop: Header=BB276_10 Depth=1
	s_or_b64 exec, exec, s[42:43]
	s_and_saveexec_b64 s[42:43], s[40:41]
	s_cbranch_execz .LBB276_42
.LBB276_41:                             ;   in Loop: Header=BB276_10 Depth=1
	v_and_b32_e32 v32, 7, v2
	v_ffbh_u32_e32 v30, v32
	v_min_u32_e32 v34, 32, v30
	v_subrev_u32_e32 v30, 28, v34
	v_bfe_u32 v33, v2, 3, 4
	v_lshlrev_b64 v[30:31], v30, v[2:3]
	v_sub_u32_e32 v31, 29, v34
	v_cmp_eq_u32_e64 s[0:1], 0, v33
	v_and_b32_e32 v30, 7, v30
	v_lshlrev_b32_e32 v2, 8, v2
	v_cndmask_b32_e64 v31, v33, v31, s[0:1]
	v_lshl_add_u32 v31, v31, 10, v20
	v_cndmask_b32_e64 v30, v32, v30, s[0:1]
	v_and_or_b32 v2, v2, s52, v31
	v_lshl_or_b32 v2, v30, 7, v2
	v_cvt_f32_f16_e32 v30, v2
.LBB276_42:                             ;   in Loop: Header=BB276_10 Depth=1
	s_or_b64 exec, exec, s[42:43]
	global_load_ushort v2, v[12:13], off offset:512
	s_mov_b64 s[0:1], 0
                                        ; implicit-def: $sgpr44
	s_waitcnt vmcnt(0)
	v_cmp_gt_i16_sdwa s[40:41], v2, s50 src0_sel:BYTE_0 src1_sel:DWORD
	s_and_saveexec_b64 s[42:43], s[40:41]
	s_xor_b64 s[40:41], exec, s[42:43]
	s_cbranch_execnz .LBB276_124
; %bb.43:                               ;   in Loop: Header=BB276_10 Depth=1
	s_or_saveexec_b64 s[40:41], s[40:41]
	v_mov_b32_e32 v31, s44
	s_xor_b64 exec, exec, s[40:41]
	s_cbranch_execnz .LBB276_127
.LBB276_44:                             ;   in Loop: Header=BB276_10 Depth=1
	s_or_b64 exec, exec, s[40:41]
	v_and_b32_e32 v2, 0xffff, v2
	s_and_saveexec_b64 s[40:41], s[0:1]
	s_cbranch_execz .LBB276_46
.LBB276_45:                             ;   in Loop: Header=BB276_10 Depth=1
	v_and_b32_e32 v31, 7, v2
	v_ffbh_u32_e32 v32, v31
	v_min_u32_e32 v35, 32, v32
	v_subrev_u32_e32 v32, 28, v35
	v_bfe_u32 v34, v2, 3, 4
	v_lshlrev_b64 v[32:33], v32, v[2:3]
	v_sub_u32_e32 v33, 29, v35
	v_cmp_eq_u32_e64 s[0:1], 0, v34
	v_and_b32_e32 v32, 7, v32
	s_nop 0
	v_cndmask_b32_e64 v33, v34, v33, s[0:1]
	v_cndmask_b32_e64 v31, v31, v32, s[0:1]
	v_lshlrev_b32_e32 v32, 8, v2
	v_lshl_add_u32 v33, v33, 10, v20
	v_and_or_b32 v32, v32, s52, v33
	v_lshl_or_b32 v31, v31, 7, v32
	v_cvt_f32_f16_e32 v31, v31
.LBB276_46:                             ;   in Loop: Header=BB276_10 Depth=1
	s_or_b64 exec, exec, s[40:41]
	v_lshrrev_b16_e32 v2, 8, v2
	v_cmp_lt_i16_e64 s[0:1], s50, v2
	s_mov_b64 s[40:41], 0
                                        ; implicit-def: $sgpr53
	s_and_saveexec_b64 s[42:43], s[0:1]
	s_xor_b64 s[42:43], exec, s[42:43]
	s_cbranch_execnz .LBB276_128
; %bb.47:                               ;   in Loop: Header=BB276_10 Depth=1
	s_or_saveexec_b64 s[42:43], s[42:43]
	v_mov_b32_e32 v32, s53
	s_xor_b64 exec, exec, s[42:43]
	s_cbranch_execnz .LBB276_131
.LBB276_48:                             ;   in Loop: Header=BB276_10 Depth=1
	s_or_b64 exec, exec, s[42:43]
	s_and_saveexec_b64 s[42:43], s[40:41]
	s_cbranch_execz .LBB276_50
.LBB276_49:                             ;   in Loop: Header=BB276_10 Depth=1
	v_and_b32_e32 v34, 7, v2
	v_ffbh_u32_e32 v32, v34
	v_min_u32_e32 v36, 32, v32
	v_subrev_u32_e32 v32, 28, v36
	v_bfe_u32 v35, v2, 3, 4
	v_lshlrev_b64 v[32:33], v32, v[2:3]
	v_sub_u32_e32 v33, 29, v36
	v_cmp_eq_u32_e64 s[0:1], 0, v35
	v_and_b32_e32 v32, 7, v32
	v_lshlrev_b32_e32 v2, 8, v2
	v_cndmask_b32_e64 v33, v35, v33, s[0:1]
	v_lshl_add_u32 v33, v33, 10, v20
	v_cndmask_b32_e64 v32, v34, v32, s[0:1]
	v_and_or_b32 v2, v2, s52, v33
	v_lshl_or_b32 v2, v32, 7, v2
	v_cvt_f32_f16_e32 v32, v2
.LBB276_50:                             ;   in Loop: Header=BB276_10 Depth=1
	s_or_b64 exec, exec, s[42:43]
	global_load_ushort v2, v[12:13], off offset:520
	s_mov_b64 s[0:1], 0
                                        ; implicit-def: $sgpr44
	s_waitcnt vmcnt(0)
	v_cmp_gt_i16_sdwa s[40:41], v2, s50 src0_sel:BYTE_0 src1_sel:DWORD
	s_and_saveexec_b64 s[42:43], s[40:41]
	s_xor_b64 s[40:41], exec, s[42:43]
	s_cbranch_execnz .LBB276_132
; %bb.51:                               ;   in Loop: Header=BB276_10 Depth=1
	s_or_saveexec_b64 s[40:41], s[40:41]
	v_mov_b32_e32 v33, s44
	s_xor_b64 exec, exec, s[40:41]
	s_cbranch_execnz .LBB276_135
.LBB276_52:                             ;   in Loop: Header=BB276_10 Depth=1
	s_or_b64 exec, exec, s[40:41]
	v_and_b32_e32 v2, 0xffff, v2
	s_and_saveexec_b64 s[40:41], s[0:1]
	s_cbranch_execz .LBB276_54
.LBB276_53:                             ;   in Loop: Header=BB276_10 Depth=1
	v_and_b32_e32 v33, 7, v2
	v_ffbh_u32_e32 v34, v33
	v_min_u32_e32 v37, 32, v34
	v_subrev_u32_e32 v34, 28, v37
	v_bfe_u32 v36, v2, 3, 4
	v_lshlrev_b64 v[34:35], v34, v[2:3]
	v_sub_u32_e32 v35, 29, v37
	v_cmp_eq_u32_e64 s[0:1], 0, v36
	v_and_b32_e32 v34, 7, v34
	s_nop 0
	v_cndmask_b32_e64 v35, v36, v35, s[0:1]
	v_cndmask_b32_e64 v33, v33, v34, s[0:1]
	v_lshlrev_b32_e32 v34, 8, v2
	v_lshl_add_u32 v35, v35, 10, v20
	v_and_or_b32 v34, v34, s52, v35
	v_lshl_or_b32 v33, v33, 7, v34
	v_cvt_f32_f16_e32 v33, v33
.LBB276_54:                             ;   in Loop: Header=BB276_10 Depth=1
	s_or_b64 exec, exec, s[40:41]
	v_lshrrev_b16_e32 v2, 8, v2
	v_cmp_lt_i16_e64 s[0:1], s50, v2
	s_mov_b64 s[40:41], 0
                                        ; implicit-def: $sgpr53
	s_and_saveexec_b64 s[42:43], s[0:1]
	s_xor_b64 s[42:43], exec, s[42:43]
	s_cbranch_execnz .LBB276_136
; %bb.55:                               ;   in Loop: Header=BB276_10 Depth=1
	s_or_saveexec_b64 s[42:43], s[42:43]
	v_mov_b32_e32 v34, s53
	s_xor_b64 exec, exec, s[42:43]
	s_cbranch_execnz .LBB276_139
.LBB276_56:                             ;   in Loop: Header=BB276_10 Depth=1
	s_or_b64 exec, exec, s[42:43]
	s_and_saveexec_b64 s[42:43], s[40:41]
	s_cbranch_execz .LBB276_58
.LBB276_57:                             ;   in Loop: Header=BB276_10 Depth=1
	v_and_b32_e32 v36, 7, v2
	v_ffbh_u32_e32 v34, v36
	v_min_u32_e32 v38, 32, v34
	v_subrev_u32_e32 v34, 28, v38
	v_bfe_u32 v37, v2, 3, 4
	v_lshlrev_b64 v[34:35], v34, v[2:3]
	v_sub_u32_e32 v35, 29, v38
	v_cmp_eq_u32_e64 s[0:1], 0, v37
	v_and_b32_e32 v34, 7, v34
	v_lshlrev_b32_e32 v2, 8, v2
	v_cndmask_b32_e64 v35, v37, v35, s[0:1]
	v_lshl_add_u32 v35, v35, 10, v20
	v_cndmask_b32_e64 v34, v36, v34, s[0:1]
	v_and_or_b32 v2, v2, s52, v35
	v_lshl_or_b32 v2, v34, 7, v2
	v_cvt_f32_f16_e32 v34, v2
.LBB276_58:                             ;   in Loop: Header=BB276_10 Depth=1
	s_or_b64 exec, exec, s[42:43]
	global_load_ushort v2, v[12:13], off offset:768
	s_mov_b64 s[0:1], 0
                                        ; implicit-def: $sgpr44
	s_waitcnt vmcnt(0)
	v_cmp_gt_i16_sdwa s[40:41], v2, s50 src0_sel:BYTE_0 src1_sel:DWORD
	s_and_saveexec_b64 s[42:43], s[40:41]
	s_xor_b64 s[40:41], exec, s[42:43]
	s_cbranch_execnz .LBB276_140
; %bb.59:                               ;   in Loop: Header=BB276_10 Depth=1
	s_or_saveexec_b64 s[40:41], s[40:41]
	v_mov_b32_e32 v35, s44
	s_xor_b64 exec, exec, s[40:41]
	s_cbranch_execnz .LBB276_143
.LBB276_60:                             ;   in Loop: Header=BB276_10 Depth=1
	s_or_b64 exec, exec, s[40:41]
	v_and_b32_e32 v2, 0xffff, v2
	s_and_saveexec_b64 s[40:41], s[0:1]
	s_cbranch_execz .LBB276_62
.LBB276_61:                             ;   in Loop: Header=BB276_10 Depth=1
	v_and_b32_e32 v35, 7, v2
	v_ffbh_u32_e32 v36, v35
	v_min_u32_e32 v39, 32, v36
	v_subrev_u32_e32 v36, 28, v39
	v_bfe_u32 v38, v2, 3, 4
	v_lshlrev_b64 v[36:37], v36, v[2:3]
	v_sub_u32_e32 v37, 29, v39
	v_cmp_eq_u32_e64 s[0:1], 0, v38
	v_and_b32_e32 v36, 7, v36
	s_nop 0
	v_cndmask_b32_e64 v37, v38, v37, s[0:1]
	v_cndmask_b32_e64 v35, v35, v36, s[0:1]
	v_lshlrev_b32_e32 v36, 8, v2
	v_lshl_add_u32 v37, v37, 10, v20
	v_and_or_b32 v36, v36, s52, v37
	v_lshl_or_b32 v35, v35, 7, v36
	v_cvt_f32_f16_e32 v35, v35
.LBB276_62:                             ;   in Loop: Header=BB276_10 Depth=1
	s_or_b64 exec, exec, s[40:41]
	v_lshrrev_b16_e32 v2, 8, v2
	v_cmp_lt_i16_e64 s[0:1], s50, v2
	s_mov_b64 s[40:41], 0
                                        ; implicit-def: $sgpr53
	s_and_saveexec_b64 s[42:43], s[0:1]
	s_xor_b64 s[42:43], exec, s[42:43]
	s_cbranch_execnz .LBB276_144
; %bb.63:                               ;   in Loop: Header=BB276_10 Depth=1
	s_or_saveexec_b64 s[42:43], s[42:43]
	v_mov_b32_e32 v36, s53
	s_xor_b64 exec, exec, s[42:43]
	s_cbranch_execnz .LBB276_147
.LBB276_64:                             ;   in Loop: Header=BB276_10 Depth=1
	s_or_b64 exec, exec, s[42:43]
	s_and_saveexec_b64 s[42:43], s[40:41]
	s_cbranch_execz .LBB276_66
.LBB276_65:                             ;   in Loop: Header=BB276_10 Depth=1
	v_and_b32_e32 v38, 7, v2
	v_ffbh_u32_e32 v36, v38
	v_min_u32_e32 v40, 32, v36
	v_subrev_u32_e32 v36, 28, v40
	v_bfe_u32 v39, v2, 3, 4
	v_lshlrev_b64 v[36:37], v36, v[2:3]
	v_sub_u32_e32 v37, 29, v40
	v_cmp_eq_u32_e64 s[0:1], 0, v39
	v_and_b32_e32 v36, 7, v36
	v_lshlrev_b32_e32 v2, 8, v2
	v_cndmask_b32_e64 v37, v39, v37, s[0:1]
	v_lshl_add_u32 v37, v37, 10, v20
	v_cndmask_b32_e64 v36, v38, v36, s[0:1]
	v_and_or_b32 v2, v2, s52, v37
	v_lshl_or_b32 v2, v36, 7, v2
	v_cvt_f32_f16_e32 v36, v2
.LBB276_66:                             ;   in Loop: Header=BB276_10 Depth=1
	s_or_b64 exec, exec, s[42:43]
	global_load_ushort v2, v[12:13], off offset:776
	s_mov_b64 s[0:1], 0
                                        ; implicit-def: $sgpr44
	s_waitcnt vmcnt(0)
	v_cmp_gt_i16_sdwa s[40:41], v2, s50 src0_sel:BYTE_0 src1_sel:DWORD
	s_and_saveexec_b64 s[42:43], s[40:41]
	s_xor_b64 s[40:41], exec, s[42:43]
	s_cbranch_execnz .LBB276_148
; %bb.67:                               ;   in Loop: Header=BB276_10 Depth=1
	s_or_saveexec_b64 s[40:41], s[40:41]
	v_mov_b32_e32 v37, s44
	s_xor_b64 exec, exec, s[40:41]
	s_cbranch_execnz .LBB276_151
.LBB276_68:                             ;   in Loop: Header=BB276_10 Depth=1
	s_or_b64 exec, exec, s[40:41]
	v_and_b32_e32 v2, 0xffff, v2
	s_and_saveexec_b64 s[40:41], s[0:1]
	s_cbranch_execz .LBB276_70
.LBB276_69:                             ;   in Loop: Header=BB276_10 Depth=1
	v_and_b32_e32 v37, 7, v2
	v_ffbh_u32_e32 v38, v37
	v_min_u32_e32 v41, 32, v38
	v_subrev_u32_e32 v38, 28, v41
	v_bfe_u32 v40, v2, 3, 4
	v_lshlrev_b64 v[38:39], v38, v[2:3]
	v_sub_u32_e32 v39, 29, v41
	v_cmp_eq_u32_e64 s[0:1], 0, v40
	v_and_b32_e32 v38, 7, v38
	s_nop 0
	v_cndmask_b32_e64 v39, v40, v39, s[0:1]
	v_cndmask_b32_e64 v37, v37, v38, s[0:1]
	v_lshlrev_b32_e32 v38, 8, v2
	v_lshl_add_u32 v39, v39, 10, v20
	v_and_or_b32 v38, v38, s52, v39
	v_lshl_or_b32 v37, v37, 7, v38
	v_cvt_f32_f16_e32 v37, v37
.LBB276_70:                             ;   in Loop: Header=BB276_10 Depth=1
	s_or_b64 exec, exec, s[40:41]
	v_lshrrev_b16_e32 v2, 8, v2
	v_cmp_lt_i16_e64 s[0:1], s50, v2
	s_mov_b64 s[40:41], 0
                                        ; implicit-def: $sgpr53
	s_and_saveexec_b64 s[42:43], s[0:1]
	s_xor_b64 s[42:43], exec, s[42:43]
	s_cbranch_execnz .LBB276_152
; %bb.71:                               ;   in Loop: Header=BB276_10 Depth=1
	s_or_saveexec_b64 s[42:43], s[42:43]
	v_mov_b32_e32 v38, s53
	s_xor_b64 exec, exec, s[42:43]
	s_cbranch_execnz .LBB276_155
.LBB276_72:                             ;   in Loop: Header=BB276_10 Depth=1
	s_or_b64 exec, exec, s[42:43]
	s_and_saveexec_b64 s[42:43], s[40:41]
	s_cbranch_execz .LBB276_74
.LBB276_73:                             ;   in Loop: Header=BB276_10 Depth=1
	v_and_b32_e32 v40, 7, v2
	v_ffbh_u32_e32 v38, v40
	v_min_u32_e32 v42, 32, v38
	v_subrev_u32_e32 v38, 28, v42
	v_bfe_u32 v41, v2, 3, 4
	v_lshlrev_b64 v[38:39], v38, v[2:3]
	v_sub_u32_e32 v39, 29, v42
	v_cmp_eq_u32_e64 s[0:1], 0, v41
	v_and_b32_e32 v38, 7, v38
	v_lshlrev_b32_e32 v2, 8, v2
	v_cndmask_b32_e64 v39, v41, v39, s[0:1]
	v_lshl_add_u32 v39, v39, 10, v20
	v_cndmask_b32_e64 v38, v40, v38, s[0:1]
	v_and_or_b32 v2, v2, s52, v39
	v_lshl_or_b32 v2, v38, 7, v2
	v_cvt_f32_f16_e32 v38, v2
.LBB276_74:                             ;   in Loop: Header=BB276_10 Depth=1
	s_or_b64 exec, exec, s[42:43]
	global_load_ushort v2, v[12:13], off offset:1024
	s_mov_b64 s[0:1], 0
                                        ; implicit-def: $sgpr44
	s_waitcnt vmcnt(0)
	v_cmp_gt_i16_sdwa s[40:41], v2, s50 src0_sel:BYTE_0 src1_sel:DWORD
	s_and_saveexec_b64 s[42:43], s[40:41]
	s_xor_b64 s[40:41], exec, s[42:43]
	s_cbranch_execnz .LBB276_156
; %bb.75:                               ;   in Loop: Header=BB276_10 Depth=1
	s_or_saveexec_b64 s[40:41], s[40:41]
	v_mov_b32_e32 v39, s44
	s_xor_b64 exec, exec, s[40:41]
	s_cbranch_execnz .LBB276_159
.LBB276_76:                             ;   in Loop: Header=BB276_10 Depth=1
	s_or_b64 exec, exec, s[40:41]
	v_and_b32_e32 v2, 0xffff, v2
	s_and_saveexec_b64 s[40:41], s[0:1]
	s_cbranch_execz .LBB276_78
.LBB276_77:                             ;   in Loop: Header=BB276_10 Depth=1
	v_and_b32_e32 v39, 7, v2
	v_ffbh_u32_e32 v40, v39
	v_min_u32_e32 v43, 32, v40
	v_subrev_u32_e32 v40, 28, v43
	v_bfe_u32 v42, v2, 3, 4
	v_lshlrev_b64 v[40:41], v40, v[2:3]
	v_sub_u32_e32 v41, 29, v43
	v_cmp_eq_u32_e64 s[0:1], 0, v42
	v_and_b32_e32 v40, 7, v40
	s_nop 0
	v_cndmask_b32_e64 v41, v42, v41, s[0:1]
	v_cndmask_b32_e64 v39, v39, v40, s[0:1]
	v_lshlrev_b32_e32 v40, 8, v2
	v_lshl_add_u32 v41, v41, 10, v20
	v_and_or_b32 v40, v40, s52, v41
	v_lshl_or_b32 v39, v39, 7, v40
	v_cvt_f32_f16_e32 v39, v39
.LBB276_78:                             ;   in Loop: Header=BB276_10 Depth=1
	s_or_b64 exec, exec, s[40:41]
	v_lshrrev_b16_e32 v2, 8, v2
	v_cmp_lt_i16_e64 s[0:1], s50, v2
	s_mov_b64 s[40:41], 0
                                        ; implicit-def: $sgpr53
	s_and_saveexec_b64 s[42:43], s[0:1]
	s_xor_b64 s[42:43], exec, s[42:43]
	s_cbranch_execnz .LBB276_160
; %bb.79:                               ;   in Loop: Header=BB276_10 Depth=1
	s_or_saveexec_b64 s[42:43], s[42:43]
	v_mov_b32_e32 v40, s53
	s_xor_b64 exec, exec, s[42:43]
	s_cbranch_execnz .LBB276_163
.LBB276_80:                             ;   in Loop: Header=BB276_10 Depth=1
	s_or_b64 exec, exec, s[42:43]
	s_and_saveexec_b64 s[42:43], s[40:41]
	s_cbranch_execz .LBB276_82
.LBB276_81:                             ;   in Loop: Header=BB276_10 Depth=1
	v_and_b32_e32 v42, 7, v2
	v_ffbh_u32_e32 v40, v42
	v_min_u32_e32 v44, 32, v40
	v_subrev_u32_e32 v40, 28, v44
	v_bfe_u32 v43, v2, 3, 4
	v_lshlrev_b64 v[40:41], v40, v[2:3]
	v_sub_u32_e32 v41, 29, v44
	v_cmp_eq_u32_e64 s[0:1], 0, v43
	v_and_b32_e32 v40, 7, v40
	v_lshlrev_b32_e32 v2, 8, v2
	v_cndmask_b32_e64 v41, v43, v41, s[0:1]
	v_lshl_add_u32 v41, v41, 10, v20
	v_cndmask_b32_e64 v40, v42, v40, s[0:1]
	v_and_or_b32 v2, v2, s52, v41
	v_lshl_or_b32 v2, v40, 7, v2
	v_cvt_f32_f16_e32 v40, v2
.LBB276_82:                             ;   in Loop: Header=BB276_10 Depth=1
	s_or_b64 exec, exec, s[42:43]
	global_load_ushort v2, v[12:13], off offset:1032
	s_mov_b64 s[0:1], 0
                                        ; implicit-def: $sgpr44
	s_waitcnt vmcnt(0)
	v_cmp_gt_i16_sdwa s[40:41], v2, s50 src0_sel:BYTE_0 src1_sel:DWORD
	s_and_saveexec_b64 s[42:43], s[40:41]
	s_xor_b64 s[40:41], exec, s[42:43]
	s_cbranch_execnz .LBB276_164
; %bb.83:                               ;   in Loop: Header=BB276_10 Depth=1
	s_or_saveexec_b64 s[40:41], s[40:41]
	v_mov_b32_e32 v12, s44
	s_xor_b64 exec, exec, s[40:41]
	s_cbranch_execnz .LBB276_167
.LBB276_84:                             ;   in Loop: Header=BB276_10 Depth=1
	s_or_b64 exec, exec, s[40:41]
	v_and_b32_e32 v2, 0xffff, v2
	s_and_saveexec_b64 s[40:41], s[0:1]
	s_cbranch_execz .LBB276_86
.LBB276_85:                             ;   in Loop: Header=BB276_10 Depth=1
	v_and_b32_e32 v41, 7, v2
	v_ffbh_u32_e32 v12, v41
	v_min_u32_e32 v43, 32, v12
	v_subrev_u32_e32 v12, 28, v43
	v_bfe_u32 v42, v2, 3, 4
	v_lshlrev_b64 v[12:13], v12, v[2:3]
	v_sub_u32_e32 v13, 29, v43
	v_cmp_eq_u32_e64 s[0:1], 0, v42
	v_and_b32_e32 v12, 7, v12
	s_nop 0
	v_cndmask_b32_e64 v13, v42, v13, s[0:1]
	v_cndmask_b32_e64 v12, v41, v12, s[0:1]
	v_lshlrev_b32_e32 v41, 8, v2
	v_lshl_add_u32 v13, v13, 10, v20
	v_and_or_b32 v13, v41, s52, v13
	v_lshl_or_b32 v12, v12, 7, v13
	v_cvt_f32_f16_e32 v12, v12
.LBB276_86:                             ;   in Loop: Header=BB276_10 Depth=1
	s_or_b64 exec, exec, s[40:41]
	v_lshrrev_b16_e32 v2, 8, v2
	v_cmp_lt_i16_e64 s[0:1], s50, v2
	s_mov_b64 s[40:41], 0
                                        ; implicit-def: $sgpr53
	s_and_saveexec_b64 s[42:43], s[0:1]
	s_xor_b64 s[42:43], exec, s[42:43]
	s_cbranch_execnz .LBB276_168
; %bb.87:                               ;   in Loop: Header=BB276_10 Depth=1
	s_or_saveexec_b64 s[42:43], s[42:43]
	v_mov_b32_e32 v13, s53
	s_xor_b64 exec, exec, s[42:43]
	s_cbranch_execnz .LBB276_171
.LBB276_88:                             ;   in Loop: Header=BB276_10 Depth=1
	s_or_b64 exec, exec, s[42:43]
	s_and_saveexec_b64 s[42:43], s[40:41]
	s_cbranch_execz .LBB276_90
.LBB276_89:                             ;   in Loop: Header=BB276_10 Depth=1
	v_and_b32_e32 v13, 7, v2
	v_ffbh_u32_e32 v42, v13
	v_min_u32_e32 v44, 32, v42
	v_subrev_u32_e32 v42, 28, v44
	v_bfe_u32 v41, v2, 3, 4
	v_lshlrev_b64 v[42:43], v42, v[2:3]
	v_sub_u32_e32 v43, 29, v44
	v_cmp_eq_u32_e64 s[0:1], 0, v41
	v_and_b32_e32 v42, 7, v42
	v_lshlrev_b32_e32 v2, 8, v2
	v_cndmask_b32_e64 v41, v41, v43, s[0:1]
	v_lshl_add_u32 v41, v41, 10, v20
	v_cndmask_b32_e64 v13, v13, v42, s[0:1]
	v_and_or_b32 v2, v2, s52, v41
	v_lshl_or_b32 v2, v13, 7, v2
	v_cvt_f32_f16_e32 v13, v2
.LBB276_90:                             ;   in Loop: Header=BB276_10 Depth=1
	s_or_b64 exec, exec, s[42:43]
	ds_read_b32 v2, v17
	v_fma_mixlo_f16 v23, v22, v23, 0
	v_fma_mixlo_f16 v24, v22, v24, 0
	v_and_b32_e32 v23, 0xffff, v23
	v_and_b32_e32 v24, 0xffff, v24
	s_waitcnt lgkmcnt(0)
	v_lshrrev_b32_e32 v41, 16, v2
	v_and_b32_e32 v2, 0xffff, v2
	;;#ASMSTART
	v_cvt_f32_f16 v2, v2;
	;;#ASMEND
	;;#ASMSTART
	v_cvt_f32_f16 v41, v41;
	;;#ASMEND
	;;#ASMSTART
	v_cvt_f32_f16 v23, v23;
	;;#ASMEND
	;;#ASMSTART
	v_cvt_f32_f16 v24, v24;
	;;#ASMEND
	ds_read_b32 v42, v17 offset:4
	v_fma_mixlo_f16 v25, v22, v25, 0
	v_fma_mixlo_f16 v26, v22, v26, 0
	v_and_b32_e32 v25, 0xffff, v25
	v_and_b32_e32 v26, 0xffff, v26
	s_waitcnt lgkmcnt(0)
	v_lshrrev_b32_e32 v43, 16, v42
	v_and_b32_e32 v42, 0xffff, v42
	;;#ASMSTART
	v_cvt_f32_f16 v42, v42;
	;;#ASMEND
	;;#ASMSTART
	v_cvt_f32_f16 v43, v43;
	;;#ASMEND
	;;#ASMSTART
	v_cvt_f32_f16 v25, v25;
	;;#ASMEND
	;;#ASMSTART
	v_cvt_f32_f16 v26, v26;
	;;#ASMEND
	ds_read_b32 v44, v17 offset:8
	;; [unrolled: 20-line block ×5, first 2 shown]
	v_fma_mixlo_f16 v39, v22, v39, 0
	v_fma_mixlo_f16 v40, v22, v40, 0
	;; [unrolled: 1-line block ×10, first 2 shown]
	v_mul_f32_e32 v22, v42, v25
	v_fmac_f32_e32 v22, v2, v23
	s_waitcnt lgkmcnt(0)
	v_lshrrev_b32_e32 v2, 16, v50
	v_and_b32_e32 v23, 0xffff, v50
	v_and_b32_e32 v25, 0xffff, v33
	;; [unrolled: 1-line block ×3, first 2 shown]
	;;#ASMSTART
	v_cvt_f32_f16 v23, v23;
	;;#ASMEND
	;;#ASMSTART
	v_cvt_f32_f16 v2, v2;
	;;#ASMEND
	;; [unrolled: 3-line block ×4, first 2 shown]
	ds_read_b32 v34, v17 offset:24
	v_mul_f32_e32 v26, v43, v26
	v_fmac_f32_e32 v26, v41, v24
	v_fmac_f32_e32 v22, v44, v27
	;; [unrolled: 1-line block ×3, first 2 shown]
	s_waitcnt lgkmcnt(0)
	v_lshrrev_b32_e32 v24, 16, v34
	v_and_b32_e32 v27, 0xffff, v34
	v_and_b32_e32 v28, 0xffff, v35
	;; [unrolled: 1-line block ×3, first 2 shown]
	;;#ASMSTART
	v_cvt_f32_f16 v27, v27;
	;;#ASMEND
	;;#ASMSTART
	v_cvt_f32_f16 v24, v24;
	;;#ASMEND
	;; [unrolled: 3-line block ×4, first 2 shown]
	ds_read_b32 v35, v17 offset:28
	v_fmac_f32_e32 v22, v46, v29
	v_fmac_f32_e32 v26, v47, v30
	;; [unrolled: 1-line block ×4, first 2 shown]
	s_waitcnt lgkmcnt(0)
	v_lshrrev_b32_e32 v29, 16, v35
	v_and_b32_e32 v30, 0xffff, v35
	v_and_b32_e32 v31, 0xffff, v37
	;; [unrolled: 1-line block ×3, first 2 shown]
	;;#ASMSTART
	v_cvt_f32_f16 v30, v30;
	;;#ASMEND
	;;#ASMSTART
	v_cvt_f32_f16 v29, v29;
	;;#ASMEND
	;; [unrolled: 3-line block ×4, first 2 shown]
	ds_read_b32 v35, v17 offset:32
	v_fmac_f32_e32 v26, v2, v33
	v_fmac_f32_e32 v22, v23, v25
	;; [unrolled: 1-line block ×3, first 2 shown]
	v_and_b32_e32 v24, 0xffff, v39
	s_waitcnt lgkmcnt(0)
	v_lshrrev_b32_e32 v2, 16, v35
	v_and_b32_e32 v23, 0xffff, v35
	v_and_b32_e32 v25, 0xffff, v40
	v_fmac_f32_e32 v22, v27, v28
	;;#ASMSTART
	v_cvt_f32_f16 v23, v23;
	;;#ASMEND
	;;#ASMSTART
	v_cvt_f32_f16 v2, v2;
	;;#ASMEND
	;; [unrolled: 3-line block ×4, first 2 shown]
	ds_read_b32 v27, v17 offset:36
	v_fmac_f32_e32 v22, v30, v31
	v_fmac_f32_e32 v26, v29, v32
	;; [unrolled: 1-line block ×4, first 2 shown]
	s_waitcnt lgkmcnt(0)
	v_lshrrev_b32_e32 v2, 16, v27
	v_and_b32_e32 v23, 0xffff, v27
	;;#ASMSTART
	v_cvt_f32_f16 v23, v23;
	;;#ASMEND
	;;#ASMSTART
	v_cvt_f32_f16 v2, v2;
	;;#ASMEND
	v_and_b32_e32 v12, 0xffff, v12
	v_and_b32_e32 v13, 0xffff, v13
	;;#ASMSTART
	v_cvt_f32_f16 v12, v12;
	;;#ASMEND
	;;#ASMSTART
	v_cvt_f32_f16 v13, v13;
	;;#ASMEND
	s_nop 0
	v_fmac_f32_e32 v26, v2, v13
	v_and_b32_e32 v2, 64, v16
	v_add_u32_e32 v2, 64, v2
	v_xor_b32_e32 v13, 2, v16
	v_cmp_lt_i32_e64 s[0:1], v13, v2
	v_fmac_f32_e32 v22, v23, v12
	v_add_f32_e32 v12, v22, v26
	v_cndmask_b32_e64 v13, v16, v13, s[0:1]
	v_lshlrev_b32_e32 v13, 2, v13
	ds_bpermute_b32 v13, v13, v12
	s_waitcnt lgkmcnt(0)
	v_add_f32_e32 v12, v12, v13
	v_xor_b32_e32 v13, 1, v16
	v_cmp_lt_i32_e64 s[0:1], v13, v2
	s_nop 1
	v_cndmask_b32_e64 v13, v16, v13, s[0:1]
	v_lshlrev_b32_e32 v13, 2, v13
	ds_bpermute_b32 v13, v13, v12
	s_and_saveexec_b64 s[40:41], vcc
	s_cbranch_execz .LBB276_9
; %bb.91:                               ;   in Loop: Header=BB276_10 Depth=1
	v_add_u32_e32 v22, s49, v18
	v_cvt_f32_i32_e32 v22, v22
	s_waitcnt lgkmcnt(0)
	v_add_f32_e32 v12, v12, v13
	v_cmp_gt_i32_e64 s[0:1], s29, v18
	v_max_f32_e32 v13, v1, v1
	v_mul_f32_e32 v22, s47, v22
	v_cndmask_b32_e64 v22, 0, v22, s[6:7]
	v_fmac_f32_e32 v22, s11, v12
	v_cndmask_b32_e64 v12, 0, v22, s[0:1]
	ds_write_b32 v19, v12
	v_max_f32_e32 v12, v13, v22
	v_cndmask_b32_e64 v1, v1, v12, s[0:1]
	s_branch .LBB276_9
.LBB276_92:                             ;   in Loop: Header=BB276_10 Depth=1
	v_cmp_eq_u16_sdwa s[54:55], v2, s51 src0_sel:BYTE_0 src1_sel:DWORD
	s_mov_b64 s[0:1], -1
                                        ; implicit-def: $sgpr44
	s_and_saveexec_b64 s[42:43], s[54:55]
; %bb.93:                               ;   in Loop: Header=BB276_10 Depth=1
	s_mov_b32 s44, 0x7fc02000
	s_xor_b64 s[0:1], exec, -1
; %bb.94:                               ;   in Loop: Header=BB276_10 Depth=1
	s_or_b64 exec, exec, s[42:43]
	s_and_b64 s[0:1], s[0:1], exec
	s_or_saveexec_b64 s[40:41], s[40:41]
	v_mov_b32_e32 v23, s44
	s_xor_b64 exec, exec, s[40:41]
	s_cbranch_execz .LBB276_12
.LBB276_95:                             ;   in Loop: Header=BB276_10 Depth=1
	v_cmp_ne_u16_sdwa s[42:43], v2, v3 src0_sel:BYTE_0 src1_sel:DWORD
	s_andn2_b64 s[0:1], s[0:1], exec
	s_and_b64 s[42:43], s[42:43], exec
	v_mov_b32_e32 v23, 0
	s_or_b64 s[0:1], s[0:1], s[42:43]
	s_or_b64 exec, exec, s[40:41]
	v_and_b32_e32 v2, 0xffff, v2
	s_and_saveexec_b64 s[40:41], s[0:1]
	s_cbranch_execnz .LBB276_13
	s_branch .LBB276_14
.LBB276_96:                             ;   in Loop: Header=BB276_10 Depth=1
	v_cmp_eq_u16_e64 s[0:1], s51, v2
	s_mov_b64 s[40:41], -1
                                        ; implicit-def: $sgpr53
	s_and_saveexec_b64 s[44:45], s[0:1]
; %bb.97:                               ;   in Loop: Header=BB276_10 Depth=1
	s_mov_b32 s53, 0x7fc02000
	s_xor_b64 s[40:41], exec, -1
; %bb.98:                               ;   in Loop: Header=BB276_10 Depth=1
	s_or_b64 exec, exec, s[44:45]
	s_and_b64 s[40:41], s[40:41], exec
	s_or_saveexec_b64 s[42:43], s[42:43]
	v_mov_b32_e32 v24, s53
	s_xor_b64 exec, exec, s[42:43]
	s_cbranch_execz .LBB276_16
.LBB276_99:                             ;   in Loop: Header=BB276_10 Depth=1
	v_cmp_ne_u16_e64 s[0:1], 0, v2
	s_andn2_b64 s[40:41], s[40:41], exec
	s_and_b64 s[0:1], s[0:1], exec
	v_mov_b32_e32 v24, 0
	s_or_b64 s[40:41], s[40:41], s[0:1]
	s_or_b64 exec, exec, s[42:43]
	s_and_saveexec_b64 s[42:43], s[40:41]
	s_cbranch_execnz .LBB276_17
	s_branch .LBB276_18
.LBB276_100:                            ;   in Loop: Header=BB276_10 Depth=1
	v_cmp_eq_u16_sdwa s[54:55], v2, s51 src0_sel:BYTE_0 src1_sel:DWORD
	s_mov_b64 s[0:1], -1
                                        ; implicit-def: $sgpr44
	s_and_saveexec_b64 s[42:43], s[54:55]
; %bb.101:                              ;   in Loop: Header=BB276_10 Depth=1
	s_mov_b32 s44, 0x7fc02000
	s_xor_b64 s[0:1], exec, -1
; %bb.102:                              ;   in Loop: Header=BB276_10 Depth=1
	s_or_b64 exec, exec, s[42:43]
	s_and_b64 s[0:1], s[0:1], exec
	s_or_saveexec_b64 s[40:41], s[40:41]
	v_mov_b32_e32 v25, s44
	s_xor_b64 exec, exec, s[40:41]
	s_cbranch_execz .LBB276_20
.LBB276_103:                            ;   in Loop: Header=BB276_10 Depth=1
	v_cmp_ne_u16_sdwa s[42:43], v2, v3 src0_sel:BYTE_0 src1_sel:DWORD
	s_andn2_b64 s[0:1], s[0:1], exec
	s_and_b64 s[42:43], s[42:43], exec
	v_mov_b32_e32 v25, 0
	s_or_b64 s[0:1], s[0:1], s[42:43]
	s_or_b64 exec, exec, s[40:41]
	v_and_b32_e32 v2, 0xffff, v2
	s_and_saveexec_b64 s[40:41], s[0:1]
	s_cbranch_execnz .LBB276_21
	s_branch .LBB276_22
.LBB276_104:                            ;   in Loop: Header=BB276_10 Depth=1
	v_cmp_eq_u16_e64 s[0:1], s51, v2
	s_mov_b64 s[40:41], -1
                                        ; implicit-def: $sgpr53
	s_and_saveexec_b64 s[44:45], s[0:1]
; %bb.105:                              ;   in Loop: Header=BB276_10 Depth=1
	s_mov_b32 s53, 0x7fc02000
	s_xor_b64 s[40:41], exec, -1
; %bb.106:                              ;   in Loop: Header=BB276_10 Depth=1
	s_or_b64 exec, exec, s[44:45]
	s_and_b64 s[40:41], s[40:41], exec
	s_or_saveexec_b64 s[42:43], s[42:43]
	v_mov_b32_e32 v26, s53
	s_xor_b64 exec, exec, s[42:43]
	s_cbranch_execz .LBB276_24
.LBB276_107:                            ;   in Loop: Header=BB276_10 Depth=1
	v_cmp_ne_u16_e64 s[0:1], 0, v2
	s_andn2_b64 s[40:41], s[40:41], exec
	s_and_b64 s[0:1], s[0:1], exec
	v_mov_b32_e32 v26, 0
	s_or_b64 s[40:41], s[40:41], s[0:1]
	s_or_b64 exec, exec, s[42:43]
	s_and_saveexec_b64 s[42:43], s[40:41]
	s_cbranch_execnz .LBB276_25
	s_branch .LBB276_26
.LBB276_108:                            ;   in Loop: Header=BB276_10 Depth=1
	v_cmp_eq_u16_sdwa s[54:55], v2, s51 src0_sel:BYTE_0 src1_sel:DWORD
	s_mov_b64 s[0:1], -1
                                        ; implicit-def: $sgpr44
	s_and_saveexec_b64 s[42:43], s[54:55]
; %bb.109:                              ;   in Loop: Header=BB276_10 Depth=1
	s_mov_b32 s44, 0x7fc02000
	s_xor_b64 s[0:1], exec, -1
; %bb.110:                              ;   in Loop: Header=BB276_10 Depth=1
	s_or_b64 exec, exec, s[42:43]
	s_and_b64 s[0:1], s[0:1], exec
	s_or_saveexec_b64 s[40:41], s[40:41]
	v_mov_b32_e32 v27, s44
	s_xor_b64 exec, exec, s[40:41]
	s_cbranch_execz .LBB276_28
.LBB276_111:                            ;   in Loop: Header=BB276_10 Depth=1
	v_cmp_ne_u16_sdwa s[42:43], v2, v3 src0_sel:BYTE_0 src1_sel:DWORD
	s_andn2_b64 s[0:1], s[0:1], exec
	s_and_b64 s[42:43], s[42:43], exec
	v_mov_b32_e32 v27, 0
	s_or_b64 s[0:1], s[0:1], s[42:43]
	s_or_b64 exec, exec, s[40:41]
	v_and_b32_e32 v2, 0xffff, v2
	s_and_saveexec_b64 s[40:41], s[0:1]
	s_cbranch_execnz .LBB276_29
	s_branch .LBB276_30
.LBB276_112:                            ;   in Loop: Header=BB276_10 Depth=1
	v_cmp_eq_u16_e64 s[0:1], s51, v2
	s_mov_b64 s[40:41], -1
                                        ; implicit-def: $sgpr53
	s_and_saveexec_b64 s[44:45], s[0:1]
; %bb.113:                              ;   in Loop: Header=BB276_10 Depth=1
	s_mov_b32 s53, 0x7fc02000
	s_xor_b64 s[40:41], exec, -1
; %bb.114:                              ;   in Loop: Header=BB276_10 Depth=1
	s_or_b64 exec, exec, s[44:45]
	s_and_b64 s[40:41], s[40:41], exec
	s_or_saveexec_b64 s[42:43], s[42:43]
	v_mov_b32_e32 v28, s53
	s_xor_b64 exec, exec, s[42:43]
	s_cbranch_execz .LBB276_32
.LBB276_115:                            ;   in Loop: Header=BB276_10 Depth=1
	v_cmp_ne_u16_e64 s[0:1], 0, v2
	s_andn2_b64 s[40:41], s[40:41], exec
	s_and_b64 s[0:1], s[0:1], exec
	v_mov_b32_e32 v28, 0
	s_or_b64 s[40:41], s[40:41], s[0:1]
	s_or_b64 exec, exec, s[42:43]
	s_and_saveexec_b64 s[42:43], s[40:41]
	s_cbranch_execnz .LBB276_33
	s_branch .LBB276_34
.LBB276_116:                            ;   in Loop: Header=BB276_10 Depth=1
	v_cmp_eq_u16_sdwa s[54:55], v2, s51 src0_sel:BYTE_0 src1_sel:DWORD
	s_mov_b64 s[0:1], -1
                                        ; implicit-def: $sgpr44
	s_and_saveexec_b64 s[42:43], s[54:55]
; %bb.117:                              ;   in Loop: Header=BB276_10 Depth=1
	s_mov_b32 s44, 0x7fc02000
	s_xor_b64 s[0:1], exec, -1
; %bb.118:                              ;   in Loop: Header=BB276_10 Depth=1
	s_or_b64 exec, exec, s[42:43]
	s_and_b64 s[0:1], s[0:1], exec
	s_or_saveexec_b64 s[40:41], s[40:41]
	v_mov_b32_e32 v29, s44
	s_xor_b64 exec, exec, s[40:41]
	s_cbranch_execz .LBB276_36
.LBB276_119:                            ;   in Loop: Header=BB276_10 Depth=1
	v_cmp_ne_u16_sdwa s[42:43], v2, v3 src0_sel:BYTE_0 src1_sel:DWORD
	s_andn2_b64 s[0:1], s[0:1], exec
	s_and_b64 s[42:43], s[42:43], exec
	v_mov_b32_e32 v29, 0
	s_or_b64 s[0:1], s[0:1], s[42:43]
	s_or_b64 exec, exec, s[40:41]
	v_and_b32_e32 v2, 0xffff, v2
	s_and_saveexec_b64 s[40:41], s[0:1]
	s_cbranch_execnz .LBB276_37
	s_branch .LBB276_38
.LBB276_120:                            ;   in Loop: Header=BB276_10 Depth=1
	v_cmp_eq_u16_e64 s[0:1], s51, v2
	s_mov_b64 s[40:41], -1
                                        ; implicit-def: $sgpr53
	s_and_saveexec_b64 s[44:45], s[0:1]
; %bb.121:                              ;   in Loop: Header=BB276_10 Depth=1
	s_mov_b32 s53, 0x7fc02000
	s_xor_b64 s[40:41], exec, -1
; %bb.122:                              ;   in Loop: Header=BB276_10 Depth=1
	s_or_b64 exec, exec, s[44:45]
	s_and_b64 s[40:41], s[40:41], exec
	s_or_saveexec_b64 s[42:43], s[42:43]
	v_mov_b32_e32 v30, s53
	s_xor_b64 exec, exec, s[42:43]
	s_cbranch_execz .LBB276_40
.LBB276_123:                            ;   in Loop: Header=BB276_10 Depth=1
	v_cmp_ne_u16_e64 s[0:1], 0, v2
	s_andn2_b64 s[40:41], s[40:41], exec
	s_and_b64 s[0:1], s[0:1], exec
	v_mov_b32_e32 v30, 0
	s_or_b64 s[40:41], s[40:41], s[0:1]
	s_or_b64 exec, exec, s[42:43]
	s_and_saveexec_b64 s[42:43], s[40:41]
	s_cbranch_execnz .LBB276_41
	s_branch .LBB276_42
.LBB276_124:                            ;   in Loop: Header=BB276_10 Depth=1
	v_cmp_eq_u16_sdwa s[54:55], v2, s51 src0_sel:BYTE_0 src1_sel:DWORD
	s_mov_b64 s[0:1], -1
                                        ; implicit-def: $sgpr44
	s_and_saveexec_b64 s[42:43], s[54:55]
; %bb.125:                              ;   in Loop: Header=BB276_10 Depth=1
	s_mov_b32 s44, 0x7fc02000
	s_xor_b64 s[0:1], exec, -1
; %bb.126:                              ;   in Loop: Header=BB276_10 Depth=1
	s_or_b64 exec, exec, s[42:43]
	s_and_b64 s[0:1], s[0:1], exec
	s_or_saveexec_b64 s[40:41], s[40:41]
	v_mov_b32_e32 v31, s44
	s_xor_b64 exec, exec, s[40:41]
	s_cbranch_execz .LBB276_44
.LBB276_127:                            ;   in Loop: Header=BB276_10 Depth=1
	v_cmp_ne_u16_sdwa s[42:43], v2, v3 src0_sel:BYTE_0 src1_sel:DWORD
	s_andn2_b64 s[0:1], s[0:1], exec
	s_and_b64 s[42:43], s[42:43], exec
	v_mov_b32_e32 v31, 0
	s_or_b64 s[0:1], s[0:1], s[42:43]
	s_or_b64 exec, exec, s[40:41]
	v_and_b32_e32 v2, 0xffff, v2
	s_and_saveexec_b64 s[40:41], s[0:1]
	s_cbranch_execnz .LBB276_45
	s_branch .LBB276_46
.LBB276_128:                            ;   in Loop: Header=BB276_10 Depth=1
	v_cmp_eq_u16_e64 s[0:1], s51, v2
	s_mov_b64 s[40:41], -1
                                        ; implicit-def: $sgpr53
	s_and_saveexec_b64 s[44:45], s[0:1]
; %bb.129:                              ;   in Loop: Header=BB276_10 Depth=1
	s_mov_b32 s53, 0x7fc02000
	s_xor_b64 s[40:41], exec, -1
; %bb.130:                              ;   in Loop: Header=BB276_10 Depth=1
	s_or_b64 exec, exec, s[44:45]
	s_and_b64 s[40:41], s[40:41], exec
	s_or_saveexec_b64 s[42:43], s[42:43]
	v_mov_b32_e32 v32, s53
	s_xor_b64 exec, exec, s[42:43]
	s_cbranch_execz .LBB276_48
.LBB276_131:                            ;   in Loop: Header=BB276_10 Depth=1
	v_cmp_ne_u16_e64 s[0:1], 0, v2
	s_andn2_b64 s[40:41], s[40:41], exec
	s_and_b64 s[0:1], s[0:1], exec
	v_mov_b32_e32 v32, 0
	s_or_b64 s[40:41], s[40:41], s[0:1]
	s_or_b64 exec, exec, s[42:43]
	s_and_saveexec_b64 s[42:43], s[40:41]
	s_cbranch_execnz .LBB276_49
	s_branch .LBB276_50
.LBB276_132:                            ;   in Loop: Header=BB276_10 Depth=1
	v_cmp_eq_u16_sdwa s[54:55], v2, s51 src0_sel:BYTE_0 src1_sel:DWORD
	s_mov_b64 s[0:1], -1
                                        ; implicit-def: $sgpr44
	s_and_saveexec_b64 s[42:43], s[54:55]
; %bb.133:                              ;   in Loop: Header=BB276_10 Depth=1
	s_mov_b32 s44, 0x7fc02000
	s_xor_b64 s[0:1], exec, -1
; %bb.134:                              ;   in Loop: Header=BB276_10 Depth=1
	s_or_b64 exec, exec, s[42:43]
	s_and_b64 s[0:1], s[0:1], exec
	s_or_saveexec_b64 s[40:41], s[40:41]
	v_mov_b32_e32 v33, s44
	s_xor_b64 exec, exec, s[40:41]
	s_cbranch_execz .LBB276_52
.LBB276_135:                            ;   in Loop: Header=BB276_10 Depth=1
	v_cmp_ne_u16_sdwa s[42:43], v2, v3 src0_sel:BYTE_0 src1_sel:DWORD
	s_andn2_b64 s[0:1], s[0:1], exec
	s_and_b64 s[42:43], s[42:43], exec
	v_mov_b32_e32 v33, 0
	s_or_b64 s[0:1], s[0:1], s[42:43]
	s_or_b64 exec, exec, s[40:41]
	v_and_b32_e32 v2, 0xffff, v2
	s_and_saveexec_b64 s[40:41], s[0:1]
	s_cbranch_execnz .LBB276_53
	s_branch .LBB276_54
.LBB276_136:                            ;   in Loop: Header=BB276_10 Depth=1
	v_cmp_eq_u16_e64 s[0:1], s51, v2
	s_mov_b64 s[40:41], -1
                                        ; implicit-def: $sgpr53
	s_and_saveexec_b64 s[44:45], s[0:1]
; %bb.137:                              ;   in Loop: Header=BB276_10 Depth=1
	s_mov_b32 s53, 0x7fc02000
	s_xor_b64 s[40:41], exec, -1
; %bb.138:                              ;   in Loop: Header=BB276_10 Depth=1
	s_or_b64 exec, exec, s[44:45]
	s_and_b64 s[40:41], s[40:41], exec
	s_or_saveexec_b64 s[42:43], s[42:43]
	v_mov_b32_e32 v34, s53
	s_xor_b64 exec, exec, s[42:43]
	s_cbranch_execz .LBB276_56
.LBB276_139:                            ;   in Loop: Header=BB276_10 Depth=1
	v_cmp_ne_u16_e64 s[0:1], 0, v2
	s_andn2_b64 s[40:41], s[40:41], exec
	s_and_b64 s[0:1], s[0:1], exec
	v_mov_b32_e32 v34, 0
	s_or_b64 s[40:41], s[40:41], s[0:1]
	s_or_b64 exec, exec, s[42:43]
	s_and_saveexec_b64 s[42:43], s[40:41]
	s_cbranch_execnz .LBB276_57
	s_branch .LBB276_58
.LBB276_140:                            ;   in Loop: Header=BB276_10 Depth=1
	v_cmp_eq_u16_sdwa s[54:55], v2, s51 src0_sel:BYTE_0 src1_sel:DWORD
	s_mov_b64 s[0:1], -1
                                        ; implicit-def: $sgpr44
	s_and_saveexec_b64 s[42:43], s[54:55]
; %bb.141:                              ;   in Loop: Header=BB276_10 Depth=1
	s_mov_b32 s44, 0x7fc02000
	s_xor_b64 s[0:1], exec, -1
; %bb.142:                              ;   in Loop: Header=BB276_10 Depth=1
	s_or_b64 exec, exec, s[42:43]
	s_and_b64 s[0:1], s[0:1], exec
	s_or_saveexec_b64 s[40:41], s[40:41]
	v_mov_b32_e32 v35, s44
	s_xor_b64 exec, exec, s[40:41]
	s_cbranch_execz .LBB276_60
.LBB276_143:                            ;   in Loop: Header=BB276_10 Depth=1
	v_cmp_ne_u16_sdwa s[42:43], v2, v3 src0_sel:BYTE_0 src1_sel:DWORD
	s_andn2_b64 s[0:1], s[0:1], exec
	s_and_b64 s[42:43], s[42:43], exec
	v_mov_b32_e32 v35, 0
	s_or_b64 s[0:1], s[0:1], s[42:43]
	s_or_b64 exec, exec, s[40:41]
	v_and_b32_e32 v2, 0xffff, v2
	s_and_saveexec_b64 s[40:41], s[0:1]
	s_cbranch_execnz .LBB276_61
	s_branch .LBB276_62
.LBB276_144:                            ;   in Loop: Header=BB276_10 Depth=1
	v_cmp_eq_u16_e64 s[0:1], s51, v2
	s_mov_b64 s[40:41], -1
                                        ; implicit-def: $sgpr53
	s_and_saveexec_b64 s[44:45], s[0:1]
; %bb.145:                              ;   in Loop: Header=BB276_10 Depth=1
	s_mov_b32 s53, 0x7fc02000
	s_xor_b64 s[40:41], exec, -1
; %bb.146:                              ;   in Loop: Header=BB276_10 Depth=1
	s_or_b64 exec, exec, s[44:45]
	s_and_b64 s[40:41], s[40:41], exec
	s_or_saveexec_b64 s[42:43], s[42:43]
	v_mov_b32_e32 v36, s53
	s_xor_b64 exec, exec, s[42:43]
	s_cbranch_execz .LBB276_64
.LBB276_147:                            ;   in Loop: Header=BB276_10 Depth=1
	v_cmp_ne_u16_e64 s[0:1], 0, v2
	s_andn2_b64 s[40:41], s[40:41], exec
	s_and_b64 s[0:1], s[0:1], exec
	v_mov_b32_e32 v36, 0
	s_or_b64 s[40:41], s[40:41], s[0:1]
	s_or_b64 exec, exec, s[42:43]
	s_and_saveexec_b64 s[42:43], s[40:41]
	s_cbranch_execnz .LBB276_65
	s_branch .LBB276_66
.LBB276_148:                            ;   in Loop: Header=BB276_10 Depth=1
	v_cmp_eq_u16_sdwa s[54:55], v2, s51 src0_sel:BYTE_0 src1_sel:DWORD
	s_mov_b64 s[0:1], -1
                                        ; implicit-def: $sgpr44
	s_and_saveexec_b64 s[42:43], s[54:55]
; %bb.149:                              ;   in Loop: Header=BB276_10 Depth=1
	s_mov_b32 s44, 0x7fc02000
	s_xor_b64 s[0:1], exec, -1
; %bb.150:                              ;   in Loop: Header=BB276_10 Depth=1
	s_or_b64 exec, exec, s[42:43]
	s_and_b64 s[0:1], s[0:1], exec
	s_or_saveexec_b64 s[40:41], s[40:41]
	v_mov_b32_e32 v37, s44
	s_xor_b64 exec, exec, s[40:41]
	s_cbranch_execz .LBB276_68
.LBB276_151:                            ;   in Loop: Header=BB276_10 Depth=1
	v_cmp_ne_u16_sdwa s[42:43], v2, v3 src0_sel:BYTE_0 src1_sel:DWORD
	s_andn2_b64 s[0:1], s[0:1], exec
	s_and_b64 s[42:43], s[42:43], exec
	v_mov_b32_e32 v37, 0
	s_or_b64 s[0:1], s[0:1], s[42:43]
	s_or_b64 exec, exec, s[40:41]
	v_and_b32_e32 v2, 0xffff, v2
	s_and_saveexec_b64 s[40:41], s[0:1]
	s_cbranch_execnz .LBB276_69
	s_branch .LBB276_70
.LBB276_152:                            ;   in Loop: Header=BB276_10 Depth=1
	v_cmp_eq_u16_e64 s[0:1], s51, v2
	s_mov_b64 s[40:41], -1
                                        ; implicit-def: $sgpr53
	s_and_saveexec_b64 s[44:45], s[0:1]
; %bb.153:                              ;   in Loop: Header=BB276_10 Depth=1
	s_mov_b32 s53, 0x7fc02000
	s_xor_b64 s[40:41], exec, -1
; %bb.154:                              ;   in Loop: Header=BB276_10 Depth=1
	s_or_b64 exec, exec, s[44:45]
	s_and_b64 s[40:41], s[40:41], exec
	s_or_saveexec_b64 s[42:43], s[42:43]
	v_mov_b32_e32 v38, s53
	s_xor_b64 exec, exec, s[42:43]
	s_cbranch_execz .LBB276_72
.LBB276_155:                            ;   in Loop: Header=BB276_10 Depth=1
	v_cmp_ne_u16_e64 s[0:1], 0, v2
	s_andn2_b64 s[40:41], s[40:41], exec
	s_and_b64 s[0:1], s[0:1], exec
	v_mov_b32_e32 v38, 0
	s_or_b64 s[40:41], s[40:41], s[0:1]
	s_or_b64 exec, exec, s[42:43]
	s_and_saveexec_b64 s[42:43], s[40:41]
	s_cbranch_execnz .LBB276_73
	s_branch .LBB276_74
.LBB276_156:                            ;   in Loop: Header=BB276_10 Depth=1
	v_cmp_eq_u16_sdwa s[54:55], v2, s51 src0_sel:BYTE_0 src1_sel:DWORD
	s_mov_b64 s[0:1], -1
                                        ; implicit-def: $sgpr44
	s_and_saveexec_b64 s[42:43], s[54:55]
; %bb.157:                              ;   in Loop: Header=BB276_10 Depth=1
	s_mov_b32 s44, 0x7fc02000
	s_xor_b64 s[0:1], exec, -1
; %bb.158:                              ;   in Loop: Header=BB276_10 Depth=1
	s_or_b64 exec, exec, s[42:43]
	s_and_b64 s[0:1], s[0:1], exec
	s_or_saveexec_b64 s[40:41], s[40:41]
	v_mov_b32_e32 v39, s44
	s_xor_b64 exec, exec, s[40:41]
	s_cbranch_execz .LBB276_76
.LBB276_159:                            ;   in Loop: Header=BB276_10 Depth=1
	v_cmp_ne_u16_sdwa s[42:43], v2, v3 src0_sel:BYTE_0 src1_sel:DWORD
	s_andn2_b64 s[0:1], s[0:1], exec
	s_and_b64 s[42:43], s[42:43], exec
	v_mov_b32_e32 v39, 0
	s_or_b64 s[0:1], s[0:1], s[42:43]
	s_or_b64 exec, exec, s[40:41]
	v_and_b32_e32 v2, 0xffff, v2
	s_and_saveexec_b64 s[40:41], s[0:1]
	s_cbranch_execnz .LBB276_77
	s_branch .LBB276_78
.LBB276_160:                            ;   in Loop: Header=BB276_10 Depth=1
	v_cmp_eq_u16_e64 s[0:1], s51, v2
	s_mov_b64 s[40:41], -1
                                        ; implicit-def: $sgpr53
	s_and_saveexec_b64 s[44:45], s[0:1]
; %bb.161:                              ;   in Loop: Header=BB276_10 Depth=1
	s_mov_b32 s53, 0x7fc02000
	s_xor_b64 s[40:41], exec, -1
; %bb.162:                              ;   in Loop: Header=BB276_10 Depth=1
	s_or_b64 exec, exec, s[44:45]
	s_and_b64 s[40:41], s[40:41], exec
	s_or_saveexec_b64 s[42:43], s[42:43]
	v_mov_b32_e32 v40, s53
	s_xor_b64 exec, exec, s[42:43]
	s_cbranch_execz .LBB276_80
.LBB276_163:                            ;   in Loop: Header=BB276_10 Depth=1
	v_cmp_ne_u16_e64 s[0:1], 0, v2
	s_andn2_b64 s[40:41], s[40:41], exec
	s_and_b64 s[0:1], s[0:1], exec
	v_mov_b32_e32 v40, 0
	s_or_b64 s[40:41], s[40:41], s[0:1]
	s_or_b64 exec, exec, s[42:43]
	s_and_saveexec_b64 s[42:43], s[40:41]
	s_cbranch_execnz .LBB276_81
	s_branch .LBB276_82
.LBB276_164:                            ;   in Loop: Header=BB276_10 Depth=1
	v_cmp_eq_u16_sdwa s[54:55], v2, s51 src0_sel:BYTE_0 src1_sel:DWORD
	s_mov_b64 s[0:1], -1
                                        ; implicit-def: $sgpr44
	s_and_saveexec_b64 s[42:43], s[54:55]
; %bb.165:                              ;   in Loop: Header=BB276_10 Depth=1
	s_mov_b32 s44, 0x7fc02000
	s_xor_b64 s[0:1], exec, -1
; %bb.166:                              ;   in Loop: Header=BB276_10 Depth=1
	s_or_b64 exec, exec, s[42:43]
	s_and_b64 s[0:1], s[0:1], exec
	s_or_saveexec_b64 s[40:41], s[40:41]
	v_mov_b32_e32 v12, s44
	s_xor_b64 exec, exec, s[40:41]
	s_cbranch_execz .LBB276_84
.LBB276_167:                            ;   in Loop: Header=BB276_10 Depth=1
	v_cmp_ne_u16_sdwa s[42:43], v2, v3 src0_sel:BYTE_0 src1_sel:DWORD
	s_andn2_b64 s[0:1], s[0:1], exec
	s_and_b64 s[42:43], s[42:43], exec
	v_mov_b32_e32 v12, 0
	s_or_b64 s[0:1], s[0:1], s[42:43]
	s_or_b64 exec, exec, s[40:41]
	v_and_b32_e32 v2, 0xffff, v2
	s_and_saveexec_b64 s[40:41], s[0:1]
	s_cbranch_execnz .LBB276_85
	s_branch .LBB276_86
.LBB276_168:                            ;   in Loop: Header=BB276_10 Depth=1
	v_cmp_eq_u16_e64 s[0:1], s51, v2
	s_mov_b64 s[40:41], -1
                                        ; implicit-def: $sgpr53
	s_and_saveexec_b64 s[44:45], s[0:1]
; %bb.169:                              ;   in Loop: Header=BB276_10 Depth=1
	s_mov_b32 s53, 0x7fc02000
	s_xor_b64 s[40:41], exec, -1
; %bb.170:                              ;   in Loop: Header=BB276_10 Depth=1
	s_or_b64 exec, exec, s[44:45]
	s_and_b64 s[40:41], s[40:41], exec
	s_or_saveexec_b64 s[42:43], s[42:43]
	v_mov_b32_e32 v13, s53
	s_xor_b64 exec, exec, s[42:43]
	s_cbranch_execz .LBB276_88
.LBB276_171:                            ;   in Loop: Header=BB276_10 Depth=1
	v_cmp_ne_u16_e64 s[0:1], 0, v2
	s_andn2_b64 s[40:41], s[40:41], exec
	s_and_b64 s[0:1], s[0:1], exec
	v_mov_b32_e32 v13, 0
	s_or_b64 s[40:41], s[40:41], s[0:1]
	s_or_b64 exec, exec, s[42:43]
	s_and_saveexec_b64 s[42:43], s[40:41]
	s_cbranch_execnz .LBB276_89
	s_branch .LBB276_90
.LBB276_172:
	s_or_b64 exec, exec, s[18:19]
.LBB276_173:
	s_or_b64 exec, exec, s[38:39]
	v_xor_b32_e32 v3, 32, v16
	v_cmp_lt_i32_e32 vcc, v3, v2
	v_xor_b32_e32 v7, 16, v16
	v_lshlrev_b32_e32 v9, 2, v14
	v_cndmask_b32_e32 v3, v16, v3, vcc
	v_lshlrev_b32_e32 v3, 2, v3
	ds_bpermute_b32 v6, v3, v1
	v_max_f32_e32 v1, v1, v1
	v_cmp_lt_i32_e32 vcc, v7, v2
	s_waitcnt lgkmcnt(0)
	v_max_f32_e32 v6, v6, v6
	v_max_f32_e32 v1, v1, v6
	v_cndmask_b32_e32 v6, v16, v7, vcc
	v_lshlrev_b32_e32 v8, 2, v6
	ds_bpermute_b32 v6, v8, v1
	v_xor_b32_e32 v7, 8, v16
	v_cmp_lt_i32_e32 vcc, v7, v2
	s_waitcnt lgkmcnt(0)
	v_max_f32_e32 v6, v6, v6
	v_max_f32_e32 v1, v1, v6
	v_cndmask_b32_e32 v6, v16, v7, vcc
	v_lshlrev_b32_e32 v11, 2, v6
	ds_bpermute_b32 v6, v11, v1
	v_xor_b32_e32 v7, 4, v16
	v_cmp_lt_i32_e32 vcc, v7, v2
	s_waitcnt lgkmcnt(0)
	v_max_f32_e32 v6, v6, v6
	v_max_f32_e32 v1, v1, v6
	v_cndmask_b32_e32 v6, v16, v7, vcc
	v_lshlrev_b32_e32 v12, 2, v6
	ds_bpermute_b32 v7, v12, v1
	v_and_b32_e32 v6, 63, v0
	v_cmp_eq_u32_e32 vcc, 0, v6
	s_and_saveexec_b64 s[0:1], vcc
	s_cbranch_execz .LBB276_175
; %bb.174:
	s_waitcnt lgkmcnt(0)
	v_max_f32_e32 v7, v7, v7
	v_max_f32_e32 v1, v1, v1
	;; [unrolled: 1-line block ×3, first 2 shown]
	ds_write_b32 v9, v1 offset:160
.LBB276_175:
	s_or_b64 exec, exec, s[0:1]
	v_cmp_gt_u32_e64 s[0:1], 2, v6
	s_waitcnt lgkmcnt(0)
	v_mov_b32_e32 v7, 0xff7fffff
	v_lshlrev_b32_e32 v10, 2, v6
	s_barrier
	s_and_saveexec_b64 s[6:7], s[0:1]
	s_cbranch_execz .LBB276_177
; %bb.176:
	ds_read_b32 v7, v10 offset:160
.LBB276_177:
	s_or_b64 exec, exec, s[6:7]
	v_xor_b32_e32 v1, 1, v16
	v_cmp_lt_i32_e64 s[6:7], v1, v2
	v_mov_b32_e32 v17, 0
	s_nop 0
	v_cndmask_b32_e64 v1, v16, v1, s[6:7]
	v_lshlrev_b32_e32 v1, 2, v1
	s_waitcnt lgkmcnt(0)
	ds_bpermute_b32 v13, v1, v7
	v_max_f32_e32 v7, v7, v7
	s_sub_i32 s6, s33, s10
	s_lshl_b32 s6, s6, 4
	s_add_i32 s6, s6, s46
	s_waitcnt lgkmcnt(0)
	v_max_f32_e32 v13, v13, v13
	v_max_f32_e32 v7, v7, v13
	v_lshlrev_b32_e32 v13, 2, v16
	v_and_b32_e32 v13, 0xffffff00, v13
	ds_bpermute_b32 v7, v13, v7
	s_min_i32 s39, s6, s29
	s_sub_i32 s38, s39, s46
	v_cmp_gt_i32_e64 s[6:7], s38, v0
	s_and_saveexec_b64 s[12:13], s[6:7]
	s_cbranch_execz .LBB276_181
; %bb.178:
	v_mov_b32_e32 v17, 0xb0
	v_lshl_add_u32 v18, v0, 2, v17
	s_mov_b64 s[18:19], 0
	v_mov_b32_e32 v17, 0
	v_mov_b32_e32 v19, v0
.LBB276_179:                            ; =>This Inner Loop Header: Depth=1
	ds_read_b32 v20, v18
	v_add_u32_e32 v19, 0x80, v19
	v_cmp_le_i32_e64 s[10:11], s38, v19
	s_or_b64 s[18:19], s[10:11], s[18:19]
	s_waitcnt lgkmcnt(0)
	v_sub_f32_e32 v20, v20, v7
	v_mul_f32_e32 v20, 0x3fb8aa3b, v20
	v_exp_f32_e32 v20, v20
	ds_write_b32 v18, v20
	v_add_f32_e32 v17, v17, v20
	v_add_u32_e32 v18, 0x200, v18
	s_andn2_b64 exec, exec, s[18:19]
	s_cbranch_execnz .LBB276_179
; %bb.180:
	s_or_b64 exec, exec, s[18:19]
.LBB276_181:
	s_or_b64 exec, exec, s[12:13]
	ds_bpermute_b32 v3, v3, v17
	s_waitcnt lgkmcnt(0)
	v_add_f32_e32 v3, v17, v3
	ds_bpermute_b32 v8, v8, v3
	s_waitcnt lgkmcnt(0)
	v_add_f32_e32 v3, v3, v8
	ds_bpermute_b32 v8, v11, v3
	v_xor_b32_e32 v11, 2, v16
	v_cmp_lt_i32_e64 s[10:11], v11, v2
	s_waitcnt lgkmcnt(0)
	v_add_f32_e32 v3, v3, v8
	ds_bpermute_b32 v8, v12, v3
	v_cndmask_b32_e64 v2, v16, v11, s[10:11]
	v_lshlrev_b32_e32 v2, 2, v2
	s_waitcnt lgkmcnt(0)
	v_add_f32_e32 v3, v3, v8
	ds_bpermute_b32 v2, v2, v3
	s_waitcnt lgkmcnt(0)
	v_add_f32_e32 v2, v3, v2
	ds_bpermute_b32 v3, v1, v2
	s_waitcnt lgkmcnt(0)
	v_add_f32_e32 v2, v2, v3
	s_and_saveexec_b64 s[10:11], vcc
	s_cbranch_execz .LBB276_183
; %bb.182:
	ds_write_b32 v9, v2 offset:168
.LBB276_183:
	s_or_b64 exec, exec, s[10:11]
	s_waitcnt lgkmcnt(0)
	s_barrier
	s_and_saveexec_b64 s[10:11], s[0:1]
	s_cbranch_execz .LBB276_185
; %bb.184:
	ds_read_b32 v2, v10 offset:168
.LBB276_185:
	s_or_b64 exec, exec, s[10:11]
	s_waitcnt lgkmcnt(0)
	ds_bpermute_b32 v3, v1, v2
	s_waitcnt lgkmcnt(0)
	v_add_f32_e32 v2, v2, v3
	ds_bpermute_b32 v8, v13, v2
	s_and_saveexec_b64 s[0:1], s[6:7]
	s_cbranch_execz .LBB276_198
; %bb.186:
	s_waitcnt lgkmcnt(0)
	v_add_f32_e32 v2, 0x358637bd, v8
	v_div_scale_f32 v3, s[6:7], v2, v2, 1.0
	v_rcp_f32_e32 v9, v3
	v_div_scale_f32 v10, vcc, 1.0, v2, 1.0
	s_movk_i32 s6, 0x7f
	v_fma_f32 v11, -v3, v9, 1.0
	v_fmac_f32_e32 v9, v11, v9
	v_mul_f32_e32 v11, v10, v9
	v_fma_f32 v12, -v3, v11, v10
	v_fmac_f32_e32 v11, v12, v9
	v_fma_f32 v3, -v3, v11, v10
	v_div_fmas_f32 v3, v3, v9, v11
	v_div_fixup_f32 v2, v3, v2, 1.0
	v_xad_u32 v3, v0, -1, s39
	v_subrev_u32_e32 v9, s46, v3
	v_cmp_lt_u32_e32 vcc, s6, v9
	s_mov_b64 s[10:11], -1
	v_mov_b32_e32 v3, v0
	s_and_saveexec_b64 s[6:7], vcc
	s_cbranch_execz .LBB276_195
; %bb.187:
	v_lshrrev_b32_e32 v9, 7, v9
	v_add_u32_e32 v11, -1, v9
	v_lshrrev_b32_e32 v10, 1, v11
	v_mov_b32_e32 v3, v2
	v_add_u32_e32 v10, 1, v10
	v_cmp_lt_u32_e32 vcc, 13, v11
	v_mov_b32_e32 v13, 0
	s_and_saveexec_b64 s[10:11], vcc
	s_cbranch_execz .LBB276_191
; %bb.188:
	v_mov_b32_e32 v12, 0xb0
	v_and_b32_e32 v11, -8, v10
	v_lshl_add_u32 v12, v0, 2, v12
	s_mov_b32 s18, 0
	s_mov_b64 s[12:13], 0
.LBB276_189:                            ; =>This Inner Loop Header: Depth=1
	ds_read2st64_b32 v[16:17], v12 offset1:2
	ds_read2st64_b32 v[18:19], v12 offset0:4 offset1:6
	ds_read2st64_b32 v[20:21], v12 offset0:8 offset1:10
	;; [unrolled: 1-line block ×3, first 2 shown]
	v_add_u32_e32 v11, -8, v11
	s_waitcnt lgkmcnt(3)
	v_pk_mul_f32 v[16:17], v[2:3], v[16:17]
	s_waitcnt lgkmcnt(2)
	v_pk_mul_f32 v[18:19], v[2:3], v[18:19]
	ds_write2st64_b32 v12, v16, v17 offset1:2
	ds_write2st64_b32 v12, v18, v19 offset0:4 offset1:6
	ds_read2st64_b32 v[18:19], v12 offset0:16 offset1:18
	s_waitcnt lgkmcnt(4)
	v_pk_mul_f32 v[16:17], v[2:3], v[20:21]
	ds_write2st64_b32 v12, v16, v17 offset0:8 offset1:10
	s_waitcnt lgkmcnt(4)
	v_pk_mul_f32 v[16:17], v[2:3], v[22:23]
	ds_write2st64_b32 v12, v16, v17 offset0:12 offset1:14
	ds_read2st64_b32 v[16:17], v12 offset0:20 offset1:22
	s_waitcnt lgkmcnt(3)
	v_pk_mul_f32 v[18:19], v[2:3], v[18:19]
	ds_read2st64_b32 v[20:21], v12 offset0:24 offset1:26
	ds_write2st64_b32 v12, v18, v19 offset0:16 offset1:18
	ds_read2st64_b32 v[18:19], v12 offset0:28 offset1:30
	s_waitcnt lgkmcnt(3)
	v_pk_mul_f32 v[16:17], v[2:3], v[16:17]
	ds_write2st64_b32 v12, v16, v17 offset0:20 offset1:22
	s_waitcnt lgkmcnt(3)
	v_pk_mul_f32 v[16:17], v[2:3], v[20:21]
	ds_write2st64_b32 v12, v16, v17 offset0:24 offset1:26
	s_waitcnt lgkmcnt(2)
	v_pk_mul_f32 v[16:17], v[2:3], v[18:19]
	s_add_i32 s18, s18, 16
	v_cmp_eq_u32_e32 vcc, 0, v11
	ds_write2st64_b32 v12, v16, v17 offset0:28 offset1:30
	v_add_u32_e32 v12, 0x2000, v12
	s_or_b64 s[12:13], vcc, s[12:13]
	v_mov_b32_e32 v13, s18
	s_andn2_b64 exec, exec, s[12:13]
	s_cbranch_execnz .LBB276_189
; %bb.190:
	s_or_b64 exec, exec, s[12:13]
.LBB276_191:
	s_or_b64 exec, exec, s[10:11]
	v_and_b32_e32 v10, 7, v10
	v_cmp_ne_u32_e32 vcc, 0, v10
	s_and_saveexec_b64 s[10:11], vcc
	s_cbranch_execz .LBB276_194
; %bb.192:
	v_lshlrev_b32_e32 v11, 9, v13
	v_lshlrev_b32_e32 v12, 2, v0
	s_movk_i32 s12, 0xb0
	v_add3_u32 v11, v11, v12, s12
	s_mov_b64 s[12:13], 0
.LBB276_193:                            ; =>This Inner Loop Header: Depth=1
	ds_read2st64_b32 v[12:13], v11 offset1:2
	v_add_u32_e32 v10, -1, v10
	v_cmp_eq_u32_e32 vcc, 0, v10
	s_or_b64 s[12:13], vcc, s[12:13]
	s_waitcnt lgkmcnt(0)
	v_pk_mul_f32 v[12:13], v[2:3], v[12:13]
	ds_write2st64_b32 v11, v12, v13 offset1:2
	v_add_u32_e32 v11, 0x400, v11
	s_andn2_b64 exec, exec, s[12:13]
	s_cbranch_execnz .LBB276_193
.LBB276_194:
	s_or_b64 exec, exec, s[10:11]
	v_add_u32_e32 v9, 1, v9
	v_and_b32_e32 v10, 0x3fffffe, v9
	v_cmp_ne_u32_e32 vcc, v9, v10
	v_lshl_add_u32 v3, v10, 7, v0
	s_orn2_b64 s[10:11], vcc, exec
.LBB276_195:
	s_or_b64 exec, exec, s[6:7]
	s_and_b64 exec, exec, s[10:11]
	s_cbranch_execz .LBB276_198
; %bb.196:
	v_mov_b32_e32 v9, 0xb0
	v_lshl_add_u32 v9, v3, 2, v9
	s_mov_b64 s[6:7], 0
.LBB276_197:                            ; =>This Inner Loop Header: Depth=1
	ds_read_b32 v10, v9
	v_add_u32_e32 v3, 0x80, v3
	v_cmp_le_i32_e32 vcc, s38, v3
	s_or_b64 s[6:7], vcc, s[6:7]
	s_waitcnt lgkmcnt(0)
	v_mul_f32_e32 v10, v2, v10
	ds_write_b32 v9, v10
	v_add_u32_e32 v9, 0x200, v9
	s_andn2_b64 exec, exec, s[6:7]
	s_cbranch_execnz .LBB276_197
.LBB276_198:
	s_or_b64 exec, exec, s[0:1]
	s_mul_i32 s0, s25, s28
	v_cmp_eq_u32_e32 vcc, 0, v0
	s_mul_i32 s6, s0, s5
	s_waitcnt lgkmcnt(0)
	s_barrier
	s_and_saveexec_b64 s[0:1], vcc
	s_cbranch_execz .LBB276_200
; %bb.199:
	s_ashr_i32 s7, s6, 31
	s_lshl_b64 s[10:11], s[6:7], 2
	s_add_u32 s5, s22, s10
	s_mul_i32 s12, s25, s2
	s_addc_u32 s7, s23, s11
	s_ashr_i32 s13, s12, 31
	s_lshl_b64 s[12:13], s[12:13], 2
	s_add_u32 s2, s5, s12
	s_addc_u32 s7, s7, s13
	s_ashr_i32 s5, s4, 31
	s_lshl_b64 s[18:19], s[4:5], 2
	s_add_u32 s22, s2, s18
	s_addc_u32 s23, s7, s19
	s_add_u32 s2, s20, s10
	s_addc_u32 s5, s21, s11
	;; [unrolled: 2-line block ×3, first 2 shown]
	s_add_u32 s10, s2, s18
	v_mov_b32_e32 v2, 0
	s_addc_u32 s11, s5, s19
	global_store_dword v2, v7, s[22:23]
	global_store_dword v2, v8, s[10:11]
.LBB276_200:
	s_or_b64 exec, exec, s[0:1]
	v_mov_b32_e32 v2, 0
	v_lshrrev_b32_e32 v30, 1, v6
	v_and_b32_e32 v3, 1, v0
	v_mov_b32_e32 v13, v2
	v_mov_b32_e32 v12, v2
	s_and_saveexec_b64 s[10:11], s[8:9]
	s_cbranch_execz .LBB276_404
; %bb.201:
	s_ashr_i32 s1, s16, 31
	v_lshlrev_b32_e32 v2, 3, v0
	s_add_u32 s0, s36, s16
	v_or_b32_e32 v8, 64, v30
	s_movk_i32 s2, 0x50
	v_and_b32_e32 v2, 8, v2
	s_addc_u32 s1, s37, s1
	s_add_i32 s7, s3, -1
	v_cmp_gt_u32_e32 vcc, s2, v8
	s_lshl_b64 s[2:3], s[34:35], 2
	v_lshl_or_b32 v6, v30, 4, v2
	v_lshl_or_b32 v10, v8, 4, v2
	v_add3_u32 v31, s46, v15, v2
	v_lshlrev_b32_e32 v2, 5, v3
	s_add_u32 s2, s30, s2
	v_mov_b32_e32 v9, 0
	v_lshl_or_b32 v2, v14, 6, v2
	s_addc_u32 s3, s31, s3
	s_mov_b32 s5, s17
	v_mov_b32_e32 v7, v9
	v_mov_b32_e32 v11, v9
	s_mov_b32 s22, s29
	v_add_u32_e32 v32, 0xb0, v2
	v_lshl_add_u64 v[14:15], v[4:5], 2, s[2:3]
	s_mov_b64 s[8:9], 0
	v_mov_b64_e32 v[16:17], s[0:1]
	s_movk_i32 s23, 0x7f
	s_movk_i32 s28, 0x80
	s_mov_b32 s30, 0x8000
	s_movk_i32 s31, 0x380
	s_mov_b32 s34, 0x3020706
	s_mov_b32 s35, 0x1000504
	;; [unrolled: 1-line block ×3, first 2 shown]
	v_mov_b32_e32 v5, 0x1c00
	v_mov_b32_e32 v12, v9
	;; [unrolled: 1-line block ×4, first 2 shown]
	s_branch .LBB276_204
.LBB276_202:                            ;   in Loop: Header=BB276_204 Depth=1
	s_or_b64 exec, exec, s[2:3]
	;;#ASMSTART
	v_pk_mul_f16 v20, v34, v21;

	;;#ASMEND
	;;#ASMSTART
	v_pk_mul_f16 v8, v33, v8;

	;;#ASMEND
	;; [unrolled: 4-line block ×4, first 2 shown]
	s_nop 0
	;;#ASMSTART
	v_pk_add_f16 v8, v20, v8;

	;;#ASMEND
	s_nop 0
	;;#ASMSTART
	v_pk_add_f16 v8, v8, v19;

	;;#ASMEND
	;; [unrolled: 5-line block ×3, first 2 shown]
	s_nop 0
	v_lshrrev_b32_e32 v18, 16, v8
	v_and_b32_e32 v8, 0xffff, v8
	;;#ASMSTART
	v_cvt_f32_f16 v8, v8;
	;;#ASMEND
	;;#ASMSTART
	v_cvt_f32_f16 v18, v18;
	;;#ASMEND
	s_nop 0
	v_add_f32_e32 v8, v8, v18
	v_add_f32_e32 v2, v2, v8
.LBB276_203:                            ;   in Loop: Header=BB276_204 Depth=1
	s_or_b64 exec, exec, s[12:13]
	v_add_u32_e32 v4, 2, v4
	v_cmp_le_i32_e64 s[0:1], s33, v4
	v_add_u32_e32 v31, 32, v31
	v_add_u32_e32 v32, 0x80, v32
	s_or_b64 s[8:9], s[0:1], s[8:9]
	v_lshl_add_u64 v[14:15], v[14:15], 0, 8
	s_andn2_b64 exec, exec, s[8:9]
	s_cbranch_execz .LBB276_403
.LBB276_204:                            ; =>This Inner Loop Header: Depth=1
	ds_read2_b64 v[18:21], v32 offset1:1
	ds_read2_b64 v[24:27], v32 offset0:2 offset1:3
                                        ; implicit-def: $sgpr16
	s_waitcnt lgkmcnt(1)
	;;#ASMSTART
	v_cvt_f16_f32 v23, v18;

	;;#ASMEND
	;;#ASMSTART
	v_cvt_f16_f32 v33, v19;

	;;#ASMEND
	;;#ASMSTART
	v_cvt_f16_f32 v35, v20;

	;;#ASMEND
	;;#ASMSTART
	v_cvt_f16_f32 v36, v21;

	;;#ASMEND
	s_waitcnt lgkmcnt(0)
	;;#ASMSTART
	v_cvt_f16_f32 v37, v24;

	;;#ASMEND
	;;#ASMSTART
	v_cvt_f16_f32 v38, v25;

	;;#ASMEND
	;;#ASMSTART
	v_cvt_f16_f32 v39, v26;

	;;#ASMEND
	;;#ASMSTART
	v_cvt_f16_f32 v40, v27;

	;;#ASMEND
	global_load_dword v8, v[14:15], off
	s_waitcnt vmcnt(0)
	v_mad_i64_i32 v[18:19], s[0:1], v8, s5, v[16:17]
	v_lshl_add_u64 v[20:21], v[18:19], 0, v[6:7]
	global_load_dwordx2 v[24:25], v[20:21], off
	global_load_dword v22, v9, s[14:15]
	s_mov_b64 s[0:1], 0
	s_waitcnt vmcnt(1)
	v_cmp_gt_i16_sdwa s[2:3], v24, s23 src0_sel:BYTE_0 src1_sel:DWORD
	s_and_saveexec_b64 s[12:13], s[2:3]
	s_xor_b64 s[2:3], exec, s[12:13]
	s_cbranch_execnz .LBB276_307
; %bb.205:                              ;   in Loop: Header=BB276_204 Depth=1
	s_or_saveexec_b64 s[2:3], s[2:3]
	v_mov_b32_e32 v26, s16
	s_xor_b64 exec, exec, s[2:3]
	s_cbranch_execnz .LBB276_310
.LBB276_206:                            ;   in Loop: Header=BB276_204 Depth=1
	s_or_b64 exec, exec, s[2:3]
	s_and_saveexec_b64 s[2:3], s[0:1]
	s_cbranch_execz .LBB276_208
.LBB276_207:                            ;   in Loop: Header=BB276_204 Depth=1
	v_and_b32_e32 v8, 7, v24
	v_ffbh_u32_e32 v8, v8
	v_bfe_u32 v26, v24, 3, 4
	v_min_u32_e32 v8, 32, v8
	v_subrev_u32_e32 v27, 28, v8
	v_sub_u32_e32 v8, 29, v8
	v_cmp_eq_u32_e64 s[0:1], 0, v26
	s_nop 1
	v_cndmask_b32_e64 v8, v26, v8, s[0:1]
	v_cndmask_b32_e64 v26, 0, v27, s[0:1]
	v_lshlrev_b64 v[26:27], v26, v[24:25]
	v_lshlrev_b32_e32 v27, 8, v24
	v_lshl_add_u32 v8, v8, 10, v5
	v_lshlrev_b32_e32 v26, 7, v26
	v_and_or_b32 v8, v27, s30, v8
	v_and_or_b32 v8, v26, s31, v8
	v_cvt_f32_f16_e32 v26, v8
.LBB276_208:                            ;   in Loop: Header=BB276_204 Depth=1
	s_or_b64 exec, exec, s[2:3]
	v_lshrrev_b16_e32 v8, 8, v24
	v_cmp_lt_i16_e64 s[0:1], s23, v8
	s_mov_b64 s[2:3], 0
                                        ; implicit-def: $sgpr18
	s_and_saveexec_b64 s[12:13], s[0:1]
	s_xor_b64 s[12:13], exec, s[12:13]
	s_cbranch_execnz .LBB276_311
; %bb.209:                              ;   in Loop: Header=BB276_204 Depth=1
	s_or_saveexec_b64 s[12:13], s[12:13]
	v_mov_b32_e32 v28, s18
	s_xor_b64 exec, exec, s[12:13]
	s_cbranch_execnz .LBB276_314
.LBB276_210:                            ;   in Loop: Header=BB276_204 Depth=1
	s_or_b64 exec, exec, s[12:13]
	s_and_saveexec_b64 s[12:13], s[2:3]
	s_cbranch_execz .LBB276_212
.LBB276_211:                            ;   in Loop: Header=BB276_204 Depth=1
	v_and_b32_e32 v27, 7, v8
	v_ffbh_u32_e32 v28, v27
	v_min_u32_e32 v41, 32, v28
	v_subrev_u32_e32 v28, 28, v41
	v_bfe_u32 v34, v8, 3, 4
	v_lshlrev_b64 v[28:29], v28, v[8:9]
	v_sub_u32_e32 v29, 29, v41
	v_cmp_eq_u32_e64 s[0:1], 0, v34
	v_and_b32_e32 v28, 7, v28
	v_lshlrev_b32_e32 v8, 8, v8
	v_cndmask_b32_e64 v29, v34, v29, s[0:1]
	v_cndmask_b32_e64 v27, v27, v28, s[0:1]
	v_lshl_add_u32 v28, v29, 10, v5
	v_and_or_b32 v8, v8, s30, v28
	v_lshl_or_b32 v8, v27, 7, v8
	v_cvt_f32_f16_e32 v28, v8
.LBB276_212:                            ;   in Loop: Header=BB276_204 Depth=1
	s_or_b64 exec, exec, s[12:13]
	v_lshrrev_b32_e32 v8, 16, v24
	v_cmp_gt_i16_sdwa s[2:3], v8, s23 src0_sel:BYTE_0 src1_sel:DWORD
	s_mov_b64 s[0:1], 0
                                        ; implicit-def: $sgpr16
	s_and_saveexec_b64 s[12:13], s[2:3]
	s_xor_b64 s[2:3], exec, s[12:13]
	s_cbranch_execnz .LBB276_315
; %bb.213:                              ;   in Loop: Header=BB276_204 Depth=1
	s_or_saveexec_b64 s[2:3], s[2:3]
	v_mov_b32_e32 v27, s16
	s_xor_b64 exec, exec, s[2:3]
	s_cbranch_execnz .LBB276_318
.LBB276_214:                            ;   in Loop: Header=BB276_204 Depth=1
	s_or_b64 exec, exec, s[2:3]
	s_and_saveexec_b64 s[2:3], s[0:1]
	s_cbranch_execz .LBB276_216
.LBB276_215:                            ;   in Loop: Header=BB276_204 Depth=1
	v_bfe_u32 v27, v24, 16, 3
	v_ffbh_u32_e32 v34, v27
	v_bfe_u32 v29, v24, 19, 4
	v_min_u32_e32 v34, 32, v34
	v_subrev_u32_e32 v41, 28, v34
	v_sub_u32_e32 v34, 29, v34
	v_cmp_eq_u32_e64 s[0:1], 0, v29
	v_lshlrev_b64 v[42:43], v41, v[8:9]
	v_and_b32_e32 v41, 7, v42
	v_cndmask_b32_e64 v29, v29, v34, s[0:1]
	v_lshlrev_b32_e32 v8, 8, v8
	v_lshl_add_u32 v29, v29, 10, v5
	v_cndmask_b32_e64 v27, v27, v41, s[0:1]
	v_and_or_b32 v8, v8, s30, v29
	v_lshl_or_b32 v8, v27, 7, v8
	v_cvt_f32_f16_e32 v27, v8
.LBB276_216:                            ;   in Loop: Header=BB276_204 Depth=1
	s_or_b64 exec, exec, s[2:3]
	v_lshrrev_b32_e32 v8, 24, v24
	v_cmp_lt_i16_e64 s[0:1], s23, v8
	s_mov_b64 s[2:3], 0
                                        ; implicit-def: $sgpr18
	s_and_saveexec_b64 s[12:13], s[0:1]
	s_xor_b64 s[12:13], exec, s[12:13]
	s_cbranch_execnz .LBB276_319
; %bb.217:                              ;   in Loop: Header=BB276_204 Depth=1
	s_or_saveexec_b64 s[12:13], s[12:13]
	v_mov_b32_e32 v29, s18
	s_xor_b64 exec, exec, s[12:13]
	s_cbranch_execnz .LBB276_322
.LBB276_218:                            ;   in Loop: Header=BB276_204 Depth=1
	s_or_b64 exec, exec, s[12:13]
	s_and_saveexec_b64 s[12:13], s[2:3]
	s_cbranch_execz .LBB276_220
.LBB276_219:                            ;   in Loop: Header=BB276_204 Depth=1
	v_bfe_u32 v29, v24, 24, 3
	v_ffbh_u32_e32 v34, v29
	v_bfe_u32 v24, v24, 27, 4
	v_min_u32_e32 v34, 32, v34
	v_subrev_u32_e32 v41, 28, v34
	v_sub_u32_e32 v34, 29, v34
	v_cmp_eq_u32_e64 s[0:1], 0, v24
	v_lshlrev_b64 v[42:43], v41, v[8:9]
	v_and_b32_e32 v41, 7, v42
	v_cndmask_b32_e64 v24, v24, v34, s[0:1]
	v_lshlrev_b32_e32 v8, 8, v8
	v_lshl_add_u32 v24, v24, 10, v5
	v_cndmask_b32_e64 v29, v29, v41, s[0:1]
	v_and_or_b32 v8, v8, s30, v24
	v_lshl_or_b32 v8, v29, 7, v8
	v_cvt_f32_f16_e32 v29, v8
.LBB276_220:                            ;   in Loop: Header=BB276_204 Depth=1
	s_or_b64 exec, exec, s[12:13]
	v_cmp_gt_i16_sdwa s[2:3], v25, s23 src0_sel:BYTE_0 src1_sel:DWORD
	s_mov_b64 s[0:1], 0
                                        ; implicit-def: $sgpr16
	s_and_saveexec_b64 s[12:13], s[2:3]
	s_xor_b64 s[2:3], exec, s[12:13]
	s_cbranch_execnz .LBB276_323
; %bb.221:                              ;   in Loop: Header=BB276_204 Depth=1
	s_or_saveexec_b64 s[2:3], s[2:3]
	v_mov_b32_e32 v24, s16
	s_xor_b64 exec, exec, s[2:3]
	s_cbranch_execnz .LBB276_326
.LBB276_222:                            ;   in Loop: Header=BB276_204 Depth=1
	s_or_b64 exec, exec, s[2:3]
	v_mov_b32_e32 v8, v25
	s_and_saveexec_b64 s[2:3], s[0:1]
	s_cbranch_execz .LBB276_224
.LBB276_223:                            ;   in Loop: Header=BB276_204 Depth=1
	v_and_b32_e32 v24, 7, v25
	v_ffbh_u32_e32 v24, v24
	v_bfe_u32 v34, v25, 3, 4
	v_min_u32_e32 v24, 32, v24
	v_subrev_u32_e32 v41, 28, v24
	v_sub_u32_e32 v24, 29, v24
	v_cmp_eq_u32_e64 s[0:1], 0, v34
	s_nop 1
	v_cndmask_b32_e64 v24, v34, v24, s[0:1]
	v_cndmask_b32_e64 v34, 0, v41, s[0:1]
	v_lshlrev_b64 v[42:43], v34, v[8:9]
	v_lshlrev_b32_e32 v41, 8, v25
	v_lshl_add_u32 v24, v24, 10, v5
	v_lshlrev_b32_e32 v34, 7, v42
	v_and_or_b32 v24, v41, s30, v24
	v_and_or_b32 v24, v34, s31, v24
	v_cvt_f32_f16_e32 v24, v24
.LBB276_224:                            ;   in Loop: Header=BB276_204 Depth=1
	s_or_b64 exec, exec, s[2:3]
	v_lshrrev_b16_e32 v8, 8, v8
	v_cmp_lt_i16_e64 s[0:1], s23, v8
	s_mov_b64 s[2:3], 0
                                        ; implicit-def: $sgpr18
	s_and_saveexec_b64 s[12:13], s[0:1]
	s_xor_b64 s[12:13], exec, s[12:13]
	s_cbranch_execnz .LBB276_327
; %bb.225:                              ;   in Loop: Header=BB276_204 Depth=1
	s_or_saveexec_b64 s[12:13], s[12:13]
	v_mov_b32_e32 v34, s18
	s_xor_b64 exec, exec, s[12:13]
	s_cbranch_execnz .LBB276_330
.LBB276_226:                            ;   in Loop: Header=BB276_204 Depth=1
	s_or_b64 exec, exec, s[12:13]
	s_and_saveexec_b64 s[12:13], s[2:3]
	s_cbranch_execz .LBB276_228
.LBB276_227:                            ;   in Loop: Header=BB276_204 Depth=1
	v_and_b32_e32 v34, 7, v8
	v_ffbh_u32_e32 v42, v34
	v_min_u32_e32 v44, 32, v42
	v_subrev_u32_e32 v42, 28, v44
	v_bfe_u32 v41, v8, 3, 4
	v_lshlrev_b64 v[42:43], v42, v[8:9]
	v_sub_u32_e32 v43, 29, v44
	v_cmp_eq_u32_e64 s[0:1], 0, v41
	v_and_b32_e32 v42, 7, v42
	v_lshlrev_b32_e32 v8, 8, v8
	v_cndmask_b32_e64 v41, v41, v43, s[0:1]
	v_lshl_add_u32 v41, v41, 10, v5
	v_cndmask_b32_e64 v34, v34, v42, s[0:1]
	v_and_or_b32 v8, v8, s30, v41
	v_lshl_or_b32 v8, v34, 7, v8
	v_cvt_f32_f16_e32 v34, v8
.LBB276_228:                            ;   in Loop: Header=BB276_204 Depth=1
	s_or_b64 exec, exec, s[12:13]
	v_lshrrev_b32_e32 v8, 16, v25
	v_cmp_gt_i16_sdwa s[2:3], v8, s23 src0_sel:BYTE_0 src1_sel:DWORD
	s_mov_b64 s[0:1], 0
                                        ; implicit-def: $sgpr16
	s_and_saveexec_b64 s[12:13], s[2:3]
	s_xor_b64 s[2:3], exec, s[12:13]
	s_cbranch_execnz .LBB276_331
; %bb.229:                              ;   in Loop: Header=BB276_204 Depth=1
	s_or_saveexec_b64 s[2:3], s[2:3]
	v_mov_b32_e32 v41, s16
	s_xor_b64 exec, exec, s[2:3]
	s_cbranch_execnz .LBB276_334
.LBB276_230:                            ;   in Loop: Header=BB276_204 Depth=1
	s_or_b64 exec, exec, s[2:3]
	s_and_saveexec_b64 s[2:3], s[0:1]
	s_cbranch_execz .LBB276_232
.LBB276_231:                            ;   in Loop: Header=BB276_204 Depth=1
	v_bfe_u32 v41, v25, 16, 3
	v_ffbh_u32_e32 v42, v41
	v_min_u32_e32 v45, 32, v42
	v_subrev_u32_e32 v42, 28, v45
	v_bfe_u32 v44, v25, 19, 4
	v_lshlrev_b64 v[42:43], v42, v[8:9]
	v_sub_u32_e32 v43, 29, v45
	v_cmp_eq_u32_e64 s[0:1], 0, v44
	v_and_b32_e32 v42, 7, v42
	v_lshlrev_b32_e32 v8, 8, v8
	v_cndmask_b32_e64 v43, v44, v43, s[0:1]
	v_cndmask_b32_e64 v41, v41, v42, s[0:1]
	v_lshl_add_u32 v42, v43, 10, v5
	v_and_or_b32 v8, v8, s30, v42
	v_lshl_or_b32 v8, v41, 7, v8
	v_cvt_f32_f16_e32 v41, v8
.LBB276_232:                            ;   in Loop: Header=BB276_204 Depth=1
	s_or_b64 exec, exec, s[2:3]
	v_lshrrev_b32_e32 v8, 24, v25
	v_cmp_lt_i16_e64 s[0:1], s23, v8
	s_mov_b64 s[2:3], 0
                                        ; implicit-def: $sgpr18
	s_and_saveexec_b64 s[12:13], s[0:1]
	s_xor_b64 s[12:13], exec, s[12:13]
	s_cbranch_execnz .LBB276_335
; %bb.233:                              ;   in Loop: Header=BB276_204 Depth=1
	s_or_saveexec_b64 s[12:13], s[12:13]
	v_mov_b32_e32 v42, s18
	s_xor_b64 exec, exec, s[12:13]
	s_cbranch_execnz .LBB276_338
.LBB276_234:                            ;   in Loop: Header=BB276_204 Depth=1
	s_or_b64 exec, exec, s[12:13]
	s_and_saveexec_b64 s[12:13], s[2:3]
	s_cbranch_execz .LBB276_236
.LBB276_235:                            ;   in Loop: Header=BB276_204 Depth=1
	v_bfe_u32 v44, v25, 24, 3
	v_ffbh_u32_e32 v42, v44
	v_min_u32_e32 v45, 32, v42
	v_subrev_u32_e32 v42, 28, v45
	v_bfe_u32 v25, v25, 27, 4
	v_lshlrev_b64 v[42:43], v42, v[8:9]
	v_sub_u32_e32 v43, 29, v45
	v_cmp_eq_u32_e64 s[0:1], 0, v25
	v_and_b32_e32 v42, 7, v42
	v_lshlrev_b32_e32 v8, 8, v8
	v_cndmask_b32_e64 v25, v25, v43, s[0:1]
	v_lshl_add_u32 v25, v25, 10, v5
	v_cndmask_b32_e64 v42, v44, v42, s[0:1]
	v_and_or_b32 v8, v8, s30, v25
	v_lshl_or_b32 v8, v42, 7, v8
	v_cvt_f32_f16_e32 v42, v8
.LBB276_236:                            ;   in Loop: Header=BB276_204 Depth=1
	s_or_b64 exec, exec, s[12:13]
	s_waitcnt vmcnt(0)
	v_pk_mul_f32 v[28:29], v[22:23], v[28:29] op_sel_hi:[0,1]
	v_pk_mul_f32 v[26:27], v[22:23], v[26:27] op_sel_hi:[0,1]
	v_cvt_f16_f32_e32 v8, v29
	v_cvt_f16_f32_e32 v25, v28
	;; [unrolled: 1-line block ×4, first 2 shown]
	v_fma_mixlo_f16 v24, v22, v24, 0
	v_pack_b32_f16 v25, v25, v8
	v_cmp_eq_u32_e64 s[0:1], s7, v4
	v_pack_b32_f16 v26, v26, v27
	v_perm_b32 v8, v26, v25, s34
	v_perm_b32 v25, v26, v25, s35
	v_fma_mixlo_f16 v26, v22, v34, 0
	v_lshlrev_b32_e32 v26, 16, v26
	v_or_b32_sdwa v24, v26, v24 dst_sel:DWORD dst_unused:UNUSED_PAD src0_sel:DWORD src1_sel:WORD_0
	v_fma_mixlo_f16 v26, v22, v41, 0
	v_fma_mixlo_f16 v22, v22, v42, 0
	v_lshlrev_b32_e32 v22, 16, v22
	v_or_b32_sdwa v22, v22, v26 dst_sel:DWORD dst_unused:UNUSED_PAD src0_sel:DWORD src1_sel:WORD_0
	s_and_saveexec_b64 s[12:13], s[0:1]
	s_cbranch_execz .LBB276_238
; %bb.237:                              ;   in Loop: Header=BB276_204 Depth=1
	v_add_u32_e32 v27, 1, v31
	v_lshrrev_b32_e32 v28, 16, v25
	v_cmp_gt_i32_e64 s[2:3], s22, v27
	v_lshrrev_b32_e32 v29, 16, v8
	v_lshrrev_b32_e32 v22, 16, v22
	v_cndmask_b32_e64 v27, 0, v28, s[2:3]
	v_cmp_gt_i32_e64 s[2:3], s29, v31
	v_or_b32_e32 v28, 2, v31
	s_nop 0
	v_cndmask_b32_e64 v25, 0, v25, s[2:3]
	v_perm_b32 v25, v27, v25, s36
	v_or_b32_e32 v27, 3, v31
	v_cmp_gt_i32_e64 s[2:3], s22, v27
	s_nop 1
	v_cndmask_b32_e64 v27, 0, v29, s[2:3]
	v_cmp_gt_i32_e64 s[2:3], s29, v28
	v_or_b32_e32 v28, 4, v31
	v_lshrrev_b32_e32 v29, 16, v24
	v_cndmask_b32_e64 v8, 0, v8, s[2:3]
	v_perm_b32 v8, v27, v8, s36
	v_or_b32_e32 v27, 5, v31
	v_cmp_gt_i32_e64 s[2:3], s22, v27
	s_nop 1
	v_cndmask_b32_e64 v27, 0, v29, s[2:3]
	v_cmp_gt_i32_e64 s[2:3], s29, v28
	v_or_b32_e32 v28, 6, v31
	s_nop 0
	v_cndmask_b32_e64 v24, 0, v24, s[2:3]
	v_perm_b32 v24, v27, v24, s36
	v_or_b32_e32 v27, 7, v31
	v_cmp_gt_i32_e64 s[2:3], s22, v27
	s_nop 1
	v_cndmask_b32_e64 v22, 0, v22, s[2:3]
	v_cmp_gt_i32_e64 s[2:3], s29, v28
	s_nop 1
	v_cndmask_b32_e64 v26, 0, v26, s[2:3]
	v_perm_b32 v22, v22, v26, s36
.LBB276_238:                            ;   in Loop: Header=BB276_204 Depth=1
	s_or_b64 exec, exec, s[12:13]
	v_and_b32_e32 v23, 0xffff, v23
	v_lshl_or_b32 v34, v33, 16, v23
	v_and_b32_e32 v23, 0xffff, v35
	v_lshl_or_b32 v33, v36, 16, v23
	v_and_b32_e32 v23, 0xffff, v37
	v_lshl_or_b32 v29, v38, 16, v23
	v_and_b32_e32 v23, 0xffff, v39
	v_lshl_or_b32 v28, v40, 16, v23
	;;#ASMSTART
	v_pk_mul_f16 v23, v34, v25;

	;;#ASMEND
	;;#ASMSTART
	v_pk_mul_f16 v8, v33, v8;

	;;#ASMEND
	;;#ASMSTART
	v_pk_mul_f16 v24, v29, v24;

	;;#ASMEND
	;;#ASMSTART
	v_pk_mul_f16 v22, v28, v22;

	;;#ASMEND
	s_mov_b64 s[2:3], 0
	;;#ASMSTART
	v_pk_add_f16 v8, v23, v8;

	;;#ASMEND
                                        ; implicit-def: $sgpr18
	s_nop 0
	;;#ASMSTART
	v_pk_add_f16 v8, v8, v24;

	;;#ASMEND
	s_nop 0
	;;#ASMSTART
	v_pk_add_f16 v8, v8, v22;

	;;#ASMEND
	s_nop 0
	v_lshrrev_b32_e32 v22, 16, v8
	v_and_b32_e32 v8, 0xffff, v8
	;;#ASMSTART
	v_cvt_f32_f16 v23, v8;
	;;#ASMEND
	;;#ASMSTART
	v_cvt_f32_f16 v35, v22;
	;;#ASMEND
	global_load_dwordx2 v[24:25], v[20:21], off offset:512
	global_load_dword v22, v9, s[14:15]
	s_waitcnt vmcnt(1)
	v_cmp_gt_i16_sdwa s[12:13], v24, s23 src0_sel:BYTE_0 src1_sel:DWORD
	s_and_saveexec_b64 s[16:17], s[12:13]
	s_xor_b64 s[12:13], exec, s[16:17]
	s_cbranch_execnz .LBB276_339
; %bb.239:                              ;   in Loop: Header=BB276_204 Depth=1
	s_or_saveexec_b64 s[12:13], s[12:13]
	v_mov_b32_e32 v20, s18
	s_xor_b64 exec, exec, s[12:13]
	s_cbranch_execnz .LBB276_342
.LBB276_240:                            ;   in Loop: Header=BB276_204 Depth=1
	s_or_b64 exec, exec, s[12:13]
	s_and_saveexec_b64 s[12:13], s[2:3]
	s_cbranch_execz .LBB276_242
.LBB276_241:                            ;   in Loop: Header=BB276_204 Depth=1
	v_and_b32_e32 v8, 7, v24
	v_ffbh_u32_e32 v8, v8
	v_bfe_u32 v20, v24, 3, 4
	v_min_u32_e32 v8, 32, v8
	v_subrev_u32_e32 v21, 28, v8
	v_sub_u32_e32 v8, 29, v8
	v_cmp_eq_u32_e64 s[2:3], 0, v20
	s_nop 1
	v_cndmask_b32_e64 v8, v20, v8, s[2:3]
	v_cndmask_b32_e64 v20, 0, v21, s[2:3]
	v_lshlrev_b64 v[20:21], v20, v[24:25]
	v_lshlrev_b32_e32 v21, 8, v24
	v_lshl_add_u32 v8, v8, 10, v5
	v_lshlrev_b32_e32 v20, 7, v20
	v_and_or_b32 v8, v21, s30, v8
	v_and_or_b32 v8, v20, s31, v8
	v_cvt_f32_f16_e32 v20, v8
.LBB276_242:                            ;   in Loop: Header=BB276_204 Depth=1
	s_or_b64 exec, exec, s[12:13]
	v_lshrrev_b16_e32 v8, 8, v24
	v_cmp_lt_i16_e64 s[2:3], s23, v8
	s_mov_b64 s[12:13], 0
                                        ; implicit-def: $sgpr20
	s_and_saveexec_b64 s[16:17], s[2:3]
	s_xor_b64 s[16:17], exec, s[16:17]
	s_cbranch_execnz .LBB276_343
; %bb.243:                              ;   in Loop: Header=BB276_204 Depth=1
	s_or_saveexec_b64 s[16:17], s[16:17]
	v_mov_b32_e32 v26, s20
	s_xor_b64 exec, exec, s[16:17]
	s_cbranch_execnz .LBB276_346
.LBB276_244:                            ;   in Loop: Header=BB276_204 Depth=1
	s_or_b64 exec, exec, s[16:17]
	s_and_saveexec_b64 s[16:17], s[12:13]
	s_cbranch_execz .LBB276_246
.LBB276_245:                            ;   in Loop: Header=BB276_204 Depth=1
	v_and_b32_e32 v21, 7, v8
	v_ffbh_u32_e32 v26, v21
	v_min_u32_e32 v37, 32, v26
	v_subrev_u32_e32 v26, 28, v37
	v_bfe_u32 v36, v8, 3, 4
	v_lshlrev_b64 v[26:27], v26, v[8:9]
	v_sub_u32_e32 v27, 29, v37
	v_cmp_eq_u32_e64 s[2:3], 0, v36
	v_and_b32_e32 v26, 7, v26
	v_lshlrev_b32_e32 v8, 8, v8
	v_cndmask_b32_e64 v27, v36, v27, s[2:3]
	v_cndmask_b32_e64 v21, v21, v26, s[2:3]
	v_lshl_add_u32 v26, v27, 10, v5
	v_and_or_b32 v8, v8, s30, v26
	v_lshl_or_b32 v8, v21, 7, v8
	v_cvt_f32_f16_e32 v26, v8
.LBB276_246:                            ;   in Loop: Header=BB276_204 Depth=1
	s_or_b64 exec, exec, s[16:17]
	v_lshrrev_b32_e32 v8, 16, v24
	v_cmp_gt_i16_sdwa s[12:13], v8, s23 src0_sel:BYTE_0 src1_sel:DWORD
	s_mov_b64 s[2:3], 0
                                        ; implicit-def: $sgpr18
	s_and_saveexec_b64 s[16:17], s[12:13]
	s_xor_b64 s[12:13], exec, s[16:17]
	s_cbranch_execnz .LBB276_347
; %bb.247:                              ;   in Loop: Header=BB276_204 Depth=1
	s_or_saveexec_b64 s[12:13], s[12:13]
	v_mov_b32_e32 v21, s18
	s_xor_b64 exec, exec, s[12:13]
	s_cbranch_execnz .LBB276_350
.LBB276_248:                            ;   in Loop: Header=BB276_204 Depth=1
	s_or_b64 exec, exec, s[12:13]
	s_and_saveexec_b64 s[12:13], s[2:3]
	s_cbranch_execz .LBB276_250
.LBB276_249:                            ;   in Loop: Header=BB276_204 Depth=1
	v_bfe_u32 v21, v24, 16, 3
	v_ffbh_u32_e32 v36, v21
	v_min_u32_e32 v38, 32, v36
	v_subrev_u32_e32 v36, 28, v38
	v_bfe_u32 v27, v24, 19, 4
	v_lshlrev_b64 v[36:37], v36, v[8:9]
	v_sub_u32_e32 v37, 29, v38
	v_cmp_eq_u32_e64 s[2:3], 0, v27
	v_and_b32_e32 v36, 7, v36
	v_lshlrev_b32_e32 v8, 8, v8
	v_cndmask_b32_e64 v27, v27, v37, s[2:3]
	v_lshl_add_u32 v27, v27, 10, v5
	v_cndmask_b32_e64 v21, v21, v36, s[2:3]
	v_and_or_b32 v8, v8, s30, v27
	v_lshl_or_b32 v8, v21, 7, v8
	v_cvt_f32_f16_e32 v21, v8
.LBB276_250:                            ;   in Loop: Header=BB276_204 Depth=1
	s_or_b64 exec, exec, s[12:13]
	v_lshrrev_b32_e32 v8, 24, v24
	v_cmp_lt_i16_e64 s[2:3], s23, v8
	s_mov_b64 s[12:13], 0
                                        ; implicit-def: $sgpr20
	s_and_saveexec_b64 s[16:17], s[2:3]
	s_xor_b64 s[16:17], exec, s[16:17]
	s_cbranch_execnz .LBB276_351
; %bb.251:                              ;   in Loop: Header=BB276_204 Depth=1
	s_or_saveexec_b64 s[16:17], s[16:17]
	v_mov_b32_e32 v27, s20
	s_xor_b64 exec, exec, s[16:17]
	s_cbranch_execnz .LBB276_354
.LBB276_252:                            ;   in Loop: Header=BB276_204 Depth=1
	s_or_b64 exec, exec, s[16:17]
	s_and_saveexec_b64 s[16:17], s[12:13]
	s_cbranch_execz .LBB276_254
.LBB276_253:                            ;   in Loop: Header=BB276_204 Depth=1
	v_bfe_u32 v27, v24, 24, 3
	v_ffbh_u32_e32 v36, v27
	v_min_u32_e32 v38, 32, v36
	v_subrev_u32_e32 v36, 28, v38
	v_bfe_u32 v24, v24, 27, 4
	v_lshlrev_b64 v[36:37], v36, v[8:9]
	v_sub_u32_e32 v37, 29, v38
	v_cmp_eq_u32_e64 s[2:3], 0, v24
	v_and_b32_e32 v36, 7, v36
	v_lshlrev_b32_e32 v8, 8, v8
	v_cndmask_b32_e64 v24, v24, v37, s[2:3]
	v_lshl_add_u32 v24, v24, 10, v5
	v_cndmask_b32_e64 v27, v27, v36, s[2:3]
	v_and_or_b32 v8, v8, s30, v24
	v_lshl_or_b32 v8, v27, 7, v8
	v_cvt_f32_f16_e32 v27, v8
.LBB276_254:                            ;   in Loop: Header=BB276_204 Depth=1
	s_or_b64 exec, exec, s[16:17]
	v_cmp_gt_i16_sdwa s[12:13], v25, s23 src0_sel:BYTE_0 src1_sel:DWORD
	s_mov_b64 s[2:3], 0
                                        ; implicit-def: $sgpr18
	s_and_saveexec_b64 s[16:17], s[12:13]
	s_xor_b64 s[12:13], exec, s[16:17]
	s_cbranch_execnz .LBB276_355
; %bb.255:                              ;   in Loop: Header=BB276_204 Depth=1
	s_or_saveexec_b64 s[12:13], s[12:13]
	v_mov_b32_e32 v24, s18
	s_xor_b64 exec, exec, s[12:13]
	s_cbranch_execnz .LBB276_358
.LBB276_256:                            ;   in Loop: Header=BB276_204 Depth=1
	s_or_b64 exec, exec, s[12:13]
	v_mov_b32_e32 v8, v25
	s_and_saveexec_b64 s[12:13], s[2:3]
	s_cbranch_execz .LBB276_258
.LBB276_257:                            ;   in Loop: Header=BB276_204 Depth=1
	v_and_b32_e32 v24, 7, v25
	v_ffbh_u32_e32 v24, v24
	v_bfe_u32 v36, v25, 3, 4
	v_min_u32_e32 v24, 32, v24
	v_subrev_u32_e32 v37, 28, v24
	v_sub_u32_e32 v24, 29, v24
	v_cmp_eq_u32_e64 s[2:3], 0, v36
	s_nop 1
	v_cndmask_b32_e64 v24, v36, v24, s[2:3]
	v_cndmask_b32_e64 v36, 0, v37, s[2:3]
	v_lshlrev_b64 v[36:37], v36, v[8:9]
	v_lshlrev_b32_e32 v37, 8, v25
	v_lshl_add_u32 v24, v24, 10, v5
	v_lshlrev_b32_e32 v36, 7, v36
	v_and_or_b32 v24, v37, s30, v24
	v_and_or_b32 v24, v36, s31, v24
	v_cvt_f32_f16_e32 v24, v24
.LBB276_258:                            ;   in Loop: Header=BB276_204 Depth=1
	s_or_b64 exec, exec, s[12:13]
	v_lshrrev_b16_e32 v8, 8, v8
	v_cmp_lt_i16_e64 s[2:3], s23, v8
	s_mov_b64 s[12:13], 0
                                        ; implicit-def: $sgpr20
	s_and_saveexec_b64 s[16:17], s[2:3]
	s_xor_b64 s[16:17], exec, s[16:17]
	s_cbranch_execnz .LBB276_359
; %bb.259:                              ;   in Loop: Header=BB276_204 Depth=1
	s_or_saveexec_b64 s[16:17], s[16:17]
	v_mov_b32_e32 v36, s20
	s_xor_b64 exec, exec, s[16:17]
	s_cbranch_execnz .LBB276_362
.LBB276_260:                            ;   in Loop: Header=BB276_204 Depth=1
	s_or_b64 exec, exec, s[16:17]
	s_and_saveexec_b64 s[16:17], s[12:13]
	s_cbranch_execz .LBB276_262
.LBB276_261:                            ;   in Loop: Header=BB276_204 Depth=1
	v_and_b32_e32 v38, 7, v8
	v_ffbh_u32_e32 v36, v38
	v_min_u32_e32 v40, 32, v36
	v_subrev_u32_e32 v36, 28, v40
	v_bfe_u32 v39, v8, 3, 4
	v_lshlrev_b64 v[36:37], v36, v[8:9]
	v_sub_u32_e32 v37, 29, v40
	v_cmp_eq_u32_e64 s[2:3], 0, v39
	v_and_b32_e32 v36, 7, v36
	v_lshlrev_b32_e32 v8, 8, v8
	v_cndmask_b32_e64 v37, v39, v37, s[2:3]
	v_lshl_add_u32 v37, v37, 10, v5
	v_cndmask_b32_e64 v36, v38, v36, s[2:3]
	v_and_or_b32 v8, v8, s30, v37
	v_lshl_or_b32 v8, v36, 7, v8
	v_cvt_f32_f16_e32 v36, v8
.LBB276_262:                            ;   in Loop: Header=BB276_204 Depth=1
	s_or_b64 exec, exec, s[16:17]
	v_lshrrev_b32_e32 v8, 16, v25
	v_cmp_gt_i16_sdwa s[12:13], v8, s23 src0_sel:BYTE_0 src1_sel:DWORD
	s_mov_b64 s[2:3], 0
                                        ; implicit-def: $sgpr18
	s_and_saveexec_b64 s[16:17], s[12:13]
	s_xor_b64 s[12:13], exec, s[16:17]
	s_cbranch_execnz .LBB276_363
; %bb.263:                              ;   in Loop: Header=BB276_204 Depth=1
	s_or_saveexec_b64 s[12:13], s[12:13]
	v_mov_b32_e32 v37, s18
	s_xor_b64 exec, exec, s[12:13]
	s_cbranch_execnz .LBB276_366
.LBB276_264:                            ;   in Loop: Header=BB276_204 Depth=1
	s_or_b64 exec, exec, s[12:13]
	s_and_saveexec_b64 s[12:13], s[2:3]
	s_cbranch_execz .LBB276_266
.LBB276_265:                            ;   in Loop: Header=BB276_204 Depth=1
	v_bfe_u32 v37, v25, 16, 3
	v_ffbh_u32_e32 v38, v37
	v_min_u32_e32 v41, 32, v38
	v_subrev_u32_e32 v38, 28, v41
	v_bfe_u32 v40, v25, 19, 4
	v_lshlrev_b64 v[38:39], v38, v[8:9]
	v_sub_u32_e32 v39, 29, v41
	v_cmp_eq_u32_e64 s[2:3], 0, v40
	v_and_b32_e32 v38, 7, v38
	v_lshlrev_b32_e32 v8, 8, v8
	v_cndmask_b32_e64 v39, v40, v39, s[2:3]
	v_cndmask_b32_e64 v37, v37, v38, s[2:3]
	v_lshl_add_u32 v38, v39, 10, v5
	v_and_or_b32 v8, v8, s30, v38
	v_lshl_or_b32 v8, v37, 7, v8
	v_cvt_f32_f16_e32 v37, v8
.LBB276_266:                            ;   in Loop: Header=BB276_204 Depth=1
	s_or_b64 exec, exec, s[12:13]
	v_lshrrev_b32_e32 v8, 24, v25
	v_cmp_lt_i16_e64 s[2:3], s23, v8
	s_mov_b64 s[12:13], 0
                                        ; implicit-def: $sgpr20
	s_and_saveexec_b64 s[16:17], s[2:3]
	s_xor_b64 s[16:17], exec, s[16:17]
	s_cbranch_execnz .LBB276_367
; %bb.267:                              ;   in Loop: Header=BB276_204 Depth=1
	s_or_saveexec_b64 s[16:17], s[16:17]
	v_mov_b32_e32 v38, s20
	s_xor_b64 exec, exec, s[16:17]
	s_cbranch_execnz .LBB276_370
.LBB276_268:                            ;   in Loop: Header=BB276_204 Depth=1
	s_or_b64 exec, exec, s[16:17]
	s_and_saveexec_b64 s[16:17], s[12:13]
	s_cbranch_execz .LBB276_270
.LBB276_269:                            ;   in Loop: Header=BB276_204 Depth=1
	v_bfe_u32 v40, v25, 24, 3
	v_ffbh_u32_e32 v38, v40
	v_min_u32_e32 v41, 32, v38
	v_subrev_u32_e32 v38, 28, v41
	v_bfe_u32 v25, v25, 27, 4
	v_lshlrev_b64 v[38:39], v38, v[8:9]
	v_sub_u32_e32 v39, 29, v41
	v_cmp_eq_u32_e64 s[2:3], 0, v25
	v_and_b32_e32 v38, 7, v38
	v_lshlrev_b32_e32 v8, 8, v8
	v_cndmask_b32_e64 v25, v25, v39, s[2:3]
	v_lshl_add_u32 v25, v25, 10, v5
	v_cndmask_b32_e64 v38, v40, v38, s[2:3]
	v_and_or_b32 v8, v8, s30, v25
	v_lshl_or_b32 v8, v38, 7, v8
	v_cvt_f32_f16_e32 v38, v8
.LBB276_270:                            ;   in Loop: Header=BB276_204 Depth=1
	s_or_b64 exec, exec, s[16:17]
	s_waitcnt vmcnt(0)
	v_pk_mul_f32 v[20:21], v[22:23], v[20:21] op_sel_hi:[0,1]
	v_cvt_f16_f32_e32 v21, v21
	v_cvt_f16_f32_e32 v20, v20
	v_pk_mul_f32 v[26:27], v[22:23], v[26:27] op_sel_hi:[0,1]
	v_cvt_f16_f32_e32 v8, v27
	v_cvt_f16_f32_e32 v25, v26
	v_pack_b32_f16 v20, v20, v21
	v_fma_mixlo_f16 v21, v22, v36, 0
	v_lshlrev_b32_e32 v21, 16, v21
	v_fma_mixlo_f16 v24, v22, v24, 0
	v_or_b32_sdwa v21, v21, v24 dst_sel:DWORD dst_unused:UNUSED_PAD src0_sel:DWORD src1_sel:WORD_0
	v_fma_mixlo_f16 v24, v22, v37, 0
	v_fma_mixlo_f16 v22, v22, v38, 0
	v_pack_b32_f16 v25, v25, v8
	v_lshlrev_b32_e32 v22, 16, v22
	v_perm_b32 v8, v20, v25, s34
	v_perm_b32 v20, v20, v25, s35
	v_or_b32_sdwa v22, v22, v24 dst_sel:DWORD dst_unused:UNUSED_PAD src0_sel:DWORD src1_sel:WORD_0
	s_and_saveexec_b64 s[12:13], s[0:1]
	s_cbranch_execz .LBB276_272
; %bb.271:                              ;   in Loop: Header=BB276_204 Depth=1
	v_add_u32_e32 v25, 1, v31
	v_lshrrev_b32_e32 v26, 16, v20
	v_cmp_gt_i32_e64 s[2:3], s22, v25
	v_lshrrev_b32_e32 v27, 16, v8
	v_lshrrev_b32_e32 v22, 16, v22
	v_cndmask_b32_e64 v25, 0, v26, s[2:3]
	v_cmp_gt_i32_e64 s[2:3], s29, v31
	v_or_b32_e32 v26, 2, v31
	s_nop 0
	v_cndmask_b32_e64 v20, 0, v20, s[2:3]
	v_perm_b32 v20, v25, v20, s36
	v_or_b32_e32 v25, 3, v31
	v_cmp_gt_i32_e64 s[2:3], s22, v25
	s_nop 1
	v_cndmask_b32_e64 v25, 0, v27, s[2:3]
	v_cmp_gt_i32_e64 s[2:3], s29, v26
	v_or_b32_e32 v26, 4, v31
	v_lshrrev_b32_e32 v27, 16, v21
	v_cndmask_b32_e64 v8, 0, v8, s[2:3]
	v_perm_b32 v8, v25, v8, s36
	v_or_b32_e32 v25, 5, v31
	v_cmp_gt_i32_e64 s[2:3], s22, v25
	s_nop 1
	v_cndmask_b32_e64 v25, 0, v27, s[2:3]
	v_cmp_gt_i32_e64 s[2:3], s29, v26
	v_or_b32_e32 v26, 6, v31
	s_nop 0
	v_cndmask_b32_e64 v21, 0, v21, s[2:3]
	v_perm_b32 v21, v25, v21, s36
	v_or_b32_e32 v25, 7, v31
	v_cmp_gt_i32_e64 s[2:3], s22, v25
	s_nop 1
	v_cndmask_b32_e64 v22, 0, v22, s[2:3]
	v_cmp_gt_i32_e64 s[2:3], s29, v26
	s_nop 1
	v_cndmask_b32_e64 v24, 0, v24, s[2:3]
	v_perm_b32 v22, v22, v24, s36
.LBB276_272:                            ;   in Loop: Header=BB276_204 Depth=1
	s_or_b64 exec, exec, s[12:13]
	;;#ASMSTART
	v_pk_mul_f16 v20, v34, v20;

	;;#ASMEND
	;;#ASMSTART
	v_pk_mul_f16 v8, v33, v8;

	;;#ASMEND
	;; [unrolled: 4-line block ×4, first 2 shown]
	v_add_f32_e32 v23, v23, v35
	;;#ASMSTART
	v_pk_add_f16 v8, v20, v8;

	;;#ASMEND
	v_add_f32_e32 v12, v12, v23
	;;#ASMSTART
	v_pk_add_f16 v8, v8, v21;

	;;#ASMEND
	s_nop 0
	;;#ASMSTART
	v_pk_add_f16 v8, v8, v22;

	;;#ASMEND
	s_nop 0
	v_lshrrev_b32_e32 v20, 16, v8
	v_and_b32_e32 v8, 0xffff, v8
	;;#ASMSTART
	v_cvt_f32_f16 v8, v8;
	;;#ASMEND
	;;#ASMSTART
	v_cvt_f32_f16 v20, v20;
	;;#ASMEND
	s_nop 0
	v_add_f32_e32 v8, v8, v20
	v_add_f32_e32 v13, v13, v8
	s_and_saveexec_b64 s[12:13], vcc
	s_cbranch_execz .LBB276_203
; %bb.273:                              ;   in Loop: Header=BB276_204 Depth=1
	v_lshl_add_u64 v[22:23], v[18:19], 0, v[10:11]
	global_load_dwordx2 v[20:21], v[22:23], off
	global_load_dword v18, v9, s[14:15]
	s_mov_b64 s[2:3], 0
                                        ; implicit-def: $sgpr20
	s_waitcnt vmcnt(1)
	v_cmp_gt_i16_sdwa s[16:17], v20, s23 src0_sel:BYTE_0 src1_sel:DWORD
	s_and_saveexec_b64 s[18:19], s[16:17]
	s_xor_b64 s[16:17], exec, s[18:19]
	s_cbranch_execnz .LBB276_371
; %bb.274:                              ;   in Loop: Header=BB276_204 Depth=1
	s_or_saveexec_b64 s[16:17], s[16:17]
	v_mov_b32_e32 v22, s20
	s_xor_b64 exec, exec, s[16:17]
	s_cbranch_execnz .LBB276_374
.LBB276_275:                            ;   in Loop: Header=BB276_204 Depth=1
	s_or_b64 exec, exec, s[16:17]
	s_and_saveexec_b64 s[16:17], s[2:3]
	s_cbranch_execz .LBB276_277
.LBB276_276:                            ;   in Loop: Header=BB276_204 Depth=1
	v_and_b32_e32 v8, 7, v20
	v_ffbh_u32_e32 v8, v8
	v_bfe_u32 v19, v20, 3, 4
	v_min_u32_e32 v8, 32, v8
	v_subrev_u32_e32 v22, 28, v8
	v_sub_u32_e32 v8, 29, v8
	v_cmp_eq_u32_e64 s[2:3], 0, v19
	s_nop 1
	v_cndmask_b32_e64 v8, v19, v8, s[2:3]
	v_cndmask_b32_e64 v19, 0, v22, s[2:3]
	v_lshlrev_b64 v[22:23], v19, v[20:21]
	v_lshlrev_b32_e32 v19, 7, v22
	v_lshlrev_b32_e32 v22, 8, v20
	v_lshl_add_u32 v8, v8, 10, v5
	v_and_or_b32 v8, v22, s30, v8
	v_and_or_b32 v8, v19, s31, v8
	v_cvt_f32_f16_e32 v22, v8
.LBB276_277:                            ;   in Loop: Header=BB276_204 Depth=1
	s_or_b64 exec, exec, s[16:17]
	v_lshrrev_b16_e32 v8, 8, v20
	v_cmp_lt_i16_e64 s[2:3], s23, v8
	s_mov_b64 s[16:17], 0
                                        ; implicit-def: $sgpr37
	s_and_saveexec_b64 s[18:19], s[2:3]
	s_xor_b64 s[18:19], exec, s[18:19]
	s_cbranch_execnz .LBB276_375
; %bb.278:                              ;   in Loop: Header=BB276_204 Depth=1
	s_or_saveexec_b64 s[18:19], s[18:19]
	v_mov_b32_e32 v24, s37
	s_xor_b64 exec, exec, s[18:19]
	s_cbranch_execnz .LBB276_378
.LBB276_279:                            ;   in Loop: Header=BB276_204 Depth=1
	s_or_b64 exec, exec, s[18:19]
	s_and_saveexec_b64 s[18:19], s[16:17]
	s_cbranch_execz .LBB276_281
.LBB276_280:                            ;   in Loop: Header=BB276_204 Depth=1
	v_and_b32_e32 v19, 7, v8
	v_ffbh_u32_e32 v24, v19
	v_min_u32_e32 v26, 32, v24
	v_subrev_u32_e32 v24, 28, v26
	v_bfe_u32 v23, v8, 3, 4
	v_lshlrev_b64 v[24:25], v24, v[8:9]
	v_sub_u32_e32 v25, 29, v26
	v_cmp_eq_u32_e64 s[2:3], 0, v23
	v_and_b32_e32 v24, 7, v24
	v_lshlrev_b32_e32 v8, 8, v8
	v_cndmask_b32_e64 v23, v23, v25, s[2:3]
	v_lshl_add_u32 v23, v23, 10, v5
	v_cndmask_b32_e64 v19, v19, v24, s[2:3]
	v_and_or_b32 v8, v8, s30, v23
	v_lshl_or_b32 v8, v19, 7, v8
	v_cvt_f32_f16_e32 v24, v8
.LBB276_281:                            ;   in Loop: Header=BB276_204 Depth=1
	s_or_b64 exec, exec, s[18:19]
	v_lshrrev_b32_e32 v8, 16, v20
	v_cmp_gt_i16_sdwa s[16:17], v8, s23 src0_sel:BYTE_0 src1_sel:DWORD
	s_mov_b64 s[2:3], 0
                                        ; implicit-def: $sgpr20
	s_and_saveexec_b64 s[18:19], s[16:17]
	s_xor_b64 s[16:17], exec, s[18:19]
	s_cbranch_execnz .LBB276_379
; %bb.282:                              ;   in Loop: Header=BB276_204 Depth=1
	s_or_saveexec_b64 s[16:17], s[16:17]
	v_mov_b32_e32 v23, s20
	s_xor_b64 exec, exec, s[16:17]
	s_cbranch_execnz .LBB276_382
.LBB276_283:                            ;   in Loop: Header=BB276_204 Depth=1
	s_or_b64 exec, exec, s[16:17]
	s_and_saveexec_b64 s[16:17], s[2:3]
	s_cbranch_execz .LBB276_285
.LBB276_284:                            ;   in Loop: Header=BB276_204 Depth=1
	v_bfe_u32 v19, v20, 16, 3
	v_ffbh_u32_e32 v25, v19
	v_bfe_u32 v23, v20, 19, 4
	v_min_u32_e32 v25, 32, v25
	v_subrev_u32_e32 v26, 28, v25
	v_sub_u32_e32 v25, 29, v25
	v_cmp_eq_u32_e64 s[2:3], 0, v23
	v_lshlrev_b64 v[26:27], v26, v[8:9]
	v_and_b32_e32 v26, 7, v26
	v_cndmask_b32_e64 v23, v23, v25, s[2:3]
	v_lshlrev_b32_e32 v8, 8, v8
	v_lshl_add_u32 v23, v23, 10, v5
	v_cndmask_b32_e64 v19, v19, v26, s[2:3]
	v_and_or_b32 v8, v8, s30, v23
	v_lshl_or_b32 v8, v19, 7, v8
	v_cvt_f32_f16_e32 v23, v8
.LBB276_285:                            ;   in Loop: Header=BB276_204 Depth=1
	s_or_b64 exec, exec, s[16:17]
	v_lshrrev_b32_e32 v8, 24, v20
	v_cmp_lt_i16_e64 s[2:3], s23, v8
	s_mov_b64 s[16:17], 0
                                        ; implicit-def: $sgpr37
	s_and_saveexec_b64 s[18:19], s[2:3]
	s_xor_b64 s[18:19], exec, s[18:19]
	s_cbranch_execnz .LBB276_383
; %bb.286:                              ;   in Loop: Header=BB276_204 Depth=1
	s_or_saveexec_b64 s[18:19], s[18:19]
	v_mov_b32_e32 v25, s37
	s_xor_b64 exec, exec, s[18:19]
	s_cbranch_execnz .LBB276_386
.LBB276_287:                            ;   in Loop: Header=BB276_204 Depth=1
	s_or_b64 exec, exec, s[18:19]
	s_and_saveexec_b64 s[18:19], s[16:17]
	s_cbranch_execz .LBB276_289
.LBB276_288:                            ;   in Loop: Header=BB276_204 Depth=1
	v_bfe_u32 v19, v20, 24, 3
	v_ffbh_u32_e32 v25, v19
	v_bfe_u32 v20, v20, 27, 4
	v_min_u32_e32 v25, 32, v25
	v_subrev_u32_e32 v26, 28, v25
	v_sub_u32_e32 v25, 29, v25
	v_cmp_eq_u32_e64 s[2:3], 0, v20
	v_lshlrev_b64 v[26:27], v26, v[8:9]
	v_and_b32_e32 v26, 7, v26
	v_cndmask_b32_e64 v20, v20, v25, s[2:3]
	v_lshlrev_b32_e32 v8, 8, v8
	v_lshl_add_u32 v20, v20, 10, v5
	v_cndmask_b32_e64 v19, v19, v26, s[2:3]
	v_and_or_b32 v8, v8, s30, v20
	v_lshl_or_b32 v8, v19, 7, v8
	v_cvt_f32_f16_e32 v25, v8
.LBB276_289:                            ;   in Loop: Header=BB276_204 Depth=1
	s_or_b64 exec, exec, s[18:19]
	v_cmp_gt_i16_sdwa s[16:17], v21, s23 src0_sel:BYTE_0 src1_sel:DWORD
	s_mov_b64 s[2:3], 0
                                        ; implicit-def: $sgpr20
	s_and_saveexec_b64 s[18:19], s[16:17]
	s_xor_b64 s[16:17], exec, s[18:19]
	s_cbranch_execnz .LBB276_387
; %bb.290:                              ;   in Loop: Header=BB276_204 Depth=1
	s_or_saveexec_b64 s[16:17], s[16:17]
	v_mov_b32_e32 v19, s20
	s_xor_b64 exec, exec, s[16:17]
	s_cbranch_execnz .LBB276_390
.LBB276_291:                            ;   in Loop: Header=BB276_204 Depth=1
	s_or_b64 exec, exec, s[16:17]
	v_mov_b32_e32 v8, v21
	s_and_saveexec_b64 s[16:17], s[2:3]
	s_cbranch_execz .LBB276_293
.LBB276_292:                            ;   in Loop: Header=BB276_204 Depth=1
	v_and_b32_e32 v19, 7, v21
	v_ffbh_u32_e32 v19, v19
	v_bfe_u32 v20, v21, 3, 4
	v_min_u32_e32 v19, 32, v19
	v_subrev_u32_e32 v26, 28, v19
	v_sub_u32_e32 v19, 29, v19
	v_cmp_eq_u32_e64 s[2:3], 0, v20
	s_nop 1
	v_cndmask_b32_e64 v19, v20, v19, s[2:3]
	v_cndmask_b32_e64 v20, 0, v26, s[2:3]
	v_lshlrev_b64 v[26:27], v20, v[8:9]
	v_lshlrev_b32_e32 v20, 7, v26
	v_lshlrev_b32_e32 v26, 8, v21
	v_lshl_add_u32 v19, v19, 10, v5
	v_and_or_b32 v19, v26, s30, v19
	v_and_or_b32 v19, v20, s31, v19
	v_cvt_f32_f16_e32 v19, v19
.LBB276_293:                            ;   in Loop: Header=BB276_204 Depth=1
	s_or_b64 exec, exec, s[16:17]
	v_lshrrev_b16_e32 v8, 8, v8
	v_cmp_lt_i16_e64 s[2:3], s23, v8
	s_mov_b64 s[16:17], 0
                                        ; implicit-def: $sgpr37
	s_and_saveexec_b64 s[18:19], s[2:3]
	s_xor_b64 s[18:19], exec, s[18:19]
	s_cbranch_execnz .LBB276_391
; %bb.294:                              ;   in Loop: Header=BB276_204 Depth=1
	s_or_saveexec_b64 s[18:19], s[18:19]
	v_mov_b32_e32 v20, s37
	s_xor_b64 exec, exec, s[18:19]
	s_cbranch_execnz .LBB276_394
.LBB276_295:                            ;   in Loop: Header=BB276_204 Depth=1
	s_or_b64 exec, exec, s[18:19]
	s_and_saveexec_b64 s[18:19], s[16:17]
	s_cbranch_execz .LBB276_297
.LBB276_296:                            ;   in Loop: Header=BB276_204 Depth=1
	v_and_b32_e32 v20, 7, v8
	v_ffbh_u32_e32 v26, v20
	v_min_u32_e32 v36, 32, v26
	v_subrev_u32_e32 v26, 28, v36
	v_bfe_u32 v35, v8, 3, 4
	v_lshlrev_b64 v[26:27], v26, v[8:9]
	v_sub_u32_e32 v27, 29, v36
	v_cmp_eq_u32_e64 s[2:3], 0, v35
	v_and_b32_e32 v26, 7, v26
	v_lshlrev_b32_e32 v8, 8, v8
	v_cndmask_b32_e64 v27, v35, v27, s[2:3]
	v_cndmask_b32_e64 v20, v20, v26, s[2:3]
	v_lshl_add_u32 v26, v27, 10, v5
	v_and_or_b32 v8, v8, s30, v26
	v_lshl_or_b32 v8, v20, 7, v8
	v_cvt_f32_f16_e32 v20, v8
.LBB276_297:                            ;   in Loop: Header=BB276_204 Depth=1
	s_or_b64 exec, exec, s[18:19]
	v_lshrrev_b32_e32 v8, 16, v21
	v_cmp_gt_i16_sdwa s[16:17], v8, s23 src0_sel:BYTE_0 src1_sel:DWORD
	s_mov_b64 s[2:3], 0
                                        ; implicit-def: $sgpr20
	s_and_saveexec_b64 s[18:19], s[16:17]
	s_xor_b64 s[16:17], exec, s[18:19]
	s_cbranch_execnz .LBB276_395
; %bb.298:                              ;   in Loop: Header=BB276_204 Depth=1
	s_or_saveexec_b64 s[16:17], s[16:17]
	v_mov_b32_e32 v26, s20
	s_xor_b64 exec, exec, s[16:17]
	s_cbranch_execnz .LBB276_398
.LBB276_299:                            ;   in Loop: Header=BB276_204 Depth=1
	s_or_b64 exec, exec, s[16:17]
	s_and_saveexec_b64 s[16:17], s[2:3]
	s_cbranch_execz .LBB276_301
.LBB276_300:                            ;   in Loop: Header=BB276_204 Depth=1
	v_bfe_u32 v35, v21, 16, 3
	v_ffbh_u32_e32 v26, v35
	v_min_u32_e32 v37, 32, v26
	v_subrev_u32_e32 v26, 28, v37
	v_bfe_u32 v36, v21, 19, 4
	v_lshlrev_b64 v[26:27], v26, v[8:9]
	v_sub_u32_e32 v27, 29, v37
	v_cmp_eq_u32_e64 s[2:3], 0, v36
	v_and_b32_e32 v26, 7, v26
	v_lshlrev_b32_e32 v8, 8, v8
	v_cndmask_b32_e64 v27, v36, v27, s[2:3]
	v_lshl_add_u32 v27, v27, 10, v5
	v_cndmask_b32_e64 v26, v35, v26, s[2:3]
	v_and_or_b32 v8, v8, s30, v27
	v_lshl_or_b32 v8, v26, 7, v8
	v_cvt_f32_f16_e32 v26, v8
.LBB276_301:                            ;   in Loop: Header=BB276_204 Depth=1
	s_or_b64 exec, exec, s[16:17]
	v_lshrrev_b32_e32 v8, 24, v21
	v_cmp_lt_i16_e64 s[2:3], s23, v8
	s_mov_b64 s[16:17], 0
                                        ; implicit-def: $sgpr37
	s_and_saveexec_b64 s[18:19], s[2:3]
	s_xor_b64 s[18:19], exec, s[18:19]
	s_cbranch_execnz .LBB276_399
; %bb.302:                              ;   in Loop: Header=BB276_204 Depth=1
	s_or_saveexec_b64 s[18:19], s[18:19]
	v_mov_b32_e32 v27, s37
	s_xor_b64 exec, exec, s[18:19]
	s_cbranch_execnz .LBB276_402
.LBB276_303:                            ;   in Loop: Header=BB276_204 Depth=1
	s_or_b64 exec, exec, s[18:19]
	s_and_saveexec_b64 s[18:19], s[16:17]
	s_cbranch_execz .LBB276_305
.LBB276_304:                            ;   in Loop: Header=BB276_204 Depth=1
	v_bfe_u32 v27, v21, 24, 3
	v_ffbh_u32_e32 v35, v27
	v_bfe_u32 v21, v21, 27, 4
	v_min_u32_e32 v35, 32, v35
	v_subrev_u32_e32 v36, 28, v35
	v_sub_u32_e32 v35, 29, v35
	v_cmp_eq_u32_e64 s[2:3], 0, v21
	v_lshlrev_b64 v[36:37], v36, v[8:9]
	v_and_b32_e32 v36, 7, v36
	v_cndmask_b32_e64 v21, v21, v35, s[2:3]
	v_lshlrev_b32_e32 v8, 8, v8
	v_lshl_add_u32 v21, v21, 10, v5
	v_cndmask_b32_e64 v27, v27, v36, s[2:3]
	v_and_or_b32 v8, v8, s30, v21
	v_lshl_or_b32 v8, v27, 7, v8
	v_cvt_f32_f16_e32 v27, v8
.LBB276_305:                            ;   in Loop: Header=BB276_204 Depth=1
	s_or_b64 exec, exec, s[18:19]
	s_waitcnt vmcnt(0)
	v_pk_mul_f32 v[24:25], v[18:19], v[24:25] op_sel_hi:[0,1]
	v_pk_mul_f32 v[22:23], v[18:19], v[22:23] op_sel_hi:[0,1]
	v_cvt_f16_f32_e32 v8, v25
	v_cvt_f16_f32_e32 v21, v24
	;; [unrolled: 1-line block ×4, first 2 shown]
	v_fma_mixlo_f16 v20, v18, v20, 0
	v_lshlrev_b32_e32 v20, 16, v20
	v_fma_mixlo_f16 v19, v18, v19, 0
	v_or_b32_sdwa v19, v20, v19 dst_sel:DWORD dst_unused:UNUSED_PAD src0_sel:DWORD src1_sel:WORD_0
	v_fma_mixlo_f16 v20, v18, v26, 0
	v_fma_mixlo_f16 v18, v18, v27, 0
	v_pack_b32_f16 v21, v21, v8
	v_pack_b32_f16 v22, v22, v23
	v_lshlrev_b32_e32 v18, 16, v18
	v_perm_b32 v8, v22, v21, s34
	v_perm_b32 v21, v22, v21, s35
	v_or_b32_sdwa v18, v18, v20 dst_sel:DWORD dst_unused:UNUSED_PAD src0_sel:DWORD src1_sel:WORD_0
	s_and_saveexec_b64 s[2:3], s[0:1]
	s_cbranch_execz .LBB276_202
; %bb.306:                              ;   in Loop: Header=BB276_204 Depth=1
	v_add_u32_e32 v22, 1, v31
	v_lshrrev_b32_e32 v23, 16, v21
	v_cmp_gt_i32_e64 s[0:1], s22, v22
	v_lshrrev_b32_e32 v24, 16, v8
	v_lshrrev_b32_e32 v18, 16, v18
	v_cndmask_b32_e64 v22, 0, v23, s[0:1]
	v_cmp_gt_i32_e64 s[0:1], s29, v31
	v_or_b32_e32 v23, 2, v31
	s_nop 0
	v_cndmask_b32_e64 v21, 0, v21, s[0:1]
	v_perm_b32 v21, v22, v21, s36
	v_or_b32_e32 v22, 3, v31
	v_cmp_gt_i32_e64 s[0:1], s22, v22
	s_nop 1
	v_cndmask_b32_e64 v22, 0, v24, s[0:1]
	v_cmp_gt_i32_e64 s[0:1], s29, v23
	v_or_b32_e32 v23, 4, v31
	v_lshrrev_b32_e32 v24, 16, v19
	v_cndmask_b32_e64 v8, 0, v8, s[0:1]
	v_perm_b32 v8, v22, v8, s36
	v_or_b32_e32 v22, 5, v31
	v_cmp_gt_i32_e64 s[0:1], s22, v22
	s_nop 1
	v_cndmask_b32_e64 v22, 0, v24, s[0:1]
	v_cmp_gt_i32_e64 s[0:1], s29, v23
	v_or_b32_e32 v23, 6, v31
	s_nop 0
	v_cndmask_b32_e64 v19, 0, v19, s[0:1]
	v_perm_b32 v19, v22, v19, s36
	v_or_b32_e32 v22, 7, v31
	v_cmp_gt_i32_e64 s[0:1], s22, v22
	s_nop 1
	v_cndmask_b32_e64 v18, 0, v18, s[0:1]
	v_cmp_gt_i32_e64 s[0:1], s29, v23
	s_nop 1
	v_cndmask_b32_e64 v20, 0, v20, s[0:1]
	v_perm_b32 v18, v18, v20, s36
	s_branch .LBB276_202
.LBB276_307:                            ;   in Loop: Header=BB276_204 Depth=1
	v_cmp_eq_u16_sdwa s[18:19], v24, s28 src0_sel:BYTE_0 src1_sel:DWORD
	s_mov_b64 s[0:1], -1
                                        ; implicit-def: $sgpr16
	s_and_saveexec_b64 s[12:13], s[18:19]
; %bb.308:                              ;   in Loop: Header=BB276_204 Depth=1
	s_mov_b32 s16, 0x7fc02000
	s_xor_b64 s[0:1], exec, -1
; %bb.309:                              ;   in Loop: Header=BB276_204 Depth=1
	s_or_b64 exec, exec, s[12:13]
	s_and_b64 s[0:1], s[0:1], exec
	s_or_saveexec_b64 s[2:3], s[2:3]
	v_mov_b32_e32 v26, s16
	s_xor_b64 exec, exec, s[2:3]
	s_cbranch_execz .LBB276_206
.LBB276_310:                            ;   in Loop: Header=BB276_204 Depth=1
	v_cmp_ne_u16_sdwa s[12:13], v24, v9 src0_sel:BYTE_0 src1_sel:DWORD
	s_andn2_b64 s[0:1], s[0:1], exec
	s_and_b64 s[12:13], s[12:13], exec
	v_mov_b32_e32 v26, 0
	s_or_b64 s[0:1], s[0:1], s[12:13]
	s_or_b64 exec, exec, s[2:3]
	s_and_saveexec_b64 s[2:3], s[0:1]
	s_cbranch_execnz .LBB276_207
	s_branch .LBB276_208
.LBB276_311:                            ;   in Loop: Header=BB276_204 Depth=1
	v_cmp_eq_u16_e64 s[0:1], s28, v8
	s_mov_b64 s[2:3], -1
                                        ; implicit-def: $sgpr18
	s_and_saveexec_b64 s[16:17], s[0:1]
; %bb.312:                              ;   in Loop: Header=BB276_204 Depth=1
	s_mov_b32 s18, 0x7fc02000
	s_xor_b64 s[2:3], exec, -1
; %bb.313:                              ;   in Loop: Header=BB276_204 Depth=1
	s_or_b64 exec, exec, s[16:17]
	s_and_b64 s[2:3], s[2:3], exec
	s_or_saveexec_b64 s[12:13], s[12:13]
	v_mov_b32_e32 v28, s18
	s_xor_b64 exec, exec, s[12:13]
	s_cbranch_execz .LBB276_210
.LBB276_314:                            ;   in Loop: Header=BB276_204 Depth=1
	v_cmp_ne_u16_e64 s[0:1], 0, v8
	s_andn2_b64 s[2:3], s[2:3], exec
	s_and_b64 s[0:1], s[0:1], exec
	v_mov_b32_e32 v28, 0
	s_or_b64 s[2:3], s[2:3], s[0:1]
	s_or_b64 exec, exec, s[12:13]
	s_and_saveexec_b64 s[12:13], s[2:3]
	s_cbranch_execnz .LBB276_211
	s_branch .LBB276_212
.LBB276_315:                            ;   in Loop: Header=BB276_204 Depth=1
	v_cmp_eq_u16_sdwa s[18:19], v8, s28 src0_sel:BYTE_0 src1_sel:DWORD
	s_mov_b64 s[0:1], -1
                                        ; implicit-def: $sgpr16
	s_and_saveexec_b64 s[12:13], s[18:19]
; %bb.316:                              ;   in Loop: Header=BB276_204 Depth=1
	s_mov_b32 s16, 0x7fc02000
	s_xor_b64 s[0:1], exec, -1
; %bb.317:                              ;   in Loop: Header=BB276_204 Depth=1
	s_or_b64 exec, exec, s[12:13]
	s_and_b64 s[0:1], s[0:1], exec
	s_or_saveexec_b64 s[2:3], s[2:3]
	v_mov_b32_e32 v27, s16
	s_xor_b64 exec, exec, s[2:3]
	s_cbranch_execz .LBB276_214
.LBB276_318:                            ;   in Loop: Header=BB276_204 Depth=1
	v_cmp_ne_u16_sdwa s[12:13], v8, v9 src0_sel:BYTE_0 src1_sel:DWORD
	s_andn2_b64 s[0:1], s[0:1], exec
	s_and_b64 s[12:13], s[12:13], exec
	v_mov_b32_e32 v27, 0
	s_or_b64 s[0:1], s[0:1], s[12:13]
	s_or_b64 exec, exec, s[2:3]
	s_and_saveexec_b64 s[2:3], s[0:1]
	s_cbranch_execnz .LBB276_215
	s_branch .LBB276_216
.LBB276_319:                            ;   in Loop: Header=BB276_204 Depth=1
	v_cmp_eq_u16_e64 s[0:1], s28, v8
	s_mov_b64 s[2:3], -1
                                        ; implicit-def: $sgpr18
	s_and_saveexec_b64 s[16:17], s[0:1]
; %bb.320:                              ;   in Loop: Header=BB276_204 Depth=1
	s_mov_b32 s18, 0x7fc02000
	s_xor_b64 s[2:3], exec, -1
; %bb.321:                              ;   in Loop: Header=BB276_204 Depth=1
	s_or_b64 exec, exec, s[16:17]
	s_and_b64 s[2:3], s[2:3], exec
	s_or_saveexec_b64 s[12:13], s[12:13]
	v_mov_b32_e32 v29, s18
	s_xor_b64 exec, exec, s[12:13]
	s_cbranch_execz .LBB276_218
.LBB276_322:                            ;   in Loop: Header=BB276_204 Depth=1
	v_cmp_ne_u16_e64 s[0:1], 0, v8
	s_andn2_b64 s[2:3], s[2:3], exec
	s_and_b64 s[0:1], s[0:1], exec
	v_mov_b32_e32 v29, 0
	s_or_b64 s[2:3], s[2:3], s[0:1]
	s_or_b64 exec, exec, s[12:13]
	s_and_saveexec_b64 s[12:13], s[2:3]
	s_cbranch_execnz .LBB276_219
	s_branch .LBB276_220
.LBB276_323:                            ;   in Loop: Header=BB276_204 Depth=1
	v_cmp_eq_u16_sdwa s[18:19], v25, s28 src0_sel:BYTE_0 src1_sel:DWORD
	s_mov_b64 s[0:1], -1
                                        ; implicit-def: $sgpr16
	s_and_saveexec_b64 s[12:13], s[18:19]
; %bb.324:                              ;   in Loop: Header=BB276_204 Depth=1
	s_mov_b32 s16, 0x7fc02000
	s_xor_b64 s[0:1], exec, -1
; %bb.325:                              ;   in Loop: Header=BB276_204 Depth=1
	s_or_b64 exec, exec, s[12:13]
	s_and_b64 s[0:1], s[0:1], exec
	s_or_saveexec_b64 s[2:3], s[2:3]
	v_mov_b32_e32 v24, s16
	s_xor_b64 exec, exec, s[2:3]
	s_cbranch_execz .LBB276_222
.LBB276_326:                            ;   in Loop: Header=BB276_204 Depth=1
	v_cmp_ne_u16_sdwa s[12:13], v25, v9 src0_sel:BYTE_0 src1_sel:DWORD
	s_andn2_b64 s[0:1], s[0:1], exec
	s_and_b64 s[12:13], s[12:13], exec
	v_mov_b32_e32 v24, 0
	s_or_b64 s[0:1], s[0:1], s[12:13]
	s_or_b64 exec, exec, s[2:3]
	v_mov_b32_e32 v8, v25
	s_and_saveexec_b64 s[2:3], s[0:1]
	s_cbranch_execnz .LBB276_223
	s_branch .LBB276_224
.LBB276_327:                            ;   in Loop: Header=BB276_204 Depth=1
	v_cmp_eq_u16_e64 s[0:1], s28, v8
	s_mov_b64 s[2:3], -1
                                        ; implicit-def: $sgpr18
	s_and_saveexec_b64 s[16:17], s[0:1]
; %bb.328:                              ;   in Loop: Header=BB276_204 Depth=1
	s_mov_b32 s18, 0x7fc02000
	s_xor_b64 s[2:3], exec, -1
; %bb.329:                              ;   in Loop: Header=BB276_204 Depth=1
	s_or_b64 exec, exec, s[16:17]
	s_and_b64 s[2:3], s[2:3], exec
	s_or_saveexec_b64 s[12:13], s[12:13]
	v_mov_b32_e32 v34, s18
	s_xor_b64 exec, exec, s[12:13]
	s_cbranch_execz .LBB276_226
.LBB276_330:                            ;   in Loop: Header=BB276_204 Depth=1
	v_cmp_ne_u16_e64 s[0:1], 0, v8
	s_andn2_b64 s[2:3], s[2:3], exec
	s_and_b64 s[0:1], s[0:1], exec
	v_mov_b32_e32 v34, 0
	s_or_b64 s[2:3], s[2:3], s[0:1]
	s_or_b64 exec, exec, s[12:13]
	s_and_saveexec_b64 s[12:13], s[2:3]
	s_cbranch_execnz .LBB276_227
	s_branch .LBB276_228
.LBB276_331:                            ;   in Loop: Header=BB276_204 Depth=1
	v_cmp_eq_u16_sdwa s[18:19], v8, s28 src0_sel:BYTE_0 src1_sel:DWORD
	s_mov_b64 s[0:1], -1
                                        ; implicit-def: $sgpr16
	s_and_saveexec_b64 s[12:13], s[18:19]
; %bb.332:                              ;   in Loop: Header=BB276_204 Depth=1
	s_mov_b32 s16, 0x7fc02000
	s_xor_b64 s[0:1], exec, -1
; %bb.333:                              ;   in Loop: Header=BB276_204 Depth=1
	s_or_b64 exec, exec, s[12:13]
	s_and_b64 s[0:1], s[0:1], exec
	s_or_saveexec_b64 s[2:3], s[2:3]
	v_mov_b32_e32 v41, s16
	s_xor_b64 exec, exec, s[2:3]
	s_cbranch_execz .LBB276_230
.LBB276_334:                            ;   in Loop: Header=BB276_204 Depth=1
	v_cmp_ne_u16_sdwa s[12:13], v8, v9 src0_sel:BYTE_0 src1_sel:DWORD
	s_andn2_b64 s[0:1], s[0:1], exec
	s_and_b64 s[12:13], s[12:13], exec
	v_mov_b32_e32 v41, 0
	s_or_b64 s[0:1], s[0:1], s[12:13]
	s_or_b64 exec, exec, s[2:3]
	s_and_saveexec_b64 s[2:3], s[0:1]
	s_cbranch_execnz .LBB276_231
	s_branch .LBB276_232
.LBB276_335:                            ;   in Loop: Header=BB276_204 Depth=1
	v_cmp_eq_u16_e64 s[0:1], s28, v8
	s_mov_b64 s[2:3], -1
                                        ; implicit-def: $sgpr18
	s_and_saveexec_b64 s[16:17], s[0:1]
; %bb.336:                              ;   in Loop: Header=BB276_204 Depth=1
	s_mov_b32 s18, 0x7fc02000
	s_xor_b64 s[2:3], exec, -1
; %bb.337:                              ;   in Loop: Header=BB276_204 Depth=1
	s_or_b64 exec, exec, s[16:17]
	s_and_b64 s[2:3], s[2:3], exec
	s_or_saveexec_b64 s[12:13], s[12:13]
	v_mov_b32_e32 v42, s18
	s_xor_b64 exec, exec, s[12:13]
	s_cbranch_execz .LBB276_234
.LBB276_338:                            ;   in Loop: Header=BB276_204 Depth=1
	v_cmp_ne_u16_e64 s[0:1], 0, v8
	s_andn2_b64 s[2:3], s[2:3], exec
	s_and_b64 s[0:1], s[0:1], exec
	v_mov_b32_e32 v42, 0
	s_or_b64 s[2:3], s[2:3], s[0:1]
	s_or_b64 exec, exec, s[12:13]
	s_and_saveexec_b64 s[12:13], s[2:3]
	s_cbranch_execnz .LBB276_235
	s_branch .LBB276_236
.LBB276_339:                            ;   in Loop: Header=BB276_204 Depth=1
	v_cmp_eq_u16_sdwa s[20:21], v24, s28 src0_sel:BYTE_0 src1_sel:DWORD
	s_mov_b64 s[2:3], -1
                                        ; implicit-def: $sgpr18
	s_and_saveexec_b64 s[16:17], s[20:21]
; %bb.340:                              ;   in Loop: Header=BB276_204 Depth=1
	s_mov_b32 s18, 0x7fc02000
	s_xor_b64 s[2:3], exec, -1
; %bb.341:                              ;   in Loop: Header=BB276_204 Depth=1
	s_or_b64 exec, exec, s[16:17]
	s_and_b64 s[2:3], s[2:3], exec
	s_or_saveexec_b64 s[12:13], s[12:13]
	v_mov_b32_e32 v20, s18
	s_xor_b64 exec, exec, s[12:13]
	s_cbranch_execz .LBB276_240
.LBB276_342:                            ;   in Loop: Header=BB276_204 Depth=1
	v_cmp_ne_u16_sdwa s[16:17], v24, v9 src0_sel:BYTE_0 src1_sel:DWORD
	s_andn2_b64 s[2:3], s[2:3], exec
	s_and_b64 s[16:17], s[16:17], exec
	v_mov_b32_e32 v20, 0
	s_or_b64 s[2:3], s[2:3], s[16:17]
	s_or_b64 exec, exec, s[12:13]
	s_and_saveexec_b64 s[12:13], s[2:3]
	s_cbranch_execnz .LBB276_241
	s_branch .LBB276_242
.LBB276_343:                            ;   in Loop: Header=BB276_204 Depth=1
	v_cmp_eq_u16_e64 s[2:3], s28, v8
	s_mov_b64 s[12:13], -1
                                        ; implicit-def: $sgpr20
	s_and_saveexec_b64 s[18:19], s[2:3]
; %bb.344:                              ;   in Loop: Header=BB276_204 Depth=1
	s_mov_b32 s20, 0x7fc02000
	s_xor_b64 s[12:13], exec, -1
; %bb.345:                              ;   in Loop: Header=BB276_204 Depth=1
	s_or_b64 exec, exec, s[18:19]
	s_and_b64 s[12:13], s[12:13], exec
	s_or_saveexec_b64 s[16:17], s[16:17]
	v_mov_b32_e32 v26, s20
	s_xor_b64 exec, exec, s[16:17]
	s_cbranch_execz .LBB276_244
.LBB276_346:                            ;   in Loop: Header=BB276_204 Depth=1
	v_cmp_ne_u16_e64 s[2:3], 0, v8
	s_andn2_b64 s[12:13], s[12:13], exec
	s_and_b64 s[2:3], s[2:3], exec
	v_mov_b32_e32 v26, 0
	s_or_b64 s[12:13], s[12:13], s[2:3]
	s_or_b64 exec, exec, s[16:17]
	s_and_saveexec_b64 s[16:17], s[12:13]
	s_cbranch_execnz .LBB276_245
	s_branch .LBB276_246
.LBB276_347:                            ;   in Loop: Header=BB276_204 Depth=1
	v_cmp_eq_u16_sdwa s[20:21], v8, s28 src0_sel:BYTE_0 src1_sel:DWORD
	s_mov_b64 s[2:3], -1
                                        ; implicit-def: $sgpr18
	s_and_saveexec_b64 s[16:17], s[20:21]
; %bb.348:                              ;   in Loop: Header=BB276_204 Depth=1
	s_mov_b32 s18, 0x7fc02000
	s_xor_b64 s[2:3], exec, -1
; %bb.349:                              ;   in Loop: Header=BB276_204 Depth=1
	s_or_b64 exec, exec, s[16:17]
	s_and_b64 s[2:3], s[2:3], exec
	s_or_saveexec_b64 s[12:13], s[12:13]
	v_mov_b32_e32 v21, s18
	s_xor_b64 exec, exec, s[12:13]
	s_cbranch_execz .LBB276_248
.LBB276_350:                            ;   in Loop: Header=BB276_204 Depth=1
	v_cmp_ne_u16_sdwa s[16:17], v8, v9 src0_sel:BYTE_0 src1_sel:DWORD
	s_andn2_b64 s[2:3], s[2:3], exec
	s_and_b64 s[16:17], s[16:17], exec
	v_mov_b32_e32 v21, 0
	s_or_b64 s[2:3], s[2:3], s[16:17]
	s_or_b64 exec, exec, s[12:13]
	s_and_saveexec_b64 s[12:13], s[2:3]
	s_cbranch_execnz .LBB276_249
	s_branch .LBB276_250
.LBB276_351:                            ;   in Loop: Header=BB276_204 Depth=1
	v_cmp_eq_u16_e64 s[2:3], s28, v8
	s_mov_b64 s[12:13], -1
                                        ; implicit-def: $sgpr20
	s_and_saveexec_b64 s[18:19], s[2:3]
; %bb.352:                              ;   in Loop: Header=BB276_204 Depth=1
	s_mov_b32 s20, 0x7fc02000
	s_xor_b64 s[12:13], exec, -1
; %bb.353:                              ;   in Loop: Header=BB276_204 Depth=1
	s_or_b64 exec, exec, s[18:19]
	s_and_b64 s[12:13], s[12:13], exec
	s_or_saveexec_b64 s[16:17], s[16:17]
	v_mov_b32_e32 v27, s20
	s_xor_b64 exec, exec, s[16:17]
	s_cbranch_execz .LBB276_252
.LBB276_354:                            ;   in Loop: Header=BB276_204 Depth=1
	v_cmp_ne_u16_e64 s[2:3], 0, v8
	s_andn2_b64 s[12:13], s[12:13], exec
	s_and_b64 s[2:3], s[2:3], exec
	v_mov_b32_e32 v27, 0
	s_or_b64 s[12:13], s[12:13], s[2:3]
	s_or_b64 exec, exec, s[16:17]
	s_and_saveexec_b64 s[16:17], s[12:13]
	s_cbranch_execnz .LBB276_253
	s_branch .LBB276_254
.LBB276_355:                            ;   in Loop: Header=BB276_204 Depth=1
	v_cmp_eq_u16_sdwa s[20:21], v25, s28 src0_sel:BYTE_0 src1_sel:DWORD
	s_mov_b64 s[2:3], -1
                                        ; implicit-def: $sgpr18
	s_and_saveexec_b64 s[16:17], s[20:21]
; %bb.356:                              ;   in Loop: Header=BB276_204 Depth=1
	s_mov_b32 s18, 0x7fc02000
	s_xor_b64 s[2:3], exec, -1
; %bb.357:                              ;   in Loop: Header=BB276_204 Depth=1
	s_or_b64 exec, exec, s[16:17]
	s_and_b64 s[2:3], s[2:3], exec
	s_or_saveexec_b64 s[12:13], s[12:13]
	v_mov_b32_e32 v24, s18
	s_xor_b64 exec, exec, s[12:13]
	s_cbranch_execz .LBB276_256
.LBB276_358:                            ;   in Loop: Header=BB276_204 Depth=1
	v_cmp_ne_u16_sdwa s[16:17], v25, v9 src0_sel:BYTE_0 src1_sel:DWORD
	s_andn2_b64 s[2:3], s[2:3], exec
	s_and_b64 s[16:17], s[16:17], exec
	v_mov_b32_e32 v24, 0
	s_or_b64 s[2:3], s[2:3], s[16:17]
	s_or_b64 exec, exec, s[12:13]
	v_mov_b32_e32 v8, v25
	s_and_saveexec_b64 s[12:13], s[2:3]
	s_cbranch_execnz .LBB276_257
	s_branch .LBB276_258
.LBB276_359:                            ;   in Loop: Header=BB276_204 Depth=1
	v_cmp_eq_u16_e64 s[2:3], s28, v8
	s_mov_b64 s[12:13], -1
                                        ; implicit-def: $sgpr20
	s_and_saveexec_b64 s[18:19], s[2:3]
; %bb.360:                              ;   in Loop: Header=BB276_204 Depth=1
	s_mov_b32 s20, 0x7fc02000
	s_xor_b64 s[12:13], exec, -1
; %bb.361:                              ;   in Loop: Header=BB276_204 Depth=1
	s_or_b64 exec, exec, s[18:19]
	s_and_b64 s[12:13], s[12:13], exec
	s_or_saveexec_b64 s[16:17], s[16:17]
	v_mov_b32_e32 v36, s20
	s_xor_b64 exec, exec, s[16:17]
	s_cbranch_execz .LBB276_260
.LBB276_362:                            ;   in Loop: Header=BB276_204 Depth=1
	v_cmp_ne_u16_e64 s[2:3], 0, v8
	s_andn2_b64 s[12:13], s[12:13], exec
	s_and_b64 s[2:3], s[2:3], exec
	v_mov_b32_e32 v36, 0
	s_or_b64 s[12:13], s[12:13], s[2:3]
	s_or_b64 exec, exec, s[16:17]
	s_and_saveexec_b64 s[16:17], s[12:13]
	s_cbranch_execnz .LBB276_261
	s_branch .LBB276_262
.LBB276_363:                            ;   in Loop: Header=BB276_204 Depth=1
	v_cmp_eq_u16_sdwa s[20:21], v8, s28 src0_sel:BYTE_0 src1_sel:DWORD
	s_mov_b64 s[2:3], -1
                                        ; implicit-def: $sgpr18
	s_and_saveexec_b64 s[16:17], s[20:21]
; %bb.364:                              ;   in Loop: Header=BB276_204 Depth=1
	s_mov_b32 s18, 0x7fc02000
	s_xor_b64 s[2:3], exec, -1
; %bb.365:                              ;   in Loop: Header=BB276_204 Depth=1
	s_or_b64 exec, exec, s[16:17]
	s_and_b64 s[2:3], s[2:3], exec
	s_or_saveexec_b64 s[12:13], s[12:13]
	v_mov_b32_e32 v37, s18
	s_xor_b64 exec, exec, s[12:13]
	s_cbranch_execz .LBB276_264
.LBB276_366:                            ;   in Loop: Header=BB276_204 Depth=1
	v_cmp_ne_u16_sdwa s[16:17], v8, v9 src0_sel:BYTE_0 src1_sel:DWORD
	s_andn2_b64 s[2:3], s[2:3], exec
	s_and_b64 s[16:17], s[16:17], exec
	v_mov_b32_e32 v37, 0
	s_or_b64 s[2:3], s[2:3], s[16:17]
	s_or_b64 exec, exec, s[12:13]
	s_and_saveexec_b64 s[12:13], s[2:3]
	s_cbranch_execnz .LBB276_265
	s_branch .LBB276_266
.LBB276_367:                            ;   in Loop: Header=BB276_204 Depth=1
	v_cmp_eq_u16_e64 s[2:3], s28, v8
	s_mov_b64 s[12:13], -1
                                        ; implicit-def: $sgpr20
	s_and_saveexec_b64 s[18:19], s[2:3]
; %bb.368:                              ;   in Loop: Header=BB276_204 Depth=1
	s_mov_b32 s20, 0x7fc02000
	s_xor_b64 s[12:13], exec, -1
; %bb.369:                              ;   in Loop: Header=BB276_204 Depth=1
	s_or_b64 exec, exec, s[18:19]
	s_and_b64 s[12:13], s[12:13], exec
	s_or_saveexec_b64 s[16:17], s[16:17]
	v_mov_b32_e32 v38, s20
	s_xor_b64 exec, exec, s[16:17]
	s_cbranch_execz .LBB276_268
.LBB276_370:                            ;   in Loop: Header=BB276_204 Depth=1
	v_cmp_ne_u16_e64 s[2:3], 0, v8
	s_andn2_b64 s[12:13], s[12:13], exec
	s_and_b64 s[2:3], s[2:3], exec
	v_mov_b32_e32 v38, 0
	s_or_b64 s[12:13], s[12:13], s[2:3]
	s_or_b64 exec, exec, s[16:17]
	s_and_saveexec_b64 s[16:17], s[12:13]
	s_cbranch_execnz .LBB276_269
	s_branch .LBB276_270
.LBB276_371:                            ;   in Loop: Header=BB276_204 Depth=1
	v_cmp_eq_u16_sdwa s[38:39], v20, s28 src0_sel:BYTE_0 src1_sel:DWORD
	s_mov_b64 s[2:3], -1
                                        ; implicit-def: $sgpr20
	s_and_saveexec_b64 s[18:19], s[38:39]
; %bb.372:                              ;   in Loop: Header=BB276_204 Depth=1
	s_mov_b32 s20, 0x7fc02000
	s_xor_b64 s[2:3], exec, -1
; %bb.373:                              ;   in Loop: Header=BB276_204 Depth=1
	s_or_b64 exec, exec, s[18:19]
	s_and_b64 s[2:3], s[2:3], exec
	s_or_saveexec_b64 s[16:17], s[16:17]
	v_mov_b32_e32 v22, s20
	s_xor_b64 exec, exec, s[16:17]
	s_cbranch_execz .LBB276_275
.LBB276_374:                            ;   in Loop: Header=BB276_204 Depth=1
	v_cmp_ne_u16_sdwa s[18:19], v20, v9 src0_sel:BYTE_0 src1_sel:DWORD
	s_andn2_b64 s[2:3], s[2:3], exec
	s_and_b64 s[18:19], s[18:19], exec
	v_mov_b32_e32 v22, 0
	s_or_b64 s[2:3], s[2:3], s[18:19]
	s_or_b64 exec, exec, s[16:17]
	s_and_saveexec_b64 s[16:17], s[2:3]
	s_cbranch_execnz .LBB276_276
	s_branch .LBB276_277
.LBB276_375:                            ;   in Loop: Header=BB276_204 Depth=1
	v_cmp_eq_u16_e64 s[2:3], s28, v8
	s_mov_b64 s[16:17], -1
                                        ; implicit-def: $sgpr37
	s_and_saveexec_b64 s[20:21], s[2:3]
; %bb.376:                              ;   in Loop: Header=BB276_204 Depth=1
	s_mov_b32 s37, 0x7fc02000
	s_xor_b64 s[16:17], exec, -1
; %bb.377:                              ;   in Loop: Header=BB276_204 Depth=1
	s_or_b64 exec, exec, s[20:21]
	s_and_b64 s[16:17], s[16:17], exec
	s_or_saveexec_b64 s[18:19], s[18:19]
	v_mov_b32_e32 v24, s37
	s_xor_b64 exec, exec, s[18:19]
	s_cbranch_execz .LBB276_279
.LBB276_378:                            ;   in Loop: Header=BB276_204 Depth=1
	v_cmp_ne_u16_e64 s[2:3], 0, v8
	s_andn2_b64 s[16:17], s[16:17], exec
	s_and_b64 s[2:3], s[2:3], exec
	v_mov_b32_e32 v24, 0
	s_or_b64 s[16:17], s[16:17], s[2:3]
	s_or_b64 exec, exec, s[18:19]
	s_and_saveexec_b64 s[18:19], s[16:17]
	s_cbranch_execnz .LBB276_280
	s_branch .LBB276_281
.LBB276_379:                            ;   in Loop: Header=BB276_204 Depth=1
	v_cmp_eq_u16_sdwa s[38:39], v8, s28 src0_sel:BYTE_0 src1_sel:DWORD
	s_mov_b64 s[2:3], -1
                                        ; implicit-def: $sgpr20
	s_and_saveexec_b64 s[18:19], s[38:39]
; %bb.380:                              ;   in Loop: Header=BB276_204 Depth=1
	s_mov_b32 s20, 0x7fc02000
	s_xor_b64 s[2:3], exec, -1
; %bb.381:                              ;   in Loop: Header=BB276_204 Depth=1
	s_or_b64 exec, exec, s[18:19]
	s_and_b64 s[2:3], s[2:3], exec
	s_or_saveexec_b64 s[16:17], s[16:17]
	v_mov_b32_e32 v23, s20
	s_xor_b64 exec, exec, s[16:17]
	s_cbranch_execz .LBB276_283
.LBB276_382:                            ;   in Loop: Header=BB276_204 Depth=1
	v_cmp_ne_u16_sdwa s[18:19], v8, v9 src0_sel:BYTE_0 src1_sel:DWORD
	s_andn2_b64 s[2:3], s[2:3], exec
	s_and_b64 s[18:19], s[18:19], exec
	v_mov_b32_e32 v23, 0
	s_or_b64 s[2:3], s[2:3], s[18:19]
	s_or_b64 exec, exec, s[16:17]
	s_and_saveexec_b64 s[16:17], s[2:3]
	s_cbranch_execnz .LBB276_284
	s_branch .LBB276_285
.LBB276_383:                            ;   in Loop: Header=BB276_204 Depth=1
	v_cmp_eq_u16_e64 s[2:3], s28, v8
	s_mov_b64 s[16:17], -1
                                        ; implicit-def: $sgpr37
	s_and_saveexec_b64 s[20:21], s[2:3]
; %bb.384:                              ;   in Loop: Header=BB276_204 Depth=1
	s_mov_b32 s37, 0x7fc02000
	s_xor_b64 s[16:17], exec, -1
; %bb.385:                              ;   in Loop: Header=BB276_204 Depth=1
	s_or_b64 exec, exec, s[20:21]
	s_and_b64 s[16:17], s[16:17], exec
	s_or_saveexec_b64 s[18:19], s[18:19]
	v_mov_b32_e32 v25, s37
	s_xor_b64 exec, exec, s[18:19]
	s_cbranch_execz .LBB276_287
.LBB276_386:                            ;   in Loop: Header=BB276_204 Depth=1
	v_cmp_ne_u16_e64 s[2:3], 0, v8
	s_andn2_b64 s[16:17], s[16:17], exec
	s_and_b64 s[2:3], s[2:3], exec
	v_mov_b32_e32 v25, 0
	s_or_b64 s[16:17], s[16:17], s[2:3]
	s_or_b64 exec, exec, s[18:19]
	s_and_saveexec_b64 s[18:19], s[16:17]
	s_cbranch_execnz .LBB276_288
	s_branch .LBB276_289
.LBB276_387:                            ;   in Loop: Header=BB276_204 Depth=1
	v_cmp_eq_u16_sdwa s[38:39], v21, s28 src0_sel:BYTE_0 src1_sel:DWORD
	s_mov_b64 s[2:3], -1
                                        ; implicit-def: $sgpr20
	s_and_saveexec_b64 s[18:19], s[38:39]
; %bb.388:                              ;   in Loop: Header=BB276_204 Depth=1
	s_mov_b32 s20, 0x7fc02000
	s_xor_b64 s[2:3], exec, -1
; %bb.389:                              ;   in Loop: Header=BB276_204 Depth=1
	s_or_b64 exec, exec, s[18:19]
	s_and_b64 s[2:3], s[2:3], exec
	s_or_saveexec_b64 s[16:17], s[16:17]
	v_mov_b32_e32 v19, s20
	s_xor_b64 exec, exec, s[16:17]
	s_cbranch_execz .LBB276_291
.LBB276_390:                            ;   in Loop: Header=BB276_204 Depth=1
	v_cmp_ne_u16_sdwa s[18:19], v21, v9 src0_sel:BYTE_0 src1_sel:DWORD
	s_andn2_b64 s[2:3], s[2:3], exec
	s_and_b64 s[18:19], s[18:19], exec
	v_mov_b32_e32 v19, 0
	s_or_b64 s[2:3], s[2:3], s[18:19]
	s_or_b64 exec, exec, s[16:17]
	v_mov_b32_e32 v8, v21
	s_and_saveexec_b64 s[16:17], s[2:3]
	s_cbranch_execnz .LBB276_292
	s_branch .LBB276_293
.LBB276_391:                            ;   in Loop: Header=BB276_204 Depth=1
	v_cmp_eq_u16_e64 s[2:3], s28, v8
	s_mov_b64 s[16:17], -1
                                        ; implicit-def: $sgpr37
	s_and_saveexec_b64 s[20:21], s[2:3]
; %bb.392:                              ;   in Loop: Header=BB276_204 Depth=1
	s_mov_b32 s37, 0x7fc02000
	s_xor_b64 s[16:17], exec, -1
; %bb.393:                              ;   in Loop: Header=BB276_204 Depth=1
	s_or_b64 exec, exec, s[20:21]
	s_and_b64 s[16:17], s[16:17], exec
	s_or_saveexec_b64 s[18:19], s[18:19]
	v_mov_b32_e32 v20, s37
	s_xor_b64 exec, exec, s[18:19]
	s_cbranch_execz .LBB276_295
.LBB276_394:                            ;   in Loop: Header=BB276_204 Depth=1
	v_cmp_ne_u16_e64 s[2:3], 0, v8
	s_andn2_b64 s[16:17], s[16:17], exec
	s_and_b64 s[2:3], s[2:3], exec
	v_mov_b32_e32 v20, 0
	s_or_b64 s[16:17], s[16:17], s[2:3]
	s_or_b64 exec, exec, s[18:19]
	s_and_saveexec_b64 s[18:19], s[16:17]
	s_cbranch_execnz .LBB276_296
	s_branch .LBB276_297
.LBB276_395:                            ;   in Loop: Header=BB276_204 Depth=1
	v_cmp_eq_u16_sdwa s[38:39], v8, s28 src0_sel:BYTE_0 src1_sel:DWORD
	s_mov_b64 s[2:3], -1
                                        ; implicit-def: $sgpr20
	s_and_saveexec_b64 s[18:19], s[38:39]
; %bb.396:                              ;   in Loop: Header=BB276_204 Depth=1
	s_mov_b32 s20, 0x7fc02000
	s_xor_b64 s[2:3], exec, -1
; %bb.397:                              ;   in Loop: Header=BB276_204 Depth=1
	s_or_b64 exec, exec, s[18:19]
	s_and_b64 s[2:3], s[2:3], exec
	s_or_saveexec_b64 s[16:17], s[16:17]
	v_mov_b32_e32 v26, s20
	s_xor_b64 exec, exec, s[16:17]
	s_cbranch_execz .LBB276_299
.LBB276_398:                            ;   in Loop: Header=BB276_204 Depth=1
	v_cmp_ne_u16_sdwa s[18:19], v8, v9 src0_sel:BYTE_0 src1_sel:DWORD
	s_andn2_b64 s[2:3], s[2:3], exec
	s_and_b64 s[18:19], s[18:19], exec
	v_mov_b32_e32 v26, 0
	s_or_b64 s[2:3], s[2:3], s[18:19]
	s_or_b64 exec, exec, s[16:17]
	s_and_saveexec_b64 s[16:17], s[2:3]
	s_cbranch_execnz .LBB276_300
	s_branch .LBB276_301
.LBB276_399:                            ;   in Loop: Header=BB276_204 Depth=1
	v_cmp_eq_u16_e64 s[2:3], s28, v8
	s_mov_b64 s[16:17], -1
                                        ; implicit-def: $sgpr37
	s_and_saveexec_b64 s[20:21], s[2:3]
; %bb.400:                              ;   in Loop: Header=BB276_204 Depth=1
	s_mov_b32 s37, 0x7fc02000
	s_xor_b64 s[16:17], exec, -1
; %bb.401:                              ;   in Loop: Header=BB276_204 Depth=1
	s_or_b64 exec, exec, s[20:21]
	s_and_b64 s[16:17], s[16:17], exec
	s_or_saveexec_b64 s[18:19], s[18:19]
	v_mov_b32_e32 v27, s37
	s_xor_b64 exec, exec, s[18:19]
	s_cbranch_execz .LBB276_303
.LBB276_402:                            ;   in Loop: Header=BB276_204 Depth=1
	v_cmp_ne_u16_e64 s[2:3], 0, v8
	s_andn2_b64 s[16:17], s[16:17], exec
	s_and_b64 s[2:3], s[2:3], exec
	v_mov_b32_e32 v27, 0
	s_or_b64 s[16:17], s[16:17], s[2:3]
	s_or_b64 exec, exec, s[18:19]
	s_and_saveexec_b64 s[18:19], s[16:17]
	s_cbranch_execnz .LBB276_304
	s_branch .LBB276_305
.LBB276_403:
	s_or_b64 exec, exec, s[8:9]
.LBB276_404:
	s_or_b64 exec, exec, s[10:11]
	ds_bpermute_b32 v4, v1, v12
	ds_bpermute_b32 v5, v1, v13
	;; [unrolled: 1-line block ×3, first 2 shown]
	s_waitcnt lgkmcnt(0)
	s_barrier
	v_pk_add_f32 v[4:5], v[12:13], v[4:5]
	v_add_f32_e32 v1, v2, v1
	v_and_b32_e32 v2, 0x3c0, v0
	v_cmp_eq_u32_e32 vcc, 64, v2
	s_and_saveexec_b64 s[2:3], vcc
	s_cbranch_execz .LBB276_409
; %bb.405:
	v_cmp_eq_u32_e32 vcc, 0, v3
	s_and_saveexec_b64 s[0:1], vcc
	s_cbranch_execz .LBB276_407
; %bb.406:
	v_mov_b32_e32 v2, 0xb0
	v_lshl_add_u32 v2, v30, 2, v2
	ds_write2_b32 v2, v4, v5 offset1:32
.LBB276_407:
	s_or_b64 exec, exec, s[0:1]
	v_or_b32_e32 v2, 64, v30
	s_movk_i32 s0, 0x50
	v_cmp_gt_u32_e64 s[0:1], s0, v2
	s_and_b64 s[0:1], vcc, s[0:1]
	s_and_b64 exec, exec, s[0:1]
	s_cbranch_execz .LBB276_409
; %bb.408:
	v_mov_b32_e32 v2, 0xb0
	v_lshl_add_u32 v2, v30, 2, v2
	ds_write_b32 v2, v1 offset:256
.LBB276_409:
	s_or_b64 exec, exec, s[2:3]
	v_cmp_gt_u32_e32 vcc, 64, v0
	v_lshrrev_b32_e32 v0, 1, v0
	s_waitcnt lgkmcnt(0)
	s_barrier
	s_and_saveexec_b64 s[8:9], vcc
	s_cbranch_execz .LBB276_417
; %bb.410:
	v_cmp_eq_u32_e64 s[0:1], 0, v3
	s_and_saveexec_b64 s[2:3], s[0:1]
	s_cbranch_execz .LBB276_412
; %bb.411:
	v_mov_b32_e32 v2, 0xb0
	v_lshl_add_u32 v2, v0, 2, v2
	ds_read_b32 v2, v2
	s_waitcnt lgkmcnt(0)
	v_add_f32_e32 v4, v4, v2
.LBB276_412:
	s_or_b64 exec, exec, s[2:3]
	s_and_saveexec_b64 s[2:3], s[0:1]
	s_cbranch_execz .LBB276_414
; %bb.413:
	v_mov_b32_e32 v2, 0xb0
	v_lshl_add_u32 v2, v0, 2, v2
	ds_read_b32 v2, v2 offset:128
	s_waitcnt lgkmcnt(0)
	v_add_f32_e32 v5, v5, v2
.LBB276_414:
	s_or_b64 exec, exec, s[2:3]
	v_or_b32_e32 v2, 64, v0
	s_movk_i32 s2, 0x50
	v_cmp_gt_u32_e64 s[2:3], s2, v2
	s_and_b64 s[2:3], s[0:1], s[2:3]
	s_and_saveexec_b64 s[0:1], s[2:3]
	s_cbranch_execz .LBB276_416
; %bb.415:
	v_mov_b32_e32 v2, 0xb0
	v_lshl_add_u32 v2, v0, 2, v2
	ds_read_b32 v2, v2 offset:256
	s_waitcnt lgkmcnt(0)
	v_add_f32_e32 v1, v1, v2
.LBB276_416:
	s_or_b64 exec, exec, s[0:1]
.LBB276_417:
	s_or_b64 exec, exec, s[8:9]
	s_barrier
	s_and_saveexec_b64 s[0:1], vcc
	s_cbranch_execz .LBB276_422
; %bb.418:
	s_mul_i32 s0, s6, 0x50
	s_ashr_i32 s1, s0, 31
	s_lshl_b64 s[0:1], s[0:1], 1
	s_add_u32 s2, s26, s0
	s_mul_i32 s0, s25, s24
	s_addc_u32 s3, s27, s1
	s_ashr_i32 s1, s0, 31
	s_lshl_b64 s[0:1], s[0:1], 1
	s_add_u32 s2, s2, s0
	s_mul_i32 s0, s4, 0x50
	s_addc_u32 s3, s3, s1
	s_ashr_i32 s1, s0, 31
	s_lshl_b64 s[0:1], s[0:1], 1
	s_add_u32 s2, s2, s0
	s_movk_i32 s5, 0x50
	s_addc_u32 s3, s3, s1
	v_cmp_eq_u32_e32 vcc, 0, v3
	v_lshlrev_b32_e32 v2, 1, v0
	s_and_saveexec_b64 s[0:1], vcc
	s_cbranch_execz .LBB276_420
; %bb.419:
	;;#ASMSTART
	v_cvt_f16_f32 v3, v4;

	;;#ASMEND
	global_store_short v2, v3, s[2:3]
	;;#ASMSTART
	v_cvt_f16_f32 v3, v5;

	;;#ASMEND
	global_store_short v2, v3, s[2:3] offset:64
.LBB276_420:
	s_or_b64 exec, exec, s[0:1]
	v_or_b32_e32 v0, 64, v0
	v_cmp_gt_u32_e64 s[0:1], s5, v0
	s_and_b64 s[0:1], vcc, s[0:1]
	s_and_b64 exec, exec, s[0:1]
	s_cbranch_execz .LBB276_422
; %bb.421:
	;;#ASMSTART
	v_cvt_f16_f32 v0, v1;

	;;#ASMEND
	global_store_short v2, v0, s[2:3] offset:128
.LBB276_422:
	s_endpgm
	.section	.rodata,"a",@progbits
	.p2align	6, 0x0
	.amdhsa_kernel _ZN4vllm25paged_attention_v2_kernelIthLi80ELi16ELi128ELNS_18Fp8KVCacheDataTypeE1ELb0ELi512EEEvPfS2_PT_PKS3_PKT0_S9_ifPKiSB_iPKfiiiSD_SD_iiiii
		.amdhsa_group_segment_fixed_size 176
		.amdhsa_private_segment_fixed_size 0
		.amdhsa_kernarg_size 400
		.amdhsa_user_sgpr_count 2
		.amdhsa_user_sgpr_dispatch_ptr 0
		.amdhsa_user_sgpr_queue_ptr 0
		.amdhsa_user_sgpr_kernarg_segment_ptr 1
		.amdhsa_user_sgpr_dispatch_id 0
		.amdhsa_user_sgpr_kernarg_preload_length 0
		.amdhsa_user_sgpr_kernarg_preload_offset 0
		.amdhsa_user_sgpr_private_segment_size 0
		.amdhsa_uses_dynamic_stack 0
		.amdhsa_enable_private_segment 0
		.amdhsa_system_sgpr_workgroup_id_x 1
		.amdhsa_system_sgpr_workgroup_id_y 1
		.amdhsa_system_sgpr_workgroup_id_z 1
		.amdhsa_system_sgpr_workgroup_info 0
		.amdhsa_system_vgpr_workitem_id 0
		.amdhsa_next_free_vgpr 51
		.amdhsa_next_free_sgpr 56
		.amdhsa_accum_offset 52
		.amdhsa_reserve_vcc 1
		.amdhsa_float_round_mode_32 0
		.amdhsa_float_round_mode_16_64 0
		.amdhsa_float_denorm_mode_32 3
		.amdhsa_float_denorm_mode_16_64 3
		.amdhsa_dx10_clamp 1
		.amdhsa_ieee_mode 1
		.amdhsa_fp16_overflow 0
		.amdhsa_tg_split 0
		.amdhsa_exception_fp_ieee_invalid_op 0
		.amdhsa_exception_fp_denorm_src 0
		.amdhsa_exception_fp_ieee_div_zero 0
		.amdhsa_exception_fp_ieee_overflow 0
		.amdhsa_exception_fp_ieee_underflow 0
		.amdhsa_exception_fp_ieee_inexact 0
		.amdhsa_exception_int_div_zero 0
	.end_amdhsa_kernel
	.section	.text._ZN4vllm25paged_attention_v2_kernelIthLi80ELi16ELi128ELNS_18Fp8KVCacheDataTypeE1ELb0ELi512EEEvPfS2_PT_PKS3_PKT0_S9_ifPKiSB_iPKfiiiSD_SD_iiiii,"axG",@progbits,_ZN4vllm25paged_attention_v2_kernelIthLi80ELi16ELi128ELNS_18Fp8KVCacheDataTypeE1ELb0ELi512EEEvPfS2_PT_PKS3_PKT0_S9_ifPKiSB_iPKfiiiSD_SD_iiiii,comdat
.Lfunc_end276:
	.size	_ZN4vllm25paged_attention_v2_kernelIthLi80ELi16ELi128ELNS_18Fp8KVCacheDataTypeE1ELb0ELi512EEEvPfS2_PT_PKS3_PKT0_S9_ifPKiSB_iPKfiiiSD_SD_iiiii, .Lfunc_end276-_ZN4vllm25paged_attention_v2_kernelIthLi80ELi16ELi128ELNS_18Fp8KVCacheDataTypeE1ELb0ELi512EEEvPfS2_PT_PKS3_PKT0_S9_ifPKiSB_iPKfiiiSD_SD_iiiii
                                        ; -- End function
	.section	.AMDGPU.csdata,"",@progbits
; Kernel info:
; codeLenInByte = 17304
; NumSgprs: 62
; NumVgprs: 51
; NumAgprs: 0
; TotalNumVgprs: 51
; ScratchSize: 0
; MemoryBound: 0
; FloatMode: 240
; IeeeMode: 1
; LDSByteSize: 176 bytes/workgroup (compile time only)
; SGPRBlocks: 7
; VGPRBlocks: 6
; NumSGPRsForWavesPerEU: 62
; NumVGPRsForWavesPerEU: 51
; AccumOffset: 52
; Occupancy: 8
; WaveLimiterHint : 1
; COMPUTE_PGM_RSRC2:SCRATCH_EN: 0
; COMPUTE_PGM_RSRC2:USER_SGPR: 2
; COMPUTE_PGM_RSRC2:TRAP_HANDLER: 0
; COMPUTE_PGM_RSRC2:TGID_X_EN: 1
; COMPUTE_PGM_RSRC2:TGID_Y_EN: 1
; COMPUTE_PGM_RSRC2:TGID_Z_EN: 1
; COMPUTE_PGM_RSRC2:TIDIG_COMP_CNT: 0
; COMPUTE_PGM_RSRC3_GFX90A:ACCUM_OFFSET: 12
; COMPUTE_PGM_RSRC3_GFX90A:TG_SPLIT: 0
	.section	.text._ZN4vllm25paged_attention_v2_kernelIthLi96ELi16ELi128ELNS_18Fp8KVCacheDataTypeE1ELb0ELi512EEEvPfS2_PT_PKS3_PKT0_S9_ifPKiSB_iPKfiiiSD_SD_iiiii,"axG",@progbits,_ZN4vllm25paged_attention_v2_kernelIthLi96ELi16ELi128ELNS_18Fp8KVCacheDataTypeE1ELb0ELi512EEEvPfS2_PT_PKS3_PKT0_S9_ifPKiSB_iPKfiiiSD_SD_iiiii,comdat
	.protected	_ZN4vllm25paged_attention_v2_kernelIthLi96ELi16ELi128ELNS_18Fp8KVCacheDataTypeE1ELb0ELi512EEEvPfS2_PT_PKS3_PKT0_S9_ifPKiSB_iPKfiiiSD_SD_iiiii ; -- Begin function _ZN4vllm25paged_attention_v2_kernelIthLi96ELi16ELi128ELNS_18Fp8KVCacheDataTypeE1ELb0ELi512EEEvPfS2_PT_PKS3_PKT0_S9_ifPKiSB_iPKfiiiSD_SD_iiiii
	.globl	_ZN4vllm25paged_attention_v2_kernelIthLi96ELi16ELi128ELNS_18Fp8KVCacheDataTypeE1ELb0ELi512EEEvPfS2_PT_PKS3_PKT0_S9_ifPKiSB_iPKfiiiSD_SD_iiiii
	.p2align	8
	.type	_ZN4vllm25paged_attention_v2_kernelIthLi96ELi16ELi128ELNS_18Fp8KVCacheDataTypeE1ELb0ELi512EEEvPfS2_PT_PKS3_PKT0_S9_ifPKiSB_iPKfiiiSD_SD_iiiii,@function
_ZN4vllm25paged_attention_v2_kernelIthLi96ELi16ELi128ELNS_18Fp8KVCacheDataTypeE1ELb0ELi512EEEvPfS2_PT_PKS3_PKT0_S9_ifPKiSB_iPKfiiiSD_SD_iiiii: ; @_ZN4vllm25paged_attention_v2_kernelIthLi96ELi16ELi128ELNS_18Fp8KVCacheDataTypeE1ELb0ELi512EEEvPfS2_PT_PKS3_PKT0_S9_ifPKiSB_iPKfiiiSD_SD_iiiii
; %bb.0:
	s_load_dwordx2 s[6:7], s[0:1], 0x40
	s_mov_b32 s28, s3
	s_ashr_i32 s29, s3, 31
	s_lshl_b64 s[8:9], s[28:29], 2
	s_waitcnt lgkmcnt(0)
	s_add_u32 s6, s6, s8
	s_addc_u32 s7, s7, s9
	s_load_dword s29, s[6:7], 0x0
	s_lshl_b32 s46, s4, 9
	s_waitcnt lgkmcnt(0)
	s_cmp_ge_i32 s46, s29
	s_cbranch_scc1 .LBB277_444
; %bb.1:
	s_load_dword s5, s[0:1], 0x90
	s_load_dwordx2 s[10:11], s[0:1], 0x30
	s_waitcnt lgkmcnt(0)
	s_abs_i32 s7, s5
	s_abs_i32 s3, s10
	v_cvt_f32_u32_e32 v1, s3
	s_sub_i32 s8, 0, s3
	s_xor_b32 s6, s5, s10
	s_ashr_i32 s6, s6, 31
	v_rcp_iflag_f32_e32 v1, v1
	s_nop 0
	v_mul_f32_e32 v1, 0x4f7ffffe, v1
	v_cvt_u32_f32_e32 v1, v1
	s_nop 0
	v_readfirstlane_b32 s9, v1
	s_mul_i32 s8, s8, s9
	s_mul_hi_u32 s8, s9, s8
	s_add_i32 s9, s9, s8
	s_mul_hi_u32 s8, s7, s9
	s_mul_i32 s9, s8, s3
	s_sub_i32 s7, s7, s9
	s_add_i32 s10, s8, 1
	s_sub_i32 s9, s7, s3
	s_cmp_ge_u32 s7, s3
	s_cselect_b32 s8, s10, s8
	s_cselect_b32 s7, s9, s7
	s_add_i32 s9, s8, 1
	s_cmp_ge_u32 s7, s3
	s_cselect_b32 s3, s9, s8
	s_xor_b32 s3, s3, s6
	s_sub_i32 s14, s3, s6
	s_abs_i32 s8, s14
	v_cvt_f32_u32_e32 v1, s8
	s_load_dwordx2 s[6:7], s[0:1], 0x50
	s_sub_i32 s3, 0, s8
	s_abs_i32 s9, s2
	v_rcp_iflag_f32_e32 v1, v1
	s_mov_b32 s10, 0
	v_mul_f32_e32 v1, 0x4f7ffffe, v1
	v_cvt_u32_f32_e32 v1, v1
	s_nop 0
	v_readfirstlane_b32 s12, v1
	s_mul_i32 s3, s3, s12
	s_mul_hi_u32 s3, s12, s3
	s_add_i32 s12, s12, s3
	s_waitcnt lgkmcnt(0)
	s_cmp_eq_u64 s[6:7], 0
	s_mul_hi_u32 s12, s9, s12
	s_cbranch_scc1 .LBB277_3
; %bb.2:
	s_ashr_i32 s3, s2, 31
	s_lshl_b64 s[16:17], s[2:3], 2
	s_add_u32 s6, s6, s16
	s_addc_u32 s7, s7, s17
	s_load_dword s10, s[6:7], 0x0
.LBB277_3:
	s_load_dwordx4 s[16:19], s[0:1], 0x58
	s_ashr_i32 s13, s2, 31
	s_ashr_i32 s14, s14, 31
	v_and_b32_e32 v9, 3, v0
	s_mul_i32 s24, s2, 0x60
	v_cmp_gt_u32_e32 vcc, 48, v0
	s_and_saveexec_b64 s[6:7], vcc
	s_cbranch_execz .LBB277_5
; %bb.4:
	s_load_dwordx2 s[20:21], s[0:1], 0x18
	s_waitcnt lgkmcnt(0)
	s_mul_i32 s22, s28, s16
	s_ashr_i32 s23, s22, 31
	s_lshl_b64 s[22:23], s[22:23], 1
	v_lshlrev_b32_e32 v1, 2, v0
	s_add_u32 s3, s20, s22
	s_addc_u32 s15, s21, s23
	s_ashr_i32 s25, s24, 31
	s_lshl_b64 s[20:21], s[24:25], 1
	s_add_u32 s20, s3, s20
	s_addc_u32 s21, s15, s21
	global_load_dword v1, v1, s[20:21]
	v_and_b32_e32 v2, 0x3fc, v0
	v_mad_u32_u24 v2, v9, 48, v2
	s_waitcnt vmcnt(0)
	ds_write_b32 v2, v1
.LBB277_5:
	s_or_b64 exec, exec, s[6:7]
	s_add_i32 s3, s29, 15
	s_ashr_i32 s6, s3, 31
	s_lshr_b32 s6, s6, 28
	s_add_i32 s3, s3, s6
	s_waitcnt lgkmcnt(0)
	s_ashr_i32 s16, s3, 4
	s_lshl_b32 s3, s4, 5
	s_mul_i32 s7, s12, s8
	s_add_i32 s6, s3, 32
	s_sub_i32 s7, s9, s7
	s_min_i32 s33, s6, s16
	s_xor_b32 s6, s13, s14
	s_add_i32 s9, s12, 1
	s_sub_i32 s13, s7, s8
	s_cmp_ge_u32 s7, s8
	s_cselect_b32 s9, s9, s12
	s_cselect_b32 s7, s13, s7
	s_add_i32 s12, s9, 1
	s_cmp_ge_u32 s7, s8
	s_load_dwordx2 s[30:31], s[0:1], 0x38
	s_load_dword s8, s[0:1], 0x48
	v_lshrrev_b32_e32 v1, 6, v0
	s_cselect_b32 s7, s12, s9
	s_xor_b32 s7, s7, s6
	v_or_b32_e32 v2, s3, v1
	s_waitcnt lgkmcnt(0)
	s_mul_i32 s34, s28, s8
	s_sub_i32 s47, s7, s6
	s_ashr_i32 s35, s34, 31
	v_cmp_gt_i32_e64 s[8:9], s33, v2
	v_cmp_le_i32_e32 vcc, s33, v2
	v_mbcnt_lo_u32_b32 v12, -1, 0
	s_barrier
	s_waitcnt lgkmcnt(0)
                                        ; implicit-def: $sgpr19
                                        ; implicit-def: $vgpr16
                                        ; implicit-def: $vgpr4
	s_and_saveexec_b64 s[6:7], vcc
	s_xor_b64 s[6:7], exec, s[6:7]
; %bb.6:
	v_mbcnt_hi_u32_b32 v16, -1, v12
	v_and_b32_e32 v3, 64, v16
	v_add_u32_e32 v4, 64, v3
	s_mov_b32 s19, 0xff7fffff
                                        ; implicit-def: $vgpr9
                                        ; implicit-def: $vgpr12
; %bb.7:
	s_or_saveexec_b64 s[38:39], s[6:7]
	s_load_dwordx4 s[20:23], s[0:1], 0x0
	s_load_dwordx2 s[26:27], s[0:1], 0x10
	s_load_dword s25, s[0:1], 0x98
	s_load_dwordx2 s[36:37], s[0:1], 0x28
	s_load_dwordx4 s[12:15], s[0:1], 0x68
	v_mov_b32_e32 v15, s19
	s_mul_i32 s47, s47, s18
	v_ashrrev_i32_e32 v3, 31, v2
	v_lshlrev_b32_e32 v14, 4, v1
	s_xor_b64 exec, exec, s[38:39]
	s_cbranch_execz .LBB277_205
; %bb.8:
	s_load_dwordx2 s[0:1], s[0:1], 0x20
	s_ashr_i32 s6, s47, 31
	v_bfe_u32 v10, v0, 2, 4
	v_lshlrev_b32_e32 v4, 4, v10
	v_mov_b32_e32 v5, 0
	s_waitcnt lgkmcnt(0)
	s_add_u32 s0, s0, s47
	s_addc_u32 s1, s1, s6
	v_lshl_add_u64 v[6:7], s[0:1], 0, v[4:5]
	s_sub_i32 s49, 1, s29
	s_lshl_b64 s[0:1], s[34:35], 2
	v_lshlrev_b32_e32 v4, 2, v10
	s_add_u32 s0, s30, s0
	v_lshl_or_b32 v4, v1, 6, v4
	s_addc_u32 s1, s31, s1
	s_mov_b32 s48, s17
	v_lshlrev_b32_e32 v8, 1, v9
	v_mul_u32_u24_e32 v17, 48, v9
	v_cmp_eq_u32_e32 vcc, 0, v9
	v_cmp_neq_f32_e64 s[6:7], s10, 0
	v_mov_b32_e32 v9, v5
	v_add3_u32 v18, s46, v14, v10
	v_add_u32_e32 v19, 0xd0, v4
	v_lshl_add_u64 v[10:11], v[2:3], 2, s[0:1]
	s_mov_b64 s[18:19], 0
	v_mov_b32_e32 v15, 0xff7fffff
	s_movk_i32 s50, 0x7f
	s_movk_i32 s51, 0x80
	s_mov_b32 s52, 0x8000
	v_mbcnt_hi_u32_b32 v16, -1, v12
	v_mov_b32_e32 v20, 0x1c00
	v_mov_b32_e32 v21, v2
	s_branch .LBB277_10
.LBB277_9:                              ;   in Loop: Header=BB277_10 Depth=1
	s_or_b64 exec, exec, s[40:41]
	v_add_u32_e32 v21, 2, v21
	v_cmp_le_i32_e64 s[0:1], s33, v21
	v_add_u32_e32 v18, 32, v18
	v_add_u32_e32 v19, 0x80, v19
	s_or_b64 s[18:19], s[0:1], s[18:19]
	v_lshl_add_u64 v[10:11], v[10:11], 0, 8
	s_andn2_b64 exec, exec, s[18:19]
	s_cbranch_execz .LBB277_204
.LBB277_10:                             ; =>This Inner Loop Header: Depth=1
	global_load_dword v4, v[10:11], off
                                        ; implicit-def: $sgpr44
	s_waitcnt vmcnt(0) lgkmcnt(0)
	v_mad_i64_i32 v[12:13], s[0:1], v4, s48, v[6:7]
	v_lshl_add_u64 v[12:13], v[12:13], 0, v[8:9]
	global_load_ushort v4, v[12:13], off
	global_load_dword v22, v5, s[12:13]
	s_mov_b64 s[0:1], 0
	s_waitcnt vmcnt(1)
	v_cmp_gt_i16_sdwa s[40:41], v4, s50 src0_sel:BYTE_0 src1_sel:DWORD
	s_and_saveexec_b64 s[42:43], s[40:41]
	s_xor_b64 s[40:41], exec, s[42:43]
	s_cbranch_execnz .LBB277_108
; %bb.11:                               ;   in Loop: Header=BB277_10 Depth=1
	s_or_saveexec_b64 s[40:41], s[40:41]
	v_mov_b32_e32 v23, s44
	s_xor_b64 exec, exec, s[40:41]
	s_cbranch_execnz .LBB277_111
.LBB277_12:                             ;   in Loop: Header=BB277_10 Depth=1
	s_or_b64 exec, exec, s[40:41]
	v_and_b32_e32 v4, 0xffff, v4
	s_and_saveexec_b64 s[40:41], s[0:1]
	s_cbranch_execz .LBB277_14
.LBB277_13:                             ;   in Loop: Header=BB277_10 Depth=1
	v_and_b32_e32 v23, 7, v4
	v_ffbh_u32_e32 v24, v23
	v_min_u32_e32 v27, 32, v24
	v_subrev_u32_e32 v24, 28, v27
	v_bfe_u32 v26, v4, 3, 4
	v_lshlrev_b64 v[24:25], v24, v[4:5]
	v_sub_u32_e32 v25, 29, v27
	v_cmp_eq_u32_e64 s[0:1], 0, v26
	v_and_b32_e32 v24, 7, v24
	s_nop 0
	v_cndmask_b32_e64 v25, v26, v25, s[0:1]
	v_cndmask_b32_e64 v23, v23, v24, s[0:1]
	v_lshlrev_b32_e32 v24, 8, v4
	v_lshl_add_u32 v25, v25, 10, v20
	v_and_or_b32 v24, v24, s52, v25
	v_lshl_or_b32 v23, v23, 7, v24
	v_cvt_f32_f16_e32 v23, v23
.LBB277_14:                             ;   in Loop: Header=BB277_10 Depth=1
	s_or_b64 exec, exec, s[40:41]
	v_lshrrev_b16_e32 v4, 8, v4
	v_cmp_lt_i16_e64 s[0:1], s50, v4
	s_mov_b64 s[40:41], 0
                                        ; implicit-def: $sgpr53
	s_and_saveexec_b64 s[42:43], s[0:1]
	s_xor_b64 s[42:43], exec, s[42:43]
	s_cbranch_execnz .LBB277_112
; %bb.15:                               ;   in Loop: Header=BB277_10 Depth=1
	s_or_saveexec_b64 s[42:43], s[42:43]
	v_mov_b32_e32 v24, s53
	s_xor_b64 exec, exec, s[42:43]
	s_cbranch_execnz .LBB277_115
.LBB277_16:                             ;   in Loop: Header=BB277_10 Depth=1
	s_or_b64 exec, exec, s[42:43]
	s_and_saveexec_b64 s[42:43], s[40:41]
	s_cbranch_execz .LBB277_18
.LBB277_17:                             ;   in Loop: Header=BB277_10 Depth=1
	v_and_b32_e32 v26, 7, v4
	v_ffbh_u32_e32 v24, v26
	v_min_u32_e32 v28, 32, v24
	v_subrev_u32_e32 v24, 28, v28
	v_bfe_u32 v27, v4, 3, 4
	v_lshlrev_b64 v[24:25], v24, v[4:5]
	v_sub_u32_e32 v25, 29, v28
	v_cmp_eq_u32_e64 s[0:1], 0, v27
	v_and_b32_e32 v24, 7, v24
	v_lshlrev_b32_e32 v4, 8, v4
	v_cndmask_b32_e64 v25, v27, v25, s[0:1]
	v_lshl_add_u32 v25, v25, 10, v20
	v_cndmask_b32_e64 v24, v26, v24, s[0:1]
	v_and_or_b32 v4, v4, s52, v25
	v_lshl_or_b32 v4, v24, 7, v4
	v_cvt_f32_f16_e32 v24, v4
.LBB277_18:                             ;   in Loop: Header=BB277_10 Depth=1
	s_or_b64 exec, exec, s[42:43]
	global_load_ushort v4, v[12:13], off offset:8
	s_mov_b64 s[0:1], 0
                                        ; implicit-def: $sgpr44
	s_waitcnt vmcnt(0)
	v_cmp_gt_i16_sdwa s[40:41], v4, s50 src0_sel:BYTE_0 src1_sel:DWORD
	s_and_saveexec_b64 s[42:43], s[40:41]
	s_xor_b64 s[40:41], exec, s[42:43]
	s_cbranch_execnz .LBB277_116
; %bb.19:                               ;   in Loop: Header=BB277_10 Depth=1
	s_or_saveexec_b64 s[40:41], s[40:41]
	v_mov_b32_e32 v25, s44
	s_xor_b64 exec, exec, s[40:41]
	s_cbranch_execnz .LBB277_119
.LBB277_20:                             ;   in Loop: Header=BB277_10 Depth=1
	s_or_b64 exec, exec, s[40:41]
	v_and_b32_e32 v4, 0xffff, v4
	s_and_saveexec_b64 s[40:41], s[0:1]
	s_cbranch_execz .LBB277_22
.LBB277_21:                             ;   in Loop: Header=BB277_10 Depth=1
	v_and_b32_e32 v25, 7, v4
	v_ffbh_u32_e32 v26, v25
	v_min_u32_e32 v29, 32, v26
	v_subrev_u32_e32 v26, 28, v29
	v_bfe_u32 v28, v4, 3, 4
	v_lshlrev_b64 v[26:27], v26, v[4:5]
	v_sub_u32_e32 v27, 29, v29
	v_cmp_eq_u32_e64 s[0:1], 0, v28
	v_and_b32_e32 v26, 7, v26
	s_nop 0
	v_cndmask_b32_e64 v27, v28, v27, s[0:1]
	v_cndmask_b32_e64 v25, v25, v26, s[0:1]
	v_lshlrev_b32_e32 v26, 8, v4
	v_lshl_add_u32 v27, v27, 10, v20
	v_and_or_b32 v26, v26, s52, v27
	v_lshl_or_b32 v25, v25, 7, v26
	v_cvt_f32_f16_e32 v25, v25
.LBB277_22:                             ;   in Loop: Header=BB277_10 Depth=1
	s_or_b64 exec, exec, s[40:41]
	v_lshrrev_b16_e32 v4, 8, v4
	v_cmp_lt_i16_e64 s[0:1], s50, v4
	s_mov_b64 s[40:41], 0
                                        ; implicit-def: $sgpr53
	s_and_saveexec_b64 s[42:43], s[0:1]
	s_xor_b64 s[42:43], exec, s[42:43]
	s_cbranch_execnz .LBB277_120
; %bb.23:                               ;   in Loop: Header=BB277_10 Depth=1
	s_or_saveexec_b64 s[42:43], s[42:43]
	v_mov_b32_e32 v26, s53
	s_xor_b64 exec, exec, s[42:43]
	s_cbranch_execnz .LBB277_123
.LBB277_24:                             ;   in Loop: Header=BB277_10 Depth=1
	s_or_b64 exec, exec, s[42:43]
	s_and_saveexec_b64 s[42:43], s[40:41]
	s_cbranch_execz .LBB277_26
.LBB277_25:                             ;   in Loop: Header=BB277_10 Depth=1
	v_and_b32_e32 v28, 7, v4
	v_ffbh_u32_e32 v26, v28
	v_min_u32_e32 v30, 32, v26
	v_subrev_u32_e32 v26, 28, v30
	v_bfe_u32 v29, v4, 3, 4
	v_lshlrev_b64 v[26:27], v26, v[4:5]
	v_sub_u32_e32 v27, 29, v30
	v_cmp_eq_u32_e64 s[0:1], 0, v29
	v_and_b32_e32 v26, 7, v26
	v_lshlrev_b32_e32 v4, 8, v4
	v_cndmask_b32_e64 v27, v29, v27, s[0:1]
	v_lshl_add_u32 v27, v27, 10, v20
	v_cndmask_b32_e64 v26, v28, v26, s[0:1]
	v_and_or_b32 v4, v4, s52, v27
	v_lshl_or_b32 v4, v26, 7, v4
	v_cvt_f32_f16_e32 v26, v4
.LBB277_26:                             ;   in Loop: Header=BB277_10 Depth=1
	s_or_b64 exec, exec, s[42:43]
	global_load_ushort v4, v[12:13], off offset:256
	s_mov_b64 s[0:1], 0
                                        ; implicit-def: $sgpr44
	s_waitcnt vmcnt(0)
	v_cmp_gt_i16_sdwa s[40:41], v4, s50 src0_sel:BYTE_0 src1_sel:DWORD
	s_and_saveexec_b64 s[42:43], s[40:41]
	s_xor_b64 s[40:41], exec, s[42:43]
	s_cbranch_execnz .LBB277_124
; %bb.27:                               ;   in Loop: Header=BB277_10 Depth=1
	s_or_saveexec_b64 s[40:41], s[40:41]
	v_mov_b32_e32 v27, s44
	s_xor_b64 exec, exec, s[40:41]
	s_cbranch_execnz .LBB277_127
.LBB277_28:                             ;   in Loop: Header=BB277_10 Depth=1
	s_or_b64 exec, exec, s[40:41]
	v_and_b32_e32 v4, 0xffff, v4
	s_and_saveexec_b64 s[40:41], s[0:1]
	s_cbranch_execz .LBB277_30
.LBB277_29:                             ;   in Loop: Header=BB277_10 Depth=1
	v_and_b32_e32 v27, 7, v4
	v_ffbh_u32_e32 v28, v27
	v_min_u32_e32 v31, 32, v28
	v_subrev_u32_e32 v28, 28, v31
	v_bfe_u32 v30, v4, 3, 4
	v_lshlrev_b64 v[28:29], v28, v[4:5]
	v_sub_u32_e32 v29, 29, v31
	v_cmp_eq_u32_e64 s[0:1], 0, v30
	v_and_b32_e32 v28, 7, v28
	s_nop 0
	v_cndmask_b32_e64 v29, v30, v29, s[0:1]
	v_cndmask_b32_e64 v27, v27, v28, s[0:1]
	v_lshlrev_b32_e32 v28, 8, v4
	v_lshl_add_u32 v29, v29, 10, v20
	v_and_or_b32 v28, v28, s52, v29
	v_lshl_or_b32 v27, v27, 7, v28
	v_cvt_f32_f16_e32 v27, v27
.LBB277_30:                             ;   in Loop: Header=BB277_10 Depth=1
	s_or_b64 exec, exec, s[40:41]
	v_lshrrev_b16_e32 v4, 8, v4
	v_cmp_lt_i16_e64 s[0:1], s50, v4
	s_mov_b64 s[40:41], 0
                                        ; implicit-def: $sgpr53
	s_and_saveexec_b64 s[42:43], s[0:1]
	s_xor_b64 s[42:43], exec, s[42:43]
	s_cbranch_execnz .LBB277_128
; %bb.31:                               ;   in Loop: Header=BB277_10 Depth=1
	s_or_saveexec_b64 s[42:43], s[42:43]
	v_mov_b32_e32 v28, s53
	s_xor_b64 exec, exec, s[42:43]
	s_cbranch_execnz .LBB277_131
.LBB277_32:                             ;   in Loop: Header=BB277_10 Depth=1
	s_or_b64 exec, exec, s[42:43]
	s_and_saveexec_b64 s[42:43], s[40:41]
	s_cbranch_execz .LBB277_34
.LBB277_33:                             ;   in Loop: Header=BB277_10 Depth=1
	v_and_b32_e32 v30, 7, v4
	v_ffbh_u32_e32 v28, v30
	v_min_u32_e32 v32, 32, v28
	v_subrev_u32_e32 v28, 28, v32
	v_bfe_u32 v31, v4, 3, 4
	v_lshlrev_b64 v[28:29], v28, v[4:5]
	v_sub_u32_e32 v29, 29, v32
	v_cmp_eq_u32_e64 s[0:1], 0, v31
	v_and_b32_e32 v28, 7, v28
	v_lshlrev_b32_e32 v4, 8, v4
	v_cndmask_b32_e64 v29, v31, v29, s[0:1]
	v_lshl_add_u32 v29, v29, 10, v20
	v_cndmask_b32_e64 v28, v30, v28, s[0:1]
	v_and_or_b32 v4, v4, s52, v29
	v_lshl_or_b32 v4, v28, 7, v4
	v_cvt_f32_f16_e32 v28, v4
.LBB277_34:                             ;   in Loop: Header=BB277_10 Depth=1
	s_or_b64 exec, exec, s[42:43]
	global_load_ushort v4, v[12:13], off offset:264
	s_mov_b64 s[0:1], 0
                                        ; implicit-def: $sgpr44
	s_waitcnt vmcnt(0)
	v_cmp_gt_i16_sdwa s[40:41], v4, s50 src0_sel:BYTE_0 src1_sel:DWORD
	s_and_saveexec_b64 s[42:43], s[40:41]
	s_xor_b64 s[40:41], exec, s[42:43]
	s_cbranch_execnz .LBB277_132
; %bb.35:                               ;   in Loop: Header=BB277_10 Depth=1
	s_or_saveexec_b64 s[40:41], s[40:41]
	v_mov_b32_e32 v29, s44
	s_xor_b64 exec, exec, s[40:41]
	s_cbranch_execnz .LBB277_135
.LBB277_36:                             ;   in Loop: Header=BB277_10 Depth=1
	s_or_b64 exec, exec, s[40:41]
	v_and_b32_e32 v4, 0xffff, v4
	s_and_saveexec_b64 s[40:41], s[0:1]
	s_cbranch_execz .LBB277_38
.LBB277_37:                             ;   in Loop: Header=BB277_10 Depth=1
	v_and_b32_e32 v29, 7, v4
	v_ffbh_u32_e32 v30, v29
	v_min_u32_e32 v33, 32, v30
	v_subrev_u32_e32 v30, 28, v33
	v_bfe_u32 v32, v4, 3, 4
	v_lshlrev_b64 v[30:31], v30, v[4:5]
	v_sub_u32_e32 v31, 29, v33
	v_cmp_eq_u32_e64 s[0:1], 0, v32
	v_and_b32_e32 v30, 7, v30
	s_nop 0
	v_cndmask_b32_e64 v31, v32, v31, s[0:1]
	v_cndmask_b32_e64 v29, v29, v30, s[0:1]
	v_lshlrev_b32_e32 v30, 8, v4
	v_lshl_add_u32 v31, v31, 10, v20
	v_and_or_b32 v30, v30, s52, v31
	v_lshl_or_b32 v29, v29, 7, v30
	v_cvt_f32_f16_e32 v29, v29
.LBB277_38:                             ;   in Loop: Header=BB277_10 Depth=1
	s_or_b64 exec, exec, s[40:41]
	v_lshrrev_b16_e32 v4, 8, v4
	v_cmp_lt_i16_e64 s[0:1], s50, v4
	s_mov_b64 s[40:41], 0
                                        ; implicit-def: $sgpr53
	s_and_saveexec_b64 s[42:43], s[0:1]
	s_xor_b64 s[42:43], exec, s[42:43]
	s_cbranch_execnz .LBB277_136
; %bb.39:                               ;   in Loop: Header=BB277_10 Depth=1
	s_or_saveexec_b64 s[42:43], s[42:43]
	v_mov_b32_e32 v30, s53
	s_xor_b64 exec, exec, s[42:43]
	s_cbranch_execnz .LBB277_139
.LBB277_40:                             ;   in Loop: Header=BB277_10 Depth=1
	s_or_b64 exec, exec, s[42:43]
	s_and_saveexec_b64 s[42:43], s[40:41]
	s_cbranch_execz .LBB277_42
.LBB277_41:                             ;   in Loop: Header=BB277_10 Depth=1
	v_and_b32_e32 v32, 7, v4
	v_ffbh_u32_e32 v30, v32
	v_min_u32_e32 v34, 32, v30
	v_subrev_u32_e32 v30, 28, v34
	v_bfe_u32 v33, v4, 3, 4
	v_lshlrev_b64 v[30:31], v30, v[4:5]
	v_sub_u32_e32 v31, 29, v34
	v_cmp_eq_u32_e64 s[0:1], 0, v33
	v_and_b32_e32 v30, 7, v30
	v_lshlrev_b32_e32 v4, 8, v4
	v_cndmask_b32_e64 v31, v33, v31, s[0:1]
	v_lshl_add_u32 v31, v31, 10, v20
	v_cndmask_b32_e64 v30, v32, v30, s[0:1]
	v_and_or_b32 v4, v4, s52, v31
	v_lshl_or_b32 v4, v30, 7, v4
	v_cvt_f32_f16_e32 v30, v4
.LBB277_42:                             ;   in Loop: Header=BB277_10 Depth=1
	s_or_b64 exec, exec, s[42:43]
	global_load_ushort v4, v[12:13], off offset:512
	s_mov_b64 s[0:1], 0
                                        ; implicit-def: $sgpr44
	s_waitcnt vmcnt(0)
	v_cmp_gt_i16_sdwa s[40:41], v4, s50 src0_sel:BYTE_0 src1_sel:DWORD
	s_and_saveexec_b64 s[42:43], s[40:41]
	s_xor_b64 s[40:41], exec, s[42:43]
	s_cbranch_execnz .LBB277_140
; %bb.43:                               ;   in Loop: Header=BB277_10 Depth=1
	s_or_saveexec_b64 s[40:41], s[40:41]
	v_mov_b32_e32 v31, s44
	s_xor_b64 exec, exec, s[40:41]
	s_cbranch_execnz .LBB277_143
.LBB277_44:                             ;   in Loop: Header=BB277_10 Depth=1
	s_or_b64 exec, exec, s[40:41]
	v_and_b32_e32 v4, 0xffff, v4
	s_and_saveexec_b64 s[40:41], s[0:1]
	s_cbranch_execz .LBB277_46
.LBB277_45:                             ;   in Loop: Header=BB277_10 Depth=1
	v_and_b32_e32 v31, 7, v4
	v_ffbh_u32_e32 v32, v31
	v_min_u32_e32 v35, 32, v32
	v_subrev_u32_e32 v32, 28, v35
	v_bfe_u32 v34, v4, 3, 4
	v_lshlrev_b64 v[32:33], v32, v[4:5]
	v_sub_u32_e32 v33, 29, v35
	v_cmp_eq_u32_e64 s[0:1], 0, v34
	v_and_b32_e32 v32, 7, v32
	s_nop 0
	v_cndmask_b32_e64 v33, v34, v33, s[0:1]
	v_cndmask_b32_e64 v31, v31, v32, s[0:1]
	v_lshlrev_b32_e32 v32, 8, v4
	v_lshl_add_u32 v33, v33, 10, v20
	v_and_or_b32 v32, v32, s52, v33
	v_lshl_or_b32 v31, v31, 7, v32
	v_cvt_f32_f16_e32 v31, v31
.LBB277_46:                             ;   in Loop: Header=BB277_10 Depth=1
	s_or_b64 exec, exec, s[40:41]
	v_lshrrev_b16_e32 v4, 8, v4
	v_cmp_lt_i16_e64 s[0:1], s50, v4
	s_mov_b64 s[40:41], 0
                                        ; implicit-def: $sgpr53
	s_and_saveexec_b64 s[42:43], s[0:1]
	s_xor_b64 s[42:43], exec, s[42:43]
	s_cbranch_execnz .LBB277_144
; %bb.47:                               ;   in Loop: Header=BB277_10 Depth=1
	s_or_saveexec_b64 s[42:43], s[42:43]
	v_mov_b32_e32 v32, s53
	s_xor_b64 exec, exec, s[42:43]
	s_cbranch_execnz .LBB277_147
.LBB277_48:                             ;   in Loop: Header=BB277_10 Depth=1
	s_or_b64 exec, exec, s[42:43]
	s_and_saveexec_b64 s[42:43], s[40:41]
	s_cbranch_execz .LBB277_50
.LBB277_49:                             ;   in Loop: Header=BB277_10 Depth=1
	v_and_b32_e32 v34, 7, v4
	v_ffbh_u32_e32 v32, v34
	v_min_u32_e32 v36, 32, v32
	v_subrev_u32_e32 v32, 28, v36
	v_bfe_u32 v35, v4, 3, 4
	v_lshlrev_b64 v[32:33], v32, v[4:5]
	v_sub_u32_e32 v33, 29, v36
	v_cmp_eq_u32_e64 s[0:1], 0, v35
	v_and_b32_e32 v32, 7, v32
	v_lshlrev_b32_e32 v4, 8, v4
	v_cndmask_b32_e64 v33, v35, v33, s[0:1]
	v_lshl_add_u32 v33, v33, 10, v20
	v_cndmask_b32_e64 v32, v34, v32, s[0:1]
	v_and_or_b32 v4, v4, s52, v33
	v_lshl_or_b32 v4, v32, 7, v4
	v_cvt_f32_f16_e32 v32, v4
.LBB277_50:                             ;   in Loop: Header=BB277_10 Depth=1
	s_or_b64 exec, exec, s[42:43]
	global_load_ushort v4, v[12:13], off offset:520
	s_mov_b64 s[0:1], 0
                                        ; implicit-def: $sgpr44
	s_waitcnt vmcnt(0)
	v_cmp_gt_i16_sdwa s[40:41], v4, s50 src0_sel:BYTE_0 src1_sel:DWORD
	s_and_saveexec_b64 s[42:43], s[40:41]
	s_xor_b64 s[40:41], exec, s[42:43]
	s_cbranch_execnz .LBB277_148
; %bb.51:                               ;   in Loop: Header=BB277_10 Depth=1
	s_or_saveexec_b64 s[40:41], s[40:41]
	v_mov_b32_e32 v33, s44
	s_xor_b64 exec, exec, s[40:41]
	s_cbranch_execnz .LBB277_151
.LBB277_52:                             ;   in Loop: Header=BB277_10 Depth=1
	s_or_b64 exec, exec, s[40:41]
	v_and_b32_e32 v4, 0xffff, v4
	s_and_saveexec_b64 s[40:41], s[0:1]
	s_cbranch_execz .LBB277_54
.LBB277_53:                             ;   in Loop: Header=BB277_10 Depth=1
	v_and_b32_e32 v33, 7, v4
	v_ffbh_u32_e32 v34, v33
	v_min_u32_e32 v37, 32, v34
	v_subrev_u32_e32 v34, 28, v37
	v_bfe_u32 v36, v4, 3, 4
	v_lshlrev_b64 v[34:35], v34, v[4:5]
	v_sub_u32_e32 v35, 29, v37
	v_cmp_eq_u32_e64 s[0:1], 0, v36
	v_and_b32_e32 v34, 7, v34
	s_nop 0
	v_cndmask_b32_e64 v35, v36, v35, s[0:1]
	v_cndmask_b32_e64 v33, v33, v34, s[0:1]
	v_lshlrev_b32_e32 v34, 8, v4
	v_lshl_add_u32 v35, v35, 10, v20
	v_and_or_b32 v34, v34, s52, v35
	v_lshl_or_b32 v33, v33, 7, v34
	v_cvt_f32_f16_e32 v33, v33
.LBB277_54:                             ;   in Loop: Header=BB277_10 Depth=1
	s_or_b64 exec, exec, s[40:41]
	v_lshrrev_b16_e32 v4, 8, v4
	v_cmp_lt_i16_e64 s[0:1], s50, v4
	s_mov_b64 s[40:41], 0
                                        ; implicit-def: $sgpr53
	s_and_saveexec_b64 s[42:43], s[0:1]
	s_xor_b64 s[42:43], exec, s[42:43]
	s_cbranch_execnz .LBB277_152
; %bb.55:                               ;   in Loop: Header=BB277_10 Depth=1
	s_or_saveexec_b64 s[42:43], s[42:43]
	v_mov_b32_e32 v34, s53
	s_xor_b64 exec, exec, s[42:43]
	s_cbranch_execnz .LBB277_155
.LBB277_56:                             ;   in Loop: Header=BB277_10 Depth=1
	s_or_b64 exec, exec, s[42:43]
	s_and_saveexec_b64 s[42:43], s[40:41]
	s_cbranch_execz .LBB277_58
.LBB277_57:                             ;   in Loop: Header=BB277_10 Depth=1
	v_and_b32_e32 v36, 7, v4
	v_ffbh_u32_e32 v34, v36
	v_min_u32_e32 v38, 32, v34
	v_subrev_u32_e32 v34, 28, v38
	v_bfe_u32 v37, v4, 3, 4
	v_lshlrev_b64 v[34:35], v34, v[4:5]
	v_sub_u32_e32 v35, 29, v38
	v_cmp_eq_u32_e64 s[0:1], 0, v37
	v_and_b32_e32 v34, 7, v34
	v_lshlrev_b32_e32 v4, 8, v4
	v_cndmask_b32_e64 v35, v37, v35, s[0:1]
	v_lshl_add_u32 v35, v35, 10, v20
	v_cndmask_b32_e64 v34, v36, v34, s[0:1]
	v_and_or_b32 v4, v4, s52, v35
	v_lshl_or_b32 v4, v34, 7, v4
	v_cvt_f32_f16_e32 v34, v4
.LBB277_58:                             ;   in Loop: Header=BB277_10 Depth=1
	s_or_b64 exec, exec, s[42:43]
	global_load_ushort v4, v[12:13], off offset:768
	s_mov_b64 s[0:1], 0
                                        ; implicit-def: $sgpr44
	s_waitcnt vmcnt(0)
	v_cmp_gt_i16_sdwa s[40:41], v4, s50 src0_sel:BYTE_0 src1_sel:DWORD
	s_and_saveexec_b64 s[42:43], s[40:41]
	s_xor_b64 s[40:41], exec, s[42:43]
	s_cbranch_execnz .LBB277_156
; %bb.59:                               ;   in Loop: Header=BB277_10 Depth=1
	s_or_saveexec_b64 s[40:41], s[40:41]
	v_mov_b32_e32 v35, s44
	s_xor_b64 exec, exec, s[40:41]
	s_cbranch_execnz .LBB277_159
.LBB277_60:                             ;   in Loop: Header=BB277_10 Depth=1
	s_or_b64 exec, exec, s[40:41]
	v_and_b32_e32 v4, 0xffff, v4
	s_and_saveexec_b64 s[40:41], s[0:1]
	s_cbranch_execz .LBB277_62
.LBB277_61:                             ;   in Loop: Header=BB277_10 Depth=1
	v_and_b32_e32 v35, 7, v4
	v_ffbh_u32_e32 v36, v35
	v_min_u32_e32 v39, 32, v36
	v_subrev_u32_e32 v36, 28, v39
	v_bfe_u32 v38, v4, 3, 4
	v_lshlrev_b64 v[36:37], v36, v[4:5]
	v_sub_u32_e32 v37, 29, v39
	v_cmp_eq_u32_e64 s[0:1], 0, v38
	v_and_b32_e32 v36, 7, v36
	s_nop 0
	v_cndmask_b32_e64 v37, v38, v37, s[0:1]
	v_cndmask_b32_e64 v35, v35, v36, s[0:1]
	v_lshlrev_b32_e32 v36, 8, v4
	v_lshl_add_u32 v37, v37, 10, v20
	v_and_or_b32 v36, v36, s52, v37
	v_lshl_or_b32 v35, v35, 7, v36
	v_cvt_f32_f16_e32 v35, v35
.LBB277_62:                             ;   in Loop: Header=BB277_10 Depth=1
	s_or_b64 exec, exec, s[40:41]
	v_lshrrev_b16_e32 v4, 8, v4
	v_cmp_lt_i16_e64 s[0:1], s50, v4
	s_mov_b64 s[40:41], 0
                                        ; implicit-def: $sgpr53
	s_and_saveexec_b64 s[42:43], s[0:1]
	s_xor_b64 s[42:43], exec, s[42:43]
	s_cbranch_execnz .LBB277_160
; %bb.63:                               ;   in Loop: Header=BB277_10 Depth=1
	s_or_saveexec_b64 s[42:43], s[42:43]
	v_mov_b32_e32 v36, s53
	s_xor_b64 exec, exec, s[42:43]
	s_cbranch_execnz .LBB277_163
.LBB277_64:                             ;   in Loop: Header=BB277_10 Depth=1
	s_or_b64 exec, exec, s[42:43]
	s_and_saveexec_b64 s[42:43], s[40:41]
	s_cbranch_execz .LBB277_66
.LBB277_65:                             ;   in Loop: Header=BB277_10 Depth=1
	v_and_b32_e32 v38, 7, v4
	v_ffbh_u32_e32 v36, v38
	v_min_u32_e32 v40, 32, v36
	v_subrev_u32_e32 v36, 28, v40
	v_bfe_u32 v39, v4, 3, 4
	v_lshlrev_b64 v[36:37], v36, v[4:5]
	v_sub_u32_e32 v37, 29, v40
	v_cmp_eq_u32_e64 s[0:1], 0, v39
	v_and_b32_e32 v36, 7, v36
	v_lshlrev_b32_e32 v4, 8, v4
	v_cndmask_b32_e64 v37, v39, v37, s[0:1]
	v_lshl_add_u32 v37, v37, 10, v20
	v_cndmask_b32_e64 v36, v38, v36, s[0:1]
	v_and_or_b32 v4, v4, s52, v37
	v_lshl_or_b32 v4, v36, 7, v4
	v_cvt_f32_f16_e32 v36, v4
.LBB277_66:                             ;   in Loop: Header=BB277_10 Depth=1
	s_or_b64 exec, exec, s[42:43]
	global_load_ushort v4, v[12:13], off offset:776
	s_mov_b64 s[0:1], 0
                                        ; implicit-def: $sgpr44
	s_waitcnt vmcnt(0)
	v_cmp_gt_i16_sdwa s[40:41], v4, s50 src0_sel:BYTE_0 src1_sel:DWORD
	s_and_saveexec_b64 s[42:43], s[40:41]
	s_xor_b64 s[40:41], exec, s[42:43]
	s_cbranch_execnz .LBB277_164
; %bb.67:                               ;   in Loop: Header=BB277_10 Depth=1
	s_or_saveexec_b64 s[40:41], s[40:41]
	v_mov_b32_e32 v37, s44
	s_xor_b64 exec, exec, s[40:41]
	s_cbranch_execnz .LBB277_167
.LBB277_68:                             ;   in Loop: Header=BB277_10 Depth=1
	s_or_b64 exec, exec, s[40:41]
	v_and_b32_e32 v4, 0xffff, v4
	s_and_saveexec_b64 s[40:41], s[0:1]
	s_cbranch_execz .LBB277_70
.LBB277_69:                             ;   in Loop: Header=BB277_10 Depth=1
	v_and_b32_e32 v37, 7, v4
	v_ffbh_u32_e32 v38, v37
	v_min_u32_e32 v41, 32, v38
	v_subrev_u32_e32 v38, 28, v41
	v_bfe_u32 v40, v4, 3, 4
	v_lshlrev_b64 v[38:39], v38, v[4:5]
	v_sub_u32_e32 v39, 29, v41
	v_cmp_eq_u32_e64 s[0:1], 0, v40
	v_and_b32_e32 v38, 7, v38
	s_nop 0
	v_cndmask_b32_e64 v39, v40, v39, s[0:1]
	v_cndmask_b32_e64 v37, v37, v38, s[0:1]
	v_lshlrev_b32_e32 v38, 8, v4
	v_lshl_add_u32 v39, v39, 10, v20
	v_and_or_b32 v38, v38, s52, v39
	v_lshl_or_b32 v37, v37, 7, v38
	v_cvt_f32_f16_e32 v37, v37
.LBB277_70:                             ;   in Loop: Header=BB277_10 Depth=1
	s_or_b64 exec, exec, s[40:41]
	v_lshrrev_b16_e32 v4, 8, v4
	v_cmp_lt_i16_e64 s[0:1], s50, v4
	s_mov_b64 s[40:41], 0
                                        ; implicit-def: $sgpr53
	s_and_saveexec_b64 s[42:43], s[0:1]
	s_xor_b64 s[42:43], exec, s[42:43]
	s_cbranch_execnz .LBB277_168
; %bb.71:                               ;   in Loop: Header=BB277_10 Depth=1
	s_or_saveexec_b64 s[42:43], s[42:43]
	v_mov_b32_e32 v38, s53
	s_xor_b64 exec, exec, s[42:43]
	s_cbranch_execnz .LBB277_171
.LBB277_72:                             ;   in Loop: Header=BB277_10 Depth=1
	s_or_b64 exec, exec, s[42:43]
	s_and_saveexec_b64 s[42:43], s[40:41]
	s_cbranch_execz .LBB277_74
.LBB277_73:                             ;   in Loop: Header=BB277_10 Depth=1
	v_and_b32_e32 v40, 7, v4
	v_ffbh_u32_e32 v38, v40
	v_min_u32_e32 v42, 32, v38
	v_subrev_u32_e32 v38, 28, v42
	v_bfe_u32 v41, v4, 3, 4
	v_lshlrev_b64 v[38:39], v38, v[4:5]
	v_sub_u32_e32 v39, 29, v42
	v_cmp_eq_u32_e64 s[0:1], 0, v41
	v_and_b32_e32 v38, 7, v38
	v_lshlrev_b32_e32 v4, 8, v4
	v_cndmask_b32_e64 v39, v41, v39, s[0:1]
	v_lshl_add_u32 v39, v39, 10, v20
	v_cndmask_b32_e64 v38, v40, v38, s[0:1]
	v_and_or_b32 v4, v4, s52, v39
	v_lshl_or_b32 v4, v38, 7, v4
	v_cvt_f32_f16_e32 v38, v4
.LBB277_74:                             ;   in Loop: Header=BB277_10 Depth=1
	s_or_b64 exec, exec, s[42:43]
	global_load_ushort v4, v[12:13], off offset:1024
	s_mov_b64 s[0:1], 0
                                        ; implicit-def: $sgpr44
	s_waitcnt vmcnt(0)
	v_cmp_gt_i16_sdwa s[40:41], v4, s50 src0_sel:BYTE_0 src1_sel:DWORD
	s_and_saveexec_b64 s[42:43], s[40:41]
	s_xor_b64 s[40:41], exec, s[42:43]
	s_cbranch_execnz .LBB277_172
; %bb.75:                               ;   in Loop: Header=BB277_10 Depth=1
	s_or_saveexec_b64 s[40:41], s[40:41]
	v_mov_b32_e32 v39, s44
	s_xor_b64 exec, exec, s[40:41]
	s_cbranch_execnz .LBB277_175
.LBB277_76:                             ;   in Loop: Header=BB277_10 Depth=1
	s_or_b64 exec, exec, s[40:41]
	v_and_b32_e32 v4, 0xffff, v4
	s_and_saveexec_b64 s[40:41], s[0:1]
	s_cbranch_execz .LBB277_78
.LBB277_77:                             ;   in Loop: Header=BB277_10 Depth=1
	v_and_b32_e32 v39, 7, v4
	v_ffbh_u32_e32 v40, v39
	v_min_u32_e32 v43, 32, v40
	v_subrev_u32_e32 v40, 28, v43
	v_bfe_u32 v42, v4, 3, 4
	v_lshlrev_b64 v[40:41], v40, v[4:5]
	v_sub_u32_e32 v41, 29, v43
	v_cmp_eq_u32_e64 s[0:1], 0, v42
	v_and_b32_e32 v40, 7, v40
	s_nop 0
	v_cndmask_b32_e64 v41, v42, v41, s[0:1]
	v_cndmask_b32_e64 v39, v39, v40, s[0:1]
	v_lshlrev_b32_e32 v40, 8, v4
	v_lshl_add_u32 v41, v41, 10, v20
	v_and_or_b32 v40, v40, s52, v41
	v_lshl_or_b32 v39, v39, 7, v40
	v_cvt_f32_f16_e32 v39, v39
.LBB277_78:                             ;   in Loop: Header=BB277_10 Depth=1
	s_or_b64 exec, exec, s[40:41]
	v_lshrrev_b16_e32 v4, 8, v4
	v_cmp_lt_i16_e64 s[0:1], s50, v4
	s_mov_b64 s[40:41], 0
                                        ; implicit-def: $sgpr53
	s_and_saveexec_b64 s[42:43], s[0:1]
	s_xor_b64 s[42:43], exec, s[42:43]
	s_cbranch_execnz .LBB277_176
; %bb.79:                               ;   in Loop: Header=BB277_10 Depth=1
	s_or_saveexec_b64 s[42:43], s[42:43]
	v_mov_b32_e32 v40, s53
	s_xor_b64 exec, exec, s[42:43]
	s_cbranch_execnz .LBB277_179
.LBB277_80:                             ;   in Loop: Header=BB277_10 Depth=1
	s_or_b64 exec, exec, s[42:43]
	s_and_saveexec_b64 s[42:43], s[40:41]
	s_cbranch_execz .LBB277_82
.LBB277_81:                             ;   in Loop: Header=BB277_10 Depth=1
	v_and_b32_e32 v42, 7, v4
	v_ffbh_u32_e32 v40, v42
	v_min_u32_e32 v44, 32, v40
	v_subrev_u32_e32 v40, 28, v44
	v_bfe_u32 v43, v4, 3, 4
	v_lshlrev_b64 v[40:41], v40, v[4:5]
	v_sub_u32_e32 v41, 29, v44
	v_cmp_eq_u32_e64 s[0:1], 0, v43
	v_and_b32_e32 v40, 7, v40
	v_lshlrev_b32_e32 v4, 8, v4
	v_cndmask_b32_e64 v41, v43, v41, s[0:1]
	v_lshl_add_u32 v41, v41, 10, v20
	v_cndmask_b32_e64 v40, v42, v40, s[0:1]
	v_and_or_b32 v4, v4, s52, v41
	v_lshl_or_b32 v4, v40, 7, v4
	v_cvt_f32_f16_e32 v40, v4
.LBB277_82:                             ;   in Loop: Header=BB277_10 Depth=1
	s_or_b64 exec, exec, s[42:43]
	global_load_ushort v4, v[12:13], off offset:1032
	s_mov_b64 s[0:1], 0
                                        ; implicit-def: $sgpr44
	s_waitcnt vmcnt(0)
	v_cmp_gt_i16_sdwa s[40:41], v4, s50 src0_sel:BYTE_0 src1_sel:DWORD
	s_and_saveexec_b64 s[42:43], s[40:41]
	s_xor_b64 s[40:41], exec, s[42:43]
	s_cbranch_execnz .LBB277_180
; %bb.83:                               ;   in Loop: Header=BB277_10 Depth=1
	s_or_saveexec_b64 s[40:41], s[40:41]
	v_mov_b32_e32 v41, s44
	s_xor_b64 exec, exec, s[40:41]
	s_cbranch_execnz .LBB277_183
.LBB277_84:                             ;   in Loop: Header=BB277_10 Depth=1
	s_or_b64 exec, exec, s[40:41]
	v_and_b32_e32 v4, 0xffff, v4
	s_and_saveexec_b64 s[40:41], s[0:1]
	s_cbranch_execz .LBB277_86
.LBB277_85:                             ;   in Loop: Header=BB277_10 Depth=1
	v_and_b32_e32 v41, 7, v4
	v_ffbh_u32_e32 v42, v41
	v_min_u32_e32 v45, 32, v42
	v_subrev_u32_e32 v42, 28, v45
	v_bfe_u32 v44, v4, 3, 4
	v_lshlrev_b64 v[42:43], v42, v[4:5]
	v_sub_u32_e32 v43, 29, v45
	v_cmp_eq_u32_e64 s[0:1], 0, v44
	v_and_b32_e32 v42, 7, v42
	s_nop 0
	v_cndmask_b32_e64 v43, v44, v43, s[0:1]
	v_cndmask_b32_e64 v41, v41, v42, s[0:1]
	v_lshlrev_b32_e32 v42, 8, v4
	v_lshl_add_u32 v43, v43, 10, v20
	v_and_or_b32 v42, v42, s52, v43
	v_lshl_or_b32 v41, v41, 7, v42
	v_cvt_f32_f16_e32 v41, v41
.LBB277_86:                             ;   in Loop: Header=BB277_10 Depth=1
	s_or_b64 exec, exec, s[40:41]
	v_lshrrev_b16_e32 v4, 8, v4
	v_cmp_lt_i16_e64 s[0:1], s50, v4
	s_mov_b64 s[40:41], 0
                                        ; implicit-def: $sgpr53
	s_and_saveexec_b64 s[42:43], s[0:1]
	s_xor_b64 s[42:43], exec, s[42:43]
	s_cbranch_execnz .LBB277_184
; %bb.87:                               ;   in Loop: Header=BB277_10 Depth=1
	s_or_saveexec_b64 s[42:43], s[42:43]
	v_mov_b32_e32 v42, s53
	s_xor_b64 exec, exec, s[42:43]
	s_cbranch_execnz .LBB277_187
.LBB277_88:                             ;   in Loop: Header=BB277_10 Depth=1
	s_or_b64 exec, exec, s[42:43]
	s_and_saveexec_b64 s[42:43], s[40:41]
	s_cbranch_execz .LBB277_90
.LBB277_89:                             ;   in Loop: Header=BB277_10 Depth=1
	v_and_b32_e32 v44, 7, v4
	v_ffbh_u32_e32 v42, v44
	v_min_u32_e32 v46, 32, v42
	v_subrev_u32_e32 v42, 28, v46
	v_bfe_u32 v45, v4, 3, 4
	v_lshlrev_b64 v[42:43], v42, v[4:5]
	v_sub_u32_e32 v43, 29, v46
	v_cmp_eq_u32_e64 s[0:1], 0, v45
	v_and_b32_e32 v42, 7, v42
	v_lshlrev_b32_e32 v4, 8, v4
	v_cndmask_b32_e64 v43, v45, v43, s[0:1]
	v_lshl_add_u32 v43, v43, 10, v20
	v_cndmask_b32_e64 v42, v44, v42, s[0:1]
	v_and_or_b32 v4, v4, s52, v43
	v_lshl_or_b32 v4, v42, 7, v4
	v_cvt_f32_f16_e32 v42, v4
.LBB277_90:                             ;   in Loop: Header=BB277_10 Depth=1
	s_or_b64 exec, exec, s[42:43]
	global_load_ushort v4, v[12:13], off offset:1280
	s_mov_b64 s[0:1], 0
                                        ; implicit-def: $sgpr44
	s_waitcnt vmcnt(0)
	v_cmp_gt_i16_sdwa s[40:41], v4, s50 src0_sel:BYTE_0 src1_sel:DWORD
	s_and_saveexec_b64 s[42:43], s[40:41]
	s_xor_b64 s[40:41], exec, s[42:43]
	s_cbranch_execnz .LBB277_188
; %bb.91:                               ;   in Loop: Header=BB277_10 Depth=1
	s_or_saveexec_b64 s[40:41], s[40:41]
	v_mov_b32_e32 v43, s44
	s_xor_b64 exec, exec, s[40:41]
	s_cbranch_execnz .LBB277_191
.LBB277_92:                             ;   in Loop: Header=BB277_10 Depth=1
	s_or_b64 exec, exec, s[40:41]
	v_and_b32_e32 v4, 0xffff, v4
	s_and_saveexec_b64 s[40:41], s[0:1]
	s_cbranch_execz .LBB277_94
.LBB277_93:                             ;   in Loop: Header=BB277_10 Depth=1
	v_and_b32_e32 v43, 7, v4
	v_ffbh_u32_e32 v44, v43
	v_min_u32_e32 v47, 32, v44
	v_subrev_u32_e32 v44, 28, v47
	v_bfe_u32 v46, v4, 3, 4
	v_lshlrev_b64 v[44:45], v44, v[4:5]
	v_sub_u32_e32 v45, 29, v47
	v_cmp_eq_u32_e64 s[0:1], 0, v46
	v_and_b32_e32 v44, 7, v44
	s_nop 0
	v_cndmask_b32_e64 v45, v46, v45, s[0:1]
	v_cndmask_b32_e64 v43, v43, v44, s[0:1]
	v_lshlrev_b32_e32 v44, 8, v4
	v_lshl_add_u32 v45, v45, 10, v20
	v_and_or_b32 v44, v44, s52, v45
	v_lshl_or_b32 v43, v43, 7, v44
	v_cvt_f32_f16_e32 v43, v43
.LBB277_94:                             ;   in Loop: Header=BB277_10 Depth=1
	s_or_b64 exec, exec, s[40:41]
	v_lshrrev_b16_e32 v4, 8, v4
	v_cmp_lt_i16_e64 s[0:1], s50, v4
	s_mov_b64 s[40:41], 0
                                        ; implicit-def: $sgpr53
	s_and_saveexec_b64 s[42:43], s[0:1]
	s_xor_b64 s[42:43], exec, s[42:43]
	s_cbranch_execnz .LBB277_192
; %bb.95:                               ;   in Loop: Header=BB277_10 Depth=1
	s_or_saveexec_b64 s[42:43], s[42:43]
	v_mov_b32_e32 v44, s53
	s_xor_b64 exec, exec, s[42:43]
	s_cbranch_execnz .LBB277_195
.LBB277_96:                             ;   in Loop: Header=BB277_10 Depth=1
	s_or_b64 exec, exec, s[42:43]
	s_and_saveexec_b64 s[42:43], s[40:41]
	s_cbranch_execz .LBB277_98
.LBB277_97:                             ;   in Loop: Header=BB277_10 Depth=1
	v_and_b32_e32 v46, 7, v4
	v_ffbh_u32_e32 v44, v46
	v_min_u32_e32 v48, 32, v44
	v_subrev_u32_e32 v44, 28, v48
	v_bfe_u32 v47, v4, 3, 4
	v_lshlrev_b64 v[44:45], v44, v[4:5]
	v_sub_u32_e32 v45, 29, v48
	v_cmp_eq_u32_e64 s[0:1], 0, v47
	v_and_b32_e32 v44, 7, v44
	v_lshlrev_b32_e32 v4, 8, v4
	v_cndmask_b32_e64 v45, v47, v45, s[0:1]
	v_lshl_add_u32 v45, v45, 10, v20
	v_cndmask_b32_e64 v44, v46, v44, s[0:1]
	v_and_or_b32 v4, v4, s52, v45
	v_lshl_or_b32 v4, v44, 7, v4
	v_cvt_f32_f16_e32 v44, v4
.LBB277_98:                             ;   in Loop: Header=BB277_10 Depth=1
	s_or_b64 exec, exec, s[42:43]
	global_load_ushort v4, v[12:13], off offset:1288
	s_mov_b64 s[0:1], 0
                                        ; implicit-def: $sgpr44
	s_waitcnt vmcnt(0)
	v_cmp_gt_i16_sdwa s[40:41], v4, s50 src0_sel:BYTE_0 src1_sel:DWORD
	s_and_saveexec_b64 s[42:43], s[40:41]
	s_xor_b64 s[40:41], exec, s[42:43]
	s_cbranch_execnz .LBB277_196
; %bb.99:                               ;   in Loop: Header=BB277_10 Depth=1
	s_or_saveexec_b64 s[40:41], s[40:41]
	v_mov_b32_e32 v12, s44
	s_xor_b64 exec, exec, s[40:41]
	s_cbranch_execnz .LBB277_199
.LBB277_100:                            ;   in Loop: Header=BB277_10 Depth=1
	s_or_b64 exec, exec, s[40:41]
	v_and_b32_e32 v4, 0xffff, v4
	s_and_saveexec_b64 s[40:41], s[0:1]
	s_cbranch_execz .LBB277_102
.LBB277_101:                            ;   in Loop: Header=BB277_10 Depth=1
	v_and_b32_e32 v45, 7, v4
	v_ffbh_u32_e32 v12, v45
	v_min_u32_e32 v47, 32, v12
	v_subrev_u32_e32 v12, 28, v47
	v_bfe_u32 v46, v4, 3, 4
	v_lshlrev_b64 v[12:13], v12, v[4:5]
	v_sub_u32_e32 v13, 29, v47
	v_cmp_eq_u32_e64 s[0:1], 0, v46
	v_and_b32_e32 v12, 7, v12
	s_nop 0
	v_cndmask_b32_e64 v13, v46, v13, s[0:1]
	v_cndmask_b32_e64 v12, v45, v12, s[0:1]
	v_lshlrev_b32_e32 v45, 8, v4
	v_lshl_add_u32 v13, v13, 10, v20
	v_and_or_b32 v13, v45, s52, v13
	v_lshl_or_b32 v12, v12, 7, v13
	v_cvt_f32_f16_e32 v12, v12
.LBB277_102:                            ;   in Loop: Header=BB277_10 Depth=1
	s_or_b64 exec, exec, s[40:41]
	v_lshrrev_b16_e32 v4, 8, v4
	v_cmp_lt_i16_e64 s[0:1], s50, v4
	s_mov_b64 s[40:41], 0
                                        ; implicit-def: $sgpr53
	s_and_saveexec_b64 s[42:43], s[0:1]
	s_xor_b64 s[42:43], exec, s[42:43]
	s_cbranch_execnz .LBB277_200
; %bb.103:                              ;   in Loop: Header=BB277_10 Depth=1
	s_or_saveexec_b64 s[42:43], s[42:43]
	v_mov_b32_e32 v13, s53
	s_xor_b64 exec, exec, s[42:43]
	s_cbranch_execnz .LBB277_203
.LBB277_104:                            ;   in Loop: Header=BB277_10 Depth=1
	s_or_b64 exec, exec, s[42:43]
	s_and_saveexec_b64 s[42:43], s[40:41]
	s_cbranch_execz .LBB277_106
.LBB277_105:                            ;   in Loop: Header=BB277_10 Depth=1
	v_and_b32_e32 v13, 7, v4
	v_ffbh_u32_e32 v46, v13
	v_min_u32_e32 v48, 32, v46
	v_subrev_u32_e32 v46, 28, v48
	v_bfe_u32 v45, v4, 3, 4
	v_lshlrev_b64 v[46:47], v46, v[4:5]
	v_sub_u32_e32 v47, 29, v48
	v_cmp_eq_u32_e64 s[0:1], 0, v45
	v_and_b32_e32 v46, 7, v46
	v_lshlrev_b32_e32 v4, 8, v4
	v_cndmask_b32_e64 v45, v45, v47, s[0:1]
	v_lshl_add_u32 v45, v45, 10, v20
	v_cndmask_b32_e64 v13, v13, v46, s[0:1]
	v_and_or_b32 v4, v4, s52, v45
	v_lshl_or_b32 v4, v13, 7, v4
	v_cvt_f32_f16_e32 v13, v4
.LBB277_106:                            ;   in Loop: Header=BB277_10 Depth=1
	s_or_b64 exec, exec, s[42:43]
	ds_read_b32 v4, v17
	v_fma_mixlo_f16 v23, v22, v23, 0
	v_fma_mixlo_f16 v24, v22, v24, 0
	v_and_b32_e32 v23, 0xffff, v23
	v_and_b32_e32 v24, 0xffff, v24
	s_waitcnt lgkmcnt(0)
	v_lshrrev_b32_e32 v45, 16, v4
	v_and_b32_e32 v4, 0xffff, v4
	;;#ASMSTART
	v_cvt_f32_f16 v4, v4;
	;;#ASMEND
	;;#ASMSTART
	v_cvt_f32_f16 v45, v45;
	;;#ASMEND
	;;#ASMSTART
	v_cvt_f32_f16 v23, v23;
	;;#ASMEND
	;;#ASMSTART
	v_cvt_f32_f16 v24, v24;
	;;#ASMEND
	ds_read_b32 v46, v17 offset:4
	v_fma_mixlo_f16 v25, v22, v25, 0
	v_fma_mixlo_f16 v26, v22, v26, 0
	v_and_b32_e32 v25, 0xffff, v25
	v_and_b32_e32 v26, 0xffff, v26
	s_waitcnt lgkmcnt(0)
	v_lshrrev_b32_e32 v47, 16, v46
	v_and_b32_e32 v46, 0xffff, v46
	;;#ASMSTART
	v_cvt_f32_f16 v46, v46;
	;;#ASMEND
	;;#ASMSTART
	v_cvt_f32_f16 v47, v47;
	;;#ASMEND
	;;#ASMSTART
	v_cvt_f32_f16 v25, v25;
	;;#ASMEND
	;;#ASMSTART
	v_cvt_f32_f16 v26, v26;
	;;#ASMEND
	ds_read_b32 v48, v17 offset:8
	;; [unrolled: 20-line block ×6, first 2 shown]
	v_fma_mixlo_f16 v43, v22, v43, 0
	v_fma_mixlo_f16 v44, v22, v44, 0
	;; [unrolled: 1-line block ×12, first 2 shown]
	v_mul_f32_e32 v22, v46, v25
	v_fmac_f32_e32 v22, v4, v23
	s_waitcnt lgkmcnt(0)
	v_lshrrev_b32_e32 v4, 16, v56
	v_and_b32_e32 v23, 0xffff, v56
	v_and_b32_e32 v25, 0xffff, v35
	;; [unrolled: 1-line block ×3, first 2 shown]
	;;#ASMSTART
	v_cvt_f32_f16 v23, v23;
	;;#ASMEND
	;;#ASMSTART
	v_cvt_f32_f16 v4, v4;
	;;#ASMEND
	;; [unrolled: 3-line block ×4, first 2 shown]
	ds_read_b32 v36, v17 offset:28
	v_mul_f32_e32 v26, v47, v26
	v_fmac_f32_e32 v26, v45, v24
	v_fmac_f32_e32 v22, v48, v27
	v_fmac_f32_e32 v26, v49, v28
	s_waitcnt lgkmcnt(0)
	v_lshrrev_b32_e32 v24, 16, v36
	v_and_b32_e32 v27, 0xffff, v36
	v_and_b32_e32 v28, 0xffff, v37
	v_and_b32_e32 v36, 0xffff, v38
	;;#ASMSTART
	v_cvt_f32_f16 v27, v27;
	;;#ASMEND
	;;#ASMSTART
	v_cvt_f32_f16 v24, v24;
	;;#ASMEND
	;;#ASMSTART
	v_cvt_f32_f16 v28, v28;
	;;#ASMEND
	;;#ASMSTART
	v_cvt_f32_f16 v36, v36;
	;;#ASMEND
	ds_read_b32 v37, v17 offset:32
	v_fmac_f32_e32 v22, v50, v29
	v_fmac_f32_e32 v26, v51, v30
	v_fmac_f32_e32 v22, v52, v31
	v_fmac_f32_e32 v26, v53, v32
	s_waitcnt lgkmcnt(0)
	v_lshrrev_b32_e32 v29, 16, v37
	v_and_b32_e32 v30, 0xffff, v37
	v_and_b32_e32 v31, 0xffff, v39
	v_and_b32_e32 v32, 0xffff, v40
	;;#ASMSTART
	v_cvt_f32_f16 v30, v30;
	;;#ASMEND
	;;#ASMSTART
	v_cvt_f32_f16 v29, v29;
	;;#ASMEND
	;;#ASMSTART
	v_cvt_f32_f16 v31, v31;
	;;#ASMEND
	;;#ASMSTART
	v_cvt_f32_f16 v32, v32;
	;;#ASMEND
	ds_read_b32 v37, v17 offset:36
	v_fmac_f32_e32 v22, v54, v33
	;; [unrolled: 22-line block ×3, first 2 shown]
	v_fmac_f32_e32 v22, v27, v28
	v_fmac_f32_e32 v26, v29, v32
	v_and_b32_e32 v28, 0xffff, v43
	s_waitcnt lgkmcnt(0)
	v_lshrrev_b32_e32 v24, 16, v34
	v_and_b32_e32 v27, 0xffff, v34
	v_and_b32_e32 v29, 0xffff, v44
	v_fmac_f32_e32 v22, v30, v31
	;;#ASMSTART
	v_cvt_f32_f16 v27, v27;
	;;#ASMEND
	;;#ASMSTART
	v_cvt_f32_f16 v24, v24;
	;;#ASMEND
	;; [unrolled: 3-line block ×4, first 2 shown]
	ds_read_b32 v30, v17 offset:44
	v_fmac_f32_e32 v22, v23, v25
	v_fmac_f32_e32 v26, v4, v33
	;; [unrolled: 1-line block ×3, first 2 shown]
	v_and_b32_e32 v12, 0xffff, v12
	s_waitcnt lgkmcnt(0)
	v_lshrrev_b32_e32 v4, 16, v30
	v_and_b32_e32 v23, 0xffff, v30
	;;#ASMSTART
	v_cvt_f32_f16 v23, v23;
	;;#ASMEND
	;;#ASMSTART
	v_cvt_f32_f16 v4, v4;
	;;#ASMEND
	v_and_b32_e32 v13, 0xffff, v13
	;;#ASMSTART
	v_cvt_f32_f16 v12, v12;
	;;#ASMEND
	;;#ASMSTART
	v_cvt_f32_f16 v13, v13;
	;;#ASMEND
	v_fmac_f32_e32 v22, v27, v28
	v_fmac_f32_e32 v26, v4, v13
	v_and_b32_e32 v4, 64, v16
	v_add_u32_e32 v4, 64, v4
	v_xor_b32_e32 v13, 2, v16
	v_cmp_lt_i32_e64 s[0:1], v13, v4
	v_fmac_f32_e32 v22, v23, v12
	v_add_f32_e32 v12, v22, v26
	v_cndmask_b32_e64 v13, v16, v13, s[0:1]
	v_lshlrev_b32_e32 v13, 2, v13
	ds_bpermute_b32 v13, v13, v12
	s_waitcnt lgkmcnt(0)
	v_add_f32_e32 v12, v12, v13
	v_xor_b32_e32 v13, 1, v16
	v_cmp_lt_i32_e64 s[0:1], v13, v4
	s_nop 1
	v_cndmask_b32_e64 v13, v16, v13, s[0:1]
	v_lshlrev_b32_e32 v13, 2, v13
	ds_bpermute_b32 v13, v13, v12
	s_and_saveexec_b64 s[40:41], vcc
	s_cbranch_execz .LBB277_9
; %bb.107:                              ;   in Loop: Header=BB277_10 Depth=1
	v_add_u32_e32 v22, s49, v18
	v_cvt_f32_i32_e32 v22, v22
	s_waitcnt lgkmcnt(0)
	v_add_f32_e32 v12, v12, v13
	v_cmp_gt_i32_e64 s[0:1], s29, v18
	v_max_f32_e32 v13, v15, v15
	v_mul_f32_e32 v22, s10, v22
	v_cndmask_b32_e64 v22, 0, v22, s[6:7]
	v_fmac_f32_e32 v22, s11, v12
	v_cndmask_b32_e64 v12, 0, v22, s[0:1]
	ds_write_b32 v19, v12
	v_max_f32_e32 v12, v13, v22
	v_cndmask_b32_e64 v15, v15, v12, s[0:1]
	s_branch .LBB277_9
.LBB277_108:                            ;   in Loop: Header=BB277_10 Depth=1
	v_cmp_eq_u16_sdwa s[54:55], v4, s51 src0_sel:BYTE_0 src1_sel:DWORD
	s_mov_b64 s[0:1], -1
                                        ; implicit-def: $sgpr44
	s_and_saveexec_b64 s[42:43], s[54:55]
; %bb.109:                              ;   in Loop: Header=BB277_10 Depth=1
	s_mov_b32 s44, 0x7fc02000
	s_xor_b64 s[0:1], exec, -1
; %bb.110:                              ;   in Loop: Header=BB277_10 Depth=1
	s_or_b64 exec, exec, s[42:43]
	s_and_b64 s[0:1], s[0:1], exec
	s_or_saveexec_b64 s[40:41], s[40:41]
	v_mov_b32_e32 v23, s44
	s_xor_b64 exec, exec, s[40:41]
	s_cbranch_execz .LBB277_12
.LBB277_111:                            ;   in Loop: Header=BB277_10 Depth=1
	v_cmp_ne_u16_sdwa s[42:43], v4, v5 src0_sel:BYTE_0 src1_sel:DWORD
	s_andn2_b64 s[0:1], s[0:1], exec
	s_and_b64 s[42:43], s[42:43], exec
	v_mov_b32_e32 v23, 0
	s_or_b64 s[0:1], s[0:1], s[42:43]
	s_or_b64 exec, exec, s[40:41]
	v_and_b32_e32 v4, 0xffff, v4
	s_and_saveexec_b64 s[40:41], s[0:1]
	s_cbranch_execnz .LBB277_13
	s_branch .LBB277_14
.LBB277_112:                            ;   in Loop: Header=BB277_10 Depth=1
	v_cmp_eq_u16_e64 s[0:1], s51, v4
	s_mov_b64 s[40:41], -1
                                        ; implicit-def: $sgpr53
	s_and_saveexec_b64 s[44:45], s[0:1]
; %bb.113:                              ;   in Loop: Header=BB277_10 Depth=1
	s_mov_b32 s53, 0x7fc02000
	s_xor_b64 s[40:41], exec, -1
; %bb.114:                              ;   in Loop: Header=BB277_10 Depth=1
	s_or_b64 exec, exec, s[44:45]
	s_and_b64 s[40:41], s[40:41], exec
	s_or_saveexec_b64 s[42:43], s[42:43]
	v_mov_b32_e32 v24, s53
	s_xor_b64 exec, exec, s[42:43]
	s_cbranch_execz .LBB277_16
.LBB277_115:                            ;   in Loop: Header=BB277_10 Depth=1
	v_cmp_ne_u16_e64 s[0:1], 0, v4
	s_andn2_b64 s[40:41], s[40:41], exec
	s_and_b64 s[0:1], s[0:1], exec
	v_mov_b32_e32 v24, 0
	s_or_b64 s[40:41], s[40:41], s[0:1]
	s_or_b64 exec, exec, s[42:43]
	s_and_saveexec_b64 s[42:43], s[40:41]
	s_cbranch_execnz .LBB277_17
	s_branch .LBB277_18
.LBB277_116:                            ;   in Loop: Header=BB277_10 Depth=1
	v_cmp_eq_u16_sdwa s[54:55], v4, s51 src0_sel:BYTE_0 src1_sel:DWORD
	s_mov_b64 s[0:1], -1
                                        ; implicit-def: $sgpr44
	s_and_saveexec_b64 s[42:43], s[54:55]
; %bb.117:                              ;   in Loop: Header=BB277_10 Depth=1
	s_mov_b32 s44, 0x7fc02000
	s_xor_b64 s[0:1], exec, -1
; %bb.118:                              ;   in Loop: Header=BB277_10 Depth=1
	s_or_b64 exec, exec, s[42:43]
	s_and_b64 s[0:1], s[0:1], exec
	s_or_saveexec_b64 s[40:41], s[40:41]
	v_mov_b32_e32 v25, s44
	s_xor_b64 exec, exec, s[40:41]
	s_cbranch_execz .LBB277_20
.LBB277_119:                            ;   in Loop: Header=BB277_10 Depth=1
	v_cmp_ne_u16_sdwa s[42:43], v4, v5 src0_sel:BYTE_0 src1_sel:DWORD
	s_andn2_b64 s[0:1], s[0:1], exec
	s_and_b64 s[42:43], s[42:43], exec
	v_mov_b32_e32 v25, 0
	s_or_b64 s[0:1], s[0:1], s[42:43]
	s_or_b64 exec, exec, s[40:41]
	v_and_b32_e32 v4, 0xffff, v4
	s_and_saveexec_b64 s[40:41], s[0:1]
	s_cbranch_execnz .LBB277_21
	s_branch .LBB277_22
.LBB277_120:                            ;   in Loop: Header=BB277_10 Depth=1
	v_cmp_eq_u16_e64 s[0:1], s51, v4
	s_mov_b64 s[40:41], -1
                                        ; implicit-def: $sgpr53
	s_and_saveexec_b64 s[44:45], s[0:1]
; %bb.121:                              ;   in Loop: Header=BB277_10 Depth=1
	s_mov_b32 s53, 0x7fc02000
	s_xor_b64 s[40:41], exec, -1
; %bb.122:                              ;   in Loop: Header=BB277_10 Depth=1
	s_or_b64 exec, exec, s[44:45]
	s_and_b64 s[40:41], s[40:41], exec
	s_or_saveexec_b64 s[42:43], s[42:43]
	v_mov_b32_e32 v26, s53
	s_xor_b64 exec, exec, s[42:43]
	s_cbranch_execz .LBB277_24
.LBB277_123:                            ;   in Loop: Header=BB277_10 Depth=1
	v_cmp_ne_u16_e64 s[0:1], 0, v4
	s_andn2_b64 s[40:41], s[40:41], exec
	s_and_b64 s[0:1], s[0:1], exec
	v_mov_b32_e32 v26, 0
	s_or_b64 s[40:41], s[40:41], s[0:1]
	s_or_b64 exec, exec, s[42:43]
	s_and_saveexec_b64 s[42:43], s[40:41]
	s_cbranch_execnz .LBB277_25
	s_branch .LBB277_26
.LBB277_124:                            ;   in Loop: Header=BB277_10 Depth=1
	v_cmp_eq_u16_sdwa s[54:55], v4, s51 src0_sel:BYTE_0 src1_sel:DWORD
	s_mov_b64 s[0:1], -1
                                        ; implicit-def: $sgpr44
	s_and_saveexec_b64 s[42:43], s[54:55]
; %bb.125:                              ;   in Loop: Header=BB277_10 Depth=1
	s_mov_b32 s44, 0x7fc02000
	s_xor_b64 s[0:1], exec, -1
; %bb.126:                              ;   in Loop: Header=BB277_10 Depth=1
	s_or_b64 exec, exec, s[42:43]
	s_and_b64 s[0:1], s[0:1], exec
	s_or_saveexec_b64 s[40:41], s[40:41]
	v_mov_b32_e32 v27, s44
	s_xor_b64 exec, exec, s[40:41]
	s_cbranch_execz .LBB277_28
.LBB277_127:                            ;   in Loop: Header=BB277_10 Depth=1
	v_cmp_ne_u16_sdwa s[42:43], v4, v5 src0_sel:BYTE_0 src1_sel:DWORD
	s_andn2_b64 s[0:1], s[0:1], exec
	s_and_b64 s[42:43], s[42:43], exec
	v_mov_b32_e32 v27, 0
	s_or_b64 s[0:1], s[0:1], s[42:43]
	s_or_b64 exec, exec, s[40:41]
	v_and_b32_e32 v4, 0xffff, v4
	s_and_saveexec_b64 s[40:41], s[0:1]
	s_cbranch_execnz .LBB277_29
	s_branch .LBB277_30
.LBB277_128:                            ;   in Loop: Header=BB277_10 Depth=1
	v_cmp_eq_u16_e64 s[0:1], s51, v4
	s_mov_b64 s[40:41], -1
                                        ; implicit-def: $sgpr53
	s_and_saveexec_b64 s[44:45], s[0:1]
; %bb.129:                              ;   in Loop: Header=BB277_10 Depth=1
	s_mov_b32 s53, 0x7fc02000
	s_xor_b64 s[40:41], exec, -1
; %bb.130:                              ;   in Loop: Header=BB277_10 Depth=1
	s_or_b64 exec, exec, s[44:45]
	s_and_b64 s[40:41], s[40:41], exec
	s_or_saveexec_b64 s[42:43], s[42:43]
	v_mov_b32_e32 v28, s53
	s_xor_b64 exec, exec, s[42:43]
	s_cbranch_execz .LBB277_32
.LBB277_131:                            ;   in Loop: Header=BB277_10 Depth=1
	v_cmp_ne_u16_e64 s[0:1], 0, v4
	s_andn2_b64 s[40:41], s[40:41], exec
	s_and_b64 s[0:1], s[0:1], exec
	v_mov_b32_e32 v28, 0
	s_or_b64 s[40:41], s[40:41], s[0:1]
	s_or_b64 exec, exec, s[42:43]
	s_and_saveexec_b64 s[42:43], s[40:41]
	s_cbranch_execnz .LBB277_33
	s_branch .LBB277_34
.LBB277_132:                            ;   in Loop: Header=BB277_10 Depth=1
	v_cmp_eq_u16_sdwa s[54:55], v4, s51 src0_sel:BYTE_0 src1_sel:DWORD
	s_mov_b64 s[0:1], -1
                                        ; implicit-def: $sgpr44
	s_and_saveexec_b64 s[42:43], s[54:55]
; %bb.133:                              ;   in Loop: Header=BB277_10 Depth=1
	s_mov_b32 s44, 0x7fc02000
	s_xor_b64 s[0:1], exec, -1
; %bb.134:                              ;   in Loop: Header=BB277_10 Depth=1
	s_or_b64 exec, exec, s[42:43]
	s_and_b64 s[0:1], s[0:1], exec
	s_or_saveexec_b64 s[40:41], s[40:41]
	v_mov_b32_e32 v29, s44
	s_xor_b64 exec, exec, s[40:41]
	s_cbranch_execz .LBB277_36
.LBB277_135:                            ;   in Loop: Header=BB277_10 Depth=1
	v_cmp_ne_u16_sdwa s[42:43], v4, v5 src0_sel:BYTE_0 src1_sel:DWORD
	s_andn2_b64 s[0:1], s[0:1], exec
	s_and_b64 s[42:43], s[42:43], exec
	v_mov_b32_e32 v29, 0
	s_or_b64 s[0:1], s[0:1], s[42:43]
	s_or_b64 exec, exec, s[40:41]
	v_and_b32_e32 v4, 0xffff, v4
	s_and_saveexec_b64 s[40:41], s[0:1]
	s_cbranch_execnz .LBB277_37
	s_branch .LBB277_38
.LBB277_136:                            ;   in Loop: Header=BB277_10 Depth=1
	v_cmp_eq_u16_e64 s[0:1], s51, v4
	s_mov_b64 s[40:41], -1
                                        ; implicit-def: $sgpr53
	s_and_saveexec_b64 s[44:45], s[0:1]
; %bb.137:                              ;   in Loop: Header=BB277_10 Depth=1
	s_mov_b32 s53, 0x7fc02000
	s_xor_b64 s[40:41], exec, -1
; %bb.138:                              ;   in Loop: Header=BB277_10 Depth=1
	s_or_b64 exec, exec, s[44:45]
	s_and_b64 s[40:41], s[40:41], exec
	s_or_saveexec_b64 s[42:43], s[42:43]
	v_mov_b32_e32 v30, s53
	s_xor_b64 exec, exec, s[42:43]
	s_cbranch_execz .LBB277_40
.LBB277_139:                            ;   in Loop: Header=BB277_10 Depth=1
	v_cmp_ne_u16_e64 s[0:1], 0, v4
	s_andn2_b64 s[40:41], s[40:41], exec
	s_and_b64 s[0:1], s[0:1], exec
	v_mov_b32_e32 v30, 0
	s_or_b64 s[40:41], s[40:41], s[0:1]
	s_or_b64 exec, exec, s[42:43]
	s_and_saveexec_b64 s[42:43], s[40:41]
	s_cbranch_execnz .LBB277_41
	s_branch .LBB277_42
.LBB277_140:                            ;   in Loop: Header=BB277_10 Depth=1
	v_cmp_eq_u16_sdwa s[54:55], v4, s51 src0_sel:BYTE_0 src1_sel:DWORD
	s_mov_b64 s[0:1], -1
                                        ; implicit-def: $sgpr44
	s_and_saveexec_b64 s[42:43], s[54:55]
; %bb.141:                              ;   in Loop: Header=BB277_10 Depth=1
	s_mov_b32 s44, 0x7fc02000
	s_xor_b64 s[0:1], exec, -1
; %bb.142:                              ;   in Loop: Header=BB277_10 Depth=1
	s_or_b64 exec, exec, s[42:43]
	s_and_b64 s[0:1], s[0:1], exec
	s_or_saveexec_b64 s[40:41], s[40:41]
	v_mov_b32_e32 v31, s44
	s_xor_b64 exec, exec, s[40:41]
	s_cbranch_execz .LBB277_44
.LBB277_143:                            ;   in Loop: Header=BB277_10 Depth=1
	v_cmp_ne_u16_sdwa s[42:43], v4, v5 src0_sel:BYTE_0 src1_sel:DWORD
	s_andn2_b64 s[0:1], s[0:1], exec
	s_and_b64 s[42:43], s[42:43], exec
	v_mov_b32_e32 v31, 0
	s_or_b64 s[0:1], s[0:1], s[42:43]
	s_or_b64 exec, exec, s[40:41]
	v_and_b32_e32 v4, 0xffff, v4
	s_and_saveexec_b64 s[40:41], s[0:1]
	s_cbranch_execnz .LBB277_45
	s_branch .LBB277_46
.LBB277_144:                            ;   in Loop: Header=BB277_10 Depth=1
	v_cmp_eq_u16_e64 s[0:1], s51, v4
	s_mov_b64 s[40:41], -1
                                        ; implicit-def: $sgpr53
	s_and_saveexec_b64 s[44:45], s[0:1]
; %bb.145:                              ;   in Loop: Header=BB277_10 Depth=1
	s_mov_b32 s53, 0x7fc02000
	s_xor_b64 s[40:41], exec, -1
; %bb.146:                              ;   in Loop: Header=BB277_10 Depth=1
	s_or_b64 exec, exec, s[44:45]
	s_and_b64 s[40:41], s[40:41], exec
	s_or_saveexec_b64 s[42:43], s[42:43]
	v_mov_b32_e32 v32, s53
	s_xor_b64 exec, exec, s[42:43]
	s_cbranch_execz .LBB277_48
.LBB277_147:                            ;   in Loop: Header=BB277_10 Depth=1
	v_cmp_ne_u16_e64 s[0:1], 0, v4
	s_andn2_b64 s[40:41], s[40:41], exec
	s_and_b64 s[0:1], s[0:1], exec
	v_mov_b32_e32 v32, 0
	s_or_b64 s[40:41], s[40:41], s[0:1]
	s_or_b64 exec, exec, s[42:43]
	s_and_saveexec_b64 s[42:43], s[40:41]
	s_cbranch_execnz .LBB277_49
	s_branch .LBB277_50
.LBB277_148:                            ;   in Loop: Header=BB277_10 Depth=1
	v_cmp_eq_u16_sdwa s[54:55], v4, s51 src0_sel:BYTE_0 src1_sel:DWORD
	s_mov_b64 s[0:1], -1
                                        ; implicit-def: $sgpr44
	s_and_saveexec_b64 s[42:43], s[54:55]
; %bb.149:                              ;   in Loop: Header=BB277_10 Depth=1
	s_mov_b32 s44, 0x7fc02000
	s_xor_b64 s[0:1], exec, -1
; %bb.150:                              ;   in Loop: Header=BB277_10 Depth=1
	s_or_b64 exec, exec, s[42:43]
	s_and_b64 s[0:1], s[0:1], exec
	s_or_saveexec_b64 s[40:41], s[40:41]
	v_mov_b32_e32 v33, s44
	s_xor_b64 exec, exec, s[40:41]
	s_cbranch_execz .LBB277_52
.LBB277_151:                            ;   in Loop: Header=BB277_10 Depth=1
	v_cmp_ne_u16_sdwa s[42:43], v4, v5 src0_sel:BYTE_0 src1_sel:DWORD
	s_andn2_b64 s[0:1], s[0:1], exec
	s_and_b64 s[42:43], s[42:43], exec
	v_mov_b32_e32 v33, 0
	s_or_b64 s[0:1], s[0:1], s[42:43]
	s_or_b64 exec, exec, s[40:41]
	v_and_b32_e32 v4, 0xffff, v4
	s_and_saveexec_b64 s[40:41], s[0:1]
	s_cbranch_execnz .LBB277_53
	s_branch .LBB277_54
.LBB277_152:                            ;   in Loop: Header=BB277_10 Depth=1
	v_cmp_eq_u16_e64 s[0:1], s51, v4
	s_mov_b64 s[40:41], -1
                                        ; implicit-def: $sgpr53
	s_and_saveexec_b64 s[44:45], s[0:1]
; %bb.153:                              ;   in Loop: Header=BB277_10 Depth=1
	s_mov_b32 s53, 0x7fc02000
	s_xor_b64 s[40:41], exec, -1
; %bb.154:                              ;   in Loop: Header=BB277_10 Depth=1
	s_or_b64 exec, exec, s[44:45]
	s_and_b64 s[40:41], s[40:41], exec
	s_or_saveexec_b64 s[42:43], s[42:43]
	v_mov_b32_e32 v34, s53
	s_xor_b64 exec, exec, s[42:43]
	s_cbranch_execz .LBB277_56
.LBB277_155:                            ;   in Loop: Header=BB277_10 Depth=1
	v_cmp_ne_u16_e64 s[0:1], 0, v4
	s_andn2_b64 s[40:41], s[40:41], exec
	s_and_b64 s[0:1], s[0:1], exec
	v_mov_b32_e32 v34, 0
	s_or_b64 s[40:41], s[40:41], s[0:1]
	s_or_b64 exec, exec, s[42:43]
	s_and_saveexec_b64 s[42:43], s[40:41]
	s_cbranch_execnz .LBB277_57
	s_branch .LBB277_58
.LBB277_156:                            ;   in Loop: Header=BB277_10 Depth=1
	v_cmp_eq_u16_sdwa s[54:55], v4, s51 src0_sel:BYTE_0 src1_sel:DWORD
	s_mov_b64 s[0:1], -1
                                        ; implicit-def: $sgpr44
	s_and_saveexec_b64 s[42:43], s[54:55]
; %bb.157:                              ;   in Loop: Header=BB277_10 Depth=1
	s_mov_b32 s44, 0x7fc02000
	s_xor_b64 s[0:1], exec, -1
; %bb.158:                              ;   in Loop: Header=BB277_10 Depth=1
	s_or_b64 exec, exec, s[42:43]
	s_and_b64 s[0:1], s[0:1], exec
	s_or_saveexec_b64 s[40:41], s[40:41]
	v_mov_b32_e32 v35, s44
	s_xor_b64 exec, exec, s[40:41]
	s_cbranch_execz .LBB277_60
.LBB277_159:                            ;   in Loop: Header=BB277_10 Depth=1
	v_cmp_ne_u16_sdwa s[42:43], v4, v5 src0_sel:BYTE_0 src1_sel:DWORD
	s_andn2_b64 s[0:1], s[0:1], exec
	s_and_b64 s[42:43], s[42:43], exec
	v_mov_b32_e32 v35, 0
	s_or_b64 s[0:1], s[0:1], s[42:43]
	s_or_b64 exec, exec, s[40:41]
	v_and_b32_e32 v4, 0xffff, v4
	s_and_saveexec_b64 s[40:41], s[0:1]
	s_cbranch_execnz .LBB277_61
	s_branch .LBB277_62
.LBB277_160:                            ;   in Loop: Header=BB277_10 Depth=1
	v_cmp_eq_u16_e64 s[0:1], s51, v4
	s_mov_b64 s[40:41], -1
                                        ; implicit-def: $sgpr53
	s_and_saveexec_b64 s[44:45], s[0:1]
; %bb.161:                              ;   in Loop: Header=BB277_10 Depth=1
	s_mov_b32 s53, 0x7fc02000
	s_xor_b64 s[40:41], exec, -1
; %bb.162:                              ;   in Loop: Header=BB277_10 Depth=1
	s_or_b64 exec, exec, s[44:45]
	s_and_b64 s[40:41], s[40:41], exec
	s_or_saveexec_b64 s[42:43], s[42:43]
	v_mov_b32_e32 v36, s53
	s_xor_b64 exec, exec, s[42:43]
	s_cbranch_execz .LBB277_64
.LBB277_163:                            ;   in Loop: Header=BB277_10 Depth=1
	v_cmp_ne_u16_e64 s[0:1], 0, v4
	s_andn2_b64 s[40:41], s[40:41], exec
	s_and_b64 s[0:1], s[0:1], exec
	v_mov_b32_e32 v36, 0
	s_or_b64 s[40:41], s[40:41], s[0:1]
	s_or_b64 exec, exec, s[42:43]
	s_and_saveexec_b64 s[42:43], s[40:41]
	s_cbranch_execnz .LBB277_65
	s_branch .LBB277_66
.LBB277_164:                            ;   in Loop: Header=BB277_10 Depth=1
	v_cmp_eq_u16_sdwa s[54:55], v4, s51 src0_sel:BYTE_0 src1_sel:DWORD
	s_mov_b64 s[0:1], -1
                                        ; implicit-def: $sgpr44
	s_and_saveexec_b64 s[42:43], s[54:55]
; %bb.165:                              ;   in Loop: Header=BB277_10 Depth=1
	s_mov_b32 s44, 0x7fc02000
	s_xor_b64 s[0:1], exec, -1
; %bb.166:                              ;   in Loop: Header=BB277_10 Depth=1
	s_or_b64 exec, exec, s[42:43]
	s_and_b64 s[0:1], s[0:1], exec
	s_or_saveexec_b64 s[40:41], s[40:41]
	v_mov_b32_e32 v37, s44
	s_xor_b64 exec, exec, s[40:41]
	s_cbranch_execz .LBB277_68
.LBB277_167:                            ;   in Loop: Header=BB277_10 Depth=1
	v_cmp_ne_u16_sdwa s[42:43], v4, v5 src0_sel:BYTE_0 src1_sel:DWORD
	s_andn2_b64 s[0:1], s[0:1], exec
	s_and_b64 s[42:43], s[42:43], exec
	v_mov_b32_e32 v37, 0
	s_or_b64 s[0:1], s[0:1], s[42:43]
	s_or_b64 exec, exec, s[40:41]
	v_and_b32_e32 v4, 0xffff, v4
	s_and_saveexec_b64 s[40:41], s[0:1]
	s_cbranch_execnz .LBB277_69
	s_branch .LBB277_70
.LBB277_168:                            ;   in Loop: Header=BB277_10 Depth=1
	v_cmp_eq_u16_e64 s[0:1], s51, v4
	s_mov_b64 s[40:41], -1
                                        ; implicit-def: $sgpr53
	s_and_saveexec_b64 s[44:45], s[0:1]
; %bb.169:                              ;   in Loop: Header=BB277_10 Depth=1
	s_mov_b32 s53, 0x7fc02000
	s_xor_b64 s[40:41], exec, -1
; %bb.170:                              ;   in Loop: Header=BB277_10 Depth=1
	s_or_b64 exec, exec, s[44:45]
	s_and_b64 s[40:41], s[40:41], exec
	s_or_saveexec_b64 s[42:43], s[42:43]
	v_mov_b32_e32 v38, s53
	s_xor_b64 exec, exec, s[42:43]
	s_cbranch_execz .LBB277_72
.LBB277_171:                            ;   in Loop: Header=BB277_10 Depth=1
	v_cmp_ne_u16_e64 s[0:1], 0, v4
	s_andn2_b64 s[40:41], s[40:41], exec
	s_and_b64 s[0:1], s[0:1], exec
	v_mov_b32_e32 v38, 0
	s_or_b64 s[40:41], s[40:41], s[0:1]
	s_or_b64 exec, exec, s[42:43]
	s_and_saveexec_b64 s[42:43], s[40:41]
	s_cbranch_execnz .LBB277_73
	s_branch .LBB277_74
.LBB277_172:                            ;   in Loop: Header=BB277_10 Depth=1
	v_cmp_eq_u16_sdwa s[54:55], v4, s51 src0_sel:BYTE_0 src1_sel:DWORD
	s_mov_b64 s[0:1], -1
                                        ; implicit-def: $sgpr44
	s_and_saveexec_b64 s[42:43], s[54:55]
; %bb.173:                              ;   in Loop: Header=BB277_10 Depth=1
	s_mov_b32 s44, 0x7fc02000
	s_xor_b64 s[0:1], exec, -1
; %bb.174:                              ;   in Loop: Header=BB277_10 Depth=1
	s_or_b64 exec, exec, s[42:43]
	s_and_b64 s[0:1], s[0:1], exec
	s_or_saveexec_b64 s[40:41], s[40:41]
	v_mov_b32_e32 v39, s44
	s_xor_b64 exec, exec, s[40:41]
	s_cbranch_execz .LBB277_76
.LBB277_175:                            ;   in Loop: Header=BB277_10 Depth=1
	v_cmp_ne_u16_sdwa s[42:43], v4, v5 src0_sel:BYTE_0 src1_sel:DWORD
	s_andn2_b64 s[0:1], s[0:1], exec
	s_and_b64 s[42:43], s[42:43], exec
	v_mov_b32_e32 v39, 0
	s_or_b64 s[0:1], s[0:1], s[42:43]
	s_or_b64 exec, exec, s[40:41]
	v_and_b32_e32 v4, 0xffff, v4
	s_and_saveexec_b64 s[40:41], s[0:1]
	s_cbranch_execnz .LBB277_77
	s_branch .LBB277_78
.LBB277_176:                            ;   in Loop: Header=BB277_10 Depth=1
	v_cmp_eq_u16_e64 s[0:1], s51, v4
	s_mov_b64 s[40:41], -1
                                        ; implicit-def: $sgpr53
	s_and_saveexec_b64 s[44:45], s[0:1]
; %bb.177:                              ;   in Loop: Header=BB277_10 Depth=1
	s_mov_b32 s53, 0x7fc02000
	s_xor_b64 s[40:41], exec, -1
; %bb.178:                              ;   in Loop: Header=BB277_10 Depth=1
	s_or_b64 exec, exec, s[44:45]
	s_and_b64 s[40:41], s[40:41], exec
	s_or_saveexec_b64 s[42:43], s[42:43]
	v_mov_b32_e32 v40, s53
	s_xor_b64 exec, exec, s[42:43]
	s_cbranch_execz .LBB277_80
.LBB277_179:                            ;   in Loop: Header=BB277_10 Depth=1
	v_cmp_ne_u16_e64 s[0:1], 0, v4
	s_andn2_b64 s[40:41], s[40:41], exec
	s_and_b64 s[0:1], s[0:1], exec
	v_mov_b32_e32 v40, 0
	s_or_b64 s[40:41], s[40:41], s[0:1]
	s_or_b64 exec, exec, s[42:43]
	s_and_saveexec_b64 s[42:43], s[40:41]
	s_cbranch_execnz .LBB277_81
	s_branch .LBB277_82
.LBB277_180:                            ;   in Loop: Header=BB277_10 Depth=1
	v_cmp_eq_u16_sdwa s[54:55], v4, s51 src0_sel:BYTE_0 src1_sel:DWORD
	s_mov_b64 s[0:1], -1
                                        ; implicit-def: $sgpr44
	s_and_saveexec_b64 s[42:43], s[54:55]
; %bb.181:                              ;   in Loop: Header=BB277_10 Depth=1
	s_mov_b32 s44, 0x7fc02000
	s_xor_b64 s[0:1], exec, -1
; %bb.182:                              ;   in Loop: Header=BB277_10 Depth=1
	s_or_b64 exec, exec, s[42:43]
	s_and_b64 s[0:1], s[0:1], exec
	s_or_saveexec_b64 s[40:41], s[40:41]
	v_mov_b32_e32 v41, s44
	s_xor_b64 exec, exec, s[40:41]
	s_cbranch_execz .LBB277_84
.LBB277_183:                            ;   in Loop: Header=BB277_10 Depth=1
	v_cmp_ne_u16_sdwa s[42:43], v4, v5 src0_sel:BYTE_0 src1_sel:DWORD
	s_andn2_b64 s[0:1], s[0:1], exec
	s_and_b64 s[42:43], s[42:43], exec
	v_mov_b32_e32 v41, 0
	s_or_b64 s[0:1], s[0:1], s[42:43]
	s_or_b64 exec, exec, s[40:41]
	v_and_b32_e32 v4, 0xffff, v4
	s_and_saveexec_b64 s[40:41], s[0:1]
	s_cbranch_execnz .LBB277_85
	s_branch .LBB277_86
.LBB277_184:                            ;   in Loop: Header=BB277_10 Depth=1
	v_cmp_eq_u16_e64 s[0:1], s51, v4
	s_mov_b64 s[40:41], -1
                                        ; implicit-def: $sgpr53
	s_and_saveexec_b64 s[44:45], s[0:1]
; %bb.185:                              ;   in Loop: Header=BB277_10 Depth=1
	s_mov_b32 s53, 0x7fc02000
	s_xor_b64 s[40:41], exec, -1
; %bb.186:                              ;   in Loop: Header=BB277_10 Depth=1
	s_or_b64 exec, exec, s[44:45]
	s_and_b64 s[40:41], s[40:41], exec
	s_or_saveexec_b64 s[42:43], s[42:43]
	v_mov_b32_e32 v42, s53
	s_xor_b64 exec, exec, s[42:43]
	s_cbranch_execz .LBB277_88
.LBB277_187:                            ;   in Loop: Header=BB277_10 Depth=1
	v_cmp_ne_u16_e64 s[0:1], 0, v4
	s_andn2_b64 s[40:41], s[40:41], exec
	s_and_b64 s[0:1], s[0:1], exec
	v_mov_b32_e32 v42, 0
	s_or_b64 s[40:41], s[40:41], s[0:1]
	s_or_b64 exec, exec, s[42:43]
	s_and_saveexec_b64 s[42:43], s[40:41]
	s_cbranch_execnz .LBB277_89
	s_branch .LBB277_90
.LBB277_188:                            ;   in Loop: Header=BB277_10 Depth=1
	v_cmp_eq_u16_sdwa s[54:55], v4, s51 src0_sel:BYTE_0 src1_sel:DWORD
	s_mov_b64 s[0:1], -1
                                        ; implicit-def: $sgpr44
	s_and_saveexec_b64 s[42:43], s[54:55]
; %bb.189:                              ;   in Loop: Header=BB277_10 Depth=1
	s_mov_b32 s44, 0x7fc02000
	s_xor_b64 s[0:1], exec, -1
; %bb.190:                              ;   in Loop: Header=BB277_10 Depth=1
	s_or_b64 exec, exec, s[42:43]
	s_and_b64 s[0:1], s[0:1], exec
	s_or_saveexec_b64 s[40:41], s[40:41]
	v_mov_b32_e32 v43, s44
	s_xor_b64 exec, exec, s[40:41]
	s_cbranch_execz .LBB277_92
.LBB277_191:                            ;   in Loop: Header=BB277_10 Depth=1
	v_cmp_ne_u16_sdwa s[42:43], v4, v5 src0_sel:BYTE_0 src1_sel:DWORD
	s_andn2_b64 s[0:1], s[0:1], exec
	s_and_b64 s[42:43], s[42:43], exec
	v_mov_b32_e32 v43, 0
	s_or_b64 s[0:1], s[0:1], s[42:43]
	s_or_b64 exec, exec, s[40:41]
	v_and_b32_e32 v4, 0xffff, v4
	s_and_saveexec_b64 s[40:41], s[0:1]
	s_cbranch_execnz .LBB277_93
	s_branch .LBB277_94
.LBB277_192:                            ;   in Loop: Header=BB277_10 Depth=1
	v_cmp_eq_u16_e64 s[0:1], s51, v4
	s_mov_b64 s[40:41], -1
                                        ; implicit-def: $sgpr53
	s_and_saveexec_b64 s[44:45], s[0:1]
; %bb.193:                              ;   in Loop: Header=BB277_10 Depth=1
	s_mov_b32 s53, 0x7fc02000
	s_xor_b64 s[40:41], exec, -1
; %bb.194:                              ;   in Loop: Header=BB277_10 Depth=1
	s_or_b64 exec, exec, s[44:45]
	s_and_b64 s[40:41], s[40:41], exec
	s_or_saveexec_b64 s[42:43], s[42:43]
	v_mov_b32_e32 v44, s53
	s_xor_b64 exec, exec, s[42:43]
	s_cbranch_execz .LBB277_96
.LBB277_195:                            ;   in Loop: Header=BB277_10 Depth=1
	v_cmp_ne_u16_e64 s[0:1], 0, v4
	s_andn2_b64 s[40:41], s[40:41], exec
	s_and_b64 s[0:1], s[0:1], exec
	v_mov_b32_e32 v44, 0
	s_or_b64 s[40:41], s[40:41], s[0:1]
	s_or_b64 exec, exec, s[42:43]
	s_and_saveexec_b64 s[42:43], s[40:41]
	s_cbranch_execnz .LBB277_97
	s_branch .LBB277_98
.LBB277_196:                            ;   in Loop: Header=BB277_10 Depth=1
	v_cmp_eq_u16_sdwa s[54:55], v4, s51 src0_sel:BYTE_0 src1_sel:DWORD
	s_mov_b64 s[0:1], -1
                                        ; implicit-def: $sgpr44
	s_and_saveexec_b64 s[42:43], s[54:55]
; %bb.197:                              ;   in Loop: Header=BB277_10 Depth=1
	s_mov_b32 s44, 0x7fc02000
	s_xor_b64 s[0:1], exec, -1
; %bb.198:                              ;   in Loop: Header=BB277_10 Depth=1
	s_or_b64 exec, exec, s[42:43]
	s_and_b64 s[0:1], s[0:1], exec
	s_or_saveexec_b64 s[40:41], s[40:41]
	v_mov_b32_e32 v12, s44
	s_xor_b64 exec, exec, s[40:41]
	s_cbranch_execz .LBB277_100
.LBB277_199:                            ;   in Loop: Header=BB277_10 Depth=1
	v_cmp_ne_u16_sdwa s[42:43], v4, v5 src0_sel:BYTE_0 src1_sel:DWORD
	s_andn2_b64 s[0:1], s[0:1], exec
	s_and_b64 s[42:43], s[42:43], exec
	v_mov_b32_e32 v12, 0
	s_or_b64 s[0:1], s[0:1], s[42:43]
	s_or_b64 exec, exec, s[40:41]
	v_and_b32_e32 v4, 0xffff, v4
	s_and_saveexec_b64 s[40:41], s[0:1]
	s_cbranch_execnz .LBB277_101
	s_branch .LBB277_102
.LBB277_200:                            ;   in Loop: Header=BB277_10 Depth=1
	v_cmp_eq_u16_e64 s[0:1], s51, v4
	s_mov_b64 s[40:41], -1
                                        ; implicit-def: $sgpr53
	s_and_saveexec_b64 s[44:45], s[0:1]
; %bb.201:                              ;   in Loop: Header=BB277_10 Depth=1
	s_mov_b32 s53, 0x7fc02000
	s_xor_b64 s[40:41], exec, -1
; %bb.202:                              ;   in Loop: Header=BB277_10 Depth=1
	s_or_b64 exec, exec, s[44:45]
	s_and_b64 s[40:41], s[40:41], exec
	s_or_saveexec_b64 s[42:43], s[42:43]
	v_mov_b32_e32 v13, s53
	s_xor_b64 exec, exec, s[42:43]
	s_cbranch_execz .LBB277_104
.LBB277_203:                            ;   in Loop: Header=BB277_10 Depth=1
	v_cmp_ne_u16_e64 s[0:1], 0, v4
	s_andn2_b64 s[40:41], s[40:41], exec
	s_and_b64 s[0:1], s[0:1], exec
	v_mov_b32_e32 v13, 0
	s_or_b64 s[40:41], s[40:41], s[0:1]
	s_or_b64 exec, exec, s[42:43]
	s_and_saveexec_b64 s[42:43], s[40:41]
	s_cbranch_execnz .LBB277_105
	s_branch .LBB277_106
.LBB277_204:
	s_or_b64 exec, exec, s[18:19]
.LBB277_205:
	s_or_b64 exec, exec, s[38:39]
	v_xor_b32_e32 v5, 32, v16
	v_cmp_lt_i32_e32 vcc, v5, v4
	v_xor_b32_e32 v8, 16, v16
	v_max_f32_e32 v7, v15, v15
	v_cndmask_b32_e32 v5, v16, v5, vcc
	v_lshlrev_b32_e32 v5, 2, v5
	ds_bpermute_b32 v6, v5, v15
	v_cmp_lt_i32_e32 vcc, v8, v4
	v_xor_b32_e32 v9, 8, v16
	v_and_b32_e32 v15, 63, v0
	s_waitcnt lgkmcnt(0)
	v_max_f32_e32 v6, v6, v6
	v_max_f32_e32 v6, v7, v6
	v_cndmask_b32_e32 v7, v16, v8, vcc
	v_lshlrev_b32_e32 v7, 2, v7
	ds_bpermute_b32 v8, v7, v6
	v_cmp_lt_i32_e32 vcc, v9, v4
	s_waitcnt lgkmcnt(0)
	v_max_f32_e32 v8, v8, v8
	v_max_f32_e32 v6, v6, v8
	v_cndmask_b32_e32 v8, v16, v9, vcc
	v_lshlrev_b32_e32 v10, 2, v8
	ds_bpermute_b32 v8, v10, v6
	v_xor_b32_e32 v9, 4, v16
	v_cmp_lt_i32_e32 vcc, v9, v4
	s_waitcnt lgkmcnt(0)
	v_max_f32_e32 v8, v8, v8
	v_max_f32_e32 v6, v6, v8
	v_cndmask_b32_e32 v8, v16, v9, vcc
	v_lshlrev_b32_e32 v11, 2, v8
	ds_bpermute_b32 v9, v11, v6
	v_cmp_eq_u32_e32 vcc, 0, v15
	v_lshlrev_b32_e32 v8, 2, v1
	s_and_saveexec_b64 s[0:1], vcc
	s_cbranch_execz .LBB277_207
; %bb.206:
	s_waitcnt lgkmcnt(0)
	v_max_f32_e32 v9, v9, v9
	v_max_f32_e32 v6, v6, v6
	;; [unrolled: 1-line block ×3, first 2 shown]
	ds_write_b32 v8, v6 offset:192
.LBB277_207:
	s_or_b64 exec, exec, s[0:1]
	v_cmp_gt_u32_e64 s[0:1], 2, v15
	v_mov_b32_e32 v6, 0xff7fffff
	s_waitcnt lgkmcnt(0)
	v_lshlrev_b32_e32 v9, 2, v15
	s_barrier
	s_and_saveexec_b64 s[6:7], s[0:1]
	s_cbranch_execz .LBB277_209
; %bb.208:
	ds_read_b32 v6, v9 offset:192
.LBB277_209:
	s_or_b64 exec, exec, s[6:7]
	v_xor_b32_e32 v12, 1, v16
	v_cmp_lt_i32_e64 s[6:7], v12, v4
	s_sub_i32 s3, s33, s3
	s_lshl_b32 s3, s3, 4
	v_cndmask_b32_e64 v12, v16, v12, s[6:7]
	v_lshlrev_b32_e32 v22, 2, v12
	s_waitcnt lgkmcnt(0)
	ds_bpermute_b32 v12, v22, v6
	v_max_f32_e32 v6, v6, v6
	s_add_i32 s3, s3, s46
	s_min_i32 s38, s3, s29
	s_sub_i32 s3, s38, s46
	s_waitcnt lgkmcnt(0)
	v_max_f32_e32 v12, v12, v12
	v_max_f32_e32 v6, v6, v12
	v_lshlrev_b32_e32 v12, 2, v16
	v_and_b32_e32 v12, 0xffffff00, v12
	ds_bpermute_b32 v6, v12, v6
	v_cmp_gt_i32_e64 s[6:7], s3, v0
	v_mov_b32_e32 v13, 0
	s_and_saveexec_b64 s[12:13], s[6:7]
	s_cbranch_execz .LBB277_213
; %bb.210:
	v_mov_b32_e32 v13, 0xd0
	v_lshl_add_u32 v17, v0, 2, v13
	s_mov_b64 s[18:19], 0
	v_mov_b32_e32 v13, 0
	v_mov_b32_e32 v18, v0
.LBB277_211:                            ; =>This Inner Loop Header: Depth=1
	ds_read_b32 v19, v17
	v_add_u32_e32 v18, 0x80, v18
	v_cmp_le_i32_e64 s[10:11], s3, v18
	s_or_b64 s[18:19], s[10:11], s[18:19]
	s_waitcnt lgkmcnt(0)
	v_sub_f32_e32 v19, v19, v6
	v_mul_f32_e32 v19, 0x3fb8aa3b, v19
	v_exp_f32_e32 v19, v19
	ds_write_b32 v17, v19
	v_add_f32_e32 v13, v13, v19
	v_add_u32_e32 v17, 0x200, v17
	s_andn2_b64 exec, exec, s[18:19]
	s_cbranch_execnz .LBB277_211
; %bb.212:
	s_or_b64 exec, exec, s[18:19]
.LBB277_213:
	s_or_b64 exec, exec, s[12:13]
	ds_bpermute_b32 v5, v5, v13
	s_waitcnt lgkmcnt(0)
	v_add_f32_e32 v5, v13, v5
	ds_bpermute_b32 v7, v7, v5
	s_waitcnt lgkmcnt(0)
	v_add_f32_e32 v5, v5, v7
	ds_bpermute_b32 v7, v10, v5
	v_xor_b32_e32 v10, 2, v16
	v_cmp_lt_i32_e64 s[10:11], v10, v4
	s_waitcnt lgkmcnt(0)
	v_add_f32_e32 v5, v5, v7
	ds_bpermute_b32 v7, v11, v5
	v_cndmask_b32_e64 v4, v16, v10, s[10:11]
	v_lshlrev_b32_e32 v4, 2, v4
	s_waitcnt lgkmcnt(0)
	v_add_f32_e32 v5, v5, v7
	ds_bpermute_b32 v4, v4, v5
	s_waitcnt lgkmcnt(0)
	v_add_f32_e32 v4, v5, v4
	ds_bpermute_b32 v5, v22, v4
	s_waitcnt lgkmcnt(0)
	v_add_f32_e32 v4, v4, v5
	s_and_saveexec_b64 s[10:11], vcc
	s_cbranch_execz .LBB277_215
; %bb.214:
	ds_write_b32 v8, v4 offset:200
.LBB277_215:
	s_or_b64 exec, exec, s[10:11]
	s_waitcnt lgkmcnt(0)
	s_barrier
	s_and_saveexec_b64 s[10:11], s[0:1]
	s_cbranch_execz .LBB277_217
; %bb.216:
	ds_read_b32 v4, v9 offset:200
.LBB277_217:
	s_or_b64 exec, exec, s[10:11]
	s_waitcnt lgkmcnt(0)
	ds_bpermute_b32 v5, v22, v4
	s_waitcnt lgkmcnt(0)
	v_add_f32_e32 v4, v4, v5
	ds_bpermute_b32 v7, v12, v4
	s_and_saveexec_b64 s[0:1], s[6:7]
	s_cbranch_execz .LBB277_230
; %bb.218:
	s_waitcnt lgkmcnt(0)
	v_add_f32_e32 v4, 0x358637bd, v7
	v_div_scale_f32 v5, s[6:7], v4, v4, 1.0
	v_rcp_f32_e32 v8, v5
	v_div_scale_f32 v9, vcc, 1.0, v4, 1.0
	s_movk_i32 s6, 0x7f
	v_fma_f32 v10, -v5, v8, 1.0
	v_fmac_f32_e32 v8, v10, v8
	v_mul_f32_e32 v10, v9, v8
	v_fma_f32 v11, -v5, v10, v9
	v_fmac_f32_e32 v10, v11, v8
	v_fma_f32 v5, -v5, v10, v9
	v_div_fmas_f32 v5, v5, v8, v10
	v_div_fixup_f32 v4, v5, v4, 1.0
	v_xad_u32 v5, v0, -1, s38
	v_subrev_u32_e32 v8, s46, v5
	v_cmp_lt_u32_e32 vcc, s6, v8
	s_mov_b64 s[10:11], -1
	v_mov_b32_e32 v5, v0
	s_and_saveexec_b64 s[6:7], vcc
	s_cbranch_execz .LBB277_227
; %bb.219:
	v_lshrrev_b32_e32 v8, 7, v8
	v_add_u32_e32 v10, -1, v8
	v_lshrrev_b32_e32 v9, 1, v10
	v_mov_b32_e32 v5, v4
	v_add_u32_e32 v9, 1, v9
	v_cmp_lt_u32_e32 vcc, 13, v10
	v_mov_b32_e32 v12, 0
	s_and_saveexec_b64 s[10:11], vcc
	s_cbranch_execz .LBB277_223
; %bb.220:
	v_mov_b32_e32 v11, 0xd0
	v_and_b32_e32 v10, -8, v9
	v_lshl_add_u32 v11, v0, 2, v11
	s_mov_b32 s18, 0
	s_mov_b64 s[12:13], 0
.LBB277_221:                            ; =>This Inner Loop Header: Depth=1
	ds_read2st64_b32 v[12:13], v11 offset1:2
	ds_read2st64_b32 v[16:17], v11 offset0:4 offset1:6
	ds_read2st64_b32 v[18:19], v11 offset0:8 offset1:10
	;; [unrolled: 1-line block ×3, first 2 shown]
	v_add_u32_e32 v10, -8, v10
	s_waitcnt lgkmcnt(3)
	v_pk_mul_f32 v[12:13], v[4:5], v[12:13]
	s_waitcnt lgkmcnt(2)
	v_pk_mul_f32 v[16:17], v[4:5], v[16:17]
	ds_write2st64_b32 v11, v12, v13 offset1:2
	ds_write2st64_b32 v11, v16, v17 offset0:4 offset1:6
	ds_read2st64_b32 v[16:17], v11 offset0:16 offset1:18
	s_waitcnt lgkmcnt(4)
	v_pk_mul_f32 v[12:13], v[4:5], v[18:19]
	ds_write2st64_b32 v11, v12, v13 offset0:8 offset1:10
	s_waitcnt lgkmcnt(4)
	v_pk_mul_f32 v[12:13], v[4:5], v[20:21]
	ds_write2st64_b32 v11, v12, v13 offset0:12 offset1:14
	ds_read2st64_b32 v[12:13], v11 offset0:20 offset1:22
	s_waitcnt lgkmcnt(3)
	v_pk_mul_f32 v[16:17], v[4:5], v[16:17]
	ds_read2st64_b32 v[18:19], v11 offset0:24 offset1:26
	ds_write2st64_b32 v11, v16, v17 offset0:16 offset1:18
	ds_read2st64_b32 v[16:17], v11 offset0:28 offset1:30
	s_waitcnt lgkmcnt(3)
	v_pk_mul_f32 v[12:13], v[4:5], v[12:13]
	ds_write2st64_b32 v11, v12, v13 offset0:20 offset1:22
	s_waitcnt lgkmcnt(3)
	v_pk_mul_f32 v[12:13], v[4:5], v[18:19]
	ds_write2st64_b32 v11, v12, v13 offset0:24 offset1:26
	s_waitcnt lgkmcnt(2)
	v_pk_mul_f32 v[12:13], v[4:5], v[16:17]
	s_add_i32 s18, s18, 16
	v_cmp_eq_u32_e32 vcc, 0, v10
	ds_write2st64_b32 v11, v12, v13 offset0:28 offset1:30
	v_add_u32_e32 v11, 0x2000, v11
	s_or_b64 s[12:13], vcc, s[12:13]
	v_mov_b32_e32 v12, s18
	s_andn2_b64 exec, exec, s[12:13]
	s_cbranch_execnz .LBB277_221
; %bb.222:
	s_or_b64 exec, exec, s[12:13]
.LBB277_223:
	s_or_b64 exec, exec, s[10:11]
	v_and_b32_e32 v9, 7, v9
	v_cmp_ne_u32_e32 vcc, 0, v9
	s_and_saveexec_b64 s[10:11], vcc
	s_cbranch_execz .LBB277_226
; %bb.224:
	v_lshlrev_b32_e32 v10, 9, v12
	v_lshlrev_b32_e32 v11, 2, v0
	s_movk_i32 s12, 0xd0
	v_add3_u32 v10, v10, v11, s12
	s_mov_b64 s[12:13], 0
.LBB277_225:                            ; =>This Inner Loop Header: Depth=1
	ds_read2st64_b32 v[12:13], v10 offset1:2
	v_add_u32_e32 v9, -1, v9
	v_cmp_eq_u32_e32 vcc, 0, v9
	s_or_b64 s[12:13], vcc, s[12:13]
	s_waitcnt lgkmcnt(0)
	v_pk_mul_f32 v[12:13], v[4:5], v[12:13]
	ds_write2st64_b32 v10, v12, v13 offset1:2
	v_add_u32_e32 v10, 0x400, v10
	s_andn2_b64 exec, exec, s[12:13]
	s_cbranch_execnz .LBB277_225
.LBB277_226:
	s_or_b64 exec, exec, s[10:11]
	v_add_u32_e32 v8, 1, v8
	v_and_b32_e32 v9, 0x3fffffe, v8
	v_cmp_ne_u32_e32 vcc, v8, v9
	v_lshl_add_u32 v5, v9, 7, v0
	s_orn2_b64 s[10:11], vcc, exec
.LBB277_227:
	s_or_b64 exec, exec, s[6:7]
	s_and_b64 exec, exec, s[10:11]
	s_cbranch_execz .LBB277_230
; %bb.228:
	v_mov_b32_e32 v8, 0xd0
	v_lshl_add_u32 v8, v5, 2, v8
	s_mov_b64 s[6:7], 0
.LBB277_229:                            ; =>This Inner Loop Header: Depth=1
	ds_read_b32 v9, v8
	v_add_u32_e32 v5, 0x80, v5
	v_cmp_le_i32_e32 vcc, s3, v5
	s_or_b64 s[6:7], vcc, s[6:7]
	s_waitcnt lgkmcnt(0)
	v_mul_f32_e32 v9, v4, v9
	ds_write_b32 v8, v9
	v_add_u32_e32 v8, 0x200, v8
	s_andn2_b64 exec, exec, s[6:7]
	s_cbranch_execnz .LBB277_229
.LBB277_230:
	s_or_b64 exec, exec, s[0:1]
	s_mul_i32 s0, s25, s28
	v_cmp_eq_u32_e32 vcc, 0, v0
	s_mul_i32 s6, s0, s5
	s_waitcnt lgkmcnt(0)
	s_barrier
	s_and_saveexec_b64 s[0:1], vcc
	s_cbranch_execz .LBB277_232
; %bb.231:
	s_ashr_i32 s7, s6, 31
	s_lshl_b64 s[10:11], s[6:7], 2
	s_add_u32 s5, s22, s10
	s_mul_i32 s2, s25, s2
	s_addc_u32 s7, s23, s11
	s_ashr_i32 s3, s2, 31
	s_lshl_b64 s[2:3], s[2:3], 2
	s_add_u32 s18, s5, s2
	s_addc_u32 s7, s7, s3
	s_ashr_i32 s5, s4, 31
	s_lshl_b64 s[12:13], s[4:5], 2
	s_add_u32 s18, s18, s12
	s_addc_u32 s19, s7, s13
	s_add_u32 s5, s20, s10
	s_addc_u32 s7, s21, s11
	;; [unrolled: 2-line block ×3, first 2 shown]
	s_add_u32 s2, s2, s12
	v_mov_b32_e32 v4, 0
	s_addc_u32 s3, s3, s13
	global_store_dword v4, v6, s[18:19]
	global_store_dword v4, v7, s[2:3]
.LBB277_232:
	s_or_b64 exec, exec, s[0:1]
	v_mov_b32_e32 v24, 0
	v_and_b32_e32 v23, 1, v0
	v_mov_b32_e32 v7, 0
	v_mov_b32_e32 v6, 0
	s_and_saveexec_b64 s[2:3], s[8:9]
	s_cbranch_execz .LBB277_434
; %bb.233:
	s_ashr_i32 s1, s47, 31
	v_lshlrev_b32_e32 v4, 3, v0
	s_add_u32 s0, s36, s47
	v_and_b32_e32 v6, 8, v4
	s_addc_u32 s1, s37, s1
	v_and_b32_e32 v4, 0x1f8, v4
	v_mov_b32_e32 v5, 0
	s_add_i32 s7, s16, -1
	v_lshl_add_u64 v[8:9], s[0:1], 0, v[4:5]
	s_lshl_b64 s[0:1], s[34:35], 2
	v_lshlrev_b32_e32 v4, 5, v23
	s_add_u32 s0, s30, s0
	v_lshl_or_b32 v1, v1, 6, v4
	s_addc_u32 s1, s31, s1
	s_mov_b32 s5, s17
	s_mov_b32 s18, s29
	v_add3_u32 v25, s46, v14, v6
	v_add_u32_e32 v1, 0xd0, v1
	v_lshl_add_u64 v[10:11], v[2:3], 2, s[0:1]
	s_mov_b64 s[8:9], 0
	s_movk_i32 s19, 0x7f
	s_movk_i32 s20, 0x80
	s_mov_b32 s21, 0x8000
	s_movk_i32 s22, 0x380
	s_mov_b32 s23, 0x3020706
	s_mov_b32 s28, 0x1000504
	;; [unrolled: 1-line block ×3, first 2 shown]
	v_mov_b32_e32 v3, 0x1c00
	v_mov_b32_e32 v6, 0
	;; [unrolled: 1-line block ×4, first 2 shown]
	s_branch .LBB277_235
.LBB277_234:                            ;   in Loop: Header=BB277_235 Depth=1
	s_or_b64 exec, exec, s[0:1]
	;;#ASMSTART
	v_pk_mul_f16 v12, v33, v12;

	;;#ASMEND
	;;#ASMSTART
	v_pk_mul_f16 v4, v34, v4;

	;;#ASMEND
	;; [unrolled: 4-line block ×4, first 2 shown]
	v_add_f32_e32 v16, v37, v38
	;;#ASMSTART
	v_pk_add_f16 v4, v12, v4;

	;;#ASMEND
	v_add_u32_e32 v2, 2, v2
	;;#ASMSTART
	v_pk_add_f16 v4, v4, v13;

	;;#ASMEND
	v_add_f32_e32 v6, v6, v16
	;;#ASMSTART
	v_pk_add_f16 v4, v4, v14;

	;;#ASMEND
	v_add_f32_e32 v16, v20, v21
	v_lshrrev_b32_e32 v12, 16, v4
	v_and_b32_e32 v4, 0xffff, v4
	;;#ASMSTART
	v_cvt_f32_f16 v4, v4;
	;;#ASMEND
	;;#ASMSTART
	v_cvt_f32_f16 v12, v12;
	;;#ASMEND
	v_cmp_le_i32_e32 vcc, s33, v2
	v_add_f32_e32 v4, v4, v12
	v_add_f32_e32 v7, v7, v16
	;; [unrolled: 1-line block ×3, first 2 shown]
	v_add_u32_e32 v25, 32, v25
	v_add_u32_e32 v1, 0x80, v1
	s_or_b64 s[8:9], vcc, s[8:9]
	v_lshl_add_u64 v[10:11], v[10:11], 0, 8
	s_andn2_b64 exec, exec, s[8:9]
	s_cbranch_execz .LBB277_433
.LBB277_235:                            ; =>This Inner Loop Header: Depth=1
	ds_read2_b64 v[16:19], v1 offset1:1
	ds_read2_b64 v[26:29], v1 offset0:2 offset1:3
                                        ; implicit-def: $sgpr16
	s_waitcnt lgkmcnt(1)
	;;#ASMSTART
	v_cvt_f16_f32 v33, v16;

	;;#ASMEND
	;;#ASMSTART
	v_cvt_f16_f32 v34, v17;

	;;#ASMEND
	;; [unrolled: 4-line block ×4, first 2 shown]
	s_waitcnt lgkmcnt(0)
	;;#ASMSTART
	v_cvt_f16_f32 v37, v26;

	;;#ASMEND
	;;#ASMSTART
	v_cvt_f16_f32 v38, v27;

	;;#ASMEND
	;; [unrolled: 4-line block ×4, first 2 shown]
	global_load_dword v4, v[10:11], off
	s_waitcnt vmcnt(0)
	v_mad_i64_i32 v[12:13], s[0:1], v4, s5, v[8:9]
	global_load_dwordx2 v[16:17], v[12:13], off
	global_load_dword v14, v5, s[14:15]
	s_mov_b64 s[0:1], 0
	s_waitcnt vmcnt(1)
	v_cmp_gt_i16_sdwa s[10:11], v16, s19 src0_sel:BYTE_0 src1_sel:DWORD
	s_and_saveexec_b64 s[12:13], s[10:11]
	s_xor_b64 s[10:11], exec, s[12:13]
	s_cbranch_execnz .LBB277_337
; %bb.236:                              ;   in Loop: Header=BB277_235 Depth=1
	s_or_saveexec_b64 s[10:11], s[10:11]
	v_mov_b32_e32 v18, s16
	s_xor_b64 exec, exec, s[10:11]
	s_cbranch_execnz .LBB277_340
.LBB277_237:                            ;   in Loop: Header=BB277_235 Depth=1
	s_or_b64 exec, exec, s[10:11]
	s_and_saveexec_b64 s[10:11], s[0:1]
	s_cbranch_execz .LBB277_239
.LBB277_238:                            ;   in Loop: Header=BB277_235 Depth=1
	v_and_b32_e32 v4, 7, v16
	v_ffbh_u32_e32 v4, v4
	v_bfe_u32 v18, v16, 3, 4
	v_min_u32_e32 v4, 32, v4
	v_subrev_u32_e32 v19, 28, v4
	v_sub_u32_e32 v4, 29, v4
	v_cmp_eq_u32_e32 vcc, 0, v18
	s_nop 1
	v_cndmask_b32_e32 v4, v18, v4, vcc
	v_cndmask_b32_e32 v18, 0, v19, vcc
	v_lshlrev_b64 v[18:19], v18, v[16:17]
	v_lshlrev_b32_e32 v19, 8, v16
	v_lshl_add_u32 v4, v4, 10, v3
	v_lshlrev_b32_e32 v18, 7, v18
	v_and_or_b32 v4, v19, s21, v4
	v_and_or_b32 v4, v18, s22, v4
	v_cvt_f32_f16_e32 v18, v4
.LBB277_239:                            ;   in Loop: Header=BB277_235 Depth=1
	s_or_b64 exec, exec, s[10:11]
	v_lshrrev_b16_e32 v4, 8, v16
	v_cmp_lt_i16_e32 vcc, s19, v4
	s_mov_b64 s[0:1], 0
                                        ; implicit-def: $sgpr16
	s_and_saveexec_b64 s[10:11], vcc
	s_xor_b64 s[10:11], exec, s[10:11]
	s_cbranch_execnz .LBB277_341
; %bb.240:                              ;   in Loop: Header=BB277_235 Depth=1
	s_or_saveexec_b64 s[10:11], s[10:11]
	v_mov_b32_e32 v20, s16
	s_xor_b64 exec, exec, s[10:11]
	s_cbranch_execnz .LBB277_344
.LBB277_241:                            ;   in Loop: Header=BB277_235 Depth=1
	s_or_b64 exec, exec, s[10:11]
	s_and_saveexec_b64 s[10:11], s[0:1]
	s_cbranch_execz .LBB277_243
.LBB277_242:                            ;   in Loop: Header=BB277_235 Depth=1
	v_and_b32_e32 v19, 7, v4
	v_ffbh_u32_e32 v20, v19
	v_min_u32_e32 v27, 32, v20
	v_subrev_u32_e32 v20, 28, v27
	v_bfe_u32 v26, v4, 3, 4
	v_lshlrev_b64 v[20:21], v20, v[4:5]
	v_sub_u32_e32 v21, 29, v27
	v_cmp_eq_u32_e32 vcc, 0, v26
	v_and_b32_e32 v20, 7, v20
	v_lshlrev_b32_e32 v4, 8, v4
	v_cndmask_b32_e32 v21, v26, v21, vcc
	v_cndmask_b32_e32 v19, v19, v20, vcc
	v_lshl_add_u32 v20, v21, 10, v3
	v_and_or_b32 v4, v4, s21, v20
	v_lshl_or_b32 v4, v19, 7, v4
	v_cvt_f32_f16_e32 v20, v4
.LBB277_243:                            ;   in Loop: Header=BB277_235 Depth=1
	s_or_b64 exec, exec, s[10:11]
	v_lshrrev_b32_e32 v4, 16, v16
	v_cmp_gt_i16_sdwa s[10:11], v4, s19 src0_sel:BYTE_0 src1_sel:DWORD
	s_mov_b64 s[0:1], 0
                                        ; implicit-def: $sgpr16
	s_and_saveexec_b64 s[12:13], s[10:11]
	s_xor_b64 s[10:11], exec, s[12:13]
	s_cbranch_execnz .LBB277_345
; %bb.244:                              ;   in Loop: Header=BB277_235 Depth=1
	s_or_saveexec_b64 s[10:11], s[10:11]
	v_mov_b32_e32 v19, s16
	s_xor_b64 exec, exec, s[10:11]
	s_cbranch_execnz .LBB277_348
.LBB277_245:                            ;   in Loop: Header=BB277_235 Depth=1
	s_or_b64 exec, exec, s[10:11]
	s_and_saveexec_b64 s[10:11], s[0:1]
	s_cbranch_execz .LBB277_247
.LBB277_246:                            ;   in Loop: Header=BB277_235 Depth=1
	v_bfe_u32 v19, v16, 16, 3
	v_ffbh_u32_e32 v26, v19
	v_min_u32_e32 v28, 32, v26
	v_subrev_u32_e32 v26, 28, v28
	v_bfe_u32 v21, v16, 19, 4
	v_lshlrev_b64 v[26:27], v26, v[4:5]
	v_sub_u32_e32 v27, 29, v28
	v_cmp_eq_u32_e32 vcc, 0, v21
	v_and_b32_e32 v26, 7, v26
	v_lshlrev_b32_e32 v4, 8, v4
	v_cndmask_b32_e32 v21, v21, v27, vcc
	v_lshl_add_u32 v21, v21, 10, v3
	v_cndmask_b32_e32 v19, v19, v26, vcc
	v_and_or_b32 v4, v4, s21, v21
	v_lshl_or_b32 v4, v19, 7, v4
	v_cvt_f32_f16_e32 v19, v4
.LBB277_247:                            ;   in Loop: Header=BB277_235 Depth=1
	s_or_b64 exec, exec, s[10:11]
	v_lshrrev_b32_e32 v4, 24, v16
	v_cmp_lt_i16_e32 vcc, s19, v4
	s_mov_b64 s[0:1], 0
                                        ; implicit-def: $sgpr16
	s_and_saveexec_b64 s[10:11], vcc
	s_xor_b64 s[10:11], exec, s[10:11]
	s_cbranch_execnz .LBB277_349
; %bb.248:                              ;   in Loop: Header=BB277_235 Depth=1
	s_or_saveexec_b64 s[10:11], s[10:11]
	v_mov_b32_e32 v21, s16
	s_xor_b64 exec, exec, s[10:11]
	s_cbranch_execnz .LBB277_352
.LBB277_249:                            ;   in Loop: Header=BB277_235 Depth=1
	s_or_b64 exec, exec, s[10:11]
	s_and_saveexec_b64 s[10:11], s[0:1]
	s_cbranch_execz .LBB277_251
.LBB277_250:                            ;   in Loop: Header=BB277_235 Depth=1
	v_bfe_u32 v21, v16, 24, 3
	v_ffbh_u32_e32 v26, v21
	v_min_u32_e32 v28, 32, v26
	v_subrev_u32_e32 v26, 28, v28
	v_bfe_u32 v16, v16, 27, 4
	v_lshlrev_b64 v[26:27], v26, v[4:5]
	v_sub_u32_e32 v27, 29, v28
	v_cmp_eq_u32_e32 vcc, 0, v16
	v_and_b32_e32 v26, 7, v26
	v_lshlrev_b32_e32 v4, 8, v4
	v_cndmask_b32_e32 v16, v16, v27, vcc
	v_lshl_add_u32 v16, v16, 10, v3
	v_cndmask_b32_e32 v21, v21, v26, vcc
	v_and_or_b32 v4, v4, s21, v16
	v_lshl_or_b32 v4, v21, 7, v4
	v_cvt_f32_f16_e32 v21, v4
.LBB277_251:                            ;   in Loop: Header=BB277_235 Depth=1
	s_or_b64 exec, exec, s[10:11]
	v_cmp_gt_i16_sdwa s[10:11], v17, s19 src0_sel:BYTE_0 src1_sel:DWORD
	s_mov_b64 s[0:1], 0
                                        ; implicit-def: $sgpr16
	s_and_saveexec_b64 s[12:13], s[10:11]
	s_xor_b64 s[10:11], exec, s[12:13]
	s_cbranch_execnz .LBB277_353
; %bb.252:                              ;   in Loop: Header=BB277_235 Depth=1
	s_or_saveexec_b64 s[10:11], s[10:11]
	v_mov_b32_e32 v16, s16
	s_xor_b64 exec, exec, s[10:11]
	s_cbranch_execnz .LBB277_356
.LBB277_253:                            ;   in Loop: Header=BB277_235 Depth=1
	s_or_b64 exec, exec, s[10:11]
	v_mov_b32_e32 v4, v17
	s_and_saveexec_b64 s[10:11], s[0:1]
	s_cbranch_execz .LBB277_255
.LBB277_254:                            ;   in Loop: Header=BB277_235 Depth=1
	v_and_b32_e32 v16, 7, v17
	v_ffbh_u32_e32 v16, v16
	v_bfe_u32 v26, v17, 3, 4
	v_min_u32_e32 v16, 32, v16
	v_subrev_u32_e32 v27, 28, v16
	v_sub_u32_e32 v16, 29, v16
	v_cmp_eq_u32_e32 vcc, 0, v26
	s_nop 1
	v_cndmask_b32_e32 v16, v26, v16, vcc
	v_cndmask_b32_e32 v26, 0, v27, vcc
	v_lshlrev_b64 v[26:27], v26, v[4:5]
	v_lshlrev_b32_e32 v27, 8, v17
	v_lshl_add_u32 v16, v16, 10, v3
	v_lshlrev_b32_e32 v26, 7, v26
	v_and_or_b32 v16, v27, s21, v16
	v_and_or_b32 v16, v26, s22, v16
	v_cvt_f32_f16_e32 v16, v16
.LBB277_255:                            ;   in Loop: Header=BB277_235 Depth=1
	s_or_b64 exec, exec, s[10:11]
	v_lshrrev_b16_e32 v4, 8, v4
	v_cmp_lt_i16_e32 vcc, s19, v4
	s_mov_b64 s[0:1], 0
                                        ; implicit-def: $sgpr16
	s_and_saveexec_b64 s[10:11], vcc
	s_xor_b64 s[10:11], exec, s[10:11]
	s_cbranch_execnz .LBB277_357
; %bb.256:                              ;   in Loop: Header=BB277_235 Depth=1
	s_or_saveexec_b64 s[10:11], s[10:11]
	v_mov_b32_e32 v26, s16
	s_xor_b64 exec, exec, s[10:11]
	s_cbranch_execnz .LBB277_360
.LBB277_257:                            ;   in Loop: Header=BB277_235 Depth=1
	s_or_b64 exec, exec, s[10:11]
	s_and_saveexec_b64 s[10:11], s[0:1]
	s_cbranch_execz .LBB277_259
.LBB277_258:                            ;   in Loop: Header=BB277_235 Depth=1
	v_and_b32_e32 v28, 7, v4
	v_ffbh_u32_e32 v26, v28
	v_min_u32_e32 v30, 32, v26
	v_subrev_u32_e32 v26, 28, v30
	v_bfe_u32 v29, v4, 3, 4
	v_lshlrev_b64 v[26:27], v26, v[4:5]
	v_sub_u32_e32 v27, 29, v30
	v_cmp_eq_u32_e32 vcc, 0, v29
	v_and_b32_e32 v26, 7, v26
	v_lshlrev_b32_e32 v4, 8, v4
	v_cndmask_b32_e32 v27, v29, v27, vcc
	v_lshl_add_u32 v27, v27, 10, v3
	v_cndmask_b32_e32 v26, v28, v26, vcc
	v_and_or_b32 v4, v4, s21, v27
	v_lshl_or_b32 v4, v26, 7, v4
	v_cvt_f32_f16_e32 v26, v4
.LBB277_259:                            ;   in Loop: Header=BB277_235 Depth=1
	s_or_b64 exec, exec, s[10:11]
	v_lshrrev_b32_e32 v4, 16, v17
	v_cmp_gt_i16_sdwa s[10:11], v4, s19 src0_sel:BYTE_0 src1_sel:DWORD
	s_mov_b64 s[0:1], 0
                                        ; implicit-def: $sgpr16
	s_and_saveexec_b64 s[12:13], s[10:11]
	s_xor_b64 s[10:11], exec, s[12:13]
	s_cbranch_execnz .LBB277_361
; %bb.260:                              ;   in Loop: Header=BB277_235 Depth=1
	s_or_saveexec_b64 s[10:11], s[10:11]
	v_mov_b32_e32 v27, s16
	s_xor_b64 exec, exec, s[10:11]
	s_cbranch_execnz .LBB277_364
.LBB277_261:                            ;   in Loop: Header=BB277_235 Depth=1
	s_or_b64 exec, exec, s[10:11]
	s_and_saveexec_b64 s[10:11], s[0:1]
	s_cbranch_execz .LBB277_263
.LBB277_262:                            ;   in Loop: Header=BB277_235 Depth=1
	v_bfe_u32 v27, v17, 16, 3
	v_ffbh_u32_e32 v28, v27
	v_min_u32_e32 v31, 32, v28
	v_subrev_u32_e32 v28, 28, v31
	v_bfe_u32 v30, v17, 19, 4
	v_lshlrev_b64 v[28:29], v28, v[4:5]
	v_sub_u32_e32 v29, 29, v31
	v_cmp_eq_u32_e32 vcc, 0, v30
	v_and_b32_e32 v28, 7, v28
	v_lshlrev_b32_e32 v4, 8, v4
	v_cndmask_b32_e32 v29, v30, v29, vcc
	v_cndmask_b32_e32 v27, v27, v28, vcc
	v_lshl_add_u32 v28, v29, 10, v3
	v_and_or_b32 v4, v4, s21, v28
	v_lshl_or_b32 v4, v27, 7, v4
	v_cvt_f32_f16_e32 v27, v4
.LBB277_263:                            ;   in Loop: Header=BB277_235 Depth=1
	s_or_b64 exec, exec, s[10:11]
	v_lshrrev_b32_e32 v4, 24, v17
	v_cmp_lt_i16_e32 vcc, s19, v4
	s_mov_b64 s[0:1], 0
                                        ; implicit-def: $sgpr16
	s_and_saveexec_b64 s[10:11], vcc
	s_xor_b64 s[10:11], exec, s[10:11]
	s_cbranch_execnz .LBB277_365
; %bb.264:                              ;   in Loop: Header=BB277_235 Depth=1
	s_or_saveexec_b64 s[10:11], s[10:11]
	v_mov_b32_e32 v28, s16
	s_xor_b64 exec, exec, s[10:11]
	s_cbranch_execnz .LBB277_368
.LBB277_265:                            ;   in Loop: Header=BB277_235 Depth=1
	s_or_b64 exec, exec, s[10:11]
	s_and_saveexec_b64 s[10:11], s[0:1]
	s_cbranch_execz .LBB277_267
.LBB277_266:                            ;   in Loop: Header=BB277_235 Depth=1
	v_bfe_u32 v30, v17, 24, 3
	v_ffbh_u32_e32 v28, v30
	v_min_u32_e32 v31, 32, v28
	v_subrev_u32_e32 v28, 28, v31
	v_bfe_u32 v17, v17, 27, 4
	v_lshlrev_b64 v[28:29], v28, v[4:5]
	v_sub_u32_e32 v29, 29, v31
	v_cmp_eq_u32_e32 vcc, 0, v17
	v_and_b32_e32 v28, 7, v28
	v_lshlrev_b32_e32 v4, 8, v4
	v_cndmask_b32_e32 v17, v17, v29, vcc
	v_lshl_add_u32 v17, v17, 10, v3
	v_cndmask_b32_e32 v28, v30, v28, vcc
	v_and_or_b32 v4, v4, s21, v17
	v_lshl_or_b32 v4, v28, 7, v4
	v_cvt_f32_f16_e32 v28, v4
.LBB277_267:                            ;   in Loop: Header=BB277_235 Depth=1
	s_or_b64 exec, exec, s[10:11]
	s_waitcnt vmcnt(0)
	v_pk_mul_f32 v[20:21], v[14:15], v[20:21] op_sel_hi:[0,1]
	v_pk_mul_f32 v[18:19], v[14:15], v[18:19] op_sel_hi:[0,1]
	v_cvt_f16_f32_e32 v4, v21
	v_cvt_f16_f32_e32 v17, v20
	;; [unrolled: 1-line block ×4, first 2 shown]
	v_fma_mixlo_f16 v16, v14, v16, 0
	v_pack_b32_f16 v17, v17, v4
	v_cmp_eq_u32_e32 vcc, s7, v2
	v_pack_b32_f16 v18, v18, v19
	v_perm_b32 v4, v18, v17, s23
	v_perm_b32 v17, v18, v17, s28
	v_fma_mixlo_f16 v18, v14, v26, 0
	v_lshlrev_b32_e32 v18, 16, v18
	v_or_b32_sdwa v16, v18, v16 dst_sel:DWORD dst_unused:UNUSED_PAD src0_sel:DWORD src1_sel:WORD_0
	v_fma_mixlo_f16 v18, v14, v27, 0
	v_fma_mixlo_f16 v14, v14, v28, 0
	v_lshlrev_b32_e32 v14, 16, v14
	v_or_b32_sdwa v14, v14, v18 dst_sel:DWORD dst_unused:UNUSED_PAD src0_sel:DWORD src1_sel:WORD_0
	v_add_u32_e32 v32, 1, v25
	v_or_b32_e32 v31, 3, v25
	v_or_b32_e32 v30, 2, v25
	;; [unrolled: 1-line block ×6, first 2 shown]
	s_and_saveexec_b64 s[10:11], vcc
	s_cbranch_execz .LBB277_269
; %bb.268:                              ;   in Loop: Header=BB277_235 Depth=1
	v_lshrrev_b32_e32 v19, 16, v17
	v_cmp_gt_i32_e64 s[0:1], s18, v32
	v_lshrrev_b32_e32 v14, 16, v14
	s_nop 0
	v_cndmask_b32_e64 v19, 0, v19, s[0:1]
	v_cmp_gt_i32_e64 s[0:1], s29, v25
	s_nop 1
	v_cndmask_b32_e64 v17, 0, v17, s[0:1]
	v_perm_b32 v17, v19, v17, s30
	v_lshrrev_b32_e32 v19, 16, v4
	v_cmp_gt_i32_e64 s[0:1], s18, v31
	s_nop 1
	v_cndmask_b32_e64 v19, 0, v19, s[0:1]
	v_cmp_gt_i32_e64 s[0:1], s29, v30
	s_nop 1
	v_cndmask_b32_e64 v4, 0, v4, s[0:1]
	v_perm_b32 v4, v19, v4, s30
	v_lshrrev_b32_e32 v19, 16, v16
	v_cmp_gt_i32_e64 s[0:1], s18, v29
	s_nop 1
	v_cndmask_b32_e64 v19, 0, v19, s[0:1]
	v_cmp_gt_i32_e64 s[0:1], s29, v28
	s_nop 1
	v_cndmask_b32_e64 v16, 0, v16, s[0:1]
	v_cmp_gt_i32_e64 s[0:1], s18, v27
	v_perm_b32 v16, v19, v16, s30
	s_nop 0
	v_cndmask_b32_e64 v14, 0, v14, s[0:1]
	v_cmp_gt_i32_e64 s[0:1], s29, v26
	s_nop 1
	v_cndmask_b32_e64 v18, 0, v18, s[0:1]
	v_perm_b32 v14, v14, v18, s30
.LBB277_269:                            ;   in Loop: Header=BB277_235 Depth=1
	s_or_b64 exec, exec, s[10:11]
	v_and_b32_e32 v18, 0xffff, v33
	v_lshl_or_b32 v33, v34, 16, v18
	v_and_b32_e32 v18, 0xffff, v35
	v_lshl_or_b32 v34, v36, 16, v18
	;; [unrolled: 2-line block ×3, first 2 shown]
	v_and_b32_e32 v18, 0xffff, v39
	;;#ASMSTART
	v_pk_mul_f16 v17, v33, v17;

	;;#ASMEND
	;;#ASMSTART
	v_pk_mul_f16 v4, v34, v4;

	;;#ASMEND
	v_lshl_or_b32 v36, v40, 16, v18
	;;#ASMSTART
	v_pk_mul_f16 v16, v35, v16;

	;;#ASMEND
	;;#ASMSTART
	v_pk_mul_f16 v14, v36, v14;

	;;#ASMEND
	;;#ASMSTART
	v_pk_add_f16 v4, v17, v4;

	;;#ASMEND
	s_mov_b64 s[0:1], 0
	;;#ASMSTART
	v_pk_add_f16 v4, v4, v16;

	;;#ASMEND
                                        ; implicit-def: $sgpr16
	s_nop 0
	;;#ASMSTART
	v_pk_add_f16 v4, v4, v14;

	;;#ASMEND
	s_nop 0
	v_lshrrev_b32_e32 v14, 16, v4
	v_and_b32_e32 v4, 0xffff, v4
	;;#ASMSTART
	v_cvt_f32_f16 v37, v4;
	;;#ASMEND
	;;#ASMSTART
	v_cvt_f32_f16 v38, v14;
	;;#ASMEND
	global_load_dwordx2 v[16:17], v[12:13], off offset:512
	global_load_dword v14, v5, s[14:15]
	s_waitcnt vmcnt(1)
	v_cmp_gt_i16_sdwa s[10:11], v16, s19 src0_sel:BYTE_0 src1_sel:DWORD
	s_and_saveexec_b64 s[12:13], s[10:11]
	s_xor_b64 s[10:11], exec, s[12:13]
	s_cbranch_execnz .LBB277_369
; %bb.270:                              ;   in Loop: Header=BB277_235 Depth=1
	s_or_saveexec_b64 s[10:11], s[10:11]
	v_mov_b32_e32 v18, s16
	s_xor_b64 exec, exec, s[10:11]
	s_cbranch_execnz .LBB277_372
.LBB277_271:                            ;   in Loop: Header=BB277_235 Depth=1
	s_or_b64 exec, exec, s[10:11]
	s_and_saveexec_b64 s[10:11], s[0:1]
	s_cbranch_execz .LBB277_273
.LBB277_272:                            ;   in Loop: Header=BB277_235 Depth=1
	v_and_b32_e32 v4, 7, v16
	v_ffbh_u32_e32 v4, v4
	v_bfe_u32 v18, v16, 3, 4
	v_min_u32_e32 v4, 32, v4
	v_subrev_u32_e32 v19, 28, v4
	v_sub_u32_e32 v4, 29, v4
	v_cmp_eq_u32_e64 s[0:1], 0, v18
	s_nop 1
	v_cndmask_b32_e64 v4, v18, v4, s[0:1]
	v_cndmask_b32_e64 v18, 0, v19, s[0:1]
	v_lshlrev_b64 v[18:19], v18, v[16:17]
	v_lshlrev_b32_e32 v19, 8, v16
	v_lshl_add_u32 v4, v4, 10, v3
	v_lshlrev_b32_e32 v18, 7, v18
	v_and_or_b32 v4, v19, s21, v4
	v_and_or_b32 v4, v18, s22, v4
	v_cvt_f32_f16_e32 v18, v4
.LBB277_273:                            ;   in Loop: Header=BB277_235 Depth=1
	s_or_b64 exec, exec, s[10:11]
	v_lshrrev_b16_e32 v4, 8, v16
	v_cmp_lt_i16_e64 s[0:1], s19, v4
	s_mov_b64 s[10:11], 0
                                        ; implicit-def: $sgpr31
	s_and_saveexec_b64 s[12:13], s[0:1]
	s_xor_b64 s[12:13], exec, s[12:13]
	s_cbranch_execnz .LBB277_373
; %bb.274:                              ;   in Loop: Header=BB277_235 Depth=1
	s_or_saveexec_b64 s[12:13], s[12:13]
	v_mov_b32_e32 v20, s31
	s_xor_b64 exec, exec, s[12:13]
	s_cbranch_execnz .LBB277_376
.LBB277_275:                            ;   in Loop: Header=BB277_235 Depth=1
	s_or_b64 exec, exec, s[12:13]
	s_and_saveexec_b64 s[12:13], s[10:11]
	s_cbranch_execz .LBB277_277
.LBB277_276:                            ;   in Loop: Header=BB277_235 Depth=1
	v_and_b32_e32 v19, 7, v4
	v_ffbh_u32_e32 v20, v19
	v_min_u32_e32 v40, 32, v20
	v_subrev_u32_e32 v20, 28, v40
	v_bfe_u32 v39, v4, 3, 4
	v_lshlrev_b64 v[20:21], v20, v[4:5]
	v_sub_u32_e32 v21, 29, v40
	v_cmp_eq_u32_e64 s[0:1], 0, v39
	v_and_b32_e32 v20, 7, v20
	v_lshlrev_b32_e32 v4, 8, v4
	v_cndmask_b32_e64 v21, v39, v21, s[0:1]
	v_cndmask_b32_e64 v19, v19, v20, s[0:1]
	v_lshl_add_u32 v20, v21, 10, v3
	v_and_or_b32 v4, v4, s21, v20
	v_lshl_or_b32 v4, v19, 7, v4
	v_cvt_f32_f16_e32 v20, v4
.LBB277_277:                            ;   in Loop: Header=BB277_235 Depth=1
	s_or_b64 exec, exec, s[12:13]
	v_lshrrev_b32_e32 v4, 16, v16
	v_cmp_gt_i16_sdwa s[10:11], v4, s19 src0_sel:BYTE_0 src1_sel:DWORD
	s_mov_b64 s[0:1], 0
                                        ; implicit-def: $sgpr16
	s_and_saveexec_b64 s[12:13], s[10:11]
	s_xor_b64 s[10:11], exec, s[12:13]
	s_cbranch_execnz .LBB277_377
; %bb.278:                              ;   in Loop: Header=BB277_235 Depth=1
	s_or_saveexec_b64 s[10:11], s[10:11]
	v_mov_b32_e32 v19, s16
	s_xor_b64 exec, exec, s[10:11]
	s_cbranch_execnz .LBB277_380
.LBB277_279:                            ;   in Loop: Header=BB277_235 Depth=1
	s_or_b64 exec, exec, s[10:11]
	s_and_saveexec_b64 s[10:11], s[0:1]
	s_cbranch_execz .LBB277_281
.LBB277_280:                            ;   in Loop: Header=BB277_235 Depth=1
	v_bfe_u32 v19, v16, 16, 3
	v_ffbh_u32_e32 v39, v19
	v_bfe_u32 v21, v16, 19, 4
	v_min_u32_e32 v39, 32, v39
	v_subrev_u32_e32 v40, 28, v39
	v_sub_u32_e32 v39, 29, v39
	v_cmp_eq_u32_e64 s[0:1], 0, v21
	v_lshlrev_b64 v[40:41], v40, v[4:5]
	v_and_b32_e32 v40, 7, v40
	v_cndmask_b32_e64 v21, v21, v39, s[0:1]
	v_lshlrev_b32_e32 v4, 8, v4
	v_lshl_add_u32 v21, v21, 10, v3
	v_cndmask_b32_e64 v19, v19, v40, s[0:1]
	v_and_or_b32 v4, v4, s21, v21
	v_lshl_or_b32 v4, v19, 7, v4
	v_cvt_f32_f16_e32 v19, v4
.LBB277_281:                            ;   in Loop: Header=BB277_235 Depth=1
	s_or_b64 exec, exec, s[10:11]
	v_lshrrev_b32_e32 v4, 24, v16
	v_cmp_lt_i16_e64 s[0:1], s19, v4
	s_mov_b64 s[10:11], 0
                                        ; implicit-def: $sgpr31
	s_and_saveexec_b64 s[12:13], s[0:1]
	s_xor_b64 s[12:13], exec, s[12:13]
	s_cbranch_execnz .LBB277_381
; %bb.282:                              ;   in Loop: Header=BB277_235 Depth=1
	s_or_saveexec_b64 s[12:13], s[12:13]
	v_mov_b32_e32 v21, s31
	s_xor_b64 exec, exec, s[12:13]
	s_cbranch_execnz .LBB277_384
.LBB277_283:                            ;   in Loop: Header=BB277_235 Depth=1
	s_or_b64 exec, exec, s[12:13]
	s_and_saveexec_b64 s[12:13], s[10:11]
	s_cbranch_execz .LBB277_285
.LBB277_284:                            ;   in Loop: Header=BB277_235 Depth=1
	v_bfe_u32 v21, v16, 24, 3
	v_ffbh_u32_e32 v39, v21
	v_bfe_u32 v16, v16, 27, 4
	v_min_u32_e32 v39, 32, v39
	v_subrev_u32_e32 v40, 28, v39
	v_sub_u32_e32 v39, 29, v39
	v_cmp_eq_u32_e64 s[0:1], 0, v16
	v_lshlrev_b64 v[40:41], v40, v[4:5]
	v_and_b32_e32 v40, 7, v40
	v_cndmask_b32_e64 v16, v16, v39, s[0:1]
	v_lshlrev_b32_e32 v4, 8, v4
	v_lshl_add_u32 v16, v16, 10, v3
	v_cndmask_b32_e64 v21, v21, v40, s[0:1]
	v_and_or_b32 v4, v4, s21, v16
	v_lshl_or_b32 v4, v21, 7, v4
	v_cvt_f32_f16_e32 v21, v4
.LBB277_285:                            ;   in Loop: Header=BB277_235 Depth=1
	s_or_b64 exec, exec, s[12:13]
	v_cmp_gt_i16_sdwa s[10:11], v17, s19 src0_sel:BYTE_0 src1_sel:DWORD
	s_mov_b64 s[0:1], 0
                                        ; implicit-def: $sgpr16
	s_and_saveexec_b64 s[12:13], s[10:11]
	s_xor_b64 s[10:11], exec, s[12:13]
	s_cbranch_execnz .LBB277_385
; %bb.286:                              ;   in Loop: Header=BB277_235 Depth=1
	s_or_saveexec_b64 s[10:11], s[10:11]
	v_mov_b32_e32 v16, s16
	s_xor_b64 exec, exec, s[10:11]
	s_cbranch_execnz .LBB277_388
.LBB277_287:                            ;   in Loop: Header=BB277_235 Depth=1
	s_or_b64 exec, exec, s[10:11]
	v_mov_b32_e32 v4, v17
	s_and_saveexec_b64 s[10:11], s[0:1]
	s_cbranch_execz .LBB277_289
.LBB277_288:                            ;   in Loop: Header=BB277_235 Depth=1
	v_and_b32_e32 v16, 7, v17
	v_ffbh_u32_e32 v16, v16
	v_bfe_u32 v39, v17, 3, 4
	v_min_u32_e32 v16, 32, v16
	v_subrev_u32_e32 v40, 28, v16
	v_sub_u32_e32 v16, 29, v16
	v_cmp_eq_u32_e64 s[0:1], 0, v39
	s_nop 1
	v_cndmask_b32_e64 v16, v39, v16, s[0:1]
	v_cndmask_b32_e64 v39, 0, v40, s[0:1]
	v_lshlrev_b64 v[40:41], v39, v[4:5]
	v_lshlrev_b32_e32 v39, 7, v40
	v_lshlrev_b32_e32 v40, 8, v17
	v_lshl_add_u32 v16, v16, 10, v3
	v_and_or_b32 v16, v40, s21, v16
	v_and_or_b32 v16, v39, s22, v16
	v_cvt_f32_f16_e32 v16, v16
.LBB277_289:                            ;   in Loop: Header=BB277_235 Depth=1
	s_or_b64 exec, exec, s[10:11]
	v_lshrrev_b16_e32 v4, 8, v4
	v_cmp_lt_i16_e64 s[0:1], s19, v4
	s_mov_b64 s[10:11], 0
                                        ; implicit-def: $sgpr31
	s_and_saveexec_b64 s[12:13], s[0:1]
	s_xor_b64 s[12:13], exec, s[12:13]
	s_cbranch_execnz .LBB277_389
; %bb.290:                              ;   in Loop: Header=BB277_235 Depth=1
	s_or_saveexec_b64 s[12:13], s[12:13]
	v_mov_b32_e32 v39, s31
	s_xor_b64 exec, exec, s[12:13]
	s_cbranch_execnz .LBB277_392
.LBB277_291:                            ;   in Loop: Header=BB277_235 Depth=1
	s_or_b64 exec, exec, s[12:13]
	s_and_saveexec_b64 s[12:13], s[10:11]
	s_cbranch_execz .LBB277_293
.LBB277_292:                            ;   in Loop: Header=BB277_235 Depth=1
	v_and_b32_e32 v39, 7, v4
	v_ffbh_u32_e32 v40, v39
	v_min_u32_e32 v43, 32, v40
	v_subrev_u32_e32 v40, 28, v43
	v_bfe_u32 v42, v4, 3, 4
	v_lshlrev_b64 v[40:41], v40, v[4:5]
	v_sub_u32_e32 v41, 29, v43
	v_cmp_eq_u32_e64 s[0:1], 0, v42
	v_and_b32_e32 v40, 7, v40
	v_lshlrev_b32_e32 v4, 8, v4
	v_cndmask_b32_e64 v41, v42, v41, s[0:1]
	v_cndmask_b32_e64 v39, v39, v40, s[0:1]
	v_lshl_add_u32 v40, v41, 10, v3
	v_and_or_b32 v4, v4, s21, v40
	v_lshl_or_b32 v4, v39, 7, v4
	v_cvt_f32_f16_e32 v39, v4
.LBB277_293:                            ;   in Loop: Header=BB277_235 Depth=1
	s_or_b64 exec, exec, s[12:13]
	v_lshrrev_b32_e32 v4, 16, v17
	v_cmp_gt_i16_sdwa s[10:11], v4, s19 src0_sel:BYTE_0 src1_sel:DWORD
	s_mov_b64 s[0:1], 0
                                        ; implicit-def: $sgpr16
	s_and_saveexec_b64 s[12:13], s[10:11]
	s_xor_b64 s[10:11], exec, s[12:13]
	s_cbranch_execnz .LBB277_393
; %bb.294:                              ;   in Loop: Header=BB277_235 Depth=1
	s_or_saveexec_b64 s[10:11], s[10:11]
	v_mov_b32_e32 v40, s16
	s_xor_b64 exec, exec, s[10:11]
	s_cbranch_execnz .LBB277_396
.LBB277_295:                            ;   in Loop: Header=BB277_235 Depth=1
	s_or_b64 exec, exec, s[10:11]
	s_and_saveexec_b64 s[10:11], s[0:1]
	s_cbranch_execz .LBB277_297
.LBB277_296:                            ;   in Loop: Header=BB277_235 Depth=1
	v_bfe_u32 v42, v17, 16, 3
	v_ffbh_u32_e32 v40, v42
	v_min_u32_e32 v44, 32, v40
	v_subrev_u32_e32 v40, 28, v44
	v_bfe_u32 v43, v17, 19, 4
	v_lshlrev_b64 v[40:41], v40, v[4:5]
	v_sub_u32_e32 v41, 29, v44
	v_cmp_eq_u32_e64 s[0:1], 0, v43
	v_and_b32_e32 v40, 7, v40
	v_lshlrev_b32_e32 v4, 8, v4
	v_cndmask_b32_e64 v41, v43, v41, s[0:1]
	v_lshl_add_u32 v41, v41, 10, v3
	v_cndmask_b32_e64 v40, v42, v40, s[0:1]
	v_and_or_b32 v4, v4, s21, v41
	v_lshl_or_b32 v4, v40, 7, v4
	v_cvt_f32_f16_e32 v40, v4
.LBB277_297:                            ;   in Loop: Header=BB277_235 Depth=1
	s_or_b64 exec, exec, s[10:11]
	v_lshrrev_b32_e32 v4, 24, v17
	v_cmp_lt_i16_e64 s[0:1], s19, v4
	s_mov_b64 s[10:11], 0
                                        ; implicit-def: $sgpr31
	s_and_saveexec_b64 s[12:13], s[0:1]
	s_xor_b64 s[12:13], exec, s[12:13]
	s_cbranch_execnz .LBB277_397
; %bb.298:                              ;   in Loop: Header=BB277_235 Depth=1
	s_or_saveexec_b64 s[12:13], s[12:13]
	v_mov_b32_e32 v41, s31
	s_xor_b64 exec, exec, s[12:13]
	s_cbranch_execnz .LBB277_400
.LBB277_299:                            ;   in Loop: Header=BB277_235 Depth=1
	s_or_b64 exec, exec, s[12:13]
	s_and_saveexec_b64 s[12:13], s[10:11]
	s_cbranch_execz .LBB277_301
.LBB277_300:                            ;   in Loop: Header=BB277_235 Depth=1
	v_bfe_u32 v41, v17, 24, 3
	v_ffbh_u32_e32 v42, v41
	v_min_u32_e32 v44, 32, v42
	v_subrev_u32_e32 v42, 28, v44
	v_bfe_u32 v17, v17, 27, 4
	v_lshlrev_b64 v[42:43], v42, v[4:5]
	v_sub_u32_e32 v43, 29, v44
	v_cmp_eq_u32_e64 s[0:1], 0, v17
	v_and_b32_e32 v42, 7, v42
	v_lshlrev_b32_e32 v4, 8, v4
	v_cndmask_b32_e64 v17, v17, v43, s[0:1]
	v_lshl_add_u32 v17, v17, 10, v3
	v_cndmask_b32_e64 v41, v41, v42, s[0:1]
	v_and_or_b32 v4, v4, s21, v17
	v_lshl_or_b32 v4, v41, 7, v4
	v_cvt_f32_f16_e32 v41, v4
.LBB277_301:                            ;   in Loop: Header=BB277_235 Depth=1
	s_or_b64 exec, exec, s[12:13]
	s_waitcnt vmcnt(0)
	v_pk_mul_f32 v[20:21], v[14:15], v[20:21] op_sel_hi:[0,1]
	v_pk_mul_f32 v[18:19], v[14:15], v[18:19] op_sel_hi:[0,1]
	v_cvt_f16_f32_e32 v4, v21
	v_cvt_f16_f32_e32 v17, v20
	;; [unrolled: 1-line block ×4, first 2 shown]
	v_fma_mixlo_f16 v16, v14, v16, 0
	v_pack_b32_f16 v17, v17, v4
	v_pack_b32_f16 v18, v18, v19
	v_perm_b32 v4, v18, v17, s23
	v_perm_b32 v17, v18, v17, s28
	v_fma_mixlo_f16 v18, v14, v39, 0
	v_lshlrev_b32_e32 v18, 16, v18
	v_or_b32_sdwa v16, v18, v16 dst_sel:DWORD dst_unused:UNUSED_PAD src0_sel:DWORD src1_sel:WORD_0
	v_fma_mixlo_f16 v18, v14, v40, 0
	v_fma_mixlo_f16 v14, v14, v41, 0
	v_lshlrev_b32_e32 v14, 16, v14
	v_or_b32_sdwa v14, v14, v18 dst_sel:DWORD dst_unused:UNUSED_PAD src0_sel:DWORD src1_sel:WORD_0
	s_and_saveexec_b64 s[10:11], vcc
	s_cbranch_execz .LBB277_303
; %bb.302:                              ;   in Loop: Header=BB277_235 Depth=1
	v_lshrrev_b32_e32 v19, 16, v17
	v_cmp_gt_i32_e64 s[0:1], s18, v32
	v_lshrrev_b32_e32 v14, 16, v14
	s_nop 0
	v_cndmask_b32_e64 v19, 0, v19, s[0:1]
	v_cmp_gt_i32_e64 s[0:1], s29, v25
	s_nop 1
	v_cndmask_b32_e64 v17, 0, v17, s[0:1]
	v_perm_b32 v17, v19, v17, s30
	v_lshrrev_b32_e32 v19, 16, v4
	v_cmp_gt_i32_e64 s[0:1], s18, v31
	s_nop 1
	v_cndmask_b32_e64 v19, 0, v19, s[0:1]
	v_cmp_gt_i32_e64 s[0:1], s29, v30
	s_nop 1
	v_cndmask_b32_e64 v4, 0, v4, s[0:1]
	v_perm_b32 v4, v19, v4, s30
	v_lshrrev_b32_e32 v19, 16, v16
	v_cmp_gt_i32_e64 s[0:1], s18, v29
	s_nop 1
	v_cndmask_b32_e64 v19, 0, v19, s[0:1]
	v_cmp_gt_i32_e64 s[0:1], s29, v28
	s_nop 1
	v_cndmask_b32_e64 v16, 0, v16, s[0:1]
	v_cmp_gt_i32_e64 s[0:1], s18, v27
	v_perm_b32 v16, v19, v16, s30
	s_nop 0
	v_cndmask_b32_e64 v14, 0, v14, s[0:1]
	v_cmp_gt_i32_e64 s[0:1], s29, v26
	s_nop 1
	v_cndmask_b32_e64 v18, 0, v18, s[0:1]
	v_perm_b32 v14, v14, v18, s30
.LBB277_303:                            ;   in Loop: Header=BB277_235 Depth=1
	s_or_b64 exec, exec, s[10:11]
	;;#ASMSTART
	v_pk_mul_f16 v17, v33, v17;

	;;#ASMEND
	;;#ASMSTART
	v_pk_mul_f16 v4, v34, v4;

	;;#ASMEND
	;; [unrolled: 4-line block ×4, first 2 shown]
	s_mov_b64 s[0:1], 0
	;;#ASMSTART
	v_pk_add_f16 v4, v17, v4;

	;;#ASMEND
                                        ; implicit-def: $sgpr16
	s_nop 0
	;;#ASMSTART
	v_pk_add_f16 v4, v4, v16;

	;;#ASMEND
	s_nop 0
	;;#ASMSTART
	v_pk_add_f16 v4, v4, v14;

	;;#ASMEND
	s_nop 0
	v_lshrrev_b32_e32 v14, 16, v4
	v_and_b32_e32 v4, 0xffff, v4
	;;#ASMSTART
	v_cvt_f32_f16 v20, v4;
	;;#ASMEND
	;;#ASMSTART
	v_cvt_f32_f16 v21, v14;
	;;#ASMEND
	global_load_dwordx2 v[16:17], v[12:13], off offset:1024
	global_load_dword v14, v5, s[14:15]
	s_waitcnt vmcnt(1)
	v_cmp_gt_i16_sdwa s[10:11], v16, s19 src0_sel:BYTE_0 src1_sel:DWORD
	s_and_saveexec_b64 s[12:13], s[10:11]
	s_xor_b64 s[10:11], exec, s[12:13]
	s_cbranch_execnz .LBB277_401
; %bb.304:                              ;   in Loop: Header=BB277_235 Depth=1
	s_or_saveexec_b64 s[10:11], s[10:11]
	v_mov_b32_e32 v12, s16
	s_xor_b64 exec, exec, s[10:11]
	s_cbranch_execnz .LBB277_404
.LBB277_305:                            ;   in Loop: Header=BB277_235 Depth=1
	s_or_b64 exec, exec, s[10:11]
	s_and_saveexec_b64 s[10:11], s[0:1]
	s_cbranch_execz .LBB277_307
.LBB277_306:                            ;   in Loop: Header=BB277_235 Depth=1
	v_and_b32_e32 v4, 7, v16
	v_ffbh_u32_e32 v4, v4
	v_bfe_u32 v12, v16, 3, 4
	v_min_u32_e32 v4, 32, v4
	v_subrev_u32_e32 v13, 28, v4
	v_sub_u32_e32 v4, 29, v4
	v_cmp_eq_u32_e64 s[0:1], 0, v12
	s_nop 1
	v_cndmask_b32_e64 v4, v12, v4, s[0:1]
	v_cndmask_b32_e64 v12, 0, v13, s[0:1]
	v_lshlrev_b64 v[12:13], v12, v[16:17]
	v_lshlrev_b32_e32 v13, 8, v16
	v_lshl_add_u32 v4, v4, 10, v3
	v_lshlrev_b32_e32 v12, 7, v12
	v_and_or_b32 v4, v13, s21, v4
	v_and_or_b32 v4, v12, s22, v4
	v_cvt_f32_f16_e32 v12, v4
.LBB277_307:                            ;   in Loop: Header=BB277_235 Depth=1
	s_or_b64 exec, exec, s[10:11]
	v_lshrrev_b16_e32 v4, 8, v16
	v_cmp_lt_i16_e64 s[0:1], s19, v4
	s_mov_b64 s[10:11], 0
                                        ; implicit-def: $sgpr31
	s_and_saveexec_b64 s[12:13], s[0:1]
	s_xor_b64 s[12:13], exec, s[12:13]
	s_cbranch_execnz .LBB277_405
; %bb.308:                              ;   in Loop: Header=BB277_235 Depth=1
	s_or_saveexec_b64 s[12:13], s[12:13]
	v_mov_b32_e32 v18, s31
	s_xor_b64 exec, exec, s[12:13]
	s_cbranch_execnz .LBB277_408
.LBB277_309:                            ;   in Loop: Header=BB277_235 Depth=1
	s_or_b64 exec, exec, s[12:13]
	s_and_saveexec_b64 s[12:13], s[10:11]
	s_cbranch_execz .LBB277_311
.LBB277_310:                            ;   in Loop: Header=BB277_235 Depth=1
	v_and_b32_e32 v13, 7, v4
	v_ffbh_u32_e32 v18, v13
	v_min_u32_e32 v40, 32, v18
	v_subrev_u32_e32 v18, 28, v40
	v_bfe_u32 v39, v4, 3, 4
	v_lshlrev_b64 v[18:19], v18, v[4:5]
	v_sub_u32_e32 v19, 29, v40
	v_cmp_eq_u32_e64 s[0:1], 0, v39
	v_and_b32_e32 v18, 7, v18
	v_lshlrev_b32_e32 v4, 8, v4
	v_cndmask_b32_e64 v19, v39, v19, s[0:1]
	v_cndmask_b32_e64 v13, v13, v18, s[0:1]
	v_lshl_add_u32 v18, v19, 10, v3
	v_and_or_b32 v4, v4, s21, v18
	v_lshl_or_b32 v4, v13, 7, v4
	v_cvt_f32_f16_e32 v18, v4
.LBB277_311:                            ;   in Loop: Header=BB277_235 Depth=1
	s_or_b64 exec, exec, s[12:13]
	v_lshrrev_b32_e32 v4, 16, v16
	v_cmp_gt_i16_sdwa s[10:11], v4, s19 src0_sel:BYTE_0 src1_sel:DWORD
	s_mov_b64 s[0:1], 0
                                        ; implicit-def: $sgpr16
	s_and_saveexec_b64 s[12:13], s[10:11]
	s_xor_b64 s[10:11], exec, s[12:13]
	s_cbranch_execnz .LBB277_409
; %bb.312:                              ;   in Loop: Header=BB277_235 Depth=1
	s_or_saveexec_b64 s[10:11], s[10:11]
	v_mov_b32_e32 v13, s16
	s_xor_b64 exec, exec, s[10:11]
	s_cbranch_execnz .LBB277_412
.LBB277_313:                            ;   in Loop: Header=BB277_235 Depth=1
	s_or_b64 exec, exec, s[10:11]
	s_and_saveexec_b64 s[10:11], s[0:1]
	s_cbranch_execz .LBB277_315
.LBB277_314:                            ;   in Loop: Header=BB277_235 Depth=1
	v_bfe_u32 v13, v16, 16, 3
	v_ffbh_u32_e32 v39, v13
	v_bfe_u32 v19, v16, 19, 4
	v_min_u32_e32 v39, 32, v39
	v_subrev_u32_e32 v40, 28, v39
	v_sub_u32_e32 v39, 29, v39
	v_cmp_eq_u32_e64 s[0:1], 0, v19
	v_lshlrev_b64 v[40:41], v40, v[4:5]
	v_and_b32_e32 v40, 7, v40
	v_cndmask_b32_e64 v19, v19, v39, s[0:1]
	v_lshlrev_b32_e32 v4, 8, v4
	v_lshl_add_u32 v19, v19, 10, v3
	v_cndmask_b32_e64 v13, v13, v40, s[0:1]
	v_and_or_b32 v4, v4, s21, v19
	v_lshl_or_b32 v4, v13, 7, v4
	v_cvt_f32_f16_e32 v13, v4
.LBB277_315:                            ;   in Loop: Header=BB277_235 Depth=1
	s_or_b64 exec, exec, s[10:11]
	v_lshrrev_b32_e32 v4, 24, v16
	v_cmp_lt_i16_e64 s[0:1], s19, v4
	s_mov_b64 s[10:11], 0
                                        ; implicit-def: $sgpr31
	s_and_saveexec_b64 s[12:13], s[0:1]
	s_xor_b64 s[12:13], exec, s[12:13]
	s_cbranch_execnz .LBB277_413
; %bb.316:                              ;   in Loop: Header=BB277_235 Depth=1
	s_or_saveexec_b64 s[12:13], s[12:13]
	v_mov_b32_e32 v19, s31
	s_xor_b64 exec, exec, s[12:13]
	s_cbranch_execnz .LBB277_416
.LBB277_317:                            ;   in Loop: Header=BB277_235 Depth=1
	s_or_b64 exec, exec, s[12:13]
	s_and_saveexec_b64 s[12:13], s[10:11]
	s_cbranch_execz .LBB277_319
.LBB277_318:                            ;   in Loop: Header=BB277_235 Depth=1
	v_bfe_u32 v19, v16, 24, 3
	v_ffbh_u32_e32 v39, v19
	v_bfe_u32 v16, v16, 27, 4
	v_min_u32_e32 v39, 32, v39
	v_subrev_u32_e32 v40, 28, v39
	v_sub_u32_e32 v39, 29, v39
	v_cmp_eq_u32_e64 s[0:1], 0, v16
	v_lshlrev_b64 v[40:41], v40, v[4:5]
	v_and_b32_e32 v40, 7, v40
	v_cndmask_b32_e64 v16, v16, v39, s[0:1]
	v_lshlrev_b32_e32 v4, 8, v4
	v_lshl_add_u32 v16, v16, 10, v3
	v_cndmask_b32_e64 v19, v19, v40, s[0:1]
	v_and_or_b32 v4, v4, s21, v16
	v_lshl_or_b32 v4, v19, 7, v4
	v_cvt_f32_f16_e32 v19, v4
.LBB277_319:                            ;   in Loop: Header=BB277_235 Depth=1
	s_or_b64 exec, exec, s[12:13]
	v_cmp_gt_i16_sdwa s[10:11], v17, s19 src0_sel:BYTE_0 src1_sel:DWORD
	s_mov_b64 s[0:1], 0
                                        ; implicit-def: $sgpr16
	s_and_saveexec_b64 s[12:13], s[10:11]
	s_xor_b64 s[10:11], exec, s[12:13]
	s_cbranch_execnz .LBB277_417
; %bb.320:                              ;   in Loop: Header=BB277_235 Depth=1
	s_or_saveexec_b64 s[10:11], s[10:11]
	v_mov_b32_e32 v16, s16
	s_xor_b64 exec, exec, s[10:11]
	s_cbranch_execnz .LBB277_420
.LBB277_321:                            ;   in Loop: Header=BB277_235 Depth=1
	s_or_b64 exec, exec, s[10:11]
	v_mov_b32_e32 v4, v17
	s_and_saveexec_b64 s[10:11], s[0:1]
	s_cbranch_execz .LBB277_323
.LBB277_322:                            ;   in Loop: Header=BB277_235 Depth=1
	v_and_b32_e32 v16, 7, v17
	v_ffbh_u32_e32 v16, v16
	v_bfe_u32 v39, v17, 3, 4
	v_min_u32_e32 v16, 32, v16
	v_subrev_u32_e32 v40, 28, v16
	v_sub_u32_e32 v16, 29, v16
	v_cmp_eq_u32_e64 s[0:1], 0, v39
	s_nop 1
	v_cndmask_b32_e64 v16, v39, v16, s[0:1]
	v_cndmask_b32_e64 v39, 0, v40, s[0:1]
	v_lshlrev_b64 v[40:41], v39, v[4:5]
	v_lshlrev_b32_e32 v39, 7, v40
	v_lshlrev_b32_e32 v40, 8, v17
	v_lshl_add_u32 v16, v16, 10, v3
	v_and_or_b32 v16, v40, s21, v16
	v_and_or_b32 v16, v39, s22, v16
	v_cvt_f32_f16_e32 v16, v16
.LBB277_323:                            ;   in Loop: Header=BB277_235 Depth=1
	s_or_b64 exec, exec, s[10:11]
	v_lshrrev_b16_e32 v4, 8, v4
	v_cmp_lt_i16_e64 s[0:1], s19, v4
	s_mov_b64 s[10:11], 0
                                        ; implicit-def: $sgpr31
	s_and_saveexec_b64 s[12:13], s[0:1]
	s_xor_b64 s[12:13], exec, s[12:13]
	s_cbranch_execnz .LBB277_421
; %bb.324:                              ;   in Loop: Header=BB277_235 Depth=1
	s_or_saveexec_b64 s[12:13], s[12:13]
	v_mov_b32_e32 v39, s31
	s_xor_b64 exec, exec, s[12:13]
	s_cbranch_execnz .LBB277_424
.LBB277_325:                            ;   in Loop: Header=BB277_235 Depth=1
	s_or_b64 exec, exec, s[12:13]
	s_and_saveexec_b64 s[12:13], s[10:11]
	s_cbranch_execz .LBB277_327
.LBB277_326:                            ;   in Loop: Header=BB277_235 Depth=1
	v_and_b32_e32 v39, 7, v4
	v_ffbh_u32_e32 v40, v39
	v_min_u32_e32 v43, 32, v40
	v_subrev_u32_e32 v40, 28, v43
	v_bfe_u32 v42, v4, 3, 4
	v_lshlrev_b64 v[40:41], v40, v[4:5]
	v_sub_u32_e32 v41, 29, v43
	v_cmp_eq_u32_e64 s[0:1], 0, v42
	v_and_b32_e32 v40, 7, v40
	v_lshlrev_b32_e32 v4, 8, v4
	v_cndmask_b32_e64 v41, v42, v41, s[0:1]
	v_cndmask_b32_e64 v39, v39, v40, s[0:1]
	v_lshl_add_u32 v40, v41, 10, v3
	v_and_or_b32 v4, v4, s21, v40
	v_lshl_or_b32 v4, v39, 7, v4
	v_cvt_f32_f16_e32 v39, v4
.LBB277_327:                            ;   in Loop: Header=BB277_235 Depth=1
	s_or_b64 exec, exec, s[12:13]
	v_lshrrev_b32_e32 v4, 16, v17
	v_cmp_gt_i16_sdwa s[10:11], v4, s19 src0_sel:BYTE_0 src1_sel:DWORD
	s_mov_b64 s[0:1], 0
                                        ; implicit-def: $sgpr16
	s_and_saveexec_b64 s[12:13], s[10:11]
	s_xor_b64 s[10:11], exec, s[12:13]
	s_cbranch_execnz .LBB277_425
; %bb.328:                              ;   in Loop: Header=BB277_235 Depth=1
	s_or_saveexec_b64 s[10:11], s[10:11]
	v_mov_b32_e32 v40, s16
	s_xor_b64 exec, exec, s[10:11]
	s_cbranch_execnz .LBB277_428
.LBB277_329:                            ;   in Loop: Header=BB277_235 Depth=1
	s_or_b64 exec, exec, s[10:11]
	s_and_saveexec_b64 s[10:11], s[0:1]
	s_cbranch_execz .LBB277_331
.LBB277_330:                            ;   in Loop: Header=BB277_235 Depth=1
	v_bfe_u32 v42, v17, 16, 3
	v_ffbh_u32_e32 v40, v42
	v_min_u32_e32 v44, 32, v40
	v_subrev_u32_e32 v40, 28, v44
	v_bfe_u32 v43, v17, 19, 4
	v_lshlrev_b64 v[40:41], v40, v[4:5]
	v_sub_u32_e32 v41, 29, v44
	v_cmp_eq_u32_e64 s[0:1], 0, v43
	v_and_b32_e32 v40, 7, v40
	v_lshlrev_b32_e32 v4, 8, v4
	v_cndmask_b32_e64 v41, v43, v41, s[0:1]
	v_lshl_add_u32 v41, v41, 10, v3
	v_cndmask_b32_e64 v40, v42, v40, s[0:1]
	v_and_or_b32 v4, v4, s21, v41
	v_lshl_or_b32 v4, v40, 7, v4
	v_cvt_f32_f16_e32 v40, v4
.LBB277_331:                            ;   in Loop: Header=BB277_235 Depth=1
	s_or_b64 exec, exec, s[10:11]
	v_lshrrev_b32_e32 v4, 24, v17
	v_cmp_lt_i16_e64 s[0:1], s19, v4
	s_mov_b64 s[10:11], 0
                                        ; implicit-def: $sgpr31
	s_and_saveexec_b64 s[12:13], s[0:1]
	s_xor_b64 s[12:13], exec, s[12:13]
	s_cbranch_execnz .LBB277_429
; %bb.332:                              ;   in Loop: Header=BB277_235 Depth=1
	s_or_saveexec_b64 s[12:13], s[12:13]
	v_mov_b32_e32 v41, s31
	s_xor_b64 exec, exec, s[12:13]
	s_cbranch_execnz .LBB277_432
.LBB277_333:                            ;   in Loop: Header=BB277_235 Depth=1
	s_or_b64 exec, exec, s[12:13]
	s_and_saveexec_b64 s[12:13], s[10:11]
	s_cbranch_execz .LBB277_335
.LBB277_334:                            ;   in Loop: Header=BB277_235 Depth=1
	v_bfe_u32 v41, v17, 24, 3
	v_ffbh_u32_e32 v42, v41
	v_min_u32_e32 v44, 32, v42
	v_subrev_u32_e32 v42, 28, v44
	v_bfe_u32 v17, v17, 27, 4
	v_lshlrev_b64 v[42:43], v42, v[4:5]
	v_sub_u32_e32 v43, 29, v44
	v_cmp_eq_u32_e64 s[0:1], 0, v17
	v_and_b32_e32 v42, 7, v42
	v_lshlrev_b32_e32 v4, 8, v4
	v_cndmask_b32_e64 v17, v17, v43, s[0:1]
	v_lshl_add_u32 v17, v17, 10, v3
	v_cndmask_b32_e64 v41, v41, v42, s[0:1]
	v_and_or_b32 v4, v4, s21, v17
	v_lshl_or_b32 v4, v41, 7, v4
	v_cvt_f32_f16_e32 v41, v4
.LBB277_335:                            ;   in Loop: Header=BB277_235 Depth=1
	s_or_b64 exec, exec, s[12:13]
	s_waitcnt vmcnt(0)
	v_pk_mul_f32 v[12:13], v[14:15], v[12:13] op_sel_hi:[0,1]
	v_cvt_f16_f32_e32 v13, v13
	v_cvt_f16_f32_e32 v12, v12
	v_pk_mul_f32 v[18:19], v[14:15], v[18:19] op_sel_hi:[0,1]
	v_cvt_f16_f32_e32 v4, v19
	v_cvt_f16_f32_e32 v17, v18
	v_pack_b32_f16 v12, v12, v13
	v_fma_mixlo_f16 v13, v14, v39, 0
	v_lshlrev_b32_e32 v13, 16, v13
	v_fma_mixlo_f16 v16, v14, v16, 0
	v_or_b32_sdwa v13, v13, v16 dst_sel:DWORD dst_unused:UNUSED_PAD src0_sel:DWORD src1_sel:WORD_0
	v_fma_mixlo_f16 v16, v14, v40, 0
	v_fma_mixlo_f16 v14, v14, v41, 0
	v_pack_b32_f16 v17, v17, v4
	v_lshlrev_b32_e32 v14, 16, v14
	v_perm_b32 v4, v12, v17, s23
	v_perm_b32 v12, v12, v17, s28
	v_or_b32_sdwa v14, v14, v16 dst_sel:DWORD dst_unused:UNUSED_PAD src0_sel:DWORD src1_sel:WORD_0
	s_and_saveexec_b64 s[0:1], vcc
	s_cbranch_execz .LBB277_234
; %bb.336:                              ;   in Loop: Header=BB277_235 Depth=1
	v_lshrrev_b32_e32 v17, 16, v12
	v_cmp_gt_i32_e32 vcc, s18, v32
	v_lshrrev_b32_e32 v14, 16, v14
	s_nop 0
	v_cndmask_b32_e32 v17, 0, v17, vcc
	v_cmp_gt_i32_e32 vcc, s29, v25
	s_nop 1
	v_cndmask_b32_e32 v12, 0, v12, vcc
	v_perm_b32 v12, v17, v12, s30
	v_lshrrev_b32_e32 v17, 16, v4
	v_cmp_gt_i32_e32 vcc, s18, v31
	s_nop 1
	v_cndmask_b32_e32 v17, 0, v17, vcc
	v_cmp_gt_i32_e32 vcc, s29, v30
	s_nop 1
	v_cndmask_b32_e32 v4, 0, v4, vcc
	v_perm_b32 v4, v17, v4, s30
	v_lshrrev_b32_e32 v17, 16, v13
	v_cmp_gt_i32_e32 vcc, s18, v29
	s_nop 1
	v_cndmask_b32_e32 v17, 0, v17, vcc
	v_cmp_gt_i32_e32 vcc, s29, v28
	s_nop 1
	v_cndmask_b32_e32 v13, 0, v13, vcc
	v_cmp_gt_i32_e32 vcc, s18, v27
	v_perm_b32 v13, v17, v13, s30
	s_nop 0
	v_cndmask_b32_e32 v14, 0, v14, vcc
	v_cmp_gt_i32_e32 vcc, s29, v26
	s_nop 1
	v_cndmask_b32_e32 v16, 0, v16, vcc
	v_perm_b32 v14, v14, v16, s30
	s_branch .LBB277_234
.LBB277_337:                            ;   in Loop: Header=BB277_235 Depth=1
	v_cmp_eq_u16_sdwa s[34:35], v16, s20 src0_sel:BYTE_0 src1_sel:DWORD
	s_mov_b64 s[0:1], -1
                                        ; implicit-def: $sgpr16
	s_and_saveexec_b64 s[12:13], s[34:35]
; %bb.338:                              ;   in Loop: Header=BB277_235 Depth=1
	s_mov_b32 s16, 0x7fc02000
	s_xor_b64 s[0:1], exec, -1
; %bb.339:                              ;   in Loop: Header=BB277_235 Depth=1
	s_or_b64 exec, exec, s[12:13]
	s_and_b64 s[0:1], s[0:1], exec
	s_or_saveexec_b64 s[10:11], s[10:11]
	v_mov_b32_e32 v18, s16
	s_xor_b64 exec, exec, s[10:11]
	s_cbranch_execz .LBB277_237
.LBB277_340:                            ;   in Loop: Header=BB277_235 Depth=1
	v_cmp_ne_u16_sdwa s[12:13], v16, v5 src0_sel:BYTE_0 src1_sel:DWORD
	s_andn2_b64 s[0:1], s[0:1], exec
	s_and_b64 s[12:13], s[12:13], exec
	v_mov_b32_e32 v18, 0
	s_or_b64 s[0:1], s[0:1], s[12:13]
	s_or_b64 exec, exec, s[10:11]
	s_and_saveexec_b64 s[10:11], s[0:1]
	s_cbranch_execnz .LBB277_238
	s_branch .LBB277_239
.LBB277_341:                            ;   in Loop: Header=BB277_235 Depth=1
	v_cmp_eq_u16_e32 vcc, s20, v4
	s_mov_b64 s[0:1], -1
                                        ; implicit-def: $sgpr16
	s_and_saveexec_b64 s[12:13], vcc
; %bb.342:                              ;   in Loop: Header=BB277_235 Depth=1
	s_mov_b32 s16, 0x7fc02000
	s_xor_b64 s[0:1], exec, -1
; %bb.343:                              ;   in Loop: Header=BB277_235 Depth=1
	s_or_b64 exec, exec, s[12:13]
	s_and_b64 s[0:1], s[0:1], exec
	s_or_saveexec_b64 s[10:11], s[10:11]
	v_mov_b32_e32 v20, s16
	s_xor_b64 exec, exec, s[10:11]
	s_cbranch_execz .LBB277_241
.LBB277_344:                            ;   in Loop: Header=BB277_235 Depth=1
	v_cmp_ne_u16_e32 vcc, 0, v4
	s_andn2_b64 s[0:1], s[0:1], exec
	s_and_b64 s[12:13], vcc, exec
	v_mov_b32_e32 v20, 0
	s_or_b64 s[0:1], s[0:1], s[12:13]
	s_or_b64 exec, exec, s[10:11]
	s_and_saveexec_b64 s[10:11], s[0:1]
	s_cbranch_execnz .LBB277_242
	s_branch .LBB277_243
.LBB277_345:                            ;   in Loop: Header=BB277_235 Depth=1
	v_cmp_eq_u16_sdwa s[34:35], v4, s20 src0_sel:BYTE_0 src1_sel:DWORD
	s_mov_b64 s[0:1], -1
                                        ; implicit-def: $sgpr16
	s_and_saveexec_b64 s[12:13], s[34:35]
; %bb.346:                              ;   in Loop: Header=BB277_235 Depth=1
	s_mov_b32 s16, 0x7fc02000
	s_xor_b64 s[0:1], exec, -1
; %bb.347:                              ;   in Loop: Header=BB277_235 Depth=1
	s_or_b64 exec, exec, s[12:13]
	s_and_b64 s[0:1], s[0:1], exec
	s_or_saveexec_b64 s[10:11], s[10:11]
	v_mov_b32_e32 v19, s16
	s_xor_b64 exec, exec, s[10:11]
	s_cbranch_execz .LBB277_245
.LBB277_348:                            ;   in Loop: Header=BB277_235 Depth=1
	v_cmp_ne_u16_sdwa s[12:13], v4, v5 src0_sel:BYTE_0 src1_sel:DWORD
	s_andn2_b64 s[0:1], s[0:1], exec
	s_and_b64 s[12:13], s[12:13], exec
	v_mov_b32_e32 v19, 0
	s_or_b64 s[0:1], s[0:1], s[12:13]
	s_or_b64 exec, exec, s[10:11]
	s_and_saveexec_b64 s[10:11], s[0:1]
	s_cbranch_execnz .LBB277_246
	s_branch .LBB277_247
.LBB277_349:                            ;   in Loop: Header=BB277_235 Depth=1
	v_cmp_eq_u16_e32 vcc, s20, v4
	s_mov_b64 s[0:1], -1
                                        ; implicit-def: $sgpr16
	s_and_saveexec_b64 s[12:13], vcc
; %bb.350:                              ;   in Loop: Header=BB277_235 Depth=1
	s_mov_b32 s16, 0x7fc02000
	s_xor_b64 s[0:1], exec, -1
; %bb.351:                              ;   in Loop: Header=BB277_235 Depth=1
	s_or_b64 exec, exec, s[12:13]
	s_and_b64 s[0:1], s[0:1], exec
	s_or_saveexec_b64 s[10:11], s[10:11]
	v_mov_b32_e32 v21, s16
	s_xor_b64 exec, exec, s[10:11]
	s_cbranch_execz .LBB277_249
.LBB277_352:                            ;   in Loop: Header=BB277_235 Depth=1
	v_cmp_ne_u16_e32 vcc, 0, v4
	s_andn2_b64 s[0:1], s[0:1], exec
	s_and_b64 s[12:13], vcc, exec
	v_mov_b32_e32 v21, 0
	s_or_b64 s[0:1], s[0:1], s[12:13]
	s_or_b64 exec, exec, s[10:11]
	s_and_saveexec_b64 s[10:11], s[0:1]
	s_cbranch_execnz .LBB277_250
	s_branch .LBB277_251
.LBB277_353:                            ;   in Loop: Header=BB277_235 Depth=1
	v_cmp_eq_u16_sdwa s[34:35], v17, s20 src0_sel:BYTE_0 src1_sel:DWORD
	s_mov_b64 s[0:1], -1
                                        ; implicit-def: $sgpr16
	s_and_saveexec_b64 s[12:13], s[34:35]
; %bb.354:                              ;   in Loop: Header=BB277_235 Depth=1
	s_mov_b32 s16, 0x7fc02000
	s_xor_b64 s[0:1], exec, -1
; %bb.355:                              ;   in Loop: Header=BB277_235 Depth=1
	s_or_b64 exec, exec, s[12:13]
	s_and_b64 s[0:1], s[0:1], exec
	s_or_saveexec_b64 s[10:11], s[10:11]
	v_mov_b32_e32 v16, s16
	s_xor_b64 exec, exec, s[10:11]
	s_cbranch_execz .LBB277_253
.LBB277_356:                            ;   in Loop: Header=BB277_235 Depth=1
	v_cmp_ne_u16_sdwa s[12:13], v17, v5 src0_sel:BYTE_0 src1_sel:DWORD
	s_andn2_b64 s[0:1], s[0:1], exec
	s_and_b64 s[12:13], s[12:13], exec
	v_mov_b32_e32 v16, 0
	s_or_b64 s[0:1], s[0:1], s[12:13]
	s_or_b64 exec, exec, s[10:11]
	v_mov_b32_e32 v4, v17
	s_and_saveexec_b64 s[10:11], s[0:1]
	s_cbranch_execnz .LBB277_254
	s_branch .LBB277_255
.LBB277_357:                            ;   in Loop: Header=BB277_235 Depth=1
	v_cmp_eq_u16_e32 vcc, s20, v4
	s_mov_b64 s[0:1], -1
                                        ; implicit-def: $sgpr16
	s_and_saveexec_b64 s[12:13], vcc
; %bb.358:                              ;   in Loop: Header=BB277_235 Depth=1
	s_mov_b32 s16, 0x7fc02000
	s_xor_b64 s[0:1], exec, -1
; %bb.359:                              ;   in Loop: Header=BB277_235 Depth=1
	s_or_b64 exec, exec, s[12:13]
	s_and_b64 s[0:1], s[0:1], exec
	s_or_saveexec_b64 s[10:11], s[10:11]
	v_mov_b32_e32 v26, s16
	s_xor_b64 exec, exec, s[10:11]
	s_cbranch_execz .LBB277_257
.LBB277_360:                            ;   in Loop: Header=BB277_235 Depth=1
	v_cmp_ne_u16_e32 vcc, 0, v4
	s_andn2_b64 s[0:1], s[0:1], exec
	s_and_b64 s[12:13], vcc, exec
	v_mov_b32_e32 v26, 0
	s_or_b64 s[0:1], s[0:1], s[12:13]
	s_or_b64 exec, exec, s[10:11]
	s_and_saveexec_b64 s[10:11], s[0:1]
	s_cbranch_execnz .LBB277_258
	s_branch .LBB277_259
.LBB277_361:                            ;   in Loop: Header=BB277_235 Depth=1
	v_cmp_eq_u16_sdwa s[34:35], v4, s20 src0_sel:BYTE_0 src1_sel:DWORD
	s_mov_b64 s[0:1], -1
                                        ; implicit-def: $sgpr16
	s_and_saveexec_b64 s[12:13], s[34:35]
; %bb.362:                              ;   in Loop: Header=BB277_235 Depth=1
	s_mov_b32 s16, 0x7fc02000
	s_xor_b64 s[0:1], exec, -1
; %bb.363:                              ;   in Loop: Header=BB277_235 Depth=1
	s_or_b64 exec, exec, s[12:13]
	s_and_b64 s[0:1], s[0:1], exec
	s_or_saveexec_b64 s[10:11], s[10:11]
	v_mov_b32_e32 v27, s16
	s_xor_b64 exec, exec, s[10:11]
	s_cbranch_execz .LBB277_261
.LBB277_364:                            ;   in Loop: Header=BB277_235 Depth=1
	v_cmp_ne_u16_sdwa s[12:13], v4, v5 src0_sel:BYTE_0 src1_sel:DWORD
	s_andn2_b64 s[0:1], s[0:1], exec
	s_and_b64 s[12:13], s[12:13], exec
	v_mov_b32_e32 v27, 0
	s_or_b64 s[0:1], s[0:1], s[12:13]
	s_or_b64 exec, exec, s[10:11]
	s_and_saveexec_b64 s[10:11], s[0:1]
	s_cbranch_execnz .LBB277_262
	s_branch .LBB277_263
.LBB277_365:                            ;   in Loop: Header=BB277_235 Depth=1
	v_cmp_eq_u16_e32 vcc, s20, v4
	s_mov_b64 s[0:1], -1
                                        ; implicit-def: $sgpr16
	s_and_saveexec_b64 s[12:13], vcc
; %bb.366:                              ;   in Loop: Header=BB277_235 Depth=1
	s_mov_b32 s16, 0x7fc02000
	s_xor_b64 s[0:1], exec, -1
; %bb.367:                              ;   in Loop: Header=BB277_235 Depth=1
	s_or_b64 exec, exec, s[12:13]
	s_and_b64 s[0:1], s[0:1], exec
	s_or_saveexec_b64 s[10:11], s[10:11]
	v_mov_b32_e32 v28, s16
	s_xor_b64 exec, exec, s[10:11]
	s_cbranch_execz .LBB277_265
.LBB277_368:                            ;   in Loop: Header=BB277_235 Depth=1
	v_cmp_ne_u16_e32 vcc, 0, v4
	s_andn2_b64 s[0:1], s[0:1], exec
	s_and_b64 s[12:13], vcc, exec
	v_mov_b32_e32 v28, 0
	s_or_b64 s[0:1], s[0:1], s[12:13]
	s_or_b64 exec, exec, s[10:11]
	s_and_saveexec_b64 s[10:11], s[0:1]
	s_cbranch_execnz .LBB277_266
	s_branch .LBB277_267
.LBB277_369:                            ;   in Loop: Header=BB277_235 Depth=1
	v_cmp_eq_u16_sdwa s[34:35], v16, s20 src0_sel:BYTE_0 src1_sel:DWORD
	s_mov_b64 s[0:1], -1
                                        ; implicit-def: $sgpr16
	s_and_saveexec_b64 s[12:13], s[34:35]
; %bb.370:                              ;   in Loop: Header=BB277_235 Depth=1
	s_mov_b32 s16, 0x7fc02000
	s_xor_b64 s[0:1], exec, -1
; %bb.371:                              ;   in Loop: Header=BB277_235 Depth=1
	s_or_b64 exec, exec, s[12:13]
	s_and_b64 s[0:1], s[0:1], exec
	s_or_saveexec_b64 s[10:11], s[10:11]
	v_mov_b32_e32 v18, s16
	s_xor_b64 exec, exec, s[10:11]
	s_cbranch_execz .LBB277_271
.LBB277_372:                            ;   in Loop: Header=BB277_235 Depth=1
	v_cmp_ne_u16_sdwa s[12:13], v16, v5 src0_sel:BYTE_0 src1_sel:DWORD
	s_andn2_b64 s[0:1], s[0:1], exec
	s_and_b64 s[12:13], s[12:13], exec
	v_mov_b32_e32 v18, 0
	s_or_b64 s[0:1], s[0:1], s[12:13]
	s_or_b64 exec, exec, s[10:11]
	s_and_saveexec_b64 s[10:11], s[0:1]
	s_cbranch_execnz .LBB277_272
	s_branch .LBB277_273
.LBB277_373:                            ;   in Loop: Header=BB277_235 Depth=1
	v_cmp_eq_u16_e64 s[0:1], s20, v4
	s_mov_b64 s[10:11], -1
                                        ; implicit-def: $sgpr31
	s_and_saveexec_b64 s[16:17], s[0:1]
; %bb.374:                              ;   in Loop: Header=BB277_235 Depth=1
	s_mov_b32 s31, 0x7fc02000
	s_xor_b64 s[10:11], exec, -1
; %bb.375:                              ;   in Loop: Header=BB277_235 Depth=1
	s_or_b64 exec, exec, s[16:17]
	s_and_b64 s[10:11], s[10:11], exec
	s_or_saveexec_b64 s[12:13], s[12:13]
	v_mov_b32_e32 v20, s31
	s_xor_b64 exec, exec, s[12:13]
	s_cbranch_execz .LBB277_275
.LBB277_376:                            ;   in Loop: Header=BB277_235 Depth=1
	v_cmp_ne_u16_e64 s[0:1], 0, v4
	s_andn2_b64 s[10:11], s[10:11], exec
	s_and_b64 s[0:1], s[0:1], exec
	v_mov_b32_e32 v20, 0
	s_or_b64 s[10:11], s[10:11], s[0:1]
	s_or_b64 exec, exec, s[12:13]
	s_and_saveexec_b64 s[12:13], s[10:11]
	s_cbranch_execnz .LBB277_276
	s_branch .LBB277_277
.LBB277_377:                            ;   in Loop: Header=BB277_235 Depth=1
	v_cmp_eq_u16_sdwa s[34:35], v4, s20 src0_sel:BYTE_0 src1_sel:DWORD
	s_mov_b64 s[0:1], -1
                                        ; implicit-def: $sgpr16
	s_and_saveexec_b64 s[12:13], s[34:35]
; %bb.378:                              ;   in Loop: Header=BB277_235 Depth=1
	s_mov_b32 s16, 0x7fc02000
	s_xor_b64 s[0:1], exec, -1
; %bb.379:                              ;   in Loop: Header=BB277_235 Depth=1
	s_or_b64 exec, exec, s[12:13]
	s_and_b64 s[0:1], s[0:1], exec
	s_or_saveexec_b64 s[10:11], s[10:11]
	v_mov_b32_e32 v19, s16
	s_xor_b64 exec, exec, s[10:11]
	s_cbranch_execz .LBB277_279
.LBB277_380:                            ;   in Loop: Header=BB277_235 Depth=1
	v_cmp_ne_u16_sdwa s[12:13], v4, v5 src0_sel:BYTE_0 src1_sel:DWORD
	s_andn2_b64 s[0:1], s[0:1], exec
	s_and_b64 s[12:13], s[12:13], exec
	v_mov_b32_e32 v19, 0
	s_or_b64 s[0:1], s[0:1], s[12:13]
	s_or_b64 exec, exec, s[10:11]
	s_and_saveexec_b64 s[10:11], s[0:1]
	s_cbranch_execnz .LBB277_280
	s_branch .LBB277_281
.LBB277_381:                            ;   in Loop: Header=BB277_235 Depth=1
	v_cmp_eq_u16_e64 s[0:1], s20, v4
	s_mov_b64 s[10:11], -1
                                        ; implicit-def: $sgpr31
	s_and_saveexec_b64 s[16:17], s[0:1]
; %bb.382:                              ;   in Loop: Header=BB277_235 Depth=1
	s_mov_b32 s31, 0x7fc02000
	s_xor_b64 s[10:11], exec, -1
; %bb.383:                              ;   in Loop: Header=BB277_235 Depth=1
	s_or_b64 exec, exec, s[16:17]
	s_and_b64 s[10:11], s[10:11], exec
	s_or_saveexec_b64 s[12:13], s[12:13]
	v_mov_b32_e32 v21, s31
	s_xor_b64 exec, exec, s[12:13]
	s_cbranch_execz .LBB277_283
.LBB277_384:                            ;   in Loop: Header=BB277_235 Depth=1
	v_cmp_ne_u16_e64 s[0:1], 0, v4
	s_andn2_b64 s[10:11], s[10:11], exec
	s_and_b64 s[0:1], s[0:1], exec
	v_mov_b32_e32 v21, 0
	s_or_b64 s[10:11], s[10:11], s[0:1]
	s_or_b64 exec, exec, s[12:13]
	s_and_saveexec_b64 s[12:13], s[10:11]
	s_cbranch_execnz .LBB277_284
	s_branch .LBB277_285
.LBB277_385:                            ;   in Loop: Header=BB277_235 Depth=1
	v_cmp_eq_u16_sdwa s[34:35], v17, s20 src0_sel:BYTE_0 src1_sel:DWORD
	s_mov_b64 s[0:1], -1
                                        ; implicit-def: $sgpr16
	s_and_saveexec_b64 s[12:13], s[34:35]
; %bb.386:                              ;   in Loop: Header=BB277_235 Depth=1
	s_mov_b32 s16, 0x7fc02000
	s_xor_b64 s[0:1], exec, -1
; %bb.387:                              ;   in Loop: Header=BB277_235 Depth=1
	s_or_b64 exec, exec, s[12:13]
	s_and_b64 s[0:1], s[0:1], exec
	s_or_saveexec_b64 s[10:11], s[10:11]
	v_mov_b32_e32 v16, s16
	s_xor_b64 exec, exec, s[10:11]
	s_cbranch_execz .LBB277_287
.LBB277_388:                            ;   in Loop: Header=BB277_235 Depth=1
	v_cmp_ne_u16_sdwa s[12:13], v17, v5 src0_sel:BYTE_0 src1_sel:DWORD
	s_andn2_b64 s[0:1], s[0:1], exec
	s_and_b64 s[12:13], s[12:13], exec
	v_mov_b32_e32 v16, 0
	s_or_b64 s[0:1], s[0:1], s[12:13]
	s_or_b64 exec, exec, s[10:11]
	v_mov_b32_e32 v4, v17
	s_and_saveexec_b64 s[10:11], s[0:1]
	s_cbranch_execnz .LBB277_288
	s_branch .LBB277_289
.LBB277_389:                            ;   in Loop: Header=BB277_235 Depth=1
	v_cmp_eq_u16_e64 s[0:1], s20, v4
	s_mov_b64 s[10:11], -1
                                        ; implicit-def: $sgpr31
	s_and_saveexec_b64 s[16:17], s[0:1]
; %bb.390:                              ;   in Loop: Header=BB277_235 Depth=1
	s_mov_b32 s31, 0x7fc02000
	s_xor_b64 s[10:11], exec, -1
; %bb.391:                              ;   in Loop: Header=BB277_235 Depth=1
	s_or_b64 exec, exec, s[16:17]
	s_and_b64 s[10:11], s[10:11], exec
	s_or_saveexec_b64 s[12:13], s[12:13]
	v_mov_b32_e32 v39, s31
	s_xor_b64 exec, exec, s[12:13]
	s_cbranch_execz .LBB277_291
.LBB277_392:                            ;   in Loop: Header=BB277_235 Depth=1
	v_cmp_ne_u16_e64 s[0:1], 0, v4
	s_andn2_b64 s[10:11], s[10:11], exec
	s_and_b64 s[0:1], s[0:1], exec
	v_mov_b32_e32 v39, 0
	s_or_b64 s[10:11], s[10:11], s[0:1]
	s_or_b64 exec, exec, s[12:13]
	s_and_saveexec_b64 s[12:13], s[10:11]
	s_cbranch_execnz .LBB277_292
	s_branch .LBB277_293
.LBB277_393:                            ;   in Loop: Header=BB277_235 Depth=1
	v_cmp_eq_u16_sdwa s[34:35], v4, s20 src0_sel:BYTE_0 src1_sel:DWORD
	s_mov_b64 s[0:1], -1
                                        ; implicit-def: $sgpr16
	s_and_saveexec_b64 s[12:13], s[34:35]
; %bb.394:                              ;   in Loop: Header=BB277_235 Depth=1
	s_mov_b32 s16, 0x7fc02000
	s_xor_b64 s[0:1], exec, -1
; %bb.395:                              ;   in Loop: Header=BB277_235 Depth=1
	s_or_b64 exec, exec, s[12:13]
	s_and_b64 s[0:1], s[0:1], exec
	s_or_saveexec_b64 s[10:11], s[10:11]
	v_mov_b32_e32 v40, s16
	s_xor_b64 exec, exec, s[10:11]
	s_cbranch_execz .LBB277_295
.LBB277_396:                            ;   in Loop: Header=BB277_235 Depth=1
	v_cmp_ne_u16_sdwa s[12:13], v4, v5 src0_sel:BYTE_0 src1_sel:DWORD
	s_andn2_b64 s[0:1], s[0:1], exec
	s_and_b64 s[12:13], s[12:13], exec
	v_mov_b32_e32 v40, 0
	s_or_b64 s[0:1], s[0:1], s[12:13]
	s_or_b64 exec, exec, s[10:11]
	s_and_saveexec_b64 s[10:11], s[0:1]
	s_cbranch_execnz .LBB277_296
	s_branch .LBB277_297
.LBB277_397:                            ;   in Loop: Header=BB277_235 Depth=1
	v_cmp_eq_u16_e64 s[0:1], s20, v4
	s_mov_b64 s[10:11], -1
                                        ; implicit-def: $sgpr31
	s_and_saveexec_b64 s[16:17], s[0:1]
; %bb.398:                              ;   in Loop: Header=BB277_235 Depth=1
	s_mov_b32 s31, 0x7fc02000
	s_xor_b64 s[10:11], exec, -1
; %bb.399:                              ;   in Loop: Header=BB277_235 Depth=1
	s_or_b64 exec, exec, s[16:17]
	s_and_b64 s[10:11], s[10:11], exec
	s_or_saveexec_b64 s[12:13], s[12:13]
	v_mov_b32_e32 v41, s31
	s_xor_b64 exec, exec, s[12:13]
	s_cbranch_execz .LBB277_299
.LBB277_400:                            ;   in Loop: Header=BB277_235 Depth=1
	v_cmp_ne_u16_e64 s[0:1], 0, v4
	s_andn2_b64 s[10:11], s[10:11], exec
	s_and_b64 s[0:1], s[0:1], exec
	v_mov_b32_e32 v41, 0
	s_or_b64 s[10:11], s[10:11], s[0:1]
	s_or_b64 exec, exec, s[12:13]
	s_and_saveexec_b64 s[12:13], s[10:11]
	s_cbranch_execnz .LBB277_300
	s_branch .LBB277_301
.LBB277_401:                            ;   in Loop: Header=BB277_235 Depth=1
	v_cmp_eq_u16_sdwa s[34:35], v16, s20 src0_sel:BYTE_0 src1_sel:DWORD
	s_mov_b64 s[0:1], -1
                                        ; implicit-def: $sgpr16
	s_and_saveexec_b64 s[12:13], s[34:35]
; %bb.402:                              ;   in Loop: Header=BB277_235 Depth=1
	s_mov_b32 s16, 0x7fc02000
	s_xor_b64 s[0:1], exec, -1
; %bb.403:                              ;   in Loop: Header=BB277_235 Depth=1
	s_or_b64 exec, exec, s[12:13]
	s_and_b64 s[0:1], s[0:1], exec
	s_or_saveexec_b64 s[10:11], s[10:11]
	v_mov_b32_e32 v12, s16
	s_xor_b64 exec, exec, s[10:11]
	s_cbranch_execz .LBB277_305
.LBB277_404:                            ;   in Loop: Header=BB277_235 Depth=1
	v_cmp_ne_u16_sdwa s[12:13], v16, v5 src0_sel:BYTE_0 src1_sel:DWORD
	s_andn2_b64 s[0:1], s[0:1], exec
	s_and_b64 s[12:13], s[12:13], exec
	v_mov_b32_e32 v12, 0
	s_or_b64 s[0:1], s[0:1], s[12:13]
	s_or_b64 exec, exec, s[10:11]
	s_and_saveexec_b64 s[10:11], s[0:1]
	s_cbranch_execnz .LBB277_306
	s_branch .LBB277_307
.LBB277_405:                            ;   in Loop: Header=BB277_235 Depth=1
	v_cmp_eq_u16_e64 s[0:1], s20, v4
	s_mov_b64 s[10:11], -1
                                        ; implicit-def: $sgpr31
	s_and_saveexec_b64 s[16:17], s[0:1]
; %bb.406:                              ;   in Loop: Header=BB277_235 Depth=1
	s_mov_b32 s31, 0x7fc02000
	s_xor_b64 s[10:11], exec, -1
; %bb.407:                              ;   in Loop: Header=BB277_235 Depth=1
	s_or_b64 exec, exec, s[16:17]
	s_and_b64 s[10:11], s[10:11], exec
	s_or_saveexec_b64 s[12:13], s[12:13]
	v_mov_b32_e32 v18, s31
	s_xor_b64 exec, exec, s[12:13]
	s_cbranch_execz .LBB277_309
.LBB277_408:                            ;   in Loop: Header=BB277_235 Depth=1
	v_cmp_ne_u16_e64 s[0:1], 0, v4
	s_andn2_b64 s[10:11], s[10:11], exec
	s_and_b64 s[0:1], s[0:1], exec
	v_mov_b32_e32 v18, 0
	s_or_b64 s[10:11], s[10:11], s[0:1]
	s_or_b64 exec, exec, s[12:13]
	s_and_saveexec_b64 s[12:13], s[10:11]
	s_cbranch_execnz .LBB277_310
	s_branch .LBB277_311
.LBB277_409:                            ;   in Loop: Header=BB277_235 Depth=1
	v_cmp_eq_u16_sdwa s[34:35], v4, s20 src0_sel:BYTE_0 src1_sel:DWORD
	s_mov_b64 s[0:1], -1
                                        ; implicit-def: $sgpr16
	s_and_saveexec_b64 s[12:13], s[34:35]
; %bb.410:                              ;   in Loop: Header=BB277_235 Depth=1
	s_mov_b32 s16, 0x7fc02000
	s_xor_b64 s[0:1], exec, -1
; %bb.411:                              ;   in Loop: Header=BB277_235 Depth=1
	s_or_b64 exec, exec, s[12:13]
	s_and_b64 s[0:1], s[0:1], exec
	s_or_saveexec_b64 s[10:11], s[10:11]
	v_mov_b32_e32 v13, s16
	s_xor_b64 exec, exec, s[10:11]
	s_cbranch_execz .LBB277_313
.LBB277_412:                            ;   in Loop: Header=BB277_235 Depth=1
	v_cmp_ne_u16_sdwa s[12:13], v4, v5 src0_sel:BYTE_0 src1_sel:DWORD
	s_andn2_b64 s[0:1], s[0:1], exec
	s_and_b64 s[12:13], s[12:13], exec
	v_mov_b32_e32 v13, 0
	s_or_b64 s[0:1], s[0:1], s[12:13]
	s_or_b64 exec, exec, s[10:11]
	s_and_saveexec_b64 s[10:11], s[0:1]
	s_cbranch_execnz .LBB277_314
	s_branch .LBB277_315
.LBB277_413:                            ;   in Loop: Header=BB277_235 Depth=1
	v_cmp_eq_u16_e64 s[0:1], s20, v4
	s_mov_b64 s[10:11], -1
                                        ; implicit-def: $sgpr31
	s_and_saveexec_b64 s[16:17], s[0:1]
; %bb.414:                              ;   in Loop: Header=BB277_235 Depth=1
	s_mov_b32 s31, 0x7fc02000
	s_xor_b64 s[10:11], exec, -1
; %bb.415:                              ;   in Loop: Header=BB277_235 Depth=1
	s_or_b64 exec, exec, s[16:17]
	s_and_b64 s[10:11], s[10:11], exec
	s_or_saveexec_b64 s[12:13], s[12:13]
	v_mov_b32_e32 v19, s31
	s_xor_b64 exec, exec, s[12:13]
	s_cbranch_execz .LBB277_317
.LBB277_416:                            ;   in Loop: Header=BB277_235 Depth=1
	v_cmp_ne_u16_e64 s[0:1], 0, v4
	s_andn2_b64 s[10:11], s[10:11], exec
	s_and_b64 s[0:1], s[0:1], exec
	v_mov_b32_e32 v19, 0
	s_or_b64 s[10:11], s[10:11], s[0:1]
	s_or_b64 exec, exec, s[12:13]
	s_and_saveexec_b64 s[12:13], s[10:11]
	s_cbranch_execnz .LBB277_318
	s_branch .LBB277_319
.LBB277_417:                            ;   in Loop: Header=BB277_235 Depth=1
	v_cmp_eq_u16_sdwa s[34:35], v17, s20 src0_sel:BYTE_0 src1_sel:DWORD
	s_mov_b64 s[0:1], -1
                                        ; implicit-def: $sgpr16
	s_and_saveexec_b64 s[12:13], s[34:35]
; %bb.418:                              ;   in Loop: Header=BB277_235 Depth=1
	s_mov_b32 s16, 0x7fc02000
	s_xor_b64 s[0:1], exec, -1
; %bb.419:                              ;   in Loop: Header=BB277_235 Depth=1
	s_or_b64 exec, exec, s[12:13]
	s_and_b64 s[0:1], s[0:1], exec
	s_or_saveexec_b64 s[10:11], s[10:11]
	v_mov_b32_e32 v16, s16
	s_xor_b64 exec, exec, s[10:11]
	s_cbranch_execz .LBB277_321
.LBB277_420:                            ;   in Loop: Header=BB277_235 Depth=1
	v_cmp_ne_u16_sdwa s[12:13], v17, v5 src0_sel:BYTE_0 src1_sel:DWORD
	s_andn2_b64 s[0:1], s[0:1], exec
	s_and_b64 s[12:13], s[12:13], exec
	v_mov_b32_e32 v16, 0
	s_or_b64 s[0:1], s[0:1], s[12:13]
	s_or_b64 exec, exec, s[10:11]
	v_mov_b32_e32 v4, v17
	s_and_saveexec_b64 s[10:11], s[0:1]
	s_cbranch_execnz .LBB277_322
	s_branch .LBB277_323
.LBB277_421:                            ;   in Loop: Header=BB277_235 Depth=1
	v_cmp_eq_u16_e64 s[0:1], s20, v4
	s_mov_b64 s[10:11], -1
                                        ; implicit-def: $sgpr31
	s_and_saveexec_b64 s[16:17], s[0:1]
; %bb.422:                              ;   in Loop: Header=BB277_235 Depth=1
	s_mov_b32 s31, 0x7fc02000
	s_xor_b64 s[10:11], exec, -1
; %bb.423:                              ;   in Loop: Header=BB277_235 Depth=1
	s_or_b64 exec, exec, s[16:17]
	s_and_b64 s[10:11], s[10:11], exec
	s_or_saveexec_b64 s[12:13], s[12:13]
	v_mov_b32_e32 v39, s31
	s_xor_b64 exec, exec, s[12:13]
	s_cbranch_execz .LBB277_325
.LBB277_424:                            ;   in Loop: Header=BB277_235 Depth=1
	v_cmp_ne_u16_e64 s[0:1], 0, v4
	s_andn2_b64 s[10:11], s[10:11], exec
	s_and_b64 s[0:1], s[0:1], exec
	v_mov_b32_e32 v39, 0
	s_or_b64 s[10:11], s[10:11], s[0:1]
	s_or_b64 exec, exec, s[12:13]
	s_and_saveexec_b64 s[12:13], s[10:11]
	s_cbranch_execnz .LBB277_326
	s_branch .LBB277_327
.LBB277_425:                            ;   in Loop: Header=BB277_235 Depth=1
	v_cmp_eq_u16_sdwa s[34:35], v4, s20 src0_sel:BYTE_0 src1_sel:DWORD
	s_mov_b64 s[0:1], -1
                                        ; implicit-def: $sgpr16
	s_and_saveexec_b64 s[12:13], s[34:35]
; %bb.426:                              ;   in Loop: Header=BB277_235 Depth=1
	s_mov_b32 s16, 0x7fc02000
	s_xor_b64 s[0:1], exec, -1
; %bb.427:                              ;   in Loop: Header=BB277_235 Depth=1
	s_or_b64 exec, exec, s[12:13]
	s_and_b64 s[0:1], s[0:1], exec
	s_or_saveexec_b64 s[10:11], s[10:11]
	v_mov_b32_e32 v40, s16
	s_xor_b64 exec, exec, s[10:11]
	s_cbranch_execz .LBB277_329
.LBB277_428:                            ;   in Loop: Header=BB277_235 Depth=1
	v_cmp_ne_u16_sdwa s[12:13], v4, v5 src0_sel:BYTE_0 src1_sel:DWORD
	s_andn2_b64 s[0:1], s[0:1], exec
	s_and_b64 s[12:13], s[12:13], exec
	v_mov_b32_e32 v40, 0
	s_or_b64 s[0:1], s[0:1], s[12:13]
	s_or_b64 exec, exec, s[10:11]
	s_and_saveexec_b64 s[10:11], s[0:1]
	s_cbranch_execnz .LBB277_330
	s_branch .LBB277_331
.LBB277_429:                            ;   in Loop: Header=BB277_235 Depth=1
	v_cmp_eq_u16_e64 s[0:1], s20, v4
	s_mov_b64 s[10:11], -1
                                        ; implicit-def: $sgpr31
	s_and_saveexec_b64 s[16:17], s[0:1]
; %bb.430:                              ;   in Loop: Header=BB277_235 Depth=1
	s_mov_b32 s31, 0x7fc02000
	s_xor_b64 s[10:11], exec, -1
; %bb.431:                              ;   in Loop: Header=BB277_235 Depth=1
	s_or_b64 exec, exec, s[16:17]
	s_and_b64 s[10:11], s[10:11], exec
	s_or_saveexec_b64 s[12:13], s[12:13]
	v_mov_b32_e32 v41, s31
	s_xor_b64 exec, exec, s[12:13]
	s_cbranch_execz .LBB277_333
.LBB277_432:                            ;   in Loop: Header=BB277_235 Depth=1
	v_cmp_ne_u16_e64 s[0:1], 0, v4
	s_andn2_b64 s[10:11], s[10:11], exec
	s_and_b64 s[0:1], s[0:1], exec
	v_mov_b32_e32 v41, 0
	s_or_b64 s[10:11], s[10:11], s[0:1]
	s_or_b64 exec, exec, s[12:13]
	s_and_saveexec_b64 s[12:13], s[10:11]
	s_cbranch_execnz .LBB277_334
	s_branch .LBB277_335
.LBB277_433:
	s_or_b64 exec, exec, s[8:9]
.LBB277_434:
	s_or_b64 exec, exec, s[2:3]
	ds_bpermute_b32 v2, v22, v6
	ds_bpermute_b32 v3, v22, v7
	;; [unrolled: 1-line block ×3, first 2 shown]
	v_and_b32_e32 v4, 0x3c1, v0
	v_cmp_eq_u32_e32 vcc, 64, v4
	s_waitcnt lgkmcnt(0)
	v_pk_add_f32 v[2:3], v[6:7], v[2:3]
	v_add_f32_e32 v1, v24, v1
	s_barrier
	s_and_saveexec_b64 s[0:1], vcc
	s_cbranch_execz .LBB277_436
; %bb.435:
	v_mov_b32_e32 v5, 0xd0
	v_lshl_add_u32 v5, v15, 1, v5
	ds_write2_b32 v5, v2, v3 offset1:32
	ds_write_b32 v5, v1 offset:256
.LBB277_436:
	s_or_b64 exec, exec, s[0:1]
	v_cmp_gt_u32_e32 vcc, 64, v0
	s_waitcnt lgkmcnt(0)
	s_barrier
	s_and_saveexec_b64 s[0:1], vcc
	s_cbranch_execz .LBB277_442
; %bb.437:
	v_cmp_eq_u32_e32 vcc, 0, v23
	v_lshrrev_b32_e32 v5, 1, v0
	s_and_saveexec_b64 s[2:3], vcc
	s_cbranch_execnz .LBB277_445
; %bb.438:
	s_or_b64 exec, exec, s[2:3]
	s_and_saveexec_b64 s[2:3], vcc
	s_cbranch_execnz .LBB277_446
.LBB277_439:
	s_or_b64 exec, exec, s[2:3]
	s_and_saveexec_b64 s[2:3], vcc
	s_cbranch_execz .LBB277_441
.LBB277_440:
	v_mov_b32_e32 v6, 0xd0
	v_lshl_add_u32 v5, v5, 2, v6
	ds_read_b32 v5, v5 offset:256
	s_waitcnt lgkmcnt(0)
	v_add_f32_e32 v1, v1, v5
.LBB277_441:
	s_or_b64 exec, exec, s[2:3]
.LBB277_442:
	s_or_b64 exec, exec, s[0:1]
	v_cmp_eq_u32_e32 vcc, 0, v4
	s_barrier
	s_and_saveexec_b64 s[0:1], vcc
	s_cbranch_execz .LBB277_444
; %bb.443:
	s_mul_i32 s0, s6, 0x60
	s_ashr_i32 s1, s0, 31
	s_lshl_b64 s[0:1], s[0:1], 1
	s_add_u32 s2, s26, s0
	s_mul_i32 s0, s25, s24
	s_addc_u32 s3, s27, s1
	s_ashr_i32 s1, s0, 31
	s_lshl_b64 s[0:1], s[0:1], 1
	s_add_u32 s2, s2, s0
	s_mul_i32 s0, s4, 0x60
	s_addc_u32 s3, s3, s1
	s_ashr_i32 s1, s0, 31
	s_lshl_b64 s[0:1], s[0:1], 1
	s_add_u32 s0, s2, s0
	s_addc_u32 s1, s3, s1
	;;#ASMSTART
	v_cvt_f16_f32 v2, v2;

	;;#ASMEND
	global_store_short v0, v2, s[0:1]
	;;#ASMSTART
	v_cvt_f16_f32 v2, v3;

	;;#ASMEND
	global_store_short v0, v2, s[0:1] offset:64
	;;#ASMSTART
	v_cvt_f16_f32 v1, v1;

	;;#ASMEND
	global_store_short v0, v1, s[0:1] offset:128
.LBB277_444:
	s_endpgm
.LBB277_445:
	v_mov_b32_e32 v6, 0xd0
	v_lshl_add_u32 v6, v5, 2, v6
	ds_read_b32 v6, v6
	s_waitcnt lgkmcnt(0)
	v_add_f32_e32 v2, v2, v6
	s_or_b64 exec, exec, s[2:3]
	s_and_saveexec_b64 s[2:3], vcc
	s_cbranch_execz .LBB277_439
.LBB277_446:
	v_mov_b32_e32 v6, 0xd0
	v_lshl_add_u32 v6, v5, 2, v6
	ds_read_b32 v6, v6 offset:128
	s_waitcnt lgkmcnt(0)
	v_add_f32_e32 v3, v3, v6
	s_or_b64 exec, exec, s[2:3]
	s_and_saveexec_b64 s[2:3], vcc
	s_cbranch_execnz .LBB277_440
	s_branch .LBB277_441
	.section	.rodata,"a",@progbits
	.p2align	6, 0x0
	.amdhsa_kernel _ZN4vllm25paged_attention_v2_kernelIthLi96ELi16ELi128ELNS_18Fp8KVCacheDataTypeE1ELb0ELi512EEEvPfS2_PT_PKS3_PKT0_S9_ifPKiSB_iPKfiiiSD_SD_iiiii
		.amdhsa_group_segment_fixed_size 208
		.amdhsa_private_segment_fixed_size 0
		.amdhsa_kernarg_size 400
		.amdhsa_user_sgpr_count 2
		.amdhsa_user_sgpr_dispatch_ptr 0
		.amdhsa_user_sgpr_queue_ptr 0
		.amdhsa_user_sgpr_kernarg_segment_ptr 1
		.amdhsa_user_sgpr_dispatch_id 0
		.amdhsa_user_sgpr_kernarg_preload_length 0
		.amdhsa_user_sgpr_kernarg_preload_offset 0
		.amdhsa_user_sgpr_private_segment_size 0
		.amdhsa_uses_dynamic_stack 0
		.amdhsa_enable_private_segment 0
		.amdhsa_system_sgpr_workgroup_id_x 1
		.amdhsa_system_sgpr_workgroup_id_y 1
		.amdhsa_system_sgpr_workgroup_id_z 1
		.amdhsa_system_sgpr_workgroup_info 0
		.amdhsa_system_vgpr_workitem_id 0
		.amdhsa_next_free_vgpr 57
		.amdhsa_next_free_sgpr 56
		.amdhsa_accum_offset 60
		.amdhsa_reserve_vcc 1
		.amdhsa_float_round_mode_32 0
		.amdhsa_float_round_mode_16_64 0
		.amdhsa_float_denorm_mode_32 3
		.amdhsa_float_denorm_mode_16_64 3
		.amdhsa_dx10_clamp 1
		.amdhsa_ieee_mode 1
		.amdhsa_fp16_overflow 0
		.amdhsa_tg_split 0
		.amdhsa_exception_fp_ieee_invalid_op 0
		.amdhsa_exception_fp_denorm_src 0
		.amdhsa_exception_fp_ieee_div_zero 0
		.amdhsa_exception_fp_ieee_overflow 0
		.amdhsa_exception_fp_ieee_underflow 0
		.amdhsa_exception_fp_ieee_inexact 0
		.amdhsa_exception_int_div_zero 0
	.end_amdhsa_kernel
	.section	.text._ZN4vllm25paged_attention_v2_kernelIthLi96ELi16ELi128ELNS_18Fp8KVCacheDataTypeE1ELb0ELi512EEEvPfS2_PT_PKS3_PKT0_S9_ifPKiSB_iPKfiiiSD_SD_iiiii,"axG",@progbits,_ZN4vllm25paged_attention_v2_kernelIthLi96ELi16ELi128ELNS_18Fp8KVCacheDataTypeE1ELb0ELi512EEEvPfS2_PT_PKS3_PKT0_S9_ifPKiSB_iPKfiiiSD_SD_iiiii,comdat
.Lfunc_end277:
	.size	_ZN4vllm25paged_attention_v2_kernelIthLi96ELi16ELi128ELNS_18Fp8KVCacheDataTypeE1ELb0ELi512EEEvPfS2_PT_PKS3_PKT0_S9_ifPKiSB_iPKfiiiSD_SD_iiiii, .Lfunc_end277-_ZN4vllm25paged_attention_v2_kernelIthLi96ELi16ELi128ELNS_18Fp8KVCacheDataTypeE1ELb0ELi512EEEvPfS2_PT_PKS3_PKT0_S9_ifPKiSB_iPKfiiiSD_SD_iiiii
                                        ; -- End function
	.section	.AMDGPU.csdata,"",@progbits
; Kernel info:
; codeLenInByte = 18108
; NumSgprs: 62
; NumVgprs: 57
; NumAgprs: 0
; TotalNumVgprs: 57
; ScratchSize: 0
; MemoryBound: 0
; FloatMode: 240
; IeeeMode: 1
; LDSByteSize: 208 bytes/workgroup (compile time only)
; SGPRBlocks: 7
; VGPRBlocks: 7
; NumSGPRsForWavesPerEU: 62
; NumVGPRsForWavesPerEU: 57
; AccumOffset: 60
; Occupancy: 8
; WaveLimiterHint : 1
; COMPUTE_PGM_RSRC2:SCRATCH_EN: 0
; COMPUTE_PGM_RSRC2:USER_SGPR: 2
; COMPUTE_PGM_RSRC2:TRAP_HANDLER: 0
; COMPUTE_PGM_RSRC2:TGID_X_EN: 1
; COMPUTE_PGM_RSRC2:TGID_Y_EN: 1
; COMPUTE_PGM_RSRC2:TGID_Z_EN: 1
; COMPUTE_PGM_RSRC2:TIDIG_COMP_CNT: 0
; COMPUTE_PGM_RSRC3_GFX90A:ACCUM_OFFSET: 14
; COMPUTE_PGM_RSRC3_GFX90A:TG_SPLIT: 0
	.section	.text._ZN4vllm25paged_attention_v2_kernelIthLi112ELi16ELi128ELNS_18Fp8KVCacheDataTypeE1ELb0ELi512EEEvPfS2_PT_PKS3_PKT0_S9_ifPKiSB_iPKfiiiSD_SD_iiiii,"axG",@progbits,_ZN4vllm25paged_attention_v2_kernelIthLi112ELi16ELi128ELNS_18Fp8KVCacheDataTypeE1ELb0ELi512EEEvPfS2_PT_PKS3_PKT0_S9_ifPKiSB_iPKfiiiSD_SD_iiiii,comdat
	.protected	_ZN4vllm25paged_attention_v2_kernelIthLi112ELi16ELi128ELNS_18Fp8KVCacheDataTypeE1ELb0ELi512EEEvPfS2_PT_PKS3_PKT0_S9_ifPKiSB_iPKfiiiSD_SD_iiiii ; -- Begin function _ZN4vllm25paged_attention_v2_kernelIthLi112ELi16ELi128ELNS_18Fp8KVCacheDataTypeE1ELb0ELi512EEEvPfS2_PT_PKS3_PKT0_S9_ifPKiSB_iPKfiiiSD_SD_iiiii
	.globl	_ZN4vllm25paged_attention_v2_kernelIthLi112ELi16ELi128ELNS_18Fp8KVCacheDataTypeE1ELb0ELi512EEEvPfS2_PT_PKS3_PKT0_S9_ifPKiSB_iPKfiiiSD_SD_iiiii
	.p2align	8
	.type	_ZN4vllm25paged_attention_v2_kernelIthLi112ELi16ELi128ELNS_18Fp8KVCacheDataTypeE1ELb0ELi512EEEvPfS2_PT_PKS3_PKT0_S9_ifPKiSB_iPKfiiiSD_SD_iiiii,@function
_ZN4vllm25paged_attention_v2_kernelIthLi112ELi16ELi128ELNS_18Fp8KVCacheDataTypeE1ELb0ELi512EEEvPfS2_PT_PKS3_PKT0_S9_ifPKiSB_iPKfiiiSD_SD_iiiii: ; @_ZN4vllm25paged_attention_v2_kernelIthLi112ELi16ELi128ELNS_18Fp8KVCacheDataTypeE1ELb0ELi512EEEvPfS2_PT_PKS3_PKT0_S9_ifPKiSB_iPKfiiiSD_SD_iiiii
; %bb.0:
	s_load_dwordx2 s[6:7], s[0:1], 0x40
	s_mov_b32 s28, s3
	s_ashr_i32 s29, s3, 31
	s_lshl_b64 s[8:9], s[28:29], 2
	s_waitcnt lgkmcnt(0)
	s_add_u32 s6, s6, s8
	s_addc_u32 s7, s7, s9
	s_load_dword s29, s[6:7], 0x0
	s_lshl_b32 s46, s4, 9
	s_waitcnt lgkmcnt(0)
	s_cmp_ge_i32 s46, s29
	s_cbranch_scc1 .LBB278_552
; %bb.1:
	s_load_dword s5, s[0:1], 0x90
	s_load_dwordx2 s[10:11], s[0:1], 0x30
	s_mov_b32 s47, 0
	s_waitcnt lgkmcnt(0)
	s_abs_i32 s7, s5
	s_abs_i32 s3, s10
	v_cvt_f32_u32_e32 v1, s3
	s_sub_i32 s8, 0, s3
	s_xor_b32 s6, s5, s10
	s_ashr_i32 s6, s6, 31
	v_rcp_iflag_f32_e32 v1, v1
	s_nop 0
	v_mul_f32_e32 v1, 0x4f7ffffe, v1
	v_cvt_u32_f32_e32 v1, v1
	s_nop 0
	v_readfirstlane_b32 s9, v1
	s_mul_i32 s8, s8, s9
	s_mul_hi_u32 s8, s9, s8
	s_add_i32 s9, s9, s8
	s_mul_hi_u32 s8, s7, s9
	s_mul_i32 s9, s8, s3
	s_sub_i32 s7, s7, s9
	s_add_i32 s10, s8, 1
	s_sub_i32 s9, s7, s3
	s_cmp_ge_u32 s7, s3
	s_cselect_b32 s8, s10, s8
	s_cselect_b32 s7, s9, s7
	s_add_i32 s9, s8, 1
	s_cmp_ge_u32 s7, s3
	s_cselect_b32 s3, s9, s8
	s_xor_b32 s3, s3, s6
	s_sub_i32 s10, s3, s6
	s_abs_i32 s8, s10
	v_cvt_f32_u32_e32 v1, s8
	s_load_dwordx2 s[6:7], s[0:1], 0x50
	s_sub_i32 s3, 0, s8
	s_abs_i32 s9, s2
	v_rcp_iflag_f32_e32 v1, v1
	s_nop 0
	v_mul_f32_e32 v1, 0x4f7ffffe, v1
	v_cvt_u32_f32_e32 v1, v1
	s_nop 0
	v_readfirstlane_b32 s12, v1
	s_mul_i32 s3, s3, s12
	s_mul_hi_u32 s3, s12, s3
	s_add_i32 s12, s12, s3
	s_waitcnt lgkmcnt(0)
	s_cmp_eq_u64 s[6:7], 0
	s_mul_hi_u32 s12, s9, s12
	s_cbranch_scc1 .LBB278_3
; %bb.2:
	s_ashr_i32 s3, s2, 31
	s_lshl_b64 s[14:15], s[2:3], 2
	s_add_u32 s6, s6, s14
	s_addc_u32 s7, s7, s15
	s_load_dword s47, s[6:7], 0x0
.LBB278_3:
	s_load_dwordx4 s[16:19], s[0:1], 0x58
	s_ashr_i32 s13, s2, 31
	s_ashr_i32 s14, s10, 31
	v_and_b32_e32 v9, 3, v0
	s_mul_i32 s24, s2, 0x70
	v_cmp_gt_u32_e32 vcc, 56, v0
	s_and_saveexec_b64 s[6:7], vcc
	s_cbranch_execz .LBB278_5
; %bb.4:
	s_load_dwordx2 s[20:21], s[0:1], 0x18
	s_waitcnt lgkmcnt(0)
	s_mul_i32 s22, s28, s16
	s_ashr_i32 s23, s22, 31
	s_lshl_b64 s[22:23], s[22:23], 1
	v_lshlrev_b32_e32 v1, 2, v0
	s_add_u32 s3, s20, s22
	s_addc_u32 s10, s21, s23
	s_ashr_i32 s25, s24, 31
	s_lshl_b64 s[20:21], s[24:25], 1
	s_add_u32 s20, s3, s20
	s_addc_u32 s21, s10, s21
	global_load_dword v1, v1, s[20:21]
	v_and_b32_e32 v2, 0x3fc, v0
	v_mad_u32_u24 v2, v9, 56, v2
	s_waitcnt vmcnt(0)
	ds_write_b32 v2, v1
.LBB278_5:
	s_or_b64 exec, exec, s[6:7]
	s_add_i32 s3, s29, 15
	s_ashr_i32 s6, s3, 31
	s_lshr_b32 s6, s6, 28
	s_add_i32 s3, s3, s6
	s_lshl_b32 s10, s4, 5
	s_mul_i32 s7, s12, s8
	s_ashr_i32 s3, s3, 4
	s_add_i32 s6, s10, 32
	s_sub_i32 s7, s9, s7
	s_min_i32 s33, s6, s3
	s_xor_b32 s6, s13, s14
	s_add_i32 s9, s12, 1
	s_sub_i32 s13, s7, s8
	s_cmp_ge_u32 s7, s8
	s_cselect_b32 s9, s9, s12
	s_cselect_b32 s7, s13, s7
	s_add_i32 s12, s9, 1
	s_cmp_ge_u32 s7, s8
	s_load_dwordx2 s[30:31], s[0:1], 0x38
	s_load_dword s8, s[0:1], 0x48
	v_lshrrev_b32_e32 v14, 6, v0
	s_cselect_b32 s7, s12, s9
	s_xor_b32 s7, s7, s6
	v_or_b32_e32 v2, s10, v14
	s_waitcnt lgkmcnt(0)
	s_mul_i32 s34, s28, s8
	s_sub_i32 s16, s7, s6
	s_ashr_i32 s35, s34, 31
	v_cmp_gt_i32_e64 s[8:9], s33, v2
	v_cmp_le_i32_e32 vcc, s33, v2
	v_mbcnt_lo_u32_b32 v12, -1, 0
	s_barrier
	s_waitcnt lgkmcnt(0)
                                        ; implicit-def: $sgpr19
                                        ; implicit-def: $vgpr16
                                        ; implicit-def: $vgpr4
	s_and_saveexec_b64 s[6:7], vcc
	s_xor_b64 s[6:7], exec, s[6:7]
; %bb.6:
	v_mbcnt_hi_u32_b32 v16, -1, v12
	v_and_b32_e32 v1, 64, v16
	v_add_u32_e32 v4, 64, v1
	s_mov_b32 s19, 0xff7fffff
                                        ; implicit-def: $vgpr9
                                        ; implicit-def: $vgpr12
; %bb.7:
	s_or_saveexec_b64 s[38:39], s[6:7]
	s_load_dwordx4 s[20:23], s[0:1], 0x0
	s_load_dwordx2 s[26:27], s[0:1], 0x10
	s_load_dword s25, s[0:1], 0x98
	s_load_dwordx2 s[36:37], s[0:1], 0x28
	s_load_dwordx4 s[12:15], s[0:1], 0x68
	v_mov_b32_e32 v1, s19
	s_mul_i32 s16, s16, s18
	v_ashrrev_i32_e32 v3, 31, v2
	v_lshlrev_b32_e32 v15, 4, v14
	s_xor_b64 exec, exec, s[38:39]
	s_cbranch_execz .LBB278_237
; %bb.8:
	s_load_dwordx2 s[0:1], s[0:1], 0x20
	s_ashr_i32 s6, s16, 31
	v_bfe_u32 v1, v0, 2, 4
	v_lshlrev_b32_e32 v4, 4, v1
	v_mov_b32_e32 v5, 0
	s_waitcnt lgkmcnt(0)
	s_add_u32 s0, s0, s16
	s_addc_u32 s1, s1, s6
	v_lshl_add_u64 v[6:7], s[0:1], 0, v[4:5]
	s_sub_i32 s49, 1, s29
	s_lshl_b64 s[0:1], s[34:35], 2
	v_add3_u32 v18, s46, v15, v1
	v_lshlrev_b32_e32 v1, 2, v1
	s_add_u32 s0, s30, s0
	v_lshl_or_b32 v1, v14, 6, v1
	s_addc_u32 s1, s31, s1
	s_mov_b32 s48, s17
	v_lshlrev_b32_e32 v8, 1, v9
	v_mul_u32_u24_e32 v17, 56, v9
	v_cmp_eq_u32_e32 vcc, 0, v9
	v_cmp_neq_f32_e64 s[6:7], s47, 0
	v_mov_b32_e32 v9, v5
	v_add_u32_e32 v19, 0xf0, v1
	v_lshl_add_u64 v[10:11], v[2:3], 2, s[0:1]
	s_mov_b64 s[18:19], 0
	v_mov_b32_e32 v1, 0xff7fffff
	s_movk_i32 s50, 0x7f
	s_movk_i32 s51, 0x80
	s_mov_b32 s52, 0x8000
	v_mbcnt_hi_u32_b32 v16, -1, v12
	v_mov_b32_e32 v20, 0x1c00
	v_mov_b32_e32 v21, v2
	s_branch .LBB278_10
.LBB278_9:                              ;   in Loop: Header=BB278_10 Depth=1
	s_or_b64 exec, exec, s[40:41]
	v_add_u32_e32 v21, 2, v21
	v_cmp_le_i32_e64 s[0:1], s33, v21
	v_add_u32_e32 v18, 32, v18
	v_add_u32_e32 v19, 0x80, v19
	s_or_b64 s[18:19], s[0:1], s[18:19]
	v_lshl_add_u64 v[10:11], v[10:11], 0, 8
	s_andn2_b64 exec, exec, s[18:19]
	s_cbranch_execz .LBB278_236
.LBB278_10:                             ; =>This Inner Loop Header: Depth=1
	global_load_dword v4, v[10:11], off
                                        ; implicit-def: $sgpr44
	s_waitcnt vmcnt(0) lgkmcnt(0)
	v_mad_i64_i32 v[12:13], s[0:1], v4, s48, v[6:7]
	v_lshl_add_u64 v[12:13], v[12:13], 0, v[8:9]
	global_load_ushort v4, v[12:13], off
	global_load_dword v22, v5, s[12:13]
	s_mov_b64 s[0:1], 0
	s_waitcnt vmcnt(1)
	v_cmp_gt_i16_sdwa s[40:41], v4, s50 src0_sel:BYTE_0 src1_sel:DWORD
	s_and_saveexec_b64 s[42:43], s[40:41]
	s_xor_b64 s[40:41], exec, s[42:43]
	s_cbranch_execnz .LBB278_124
; %bb.11:                               ;   in Loop: Header=BB278_10 Depth=1
	s_or_saveexec_b64 s[40:41], s[40:41]
	v_mov_b32_e32 v23, s44
	s_xor_b64 exec, exec, s[40:41]
	s_cbranch_execnz .LBB278_127
.LBB278_12:                             ;   in Loop: Header=BB278_10 Depth=1
	s_or_b64 exec, exec, s[40:41]
	v_and_b32_e32 v4, 0xffff, v4
	s_and_saveexec_b64 s[40:41], s[0:1]
	s_cbranch_execz .LBB278_14
.LBB278_13:                             ;   in Loop: Header=BB278_10 Depth=1
	v_and_b32_e32 v23, 7, v4
	v_ffbh_u32_e32 v24, v23
	v_min_u32_e32 v27, 32, v24
	v_subrev_u32_e32 v24, 28, v27
	v_bfe_u32 v26, v4, 3, 4
	v_lshlrev_b64 v[24:25], v24, v[4:5]
	v_sub_u32_e32 v25, 29, v27
	v_cmp_eq_u32_e64 s[0:1], 0, v26
	v_and_b32_e32 v24, 7, v24
	s_nop 0
	v_cndmask_b32_e64 v25, v26, v25, s[0:1]
	v_cndmask_b32_e64 v23, v23, v24, s[0:1]
	v_lshlrev_b32_e32 v24, 8, v4
	v_lshl_add_u32 v25, v25, 10, v20
	v_and_or_b32 v24, v24, s52, v25
	v_lshl_or_b32 v23, v23, 7, v24
	v_cvt_f32_f16_e32 v23, v23
.LBB278_14:                             ;   in Loop: Header=BB278_10 Depth=1
	s_or_b64 exec, exec, s[40:41]
	v_lshrrev_b16_e32 v4, 8, v4
	v_cmp_lt_i16_e64 s[0:1], s50, v4
	s_mov_b64 s[40:41], 0
                                        ; implicit-def: $sgpr53
	s_and_saveexec_b64 s[42:43], s[0:1]
	s_xor_b64 s[42:43], exec, s[42:43]
	s_cbranch_execnz .LBB278_128
; %bb.15:                               ;   in Loop: Header=BB278_10 Depth=1
	s_or_saveexec_b64 s[42:43], s[42:43]
	v_mov_b32_e32 v24, s53
	s_xor_b64 exec, exec, s[42:43]
	s_cbranch_execnz .LBB278_131
.LBB278_16:                             ;   in Loop: Header=BB278_10 Depth=1
	s_or_b64 exec, exec, s[42:43]
	s_and_saveexec_b64 s[42:43], s[40:41]
	s_cbranch_execz .LBB278_18
.LBB278_17:                             ;   in Loop: Header=BB278_10 Depth=1
	v_and_b32_e32 v26, 7, v4
	v_ffbh_u32_e32 v24, v26
	v_min_u32_e32 v28, 32, v24
	v_subrev_u32_e32 v24, 28, v28
	v_bfe_u32 v27, v4, 3, 4
	v_lshlrev_b64 v[24:25], v24, v[4:5]
	v_sub_u32_e32 v25, 29, v28
	v_cmp_eq_u32_e64 s[0:1], 0, v27
	v_and_b32_e32 v24, 7, v24
	v_lshlrev_b32_e32 v4, 8, v4
	v_cndmask_b32_e64 v25, v27, v25, s[0:1]
	v_lshl_add_u32 v25, v25, 10, v20
	v_cndmask_b32_e64 v24, v26, v24, s[0:1]
	v_and_or_b32 v4, v4, s52, v25
	v_lshl_or_b32 v4, v24, 7, v4
	v_cvt_f32_f16_e32 v24, v4
.LBB278_18:                             ;   in Loop: Header=BB278_10 Depth=1
	s_or_b64 exec, exec, s[42:43]
	global_load_ushort v4, v[12:13], off offset:8
	s_mov_b64 s[0:1], 0
                                        ; implicit-def: $sgpr44
	s_waitcnt vmcnt(0)
	v_cmp_gt_i16_sdwa s[40:41], v4, s50 src0_sel:BYTE_0 src1_sel:DWORD
	s_and_saveexec_b64 s[42:43], s[40:41]
	s_xor_b64 s[40:41], exec, s[42:43]
	s_cbranch_execnz .LBB278_132
; %bb.19:                               ;   in Loop: Header=BB278_10 Depth=1
	s_or_saveexec_b64 s[40:41], s[40:41]
	v_mov_b32_e32 v25, s44
	s_xor_b64 exec, exec, s[40:41]
	s_cbranch_execnz .LBB278_135
.LBB278_20:                             ;   in Loop: Header=BB278_10 Depth=1
	s_or_b64 exec, exec, s[40:41]
	v_and_b32_e32 v4, 0xffff, v4
	s_and_saveexec_b64 s[40:41], s[0:1]
	s_cbranch_execz .LBB278_22
.LBB278_21:                             ;   in Loop: Header=BB278_10 Depth=1
	v_and_b32_e32 v25, 7, v4
	v_ffbh_u32_e32 v26, v25
	v_min_u32_e32 v29, 32, v26
	v_subrev_u32_e32 v26, 28, v29
	v_bfe_u32 v28, v4, 3, 4
	v_lshlrev_b64 v[26:27], v26, v[4:5]
	v_sub_u32_e32 v27, 29, v29
	v_cmp_eq_u32_e64 s[0:1], 0, v28
	v_and_b32_e32 v26, 7, v26
	s_nop 0
	v_cndmask_b32_e64 v27, v28, v27, s[0:1]
	v_cndmask_b32_e64 v25, v25, v26, s[0:1]
	v_lshlrev_b32_e32 v26, 8, v4
	v_lshl_add_u32 v27, v27, 10, v20
	v_and_or_b32 v26, v26, s52, v27
	v_lshl_or_b32 v25, v25, 7, v26
	v_cvt_f32_f16_e32 v25, v25
.LBB278_22:                             ;   in Loop: Header=BB278_10 Depth=1
	s_or_b64 exec, exec, s[40:41]
	v_lshrrev_b16_e32 v4, 8, v4
	v_cmp_lt_i16_e64 s[0:1], s50, v4
	s_mov_b64 s[40:41], 0
                                        ; implicit-def: $sgpr53
	s_and_saveexec_b64 s[42:43], s[0:1]
	s_xor_b64 s[42:43], exec, s[42:43]
	s_cbranch_execnz .LBB278_136
; %bb.23:                               ;   in Loop: Header=BB278_10 Depth=1
	s_or_saveexec_b64 s[42:43], s[42:43]
	v_mov_b32_e32 v26, s53
	s_xor_b64 exec, exec, s[42:43]
	s_cbranch_execnz .LBB278_139
.LBB278_24:                             ;   in Loop: Header=BB278_10 Depth=1
	s_or_b64 exec, exec, s[42:43]
	s_and_saveexec_b64 s[42:43], s[40:41]
	s_cbranch_execz .LBB278_26
.LBB278_25:                             ;   in Loop: Header=BB278_10 Depth=1
	v_and_b32_e32 v28, 7, v4
	v_ffbh_u32_e32 v26, v28
	v_min_u32_e32 v30, 32, v26
	v_subrev_u32_e32 v26, 28, v30
	v_bfe_u32 v29, v4, 3, 4
	v_lshlrev_b64 v[26:27], v26, v[4:5]
	v_sub_u32_e32 v27, 29, v30
	v_cmp_eq_u32_e64 s[0:1], 0, v29
	v_and_b32_e32 v26, 7, v26
	v_lshlrev_b32_e32 v4, 8, v4
	v_cndmask_b32_e64 v27, v29, v27, s[0:1]
	v_lshl_add_u32 v27, v27, 10, v20
	v_cndmask_b32_e64 v26, v28, v26, s[0:1]
	v_and_or_b32 v4, v4, s52, v27
	v_lshl_or_b32 v4, v26, 7, v4
	v_cvt_f32_f16_e32 v26, v4
.LBB278_26:                             ;   in Loop: Header=BB278_10 Depth=1
	s_or_b64 exec, exec, s[42:43]
	global_load_ushort v4, v[12:13], off offset:256
	s_mov_b64 s[0:1], 0
                                        ; implicit-def: $sgpr44
	s_waitcnt vmcnt(0)
	v_cmp_gt_i16_sdwa s[40:41], v4, s50 src0_sel:BYTE_0 src1_sel:DWORD
	s_and_saveexec_b64 s[42:43], s[40:41]
	s_xor_b64 s[40:41], exec, s[42:43]
	s_cbranch_execnz .LBB278_140
; %bb.27:                               ;   in Loop: Header=BB278_10 Depth=1
	s_or_saveexec_b64 s[40:41], s[40:41]
	v_mov_b32_e32 v27, s44
	s_xor_b64 exec, exec, s[40:41]
	s_cbranch_execnz .LBB278_143
.LBB278_28:                             ;   in Loop: Header=BB278_10 Depth=1
	s_or_b64 exec, exec, s[40:41]
	v_and_b32_e32 v4, 0xffff, v4
	s_and_saveexec_b64 s[40:41], s[0:1]
	s_cbranch_execz .LBB278_30
.LBB278_29:                             ;   in Loop: Header=BB278_10 Depth=1
	v_and_b32_e32 v27, 7, v4
	v_ffbh_u32_e32 v28, v27
	v_min_u32_e32 v31, 32, v28
	v_subrev_u32_e32 v28, 28, v31
	v_bfe_u32 v30, v4, 3, 4
	v_lshlrev_b64 v[28:29], v28, v[4:5]
	v_sub_u32_e32 v29, 29, v31
	v_cmp_eq_u32_e64 s[0:1], 0, v30
	v_and_b32_e32 v28, 7, v28
	s_nop 0
	v_cndmask_b32_e64 v29, v30, v29, s[0:1]
	v_cndmask_b32_e64 v27, v27, v28, s[0:1]
	v_lshlrev_b32_e32 v28, 8, v4
	v_lshl_add_u32 v29, v29, 10, v20
	v_and_or_b32 v28, v28, s52, v29
	v_lshl_or_b32 v27, v27, 7, v28
	v_cvt_f32_f16_e32 v27, v27
.LBB278_30:                             ;   in Loop: Header=BB278_10 Depth=1
	s_or_b64 exec, exec, s[40:41]
	v_lshrrev_b16_e32 v4, 8, v4
	v_cmp_lt_i16_e64 s[0:1], s50, v4
	s_mov_b64 s[40:41], 0
                                        ; implicit-def: $sgpr53
	s_and_saveexec_b64 s[42:43], s[0:1]
	s_xor_b64 s[42:43], exec, s[42:43]
	s_cbranch_execnz .LBB278_144
; %bb.31:                               ;   in Loop: Header=BB278_10 Depth=1
	s_or_saveexec_b64 s[42:43], s[42:43]
	v_mov_b32_e32 v28, s53
	s_xor_b64 exec, exec, s[42:43]
	s_cbranch_execnz .LBB278_147
.LBB278_32:                             ;   in Loop: Header=BB278_10 Depth=1
	s_or_b64 exec, exec, s[42:43]
	s_and_saveexec_b64 s[42:43], s[40:41]
	s_cbranch_execz .LBB278_34
.LBB278_33:                             ;   in Loop: Header=BB278_10 Depth=1
	v_and_b32_e32 v30, 7, v4
	v_ffbh_u32_e32 v28, v30
	v_min_u32_e32 v32, 32, v28
	v_subrev_u32_e32 v28, 28, v32
	v_bfe_u32 v31, v4, 3, 4
	v_lshlrev_b64 v[28:29], v28, v[4:5]
	v_sub_u32_e32 v29, 29, v32
	v_cmp_eq_u32_e64 s[0:1], 0, v31
	v_and_b32_e32 v28, 7, v28
	v_lshlrev_b32_e32 v4, 8, v4
	v_cndmask_b32_e64 v29, v31, v29, s[0:1]
	v_lshl_add_u32 v29, v29, 10, v20
	v_cndmask_b32_e64 v28, v30, v28, s[0:1]
	v_and_or_b32 v4, v4, s52, v29
	v_lshl_or_b32 v4, v28, 7, v4
	v_cvt_f32_f16_e32 v28, v4
.LBB278_34:                             ;   in Loop: Header=BB278_10 Depth=1
	s_or_b64 exec, exec, s[42:43]
	global_load_ushort v4, v[12:13], off offset:264
	s_mov_b64 s[0:1], 0
                                        ; implicit-def: $sgpr44
	s_waitcnt vmcnt(0)
	v_cmp_gt_i16_sdwa s[40:41], v4, s50 src0_sel:BYTE_0 src1_sel:DWORD
	s_and_saveexec_b64 s[42:43], s[40:41]
	s_xor_b64 s[40:41], exec, s[42:43]
	s_cbranch_execnz .LBB278_148
; %bb.35:                               ;   in Loop: Header=BB278_10 Depth=1
	s_or_saveexec_b64 s[40:41], s[40:41]
	v_mov_b32_e32 v29, s44
	s_xor_b64 exec, exec, s[40:41]
	s_cbranch_execnz .LBB278_151
.LBB278_36:                             ;   in Loop: Header=BB278_10 Depth=1
	s_or_b64 exec, exec, s[40:41]
	v_and_b32_e32 v4, 0xffff, v4
	s_and_saveexec_b64 s[40:41], s[0:1]
	s_cbranch_execz .LBB278_38
.LBB278_37:                             ;   in Loop: Header=BB278_10 Depth=1
	v_and_b32_e32 v29, 7, v4
	v_ffbh_u32_e32 v30, v29
	v_min_u32_e32 v33, 32, v30
	v_subrev_u32_e32 v30, 28, v33
	v_bfe_u32 v32, v4, 3, 4
	v_lshlrev_b64 v[30:31], v30, v[4:5]
	v_sub_u32_e32 v31, 29, v33
	v_cmp_eq_u32_e64 s[0:1], 0, v32
	v_and_b32_e32 v30, 7, v30
	s_nop 0
	v_cndmask_b32_e64 v31, v32, v31, s[0:1]
	v_cndmask_b32_e64 v29, v29, v30, s[0:1]
	v_lshlrev_b32_e32 v30, 8, v4
	v_lshl_add_u32 v31, v31, 10, v20
	v_and_or_b32 v30, v30, s52, v31
	v_lshl_or_b32 v29, v29, 7, v30
	v_cvt_f32_f16_e32 v29, v29
.LBB278_38:                             ;   in Loop: Header=BB278_10 Depth=1
	s_or_b64 exec, exec, s[40:41]
	v_lshrrev_b16_e32 v4, 8, v4
	v_cmp_lt_i16_e64 s[0:1], s50, v4
	s_mov_b64 s[40:41], 0
                                        ; implicit-def: $sgpr53
	s_and_saveexec_b64 s[42:43], s[0:1]
	s_xor_b64 s[42:43], exec, s[42:43]
	s_cbranch_execnz .LBB278_152
; %bb.39:                               ;   in Loop: Header=BB278_10 Depth=1
	s_or_saveexec_b64 s[42:43], s[42:43]
	v_mov_b32_e32 v30, s53
	s_xor_b64 exec, exec, s[42:43]
	s_cbranch_execnz .LBB278_155
.LBB278_40:                             ;   in Loop: Header=BB278_10 Depth=1
	s_or_b64 exec, exec, s[42:43]
	s_and_saveexec_b64 s[42:43], s[40:41]
	s_cbranch_execz .LBB278_42
.LBB278_41:                             ;   in Loop: Header=BB278_10 Depth=1
	v_and_b32_e32 v32, 7, v4
	v_ffbh_u32_e32 v30, v32
	v_min_u32_e32 v34, 32, v30
	v_subrev_u32_e32 v30, 28, v34
	v_bfe_u32 v33, v4, 3, 4
	v_lshlrev_b64 v[30:31], v30, v[4:5]
	v_sub_u32_e32 v31, 29, v34
	v_cmp_eq_u32_e64 s[0:1], 0, v33
	v_and_b32_e32 v30, 7, v30
	v_lshlrev_b32_e32 v4, 8, v4
	v_cndmask_b32_e64 v31, v33, v31, s[0:1]
	v_lshl_add_u32 v31, v31, 10, v20
	v_cndmask_b32_e64 v30, v32, v30, s[0:1]
	v_and_or_b32 v4, v4, s52, v31
	v_lshl_or_b32 v4, v30, 7, v4
	v_cvt_f32_f16_e32 v30, v4
.LBB278_42:                             ;   in Loop: Header=BB278_10 Depth=1
	s_or_b64 exec, exec, s[42:43]
	global_load_ushort v4, v[12:13], off offset:512
	s_mov_b64 s[0:1], 0
                                        ; implicit-def: $sgpr44
	s_waitcnt vmcnt(0)
	v_cmp_gt_i16_sdwa s[40:41], v4, s50 src0_sel:BYTE_0 src1_sel:DWORD
	s_and_saveexec_b64 s[42:43], s[40:41]
	s_xor_b64 s[40:41], exec, s[42:43]
	s_cbranch_execnz .LBB278_156
; %bb.43:                               ;   in Loop: Header=BB278_10 Depth=1
	s_or_saveexec_b64 s[40:41], s[40:41]
	v_mov_b32_e32 v31, s44
	s_xor_b64 exec, exec, s[40:41]
	s_cbranch_execnz .LBB278_159
.LBB278_44:                             ;   in Loop: Header=BB278_10 Depth=1
	s_or_b64 exec, exec, s[40:41]
	v_and_b32_e32 v4, 0xffff, v4
	s_and_saveexec_b64 s[40:41], s[0:1]
	s_cbranch_execz .LBB278_46
.LBB278_45:                             ;   in Loop: Header=BB278_10 Depth=1
	v_and_b32_e32 v31, 7, v4
	v_ffbh_u32_e32 v32, v31
	v_min_u32_e32 v35, 32, v32
	v_subrev_u32_e32 v32, 28, v35
	v_bfe_u32 v34, v4, 3, 4
	v_lshlrev_b64 v[32:33], v32, v[4:5]
	v_sub_u32_e32 v33, 29, v35
	v_cmp_eq_u32_e64 s[0:1], 0, v34
	v_and_b32_e32 v32, 7, v32
	s_nop 0
	v_cndmask_b32_e64 v33, v34, v33, s[0:1]
	v_cndmask_b32_e64 v31, v31, v32, s[0:1]
	v_lshlrev_b32_e32 v32, 8, v4
	v_lshl_add_u32 v33, v33, 10, v20
	v_and_or_b32 v32, v32, s52, v33
	v_lshl_or_b32 v31, v31, 7, v32
	v_cvt_f32_f16_e32 v31, v31
.LBB278_46:                             ;   in Loop: Header=BB278_10 Depth=1
	s_or_b64 exec, exec, s[40:41]
	v_lshrrev_b16_e32 v4, 8, v4
	v_cmp_lt_i16_e64 s[0:1], s50, v4
	s_mov_b64 s[40:41], 0
                                        ; implicit-def: $sgpr53
	s_and_saveexec_b64 s[42:43], s[0:1]
	s_xor_b64 s[42:43], exec, s[42:43]
	s_cbranch_execnz .LBB278_160
; %bb.47:                               ;   in Loop: Header=BB278_10 Depth=1
	s_or_saveexec_b64 s[42:43], s[42:43]
	v_mov_b32_e32 v32, s53
	s_xor_b64 exec, exec, s[42:43]
	s_cbranch_execnz .LBB278_163
.LBB278_48:                             ;   in Loop: Header=BB278_10 Depth=1
	s_or_b64 exec, exec, s[42:43]
	s_and_saveexec_b64 s[42:43], s[40:41]
	s_cbranch_execz .LBB278_50
.LBB278_49:                             ;   in Loop: Header=BB278_10 Depth=1
	v_and_b32_e32 v34, 7, v4
	v_ffbh_u32_e32 v32, v34
	v_min_u32_e32 v36, 32, v32
	v_subrev_u32_e32 v32, 28, v36
	v_bfe_u32 v35, v4, 3, 4
	v_lshlrev_b64 v[32:33], v32, v[4:5]
	v_sub_u32_e32 v33, 29, v36
	v_cmp_eq_u32_e64 s[0:1], 0, v35
	v_and_b32_e32 v32, 7, v32
	v_lshlrev_b32_e32 v4, 8, v4
	v_cndmask_b32_e64 v33, v35, v33, s[0:1]
	v_lshl_add_u32 v33, v33, 10, v20
	v_cndmask_b32_e64 v32, v34, v32, s[0:1]
	v_and_or_b32 v4, v4, s52, v33
	v_lshl_or_b32 v4, v32, 7, v4
	v_cvt_f32_f16_e32 v32, v4
.LBB278_50:                             ;   in Loop: Header=BB278_10 Depth=1
	s_or_b64 exec, exec, s[42:43]
	global_load_ushort v4, v[12:13], off offset:520
	s_mov_b64 s[0:1], 0
                                        ; implicit-def: $sgpr44
	s_waitcnt vmcnt(0)
	v_cmp_gt_i16_sdwa s[40:41], v4, s50 src0_sel:BYTE_0 src1_sel:DWORD
	s_and_saveexec_b64 s[42:43], s[40:41]
	s_xor_b64 s[40:41], exec, s[42:43]
	s_cbranch_execnz .LBB278_164
; %bb.51:                               ;   in Loop: Header=BB278_10 Depth=1
	s_or_saveexec_b64 s[40:41], s[40:41]
	v_mov_b32_e32 v33, s44
	s_xor_b64 exec, exec, s[40:41]
	s_cbranch_execnz .LBB278_167
.LBB278_52:                             ;   in Loop: Header=BB278_10 Depth=1
	s_or_b64 exec, exec, s[40:41]
	v_and_b32_e32 v4, 0xffff, v4
	s_and_saveexec_b64 s[40:41], s[0:1]
	s_cbranch_execz .LBB278_54
.LBB278_53:                             ;   in Loop: Header=BB278_10 Depth=1
	v_and_b32_e32 v33, 7, v4
	v_ffbh_u32_e32 v34, v33
	v_min_u32_e32 v37, 32, v34
	v_subrev_u32_e32 v34, 28, v37
	v_bfe_u32 v36, v4, 3, 4
	v_lshlrev_b64 v[34:35], v34, v[4:5]
	v_sub_u32_e32 v35, 29, v37
	v_cmp_eq_u32_e64 s[0:1], 0, v36
	v_and_b32_e32 v34, 7, v34
	s_nop 0
	v_cndmask_b32_e64 v35, v36, v35, s[0:1]
	v_cndmask_b32_e64 v33, v33, v34, s[0:1]
	v_lshlrev_b32_e32 v34, 8, v4
	v_lshl_add_u32 v35, v35, 10, v20
	v_and_or_b32 v34, v34, s52, v35
	v_lshl_or_b32 v33, v33, 7, v34
	v_cvt_f32_f16_e32 v33, v33
.LBB278_54:                             ;   in Loop: Header=BB278_10 Depth=1
	s_or_b64 exec, exec, s[40:41]
	v_lshrrev_b16_e32 v4, 8, v4
	v_cmp_lt_i16_e64 s[0:1], s50, v4
	s_mov_b64 s[40:41], 0
                                        ; implicit-def: $sgpr53
	s_and_saveexec_b64 s[42:43], s[0:1]
	s_xor_b64 s[42:43], exec, s[42:43]
	s_cbranch_execnz .LBB278_168
; %bb.55:                               ;   in Loop: Header=BB278_10 Depth=1
	s_or_saveexec_b64 s[42:43], s[42:43]
	v_mov_b32_e32 v34, s53
	s_xor_b64 exec, exec, s[42:43]
	s_cbranch_execnz .LBB278_171
.LBB278_56:                             ;   in Loop: Header=BB278_10 Depth=1
	s_or_b64 exec, exec, s[42:43]
	s_and_saveexec_b64 s[42:43], s[40:41]
	s_cbranch_execz .LBB278_58
.LBB278_57:                             ;   in Loop: Header=BB278_10 Depth=1
	v_and_b32_e32 v36, 7, v4
	v_ffbh_u32_e32 v34, v36
	v_min_u32_e32 v38, 32, v34
	v_subrev_u32_e32 v34, 28, v38
	v_bfe_u32 v37, v4, 3, 4
	v_lshlrev_b64 v[34:35], v34, v[4:5]
	v_sub_u32_e32 v35, 29, v38
	v_cmp_eq_u32_e64 s[0:1], 0, v37
	v_and_b32_e32 v34, 7, v34
	v_lshlrev_b32_e32 v4, 8, v4
	v_cndmask_b32_e64 v35, v37, v35, s[0:1]
	v_lshl_add_u32 v35, v35, 10, v20
	v_cndmask_b32_e64 v34, v36, v34, s[0:1]
	v_and_or_b32 v4, v4, s52, v35
	v_lshl_or_b32 v4, v34, 7, v4
	v_cvt_f32_f16_e32 v34, v4
.LBB278_58:                             ;   in Loop: Header=BB278_10 Depth=1
	s_or_b64 exec, exec, s[42:43]
	global_load_ushort v4, v[12:13], off offset:768
	s_mov_b64 s[0:1], 0
                                        ; implicit-def: $sgpr44
	s_waitcnt vmcnt(0)
	v_cmp_gt_i16_sdwa s[40:41], v4, s50 src0_sel:BYTE_0 src1_sel:DWORD
	s_and_saveexec_b64 s[42:43], s[40:41]
	s_xor_b64 s[40:41], exec, s[42:43]
	s_cbranch_execnz .LBB278_172
; %bb.59:                               ;   in Loop: Header=BB278_10 Depth=1
	s_or_saveexec_b64 s[40:41], s[40:41]
	v_mov_b32_e32 v35, s44
	s_xor_b64 exec, exec, s[40:41]
	s_cbranch_execnz .LBB278_175
.LBB278_60:                             ;   in Loop: Header=BB278_10 Depth=1
	s_or_b64 exec, exec, s[40:41]
	v_and_b32_e32 v4, 0xffff, v4
	s_and_saveexec_b64 s[40:41], s[0:1]
	s_cbranch_execz .LBB278_62
.LBB278_61:                             ;   in Loop: Header=BB278_10 Depth=1
	v_and_b32_e32 v35, 7, v4
	v_ffbh_u32_e32 v36, v35
	v_min_u32_e32 v39, 32, v36
	v_subrev_u32_e32 v36, 28, v39
	v_bfe_u32 v38, v4, 3, 4
	v_lshlrev_b64 v[36:37], v36, v[4:5]
	v_sub_u32_e32 v37, 29, v39
	v_cmp_eq_u32_e64 s[0:1], 0, v38
	v_and_b32_e32 v36, 7, v36
	s_nop 0
	v_cndmask_b32_e64 v37, v38, v37, s[0:1]
	v_cndmask_b32_e64 v35, v35, v36, s[0:1]
	v_lshlrev_b32_e32 v36, 8, v4
	v_lshl_add_u32 v37, v37, 10, v20
	v_and_or_b32 v36, v36, s52, v37
	v_lshl_or_b32 v35, v35, 7, v36
	v_cvt_f32_f16_e32 v35, v35
.LBB278_62:                             ;   in Loop: Header=BB278_10 Depth=1
	s_or_b64 exec, exec, s[40:41]
	v_lshrrev_b16_e32 v4, 8, v4
	v_cmp_lt_i16_e64 s[0:1], s50, v4
	s_mov_b64 s[40:41], 0
                                        ; implicit-def: $sgpr53
	s_and_saveexec_b64 s[42:43], s[0:1]
	s_xor_b64 s[42:43], exec, s[42:43]
	s_cbranch_execnz .LBB278_176
; %bb.63:                               ;   in Loop: Header=BB278_10 Depth=1
	s_or_saveexec_b64 s[42:43], s[42:43]
	v_mov_b32_e32 v36, s53
	s_xor_b64 exec, exec, s[42:43]
	s_cbranch_execnz .LBB278_179
.LBB278_64:                             ;   in Loop: Header=BB278_10 Depth=1
	s_or_b64 exec, exec, s[42:43]
	s_and_saveexec_b64 s[42:43], s[40:41]
	s_cbranch_execz .LBB278_66
.LBB278_65:                             ;   in Loop: Header=BB278_10 Depth=1
	v_and_b32_e32 v38, 7, v4
	v_ffbh_u32_e32 v36, v38
	v_min_u32_e32 v40, 32, v36
	v_subrev_u32_e32 v36, 28, v40
	v_bfe_u32 v39, v4, 3, 4
	v_lshlrev_b64 v[36:37], v36, v[4:5]
	v_sub_u32_e32 v37, 29, v40
	v_cmp_eq_u32_e64 s[0:1], 0, v39
	v_and_b32_e32 v36, 7, v36
	v_lshlrev_b32_e32 v4, 8, v4
	v_cndmask_b32_e64 v37, v39, v37, s[0:1]
	v_lshl_add_u32 v37, v37, 10, v20
	v_cndmask_b32_e64 v36, v38, v36, s[0:1]
	v_and_or_b32 v4, v4, s52, v37
	v_lshl_or_b32 v4, v36, 7, v4
	v_cvt_f32_f16_e32 v36, v4
.LBB278_66:                             ;   in Loop: Header=BB278_10 Depth=1
	s_or_b64 exec, exec, s[42:43]
	global_load_ushort v4, v[12:13], off offset:776
	s_mov_b64 s[0:1], 0
                                        ; implicit-def: $sgpr44
	s_waitcnt vmcnt(0)
	v_cmp_gt_i16_sdwa s[40:41], v4, s50 src0_sel:BYTE_0 src1_sel:DWORD
	s_and_saveexec_b64 s[42:43], s[40:41]
	s_xor_b64 s[40:41], exec, s[42:43]
	s_cbranch_execnz .LBB278_180
; %bb.67:                               ;   in Loop: Header=BB278_10 Depth=1
	s_or_saveexec_b64 s[40:41], s[40:41]
	v_mov_b32_e32 v37, s44
	s_xor_b64 exec, exec, s[40:41]
	s_cbranch_execnz .LBB278_183
.LBB278_68:                             ;   in Loop: Header=BB278_10 Depth=1
	s_or_b64 exec, exec, s[40:41]
	v_and_b32_e32 v4, 0xffff, v4
	s_and_saveexec_b64 s[40:41], s[0:1]
	s_cbranch_execz .LBB278_70
.LBB278_69:                             ;   in Loop: Header=BB278_10 Depth=1
	v_and_b32_e32 v37, 7, v4
	v_ffbh_u32_e32 v38, v37
	v_min_u32_e32 v41, 32, v38
	v_subrev_u32_e32 v38, 28, v41
	v_bfe_u32 v40, v4, 3, 4
	v_lshlrev_b64 v[38:39], v38, v[4:5]
	v_sub_u32_e32 v39, 29, v41
	v_cmp_eq_u32_e64 s[0:1], 0, v40
	v_and_b32_e32 v38, 7, v38
	s_nop 0
	v_cndmask_b32_e64 v39, v40, v39, s[0:1]
	v_cndmask_b32_e64 v37, v37, v38, s[0:1]
	v_lshlrev_b32_e32 v38, 8, v4
	v_lshl_add_u32 v39, v39, 10, v20
	v_and_or_b32 v38, v38, s52, v39
	v_lshl_or_b32 v37, v37, 7, v38
	v_cvt_f32_f16_e32 v37, v37
.LBB278_70:                             ;   in Loop: Header=BB278_10 Depth=1
	s_or_b64 exec, exec, s[40:41]
	v_lshrrev_b16_e32 v4, 8, v4
	v_cmp_lt_i16_e64 s[0:1], s50, v4
	s_mov_b64 s[40:41], 0
                                        ; implicit-def: $sgpr53
	s_and_saveexec_b64 s[42:43], s[0:1]
	s_xor_b64 s[42:43], exec, s[42:43]
	s_cbranch_execnz .LBB278_184
; %bb.71:                               ;   in Loop: Header=BB278_10 Depth=1
	s_or_saveexec_b64 s[42:43], s[42:43]
	v_mov_b32_e32 v38, s53
	s_xor_b64 exec, exec, s[42:43]
	s_cbranch_execnz .LBB278_187
.LBB278_72:                             ;   in Loop: Header=BB278_10 Depth=1
	s_or_b64 exec, exec, s[42:43]
	s_and_saveexec_b64 s[42:43], s[40:41]
	s_cbranch_execz .LBB278_74
.LBB278_73:                             ;   in Loop: Header=BB278_10 Depth=1
	v_and_b32_e32 v40, 7, v4
	v_ffbh_u32_e32 v38, v40
	v_min_u32_e32 v42, 32, v38
	v_subrev_u32_e32 v38, 28, v42
	v_bfe_u32 v41, v4, 3, 4
	v_lshlrev_b64 v[38:39], v38, v[4:5]
	v_sub_u32_e32 v39, 29, v42
	v_cmp_eq_u32_e64 s[0:1], 0, v41
	v_and_b32_e32 v38, 7, v38
	v_lshlrev_b32_e32 v4, 8, v4
	v_cndmask_b32_e64 v39, v41, v39, s[0:1]
	v_lshl_add_u32 v39, v39, 10, v20
	v_cndmask_b32_e64 v38, v40, v38, s[0:1]
	v_and_or_b32 v4, v4, s52, v39
	v_lshl_or_b32 v4, v38, 7, v4
	v_cvt_f32_f16_e32 v38, v4
.LBB278_74:                             ;   in Loop: Header=BB278_10 Depth=1
	s_or_b64 exec, exec, s[42:43]
	global_load_ushort v4, v[12:13], off offset:1024
	s_mov_b64 s[0:1], 0
                                        ; implicit-def: $sgpr44
	s_waitcnt vmcnt(0)
	v_cmp_gt_i16_sdwa s[40:41], v4, s50 src0_sel:BYTE_0 src1_sel:DWORD
	s_and_saveexec_b64 s[42:43], s[40:41]
	s_xor_b64 s[40:41], exec, s[42:43]
	s_cbranch_execnz .LBB278_188
; %bb.75:                               ;   in Loop: Header=BB278_10 Depth=1
	s_or_saveexec_b64 s[40:41], s[40:41]
	v_mov_b32_e32 v39, s44
	s_xor_b64 exec, exec, s[40:41]
	s_cbranch_execnz .LBB278_191
.LBB278_76:                             ;   in Loop: Header=BB278_10 Depth=1
	s_or_b64 exec, exec, s[40:41]
	v_and_b32_e32 v4, 0xffff, v4
	s_and_saveexec_b64 s[40:41], s[0:1]
	s_cbranch_execz .LBB278_78
.LBB278_77:                             ;   in Loop: Header=BB278_10 Depth=1
	v_and_b32_e32 v39, 7, v4
	v_ffbh_u32_e32 v40, v39
	v_min_u32_e32 v43, 32, v40
	v_subrev_u32_e32 v40, 28, v43
	v_bfe_u32 v42, v4, 3, 4
	v_lshlrev_b64 v[40:41], v40, v[4:5]
	v_sub_u32_e32 v41, 29, v43
	v_cmp_eq_u32_e64 s[0:1], 0, v42
	v_and_b32_e32 v40, 7, v40
	s_nop 0
	v_cndmask_b32_e64 v41, v42, v41, s[0:1]
	v_cndmask_b32_e64 v39, v39, v40, s[0:1]
	v_lshlrev_b32_e32 v40, 8, v4
	v_lshl_add_u32 v41, v41, 10, v20
	v_and_or_b32 v40, v40, s52, v41
	v_lshl_or_b32 v39, v39, 7, v40
	v_cvt_f32_f16_e32 v39, v39
.LBB278_78:                             ;   in Loop: Header=BB278_10 Depth=1
	s_or_b64 exec, exec, s[40:41]
	v_lshrrev_b16_e32 v4, 8, v4
	v_cmp_lt_i16_e64 s[0:1], s50, v4
	s_mov_b64 s[40:41], 0
                                        ; implicit-def: $sgpr53
	s_and_saveexec_b64 s[42:43], s[0:1]
	s_xor_b64 s[42:43], exec, s[42:43]
	s_cbranch_execnz .LBB278_192
; %bb.79:                               ;   in Loop: Header=BB278_10 Depth=1
	s_or_saveexec_b64 s[42:43], s[42:43]
	v_mov_b32_e32 v40, s53
	s_xor_b64 exec, exec, s[42:43]
	s_cbranch_execnz .LBB278_195
.LBB278_80:                             ;   in Loop: Header=BB278_10 Depth=1
	s_or_b64 exec, exec, s[42:43]
	s_and_saveexec_b64 s[42:43], s[40:41]
	s_cbranch_execz .LBB278_82
.LBB278_81:                             ;   in Loop: Header=BB278_10 Depth=1
	v_and_b32_e32 v42, 7, v4
	v_ffbh_u32_e32 v40, v42
	v_min_u32_e32 v44, 32, v40
	v_subrev_u32_e32 v40, 28, v44
	v_bfe_u32 v43, v4, 3, 4
	v_lshlrev_b64 v[40:41], v40, v[4:5]
	v_sub_u32_e32 v41, 29, v44
	v_cmp_eq_u32_e64 s[0:1], 0, v43
	v_and_b32_e32 v40, 7, v40
	v_lshlrev_b32_e32 v4, 8, v4
	v_cndmask_b32_e64 v41, v43, v41, s[0:1]
	v_lshl_add_u32 v41, v41, 10, v20
	v_cndmask_b32_e64 v40, v42, v40, s[0:1]
	v_and_or_b32 v4, v4, s52, v41
	v_lshl_or_b32 v4, v40, 7, v4
	v_cvt_f32_f16_e32 v40, v4
.LBB278_82:                             ;   in Loop: Header=BB278_10 Depth=1
	s_or_b64 exec, exec, s[42:43]
	global_load_ushort v4, v[12:13], off offset:1032
	s_mov_b64 s[0:1], 0
                                        ; implicit-def: $sgpr44
	s_waitcnt vmcnt(0)
	v_cmp_gt_i16_sdwa s[40:41], v4, s50 src0_sel:BYTE_0 src1_sel:DWORD
	s_and_saveexec_b64 s[42:43], s[40:41]
	s_xor_b64 s[40:41], exec, s[42:43]
	s_cbranch_execnz .LBB278_196
; %bb.83:                               ;   in Loop: Header=BB278_10 Depth=1
	s_or_saveexec_b64 s[40:41], s[40:41]
	v_mov_b32_e32 v41, s44
	s_xor_b64 exec, exec, s[40:41]
	s_cbranch_execnz .LBB278_199
.LBB278_84:                             ;   in Loop: Header=BB278_10 Depth=1
	s_or_b64 exec, exec, s[40:41]
	v_and_b32_e32 v4, 0xffff, v4
	s_and_saveexec_b64 s[40:41], s[0:1]
	s_cbranch_execz .LBB278_86
.LBB278_85:                             ;   in Loop: Header=BB278_10 Depth=1
	v_and_b32_e32 v41, 7, v4
	v_ffbh_u32_e32 v42, v41
	v_min_u32_e32 v45, 32, v42
	v_subrev_u32_e32 v42, 28, v45
	v_bfe_u32 v44, v4, 3, 4
	v_lshlrev_b64 v[42:43], v42, v[4:5]
	v_sub_u32_e32 v43, 29, v45
	v_cmp_eq_u32_e64 s[0:1], 0, v44
	v_and_b32_e32 v42, 7, v42
	s_nop 0
	v_cndmask_b32_e64 v43, v44, v43, s[0:1]
	v_cndmask_b32_e64 v41, v41, v42, s[0:1]
	v_lshlrev_b32_e32 v42, 8, v4
	v_lshl_add_u32 v43, v43, 10, v20
	v_and_or_b32 v42, v42, s52, v43
	v_lshl_or_b32 v41, v41, 7, v42
	v_cvt_f32_f16_e32 v41, v41
.LBB278_86:                             ;   in Loop: Header=BB278_10 Depth=1
	s_or_b64 exec, exec, s[40:41]
	v_lshrrev_b16_e32 v4, 8, v4
	v_cmp_lt_i16_e64 s[0:1], s50, v4
	s_mov_b64 s[40:41], 0
                                        ; implicit-def: $sgpr53
	s_and_saveexec_b64 s[42:43], s[0:1]
	s_xor_b64 s[42:43], exec, s[42:43]
	s_cbranch_execnz .LBB278_200
; %bb.87:                               ;   in Loop: Header=BB278_10 Depth=1
	s_or_saveexec_b64 s[42:43], s[42:43]
	v_mov_b32_e32 v42, s53
	s_xor_b64 exec, exec, s[42:43]
	s_cbranch_execnz .LBB278_203
.LBB278_88:                             ;   in Loop: Header=BB278_10 Depth=1
	s_or_b64 exec, exec, s[42:43]
	s_and_saveexec_b64 s[42:43], s[40:41]
	s_cbranch_execz .LBB278_90
.LBB278_89:                             ;   in Loop: Header=BB278_10 Depth=1
	v_and_b32_e32 v44, 7, v4
	v_ffbh_u32_e32 v42, v44
	v_min_u32_e32 v46, 32, v42
	v_subrev_u32_e32 v42, 28, v46
	v_bfe_u32 v45, v4, 3, 4
	v_lshlrev_b64 v[42:43], v42, v[4:5]
	v_sub_u32_e32 v43, 29, v46
	v_cmp_eq_u32_e64 s[0:1], 0, v45
	v_and_b32_e32 v42, 7, v42
	v_lshlrev_b32_e32 v4, 8, v4
	v_cndmask_b32_e64 v43, v45, v43, s[0:1]
	v_lshl_add_u32 v43, v43, 10, v20
	v_cndmask_b32_e64 v42, v44, v42, s[0:1]
	v_and_or_b32 v4, v4, s52, v43
	v_lshl_or_b32 v4, v42, 7, v4
	v_cvt_f32_f16_e32 v42, v4
.LBB278_90:                             ;   in Loop: Header=BB278_10 Depth=1
	s_or_b64 exec, exec, s[42:43]
	global_load_ushort v4, v[12:13], off offset:1280
	s_mov_b64 s[0:1], 0
                                        ; implicit-def: $sgpr44
	s_waitcnt vmcnt(0)
	v_cmp_gt_i16_sdwa s[40:41], v4, s50 src0_sel:BYTE_0 src1_sel:DWORD
	s_and_saveexec_b64 s[42:43], s[40:41]
	s_xor_b64 s[40:41], exec, s[42:43]
	s_cbranch_execnz .LBB278_204
; %bb.91:                               ;   in Loop: Header=BB278_10 Depth=1
	s_or_saveexec_b64 s[40:41], s[40:41]
	v_mov_b32_e32 v43, s44
	s_xor_b64 exec, exec, s[40:41]
	s_cbranch_execnz .LBB278_207
.LBB278_92:                             ;   in Loop: Header=BB278_10 Depth=1
	s_or_b64 exec, exec, s[40:41]
	v_and_b32_e32 v4, 0xffff, v4
	s_and_saveexec_b64 s[40:41], s[0:1]
	s_cbranch_execz .LBB278_94
.LBB278_93:                             ;   in Loop: Header=BB278_10 Depth=1
	v_and_b32_e32 v43, 7, v4
	v_ffbh_u32_e32 v44, v43
	v_min_u32_e32 v47, 32, v44
	v_subrev_u32_e32 v44, 28, v47
	v_bfe_u32 v46, v4, 3, 4
	v_lshlrev_b64 v[44:45], v44, v[4:5]
	v_sub_u32_e32 v45, 29, v47
	v_cmp_eq_u32_e64 s[0:1], 0, v46
	v_and_b32_e32 v44, 7, v44
	s_nop 0
	v_cndmask_b32_e64 v45, v46, v45, s[0:1]
	v_cndmask_b32_e64 v43, v43, v44, s[0:1]
	v_lshlrev_b32_e32 v44, 8, v4
	v_lshl_add_u32 v45, v45, 10, v20
	v_and_or_b32 v44, v44, s52, v45
	v_lshl_or_b32 v43, v43, 7, v44
	v_cvt_f32_f16_e32 v43, v43
.LBB278_94:                             ;   in Loop: Header=BB278_10 Depth=1
	s_or_b64 exec, exec, s[40:41]
	v_lshrrev_b16_e32 v4, 8, v4
	v_cmp_lt_i16_e64 s[0:1], s50, v4
	s_mov_b64 s[40:41], 0
                                        ; implicit-def: $sgpr53
	s_and_saveexec_b64 s[42:43], s[0:1]
	s_xor_b64 s[42:43], exec, s[42:43]
	s_cbranch_execnz .LBB278_208
; %bb.95:                               ;   in Loop: Header=BB278_10 Depth=1
	s_or_saveexec_b64 s[42:43], s[42:43]
	v_mov_b32_e32 v44, s53
	s_xor_b64 exec, exec, s[42:43]
	s_cbranch_execnz .LBB278_211
.LBB278_96:                             ;   in Loop: Header=BB278_10 Depth=1
	s_or_b64 exec, exec, s[42:43]
	s_and_saveexec_b64 s[42:43], s[40:41]
	s_cbranch_execz .LBB278_98
.LBB278_97:                             ;   in Loop: Header=BB278_10 Depth=1
	v_and_b32_e32 v46, 7, v4
	v_ffbh_u32_e32 v44, v46
	v_min_u32_e32 v48, 32, v44
	v_subrev_u32_e32 v44, 28, v48
	v_bfe_u32 v47, v4, 3, 4
	v_lshlrev_b64 v[44:45], v44, v[4:5]
	v_sub_u32_e32 v45, 29, v48
	v_cmp_eq_u32_e64 s[0:1], 0, v47
	v_and_b32_e32 v44, 7, v44
	v_lshlrev_b32_e32 v4, 8, v4
	v_cndmask_b32_e64 v45, v47, v45, s[0:1]
	v_lshl_add_u32 v45, v45, 10, v20
	v_cndmask_b32_e64 v44, v46, v44, s[0:1]
	v_and_or_b32 v4, v4, s52, v45
	v_lshl_or_b32 v4, v44, 7, v4
	v_cvt_f32_f16_e32 v44, v4
.LBB278_98:                             ;   in Loop: Header=BB278_10 Depth=1
	s_or_b64 exec, exec, s[42:43]
	global_load_ushort v4, v[12:13], off offset:1288
	s_mov_b64 s[0:1], 0
                                        ; implicit-def: $sgpr44
	s_waitcnt vmcnt(0)
	v_cmp_gt_i16_sdwa s[40:41], v4, s50 src0_sel:BYTE_0 src1_sel:DWORD
	s_and_saveexec_b64 s[42:43], s[40:41]
	s_xor_b64 s[40:41], exec, s[42:43]
	s_cbranch_execnz .LBB278_212
; %bb.99:                               ;   in Loop: Header=BB278_10 Depth=1
	s_or_saveexec_b64 s[40:41], s[40:41]
	v_mov_b32_e32 v45, s44
	s_xor_b64 exec, exec, s[40:41]
	s_cbranch_execnz .LBB278_215
.LBB278_100:                            ;   in Loop: Header=BB278_10 Depth=1
	s_or_b64 exec, exec, s[40:41]
	v_and_b32_e32 v4, 0xffff, v4
	s_and_saveexec_b64 s[40:41], s[0:1]
	s_cbranch_execz .LBB278_102
.LBB278_101:                            ;   in Loop: Header=BB278_10 Depth=1
	v_and_b32_e32 v45, 7, v4
	v_ffbh_u32_e32 v46, v45
	v_min_u32_e32 v49, 32, v46
	v_subrev_u32_e32 v46, 28, v49
	v_bfe_u32 v48, v4, 3, 4
	v_lshlrev_b64 v[46:47], v46, v[4:5]
	v_sub_u32_e32 v47, 29, v49
	v_cmp_eq_u32_e64 s[0:1], 0, v48
	v_and_b32_e32 v46, 7, v46
	s_nop 0
	v_cndmask_b32_e64 v47, v48, v47, s[0:1]
	v_cndmask_b32_e64 v45, v45, v46, s[0:1]
	v_lshlrev_b32_e32 v46, 8, v4
	v_lshl_add_u32 v47, v47, 10, v20
	v_and_or_b32 v46, v46, s52, v47
	v_lshl_or_b32 v45, v45, 7, v46
	v_cvt_f32_f16_e32 v45, v45
.LBB278_102:                            ;   in Loop: Header=BB278_10 Depth=1
	s_or_b64 exec, exec, s[40:41]
	v_lshrrev_b16_e32 v4, 8, v4
	v_cmp_lt_i16_e64 s[0:1], s50, v4
	s_mov_b64 s[40:41], 0
                                        ; implicit-def: $sgpr53
	s_and_saveexec_b64 s[42:43], s[0:1]
	s_xor_b64 s[42:43], exec, s[42:43]
	s_cbranch_execnz .LBB278_216
; %bb.103:                              ;   in Loop: Header=BB278_10 Depth=1
	s_or_saveexec_b64 s[42:43], s[42:43]
	v_mov_b32_e32 v46, s53
	s_xor_b64 exec, exec, s[42:43]
	s_cbranch_execnz .LBB278_219
.LBB278_104:                            ;   in Loop: Header=BB278_10 Depth=1
	s_or_b64 exec, exec, s[42:43]
	s_and_saveexec_b64 s[42:43], s[40:41]
	s_cbranch_execz .LBB278_106
.LBB278_105:                            ;   in Loop: Header=BB278_10 Depth=1
	v_and_b32_e32 v48, 7, v4
	v_ffbh_u32_e32 v46, v48
	v_min_u32_e32 v50, 32, v46
	v_subrev_u32_e32 v46, 28, v50
	v_bfe_u32 v49, v4, 3, 4
	v_lshlrev_b64 v[46:47], v46, v[4:5]
	v_sub_u32_e32 v47, 29, v50
	v_cmp_eq_u32_e64 s[0:1], 0, v49
	v_and_b32_e32 v46, 7, v46
	v_lshlrev_b32_e32 v4, 8, v4
	v_cndmask_b32_e64 v47, v49, v47, s[0:1]
	v_lshl_add_u32 v47, v47, 10, v20
	v_cndmask_b32_e64 v46, v48, v46, s[0:1]
	v_and_or_b32 v4, v4, s52, v47
	v_lshl_or_b32 v4, v46, 7, v4
	v_cvt_f32_f16_e32 v46, v4
.LBB278_106:                            ;   in Loop: Header=BB278_10 Depth=1
	s_or_b64 exec, exec, s[42:43]
	global_load_ushort v4, v[12:13], off offset:1536
	s_mov_b64 s[0:1], 0
                                        ; implicit-def: $sgpr44
	s_waitcnt vmcnt(0)
	v_cmp_gt_i16_sdwa s[40:41], v4, s50 src0_sel:BYTE_0 src1_sel:DWORD
	s_and_saveexec_b64 s[42:43], s[40:41]
	s_xor_b64 s[40:41], exec, s[42:43]
	s_cbranch_execnz .LBB278_220
; %bb.107:                              ;   in Loop: Header=BB278_10 Depth=1
	s_or_saveexec_b64 s[40:41], s[40:41]
	v_mov_b32_e32 v47, s44
	s_xor_b64 exec, exec, s[40:41]
	s_cbranch_execnz .LBB278_223
.LBB278_108:                            ;   in Loop: Header=BB278_10 Depth=1
	s_or_b64 exec, exec, s[40:41]
	v_and_b32_e32 v4, 0xffff, v4
	s_and_saveexec_b64 s[40:41], s[0:1]
	s_cbranch_execz .LBB278_110
.LBB278_109:                            ;   in Loop: Header=BB278_10 Depth=1
	v_and_b32_e32 v47, 7, v4
	v_ffbh_u32_e32 v48, v47
	v_min_u32_e32 v51, 32, v48
	v_subrev_u32_e32 v48, 28, v51
	v_bfe_u32 v50, v4, 3, 4
	v_lshlrev_b64 v[48:49], v48, v[4:5]
	v_sub_u32_e32 v49, 29, v51
	v_cmp_eq_u32_e64 s[0:1], 0, v50
	v_and_b32_e32 v48, 7, v48
	s_nop 0
	v_cndmask_b32_e64 v49, v50, v49, s[0:1]
	v_cndmask_b32_e64 v47, v47, v48, s[0:1]
	v_lshlrev_b32_e32 v48, 8, v4
	v_lshl_add_u32 v49, v49, 10, v20
	v_and_or_b32 v48, v48, s52, v49
	v_lshl_or_b32 v47, v47, 7, v48
	v_cvt_f32_f16_e32 v47, v47
.LBB278_110:                            ;   in Loop: Header=BB278_10 Depth=1
	s_or_b64 exec, exec, s[40:41]
	v_lshrrev_b16_e32 v4, 8, v4
	v_cmp_lt_i16_e64 s[0:1], s50, v4
	s_mov_b64 s[40:41], 0
                                        ; implicit-def: $sgpr53
	s_and_saveexec_b64 s[42:43], s[0:1]
	s_xor_b64 s[42:43], exec, s[42:43]
	s_cbranch_execnz .LBB278_224
; %bb.111:                              ;   in Loop: Header=BB278_10 Depth=1
	s_or_saveexec_b64 s[42:43], s[42:43]
	v_mov_b32_e32 v48, s53
	s_xor_b64 exec, exec, s[42:43]
	s_cbranch_execnz .LBB278_227
.LBB278_112:                            ;   in Loop: Header=BB278_10 Depth=1
	s_or_b64 exec, exec, s[42:43]
	s_and_saveexec_b64 s[42:43], s[40:41]
	s_cbranch_execz .LBB278_114
.LBB278_113:                            ;   in Loop: Header=BB278_10 Depth=1
	v_and_b32_e32 v50, 7, v4
	v_ffbh_u32_e32 v48, v50
	v_min_u32_e32 v52, 32, v48
	v_subrev_u32_e32 v48, 28, v52
	v_bfe_u32 v51, v4, 3, 4
	v_lshlrev_b64 v[48:49], v48, v[4:5]
	v_sub_u32_e32 v49, 29, v52
	v_cmp_eq_u32_e64 s[0:1], 0, v51
	v_and_b32_e32 v48, 7, v48
	v_lshlrev_b32_e32 v4, 8, v4
	v_cndmask_b32_e64 v49, v51, v49, s[0:1]
	v_lshl_add_u32 v49, v49, 10, v20
	v_cndmask_b32_e64 v48, v50, v48, s[0:1]
	v_and_or_b32 v4, v4, s52, v49
	v_lshl_or_b32 v4, v48, 7, v4
	v_cvt_f32_f16_e32 v48, v4
.LBB278_114:                            ;   in Loop: Header=BB278_10 Depth=1
	s_or_b64 exec, exec, s[42:43]
	global_load_ushort v4, v[12:13], off offset:1544
	s_mov_b64 s[0:1], 0
                                        ; implicit-def: $sgpr44
	s_waitcnt vmcnt(0)
	v_cmp_gt_i16_sdwa s[40:41], v4, s50 src0_sel:BYTE_0 src1_sel:DWORD
	s_and_saveexec_b64 s[42:43], s[40:41]
	s_xor_b64 s[40:41], exec, s[42:43]
	s_cbranch_execnz .LBB278_228
; %bb.115:                              ;   in Loop: Header=BB278_10 Depth=1
	s_or_saveexec_b64 s[40:41], s[40:41]
	v_mov_b32_e32 v12, s44
	s_xor_b64 exec, exec, s[40:41]
	s_cbranch_execnz .LBB278_231
.LBB278_116:                            ;   in Loop: Header=BB278_10 Depth=1
	s_or_b64 exec, exec, s[40:41]
	v_and_b32_e32 v4, 0xffff, v4
	s_and_saveexec_b64 s[40:41], s[0:1]
	s_cbranch_execz .LBB278_118
.LBB278_117:                            ;   in Loop: Header=BB278_10 Depth=1
	v_and_b32_e32 v49, 7, v4
	v_ffbh_u32_e32 v12, v49
	v_min_u32_e32 v51, 32, v12
	v_subrev_u32_e32 v12, 28, v51
	v_bfe_u32 v50, v4, 3, 4
	v_lshlrev_b64 v[12:13], v12, v[4:5]
	v_sub_u32_e32 v13, 29, v51
	v_cmp_eq_u32_e64 s[0:1], 0, v50
	v_and_b32_e32 v12, 7, v12
	s_nop 0
	v_cndmask_b32_e64 v13, v50, v13, s[0:1]
	v_cndmask_b32_e64 v12, v49, v12, s[0:1]
	v_lshlrev_b32_e32 v49, 8, v4
	v_lshl_add_u32 v13, v13, 10, v20
	v_and_or_b32 v13, v49, s52, v13
	v_lshl_or_b32 v12, v12, 7, v13
	v_cvt_f32_f16_e32 v12, v12
.LBB278_118:                            ;   in Loop: Header=BB278_10 Depth=1
	s_or_b64 exec, exec, s[40:41]
	v_lshrrev_b16_e32 v4, 8, v4
	v_cmp_lt_i16_e64 s[0:1], s50, v4
	s_mov_b64 s[40:41], 0
                                        ; implicit-def: $sgpr53
	s_and_saveexec_b64 s[42:43], s[0:1]
	s_xor_b64 s[42:43], exec, s[42:43]
	s_cbranch_execnz .LBB278_232
; %bb.119:                              ;   in Loop: Header=BB278_10 Depth=1
	s_or_saveexec_b64 s[42:43], s[42:43]
	v_mov_b32_e32 v13, s53
	s_xor_b64 exec, exec, s[42:43]
	s_cbranch_execnz .LBB278_235
.LBB278_120:                            ;   in Loop: Header=BB278_10 Depth=1
	s_or_b64 exec, exec, s[42:43]
	s_and_saveexec_b64 s[42:43], s[40:41]
	s_cbranch_execz .LBB278_122
.LBB278_121:                            ;   in Loop: Header=BB278_10 Depth=1
	v_and_b32_e32 v13, 7, v4
	v_ffbh_u32_e32 v50, v13
	v_min_u32_e32 v52, 32, v50
	v_subrev_u32_e32 v50, 28, v52
	v_bfe_u32 v49, v4, 3, 4
	v_lshlrev_b64 v[50:51], v50, v[4:5]
	v_sub_u32_e32 v51, 29, v52
	v_cmp_eq_u32_e64 s[0:1], 0, v49
	v_and_b32_e32 v50, 7, v50
	v_lshlrev_b32_e32 v4, 8, v4
	v_cndmask_b32_e64 v49, v49, v51, s[0:1]
	v_lshl_add_u32 v49, v49, 10, v20
	v_cndmask_b32_e64 v13, v13, v50, s[0:1]
	v_and_or_b32 v4, v4, s52, v49
	v_lshl_or_b32 v4, v13, 7, v4
	v_cvt_f32_f16_e32 v13, v4
.LBB278_122:                            ;   in Loop: Header=BB278_10 Depth=1
	s_or_b64 exec, exec, s[42:43]
	ds_read_b32 v4, v17
	v_fma_mixlo_f16 v23, v22, v23, 0
	v_fma_mixlo_f16 v24, v22, v24, 0
	v_and_b32_e32 v23, 0xffff, v23
	v_and_b32_e32 v24, 0xffff, v24
	s_waitcnt lgkmcnt(0)
	v_lshrrev_b32_e32 v49, 16, v4
	v_and_b32_e32 v4, 0xffff, v4
	;;#ASMSTART
	v_cvt_f32_f16 v4, v4;
	;;#ASMEND
	;;#ASMSTART
	v_cvt_f32_f16 v49, v49;
	;;#ASMEND
	;;#ASMSTART
	v_cvt_f32_f16 v23, v23;
	;;#ASMEND
	;;#ASMSTART
	v_cvt_f32_f16 v24, v24;
	;;#ASMEND
	ds_read_b32 v50, v17 offset:4
	v_fma_mixlo_f16 v25, v22, v25, 0
	v_fma_mixlo_f16 v26, v22, v26, 0
	v_and_b32_e32 v25, 0xffff, v25
	v_and_b32_e32 v26, 0xffff, v26
	s_waitcnt lgkmcnt(0)
	v_lshrrev_b32_e32 v51, 16, v50
	v_and_b32_e32 v50, 0xffff, v50
	;;#ASMSTART
	v_cvt_f32_f16 v50, v50;
	;;#ASMEND
	;;#ASMSTART
	v_cvt_f32_f16 v51, v51;
	;;#ASMEND
	;;#ASMSTART
	v_cvt_f32_f16 v25, v25;
	;;#ASMEND
	;;#ASMSTART
	v_cvt_f32_f16 v26, v26;
	;;#ASMEND
	ds_read_b32 v52, v17 offset:8
	;; [unrolled: 20-line block ×7, first 2 shown]
	v_fma_mixlo_f16 v47, v22, v47, 0
	v_fma_mixlo_f16 v48, v22, v48, 0
	;; [unrolled: 1-line block ×14, first 2 shown]
	v_mul_f32_e32 v22, v50, v25
	v_fmac_f32_e32 v22, v4, v23
	s_waitcnt lgkmcnt(0)
	v_lshrrev_b32_e32 v4, 16, v62
	v_and_b32_e32 v23, 0xffff, v62
	v_and_b32_e32 v25, 0xffff, v37
	v_and_b32_e32 v37, 0xffff, v38
	;;#ASMSTART
	v_cvt_f32_f16 v23, v23;
	;;#ASMEND
	;;#ASMSTART
	v_cvt_f32_f16 v4, v4;
	;;#ASMEND
	;; [unrolled: 3-line block ×4, first 2 shown]
	ds_read_b32 v38, v17 offset:32
	v_mul_f32_e32 v26, v51, v26
	v_fmac_f32_e32 v26, v49, v24
	v_fmac_f32_e32 v22, v52, v27
	v_fmac_f32_e32 v26, v53, v28
	s_waitcnt lgkmcnt(0)
	v_lshrrev_b32_e32 v24, 16, v38
	v_and_b32_e32 v27, 0xffff, v38
	v_and_b32_e32 v28, 0xffff, v39
	v_and_b32_e32 v38, 0xffff, v40
	;;#ASMSTART
	v_cvt_f32_f16 v27, v27;
	;;#ASMEND
	;;#ASMSTART
	v_cvt_f32_f16 v24, v24;
	;;#ASMEND
	;;#ASMSTART
	v_cvt_f32_f16 v28, v28;
	;;#ASMEND
	;;#ASMSTART
	v_cvt_f32_f16 v38, v38;
	;;#ASMEND
	ds_read_b32 v39, v17 offset:36
	v_fmac_f32_e32 v22, v54, v29
	v_fmac_f32_e32 v26, v55, v30
	v_fmac_f32_e32 v22, v56, v31
	v_fmac_f32_e32 v26, v57, v32
	s_waitcnt lgkmcnt(0)
	v_lshrrev_b32_e32 v29, 16, v39
	v_and_b32_e32 v30, 0xffff, v39
	v_and_b32_e32 v31, 0xffff, v41
	v_and_b32_e32 v32, 0xffff, v42
	;;#ASMSTART
	v_cvt_f32_f16 v30, v30;
	;;#ASMEND
	;;#ASMSTART
	v_cvt_f32_f16 v29, v29;
	;;#ASMEND
	;;#ASMSTART
	v_cvt_f32_f16 v31, v31;
	;;#ASMEND
	;;#ASMSTART
	v_cvt_f32_f16 v32, v32;
	;;#ASMEND
	ds_read_b32 v39, v17 offset:40
	v_fmac_f32_e32 v22, v58, v33
	;; [unrolled: 22-line block ×3, first 2 shown]
	v_fmac_f32_e32 v22, v23, v25
	v_fmac_f32_e32 v26, v24, v38
	v_and_b32_e32 v24, 0xffff, v45
	s_waitcnt lgkmcnt(0)
	v_lshrrev_b32_e32 v4, 16, v39
	v_and_b32_e32 v23, 0xffff, v39
	v_and_b32_e32 v25, 0xffff, v46
	v_fmac_f32_e32 v22, v27, v28
	;;#ASMSTART
	v_cvt_f32_f16 v23, v23;
	;;#ASMEND
	;;#ASMSTART
	v_cvt_f32_f16 v4, v4;
	;;#ASMEND
	;; [unrolled: 3-line block ×4, first 2 shown]
	ds_read_b32 v27, v17 offset:48
	v_fmac_f32_e32 v22, v30, v31
	v_fmac_f32_e32 v26, v29, v32
	v_and_b32_e32 v29, 0xffff, v47
	v_and_b32_e32 v30, 0xffff, v48
	s_waitcnt lgkmcnt(0)
	v_lshrrev_b32_e32 v28, 16, v27
	v_and_b32_e32 v27, 0xffff, v27
	;;#ASMSTART
	v_cvt_f32_f16 v27, v27;
	;;#ASMEND
	;;#ASMSTART
	v_cvt_f32_f16 v28, v28;
	;;#ASMEND
	;; [unrolled: 3-line block ×4, first 2 shown]
	ds_read_b32 v31, v17 offset:52
	v_fmac_f32_e32 v22, v34, v35
	v_fmac_f32_e32 v26, v33, v36
	v_fmac_f32_e32 v22, v23, v24
	v_fmac_f32_e32 v26, v4, v25
	s_waitcnt lgkmcnt(0)
	v_lshrrev_b32_e32 v4, 16, v31
	v_and_b32_e32 v23, 0xffff, v31
	v_fmac_f32_e32 v26, v28, v30
	;;#ASMSTART
	v_cvt_f32_f16 v23, v23;
	;;#ASMEND
	;;#ASMSTART
	v_cvt_f32_f16 v4, v4;
	;;#ASMEND
	v_and_b32_e32 v12, 0xffff, v12
	v_and_b32_e32 v13, 0xffff, v13
	;;#ASMSTART
	v_cvt_f32_f16 v12, v12;
	;;#ASMEND
	;;#ASMSTART
	v_cvt_f32_f16 v13, v13;
	;;#ASMEND
	v_fmac_f32_e32 v22, v27, v29
	v_fmac_f32_e32 v26, v4, v13
	v_and_b32_e32 v4, 64, v16
	v_add_u32_e32 v4, 64, v4
	v_xor_b32_e32 v13, 2, v16
	v_cmp_lt_i32_e64 s[0:1], v13, v4
	v_fmac_f32_e32 v22, v23, v12
	v_add_f32_e32 v12, v22, v26
	v_cndmask_b32_e64 v13, v16, v13, s[0:1]
	v_lshlrev_b32_e32 v13, 2, v13
	ds_bpermute_b32 v13, v13, v12
	s_waitcnt lgkmcnt(0)
	v_add_f32_e32 v12, v12, v13
	v_xor_b32_e32 v13, 1, v16
	v_cmp_lt_i32_e64 s[0:1], v13, v4
	s_nop 1
	v_cndmask_b32_e64 v13, v16, v13, s[0:1]
	v_lshlrev_b32_e32 v13, 2, v13
	ds_bpermute_b32 v13, v13, v12
	s_and_saveexec_b64 s[40:41], vcc
	s_cbranch_execz .LBB278_9
; %bb.123:                              ;   in Loop: Header=BB278_10 Depth=1
	v_add_u32_e32 v22, s49, v18
	v_cvt_f32_i32_e32 v22, v22
	s_waitcnt lgkmcnt(0)
	v_add_f32_e32 v12, v12, v13
	v_cmp_gt_i32_e64 s[0:1], s29, v18
	v_max_f32_e32 v13, v1, v1
	v_mul_f32_e32 v22, s47, v22
	v_cndmask_b32_e64 v22, 0, v22, s[6:7]
	v_fmac_f32_e32 v22, s11, v12
	v_cndmask_b32_e64 v12, 0, v22, s[0:1]
	ds_write_b32 v19, v12
	v_max_f32_e32 v12, v13, v22
	v_cndmask_b32_e64 v1, v1, v12, s[0:1]
	s_branch .LBB278_9
.LBB278_124:                            ;   in Loop: Header=BB278_10 Depth=1
	v_cmp_eq_u16_sdwa s[54:55], v4, s51 src0_sel:BYTE_0 src1_sel:DWORD
	s_mov_b64 s[0:1], -1
                                        ; implicit-def: $sgpr44
	s_and_saveexec_b64 s[42:43], s[54:55]
; %bb.125:                              ;   in Loop: Header=BB278_10 Depth=1
	s_mov_b32 s44, 0x7fc02000
	s_xor_b64 s[0:1], exec, -1
; %bb.126:                              ;   in Loop: Header=BB278_10 Depth=1
	s_or_b64 exec, exec, s[42:43]
	s_and_b64 s[0:1], s[0:1], exec
	s_or_saveexec_b64 s[40:41], s[40:41]
	v_mov_b32_e32 v23, s44
	s_xor_b64 exec, exec, s[40:41]
	s_cbranch_execz .LBB278_12
.LBB278_127:                            ;   in Loop: Header=BB278_10 Depth=1
	v_cmp_ne_u16_sdwa s[42:43], v4, v5 src0_sel:BYTE_0 src1_sel:DWORD
	s_andn2_b64 s[0:1], s[0:1], exec
	s_and_b64 s[42:43], s[42:43], exec
	v_mov_b32_e32 v23, 0
	s_or_b64 s[0:1], s[0:1], s[42:43]
	s_or_b64 exec, exec, s[40:41]
	v_and_b32_e32 v4, 0xffff, v4
	s_and_saveexec_b64 s[40:41], s[0:1]
	s_cbranch_execnz .LBB278_13
	s_branch .LBB278_14
.LBB278_128:                            ;   in Loop: Header=BB278_10 Depth=1
	v_cmp_eq_u16_e64 s[0:1], s51, v4
	s_mov_b64 s[40:41], -1
                                        ; implicit-def: $sgpr53
	s_and_saveexec_b64 s[44:45], s[0:1]
; %bb.129:                              ;   in Loop: Header=BB278_10 Depth=1
	s_mov_b32 s53, 0x7fc02000
	s_xor_b64 s[40:41], exec, -1
; %bb.130:                              ;   in Loop: Header=BB278_10 Depth=1
	s_or_b64 exec, exec, s[44:45]
	s_and_b64 s[40:41], s[40:41], exec
	s_or_saveexec_b64 s[42:43], s[42:43]
	v_mov_b32_e32 v24, s53
	s_xor_b64 exec, exec, s[42:43]
	s_cbranch_execz .LBB278_16
.LBB278_131:                            ;   in Loop: Header=BB278_10 Depth=1
	v_cmp_ne_u16_e64 s[0:1], 0, v4
	s_andn2_b64 s[40:41], s[40:41], exec
	s_and_b64 s[0:1], s[0:1], exec
	v_mov_b32_e32 v24, 0
	s_or_b64 s[40:41], s[40:41], s[0:1]
	s_or_b64 exec, exec, s[42:43]
	s_and_saveexec_b64 s[42:43], s[40:41]
	s_cbranch_execnz .LBB278_17
	s_branch .LBB278_18
.LBB278_132:                            ;   in Loop: Header=BB278_10 Depth=1
	v_cmp_eq_u16_sdwa s[54:55], v4, s51 src0_sel:BYTE_0 src1_sel:DWORD
	s_mov_b64 s[0:1], -1
                                        ; implicit-def: $sgpr44
	s_and_saveexec_b64 s[42:43], s[54:55]
; %bb.133:                              ;   in Loop: Header=BB278_10 Depth=1
	s_mov_b32 s44, 0x7fc02000
	s_xor_b64 s[0:1], exec, -1
; %bb.134:                              ;   in Loop: Header=BB278_10 Depth=1
	s_or_b64 exec, exec, s[42:43]
	s_and_b64 s[0:1], s[0:1], exec
	s_or_saveexec_b64 s[40:41], s[40:41]
	v_mov_b32_e32 v25, s44
	s_xor_b64 exec, exec, s[40:41]
	s_cbranch_execz .LBB278_20
.LBB278_135:                            ;   in Loop: Header=BB278_10 Depth=1
	v_cmp_ne_u16_sdwa s[42:43], v4, v5 src0_sel:BYTE_0 src1_sel:DWORD
	s_andn2_b64 s[0:1], s[0:1], exec
	s_and_b64 s[42:43], s[42:43], exec
	v_mov_b32_e32 v25, 0
	s_or_b64 s[0:1], s[0:1], s[42:43]
	s_or_b64 exec, exec, s[40:41]
	v_and_b32_e32 v4, 0xffff, v4
	s_and_saveexec_b64 s[40:41], s[0:1]
	s_cbranch_execnz .LBB278_21
	s_branch .LBB278_22
.LBB278_136:                            ;   in Loop: Header=BB278_10 Depth=1
	v_cmp_eq_u16_e64 s[0:1], s51, v4
	s_mov_b64 s[40:41], -1
                                        ; implicit-def: $sgpr53
	s_and_saveexec_b64 s[44:45], s[0:1]
; %bb.137:                              ;   in Loop: Header=BB278_10 Depth=1
	s_mov_b32 s53, 0x7fc02000
	s_xor_b64 s[40:41], exec, -1
; %bb.138:                              ;   in Loop: Header=BB278_10 Depth=1
	s_or_b64 exec, exec, s[44:45]
	s_and_b64 s[40:41], s[40:41], exec
	s_or_saveexec_b64 s[42:43], s[42:43]
	v_mov_b32_e32 v26, s53
	s_xor_b64 exec, exec, s[42:43]
	s_cbranch_execz .LBB278_24
.LBB278_139:                            ;   in Loop: Header=BB278_10 Depth=1
	v_cmp_ne_u16_e64 s[0:1], 0, v4
	s_andn2_b64 s[40:41], s[40:41], exec
	s_and_b64 s[0:1], s[0:1], exec
	v_mov_b32_e32 v26, 0
	s_or_b64 s[40:41], s[40:41], s[0:1]
	s_or_b64 exec, exec, s[42:43]
	s_and_saveexec_b64 s[42:43], s[40:41]
	s_cbranch_execnz .LBB278_25
	s_branch .LBB278_26
.LBB278_140:                            ;   in Loop: Header=BB278_10 Depth=1
	v_cmp_eq_u16_sdwa s[54:55], v4, s51 src0_sel:BYTE_0 src1_sel:DWORD
	s_mov_b64 s[0:1], -1
                                        ; implicit-def: $sgpr44
	s_and_saveexec_b64 s[42:43], s[54:55]
; %bb.141:                              ;   in Loop: Header=BB278_10 Depth=1
	s_mov_b32 s44, 0x7fc02000
	s_xor_b64 s[0:1], exec, -1
; %bb.142:                              ;   in Loop: Header=BB278_10 Depth=1
	s_or_b64 exec, exec, s[42:43]
	s_and_b64 s[0:1], s[0:1], exec
	s_or_saveexec_b64 s[40:41], s[40:41]
	v_mov_b32_e32 v27, s44
	s_xor_b64 exec, exec, s[40:41]
	s_cbranch_execz .LBB278_28
.LBB278_143:                            ;   in Loop: Header=BB278_10 Depth=1
	v_cmp_ne_u16_sdwa s[42:43], v4, v5 src0_sel:BYTE_0 src1_sel:DWORD
	s_andn2_b64 s[0:1], s[0:1], exec
	s_and_b64 s[42:43], s[42:43], exec
	v_mov_b32_e32 v27, 0
	s_or_b64 s[0:1], s[0:1], s[42:43]
	s_or_b64 exec, exec, s[40:41]
	v_and_b32_e32 v4, 0xffff, v4
	s_and_saveexec_b64 s[40:41], s[0:1]
	s_cbranch_execnz .LBB278_29
	s_branch .LBB278_30
.LBB278_144:                            ;   in Loop: Header=BB278_10 Depth=1
	v_cmp_eq_u16_e64 s[0:1], s51, v4
	s_mov_b64 s[40:41], -1
                                        ; implicit-def: $sgpr53
	s_and_saveexec_b64 s[44:45], s[0:1]
; %bb.145:                              ;   in Loop: Header=BB278_10 Depth=1
	s_mov_b32 s53, 0x7fc02000
	s_xor_b64 s[40:41], exec, -1
; %bb.146:                              ;   in Loop: Header=BB278_10 Depth=1
	s_or_b64 exec, exec, s[44:45]
	s_and_b64 s[40:41], s[40:41], exec
	s_or_saveexec_b64 s[42:43], s[42:43]
	v_mov_b32_e32 v28, s53
	s_xor_b64 exec, exec, s[42:43]
	s_cbranch_execz .LBB278_32
.LBB278_147:                            ;   in Loop: Header=BB278_10 Depth=1
	v_cmp_ne_u16_e64 s[0:1], 0, v4
	s_andn2_b64 s[40:41], s[40:41], exec
	s_and_b64 s[0:1], s[0:1], exec
	v_mov_b32_e32 v28, 0
	s_or_b64 s[40:41], s[40:41], s[0:1]
	s_or_b64 exec, exec, s[42:43]
	s_and_saveexec_b64 s[42:43], s[40:41]
	s_cbranch_execnz .LBB278_33
	s_branch .LBB278_34
.LBB278_148:                            ;   in Loop: Header=BB278_10 Depth=1
	v_cmp_eq_u16_sdwa s[54:55], v4, s51 src0_sel:BYTE_0 src1_sel:DWORD
	s_mov_b64 s[0:1], -1
                                        ; implicit-def: $sgpr44
	s_and_saveexec_b64 s[42:43], s[54:55]
; %bb.149:                              ;   in Loop: Header=BB278_10 Depth=1
	s_mov_b32 s44, 0x7fc02000
	s_xor_b64 s[0:1], exec, -1
; %bb.150:                              ;   in Loop: Header=BB278_10 Depth=1
	s_or_b64 exec, exec, s[42:43]
	s_and_b64 s[0:1], s[0:1], exec
	s_or_saveexec_b64 s[40:41], s[40:41]
	v_mov_b32_e32 v29, s44
	s_xor_b64 exec, exec, s[40:41]
	s_cbranch_execz .LBB278_36
.LBB278_151:                            ;   in Loop: Header=BB278_10 Depth=1
	v_cmp_ne_u16_sdwa s[42:43], v4, v5 src0_sel:BYTE_0 src1_sel:DWORD
	s_andn2_b64 s[0:1], s[0:1], exec
	s_and_b64 s[42:43], s[42:43], exec
	v_mov_b32_e32 v29, 0
	s_or_b64 s[0:1], s[0:1], s[42:43]
	s_or_b64 exec, exec, s[40:41]
	v_and_b32_e32 v4, 0xffff, v4
	s_and_saveexec_b64 s[40:41], s[0:1]
	s_cbranch_execnz .LBB278_37
	s_branch .LBB278_38
.LBB278_152:                            ;   in Loop: Header=BB278_10 Depth=1
	v_cmp_eq_u16_e64 s[0:1], s51, v4
	s_mov_b64 s[40:41], -1
                                        ; implicit-def: $sgpr53
	s_and_saveexec_b64 s[44:45], s[0:1]
; %bb.153:                              ;   in Loop: Header=BB278_10 Depth=1
	s_mov_b32 s53, 0x7fc02000
	s_xor_b64 s[40:41], exec, -1
; %bb.154:                              ;   in Loop: Header=BB278_10 Depth=1
	s_or_b64 exec, exec, s[44:45]
	s_and_b64 s[40:41], s[40:41], exec
	s_or_saveexec_b64 s[42:43], s[42:43]
	v_mov_b32_e32 v30, s53
	s_xor_b64 exec, exec, s[42:43]
	s_cbranch_execz .LBB278_40
.LBB278_155:                            ;   in Loop: Header=BB278_10 Depth=1
	v_cmp_ne_u16_e64 s[0:1], 0, v4
	s_andn2_b64 s[40:41], s[40:41], exec
	s_and_b64 s[0:1], s[0:1], exec
	v_mov_b32_e32 v30, 0
	s_or_b64 s[40:41], s[40:41], s[0:1]
	s_or_b64 exec, exec, s[42:43]
	s_and_saveexec_b64 s[42:43], s[40:41]
	s_cbranch_execnz .LBB278_41
	s_branch .LBB278_42
.LBB278_156:                            ;   in Loop: Header=BB278_10 Depth=1
	v_cmp_eq_u16_sdwa s[54:55], v4, s51 src0_sel:BYTE_0 src1_sel:DWORD
	s_mov_b64 s[0:1], -1
                                        ; implicit-def: $sgpr44
	s_and_saveexec_b64 s[42:43], s[54:55]
; %bb.157:                              ;   in Loop: Header=BB278_10 Depth=1
	s_mov_b32 s44, 0x7fc02000
	s_xor_b64 s[0:1], exec, -1
; %bb.158:                              ;   in Loop: Header=BB278_10 Depth=1
	s_or_b64 exec, exec, s[42:43]
	s_and_b64 s[0:1], s[0:1], exec
	s_or_saveexec_b64 s[40:41], s[40:41]
	v_mov_b32_e32 v31, s44
	s_xor_b64 exec, exec, s[40:41]
	s_cbranch_execz .LBB278_44
.LBB278_159:                            ;   in Loop: Header=BB278_10 Depth=1
	v_cmp_ne_u16_sdwa s[42:43], v4, v5 src0_sel:BYTE_0 src1_sel:DWORD
	s_andn2_b64 s[0:1], s[0:1], exec
	s_and_b64 s[42:43], s[42:43], exec
	v_mov_b32_e32 v31, 0
	s_or_b64 s[0:1], s[0:1], s[42:43]
	s_or_b64 exec, exec, s[40:41]
	v_and_b32_e32 v4, 0xffff, v4
	s_and_saveexec_b64 s[40:41], s[0:1]
	s_cbranch_execnz .LBB278_45
	s_branch .LBB278_46
.LBB278_160:                            ;   in Loop: Header=BB278_10 Depth=1
	v_cmp_eq_u16_e64 s[0:1], s51, v4
	s_mov_b64 s[40:41], -1
                                        ; implicit-def: $sgpr53
	s_and_saveexec_b64 s[44:45], s[0:1]
; %bb.161:                              ;   in Loop: Header=BB278_10 Depth=1
	s_mov_b32 s53, 0x7fc02000
	s_xor_b64 s[40:41], exec, -1
; %bb.162:                              ;   in Loop: Header=BB278_10 Depth=1
	s_or_b64 exec, exec, s[44:45]
	s_and_b64 s[40:41], s[40:41], exec
	s_or_saveexec_b64 s[42:43], s[42:43]
	v_mov_b32_e32 v32, s53
	s_xor_b64 exec, exec, s[42:43]
	s_cbranch_execz .LBB278_48
.LBB278_163:                            ;   in Loop: Header=BB278_10 Depth=1
	v_cmp_ne_u16_e64 s[0:1], 0, v4
	s_andn2_b64 s[40:41], s[40:41], exec
	s_and_b64 s[0:1], s[0:1], exec
	v_mov_b32_e32 v32, 0
	s_or_b64 s[40:41], s[40:41], s[0:1]
	s_or_b64 exec, exec, s[42:43]
	s_and_saveexec_b64 s[42:43], s[40:41]
	s_cbranch_execnz .LBB278_49
	s_branch .LBB278_50
.LBB278_164:                            ;   in Loop: Header=BB278_10 Depth=1
	v_cmp_eq_u16_sdwa s[54:55], v4, s51 src0_sel:BYTE_0 src1_sel:DWORD
	s_mov_b64 s[0:1], -1
                                        ; implicit-def: $sgpr44
	s_and_saveexec_b64 s[42:43], s[54:55]
; %bb.165:                              ;   in Loop: Header=BB278_10 Depth=1
	s_mov_b32 s44, 0x7fc02000
	s_xor_b64 s[0:1], exec, -1
; %bb.166:                              ;   in Loop: Header=BB278_10 Depth=1
	s_or_b64 exec, exec, s[42:43]
	s_and_b64 s[0:1], s[0:1], exec
	s_or_saveexec_b64 s[40:41], s[40:41]
	v_mov_b32_e32 v33, s44
	s_xor_b64 exec, exec, s[40:41]
	s_cbranch_execz .LBB278_52
.LBB278_167:                            ;   in Loop: Header=BB278_10 Depth=1
	v_cmp_ne_u16_sdwa s[42:43], v4, v5 src0_sel:BYTE_0 src1_sel:DWORD
	s_andn2_b64 s[0:1], s[0:1], exec
	s_and_b64 s[42:43], s[42:43], exec
	v_mov_b32_e32 v33, 0
	s_or_b64 s[0:1], s[0:1], s[42:43]
	s_or_b64 exec, exec, s[40:41]
	v_and_b32_e32 v4, 0xffff, v4
	s_and_saveexec_b64 s[40:41], s[0:1]
	s_cbranch_execnz .LBB278_53
	s_branch .LBB278_54
.LBB278_168:                            ;   in Loop: Header=BB278_10 Depth=1
	v_cmp_eq_u16_e64 s[0:1], s51, v4
	s_mov_b64 s[40:41], -1
                                        ; implicit-def: $sgpr53
	s_and_saveexec_b64 s[44:45], s[0:1]
; %bb.169:                              ;   in Loop: Header=BB278_10 Depth=1
	s_mov_b32 s53, 0x7fc02000
	s_xor_b64 s[40:41], exec, -1
; %bb.170:                              ;   in Loop: Header=BB278_10 Depth=1
	s_or_b64 exec, exec, s[44:45]
	s_and_b64 s[40:41], s[40:41], exec
	s_or_saveexec_b64 s[42:43], s[42:43]
	v_mov_b32_e32 v34, s53
	s_xor_b64 exec, exec, s[42:43]
	s_cbranch_execz .LBB278_56
.LBB278_171:                            ;   in Loop: Header=BB278_10 Depth=1
	v_cmp_ne_u16_e64 s[0:1], 0, v4
	s_andn2_b64 s[40:41], s[40:41], exec
	s_and_b64 s[0:1], s[0:1], exec
	v_mov_b32_e32 v34, 0
	s_or_b64 s[40:41], s[40:41], s[0:1]
	s_or_b64 exec, exec, s[42:43]
	s_and_saveexec_b64 s[42:43], s[40:41]
	s_cbranch_execnz .LBB278_57
	s_branch .LBB278_58
.LBB278_172:                            ;   in Loop: Header=BB278_10 Depth=1
	v_cmp_eq_u16_sdwa s[54:55], v4, s51 src0_sel:BYTE_0 src1_sel:DWORD
	s_mov_b64 s[0:1], -1
                                        ; implicit-def: $sgpr44
	s_and_saveexec_b64 s[42:43], s[54:55]
; %bb.173:                              ;   in Loop: Header=BB278_10 Depth=1
	s_mov_b32 s44, 0x7fc02000
	s_xor_b64 s[0:1], exec, -1
; %bb.174:                              ;   in Loop: Header=BB278_10 Depth=1
	s_or_b64 exec, exec, s[42:43]
	s_and_b64 s[0:1], s[0:1], exec
	s_or_saveexec_b64 s[40:41], s[40:41]
	v_mov_b32_e32 v35, s44
	s_xor_b64 exec, exec, s[40:41]
	s_cbranch_execz .LBB278_60
.LBB278_175:                            ;   in Loop: Header=BB278_10 Depth=1
	v_cmp_ne_u16_sdwa s[42:43], v4, v5 src0_sel:BYTE_0 src1_sel:DWORD
	s_andn2_b64 s[0:1], s[0:1], exec
	s_and_b64 s[42:43], s[42:43], exec
	v_mov_b32_e32 v35, 0
	s_or_b64 s[0:1], s[0:1], s[42:43]
	s_or_b64 exec, exec, s[40:41]
	v_and_b32_e32 v4, 0xffff, v4
	s_and_saveexec_b64 s[40:41], s[0:1]
	s_cbranch_execnz .LBB278_61
	s_branch .LBB278_62
.LBB278_176:                            ;   in Loop: Header=BB278_10 Depth=1
	v_cmp_eq_u16_e64 s[0:1], s51, v4
	s_mov_b64 s[40:41], -1
                                        ; implicit-def: $sgpr53
	s_and_saveexec_b64 s[44:45], s[0:1]
; %bb.177:                              ;   in Loop: Header=BB278_10 Depth=1
	s_mov_b32 s53, 0x7fc02000
	s_xor_b64 s[40:41], exec, -1
; %bb.178:                              ;   in Loop: Header=BB278_10 Depth=1
	s_or_b64 exec, exec, s[44:45]
	s_and_b64 s[40:41], s[40:41], exec
	s_or_saveexec_b64 s[42:43], s[42:43]
	v_mov_b32_e32 v36, s53
	s_xor_b64 exec, exec, s[42:43]
	s_cbranch_execz .LBB278_64
.LBB278_179:                            ;   in Loop: Header=BB278_10 Depth=1
	v_cmp_ne_u16_e64 s[0:1], 0, v4
	s_andn2_b64 s[40:41], s[40:41], exec
	s_and_b64 s[0:1], s[0:1], exec
	v_mov_b32_e32 v36, 0
	s_or_b64 s[40:41], s[40:41], s[0:1]
	s_or_b64 exec, exec, s[42:43]
	s_and_saveexec_b64 s[42:43], s[40:41]
	s_cbranch_execnz .LBB278_65
	s_branch .LBB278_66
.LBB278_180:                            ;   in Loop: Header=BB278_10 Depth=1
	v_cmp_eq_u16_sdwa s[54:55], v4, s51 src0_sel:BYTE_0 src1_sel:DWORD
	s_mov_b64 s[0:1], -1
                                        ; implicit-def: $sgpr44
	s_and_saveexec_b64 s[42:43], s[54:55]
; %bb.181:                              ;   in Loop: Header=BB278_10 Depth=1
	s_mov_b32 s44, 0x7fc02000
	s_xor_b64 s[0:1], exec, -1
; %bb.182:                              ;   in Loop: Header=BB278_10 Depth=1
	s_or_b64 exec, exec, s[42:43]
	s_and_b64 s[0:1], s[0:1], exec
	s_or_saveexec_b64 s[40:41], s[40:41]
	v_mov_b32_e32 v37, s44
	s_xor_b64 exec, exec, s[40:41]
	s_cbranch_execz .LBB278_68
.LBB278_183:                            ;   in Loop: Header=BB278_10 Depth=1
	v_cmp_ne_u16_sdwa s[42:43], v4, v5 src0_sel:BYTE_0 src1_sel:DWORD
	s_andn2_b64 s[0:1], s[0:1], exec
	s_and_b64 s[42:43], s[42:43], exec
	v_mov_b32_e32 v37, 0
	s_or_b64 s[0:1], s[0:1], s[42:43]
	s_or_b64 exec, exec, s[40:41]
	v_and_b32_e32 v4, 0xffff, v4
	s_and_saveexec_b64 s[40:41], s[0:1]
	s_cbranch_execnz .LBB278_69
	s_branch .LBB278_70
.LBB278_184:                            ;   in Loop: Header=BB278_10 Depth=1
	v_cmp_eq_u16_e64 s[0:1], s51, v4
	s_mov_b64 s[40:41], -1
                                        ; implicit-def: $sgpr53
	s_and_saveexec_b64 s[44:45], s[0:1]
; %bb.185:                              ;   in Loop: Header=BB278_10 Depth=1
	s_mov_b32 s53, 0x7fc02000
	s_xor_b64 s[40:41], exec, -1
; %bb.186:                              ;   in Loop: Header=BB278_10 Depth=1
	s_or_b64 exec, exec, s[44:45]
	s_and_b64 s[40:41], s[40:41], exec
	s_or_saveexec_b64 s[42:43], s[42:43]
	v_mov_b32_e32 v38, s53
	s_xor_b64 exec, exec, s[42:43]
	s_cbranch_execz .LBB278_72
.LBB278_187:                            ;   in Loop: Header=BB278_10 Depth=1
	v_cmp_ne_u16_e64 s[0:1], 0, v4
	s_andn2_b64 s[40:41], s[40:41], exec
	s_and_b64 s[0:1], s[0:1], exec
	v_mov_b32_e32 v38, 0
	s_or_b64 s[40:41], s[40:41], s[0:1]
	s_or_b64 exec, exec, s[42:43]
	s_and_saveexec_b64 s[42:43], s[40:41]
	s_cbranch_execnz .LBB278_73
	s_branch .LBB278_74
.LBB278_188:                            ;   in Loop: Header=BB278_10 Depth=1
	v_cmp_eq_u16_sdwa s[54:55], v4, s51 src0_sel:BYTE_0 src1_sel:DWORD
	s_mov_b64 s[0:1], -1
                                        ; implicit-def: $sgpr44
	s_and_saveexec_b64 s[42:43], s[54:55]
; %bb.189:                              ;   in Loop: Header=BB278_10 Depth=1
	s_mov_b32 s44, 0x7fc02000
	s_xor_b64 s[0:1], exec, -1
; %bb.190:                              ;   in Loop: Header=BB278_10 Depth=1
	s_or_b64 exec, exec, s[42:43]
	s_and_b64 s[0:1], s[0:1], exec
	s_or_saveexec_b64 s[40:41], s[40:41]
	v_mov_b32_e32 v39, s44
	s_xor_b64 exec, exec, s[40:41]
	s_cbranch_execz .LBB278_76
.LBB278_191:                            ;   in Loop: Header=BB278_10 Depth=1
	v_cmp_ne_u16_sdwa s[42:43], v4, v5 src0_sel:BYTE_0 src1_sel:DWORD
	s_andn2_b64 s[0:1], s[0:1], exec
	s_and_b64 s[42:43], s[42:43], exec
	v_mov_b32_e32 v39, 0
	s_or_b64 s[0:1], s[0:1], s[42:43]
	s_or_b64 exec, exec, s[40:41]
	v_and_b32_e32 v4, 0xffff, v4
	s_and_saveexec_b64 s[40:41], s[0:1]
	s_cbranch_execnz .LBB278_77
	s_branch .LBB278_78
.LBB278_192:                            ;   in Loop: Header=BB278_10 Depth=1
	v_cmp_eq_u16_e64 s[0:1], s51, v4
	s_mov_b64 s[40:41], -1
                                        ; implicit-def: $sgpr53
	s_and_saveexec_b64 s[44:45], s[0:1]
; %bb.193:                              ;   in Loop: Header=BB278_10 Depth=1
	s_mov_b32 s53, 0x7fc02000
	s_xor_b64 s[40:41], exec, -1
; %bb.194:                              ;   in Loop: Header=BB278_10 Depth=1
	s_or_b64 exec, exec, s[44:45]
	s_and_b64 s[40:41], s[40:41], exec
	s_or_saveexec_b64 s[42:43], s[42:43]
	v_mov_b32_e32 v40, s53
	s_xor_b64 exec, exec, s[42:43]
	s_cbranch_execz .LBB278_80
.LBB278_195:                            ;   in Loop: Header=BB278_10 Depth=1
	v_cmp_ne_u16_e64 s[0:1], 0, v4
	s_andn2_b64 s[40:41], s[40:41], exec
	s_and_b64 s[0:1], s[0:1], exec
	v_mov_b32_e32 v40, 0
	s_or_b64 s[40:41], s[40:41], s[0:1]
	s_or_b64 exec, exec, s[42:43]
	s_and_saveexec_b64 s[42:43], s[40:41]
	s_cbranch_execnz .LBB278_81
	s_branch .LBB278_82
.LBB278_196:                            ;   in Loop: Header=BB278_10 Depth=1
	v_cmp_eq_u16_sdwa s[54:55], v4, s51 src0_sel:BYTE_0 src1_sel:DWORD
	s_mov_b64 s[0:1], -1
                                        ; implicit-def: $sgpr44
	s_and_saveexec_b64 s[42:43], s[54:55]
; %bb.197:                              ;   in Loop: Header=BB278_10 Depth=1
	s_mov_b32 s44, 0x7fc02000
	s_xor_b64 s[0:1], exec, -1
; %bb.198:                              ;   in Loop: Header=BB278_10 Depth=1
	s_or_b64 exec, exec, s[42:43]
	s_and_b64 s[0:1], s[0:1], exec
	s_or_saveexec_b64 s[40:41], s[40:41]
	v_mov_b32_e32 v41, s44
	s_xor_b64 exec, exec, s[40:41]
	s_cbranch_execz .LBB278_84
.LBB278_199:                            ;   in Loop: Header=BB278_10 Depth=1
	v_cmp_ne_u16_sdwa s[42:43], v4, v5 src0_sel:BYTE_0 src1_sel:DWORD
	s_andn2_b64 s[0:1], s[0:1], exec
	s_and_b64 s[42:43], s[42:43], exec
	v_mov_b32_e32 v41, 0
	s_or_b64 s[0:1], s[0:1], s[42:43]
	s_or_b64 exec, exec, s[40:41]
	v_and_b32_e32 v4, 0xffff, v4
	s_and_saveexec_b64 s[40:41], s[0:1]
	s_cbranch_execnz .LBB278_85
	s_branch .LBB278_86
.LBB278_200:                            ;   in Loop: Header=BB278_10 Depth=1
	v_cmp_eq_u16_e64 s[0:1], s51, v4
	s_mov_b64 s[40:41], -1
                                        ; implicit-def: $sgpr53
	s_and_saveexec_b64 s[44:45], s[0:1]
; %bb.201:                              ;   in Loop: Header=BB278_10 Depth=1
	s_mov_b32 s53, 0x7fc02000
	s_xor_b64 s[40:41], exec, -1
; %bb.202:                              ;   in Loop: Header=BB278_10 Depth=1
	s_or_b64 exec, exec, s[44:45]
	s_and_b64 s[40:41], s[40:41], exec
	s_or_saveexec_b64 s[42:43], s[42:43]
	v_mov_b32_e32 v42, s53
	s_xor_b64 exec, exec, s[42:43]
	s_cbranch_execz .LBB278_88
.LBB278_203:                            ;   in Loop: Header=BB278_10 Depth=1
	v_cmp_ne_u16_e64 s[0:1], 0, v4
	s_andn2_b64 s[40:41], s[40:41], exec
	s_and_b64 s[0:1], s[0:1], exec
	v_mov_b32_e32 v42, 0
	s_or_b64 s[40:41], s[40:41], s[0:1]
	s_or_b64 exec, exec, s[42:43]
	s_and_saveexec_b64 s[42:43], s[40:41]
	s_cbranch_execnz .LBB278_89
	s_branch .LBB278_90
.LBB278_204:                            ;   in Loop: Header=BB278_10 Depth=1
	v_cmp_eq_u16_sdwa s[54:55], v4, s51 src0_sel:BYTE_0 src1_sel:DWORD
	s_mov_b64 s[0:1], -1
                                        ; implicit-def: $sgpr44
	s_and_saveexec_b64 s[42:43], s[54:55]
; %bb.205:                              ;   in Loop: Header=BB278_10 Depth=1
	s_mov_b32 s44, 0x7fc02000
	s_xor_b64 s[0:1], exec, -1
; %bb.206:                              ;   in Loop: Header=BB278_10 Depth=1
	s_or_b64 exec, exec, s[42:43]
	s_and_b64 s[0:1], s[0:1], exec
	s_or_saveexec_b64 s[40:41], s[40:41]
	v_mov_b32_e32 v43, s44
	s_xor_b64 exec, exec, s[40:41]
	s_cbranch_execz .LBB278_92
.LBB278_207:                            ;   in Loop: Header=BB278_10 Depth=1
	v_cmp_ne_u16_sdwa s[42:43], v4, v5 src0_sel:BYTE_0 src1_sel:DWORD
	s_andn2_b64 s[0:1], s[0:1], exec
	s_and_b64 s[42:43], s[42:43], exec
	v_mov_b32_e32 v43, 0
	s_or_b64 s[0:1], s[0:1], s[42:43]
	s_or_b64 exec, exec, s[40:41]
	v_and_b32_e32 v4, 0xffff, v4
	s_and_saveexec_b64 s[40:41], s[0:1]
	s_cbranch_execnz .LBB278_93
	s_branch .LBB278_94
.LBB278_208:                            ;   in Loop: Header=BB278_10 Depth=1
	v_cmp_eq_u16_e64 s[0:1], s51, v4
	s_mov_b64 s[40:41], -1
                                        ; implicit-def: $sgpr53
	s_and_saveexec_b64 s[44:45], s[0:1]
; %bb.209:                              ;   in Loop: Header=BB278_10 Depth=1
	s_mov_b32 s53, 0x7fc02000
	s_xor_b64 s[40:41], exec, -1
; %bb.210:                              ;   in Loop: Header=BB278_10 Depth=1
	s_or_b64 exec, exec, s[44:45]
	s_and_b64 s[40:41], s[40:41], exec
	s_or_saveexec_b64 s[42:43], s[42:43]
	v_mov_b32_e32 v44, s53
	s_xor_b64 exec, exec, s[42:43]
	s_cbranch_execz .LBB278_96
.LBB278_211:                            ;   in Loop: Header=BB278_10 Depth=1
	v_cmp_ne_u16_e64 s[0:1], 0, v4
	s_andn2_b64 s[40:41], s[40:41], exec
	s_and_b64 s[0:1], s[0:1], exec
	v_mov_b32_e32 v44, 0
	s_or_b64 s[40:41], s[40:41], s[0:1]
	s_or_b64 exec, exec, s[42:43]
	s_and_saveexec_b64 s[42:43], s[40:41]
	s_cbranch_execnz .LBB278_97
	s_branch .LBB278_98
.LBB278_212:                            ;   in Loop: Header=BB278_10 Depth=1
	v_cmp_eq_u16_sdwa s[54:55], v4, s51 src0_sel:BYTE_0 src1_sel:DWORD
	s_mov_b64 s[0:1], -1
                                        ; implicit-def: $sgpr44
	s_and_saveexec_b64 s[42:43], s[54:55]
; %bb.213:                              ;   in Loop: Header=BB278_10 Depth=1
	s_mov_b32 s44, 0x7fc02000
	s_xor_b64 s[0:1], exec, -1
; %bb.214:                              ;   in Loop: Header=BB278_10 Depth=1
	s_or_b64 exec, exec, s[42:43]
	s_and_b64 s[0:1], s[0:1], exec
	s_or_saveexec_b64 s[40:41], s[40:41]
	v_mov_b32_e32 v45, s44
	s_xor_b64 exec, exec, s[40:41]
	s_cbranch_execz .LBB278_100
.LBB278_215:                            ;   in Loop: Header=BB278_10 Depth=1
	v_cmp_ne_u16_sdwa s[42:43], v4, v5 src0_sel:BYTE_0 src1_sel:DWORD
	s_andn2_b64 s[0:1], s[0:1], exec
	s_and_b64 s[42:43], s[42:43], exec
	v_mov_b32_e32 v45, 0
	s_or_b64 s[0:1], s[0:1], s[42:43]
	s_or_b64 exec, exec, s[40:41]
	v_and_b32_e32 v4, 0xffff, v4
	s_and_saveexec_b64 s[40:41], s[0:1]
	s_cbranch_execnz .LBB278_101
	s_branch .LBB278_102
.LBB278_216:                            ;   in Loop: Header=BB278_10 Depth=1
	v_cmp_eq_u16_e64 s[0:1], s51, v4
	s_mov_b64 s[40:41], -1
                                        ; implicit-def: $sgpr53
	s_and_saveexec_b64 s[44:45], s[0:1]
; %bb.217:                              ;   in Loop: Header=BB278_10 Depth=1
	s_mov_b32 s53, 0x7fc02000
	s_xor_b64 s[40:41], exec, -1
; %bb.218:                              ;   in Loop: Header=BB278_10 Depth=1
	s_or_b64 exec, exec, s[44:45]
	s_and_b64 s[40:41], s[40:41], exec
	s_or_saveexec_b64 s[42:43], s[42:43]
	v_mov_b32_e32 v46, s53
	s_xor_b64 exec, exec, s[42:43]
	s_cbranch_execz .LBB278_104
.LBB278_219:                            ;   in Loop: Header=BB278_10 Depth=1
	v_cmp_ne_u16_e64 s[0:1], 0, v4
	s_andn2_b64 s[40:41], s[40:41], exec
	s_and_b64 s[0:1], s[0:1], exec
	v_mov_b32_e32 v46, 0
	s_or_b64 s[40:41], s[40:41], s[0:1]
	s_or_b64 exec, exec, s[42:43]
	s_and_saveexec_b64 s[42:43], s[40:41]
	s_cbranch_execnz .LBB278_105
	s_branch .LBB278_106
.LBB278_220:                            ;   in Loop: Header=BB278_10 Depth=1
	v_cmp_eq_u16_sdwa s[54:55], v4, s51 src0_sel:BYTE_0 src1_sel:DWORD
	s_mov_b64 s[0:1], -1
                                        ; implicit-def: $sgpr44
	s_and_saveexec_b64 s[42:43], s[54:55]
; %bb.221:                              ;   in Loop: Header=BB278_10 Depth=1
	s_mov_b32 s44, 0x7fc02000
	s_xor_b64 s[0:1], exec, -1
; %bb.222:                              ;   in Loop: Header=BB278_10 Depth=1
	s_or_b64 exec, exec, s[42:43]
	s_and_b64 s[0:1], s[0:1], exec
	s_or_saveexec_b64 s[40:41], s[40:41]
	v_mov_b32_e32 v47, s44
	s_xor_b64 exec, exec, s[40:41]
	s_cbranch_execz .LBB278_108
.LBB278_223:                            ;   in Loop: Header=BB278_10 Depth=1
	v_cmp_ne_u16_sdwa s[42:43], v4, v5 src0_sel:BYTE_0 src1_sel:DWORD
	s_andn2_b64 s[0:1], s[0:1], exec
	s_and_b64 s[42:43], s[42:43], exec
	v_mov_b32_e32 v47, 0
	s_or_b64 s[0:1], s[0:1], s[42:43]
	s_or_b64 exec, exec, s[40:41]
	v_and_b32_e32 v4, 0xffff, v4
	s_and_saveexec_b64 s[40:41], s[0:1]
	s_cbranch_execnz .LBB278_109
	s_branch .LBB278_110
.LBB278_224:                            ;   in Loop: Header=BB278_10 Depth=1
	v_cmp_eq_u16_e64 s[0:1], s51, v4
	s_mov_b64 s[40:41], -1
                                        ; implicit-def: $sgpr53
	s_and_saveexec_b64 s[44:45], s[0:1]
; %bb.225:                              ;   in Loop: Header=BB278_10 Depth=1
	s_mov_b32 s53, 0x7fc02000
	s_xor_b64 s[40:41], exec, -1
; %bb.226:                              ;   in Loop: Header=BB278_10 Depth=1
	s_or_b64 exec, exec, s[44:45]
	s_and_b64 s[40:41], s[40:41], exec
	s_or_saveexec_b64 s[42:43], s[42:43]
	v_mov_b32_e32 v48, s53
	s_xor_b64 exec, exec, s[42:43]
	s_cbranch_execz .LBB278_112
.LBB278_227:                            ;   in Loop: Header=BB278_10 Depth=1
	v_cmp_ne_u16_e64 s[0:1], 0, v4
	s_andn2_b64 s[40:41], s[40:41], exec
	s_and_b64 s[0:1], s[0:1], exec
	v_mov_b32_e32 v48, 0
	s_or_b64 s[40:41], s[40:41], s[0:1]
	s_or_b64 exec, exec, s[42:43]
	s_and_saveexec_b64 s[42:43], s[40:41]
	s_cbranch_execnz .LBB278_113
	s_branch .LBB278_114
.LBB278_228:                            ;   in Loop: Header=BB278_10 Depth=1
	v_cmp_eq_u16_sdwa s[54:55], v4, s51 src0_sel:BYTE_0 src1_sel:DWORD
	s_mov_b64 s[0:1], -1
                                        ; implicit-def: $sgpr44
	s_and_saveexec_b64 s[42:43], s[54:55]
; %bb.229:                              ;   in Loop: Header=BB278_10 Depth=1
	s_mov_b32 s44, 0x7fc02000
	s_xor_b64 s[0:1], exec, -1
; %bb.230:                              ;   in Loop: Header=BB278_10 Depth=1
	s_or_b64 exec, exec, s[42:43]
	s_and_b64 s[0:1], s[0:1], exec
	s_or_saveexec_b64 s[40:41], s[40:41]
	v_mov_b32_e32 v12, s44
	s_xor_b64 exec, exec, s[40:41]
	s_cbranch_execz .LBB278_116
.LBB278_231:                            ;   in Loop: Header=BB278_10 Depth=1
	v_cmp_ne_u16_sdwa s[42:43], v4, v5 src0_sel:BYTE_0 src1_sel:DWORD
	s_andn2_b64 s[0:1], s[0:1], exec
	s_and_b64 s[42:43], s[42:43], exec
	v_mov_b32_e32 v12, 0
	s_or_b64 s[0:1], s[0:1], s[42:43]
	s_or_b64 exec, exec, s[40:41]
	v_and_b32_e32 v4, 0xffff, v4
	s_and_saveexec_b64 s[40:41], s[0:1]
	s_cbranch_execnz .LBB278_117
	s_branch .LBB278_118
.LBB278_232:                            ;   in Loop: Header=BB278_10 Depth=1
	v_cmp_eq_u16_e64 s[0:1], s51, v4
	s_mov_b64 s[40:41], -1
                                        ; implicit-def: $sgpr53
	s_and_saveexec_b64 s[44:45], s[0:1]
; %bb.233:                              ;   in Loop: Header=BB278_10 Depth=1
	s_mov_b32 s53, 0x7fc02000
	s_xor_b64 s[40:41], exec, -1
; %bb.234:                              ;   in Loop: Header=BB278_10 Depth=1
	s_or_b64 exec, exec, s[44:45]
	s_and_b64 s[40:41], s[40:41], exec
	s_or_saveexec_b64 s[42:43], s[42:43]
	v_mov_b32_e32 v13, s53
	s_xor_b64 exec, exec, s[42:43]
	s_cbranch_execz .LBB278_120
.LBB278_235:                            ;   in Loop: Header=BB278_10 Depth=1
	v_cmp_ne_u16_e64 s[0:1], 0, v4
	s_andn2_b64 s[40:41], s[40:41], exec
	s_and_b64 s[0:1], s[0:1], exec
	v_mov_b32_e32 v13, 0
	s_or_b64 s[40:41], s[40:41], s[0:1]
	s_or_b64 exec, exec, s[42:43]
	s_and_saveexec_b64 s[42:43], s[40:41]
	s_cbranch_execnz .LBB278_121
	s_branch .LBB278_122
.LBB278_236:
	s_or_b64 exec, exec, s[18:19]
.LBB278_237:
	s_or_b64 exec, exec, s[38:39]
	v_xor_b32_e32 v5, 32, v16
	v_cmp_lt_i32_e32 vcc, v5, v4
	v_xor_b32_e32 v7, 16, v16
	v_lshlrev_b32_e32 v9, 2, v14
	v_cndmask_b32_e32 v5, v16, v5, vcc
	v_lshlrev_b32_e32 v5, 2, v5
	ds_bpermute_b32 v6, v5, v1
	v_max_f32_e32 v1, v1, v1
	v_cmp_lt_i32_e32 vcc, v7, v4
	s_waitcnt lgkmcnt(0)
	v_max_f32_e32 v6, v6, v6
	v_max_f32_e32 v1, v1, v6
	v_cndmask_b32_e32 v6, v16, v7, vcc
	v_lshlrev_b32_e32 v8, 2, v6
	ds_bpermute_b32 v6, v8, v1
	v_xor_b32_e32 v7, 8, v16
	v_cmp_lt_i32_e32 vcc, v7, v4
	s_waitcnt lgkmcnt(0)
	v_max_f32_e32 v6, v6, v6
	v_max_f32_e32 v1, v1, v6
	v_cndmask_b32_e32 v6, v16, v7, vcc
	v_lshlrev_b32_e32 v11, 2, v6
	ds_bpermute_b32 v6, v11, v1
	v_xor_b32_e32 v7, 4, v16
	v_cmp_lt_i32_e32 vcc, v7, v4
	s_waitcnt lgkmcnt(0)
	v_max_f32_e32 v6, v6, v6
	v_max_f32_e32 v1, v1, v6
	v_cndmask_b32_e32 v6, v16, v7, vcc
	v_lshlrev_b32_e32 v12, 2, v6
	ds_bpermute_b32 v7, v12, v1
	v_and_b32_e32 v6, 63, v0
	v_cmp_eq_u32_e32 vcc, 0, v6
	s_and_saveexec_b64 s[0:1], vcc
	s_cbranch_execz .LBB278_239
; %bb.238:
	s_waitcnt lgkmcnt(0)
	v_max_f32_e32 v7, v7, v7
	v_max_f32_e32 v1, v1, v1
	;; [unrolled: 1-line block ×3, first 2 shown]
	ds_write_b32 v9, v1 offset:224
.LBB278_239:
	s_or_b64 exec, exec, s[0:1]
	v_cmp_gt_u32_e64 s[0:1], 2, v6
	s_waitcnt lgkmcnt(0)
	v_mov_b32_e32 v7, 0xff7fffff
	v_lshlrev_b32_e32 v10, 2, v6
	s_barrier
	s_and_saveexec_b64 s[6:7], s[0:1]
	s_cbranch_execz .LBB278_241
; %bb.240:
	ds_read_b32 v7, v10 offset:224
.LBB278_241:
	s_or_b64 exec, exec, s[6:7]
	v_xor_b32_e32 v1, 1, v16
	v_cmp_lt_i32_e64 s[6:7], v1, v4
	v_mov_b32_e32 v17, 0
	s_nop 0
	v_cndmask_b32_e64 v1, v16, v1, s[6:7]
	v_lshlrev_b32_e32 v1, 2, v1
	s_waitcnt lgkmcnt(0)
	ds_bpermute_b32 v13, v1, v7
	v_max_f32_e32 v7, v7, v7
	s_sub_i32 s6, s33, s10
	s_lshl_b32 s6, s6, 4
	s_add_i32 s6, s6, s46
	s_waitcnt lgkmcnt(0)
	v_max_f32_e32 v13, v13, v13
	v_max_f32_e32 v7, v7, v13
	v_lshlrev_b32_e32 v13, 2, v16
	v_and_b32_e32 v13, 0xffffff00, v13
	ds_bpermute_b32 v7, v13, v7
	s_min_i32 s39, s6, s29
	s_sub_i32 s38, s39, s46
	v_cmp_gt_i32_e64 s[6:7], s38, v0
	s_and_saveexec_b64 s[12:13], s[6:7]
	s_cbranch_execz .LBB278_245
; %bb.242:
	v_mov_b32_e32 v17, 0xf0
	v_lshl_add_u32 v18, v0, 2, v17
	s_mov_b64 s[18:19], 0
	v_mov_b32_e32 v17, 0
	v_mov_b32_e32 v19, v0
.LBB278_243:                            ; =>This Inner Loop Header: Depth=1
	ds_read_b32 v20, v18
	v_add_u32_e32 v19, 0x80, v19
	v_cmp_le_i32_e64 s[10:11], s38, v19
	s_or_b64 s[18:19], s[10:11], s[18:19]
	s_waitcnt lgkmcnt(0)
	v_sub_f32_e32 v20, v20, v7
	v_mul_f32_e32 v20, 0x3fb8aa3b, v20
	v_exp_f32_e32 v20, v20
	ds_write_b32 v18, v20
	v_add_f32_e32 v17, v17, v20
	v_add_u32_e32 v18, 0x200, v18
	s_andn2_b64 exec, exec, s[18:19]
	s_cbranch_execnz .LBB278_243
; %bb.244:
	s_or_b64 exec, exec, s[18:19]
.LBB278_245:
	s_or_b64 exec, exec, s[12:13]
	ds_bpermute_b32 v5, v5, v17
	s_waitcnt lgkmcnt(0)
	v_add_f32_e32 v5, v17, v5
	ds_bpermute_b32 v8, v8, v5
	s_waitcnt lgkmcnt(0)
	v_add_f32_e32 v5, v5, v8
	ds_bpermute_b32 v8, v11, v5
	v_xor_b32_e32 v11, 2, v16
	v_cmp_lt_i32_e64 s[10:11], v11, v4
	s_waitcnt lgkmcnt(0)
	v_add_f32_e32 v5, v5, v8
	ds_bpermute_b32 v8, v12, v5
	v_cndmask_b32_e64 v4, v16, v11, s[10:11]
	v_lshlrev_b32_e32 v4, 2, v4
	s_waitcnt lgkmcnt(0)
	v_add_f32_e32 v5, v5, v8
	ds_bpermute_b32 v4, v4, v5
	s_waitcnt lgkmcnt(0)
	v_add_f32_e32 v4, v5, v4
	ds_bpermute_b32 v5, v1, v4
	s_waitcnt lgkmcnt(0)
	v_add_f32_e32 v4, v4, v5
	s_and_saveexec_b64 s[10:11], vcc
	s_cbranch_execz .LBB278_247
; %bb.246:
	ds_write_b32 v9, v4 offset:232
.LBB278_247:
	s_or_b64 exec, exec, s[10:11]
	s_waitcnt lgkmcnt(0)
	s_barrier
	s_and_saveexec_b64 s[10:11], s[0:1]
	s_cbranch_execz .LBB278_249
; %bb.248:
	ds_read_b32 v4, v10 offset:232
.LBB278_249:
	s_or_b64 exec, exec, s[10:11]
	s_waitcnt lgkmcnt(0)
	ds_bpermute_b32 v5, v1, v4
	s_waitcnt lgkmcnt(0)
	v_add_f32_e32 v4, v4, v5
	ds_bpermute_b32 v8, v13, v4
	s_and_saveexec_b64 s[0:1], s[6:7]
	s_cbranch_execz .LBB278_262
; %bb.250:
	s_waitcnt lgkmcnt(0)
	v_add_f32_e32 v4, 0x358637bd, v8
	v_div_scale_f32 v5, s[6:7], v4, v4, 1.0
	v_rcp_f32_e32 v9, v5
	v_div_scale_f32 v10, vcc, 1.0, v4, 1.0
	s_movk_i32 s6, 0x7f
	v_fma_f32 v11, -v5, v9, 1.0
	v_fmac_f32_e32 v9, v11, v9
	v_mul_f32_e32 v11, v10, v9
	v_fma_f32 v12, -v5, v11, v10
	v_fmac_f32_e32 v11, v12, v9
	v_fma_f32 v5, -v5, v11, v10
	v_div_fmas_f32 v5, v5, v9, v11
	v_div_fixup_f32 v4, v5, v4, 1.0
	v_xad_u32 v5, v0, -1, s39
	v_subrev_u32_e32 v9, s46, v5
	v_cmp_lt_u32_e32 vcc, s6, v9
	s_mov_b64 s[10:11], -1
	v_mov_b32_e32 v5, v0
	s_and_saveexec_b64 s[6:7], vcc
	s_cbranch_execz .LBB278_259
; %bb.251:
	v_lshrrev_b32_e32 v9, 7, v9
	v_add_u32_e32 v11, -1, v9
	v_lshrrev_b32_e32 v10, 1, v11
	v_mov_b32_e32 v5, v4
	v_add_u32_e32 v10, 1, v10
	v_cmp_lt_u32_e32 vcc, 13, v11
	v_mov_b32_e32 v13, 0
	s_and_saveexec_b64 s[10:11], vcc
	s_cbranch_execz .LBB278_255
; %bb.252:
	v_mov_b32_e32 v12, 0xf0
	v_and_b32_e32 v11, -8, v10
	v_lshl_add_u32 v12, v0, 2, v12
	s_mov_b32 s18, 0
	s_mov_b64 s[12:13], 0
.LBB278_253:                            ; =>This Inner Loop Header: Depth=1
	ds_read2st64_b32 v[16:17], v12 offset1:2
	ds_read2st64_b32 v[18:19], v12 offset0:4 offset1:6
	ds_read2st64_b32 v[20:21], v12 offset0:8 offset1:10
	;; [unrolled: 1-line block ×3, first 2 shown]
	v_add_u32_e32 v11, -8, v11
	s_waitcnt lgkmcnt(3)
	v_pk_mul_f32 v[16:17], v[4:5], v[16:17]
	s_waitcnt lgkmcnt(2)
	v_pk_mul_f32 v[18:19], v[4:5], v[18:19]
	ds_write2st64_b32 v12, v16, v17 offset1:2
	ds_write2st64_b32 v12, v18, v19 offset0:4 offset1:6
	ds_read2st64_b32 v[18:19], v12 offset0:16 offset1:18
	s_waitcnt lgkmcnt(4)
	v_pk_mul_f32 v[16:17], v[4:5], v[20:21]
	ds_write2st64_b32 v12, v16, v17 offset0:8 offset1:10
	s_waitcnt lgkmcnt(4)
	v_pk_mul_f32 v[16:17], v[4:5], v[22:23]
	ds_write2st64_b32 v12, v16, v17 offset0:12 offset1:14
	ds_read2st64_b32 v[16:17], v12 offset0:20 offset1:22
	s_waitcnt lgkmcnt(3)
	v_pk_mul_f32 v[18:19], v[4:5], v[18:19]
	ds_read2st64_b32 v[20:21], v12 offset0:24 offset1:26
	ds_write2st64_b32 v12, v18, v19 offset0:16 offset1:18
	ds_read2st64_b32 v[18:19], v12 offset0:28 offset1:30
	s_waitcnt lgkmcnt(3)
	v_pk_mul_f32 v[16:17], v[4:5], v[16:17]
	ds_write2st64_b32 v12, v16, v17 offset0:20 offset1:22
	s_waitcnt lgkmcnt(3)
	v_pk_mul_f32 v[16:17], v[4:5], v[20:21]
	ds_write2st64_b32 v12, v16, v17 offset0:24 offset1:26
	s_waitcnt lgkmcnt(2)
	v_pk_mul_f32 v[16:17], v[4:5], v[18:19]
	s_add_i32 s18, s18, 16
	v_cmp_eq_u32_e32 vcc, 0, v11
	ds_write2st64_b32 v12, v16, v17 offset0:28 offset1:30
	v_add_u32_e32 v12, 0x2000, v12
	s_or_b64 s[12:13], vcc, s[12:13]
	v_mov_b32_e32 v13, s18
	s_andn2_b64 exec, exec, s[12:13]
	s_cbranch_execnz .LBB278_253
; %bb.254:
	s_or_b64 exec, exec, s[12:13]
.LBB278_255:
	s_or_b64 exec, exec, s[10:11]
	v_and_b32_e32 v10, 7, v10
	v_cmp_ne_u32_e32 vcc, 0, v10
	s_and_saveexec_b64 s[10:11], vcc
	s_cbranch_execz .LBB278_258
; %bb.256:
	v_lshlrev_b32_e32 v11, 9, v13
	v_lshlrev_b32_e32 v12, 2, v0
	s_movk_i32 s12, 0xf0
	v_add3_u32 v11, v11, v12, s12
	s_mov_b64 s[12:13], 0
.LBB278_257:                            ; =>This Inner Loop Header: Depth=1
	ds_read2st64_b32 v[12:13], v11 offset1:2
	v_add_u32_e32 v10, -1, v10
	v_cmp_eq_u32_e32 vcc, 0, v10
	s_or_b64 s[12:13], vcc, s[12:13]
	s_waitcnt lgkmcnt(0)
	v_pk_mul_f32 v[12:13], v[4:5], v[12:13]
	ds_write2st64_b32 v11, v12, v13 offset1:2
	v_add_u32_e32 v11, 0x400, v11
	s_andn2_b64 exec, exec, s[12:13]
	s_cbranch_execnz .LBB278_257
.LBB278_258:
	s_or_b64 exec, exec, s[10:11]
	v_add_u32_e32 v9, 1, v9
	v_and_b32_e32 v10, 0x3fffffe, v9
	v_cmp_ne_u32_e32 vcc, v9, v10
	v_lshl_add_u32 v5, v10, 7, v0
	s_orn2_b64 s[10:11], vcc, exec
.LBB278_259:
	s_or_b64 exec, exec, s[6:7]
	s_and_b64 exec, exec, s[10:11]
	s_cbranch_execz .LBB278_262
; %bb.260:
	v_mov_b32_e32 v9, 0xf0
	v_lshl_add_u32 v9, v5, 2, v9
	s_mov_b64 s[6:7], 0
.LBB278_261:                            ; =>This Inner Loop Header: Depth=1
	ds_read_b32 v10, v9
	v_add_u32_e32 v5, 0x80, v5
	v_cmp_le_i32_e32 vcc, s38, v5
	s_or_b64 s[6:7], vcc, s[6:7]
	s_waitcnt lgkmcnt(0)
	v_mul_f32_e32 v10, v4, v10
	ds_write_b32 v9, v10
	v_add_u32_e32 v9, 0x200, v9
	s_andn2_b64 exec, exec, s[6:7]
	s_cbranch_execnz .LBB278_261
.LBB278_262:
	s_or_b64 exec, exec, s[0:1]
	s_mul_i32 s0, s25, s28
	v_cmp_eq_u32_e32 vcc, 0, v0
	s_mul_i32 s6, s0, s5
	s_waitcnt lgkmcnt(0)
	s_barrier
	s_and_saveexec_b64 s[0:1], vcc
	s_cbranch_execz .LBB278_264
; %bb.263:
	s_ashr_i32 s7, s6, 31
	s_lshl_b64 s[10:11], s[6:7], 2
	s_add_u32 s5, s22, s10
	s_mul_i32 s12, s25, s2
	s_addc_u32 s7, s23, s11
	s_ashr_i32 s13, s12, 31
	s_lshl_b64 s[12:13], s[12:13], 2
	s_add_u32 s2, s5, s12
	s_addc_u32 s7, s7, s13
	s_ashr_i32 s5, s4, 31
	s_lshl_b64 s[18:19], s[4:5], 2
	s_add_u32 s22, s2, s18
	s_addc_u32 s23, s7, s19
	s_add_u32 s2, s20, s10
	s_addc_u32 s5, s21, s11
	;; [unrolled: 2-line block ×3, first 2 shown]
	s_add_u32 s10, s2, s18
	v_mov_b32_e32 v4, 0
	s_addc_u32 s11, s5, s19
	global_store_dword v4, v7, s[22:23]
	global_store_dword v4, v8, s[10:11]
.LBB278_264:
	s_or_b64 exec, exec, s[0:1]
	v_mov_b32_e32 v7, 0
	v_lshrrev_b32_e32 v31, 1, v6
	v_and_b32_e32 v30, 1, v0
	v_mov_b32_e32 v6, v7
	v_mov_b32_e32 v13, v7
	v_mov_b32_e32 v12, v7
	s_and_saveexec_b64 s[10:11], s[8:9]
	s_cbranch_execz .LBB278_534
; %bb.265:
	s_ashr_i32 s1, s16, 31
	v_lshlrev_b32_e32 v4, 3, v0
	s_add_u32 s0, s36, s16
	v_or_b32_e32 v7, 0x60, v31
	s_movk_i32 s2, 0x70
	v_and_b32_e32 v6, 8, v4
	s_addc_u32 s1, s37, s1
	s_add_i32 s7, s3, -1
	v_cmp_gt_u32_e32 vcc, s2, v7
	s_lshl_b64 s[2:3], s[34:35], 2
	v_lshl_or_b32 v4, v31, 4, v6
	v_lshl_or_b32 v10, v7, 4, v6
	v_add3_u32 v32, s46, v15, v6
	v_lshlrev_b32_e32 v6, 5, v30
	s_add_u32 s2, s30, s2
	v_mov_b32_e32 v9, 0
	v_lshl_or_b32 v6, v14, 6, v6
	s_addc_u32 s3, s31, s3
	s_mov_b32 s5, s17
	v_mov_b32_e32 v5, v9
	v_mov_b32_e32 v11, v9
	s_mov_b32 s22, s29
	v_add_u32_e32 v33, 0xf0, v6
	v_lshl_add_u64 v[14:15], v[2:3], 2, s[2:3]
	s_mov_b64 s[8:9], 0
	v_mov_b64_e32 v[16:17], s[0:1]
	s_movk_i32 s23, 0x7f
	s_movk_i32 s28, 0x80
	s_mov_b32 s30, 0x8000
	s_movk_i32 s31, 0x380
	s_mov_b32 s34, 0x3020706
	s_mov_b32 s35, 0x1000504
	;; [unrolled: 1-line block ×3, first 2 shown]
	v_mov_b32_e32 v3, 0x1c00
	v_mov_b32_e32 v12, v9
	;; [unrolled: 1-line block ×5, first 2 shown]
	s_branch .LBB278_268
.LBB278_266:                            ;   in Loop: Header=BB278_268 Depth=1
	s_or_b64 exec, exec, s[2:3]
	;;#ASMSTART
	v_pk_mul_f16 v20, v37, v21;

	;;#ASMEND
	;;#ASMSTART
	v_pk_mul_f16 v8, v36, v8;

	;;#ASMEND
	;; [unrolled: 4-line block ×4, first 2 shown]
	s_nop 0
	;;#ASMSTART
	v_pk_add_f16 v8, v20, v8;

	;;#ASMEND
	s_nop 0
	;;#ASMSTART
	v_pk_add_f16 v8, v8, v19;

	;;#ASMEND
	s_nop 0
	;;#ASMSTART
	v_pk_add_f16 v8, v8, v18;

	;;#ASMEND
	s_nop 0
	v_lshrrev_b32_e32 v18, 16, v8
	v_and_b32_e32 v8, 0xffff, v8
	;;#ASMSTART
	v_cvt_f32_f16 v8, v8;
	;;#ASMEND
	;;#ASMSTART
	v_cvt_f32_f16 v18, v18;
	;;#ASMEND
	s_nop 0
	v_add_f32_e32 v8, v8, v18
	v_add_f32_e32 v7, v7, v8
.LBB278_267:                            ;   in Loop: Header=BB278_268 Depth=1
	s_or_b64 exec, exec, s[12:13]
	v_add_u32_e32 v2, 2, v2
	v_cmp_le_i32_e64 s[0:1], s33, v2
	v_add_u32_e32 v32, 32, v32
	v_add_u32_e32 v33, 0x80, v33
	s_or_b64 s[8:9], s[0:1], s[8:9]
	v_lshl_add_u64 v[14:15], v[14:15], 0, 8
	s_andn2_b64 exec, exec, s[8:9]
	s_cbranch_execz .LBB278_533
.LBB278_268:                            ; =>This Inner Loop Header: Depth=1
	ds_read2_b64 v[18:21], v33 offset1:1
	ds_read2_b64 v[24:27], v33 offset0:2 offset1:3
                                        ; implicit-def: $sgpr16
	s_waitcnt lgkmcnt(1)
	;;#ASMSTART
	v_cvt_f16_f32 v23, v18;

	;;#ASMEND
	;;#ASMSTART
	v_cvt_f16_f32 v34, v19;

	;;#ASMEND
	;; [unrolled: 4-line block ×4, first 2 shown]
	s_waitcnt lgkmcnt(0)
	;;#ASMSTART
	v_cvt_f16_f32 v38, v24;

	;;#ASMEND
	;;#ASMSTART
	v_cvt_f16_f32 v39, v25;

	;;#ASMEND
	;; [unrolled: 4-line block ×4, first 2 shown]
	global_load_dword v8, v[14:15], off
	s_waitcnt vmcnt(0)
	v_mad_i64_i32 v[18:19], s[0:1], v8, s5, v[16:17]
	v_lshl_add_u64 v[20:21], v[18:19], 0, v[4:5]
	global_load_dwordx2 v[24:25], v[20:21], off
	global_load_dword v22, v9, s[14:15]
	s_mov_b64 s[0:1], 0
	s_waitcnt vmcnt(1)
	v_cmp_gt_i16_sdwa s[2:3], v24, s23 src0_sel:BYTE_0 src1_sel:DWORD
	s_and_saveexec_b64 s[12:13], s[2:3]
	s_xor_b64 s[2:3], exec, s[12:13]
	s_cbranch_execnz .LBB278_405
; %bb.269:                              ;   in Loop: Header=BB278_268 Depth=1
	s_or_saveexec_b64 s[2:3], s[2:3]
	v_mov_b32_e32 v26, s16
	s_xor_b64 exec, exec, s[2:3]
	s_cbranch_execnz .LBB278_408
.LBB278_270:                            ;   in Loop: Header=BB278_268 Depth=1
	s_or_b64 exec, exec, s[2:3]
	s_and_saveexec_b64 s[2:3], s[0:1]
	s_cbranch_execz .LBB278_272
.LBB278_271:                            ;   in Loop: Header=BB278_268 Depth=1
	v_and_b32_e32 v8, 7, v24
	v_ffbh_u32_e32 v8, v8
	v_bfe_u32 v26, v24, 3, 4
	v_min_u32_e32 v8, 32, v8
	v_subrev_u32_e32 v27, 28, v8
	v_sub_u32_e32 v8, 29, v8
	v_cmp_eq_u32_e64 s[0:1], 0, v26
	s_nop 1
	v_cndmask_b32_e64 v8, v26, v8, s[0:1]
	v_cndmask_b32_e64 v26, 0, v27, s[0:1]
	v_lshlrev_b64 v[26:27], v26, v[24:25]
	v_lshlrev_b32_e32 v27, 8, v24
	v_lshl_add_u32 v8, v8, 10, v3
	v_lshlrev_b32_e32 v26, 7, v26
	v_and_or_b32 v8, v27, s30, v8
	v_and_or_b32 v8, v26, s31, v8
	v_cvt_f32_f16_e32 v26, v8
.LBB278_272:                            ;   in Loop: Header=BB278_268 Depth=1
	s_or_b64 exec, exec, s[2:3]
	v_lshrrev_b16_e32 v8, 8, v24
	v_cmp_lt_i16_e64 s[0:1], s23, v8
	s_mov_b64 s[2:3], 0
                                        ; implicit-def: $sgpr18
	s_and_saveexec_b64 s[12:13], s[0:1]
	s_xor_b64 s[12:13], exec, s[12:13]
	s_cbranch_execnz .LBB278_409
; %bb.273:                              ;   in Loop: Header=BB278_268 Depth=1
	s_or_saveexec_b64 s[12:13], s[12:13]
	v_mov_b32_e32 v28, s18
	s_xor_b64 exec, exec, s[12:13]
	s_cbranch_execnz .LBB278_412
.LBB278_274:                            ;   in Loop: Header=BB278_268 Depth=1
	s_or_b64 exec, exec, s[12:13]
	s_and_saveexec_b64 s[12:13], s[2:3]
	s_cbranch_execz .LBB278_276
.LBB278_275:                            ;   in Loop: Header=BB278_268 Depth=1
	v_and_b32_e32 v27, 7, v8
	v_ffbh_u32_e32 v28, v27
	v_min_u32_e32 v42, 32, v28
	v_subrev_u32_e32 v28, 28, v42
	v_bfe_u32 v37, v8, 3, 4
	v_lshlrev_b64 v[28:29], v28, v[8:9]
	v_sub_u32_e32 v29, 29, v42
	v_cmp_eq_u32_e64 s[0:1], 0, v37
	v_and_b32_e32 v28, 7, v28
	v_lshlrev_b32_e32 v8, 8, v8
	v_cndmask_b32_e64 v29, v37, v29, s[0:1]
	v_cndmask_b32_e64 v27, v27, v28, s[0:1]
	v_lshl_add_u32 v28, v29, 10, v3
	v_and_or_b32 v8, v8, s30, v28
	v_lshl_or_b32 v8, v27, 7, v8
	v_cvt_f32_f16_e32 v28, v8
.LBB278_276:                            ;   in Loop: Header=BB278_268 Depth=1
	s_or_b64 exec, exec, s[12:13]
	v_lshrrev_b32_e32 v8, 16, v24
	v_cmp_gt_i16_sdwa s[2:3], v8, s23 src0_sel:BYTE_0 src1_sel:DWORD
	s_mov_b64 s[0:1], 0
                                        ; implicit-def: $sgpr16
	s_and_saveexec_b64 s[12:13], s[2:3]
	s_xor_b64 s[2:3], exec, s[12:13]
	s_cbranch_execnz .LBB278_413
; %bb.277:                              ;   in Loop: Header=BB278_268 Depth=1
	s_or_saveexec_b64 s[2:3], s[2:3]
	v_mov_b32_e32 v27, s16
	s_xor_b64 exec, exec, s[2:3]
	s_cbranch_execnz .LBB278_416
.LBB278_278:                            ;   in Loop: Header=BB278_268 Depth=1
	s_or_b64 exec, exec, s[2:3]
	s_and_saveexec_b64 s[2:3], s[0:1]
	s_cbranch_execz .LBB278_280
.LBB278_279:                            ;   in Loop: Header=BB278_268 Depth=1
	v_bfe_u32 v27, v24, 16, 3
	v_ffbh_u32_e32 v37, v27
	v_bfe_u32 v29, v24, 19, 4
	v_min_u32_e32 v37, 32, v37
	v_subrev_u32_e32 v42, 28, v37
	v_sub_u32_e32 v37, 29, v37
	v_cmp_eq_u32_e64 s[0:1], 0, v29
	v_lshlrev_b64 v[42:43], v42, v[8:9]
	v_and_b32_e32 v42, 7, v42
	v_cndmask_b32_e64 v29, v29, v37, s[0:1]
	v_lshlrev_b32_e32 v8, 8, v8
	v_lshl_add_u32 v29, v29, 10, v3
	v_cndmask_b32_e64 v27, v27, v42, s[0:1]
	v_and_or_b32 v8, v8, s30, v29
	v_lshl_or_b32 v8, v27, 7, v8
	v_cvt_f32_f16_e32 v27, v8
.LBB278_280:                            ;   in Loop: Header=BB278_268 Depth=1
	s_or_b64 exec, exec, s[2:3]
	v_lshrrev_b32_e32 v8, 24, v24
	v_cmp_lt_i16_e64 s[0:1], s23, v8
	s_mov_b64 s[2:3], 0
                                        ; implicit-def: $sgpr18
	s_and_saveexec_b64 s[12:13], s[0:1]
	s_xor_b64 s[12:13], exec, s[12:13]
	s_cbranch_execnz .LBB278_417
; %bb.281:                              ;   in Loop: Header=BB278_268 Depth=1
	s_or_saveexec_b64 s[12:13], s[12:13]
	v_mov_b32_e32 v29, s18
	s_xor_b64 exec, exec, s[12:13]
	s_cbranch_execnz .LBB278_420
.LBB278_282:                            ;   in Loop: Header=BB278_268 Depth=1
	s_or_b64 exec, exec, s[12:13]
	s_and_saveexec_b64 s[12:13], s[2:3]
	s_cbranch_execz .LBB278_284
.LBB278_283:                            ;   in Loop: Header=BB278_268 Depth=1
	v_bfe_u32 v29, v24, 24, 3
	v_ffbh_u32_e32 v37, v29
	v_bfe_u32 v24, v24, 27, 4
	v_min_u32_e32 v37, 32, v37
	v_subrev_u32_e32 v42, 28, v37
	v_sub_u32_e32 v37, 29, v37
	v_cmp_eq_u32_e64 s[0:1], 0, v24
	v_lshlrev_b64 v[42:43], v42, v[8:9]
	v_and_b32_e32 v42, 7, v42
	v_cndmask_b32_e64 v24, v24, v37, s[0:1]
	v_lshlrev_b32_e32 v8, 8, v8
	v_lshl_add_u32 v24, v24, 10, v3
	v_cndmask_b32_e64 v29, v29, v42, s[0:1]
	v_and_or_b32 v8, v8, s30, v24
	v_lshl_or_b32 v8, v29, 7, v8
	v_cvt_f32_f16_e32 v29, v8
.LBB278_284:                            ;   in Loop: Header=BB278_268 Depth=1
	s_or_b64 exec, exec, s[12:13]
	v_cmp_gt_i16_sdwa s[2:3], v25, s23 src0_sel:BYTE_0 src1_sel:DWORD
	s_mov_b64 s[0:1], 0
                                        ; implicit-def: $sgpr16
	s_and_saveexec_b64 s[12:13], s[2:3]
	s_xor_b64 s[2:3], exec, s[12:13]
	s_cbranch_execnz .LBB278_421
; %bb.285:                              ;   in Loop: Header=BB278_268 Depth=1
	s_or_saveexec_b64 s[2:3], s[2:3]
	v_mov_b32_e32 v24, s16
	s_xor_b64 exec, exec, s[2:3]
	s_cbranch_execnz .LBB278_424
.LBB278_286:                            ;   in Loop: Header=BB278_268 Depth=1
	s_or_b64 exec, exec, s[2:3]
	v_mov_b32_e32 v8, v25
	s_and_saveexec_b64 s[2:3], s[0:1]
	s_cbranch_execz .LBB278_288
.LBB278_287:                            ;   in Loop: Header=BB278_268 Depth=1
	v_and_b32_e32 v24, 7, v25
	v_ffbh_u32_e32 v24, v24
	v_bfe_u32 v37, v25, 3, 4
	v_min_u32_e32 v24, 32, v24
	v_subrev_u32_e32 v42, 28, v24
	v_sub_u32_e32 v24, 29, v24
	v_cmp_eq_u32_e64 s[0:1], 0, v37
	s_nop 1
	v_cndmask_b32_e64 v24, v37, v24, s[0:1]
	v_cndmask_b32_e64 v37, 0, v42, s[0:1]
	v_lshlrev_b64 v[42:43], v37, v[8:9]
	v_lshlrev_b32_e32 v37, 7, v42
	v_lshlrev_b32_e32 v42, 8, v25
	v_lshl_add_u32 v24, v24, 10, v3
	v_and_or_b32 v24, v42, s30, v24
	v_and_or_b32 v24, v37, s31, v24
	v_cvt_f32_f16_e32 v24, v24
.LBB278_288:                            ;   in Loop: Header=BB278_268 Depth=1
	s_or_b64 exec, exec, s[2:3]
	v_lshrrev_b16_e32 v8, 8, v8
	v_cmp_lt_i16_e64 s[0:1], s23, v8
	s_mov_b64 s[2:3], 0
                                        ; implicit-def: $sgpr18
	s_and_saveexec_b64 s[12:13], s[0:1]
	s_xor_b64 s[12:13], exec, s[12:13]
	s_cbranch_execnz .LBB278_425
; %bb.289:                              ;   in Loop: Header=BB278_268 Depth=1
	s_or_saveexec_b64 s[12:13], s[12:13]
	v_mov_b32_e32 v37, s18
	s_xor_b64 exec, exec, s[12:13]
	s_cbranch_execnz .LBB278_428
.LBB278_290:                            ;   in Loop: Header=BB278_268 Depth=1
	s_or_b64 exec, exec, s[12:13]
	s_and_saveexec_b64 s[12:13], s[2:3]
	s_cbranch_execz .LBB278_292
.LBB278_291:                            ;   in Loop: Header=BB278_268 Depth=1
	v_and_b32_e32 v37, 7, v8
	v_ffbh_u32_e32 v42, v37
	v_min_u32_e32 v45, 32, v42
	v_subrev_u32_e32 v42, 28, v45
	v_bfe_u32 v44, v8, 3, 4
	v_lshlrev_b64 v[42:43], v42, v[8:9]
	v_sub_u32_e32 v43, 29, v45
	v_cmp_eq_u32_e64 s[0:1], 0, v44
	v_and_b32_e32 v42, 7, v42
	v_lshlrev_b32_e32 v8, 8, v8
	v_cndmask_b32_e64 v43, v44, v43, s[0:1]
	v_cndmask_b32_e64 v37, v37, v42, s[0:1]
	v_lshl_add_u32 v42, v43, 10, v3
	v_and_or_b32 v8, v8, s30, v42
	v_lshl_or_b32 v8, v37, 7, v8
	v_cvt_f32_f16_e32 v37, v8
.LBB278_292:                            ;   in Loop: Header=BB278_268 Depth=1
	s_or_b64 exec, exec, s[12:13]
	v_lshrrev_b32_e32 v8, 16, v25
	v_cmp_gt_i16_sdwa s[2:3], v8, s23 src0_sel:BYTE_0 src1_sel:DWORD
	s_mov_b64 s[0:1], 0
                                        ; implicit-def: $sgpr16
	s_and_saveexec_b64 s[12:13], s[2:3]
	s_xor_b64 s[2:3], exec, s[12:13]
	s_cbranch_execnz .LBB278_429
; %bb.293:                              ;   in Loop: Header=BB278_268 Depth=1
	s_or_saveexec_b64 s[2:3], s[2:3]
	v_mov_b32_e32 v42, s16
	s_xor_b64 exec, exec, s[2:3]
	s_cbranch_execnz .LBB278_432
.LBB278_294:                            ;   in Loop: Header=BB278_268 Depth=1
	s_or_b64 exec, exec, s[2:3]
	s_and_saveexec_b64 s[2:3], s[0:1]
	s_cbranch_execz .LBB278_296
.LBB278_295:                            ;   in Loop: Header=BB278_268 Depth=1
	v_bfe_u32 v44, v25, 16, 3
	v_ffbh_u32_e32 v42, v44
	v_min_u32_e32 v46, 32, v42
	v_subrev_u32_e32 v42, 28, v46
	v_bfe_u32 v45, v25, 19, 4
	v_lshlrev_b64 v[42:43], v42, v[8:9]
	v_sub_u32_e32 v43, 29, v46
	v_cmp_eq_u32_e64 s[0:1], 0, v45
	v_and_b32_e32 v42, 7, v42
	v_lshlrev_b32_e32 v8, 8, v8
	v_cndmask_b32_e64 v43, v45, v43, s[0:1]
	v_lshl_add_u32 v43, v43, 10, v3
	v_cndmask_b32_e64 v42, v44, v42, s[0:1]
	v_and_or_b32 v8, v8, s30, v43
	v_lshl_or_b32 v8, v42, 7, v8
	v_cvt_f32_f16_e32 v42, v8
.LBB278_296:                            ;   in Loop: Header=BB278_268 Depth=1
	s_or_b64 exec, exec, s[2:3]
	v_lshrrev_b32_e32 v8, 24, v25
	v_cmp_lt_i16_e64 s[0:1], s23, v8
	s_mov_b64 s[2:3], 0
                                        ; implicit-def: $sgpr18
	s_and_saveexec_b64 s[12:13], s[0:1]
	s_xor_b64 s[12:13], exec, s[12:13]
	s_cbranch_execnz .LBB278_433
; %bb.297:                              ;   in Loop: Header=BB278_268 Depth=1
	s_or_saveexec_b64 s[12:13], s[12:13]
	v_mov_b32_e32 v43, s18
	s_xor_b64 exec, exec, s[12:13]
	s_cbranch_execnz .LBB278_436
.LBB278_298:                            ;   in Loop: Header=BB278_268 Depth=1
	s_or_b64 exec, exec, s[12:13]
	s_and_saveexec_b64 s[12:13], s[2:3]
	s_cbranch_execz .LBB278_300
.LBB278_299:                            ;   in Loop: Header=BB278_268 Depth=1
	v_bfe_u32 v43, v25, 24, 3
	v_ffbh_u32_e32 v44, v43
	v_min_u32_e32 v46, 32, v44
	v_subrev_u32_e32 v44, 28, v46
	v_bfe_u32 v25, v25, 27, 4
	v_lshlrev_b64 v[44:45], v44, v[8:9]
	v_sub_u32_e32 v45, 29, v46
	v_cmp_eq_u32_e64 s[0:1], 0, v25
	v_and_b32_e32 v44, 7, v44
	v_lshlrev_b32_e32 v8, 8, v8
	v_cndmask_b32_e64 v25, v25, v45, s[0:1]
	v_lshl_add_u32 v25, v25, 10, v3
	v_cndmask_b32_e64 v43, v43, v44, s[0:1]
	v_and_or_b32 v8, v8, s30, v25
	v_lshl_or_b32 v8, v43, 7, v8
	v_cvt_f32_f16_e32 v43, v8
.LBB278_300:                            ;   in Loop: Header=BB278_268 Depth=1
	s_or_b64 exec, exec, s[12:13]
	s_waitcnt vmcnt(0)
	v_pk_mul_f32 v[28:29], v[22:23], v[28:29] op_sel_hi:[0,1]
	v_pk_mul_f32 v[26:27], v[22:23], v[26:27] op_sel_hi:[0,1]
	v_cvt_f16_f32_e32 v8, v29
	v_cvt_f16_f32_e32 v25, v28
	;; [unrolled: 1-line block ×4, first 2 shown]
	v_fma_mixlo_f16 v24, v22, v24, 0
	v_pack_b32_f16 v25, v25, v8
	v_cmp_eq_u32_e64 s[0:1], s7, v2
	v_pack_b32_f16 v26, v26, v27
	v_perm_b32 v8, v26, v25, s34
	v_perm_b32 v25, v26, v25, s35
	v_fma_mixlo_f16 v26, v22, v37, 0
	v_lshlrev_b32_e32 v26, 16, v26
	v_or_b32_sdwa v24, v26, v24 dst_sel:DWORD dst_unused:UNUSED_PAD src0_sel:DWORD src1_sel:WORD_0
	v_fma_mixlo_f16 v26, v22, v42, 0
	v_fma_mixlo_f16 v22, v22, v43, 0
	v_lshlrev_b32_e32 v22, 16, v22
	v_or_b32_sdwa v22, v22, v26 dst_sel:DWORD dst_unused:UNUSED_PAD src0_sel:DWORD src1_sel:WORD_0
	s_and_saveexec_b64 s[12:13], s[0:1]
	s_cbranch_execz .LBB278_302
; %bb.301:                              ;   in Loop: Header=BB278_268 Depth=1
	v_add_u32_e32 v27, 1, v32
	v_lshrrev_b32_e32 v28, 16, v25
	v_cmp_gt_i32_e64 s[2:3], s22, v27
	v_lshrrev_b32_e32 v29, 16, v8
	v_lshrrev_b32_e32 v22, 16, v22
	v_cndmask_b32_e64 v27, 0, v28, s[2:3]
	v_cmp_gt_i32_e64 s[2:3], s29, v32
	v_or_b32_e32 v28, 2, v32
	s_nop 0
	v_cndmask_b32_e64 v25, 0, v25, s[2:3]
	v_perm_b32 v25, v27, v25, s36
	v_or_b32_e32 v27, 3, v32
	v_cmp_gt_i32_e64 s[2:3], s22, v27
	s_nop 1
	v_cndmask_b32_e64 v27, 0, v29, s[2:3]
	v_cmp_gt_i32_e64 s[2:3], s29, v28
	v_or_b32_e32 v28, 4, v32
	v_lshrrev_b32_e32 v29, 16, v24
	v_cndmask_b32_e64 v8, 0, v8, s[2:3]
	v_perm_b32 v8, v27, v8, s36
	v_or_b32_e32 v27, 5, v32
	v_cmp_gt_i32_e64 s[2:3], s22, v27
	s_nop 1
	v_cndmask_b32_e64 v27, 0, v29, s[2:3]
	v_cmp_gt_i32_e64 s[2:3], s29, v28
	v_or_b32_e32 v28, 6, v32
	s_nop 0
	v_cndmask_b32_e64 v24, 0, v24, s[2:3]
	v_perm_b32 v24, v27, v24, s36
	v_or_b32_e32 v27, 7, v32
	v_cmp_gt_i32_e64 s[2:3], s22, v27
	s_nop 1
	v_cndmask_b32_e64 v22, 0, v22, s[2:3]
	v_cmp_gt_i32_e64 s[2:3], s29, v28
	s_nop 1
	v_cndmask_b32_e64 v26, 0, v26, s[2:3]
	v_perm_b32 v22, v22, v26, s36
.LBB278_302:                            ;   in Loop: Header=BB278_268 Depth=1
	s_or_b64 exec, exec, s[12:13]
	v_and_b32_e32 v23, 0xffff, v23
	v_lshl_or_b32 v37, v34, 16, v23
	v_and_b32_e32 v23, 0xffff, v35
	v_lshl_or_b32 v36, v36, 16, v23
	;; [unrolled: 2-line block ×4, first 2 shown]
	;;#ASMSTART
	v_pk_mul_f16 v23, v37, v25;

	;;#ASMEND
	;;#ASMSTART
	v_pk_mul_f16 v8, v36, v8;

	;;#ASMEND
	;; [unrolled: 4-line block ×4, first 2 shown]
	s_mov_b64 s[2:3], 0
	;;#ASMSTART
	v_pk_add_f16 v8, v23, v8;

	;;#ASMEND
                                        ; implicit-def: $sgpr18
	s_nop 0
	;;#ASMSTART
	v_pk_add_f16 v8, v8, v24;

	;;#ASMEND
	s_nop 0
	;;#ASMSTART
	v_pk_add_f16 v8, v8, v22;

	;;#ASMEND
	s_nop 0
	v_lshrrev_b32_e32 v22, 16, v8
	v_and_b32_e32 v8, 0xffff, v8
	;;#ASMSTART
	v_cvt_f32_f16 v23, v8;
	;;#ASMEND
	;;#ASMSTART
	v_cvt_f32_f16 v38, v22;
	;;#ASMEND
	global_load_dwordx2 v[24:25], v[20:21], off offset:512
	global_load_dword v22, v9, s[14:15]
	s_waitcnt vmcnt(1)
	v_cmp_gt_i16_sdwa s[12:13], v24, s23 src0_sel:BYTE_0 src1_sel:DWORD
	s_and_saveexec_b64 s[16:17], s[12:13]
	s_xor_b64 s[12:13], exec, s[16:17]
	s_cbranch_execnz .LBB278_437
; %bb.303:                              ;   in Loop: Header=BB278_268 Depth=1
	s_or_saveexec_b64 s[12:13], s[12:13]
	v_mov_b32_e32 v26, s18
	s_xor_b64 exec, exec, s[12:13]
	s_cbranch_execnz .LBB278_440
.LBB278_304:                            ;   in Loop: Header=BB278_268 Depth=1
	s_or_b64 exec, exec, s[12:13]
	s_and_saveexec_b64 s[12:13], s[2:3]
	s_cbranch_execz .LBB278_306
.LBB278_305:                            ;   in Loop: Header=BB278_268 Depth=1
	v_and_b32_e32 v8, 7, v24
	v_ffbh_u32_e32 v8, v8
	v_bfe_u32 v26, v24, 3, 4
	v_min_u32_e32 v8, 32, v8
	v_subrev_u32_e32 v27, 28, v8
	v_sub_u32_e32 v8, 29, v8
	v_cmp_eq_u32_e64 s[2:3], 0, v26
	s_nop 1
	v_cndmask_b32_e64 v8, v26, v8, s[2:3]
	v_cndmask_b32_e64 v26, 0, v27, s[2:3]
	v_lshlrev_b64 v[26:27], v26, v[24:25]
	v_lshlrev_b32_e32 v27, 8, v24
	v_lshl_add_u32 v8, v8, 10, v3
	v_lshlrev_b32_e32 v26, 7, v26
	v_and_or_b32 v8, v27, s30, v8
	v_and_or_b32 v8, v26, s31, v8
	v_cvt_f32_f16_e32 v26, v8
.LBB278_306:                            ;   in Loop: Header=BB278_268 Depth=1
	s_or_b64 exec, exec, s[12:13]
	v_lshrrev_b16_e32 v8, 8, v24
	v_cmp_lt_i16_e64 s[2:3], s23, v8
	s_mov_b64 s[12:13], 0
                                        ; implicit-def: $sgpr20
	s_and_saveexec_b64 s[16:17], s[2:3]
	s_xor_b64 s[16:17], exec, s[16:17]
	s_cbranch_execnz .LBB278_441
; %bb.307:                              ;   in Loop: Header=BB278_268 Depth=1
	s_or_saveexec_b64 s[16:17], s[16:17]
	v_mov_b32_e32 v28, s20
	s_xor_b64 exec, exec, s[16:17]
	s_cbranch_execnz .LBB278_444
.LBB278_308:                            ;   in Loop: Header=BB278_268 Depth=1
	s_or_b64 exec, exec, s[16:17]
	s_and_saveexec_b64 s[16:17], s[12:13]
	s_cbranch_execz .LBB278_310
.LBB278_309:                            ;   in Loop: Header=BB278_268 Depth=1
	v_and_b32_e32 v27, 7, v8
	v_ffbh_u32_e32 v28, v27
	v_min_u32_e32 v40, 32, v28
	v_subrev_u32_e32 v28, 28, v40
	v_bfe_u32 v39, v8, 3, 4
	v_lshlrev_b64 v[28:29], v28, v[8:9]
	v_sub_u32_e32 v29, 29, v40
	v_cmp_eq_u32_e64 s[2:3], 0, v39
	v_and_b32_e32 v28, 7, v28
	v_lshlrev_b32_e32 v8, 8, v8
	v_cndmask_b32_e64 v29, v39, v29, s[2:3]
	v_cndmask_b32_e64 v27, v27, v28, s[2:3]
	v_lshl_add_u32 v28, v29, 10, v3
	v_and_or_b32 v8, v8, s30, v28
	v_lshl_or_b32 v8, v27, 7, v8
	v_cvt_f32_f16_e32 v28, v8
.LBB278_310:                            ;   in Loop: Header=BB278_268 Depth=1
	s_or_b64 exec, exec, s[16:17]
	v_lshrrev_b32_e32 v8, 16, v24
	v_cmp_gt_i16_sdwa s[12:13], v8, s23 src0_sel:BYTE_0 src1_sel:DWORD
	s_mov_b64 s[2:3], 0
                                        ; implicit-def: $sgpr18
	s_and_saveexec_b64 s[16:17], s[12:13]
	s_xor_b64 s[12:13], exec, s[16:17]
	s_cbranch_execnz .LBB278_445
; %bb.311:                              ;   in Loop: Header=BB278_268 Depth=1
	s_or_saveexec_b64 s[12:13], s[12:13]
	v_mov_b32_e32 v27, s18
	s_xor_b64 exec, exec, s[12:13]
	s_cbranch_execnz .LBB278_448
.LBB278_312:                            ;   in Loop: Header=BB278_268 Depth=1
	s_or_b64 exec, exec, s[12:13]
	s_and_saveexec_b64 s[12:13], s[2:3]
	s_cbranch_execz .LBB278_314
.LBB278_313:                            ;   in Loop: Header=BB278_268 Depth=1
	v_bfe_u32 v27, v24, 16, 3
	v_ffbh_u32_e32 v39, v27
	v_bfe_u32 v29, v24, 19, 4
	v_min_u32_e32 v39, 32, v39
	v_subrev_u32_e32 v40, 28, v39
	v_sub_u32_e32 v39, 29, v39
	v_cmp_eq_u32_e64 s[2:3], 0, v29
	v_lshlrev_b64 v[40:41], v40, v[8:9]
	v_and_b32_e32 v40, 7, v40
	v_cndmask_b32_e64 v29, v29, v39, s[2:3]
	v_lshlrev_b32_e32 v8, 8, v8
	v_lshl_add_u32 v29, v29, 10, v3
	v_cndmask_b32_e64 v27, v27, v40, s[2:3]
	v_and_or_b32 v8, v8, s30, v29
	v_lshl_or_b32 v8, v27, 7, v8
	v_cvt_f32_f16_e32 v27, v8
.LBB278_314:                            ;   in Loop: Header=BB278_268 Depth=1
	s_or_b64 exec, exec, s[12:13]
	v_lshrrev_b32_e32 v8, 24, v24
	v_cmp_lt_i16_e64 s[2:3], s23, v8
	s_mov_b64 s[12:13], 0
                                        ; implicit-def: $sgpr20
	s_and_saveexec_b64 s[16:17], s[2:3]
	s_xor_b64 s[16:17], exec, s[16:17]
	s_cbranch_execnz .LBB278_449
; %bb.315:                              ;   in Loop: Header=BB278_268 Depth=1
	s_or_saveexec_b64 s[16:17], s[16:17]
	v_mov_b32_e32 v29, s20
	s_xor_b64 exec, exec, s[16:17]
	s_cbranch_execnz .LBB278_452
.LBB278_316:                            ;   in Loop: Header=BB278_268 Depth=1
	s_or_b64 exec, exec, s[16:17]
	s_and_saveexec_b64 s[16:17], s[12:13]
	s_cbranch_execz .LBB278_318
.LBB278_317:                            ;   in Loop: Header=BB278_268 Depth=1
	v_bfe_u32 v29, v24, 24, 3
	v_ffbh_u32_e32 v39, v29
	v_bfe_u32 v24, v24, 27, 4
	v_min_u32_e32 v39, 32, v39
	v_subrev_u32_e32 v40, 28, v39
	v_sub_u32_e32 v39, 29, v39
	v_cmp_eq_u32_e64 s[2:3], 0, v24
	v_lshlrev_b64 v[40:41], v40, v[8:9]
	v_and_b32_e32 v40, 7, v40
	v_cndmask_b32_e64 v24, v24, v39, s[2:3]
	v_lshlrev_b32_e32 v8, 8, v8
	v_lshl_add_u32 v24, v24, 10, v3
	v_cndmask_b32_e64 v29, v29, v40, s[2:3]
	v_and_or_b32 v8, v8, s30, v24
	v_lshl_or_b32 v8, v29, 7, v8
	v_cvt_f32_f16_e32 v29, v8
.LBB278_318:                            ;   in Loop: Header=BB278_268 Depth=1
	s_or_b64 exec, exec, s[16:17]
	v_cmp_gt_i16_sdwa s[12:13], v25, s23 src0_sel:BYTE_0 src1_sel:DWORD
	s_mov_b64 s[2:3], 0
                                        ; implicit-def: $sgpr18
	s_and_saveexec_b64 s[16:17], s[12:13]
	s_xor_b64 s[12:13], exec, s[16:17]
	s_cbranch_execnz .LBB278_453
; %bb.319:                              ;   in Loop: Header=BB278_268 Depth=1
	s_or_saveexec_b64 s[12:13], s[12:13]
	v_mov_b32_e32 v24, s18
	s_xor_b64 exec, exec, s[12:13]
	s_cbranch_execnz .LBB278_456
.LBB278_320:                            ;   in Loop: Header=BB278_268 Depth=1
	s_or_b64 exec, exec, s[12:13]
	v_mov_b32_e32 v8, v25
	s_and_saveexec_b64 s[12:13], s[2:3]
	s_cbranch_execz .LBB278_322
.LBB278_321:                            ;   in Loop: Header=BB278_268 Depth=1
	v_and_b32_e32 v24, 7, v25
	v_ffbh_u32_e32 v24, v24
	v_bfe_u32 v39, v25, 3, 4
	v_min_u32_e32 v24, 32, v24
	v_subrev_u32_e32 v40, 28, v24
	v_sub_u32_e32 v24, 29, v24
	v_cmp_eq_u32_e64 s[2:3], 0, v39
	s_nop 1
	v_cndmask_b32_e64 v24, v39, v24, s[2:3]
	v_cndmask_b32_e64 v39, 0, v40, s[2:3]
	v_lshlrev_b64 v[40:41], v39, v[8:9]
	v_lshlrev_b32_e32 v39, 7, v40
	v_lshlrev_b32_e32 v40, 8, v25
	v_lshl_add_u32 v24, v24, 10, v3
	v_and_or_b32 v24, v40, s30, v24
	v_and_or_b32 v24, v39, s31, v24
	v_cvt_f32_f16_e32 v24, v24
.LBB278_322:                            ;   in Loop: Header=BB278_268 Depth=1
	s_or_b64 exec, exec, s[12:13]
	v_lshrrev_b16_e32 v8, 8, v8
	v_cmp_lt_i16_e64 s[2:3], s23, v8
	s_mov_b64 s[12:13], 0
                                        ; implicit-def: $sgpr20
	s_and_saveexec_b64 s[16:17], s[2:3]
	s_xor_b64 s[16:17], exec, s[16:17]
	s_cbranch_execnz .LBB278_457
; %bb.323:                              ;   in Loop: Header=BB278_268 Depth=1
	s_or_saveexec_b64 s[16:17], s[16:17]
	v_mov_b32_e32 v39, s20
	s_xor_b64 exec, exec, s[16:17]
	s_cbranch_execnz .LBB278_460
.LBB278_324:                            ;   in Loop: Header=BB278_268 Depth=1
	s_or_b64 exec, exec, s[16:17]
	s_and_saveexec_b64 s[16:17], s[12:13]
	s_cbranch_execz .LBB278_326
.LBB278_325:                            ;   in Loop: Header=BB278_268 Depth=1
	v_and_b32_e32 v39, 7, v8
	v_ffbh_u32_e32 v40, v39
	v_min_u32_e32 v43, 32, v40
	v_subrev_u32_e32 v40, 28, v43
	v_bfe_u32 v42, v8, 3, 4
	v_lshlrev_b64 v[40:41], v40, v[8:9]
	v_sub_u32_e32 v41, 29, v43
	v_cmp_eq_u32_e64 s[2:3], 0, v42
	v_and_b32_e32 v40, 7, v40
	v_lshlrev_b32_e32 v8, 8, v8
	v_cndmask_b32_e64 v41, v42, v41, s[2:3]
	v_cndmask_b32_e64 v39, v39, v40, s[2:3]
	v_lshl_add_u32 v40, v41, 10, v3
	v_and_or_b32 v8, v8, s30, v40
	v_lshl_or_b32 v8, v39, 7, v8
	v_cvt_f32_f16_e32 v39, v8
.LBB278_326:                            ;   in Loop: Header=BB278_268 Depth=1
	s_or_b64 exec, exec, s[16:17]
	v_lshrrev_b32_e32 v8, 16, v25
	v_cmp_gt_i16_sdwa s[12:13], v8, s23 src0_sel:BYTE_0 src1_sel:DWORD
	s_mov_b64 s[2:3], 0
                                        ; implicit-def: $sgpr18
	s_and_saveexec_b64 s[16:17], s[12:13]
	s_xor_b64 s[12:13], exec, s[16:17]
	s_cbranch_execnz .LBB278_461
; %bb.327:                              ;   in Loop: Header=BB278_268 Depth=1
	s_or_saveexec_b64 s[12:13], s[12:13]
	v_mov_b32_e32 v40, s18
	s_xor_b64 exec, exec, s[12:13]
	s_cbranch_execnz .LBB278_464
.LBB278_328:                            ;   in Loop: Header=BB278_268 Depth=1
	s_or_b64 exec, exec, s[12:13]
	s_and_saveexec_b64 s[12:13], s[2:3]
	s_cbranch_execz .LBB278_330
.LBB278_329:                            ;   in Loop: Header=BB278_268 Depth=1
	v_bfe_u32 v42, v25, 16, 3
	v_ffbh_u32_e32 v40, v42
	v_min_u32_e32 v44, 32, v40
	v_subrev_u32_e32 v40, 28, v44
	v_bfe_u32 v43, v25, 19, 4
	v_lshlrev_b64 v[40:41], v40, v[8:9]
	v_sub_u32_e32 v41, 29, v44
	v_cmp_eq_u32_e64 s[2:3], 0, v43
	v_and_b32_e32 v40, 7, v40
	v_lshlrev_b32_e32 v8, 8, v8
	v_cndmask_b32_e64 v41, v43, v41, s[2:3]
	v_lshl_add_u32 v41, v41, 10, v3
	v_cndmask_b32_e64 v40, v42, v40, s[2:3]
	v_and_or_b32 v8, v8, s30, v41
	v_lshl_or_b32 v8, v40, 7, v8
	v_cvt_f32_f16_e32 v40, v8
.LBB278_330:                            ;   in Loop: Header=BB278_268 Depth=1
	s_or_b64 exec, exec, s[12:13]
	v_lshrrev_b32_e32 v8, 24, v25
	v_cmp_lt_i16_e64 s[2:3], s23, v8
	s_mov_b64 s[12:13], 0
                                        ; implicit-def: $sgpr20
	s_and_saveexec_b64 s[16:17], s[2:3]
	s_xor_b64 s[16:17], exec, s[16:17]
	s_cbranch_execnz .LBB278_465
; %bb.331:                              ;   in Loop: Header=BB278_268 Depth=1
	s_or_saveexec_b64 s[16:17], s[16:17]
	v_mov_b32_e32 v41, s20
	s_xor_b64 exec, exec, s[16:17]
	s_cbranch_execnz .LBB278_468
.LBB278_332:                            ;   in Loop: Header=BB278_268 Depth=1
	s_or_b64 exec, exec, s[16:17]
	s_and_saveexec_b64 s[16:17], s[12:13]
	s_cbranch_execz .LBB278_334
.LBB278_333:                            ;   in Loop: Header=BB278_268 Depth=1
	v_bfe_u32 v41, v25, 24, 3
	v_ffbh_u32_e32 v42, v41
	v_min_u32_e32 v44, 32, v42
	v_subrev_u32_e32 v42, 28, v44
	v_bfe_u32 v25, v25, 27, 4
	v_lshlrev_b64 v[42:43], v42, v[8:9]
	v_sub_u32_e32 v43, 29, v44
	v_cmp_eq_u32_e64 s[2:3], 0, v25
	v_and_b32_e32 v42, 7, v42
	v_lshlrev_b32_e32 v8, 8, v8
	v_cndmask_b32_e64 v25, v25, v43, s[2:3]
	v_lshl_add_u32 v25, v25, 10, v3
	v_cndmask_b32_e64 v41, v41, v42, s[2:3]
	v_and_or_b32 v8, v8, s30, v25
	v_lshl_or_b32 v8, v41, 7, v8
	v_cvt_f32_f16_e32 v41, v8
.LBB278_334:                            ;   in Loop: Header=BB278_268 Depth=1
	s_or_b64 exec, exec, s[16:17]
	s_waitcnt vmcnt(0)
	v_pk_mul_f32 v[28:29], v[22:23], v[28:29] op_sel_hi:[0,1]
	v_pk_mul_f32 v[26:27], v[22:23], v[26:27] op_sel_hi:[0,1]
	v_cvt_f16_f32_e32 v8, v29
	v_cvt_f16_f32_e32 v25, v28
	v_cvt_f16_f32_e32 v27, v27
	v_cvt_f16_f32_e32 v26, v26
	v_fma_mixlo_f16 v24, v22, v24, 0
	v_pack_b32_f16 v25, v25, v8
	v_pack_b32_f16 v26, v26, v27
	v_perm_b32 v8, v26, v25, s34
	v_perm_b32 v25, v26, v25, s35
	v_fma_mixlo_f16 v26, v22, v39, 0
	v_lshlrev_b32_e32 v26, 16, v26
	v_or_b32_sdwa v24, v26, v24 dst_sel:DWORD dst_unused:UNUSED_PAD src0_sel:DWORD src1_sel:WORD_0
	v_fma_mixlo_f16 v26, v22, v40, 0
	v_fma_mixlo_f16 v22, v22, v41, 0
	v_lshlrev_b32_e32 v22, 16, v22
	v_or_b32_sdwa v22, v22, v26 dst_sel:DWORD dst_unused:UNUSED_PAD src0_sel:DWORD src1_sel:WORD_0
	s_and_saveexec_b64 s[12:13], s[0:1]
	s_cbranch_execz .LBB278_336
; %bb.335:                              ;   in Loop: Header=BB278_268 Depth=1
	v_add_u32_e32 v27, 1, v32
	v_lshrrev_b32_e32 v28, 16, v25
	v_cmp_gt_i32_e64 s[2:3], s22, v27
	v_lshrrev_b32_e32 v29, 16, v8
	v_lshrrev_b32_e32 v22, 16, v22
	v_cndmask_b32_e64 v27, 0, v28, s[2:3]
	v_cmp_gt_i32_e64 s[2:3], s29, v32
	v_or_b32_e32 v28, 2, v32
	s_nop 0
	v_cndmask_b32_e64 v25, 0, v25, s[2:3]
	v_perm_b32 v25, v27, v25, s36
	v_or_b32_e32 v27, 3, v32
	v_cmp_gt_i32_e64 s[2:3], s22, v27
	s_nop 1
	v_cndmask_b32_e64 v27, 0, v29, s[2:3]
	v_cmp_gt_i32_e64 s[2:3], s29, v28
	v_or_b32_e32 v28, 4, v32
	v_lshrrev_b32_e32 v29, 16, v24
	v_cndmask_b32_e64 v8, 0, v8, s[2:3]
	v_perm_b32 v8, v27, v8, s36
	v_or_b32_e32 v27, 5, v32
	v_cmp_gt_i32_e64 s[2:3], s22, v27
	s_nop 1
	v_cndmask_b32_e64 v27, 0, v29, s[2:3]
	v_cmp_gt_i32_e64 s[2:3], s29, v28
	v_or_b32_e32 v28, 6, v32
	s_nop 0
	v_cndmask_b32_e64 v24, 0, v24, s[2:3]
	v_perm_b32 v24, v27, v24, s36
	v_or_b32_e32 v27, 7, v32
	v_cmp_gt_i32_e64 s[2:3], s22, v27
	s_nop 1
	v_cndmask_b32_e64 v22, 0, v22, s[2:3]
	v_cmp_gt_i32_e64 s[2:3], s29, v28
	s_nop 1
	v_cndmask_b32_e64 v26, 0, v26, s[2:3]
	v_perm_b32 v22, v22, v26, s36
.LBB278_336:                            ;   in Loop: Header=BB278_268 Depth=1
	s_or_b64 exec, exec, s[12:13]
	;;#ASMSTART
	v_pk_mul_f16 v25, v37, v25;

	;;#ASMEND
	;;#ASMSTART
	v_pk_mul_f16 v8, v36, v8;

	;;#ASMEND
	;; [unrolled: 4-line block ×4, first 2 shown]
	s_mov_b64 s[2:3], 0
	;;#ASMSTART
	v_pk_add_f16 v8, v25, v8;

	;;#ASMEND
                                        ; implicit-def: $sgpr18
	s_nop 0
	;;#ASMSTART
	v_pk_add_f16 v8, v8, v24;

	;;#ASMEND
	s_nop 0
	;;#ASMSTART
	v_pk_add_f16 v8, v8, v22;

	;;#ASMEND
	s_nop 0
	v_lshrrev_b32_e32 v22, 16, v8
	v_and_b32_e32 v8, 0xffff, v8
	;;#ASMSTART
	v_cvt_f32_f16 v28, v8;
	;;#ASMEND
	;;#ASMSTART
	v_cvt_f32_f16 v29, v22;
	;;#ASMEND
	global_load_dwordx2 v[24:25], v[20:21], off offset:1024
	global_load_dword v22, v9, s[14:15]
	s_waitcnt vmcnt(1)
	v_cmp_gt_i16_sdwa s[12:13], v24, s23 src0_sel:BYTE_0 src1_sel:DWORD
	s_and_saveexec_b64 s[16:17], s[12:13]
	s_xor_b64 s[12:13], exec, s[16:17]
	s_cbranch_execnz .LBB278_469
; %bb.337:                              ;   in Loop: Header=BB278_268 Depth=1
	s_or_saveexec_b64 s[12:13], s[12:13]
	v_mov_b32_e32 v20, s18
	s_xor_b64 exec, exec, s[12:13]
	s_cbranch_execnz .LBB278_472
.LBB278_338:                            ;   in Loop: Header=BB278_268 Depth=1
	s_or_b64 exec, exec, s[12:13]
	s_and_saveexec_b64 s[12:13], s[2:3]
	s_cbranch_execz .LBB278_340
.LBB278_339:                            ;   in Loop: Header=BB278_268 Depth=1
	v_and_b32_e32 v8, 7, v24
	v_ffbh_u32_e32 v8, v8
	v_bfe_u32 v20, v24, 3, 4
	v_min_u32_e32 v8, 32, v8
	v_subrev_u32_e32 v21, 28, v8
	v_sub_u32_e32 v8, 29, v8
	v_cmp_eq_u32_e64 s[2:3], 0, v20
	s_nop 1
	v_cndmask_b32_e64 v8, v20, v8, s[2:3]
	v_cndmask_b32_e64 v20, 0, v21, s[2:3]
	v_lshlrev_b64 v[20:21], v20, v[24:25]
	v_lshlrev_b32_e32 v21, 8, v24
	v_lshl_add_u32 v8, v8, 10, v3
	v_lshlrev_b32_e32 v20, 7, v20
	v_and_or_b32 v8, v21, s30, v8
	v_and_or_b32 v8, v20, s31, v8
	v_cvt_f32_f16_e32 v20, v8
.LBB278_340:                            ;   in Loop: Header=BB278_268 Depth=1
	s_or_b64 exec, exec, s[12:13]
	v_lshrrev_b16_e32 v8, 8, v24
	v_cmp_lt_i16_e64 s[2:3], s23, v8
	s_mov_b64 s[12:13], 0
                                        ; implicit-def: $sgpr20
	s_and_saveexec_b64 s[16:17], s[2:3]
	s_xor_b64 s[16:17], exec, s[16:17]
	s_cbranch_execnz .LBB278_473
; %bb.341:                              ;   in Loop: Header=BB278_268 Depth=1
	s_or_saveexec_b64 s[16:17], s[16:17]
	v_mov_b32_e32 v26, s20
	s_xor_b64 exec, exec, s[16:17]
	s_cbranch_execnz .LBB278_476
.LBB278_342:                            ;   in Loop: Header=BB278_268 Depth=1
	s_or_b64 exec, exec, s[16:17]
	s_and_saveexec_b64 s[16:17], s[12:13]
	s_cbranch_execz .LBB278_344
.LBB278_343:                            ;   in Loop: Header=BB278_268 Depth=1
	v_and_b32_e32 v21, 7, v8
	v_ffbh_u32_e32 v26, v21
	v_min_u32_e32 v40, 32, v26
	v_subrev_u32_e32 v26, 28, v40
	v_bfe_u32 v39, v8, 3, 4
	v_lshlrev_b64 v[26:27], v26, v[8:9]
	v_sub_u32_e32 v27, 29, v40
	v_cmp_eq_u32_e64 s[2:3], 0, v39
	v_and_b32_e32 v26, 7, v26
	v_lshlrev_b32_e32 v8, 8, v8
	v_cndmask_b32_e64 v27, v39, v27, s[2:3]
	v_cndmask_b32_e64 v21, v21, v26, s[2:3]
	v_lshl_add_u32 v26, v27, 10, v3
	v_and_or_b32 v8, v8, s30, v26
	v_lshl_or_b32 v8, v21, 7, v8
	v_cvt_f32_f16_e32 v26, v8
.LBB278_344:                            ;   in Loop: Header=BB278_268 Depth=1
	s_or_b64 exec, exec, s[16:17]
	v_lshrrev_b32_e32 v8, 16, v24
	v_cmp_gt_i16_sdwa s[12:13], v8, s23 src0_sel:BYTE_0 src1_sel:DWORD
	s_mov_b64 s[2:3], 0
                                        ; implicit-def: $sgpr18
	s_and_saveexec_b64 s[16:17], s[12:13]
	s_xor_b64 s[12:13], exec, s[16:17]
	s_cbranch_execnz .LBB278_477
; %bb.345:                              ;   in Loop: Header=BB278_268 Depth=1
	s_or_saveexec_b64 s[12:13], s[12:13]
	v_mov_b32_e32 v21, s18
	s_xor_b64 exec, exec, s[12:13]
	s_cbranch_execnz .LBB278_480
.LBB278_346:                            ;   in Loop: Header=BB278_268 Depth=1
	s_or_b64 exec, exec, s[12:13]
	s_and_saveexec_b64 s[12:13], s[2:3]
	s_cbranch_execz .LBB278_348
.LBB278_347:                            ;   in Loop: Header=BB278_268 Depth=1
	v_bfe_u32 v21, v24, 16, 3
	v_ffbh_u32_e32 v39, v21
	v_bfe_u32 v27, v24, 19, 4
	v_min_u32_e32 v39, 32, v39
	v_subrev_u32_e32 v40, 28, v39
	v_sub_u32_e32 v39, 29, v39
	v_cmp_eq_u32_e64 s[2:3], 0, v27
	v_lshlrev_b64 v[40:41], v40, v[8:9]
	v_and_b32_e32 v40, 7, v40
	v_cndmask_b32_e64 v27, v27, v39, s[2:3]
	v_lshlrev_b32_e32 v8, 8, v8
	v_lshl_add_u32 v27, v27, 10, v3
	v_cndmask_b32_e64 v21, v21, v40, s[2:3]
	v_and_or_b32 v8, v8, s30, v27
	v_lshl_or_b32 v8, v21, 7, v8
	v_cvt_f32_f16_e32 v21, v8
.LBB278_348:                            ;   in Loop: Header=BB278_268 Depth=1
	s_or_b64 exec, exec, s[12:13]
	v_lshrrev_b32_e32 v8, 24, v24
	v_cmp_lt_i16_e64 s[2:3], s23, v8
	s_mov_b64 s[12:13], 0
                                        ; implicit-def: $sgpr20
	s_and_saveexec_b64 s[16:17], s[2:3]
	s_xor_b64 s[16:17], exec, s[16:17]
	s_cbranch_execnz .LBB278_481
; %bb.349:                              ;   in Loop: Header=BB278_268 Depth=1
	s_or_saveexec_b64 s[16:17], s[16:17]
	v_mov_b32_e32 v27, s20
	s_xor_b64 exec, exec, s[16:17]
	s_cbranch_execnz .LBB278_484
.LBB278_350:                            ;   in Loop: Header=BB278_268 Depth=1
	s_or_b64 exec, exec, s[16:17]
	s_and_saveexec_b64 s[16:17], s[12:13]
	s_cbranch_execz .LBB278_352
.LBB278_351:                            ;   in Loop: Header=BB278_268 Depth=1
	v_bfe_u32 v27, v24, 24, 3
	v_ffbh_u32_e32 v39, v27
	v_bfe_u32 v24, v24, 27, 4
	v_min_u32_e32 v39, 32, v39
	v_subrev_u32_e32 v40, 28, v39
	v_sub_u32_e32 v39, 29, v39
	v_cmp_eq_u32_e64 s[2:3], 0, v24
	v_lshlrev_b64 v[40:41], v40, v[8:9]
	v_and_b32_e32 v40, 7, v40
	v_cndmask_b32_e64 v24, v24, v39, s[2:3]
	v_lshlrev_b32_e32 v8, 8, v8
	v_lshl_add_u32 v24, v24, 10, v3
	v_cndmask_b32_e64 v27, v27, v40, s[2:3]
	v_and_or_b32 v8, v8, s30, v24
	v_lshl_or_b32 v8, v27, 7, v8
	v_cvt_f32_f16_e32 v27, v8
.LBB278_352:                            ;   in Loop: Header=BB278_268 Depth=1
	s_or_b64 exec, exec, s[16:17]
	v_cmp_gt_i16_sdwa s[12:13], v25, s23 src0_sel:BYTE_0 src1_sel:DWORD
	s_mov_b64 s[2:3], 0
                                        ; implicit-def: $sgpr18
	s_and_saveexec_b64 s[16:17], s[12:13]
	s_xor_b64 s[12:13], exec, s[16:17]
	s_cbranch_execnz .LBB278_485
; %bb.353:                              ;   in Loop: Header=BB278_268 Depth=1
	s_or_saveexec_b64 s[12:13], s[12:13]
	v_mov_b32_e32 v24, s18
	s_xor_b64 exec, exec, s[12:13]
	s_cbranch_execnz .LBB278_488
.LBB278_354:                            ;   in Loop: Header=BB278_268 Depth=1
	s_or_b64 exec, exec, s[12:13]
	v_mov_b32_e32 v8, v25
	s_and_saveexec_b64 s[12:13], s[2:3]
	s_cbranch_execz .LBB278_356
.LBB278_355:                            ;   in Loop: Header=BB278_268 Depth=1
	v_and_b32_e32 v24, 7, v25
	v_ffbh_u32_e32 v24, v24
	v_bfe_u32 v39, v25, 3, 4
	v_min_u32_e32 v24, 32, v24
	v_subrev_u32_e32 v40, 28, v24
	v_sub_u32_e32 v24, 29, v24
	v_cmp_eq_u32_e64 s[2:3], 0, v39
	s_nop 1
	v_cndmask_b32_e64 v24, v39, v24, s[2:3]
	v_cndmask_b32_e64 v39, 0, v40, s[2:3]
	v_lshlrev_b64 v[40:41], v39, v[8:9]
	v_lshlrev_b32_e32 v39, 7, v40
	v_lshlrev_b32_e32 v40, 8, v25
	v_lshl_add_u32 v24, v24, 10, v3
	v_and_or_b32 v24, v40, s30, v24
	v_and_or_b32 v24, v39, s31, v24
	v_cvt_f32_f16_e32 v24, v24
.LBB278_356:                            ;   in Loop: Header=BB278_268 Depth=1
	s_or_b64 exec, exec, s[12:13]
	v_lshrrev_b16_e32 v8, 8, v8
	v_cmp_lt_i16_e64 s[2:3], s23, v8
	s_mov_b64 s[12:13], 0
                                        ; implicit-def: $sgpr20
	s_and_saveexec_b64 s[16:17], s[2:3]
	s_xor_b64 s[16:17], exec, s[16:17]
	s_cbranch_execnz .LBB278_489
; %bb.357:                              ;   in Loop: Header=BB278_268 Depth=1
	s_or_saveexec_b64 s[16:17], s[16:17]
	v_mov_b32_e32 v39, s20
	s_xor_b64 exec, exec, s[16:17]
	s_cbranch_execnz .LBB278_492
.LBB278_358:                            ;   in Loop: Header=BB278_268 Depth=1
	s_or_b64 exec, exec, s[16:17]
	s_and_saveexec_b64 s[16:17], s[12:13]
	s_cbranch_execz .LBB278_360
.LBB278_359:                            ;   in Loop: Header=BB278_268 Depth=1
	v_and_b32_e32 v39, 7, v8
	v_ffbh_u32_e32 v40, v39
	v_min_u32_e32 v43, 32, v40
	v_subrev_u32_e32 v40, 28, v43
	v_bfe_u32 v42, v8, 3, 4
	v_lshlrev_b64 v[40:41], v40, v[8:9]
	v_sub_u32_e32 v41, 29, v43
	v_cmp_eq_u32_e64 s[2:3], 0, v42
	v_and_b32_e32 v40, 7, v40
	v_lshlrev_b32_e32 v8, 8, v8
	v_cndmask_b32_e64 v41, v42, v41, s[2:3]
	v_cndmask_b32_e64 v39, v39, v40, s[2:3]
	v_lshl_add_u32 v40, v41, 10, v3
	v_and_or_b32 v8, v8, s30, v40
	v_lshl_or_b32 v8, v39, 7, v8
	v_cvt_f32_f16_e32 v39, v8
.LBB278_360:                            ;   in Loop: Header=BB278_268 Depth=1
	s_or_b64 exec, exec, s[16:17]
	v_lshrrev_b32_e32 v8, 16, v25
	v_cmp_gt_i16_sdwa s[12:13], v8, s23 src0_sel:BYTE_0 src1_sel:DWORD
	s_mov_b64 s[2:3], 0
                                        ; implicit-def: $sgpr18
	s_and_saveexec_b64 s[16:17], s[12:13]
	s_xor_b64 s[12:13], exec, s[16:17]
	s_cbranch_execnz .LBB278_493
; %bb.361:                              ;   in Loop: Header=BB278_268 Depth=1
	s_or_saveexec_b64 s[12:13], s[12:13]
	v_mov_b32_e32 v40, s18
	s_xor_b64 exec, exec, s[12:13]
	s_cbranch_execnz .LBB278_496
.LBB278_362:                            ;   in Loop: Header=BB278_268 Depth=1
	s_or_b64 exec, exec, s[12:13]
	s_and_saveexec_b64 s[12:13], s[2:3]
	s_cbranch_execz .LBB278_364
.LBB278_363:                            ;   in Loop: Header=BB278_268 Depth=1
	v_bfe_u32 v42, v25, 16, 3
	v_ffbh_u32_e32 v40, v42
	v_min_u32_e32 v44, 32, v40
	v_subrev_u32_e32 v40, 28, v44
	v_bfe_u32 v43, v25, 19, 4
	v_lshlrev_b64 v[40:41], v40, v[8:9]
	v_sub_u32_e32 v41, 29, v44
	v_cmp_eq_u32_e64 s[2:3], 0, v43
	v_and_b32_e32 v40, 7, v40
	v_lshlrev_b32_e32 v8, 8, v8
	v_cndmask_b32_e64 v41, v43, v41, s[2:3]
	v_lshl_add_u32 v41, v41, 10, v3
	v_cndmask_b32_e64 v40, v42, v40, s[2:3]
	v_and_or_b32 v8, v8, s30, v41
	v_lshl_or_b32 v8, v40, 7, v8
	v_cvt_f32_f16_e32 v40, v8
.LBB278_364:                            ;   in Loop: Header=BB278_268 Depth=1
	s_or_b64 exec, exec, s[12:13]
	v_lshrrev_b32_e32 v8, 24, v25
	v_cmp_lt_i16_e64 s[2:3], s23, v8
	s_mov_b64 s[12:13], 0
                                        ; implicit-def: $sgpr20
	s_and_saveexec_b64 s[16:17], s[2:3]
	s_xor_b64 s[16:17], exec, s[16:17]
	s_cbranch_execnz .LBB278_497
; %bb.365:                              ;   in Loop: Header=BB278_268 Depth=1
	s_or_saveexec_b64 s[16:17], s[16:17]
	v_mov_b32_e32 v41, s20
	s_xor_b64 exec, exec, s[16:17]
	s_cbranch_execnz .LBB278_500
.LBB278_366:                            ;   in Loop: Header=BB278_268 Depth=1
	s_or_b64 exec, exec, s[16:17]
	s_and_saveexec_b64 s[16:17], s[12:13]
	s_cbranch_execz .LBB278_368
.LBB278_367:                            ;   in Loop: Header=BB278_268 Depth=1
	v_bfe_u32 v41, v25, 24, 3
	v_ffbh_u32_e32 v42, v41
	v_min_u32_e32 v44, 32, v42
	v_subrev_u32_e32 v42, 28, v44
	v_bfe_u32 v25, v25, 27, 4
	v_lshlrev_b64 v[42:43], v42, v[8:9]
	v_sub_u32_e32 v43, 29, v44
	v_cmp_eq_u32_e64 s[2:3], 0, v25
	v_and_b32_e32 v42, 7, v42
	v_lshlrev_b32_e32 v8, 8, v8
	v_cndmask_b32_e64 v25, v25, v43, s[2:3]
	v_lshl_add_u32 v25, v25, 10, v3
	v_cndmask_b32_e64 v41, v41, v42, s[2:3]
	v_and_or_b32 v8, v8, s30, v25
	v_lshl_or_b32 v8, v41, 7, v8
	v_cvt_f32_f16_e32 v41, v8
.LBB278_368:                            ;   in Loop: Header=BB278_268 Depth=1
	s_or_b64 exec, exec, s[16:17]
	s_waitcnt vmcnt(0)
	v_pk_mul_f32 v[20:21], v[22:23], v[20:21] op_sel_hi:[0,1]
	v_cvt_f16_f32_e32 v21, v21
	v_cvt_f16_f32_e32 v20, v20
	v_pk_mul_f32 v[26:27], v[22:23], v[26:27] op_sel_hi:[0,1]
	v_cvt_f16_f32_e32 v8, v27
	v_cvt_f16_f32_e32 v25, v26
	v_pack_b32_f16 v20, v20, v21
	v_fma_mixlo_f16 v21, v22, v39, 0
	v_lshlrev_b32_e32 v21, 16, v21
	v_fma_mixlo_f16 v24, v22, v24, 0
	v_or_b32_sdwa v21, v21, v24 dst_sel:DWORD dst_unused:UNUSED_PAD src0_sel:DWORD src1_sel:WORD_0
	v_fma_mixlo_f16 v24, v22, v40, 0
	v_fma_mixlo_f16 v22, v22, v41, 0
	v_pack_b32_f16 v25, v25, v8
	v_lshlrev_b32_e32 v22, 16, v22
	v_perm_b32 v8, v20, v25, s34
	v_perm_b32 v20, v20, v25, s35
	v_or_b32_sdwa v22, v22, v24 dst_sel:DWORD dst_unused:UNUSED_PAD src0_sel:DWORD src1_sel:WORD_0
	s_and_saveexec_b64 s[12:13], s[0:1]
	s_cbranch_execz .LBB278_370
; %bb.369:                              ;   in Loop: Header=BB278_268 Depth=1
	v_add_u32_e32 v25, 1, v32
	v_lshrrev_b32_e32 v26, 16, v20
	v_cmp_gt_i32_e64 s[2:3], s22, v25
	v_lshrrev_b32_e32 v27, 16, v8
	v_lshrrev_b32_e32 v22, 16, v22
	v_cndmask_b32_e64 v25, 0, v26, s[2:3]
	v_cmp_gt_i32_e64 s[2:3], s29, v32
	v_or_b32_e32 v26, 2, v32
	s_nop 0
	v_cndmask_b32_e64 v20, 0, v20, s[2:3]
	v_perm_b32 v20, v25, v20, s36
	v_or_b32_e32 v25, 3, v32
	v_cmp_gt_i32_e64 s[2:3], s22, v25
	s_nop 1
	v_cndmask_b32_e64 v25, 0, v27, s[2:3]
	v_cmp_gt_i32_e64 s[2:3], s29, v26
	v_or_b32_e32 v26, 4, v32
	v_lshrrev_b32_e32 v27, 16, v21
	v_cndmask_b32_e64 v8, 0, v8, s[2:3]
	v_perm_b32 v8, v25, v8, s36
	v_or_b32_e32 v25, 5, v32
	v_cmp_gt_i32_e64 s[2:3], s22, v25
	s_nop 1
	v_cndmask_b32_e64 v25, 0, v27, s[2:3]
	v_cmp_gt_i32_e64 s[2:3], s29, v26
	v_or_b32_e32 v26, 6, v32
	s_nop 0
	v_cndmask_b32_e64 v21, 0, v21, s[2:3]
	v_perm_b32 v21, v25, v21, s36
	v_or_b32_e32 v25, 7, v32
	v_cmp_gt_i32_e64 s[2:3], s22, v25
	s_nop 1
	v_cndmask_b32_e64 v22, 0, v22, s[2:3]
	v_cmp_gt_i32_e64 s[2:3], s29, v26
	s_nop 1
	v_cndmask_b32_e64 v24, 0, v24, s[2:3]
	v_perm_b32 v22, v22, v24, s36
.LBB278_370:                            ;   in Loop: Header=BB278_268 Depth=1
	s_or_b64 exec, exec, s[12:13]
	;;#ASMSTART
	v_pk_mul_f16 v20, v37, v20;

	;;#ASMEND
	;;#ASMSTART
	v_pk_mul_f16 v8, v36, v8;

	;;#ASMEND
	;; [unrolled: 4-line block ×4, first 2 shown]
	v_add_f32_e32 v23, v23, v38
	;;#ASMSTART
	v_pk_add_f16 v8, v20, v8;

	;;#ASMEND
	v_add_f32_e32 v12, v12, v23
	;;#ASMSTART
	v_pk_add_f16 v8, v8, v21;

	;;#ASMEND
	;; [unrolled: 5-line block ×3, first 2 shown]
	v_add_f32_e32 v13, v13, v23
	v_lshrrev_b32_e32 v20, 16, v8
	v_and_b32_e32 v8, 0xffff, v8
	;;#ASMSTART
	v_cvt_f32_f16 v8, v8;
	;;#ASMEND
	;;#ASMSTART
	v_cvt_f32_f16 v20, v20;
	;;#ASMEND
	s_nop 0
	v_add_f32_e32 v8, v8, v20
	v_add_f32_e32 v6, v6, v8
	s_and_saveexec_b64 s[12:13], vcc
	s_cbranch_execz .LBB278_267
; %bb.371:                              ;   in Loop: Header=BB278_268 Depth=1
	v_lshl_add_u64 v[22:23], v[18:19], 0, v[10:11]
	global_load_dwordx2 v[20:21], v[22:23], off
	global_load_dword v18, v9, s[14:15]
	s_mov_b64 s[2:3], 0
                                        ; implicit-def: $sgpr20
	s_waitcnt vmcnt(1)
	v_cmp_gt_i16_sdwa s[16:17], v20, s23 src0_sel:BYTE_0 src1_sel:DWORD
	s_and_saveexec_b64 s[18:19], s[16:17]
	s_xor_b64 s[16:17], exec, s[18:19]
	s_cbranch_execnz .LBB278_501
; %bb.372:                              ;   in Loop: Header=BB278_268 Depth=1
	s_or_saveexec_b64 s[16:17], s[16:17]
	v_mov_b32_e32 v22, s20
	s_xor_b64 exec, exec, s[16:17]
	s_cbranch_execnz .LBB278_504
.LBB278_373:                            ;   in Loop: Header=BB278_268 Depth=1
	s_or_b64 exec, exec, s[16:17]
	s_and_saveexec_b64 s[16:17], s[2:3]
	s_cbranch_execz .LBB278_375
.LBB278_374:                            ;   in Loop: Header=BB278_268 Depth=1
	v_and_b32_e32 v8, 7, v20
	v_ffbh_u32_e32 v8, v8
	v_bfe_u32 v19, v20, 3, 4
	v_min_u32_e32 v8, 32, v8
	v_subrev_u32_e32 v22, 28, v8
	v_sub_u32_e32 v8, 29, v8
	v_cmp_eq_u32_e64 s[2:3], 0, v19
	s_nop 1
	v_cndmask_b32_e64 v8, v19, v8, s[2:3]
	v_cndmask_b32_e64 v19, 0, v22, s[2:3]
	v_lshlrev_b64 v[22:23], v19, v[20:21]
	v_lshlrev_b32_e32 v19, 7, v22
	v_lshlrev_b32_e32 v22, 8, v20
	v_lshl_add_u32 v8, v8, 10, v3
	v_and_or_b32 v8, v22, s30, v8
	v_and_or_b32 v8, v19, s31, v8
	v_cvt_f32_f16_e32 v22, v8
.LBB278_375:                            ;   in Loop: Header=BB278_268 Depth=1
	s_or_b64 exec, exec, s[16:17]
	v_lshrrev_b16_e32 v8, 8, v20
	v_cmp_lt_i16_e64 s[2:3], s23, v8
	s_mov_b64 s[16:17], 0
                                        ; implicit-def: $sgpr37
	s_and_saveexec_b64 s[18:19], s[2:3]
	s_xor_b64 s[18:19], exec, s[18:19]
	s_cbranch_execnz .LBB278_505
; %bb.376:                              ;   in Loop: Header=BB278_268 Depth=1
	s_or_saveexec_b64 s[18:19], s[18:19]
	v_mov_b32_e32 v24, s37
	s_xor_b64 exec, exec, s[18:19]
	s_cbranch_execnz .LBB278_508
.LBB278_377:                            ;   in Loop: Header=BB278_268 Depth=1
	s_or_b64 exec, exec, s[18:19]
	s_and_saveexec_b64 s[18:19], s[16:17]
	s_cbranch_execz .LBB278_379
.LBB278_378:                            ;   in Loop: Header=BB278_268 Depth=1
	v_and_b32_e32 v19, 7, v8
	v_ffbh_u32_e32 v24, v19
	v_min_u32_e32 v26, 32, v24
	v_subrev_u32_e32 v24, 28, v26
	v_bfe_u32 v23, v8, 3, 4
	v_lshlrev_b64 v[24:25], v24, v[8:9]
	v_sub_u32_e32 v25, 29, v26
	v_cmp_eq_u32_e64 s[2:3], 0, v23
	v_and_b32_e32 v24, 7, v24
	v_lshlrev_b32_e32 v8, 8, v8
	v_cndmask_b32_e64 v23, v23, v25, s[2:3]
	v_lshl_add_u32 v23, v23, 10, v3
	v_cndmask_b32_e64 v19, v19, v24, s[2:3]
	v_and_or_b32 v8, v8, s30, v23
	v_lshl_or_b32 v8, v19, 7, v8
	v_cvt_f32_f16_e32 v24, v8
.LBB278_379:                            ;   in Loop: Header=BB278_268 Depth=1
	s_or_b64 exec, exec, s[18:19]
	v_lshrrev_b32_e32 v8, 16, v20
	v_cmp_gt_i16_sdwa s[16:17], v8, s23 src0_sel:BYTE_0 src1_sel:DWORD
	s_mov_b64 s[2:3], 0
                                        ; implicit-def: $sgpr20
	s_and_saveexec_b64 s[18:19], s[16:17]
	s_xor_b64 s[16:17], exec, s[18:19]
	s_cbranch_execnz .LBB278_509
; %bb.380:                              ;   in Loop: Header=BB278_268 Depth=1
	s_or_saveexec_b64 s[16:17], s[16:17]
	v_mov_b32_e32 v23, s20
	s_xor_b64 exec, exec, s[16:17]
	s_cbranch_execnz .LBB278_512
.LBB278_381:                            ;   in Loop: Header=BB278_268 Depth=1
	s_or_b64 exec, exec, s[16:17]
	s_and_saveexec_b64 s[16:17], s[2:3]
	s_cbranch_execz .LBB278_383
.LBB278_382:                            ;   in Loop: Header=BB278_268 Depth=1
	v_bfe_u32 v19, v20, 16, 3
	v_ffbh_u32_e32 v25, v19
	v_bfe_u32 v23, v20, 19, 4
	v_min_u32_e32 v25, 32, v25
	v_subrev_u32_e32 v26, 28, v25
	v_sub_u32_e32 v25, 29, v25
	v_cmp_eq_u32_e64 s[2:3], 0, v23
	v_lshlrev_b64 v[26:27], v26, v[8:9]
	v_and_b32_e32 v26, 7, v26
	v_cndmask_b32_e64 v23, v23, v25, s[2:3]
	v_lshlrev_b32_e32 v8, 8, v8
	v_lshl_add_u32 v23, v23, 10, v3
	v_cndmask_b32_e64 v19, v19, v26, s[2:3]
	v_and_or_b32 v8, v8, s30, v23
	v_lshl_or_b32 v8, v19, 7, v8
	v_cvt_f32_f16_e32 v23, v8
.LBB278_383:                            ;   in Loop: Header=BB278_268 Depth=1
	s_or_b64 exec, exec, s[16:17]
	v_lshrrev_b32_e32 v8, 24, v20
	v_cmp_lt_i16_e64 s[2:3], s23, v8
	s_mov_b64 s[16:17], 0
                                        ; implicit-def: $sgpr37
	s_and_saveexec_b64 s[18:19], s[2:3]
	s_xor_b64 s[18:19], exec, s[18:19]
	s_cbranch_execnz .LBB278_513
; %bb.384:                              ;   in Loop: Header=BB278_268 Depth=1
	s_or_saveexec_b64 s[18:19], s[18:19]
	v_mov_b32_e32 v25, s37
	s_xor_b64 exec, exec, s[18:19]
	s_cbranch_execnz .LBB278_516
.LBB278_385:                            ;   in Loop: Header=BB278_268 Depth=1
	s_or_b64 exec, exec, s[18:19]
	s_and_saveexec_b64 s[18:19], s[16:17]
	s_cbranch_execz .LBB278_387
.LBB278_386:                            ;   in Loop: Header=BB278_268 Depth=1
	v_bfe_u32 v19, v20, 24, 3
	v_ffbh_u32_e32 v25, v19
	v_bfe_u32 v20, v20, 27, 4
	v_min_u32_e32 v25, 32, v25
	v_subrev_u32_e32 v26, 28, v25
	v_sub_u32_e32 v25, 29, v25
	v_cmp_eq_u32_e64 s[2:3], 0, v20
	v_lshlrev_b64 v[26:27], v26, v[8:9]
	v_and_b32_e32 v26, 7, v26
	v_cndmask_b32_e64 v20, v20, v25, s[2:3]
	v_lshlrev_b32_e32 v8, 8, v8
	v_lshl_add_u32 v20, v20, 10, v3
	v_cndmask_b32_e64 v19, v19, v26, s[2:3]
	v_and_or_b32 v8, v8, s30, v20
	v_lshl_or_b32 v8, v19, 7, v8
	v_cvt_f32_f16_e32 v25, v8
.LBB278_387:                            ;   in Loop: Header=BB278_268 Depth=1
	s_or_b64 exec, exec, s[18:19]
	v_cmp_gt_i16_sdwa s[16:17], v21, s23 src0_sel:BYTE_0 src1_sel:DWORD
	s_mov_b64 s[2:3], 0
                                        ; implicit-def: $sgpr20
	s_and_saveexec_b64 s[18:19], s[16:17]
	s_xor_b64 s[16:17], exec, s[18:19]
	s_cbranch_execnz .LBB278_517
; %bb.388:                              ;   in Loop: Header=BB278_268 Depth=1
	s_or_saveexec_b64 s[16:17], s[16:17]
	v_mov_b32_e32 v19, s20
	s_xor_b64 exec, exec, s[16:17]
	s_cbranch_execnz .LBB278_520
.LBB278_389:                            ;   in Loop: Header=BB278_268 Depth=1
	s_or_b64 exec, exec, s[16:17]
	v_mov_b32_e32 v8, v21
	s_and_saveexec_b64 s[16:17], s[2:3]
	s_cbranch_execz .LBB278_391
.LBB278_390:                            ;   in Loop: Header=BB278_268 Depth=1
	v_and_b32_e32 v19, 7, v21
	v_ffbh_u32_e32 v19, v19
	v_bfe_u32 v20, v21, 3, 4
	v_min_u32_e32 v19, 32, v19
	v_subrev_u32_e32 v26, 28, v19
	v_sub_u32_e32 v19, 29, v19
	v_cmp_eq_u32_e64 s[2:3], 0, v20
	s_nop 1
	v_cndmask_b32_e64 v19, v20, v19, s[2:3]
	v_cndmask_b32_e64 v20, 0, v26, s[2:3]
	v_lshlrev_b64 v[26:27], v20, v[8:9]
	v_lshlrev_b32_e32 v20, 7, v26
	v_lshlrev_b32_e32 v26, 8, v21
	v_lshl_add_u32 v19, v19, 10, v3
	v_and_or_b32 v19, v26, s30, v19
	v_and_or_b32 v19, v20, s31, v19
	v_cvt_f32_f16_e32 v19, v19
.LBB278_391:                            ;   in Loop: Header=BB278_268 Depth=1
	s_or_b64 exec, exec, s[16:17]
	v_lshrrev_b16_e32 v8, 8, v8
	v_cmp_lt_i16_e64 s[2:3], s23, v8
	s_mov_b64 s[16:17], 0
                                        ; implicit-def: $sgpr37
	s_and_saveexec_b64 s[18:19], s[2:3]
	s_xor_b64 s[18:19], exec, s[18:19]
	s_cbranch_execnz .LBB278_521
; %bb.392:                              ;   in Loop: Header=BB278_268 Depth=1
	s_or_saveexec_b64 s[18:19], s[18:19]
	v_mov_b32_e32 v20, s37
	s_xor_b64 exec, exec, s[18:19]
	s_cbranch_execnz .LBB278_524
.LBB278_393:                            ;   in Loop: Header=BB278_268 Depth=1
	s_or_b64 exec, exec, s[18:19]
	s_and_saveexec_b64 s[18:19], s[16:17]
	s_cbranch_execz .LBB278_395
.LBB278_394:                            ;   in Loop: Header=BB278_268 Depth=1
	v_and_b32_e32 v20, 7, v8
	v_ffbh_u32_e32 v26, v20
	v_min_u32_e32 v29, 32, v26
	v_subrev_u32_e32 v26, 28, v29
	v_bfe_u32 v28, v8, 3, 4
	v_lshlrev_b64 v[26:27], v26, v[8:9]
	v_sub_u32_e32 v27, 29, v29
	v_cmp_eq_u32_e64 s[2:3], 0, v28
	v_and_b32_e32 v26, 7, v26
	v_lshlrev_b32_e32 v8, 8, v8
	v_cndmask_b32_e64 v27, v28, v27, s[2:3]
	v_cndmask_b32_e64 v20, v20, v26, s[2:3]
	v_lshl_add_u32 v26, v27, 10, v3
	v_and_or_b32 v8, v8, s30, v26
	v_lshl_or_b32 v8, v20, 7, v8
	v_cvt_f32_f16_e32 v20, v8
.LBB278_395:                            ;   in Loop: Header=BB278_268 Depth=1
	s_or_b64 exec, exec, s[18:19]
	v_lshrrev_b32_e32 v8, 16, v21
	v_cmp_gt_i16_sdwa s[16:17], v8, s23 src0_sel:BYTE_0 src1_sel:DWORD
	s_mov_b64 s[2:3], 0
                                        ; implicit-def: $sgpr20
	s_and_saveexec_b64 s[18:19], s[16:17]
	s_xor_b64 s[16:17], exec, s[18:19]
	s_cbranch_execnz .LBB278_525
; %bb.396:                              ;   in Loop: Header=BB278_268 Depth=1
	s_or_saveexec_b64 s[16:17], s[16:17]
	v_mov_b32_e32 v26, s20
	s_xor_b64 exec, exec, s[16:17]
	s_cbranch_execnz .LBB278_528
.LBB278_397:                            ;   in Loop: Header=BB278_268 Depth=1
	s_or_b64 exec, exec, s[16:17]
	s_and_saveexec_b64 s[16:17], s[2:3]
	s_cbranch_execz .LBB278_399
.LBB278_398:                            ;   in Loop: Header=BB278_268 Depth=1
	v_bfe_u32 v28, v21, 16, 3
	v_ffbh_u32_e32 v26, v28
	v_min_u32_e32 v38, 32, v26
	v_subrev_u32_e32 v26, 28, v38
	v_bfe_u32 v29, v21, 19, 4
	v_lshlrev_b64 v[26:27], v26, v[8:9]
	v_sub_u32_e32 v27, 29, v38
	v_cmp_eq_u32_e64 s[2:3], 0, v29
	v_and_b32_e32 v26, 7, v26
	v_lshlrev_b32_e32 v8, 8, v8
	v_cndmask_b32_e64 v27, v29, v27, s[2:3]
	v_lshl_add_u32 v27, v27, 10, v3
	v_cndmask_b32_e64 v26, v28, v26, s[2:3]
	v_and_or_b32 v8, v8, s30, v27
	v_lshl_or_b32 v8, v26, 7, v8
	v_cvt_f32_f16_e32 v26, v8
.LBB278_399:                            ;   in Loop: Header=BB278_268 Depth=1
	s_or_b64 exec, exec, s[16:17]
	v_lshrrev_b32_e32 v8, 24, v21
	v_cmp_lt_i16_e64 s[2:3], s23, v8
	s_mov_b64 s[16:17], 0
                                        ; implicit-def: $sgpr37
	s_and_saveexec_b64 s[18:19], s[2:3]
	s_xor_b64 s[18:19], exec, s[18:19]
	s_cbranch_execnz .LBB278_529
; %bb.400:                              ;   in Loop: Header=BB278_268 Depth=1
	s_or_saveexec_b64 s[18:19], s[18:19]
	v_mov_b32_e32 v27, s37
	s_xor_b64 exec, exec, s[18:19]
	s_cbranch_execnz .LBB278_532
.LBB278_401:                            ;   in Loop: Header=BB278_268 Depth=1
	s_or_b64 exec, exec, s[18:19]
	s_and_saveexec_b64 s[18:19], s[16:17]
	s_cbranch_execz .LBB278_403
.LBB278_402:                            ;   in Loop: Header=BB278_268 Depth=1
	v_bfe_u32 v27, v21, 24, 3
	v_ffbh_u32_e32 v28, v27
	v_min_u32_e32 v38, 32, v28
	v_subrev_u32_e32 v28, 28, v38
	v_bfe_u32 v21, v21, 27, 4
	v_lshlrev_b64 v[28:29], v28, v[8:9]
	v_sub_u32_e32 v29, 29, v38
	v_cmp_eq_u32_e64 s[2:3], 0, v21
	v_and_b32_e32 v28, 7, v28
	v_lshlrev_b32_e32 v8, 8, v8
	v_cndmask_b32_e64 v21, v21, v29, s[2:3]
	v_lshl_add_u32 v21, v21, 10, v3
	v_cndmask_b32_e64 v27, v27, v28, s[2:3]
	v_and_or_b32 v8, v8, s30, v21
	v_lshl_or_b32 v8, v27, 7, v8
	v_cvt_f32_f16_e32 v27, v8
.LBB278_403:                            ;   in Loop: Header=BB278_268 Depth=1
	s_or_b64 exec, exec, s[18:19]
	s_waitcnt vmcnt(0)
	v_pk_mul_f32 v[24:25], v[18:19], v[24:25] op_sel_hi:[0,1]
	v_pk_mul_f32 v[22:23], v[18:19], v[22:23] op_sel_hi:[0,1]
	v_cvt_f16_f32_e32 v8, v25
	v_cvt_f16_f32_e32 v21, v24
	;; [unrolled: 1-line block ×4, first 2 shown]
	v_fma_mixlo_f16 v20, v18, v20, 0
	v_lshlrev_b32_e32 v20, 16, v20
	v_fma_mixlo_f16 v19, v18, v19, 0
	v_or_b32_sdwa v19, v20, v19 dst_sel:DWORD dst_unused:UNUSED_PAD src0_sel:DWORD src1_sel:WORD_0
	v_fma_mixlo_f16 v20, v18, v26, 0
	v_fma_mixlo_f16 v18, v18, v27, 0
	v_pack_b32_f16 v21, v21, v8
	v_pack_b32_f16 v22, v22, v23
	v_lshlrev_b32_e32 v18, 16, v18
	v_perm_b32 v8, v22, v21, s34
	v_perm_b32 v21, v22, v21, s35
	v_or_b32_sdwa v18, v18, v20 dst_sel:DWORD dst_unused:UNUSED_PAD src0_sel:DWORD src1_sel:WORD_0
	s_and_saveexec_b64 s[2:3], s[0:1]
	s_cbranch_execz .LBB278_266
; %bb.404:                              ;   in Loop: Header=BB278_268 Depth=1
	v_add_u32_e32 v22, 1, v32
	v_lshrrev_b32_e32 v23, 16, v21
	v_cmp_gt_i32_e64 s[0:1], s22, v22
	v_lshrrev_b32_e32 v24, 16, v8
	v_lshrrev_b32_e32 v18, 16, v18
	v_cndmask_b32_e64 v22, 0, v23, s[0:1]
	v_cmp_gt_i32_e64 s[0:1], s29, v32
	v_or_b32_e32 v23, 2, v32
	s_nop 0
	v_cndmask_b32_e64 v21, 0, v21, s[0:1]
	v_perm_b32 v21, v22, v21, s36
	v_or_b32_e32 v22, 3, v32
	v_cmp_gt_i32_e64 s[0:1], s22, v22
	s_nop 1
	v_cndmask_b32_e64 v22, 0, v24, s[0:1]
	v_cmp_gt_i32_e64 s[0:1], s29, v23
	v_or_b32_e32 v23, 4, v32
	v_lshrrev_b32_e32 v24, 16, v19
	v_cndmask_b32_e64 v8, 0, v8, s[0:1]
	v_perm_b32 v8, v22, v8, s36
	v_or_b32_e32 v22, 5, v32
	v_cmp_gt_i32_e64 s[0:1], s22, v22
	s_nop 1
	v_cndmask_b32_e64 v22, 0, v24, s[0:1]
	v_cmp_gt_i32_e64 s[0:1], s29, v23
	v_or_b32_e32 v23, 6, v32
	s_nop 0
	v_cndmask_b32_e64 v19, 0, v19, s[0:1]
	v_perm_b32 v19, v22, v19, s36
	v_or_b32_e32 v22, 7, v32
	v_cmp_gt_i32_e64 s[0:1], s22, v22
	s_nop 1
	v_cndmask_b32_e64 v18, 0, v18, s[0:1]
	v_cmp_gt_i32_e64 s[0:1], s29, v23
	s_nop 1
	v_cndmask_b32_e64 v20, 0, v20, s[0:1]
	v_perm_b32 v18, v18, v20, s36
	s_branch .LBB278_266
.LBB278_405:                            ;   in Loop: Header=BB278_268 Depth=1
	v_cmp_eq_u16_sdwa s[18:19], v24, s28 src0_sel:BYTE_0 src1_sel:DWORD
	s_mov_b64 s[0:1], -1
                                        ; implicit-def: $sgpr16
	s_and_saveexec_b64 s[12:13], s[18:19]
; %bb.406:                              ;   in Loop: Header=BB278_268 Depth=1
	s_mov_b32 s16, 0x7fc02000
	s_xor_b64 s[0:1], exec, -1
; %bb.407:                              ;   in Loop: Header=BB278_268 Depth=1
	s_or_b64 exec, exec, s[12:13]
	s_and_b64 s[0:1], s[0:1], exec
	s_or_saveexec_b64 s[2:3], s[2:3]
	v_mov_b32_e32 v26, s16
	s_xor_b64 exec, exec, s[2:3]
	s_cbranch_execz .LBB278_270
.LBB278_408:                            ;   in Loop: Header=BB278_268 Depth=1
	v_cmp_ne_u16_sdwa s[12:13], v24, v9 src0_sel:BYTE_0 src1_sel:DWORD
	s_andn2_b64 s[0:1], s[0:1], exec
	s_and_b64 s[12:13], s[12:13], exec
	v_mov_b32_e32 v26, 0
	s_or_b64 s[0:1], s[0:1], s[12:13]
	s_or_b64 exec, exec, s[2:3]
	s_and_saveexec_b64 s[2:3], s[0:1]
	s_cbranch_execnz .LBB278_271
	s_branch .LBB278_272
.LBB278_409:                            ;   in Loop: Header=BB278_268 Depth=1
	v_cmp_eq_u16_e64 s[0:1], s28, v8
	s_mov_b64 s[2:3], -1
                                        ; implicit-def: $sgpr18
	s_and_saveexec_b64 s[16:17], s[0:1]
; %bb.410:                              ;   in Loop: Header=BB278_268 Depth=1
	s_mov_b32 s18, 0x7fc02000
	s_xor_b64 s[2:3], exec, -1
; %bb.411:                              ;   in Loop: Header=BB278_268 Depth=1
	s_or_b64 exec, exec, s[16:17]
	s_and_b64 s[2:3], s[2:3], exec
	s_or_saveexec_b64 s[12:13], s[12:13]
	v_mov_b32_e32 v28, s18
	s_xor_b64 exec, exec, s[12:13]
	s_cbranch_execz .LBB278_274
.LBB278_412:                            ;   in Loop: Header=BB278_268 Depth=1
	v_cmp_ne_u16_e64 s[0:1], 0, v8
	s_andn2_b64 s[2:3], s[2:3], exec
	s_and_b64 s[0:1], s[0:1], exec
	v_mov_b32_e32 v28, 0
	s_or_b64 s[2:3], s[2:3], s[0:1]
	s_or_b64 exec, exec, s[12:13]
	s_and_saveexec_b64 s[12:13], s[2:3]
	s_cbranch_execnz .LBB278_275
	s_branch .LBB278_276
.LBB278_413:                            ;   in Loop: Header=BB278_268 Depth=1
	v_cmp_eq_u16_sdwa s[18:19], v8, s28 src0_sel:BYTE_0 src1_sel:DWORD
	s_mov_b64 s[0:1], -1
                                        ; implicit-def: $sgpr16
	s_and_saveexec_b64 s[12:13], s[18:19]
; %bb.414:                              ;   in Loop: Header=BB278_268 Depth=1
	s_mov_b32 s16, 0x7fc02000
	s_xor_b64 s[0:1], exec, -1
; %bb.415:                              ;   in Loop: Header=BB278_268 Depth=1
	s_or_b64 exec, exec, s[12:13]
	s_and_b64 s[0:1], s[0:1], exec
	s_or_saveexec_b64 s[2:3], s[2:3]
	v_mov_b32_e32 v27, s16
	s_xor_b64 exec, exec, s[2:3]
	s_cbranch_execz .LBB278_278
.LBB278_416:                            ;   in Loop: Header=BB278_268 Depth=1
	v_cmp_ne_u16_sdwa s[12:13], v8, v9 src0_sel:BYTE_0 src1_sel:DWORD
	s_andn2_b64 s[0:1], s[0:1], exec
	s_and_b64 s[12:13], s[12:13], exec
	v_mov_b32_e32 v27, 0
	s_or_b64 s[0:1], s[0:1], s[12:13]
	s_or_b64 exec, exec, s[2:3]
	s_and_saveexec_b64 s[2:3], s[0:1]
	s_cbranch_execnz .LBB278_279
	s_branch .LBB278_280
.LBB278_417:                            ;   in Loop: Header=BB278_268 Depth=1
	v_cmp_eq_u16_e64 s[0:1], s28, v8
	s_mov_b64 s[2:3], -1
                                        ; implicit-def: $sgpr18
	s_and_saveexec_b64 s[16:17], s[0:1]
; %bb.418:                              ;   in Loop: Header=BB278_268 Depth=1
	s_mov_b32 s18, 0x7fc02000
	s_xor_b64 s[2:3], exec, -1
; %bb.419:                              ;   in Loop: Header=BB278_268 Depth=1
	s_or_b64 exec, exec, s[16:17]
	s_and_b64 s[2:3], s[2:3], exec
	s_or_saveexec_b64 s[12:13], s[12:13]
	v_mov_b32_e32 v29, s18
	s_xor_b64 exec, exec, s[12:13]
	s_cbranch_execz .LBB278_282
.LBB278_420:                            ;   in Loop: Header=BB278_268 Depth=1
	v_cmp_ne_u16_e64 s[0:1], 0, v8
	s_andn2_b64 s[2:3], s[2:3], exec
	s_and_b64 s[0:1], s[0:1], exec
	v_mov_b32_e32 v29, 0
	s_or_b64 s[2:3], s[2:3], s[0:1]
	s_or_b64 exec, exec, s[12:13]
	s_and_saveexec_b64 s[12:13], s[2:3]
	s_cbranch_execnz .LBB278_283
	s_branch .LBB278_284
.LBB278_421:                            ;   in Loop: Header=BB278_268 Depth=1
	v_cmp_eq_u16_sdwa s[18:19], v25, s28 src0_sel:BYTE_0 src1_sel:DWORD
	s_mov_b64 s[0:1], -1
                                        ; implicit-def: $sgpr16
	s_and_saveexec_b64 s[12:13], s[18:19]
; %bb.422:                              ;   in Loop: Header=BB278_268 Depth=1
	s_mov_b32 s16, 0x7fc02000
	s_xor_b64 s[0:1], exec, -1
; %bb.423:                              ;   in Loop: Header=BB278_268 Depth=1
	s_or_b64 exec, exec, s[12:13]
	s_and_b64 s[0:1], s[0:1], exec
	s_or_saveexec_b64 s[2:3], s[2:3]
	v_mov_b32_e32 v24, s16
	s_xor_b64 exec, exec, s[2:3]
	s_cbranch_execz .LBB278_286
.LBB278_424:                            ;   in Loop: Header=BB278_268 Depth=1
	v_cmp_ne_u16_sdwa s[12:13], v25, v9 src0_sel:BYTE_0 src1_sel:DWORD
	s_andn2_b64 s[0:1], s[0:1], exec
	s_and_b64 s[12:13], s[12:13], exec
	v_mov_b32_e32 v24, 0
	s_or_b64 s[0:1], s[0:1], s[12:13]
	s_or_b64 exec, exec, s[2:3]
	v_mov_b32_e32 v8, v25
	s_and_saveexec_b64 s[2:3], s[0:1]
	s_cbranch_execnz .LBB278_287
	s_branch .LBB278_288
.LBB278_425:                            ;   in Loop: Header=BB278_268 Depth=1
	v_cmp_eq_u16_e64 s[0:1], s28, v8
	s_mov_b64 s[2:3], -1
                                        ; implicit-def: $sgpr18
	s_and_saveexec_b64 s[16:17], s[0:1]
; %bb.426:                              ;   in Loop: Header=BB278_268 Depth=1
	s_mov_b32 s18, 0x7fc02000
	s_xor_b64 s[2:3], exec, -1
; %bb.427:                              ;   in Loop: Header=BB278_268 Depth=1
	s_or_b64 exec, exec, s[16:17]
	s_and_b64 s[2:3], s[2:3], exec
	s_or_saveexec_b64 s[12:13], s[12:13]
	v_mov_b32_e32 v37, s18
	s_xor_b64 exec, exec, s[12:13]
	s_cbranch_execz .LBB278_290
.LBB278_428:                            ;   in Loop: Header=BB278_268 Depth=1
	v_cmp_ne_u16_e64 s[0:1], 0, v8
	s_andn2_b64 s[2:3], s[2:3], exec
	s_and_b64 s[0:1], s[0:1], exec
	v_mov_b32_e32 v37, 0
	s_or_b64 s[2:3], s[2:3], s[0:1]
	s_or_b64 exec, exec, s[12:13]
	s_and_saveexec_b64 s[12:13], s[2:3]
	s_cbranch_execnz .LBB278_291
	s_branch .LBB278_292
.LBB278_429:                            ;   in Loop: Header=BB278_268 Depth=1
	v_cmp_eq_u16_sdwa s[18:19], v8, s28 src0_sel:BYTE_0 src1_sel:DWORD
	s_mov_b64 s[0:1], -1
                                        ; implicit-def: $sgpr16
	s_and_saveexec_b64 s[12:13], s[18:19]
; %bb.430:                              ;   in Loop: Header=BB278_268 Depth=1
	s_mov_b32 s16, 0x7fc02000
	s_xor_b64 s[0:1], exec, -1
; %bb.431:                              ;   in Loop: Header=BB278_268 Depth=1
	s_or_b64 exec, exec, s[12:13]
	s_and_b64 s[0:1], s[0:1], exec
	s_or_saveexec_b64 s[2:3], s[2:3]
	v_mov_b32_e32 v42, s16
	s_xor_b64 exec, exec, s[2:3]
	s_cbranch_execz .LBB278_294
.LBB278_432:                            ;   in Loop: Header=BB278_268 Depth=1
	v_cmp_ne_u16_sdwa s[12:13], v8, v9 src0_sel:BYTE_0 src1_sel:DWORD
	s_andn2_b64 s[0:1], s[0:1], exec
	s_and_b64 s[12:13], s[12:13], exec
	v_mov_b32_e32 v42, 0
	s_or_b64 s[0:1], s[0:1], s[12:13]
	s_or_b64 exec, exec, s[2:3]
	s_and_saveexec_b64 s[2:3], s[0:1]
	s_cbranch_execnz .LBB278_295
	s_branch .LBB278_296
.LBB278_433:                            ;   in Loop: Header=BB278_268 Depth=1
	v_cmp_eq_u16_e64 s[0:1], s28, v8
	s_mov_b64 s[2:3], -1
                                        ; implicit-def: $sgpr18
	s_and_saveexec_b64 s[16:17], s[0:1]
; %bb.434:                              ;   in Loop: Header=BB278_268 Depth=1
	s_mov_b32 s18, 0x7fc02000
	s_xor_b64 s[2:3], exec, -1
; %bb.435:                              ;   in Loop: Header=BB278_268 Depth=1
	s_or_b64 exec, exec, s[16:17]
	s_and_b64 s[2:3], s[2:3], exec
	s_or_saveexec_b64 s[12:13], s[12:13]
	v_mov_b32_e32 v43, s18
	s_xor_b64 exec, exec, s[12:13]
	s_cbranch_execz .LBB278_298
.LBB278_436:                            ;   in Loop: Header=BB278_268 Depth=1
	v_cmp_ne_u16_e64 s[0:1], 0, v8
	s_andn2_b64 s[2:3], s[2:3], exec
	s_and_b64 s[0:1], s[0:1], exec
	v_mov_b32_e32 v43, 0
	s_or_b64 s[2:3], s[2:3], s[0:1]
	s_or_b64 exec, exec, s[12:13]
	s_and_saveexec_b64 s[12:13], s[2:3]
	s_cbranch_execnz .LBB278_299
	s_branch .LBB278_300
.LBB278_437:                            ;   in Loop: Header=BB278_268 Depth=1
	v_cmp_eq_u16_sdwa s[20:21], v24, s28 src0_sel:BYTE_0 src1_sel:DWORD
	s_mov_b64 s[2:3], -1
                                        ; implicit-def: $sgpr18
	s_and_saveexec_b64 s[16:17], s[20:21]
; %bb.438:                              ;   in Loop: Header=BB278_268 Depth=1
	s_mov_b32 s18, 0x7fc02000
	s_xor_b64 s[2:3], exec, -1
; %bb.439:                              ;   in Loop: Header=BB278_268 Depth=1
	s_or_b64 exec, exec, s[16:17]
	s_and_b64 s[2:3], s[2:3], exec
	s_or_saveexec_b64 s[12:13], s[12:13]
	v_mov_b32_e32 v26, s18
	s_xor_b64 exec, exec, s[12:13]
	s_cbranch_execz .LBB278_304
.LBB278_440:                            ;   in Loop: Header=BB278_268 Depth=1
	v_cmp_ne_u16_sdwa s[16:17], v24, v9 src0_sel:BYTE_0 src1_sel:DWORD
	s_andn2_b64 s[2:3], s[2:3], exec
	s_and_b64 s[16:17], s[16:17], exec
	v_mov_b32_e32 v26, 0
	s_or_b64 s[2:3], s[2:3], s[16:17]
	s_or_b64 exec, exec, s[12:13]
	s_and_saveexec_b64 s[12:13], s[2:3]
	s_cbranch_execnz .LBB278_305
	s_branch .LBB278_306
.LBB278_441:                            ;   in Loop: Header=BB278_268 Depth=1
	v_cmp_eq_u16_e64 s[2:3], s28, v8
	s_mov_b64 s[12:13], -1
                                        ; implicit-def: $sgpr20
	s_and_saveexec_b64 s[18:19], s[2:3]
; %bb.442:                              ;   in Loop: Header=BB278_268 Depth=1
	s_mov_b32 s20, 0x7fc02000
	s_xor_b64 s[12:13], exec, -1
; %bb.443:                              ;   in Loop: Header=BB278_268 Depth=1
	s_or_b64 exec, exec, s[18:19]
	s_and_b64 s[12:13], s[12:13], exec
	s_or_saveexec_b64 s[16:17], s[16:17]
	v_mov_b32_e32 v28, s20
	s_xor_b64 exec, exec, s[16:17]
	s_cbranch_execz .LBB278_308
.LBB278_444:                            ;   in Loop: Header=BB278_268 Depth=1
	v_cmp_ne_u16_e64 s[2:3], 0, v8
	s_andn2_b64 s[12:13], s[12:13], exec
	s_and_b64 s[2:3], s[2:3], exec
	v_mov_b32_e32 v28, 0
	s_or_b64 s[12:13], s[12:13], s[2:3]
	s_or_b64 exec, exec, s[16:17]
	s_and_saveexec_b64 s[16:17], s[12:13]
	s_cbranch_execnz .LBB278_309
	s_branch .LBB278_310
.LBB278_445:                            ;   in Loop: Header=BB278_268 Depth=1
	v_cmp_eq_u16_sdwa s[20:21], v8, s28 src0_sel:BYTE_0 src1_sel:DWORD
	s_mov_b64 s[2:3], -1
                                        ; implicit-def: $sgpr18
	s_and_saveexec_b64 s[16:17], s[20:21]
; %bb.446:                              ;   in Loop: Header=BB278_268 Depth=1
	s_mov_b32 s18, 0x7fc02000
	s_xor_b64 s[2:3], exec, -1
; %bb.447:                              ;   in Loop: Header=BB278_268 Depth=1
	s_or_b64 exec, exec, s[16:17]
	s_and_b64 s[2:3], s[2:3], exec
	s_or_saveexec_b64 s[12:13], s[12:13]
	v_mov_b32_e32 v27, s18
	s_xor_b64 exec, exec, s[12:13]
	s_cbranch_execz .LBB278_312
.LBB278_448:                            ;   in Loop: Header=BB278_268 Depth=1
	v_cmp_ne_u16_sdwa s[16:17], v8, v9 src0_sel:BYTE_0 src1_sel:DWORD
	s_andn2_b64 s[2:3], s[2:3], exec
	s_and_b64 s[16:17], s[16:17], exec
	v_mov_b32_e32 v27, 0
	s_or_b64 s[2:3], s[2:3], s[16:17]
	s_or_b64 exec, exec, s[12:13]
	s_and_saveexec_b64 s[12:13], s[2:3]
	s_cbranch_execnz .LBB278_313
	s_branch .LBB278_314
.LBB278_449:                            ;   in Loop: Header=BB278_268 Depth=1
	v_cmp_eq_u16_e64 s[2:3], s28, v8
	s_mov_b64 s[12:13], -1
                                        ; implicit-def: $sgpr20
	s_and_saveexec_b64 s[18:19], s[2:3]
; %bb.450:                              ;   in Loop: Header=BB278_268 Depth=1
	s_mov_b32 s20, 0x7fc02000
	s_xor_b64 s[12:13], exec, -1
; %bb.451:                              ;   in Loop: Header=BB278_268 Depth=1
	s_or_b64 exec, exec, s[18:19]
	s_and_b64 s[12:13], s[12:13], exec
	s_or_saveexec_b64 s[16:17], s[16:17]
	v_mov_b32_e32 v29, s20
	s_xor_b64 exec, exec, s[16:17]
	s_cbranch_execz .LBB278_316
.LBB278_452:                            ;   in Loop: Header=BB278_268 Depth=1
	v_cmp_ne_u16_e64 s[2:3], 0, v8
	s_andn2_b64 s[12:13], s[12:13], exec
	s_and_b64 s[2:3], s[2:3], exec
	v_mov_b32_e32 v29, 0
	s_or_b64 s[12:13], s[12:13], s[2:3]
	s_or_b64 exec, exec, s[16:17]
	s_and_saveexec_b64 s[16:17], s[12:13]
	s_cbranch_execnz .LBB278_317
	s_branch .LBB278_318
.LBB278_453:                            ;   in Loop: Header=BB278_268 Depth=1
	v_cmp_eq_u16_sdwa s[20:21], v25, s28 src0_sel:BYTE_0 src1_sel:DWORD
	s_mov_b64 s[2:3], -1
                                        ; implicit-def: $sgpr18
	s_and_saveexec_b64 s[16:17], s[20:21]
; %bb.454:                              ;   in Loop: Header=BB278_268 Depth=1
	s_mov_b32 s18, 0x7fc02000
	s_xor_b64 s[2:3], exec, -1
; %bb.455:                              ;   in Loop: Header=BB278_268 Depth=1
	s_or_b64 exec, exec, s[16:17]
	s_and_b64 s[2:3], s[2:3], exec
	s_or_saveexec_b64 s[12:13], s[12:13]
	v_mov_b32_e32 v24, s18
	s_xor_b64 exec, exec, s[12:13]
	s_cbranch_execz .LBB278_320
.LBB278_456:                            ;   in Loop: Header=BB278_268 Depth=1
	v_cmp_ne_u16_sdwa s[16:17], v25, v9 src0_sel:BYTE_0 src1_sel:DWORD
	s_andn2_b64 s[2:3], s[2:3], exec
	s_and_b64 s[16:17], s[16:17], exec
	v_mov_b32_e32 v24, 0
	s_or_b64 s[2:3], s[2:3], s[16:17]
	s_or_b64 exec, exec, s[12:13]
	v_mov_b32_e32 v8, v25
	s_and_saveexec_b64 s[12:13], s[2:3]
	s_cbranch_execnz .LBB278_321
	s_branch .LBB278_322
.LBB278_457:                            ;   in Loop: Header=BB278_268 Depth=1
	v_cmp_eq_u16_e64 s[2:3], s28, v8
	s_mov_b64 s[12:13], -1
                                        ; implicit-def: $sgpr20
	s_and_saveexec_b64 s[18:19], s[2:3]
; %bb.458:                              ;   in Loop: Header=BB278_268 Depth=1
	s_mov_b32 s20, 0x7fc02000
	s_xor_b64 s[12:13], exec, -1
; %bb.459:                              ;   in Loop: Header=BB278_268 Depth=1
	s_or_b64 exec, exec, s[18:19]
	s_and_b64 s[12:13], s[12:13], exec
	s_or_saveexec_b64 s[16:17], s[16:17]
	v_mov_b32_e32 v39, s20
	s_xor_b64 exec, exec, s[16:17]
	s_cbranch_execz .LBB278_324
.LBB278_460:                            ;   in Loop: Header=BB278_268 Depth=1
	v_cmp_ne_u16_e64 s[2:3], 0, v8
	s_andn2_b64 s[12:13], s[12:13], exec
	s_and_b64 s[2:3], s[2:3], exec
	v_mov_b32_e32 v39, 0
	s_or_b64 s[12:13], s[12:13], s[2:3]
	s_or_b64 exec, exec, s[16:17]
	s_and_saveexec_b64 s[16:17], s[12:13]
	s_cbranch_execnz .LBB278_325
	s_branch .LBB278_326
.LBB278_461:                            ;   in Loop: Header=BB278_268 Depth=1
	v_cmp_eq_u16_sdwa s[20:21], v8, s28 src0_sel:BYTE_0 src1_sel:DWORD
	s_mov_b64 s[2:3], -1
                                        ; implicit-def: $sgpr18
	s_and_saveexec_b64 s[16:17], s[20:21]
; %bb.462:                              ;   in Loop: Header=BB278_268 Depth=1
	s_mov_b32 s18, 0x7fc02000
	s_xor_b64 s[2:3], exec, -1
; %bb.463:                              ;   in Loop: Header=BB278_268 Depth=1
	s_or_b64 exec, exec, s[16:17]
	s_and_b64 s[2:3], s[2:3], exec
	s_or_saveexec_b64 s[12:13], s[12:13]
	v_mov_b32_e32 v40, s18
	s_xor_b64 exec, exec, s[12:13]
	s_cbranch_execz .LBB278_328
.LBB278_464:                            ;   in Loop: Header=BB278_268 Depth=1
	v_cmp_ne_u16_sdwa s[16:17], v8, v9 src0_sel:BYTE_0 src1_sel:DWORD
	s_andn2_b64 s[2:3], s[2:3], exec
	s_and_b64 s[16:17], s[16:17], exec
	v_mov_b32_e32 v40, 0
	s_or_b64 s[2:3], s[2:3], s[16:17]
	s_or_b64 exec, exec, s[12:13]
	s_and_saveexec_b64 s[12:13], s[2:3]
	s_cbranch_execnz .LBB278_329
	s_branch .LBB278_330
.LBB278_465:                            ;   in Loop: Header=BB278_268 Depth=1
	v_cmp_eq_u16_e64 s[2:3], s28, v8
	s_mov_b64 s[12:13], -1
                                        ; implicit-def: $sgpr20
	s_and_saveexec_b64 s[18:19], s[2:3]
; %bb.466:                              ;   in Loop: Header=BB278_268 Depth=1
	s_mov_b32 s20, 0x7fc02000
	s_xor_b64 s[12:13], exec, -1
; %bb.467:                              ;   in Loop: Header=BB278_268 Depth=1
	s_or_b64 exec, exec, s[18:19]
	s_and_b64 s[12:13], s[12:13], exec
	s_or_saveexec_b64 s[16:17], s[16:17]
	v_mov_b32_e32 v41, s20
	s_xor_b64 exec, exec, s[16:17]
	s_cbranch_execz .LBB278_332
.LBB278_468:                            ;   in Loop: Header=BB278_268 Depth=1
	v_cmp_ne_u16_e64 s[2:3], 0, v8
	s_andn2_b64 s[12:13], s[12:13], exec
	s_and_b64 s[2:3], s[2:3], exec
	v_mov_b32_e32 v41, 0
	s_or_b64 s[12:13], s[12:13], s[2:3]
	s_or_b64 exec, exec, s[16:17]
	s_and_saveexec_b64 s[16:17], s[12:13]
	s_cbranch_execnz .LBB278_333
	s_branch .LBB278_334
.LBB278_469:                            ;   in Loop: Header=BB278_268 Depth=1
	v_cmp_eq_u16_sdwa s[20:21], v24, s28 src0_sel:BYTE_0 src1_sel:DWORD
	s_mov_b64 s[2:3], -1
                                        ; implicit-def: $sgpr18
	s_and_saveexec_b64 s[16:17], s[20:21]
; %bb.470:                              ;   in Loop: Header=BB278_268 Depth=1
	s_mov_b32 s18, 0x7fc02000
	s_xor_b64 s[2:3], exec, -1
; %bb.471:                              ;   in Loop: Header=BB278_268 Depth=1
	s_or_b64 exec, exec, s[16:17]
	s_and_b64 s[2:3], s[2:3], exec
	s_or_saveexec_b64 s[12:13], s[12:13]
	v_mov_b32_e32 v20, s18
	s_xor_b64 exec, exec, s[12:13]
	s_cbranch_execz .LBB278_338
.LBB278_472:                            ;   in Loop: Header=BB278_268 Depth=1
	v_cmp_ne_u16_sdwa s[16:17], v24, v9 src0_sel:BYTE_0 src1_sel:DWORD
	s_andn2_b64 s[2:3], s[2:3], exec
	s_and_b64 s[16:17], s[16:17], exec
	v_mov_b32_e32 v20, 0
	s_or_b64 s[2:3], s[2:3], s[16:17]
	s_or_b64 exec, exec, s[12:13]
	s_and_saveexec_b64 s[12:13], s[2:3]
	s_cbranch_execnz .LBB278_339
	s_branch .LBB278_340
.LBB278_473:                            ;   in Loop: Header=BB278_268 Depth=1
	v_cmp_eq_u16_e64 s[2:3], s28, v8
	s_mov_b64 s[12:13], -1
                                        ; implicit-def: $sgpr20
	s_and_saveexec_b64 s[18:19], s[2:3]
; %bb.474:                              ;   in Loop: Header=BB278_268 Depth=1
	s_mov_b32 s20, 0x7fc02000
	s_xor_b64 s[12:13], exec, -1
; %bb.475:                              ;   in Loop: Header=BB278_268 Depth=1
	s_or_b64 exec, exec, s[18:19]
	s_and_b64 s[12:13], s[12:13], exec
	s_or_saveexec_b64 s[16:17], s[16:17]
	v_mov_b32_e32 v26, s20
	s_xor_b64 exec, exec, s[16:17]
	s_cbranch_execz .LBB278_342
.LBB278_476:                            ;   in Loop: Header=BB278_268 Depth=1
	v_cmp_ne_u16_e64 s[2:3], 0, v8
	s_andn2_b64 s[12:13], s[12:13], exec
	s_and_b64 s[2:3], s[2:3], exec
	v_mov_b32_e32 v26, 0
	s_or_b64 s[12:13], s[12:13], s[2:3]
	s_or_b64 exec, exec, s[16:17]
	s_and_saveexec_b64 s[16:17], s[12:13]
	s_cbranch_execnz .LBB278_343
	s_branch .LBB278_344
.LBB278_477:                            ;   in Loop: Header=BB278_268 Depth=1
	v_cmp_eq_u16_sdwa s[20:21], v8, s28 src0_sel:BYTE_0 src1_sel:DWORD
	s_mov_b64 s[2:3], -1
                                        ; implicit-def: $sgpr18
	s_and_saveexec_b64 s[16:17], s[20:21]
; %bb.478:                              ;   in Loop: Header=BB278_268 Depth=1
	s_mov_b32 s18, 0x7fc02000
	s_xor_b64 s[2:3], exec, -1
; %bb.479:                              ;   in Loop: Header=BB278_268 Depth=1
	s_or_b64 exec, exec, s[16:17]
	s_and_b64 s[2:3], s[2:3], exec
	s_or_saveexec_b64 s[12:13], s[12:13]
	v_mov_b32_e32 v21, s18
	s_xor_b64 exec, exec, s[12:13]
	s_cbranch_execz .LBB278_346
.LBB278_480:                            ;   in Loop: Header=BB278_268 Depth=1
	v_cmp_ne_u16_sdwa s[16:17], v8, v9 src0_sel:BYTE_0 src1_sel:DWORD
	s_andn2_b64 s[2:3], s[2:3], exec
	s_and_b64 s[16:17], s[16:17], exec
	v_mov_b32_e32 v21, 0
	s_or_b64 s[2:3], s[2:3], s[16:17]
	s_or_b64 exec, exec, s[12:13]
	s_and_saveexec_b64 s[12:13], s[2:3]
	s_cbranch_execnz .LBB278_347
	s_branch .LBB278_348
.LBB278_481:                            ;   in Loop: Header=BB278_268 Depth=1
	v_cmp_eq_u16_e64 s[2:3], s28, v8
	s_mov_b64 s[12:13], -1
                                        ; implicit-def: $sgpr20
	s_and_saveexec_b64 s[18:19], s[2:3]
; %bb.482:                              ;   in Loop: Header=BB278_268 Depth=1
	s_mov_b32 s20, 0x7fc02000
	s_xor_b64 s[12:13], exec, -1
; %bb.483:                              ;   in Loop: Header=BB278_268 Depth=1
	s_or_b64 exec, exec, s[18:19]
	s_and_b64 s[12:13], s[12:13], exec
	s_or_saveexec_b64 s[16:17], s[16:17]
	v_mov_b32_e32 v27, s20
	s_xor_b64 exec, exec, s[16:17]
	s_cbranch_execz .LBB278_350
.LBB278_484:                            ;   in Loop: Header=BB278_268 Depth=1
	v_cmp_ne_u16_e64 s[2:3], 0, v8
	s_andn2_b64 s[12:13], s[12:13], exec
	s_and_b64 s[2:3], s[2:3], exec
	v_mov_b32_e32 v27, 0
	s_or_b64 s[12:13], s[12:13], s[2:3]
	s_or_b64 exec, exec, s[16:17]
	s_and_saveexec_b64 s[16:17], s[12:13]
	s_cbranch_execnz .LBB278_351
	s_branch .LBB278_352
.LBB278_485:                            ;   in Loop: Header=BB278_268 Depth=1
	v_cmp_eq_u16_sdwa s[20:21], v25, s28 src0_sel:BYTE_0 src1_sel:DWORD
	s_mov_b64 s[2:3], -1
                                        ; implicit-def: $sgpr18
	s_and_saveexec_b64 s[16:17], s[20:21]
; %bb.486:                              ;   in Loop: Header=BB278_268 Depth=1
	s_mov_b32 s18, 0x7fc02000
	s_xor_b64 s[2:3], exec, -1
; %bb.487:                              ;   in Loop: Header=BB278_268 Depth=1
	s_or_b64 exec, exec, s[16:17]
	s_and_b64 s[2:3], s[2:3], exec
	s_or_saveexec_b64 s[12:13], s[12:13]
	v_mov_b32_e32 v24, s18
	s_xor_b64 exec, exec, s[12:13]
	s_cbranch_execz .LBB278_354
.LBB278_488:                            ;   in Loop: Header=BB278_268 Depth=1
	v_cmp_ne_u16_sdwa s[16:17], v25, v9 src0_sel:BYTE_0 src1_sel:DWORD
	s_andn2_b64 s[2:3], s[2:3], exec
	s_and_b64 s[16:17], s[16:17], exec
	v_mov_b32_e32 v24, 0
	s_or_b64 s[2:3], s[2:3], s[16:17]
	s_or_b64 exec, exec, s[12:13]
	v_mov_b32_e32 v8, v25
	s_and_saveexec_b64 s[12:13], s[2:3]
	s_cbranch_execnz .LBB278_355
	s_branch .LBB278_356
.LBB278_489:                            ;   in Loop: Header=BB278_268 Depth=1
	v_cmp_eq_u16_e64 s[2:3], s28, v8
	s_mov_b64 s[12:13], -1
                                        ; implicit-def: $sgpr20
	s_and_saveexec_b64 s[18:19], s[2:3]
; %bb.490:                              ;   in Loop: Header=BB278_268 Depth=1
	s_mov_b32 s20, 0x7fc02000
	s_xor_b64 s[12:13], exec, -1
; %bb.491:                              ;   in Loop: Header=BB278_268 Depth=1
	s_or_b64 exec, exec, s[18:19]
	s_and_b64 s[12:13], s[12:13], exec
	s_or_saveexec_b64 s[16:17], s[16:17]
	v_mov_b32_e32 v39, s20
	s_xor_b64 exec, exec, s[16:17]
	s_cbranch_execz .LBB278_358
.LBB278_492:                            ;   in Loop: Header=BB278_268 Depth=1
	v_cmp_ne_u16_e64 s[2:3], 0, v8
	s_andn2_b64 s[12:13], s[12:13], exec
	s_and_b64 s[2:3], s[2:3], exec
	v_mov_b32_e32 v39, 0
	s_or_b64 s[12:13], s[12:13], s[2:3]
	s_or_b64 exec, exec, s[16:17]
	s_and_saveexec_b64 s[16:17], s[12:13]
	s_cbranch_execnz .LBB278_359
	s_branch .LBB278_360
.LBB278_493:                            ;   in Loop: Header=BB278_268 Depth=1
	v_cmp_eq_u16_sdwa s[20:21], v8, s28 src0_sel:BYTE_0 src1_sel:DWORD
	s_mov_b64 s[2:3], -1
                                        ; implicit-def: $sgpr18
	s_and_saveexec_b64 s[16:17], s[20:21]
; %bb.494:                              ;   in Loop: Header=BB278_268 Depth=1
	s_mov_b32 s18, 0x7fc02000
	s_xor_b64 s[2:3], exec, -1
; %bb.495:                              ;   in Loop: Header=BB278_268 Depth=1
	s_or_b64 exec, exec, s[16:17]
	s_and_b64 s[2:3], s[2:3], exec
	s_or_saveexec_b64 s[12:13], s[12:13]
	v_mov_b32_e32 v40, s18
	s_xor_b64 exec, exec, s[12:13]
	s_cbranch_execz .LBB278_362
.LBB278_496:                            ;   in Loop: Header=BB278_268 Depth=1
	v_cmp_ne_u16_sdwa s[16:17], v8, v9 src0_sel:BYTE_0 src1_sel:DWORD
	s_andn2_b64 s[2:3], s[2:3], exec
	s_and_b64 s[16:17], s[16:17], exec
	v_mov_b32_e32 v40, 0
	s_or_b64 s[2:3], s[2:3], s[16:17]
	s_or_b64 exec, exec, s[12:13]
	s_and_saveexec_b64 s[12:13], s[2:3]
	s_cbranch_execnz .LBB278_363
	s_branch .LBB278_364
.LBB278_497:                            ;   in Loop: Header=BB278_268 Depth=1
	v_cmp_eq_u16_e64 s[2:3], s28, v8
	s_mov_b64 s[12:13], -1
                                        ; implicit-def: $sgpr20
	s_and_saveexec_b64 s[18:19], s[2:3]
; %bb.498:                              ;   in Loop: Header=BB278_268 Depth=1
	s_mov_b32 s20, 0x7fc02000
	s_xor_b64 s[12:13], exec, -1
; %bb.499:                              ;   in Loop: Header=BB278_268 Depth=1
	s_or_b64 exec, exec, s[18:19]
	s_and_b64 s[12:13], s[12:13], exec
	s_or_saveexec_b64 s[16:17], s[16:17]
	v_mov_b32_e32 v41, s20
	s_xor_b64 exec, exec, s[16:17]
	s_cbranch_execz .LBB278_366
.LBB278_500:                            ;   in Loop: Header=BB278_268 Depth=1
	v_cmp_ne_u16_e64 s[2:3], 0, v8
	s_andn2_b64 s[12:13], s[12:13], exec
	s_and_b64 s[2:3], s[2:3], exec
	v_mov_b32_e32 v41, 0
	s_or_b64 s[12:13], s[12:13], s[2:3]
	s_or_b64 exec, exec, s[16:17]
	s_and_saveexec_b64 s[16:17], s[12:13]
	s_cbranch_execnz .LBB278_367
	s_branch .LBB278_368
.LBB278_501:                            ;   in Loop: Header=BB278_268 Depth=1
	v_cmp_eq_u16_sdwa s[38:39], v20, s28 src0_sel:BYTE_0 src1_sel:DWORD
	s_mov_b64 s[2:3], -1
                                        ; implicit-def: $sgpr20
	s_and_saveexec_b64 s[18:19], s[38:39]
; %bb.502:                              ;   in Loop: Header=BB278_268 Depth=1
	s_mov_b32 s20, 0x7fc02000
	s_xor_b64 s[2:3], exec, -1
; %bb.503:                              ;   in Loop: Header=BB278_268 Depth=1
	s_or_b64 exec, exec, s[18:19]
	s_and_b64 s[2:3], s[2:3], exec
	s_or_saveexec_b64 s[16:17], s[16:17]
	v_mov_b32_e32 v22, s20
	s_xor_b64 exec, exec, s[16:17]
	s_cbranch_execz .LBB278_373
.LBB278_504:                            ;   in Loop: Header=BB278_268 Depth=1
	v_cmp_ne_u16_sdwa s[18:19], v20, v9 src0_sel:BYTE_0 src1_sel:DWORD
	s_andn2_b64 s[2:3], s[2:3], exec
	s_and_b64 s[18:19], s[18:19], exec
	v_mov_b32_e32 v22, 0
	s_or_b64 s[2:3], s[2:3], s[18:19]
	s_or_b64 exec, exec, s[16:17]
	s_and_saveexec_b64 s[16:17], s[2:3]
	s_cbranch_execnz .LBB278_374
	s_branch .LBB278_375
.LBB278_505:                            ;   in Loop: Header=BB278_268 Depth=1
	v_cmp_eq_u16_e64 s[2:3], s28, v8
	s_mov_b64 s[16:17], -1
                                        ; implicit-def: $sgpr37
	s_and_saveexec_b64 s[20:21], s[2:3]
; %bb.506:                              ;   in Loop: Header=BB278_268 Depth=1
	s_mov_b32 s37, 0x7fc02000
	s_xor_b64 s[16:17], exec, -1
; %bb.507:                              ;   in Loop: Header=BB278_268 Depth=1
	s_or_b64 exec, exec, s[20:21]
	s_and_b64 s[16:17], s[16:17], exec
	s_or_saveexec_b64 s[18:19], s[18:19]
	v_mov_b32_e32 v24, s37
	s_xor_b64 exec, exec, s[18:19]
	s_cbranch_execz .LBB278_377
.LBB278_508:                            ;   in Loop: Header=BB278_268 Depth=1
	v_cmp_ne_u16_e64 s[2:3], 0, v8
	s_andn2_b64 s[16:17], s[16:17], exec
	s_and_b64 s[2:3], s[2:3], exec
	v_mov_b32_e32 v24, 0
	s_or_b64 s[16:17], s[16:17], s[2:3]
	s_or_b64 exec, exec, s[18:19]
	s_and_saveexec_b64 s[18:19], s[16:17]
	s_cbranch_execnz .LBB278_378
	s_branch .LBB278_379
.LBB278_509:                            ;   in Loop: Header=BB278_268 Depth=1
	v_cmp_eq_u16_sdwa s[38:39], v8, s28 src0_sel:BYTE_0 src1_sel:DWORD
	s_mov_b64 s[2:3], -1
                                        ; implicit-def: $sgpr20
	s_and_saveexec_b64 s[18:19], s[38:39]
; %bb.510:                              ;   in Loop: Header=BB278_268 Depth=1
	s_mov_b32 s20, 0x7fc02000
	s_xor_b64 s[2:3], exec, -1
; %bb.511:                              ;   in Loop: Header=BB278_268 Depth=1
	s_or_b64 exec, exec, s[18:19]
	s_and_b64 s[2:3], s[2:3], exec
	s_or_saveexec_b64 s[16:17], s[16:17]
	v_mov_b32_e32 v23, s20
	s_xor_b64 exec, exec, s[16:17]
	s_cbranch_execz .LBB278_381
.LBB278_512:                            ;   in Loop: Header=BB278_268 Depth=1
	v_cmp_ne_u16_sdwa s[18:19], v8, v9 src0_sel:BYTE_0 src1_sel:DWORD
	s_andn2_b64 s[2:3], s[2:3], exec
	s_and_b64 s[18:19], s[18:19], exec
	v_mov_b32_e32 v23, 0
	s_or_b64 s[2:3], s[2:3], s[18:19]
	s_or_b64 exec, exec, s[16:17]
	s_and_saveexec_b64 s[16:17], s[2:3]
	s_cbranch_execnz .LBB278_382
	s_branch .LBB278_383
.LBB278_513:                            ;   in Loop: Header=BB278_268 Depth=1
	v_cmp_eq_u16_e64 s[2:3], s28, v8
	s_mov_b64 s[16:17], -1
                                        ; implicit-def: $sgpr37
	s_and_saveexec_b64 s[20:21], s[2:3]
; %bb.514:                              ;   in Loop: Header=BB278_268 Depth=1
	s_mov_b32 s37, 0x7fc02000
	s_xor_b64 s[16:17], exec, -1
; %bb.515:                              ;   in Loop: Header=BB278_268 Depth=1
	s_or_b64 exec, exec, s[20:21]
	s_and_b64 s[16:17], s[16:17], exec
	s_or_saveexec_b64 s[18:19], s[18:19]
	v_mov_b32_e32 v25, s37
	s_xor_b64 exec, exec, s[18:19]
	s_cbranch_execz .LBB278_385
.LBB278_516:                            ;   in Loop: Header=BB278_268 Depth=1
	v_cmp_ne_u16_e64 s[2:3], 0, v8
	s_andn2_b64 s[16:17], s[16:17], exec
	s_and_b64 s[2:3], s[2:3], exec
	v_mov_b32_e32 v25, 0
	s_or_b64 s[16:17], s[16:17], s[2:3]
	s_or_b64 exec, exec, s[18:19]
	s_and_saveexec_b64 s[18:19], s[16:17]
	s_cbranch_execnz .LBB278_386
	s_branch .LBB278_387
.LBB278_517:                            ;   in Loop: Header=BB278_268 Depth=1
	v_cmp_eq_u16_sdwa s[38:39], v21, s28 src0_sel:BYTE_0 src1_sel:DWORD
	s_mov_b64 s[2:3], -1
                                        ; implicit-def: $sgpr20
	s_and_saveexec_b64 s[18:19], s[38:39]
; %bb.518:                              ;   in Loop: Header=BB278_268 Depth=1
	s_mov_b32 s20, 0x7fc02000
	s_xor_b64 s[2:3], exec, -1
; %bb.519:                              ;   in Loop: Header=BB278_268 Depth=1
	s_or_b64 exec, exec, s[18:19]
	s_and_b64 s[2:3], s[2:3], exec
	s_or_saveexec_b64 s[16:17], s[16:17]
	v_mov_b32_e32 v19, s20
	s_xor_b64 exec, exec, s[16:17]
	s_cbranch_execz .LBB278_389
.LBB278_520:                            ;   in Loop: Header=BB278_268 Depth=1
	v_cmp_ne_u16_sdwa s[18:19], v21, v9 src0_sel:BYTE_0 src1_sel:DWORD
	s_andn2_b64 s[2:3], s[2:3], exec
	s_and_b64 s[18:19], s[18:19], exec
	v_mov_b32_e32 v19, 0
	s_or_b64 s[2:3], s[2:3], s[18:19]
	s_or_b64 exec, exec, s[16:17]
	v_mov_b32_e32 v8, v21
	s_and_saveexec_b64 s[16:17], s[2:3]
	s_cbranch_execnz .LBB278_390
	s_branch .LBB278_391
.LBB278_521:                            ;   in Loop: Header=BB278_268 Depth=1
	v_cmp_eq_u16_e64 s[2:3], s28, v8
	s_mov_b64 s[16:17], -1
                                        ; implicit-def: $sgpr37
	s_and_saveexec_b64 s[20:21], s[2:3]
; %bb.522:                              ;   in Loop: Header=BB278_268 Depth=1
	s_mov_b32 s37, 0x7fc02000
	s_xor_b64 s[16:17], exec, -1
; %bb.523:                              ;   in Loop: Header=BB278_268 Depth=1
	s_or_b64 exec, exec, s[20:21]
	s_and_b64 s[16:17], s[16:17], exec
	s_or_saveexec_b64 s[18:19], s[18:19]
	v_mov_b32_e32 v20, s37
	s_xor_b64 exec, exec, s[18:19]
	s_cbranch_execz .LBB278_393
.LBB278_524:                            ;   in Loop: Header=BB278_268 Depth=1
	v_cmp_ne_u16_e64 s[2:3], 0, v8
	s_andn2_b64 s[16:17], s[16:17], exec
	s_and_b64 s[2:3], s[2:3], exec
	v_mov_b32_e32 v20, 0
	s_or_b64 s[16:17], s[16:17], s[2:3]
	s_or_b64 exec, exec, s[18:19]
	s_and_saveexec_b64 s[18:19], s[16:17]
	s_cbranch_execnz .LBB278_394
	s_branch .LBB278_395
.LBB278_525:                            ;   in Loop: Header=BB278_268 Depth=1
	v_cmp_eq_u16_sdwa s[38:39], v8, s28 src0_sel:BYTE_0 src1_sel:DWORD
	s_mov_b64 s[2:3], -1
                                        ; implicit-def: $sgpr20
	s_and_saveexec_b64 s[18:19], s[38:39]
; %bb.526:                              ;   in Loop: Header=BB278_268 Depth=1
	s_mov_b32 s20, 0x7fc02000
	s_xor_b64 s[2:3], exec, -1
; %bb.527:                              ;   in Loop: Header=BB278_268 Depth=1
	s_or_b64 exec, exec, s[18:19]
	s_and_b64 s[2:3], s[2:3], exec
	s_or_saveexec_b64 s[16:17], s[16:17]
	v_mov_b32_e32 v26, s20
	s_xor_b64 exec, exec, s[16:17]
	s_cbranch_execz .LBB278_397
.LBB278_528:                            ;   in Loop: Header=BB278_268 Depth=1
	v_cmp_ne_u16_sdwa s[18:19], v8, v9 src0_sel:BYTE_0 src1_sel:DWORD
	s_andn2_b64 s[2:3], s[2:3], exec
	s_and_b64 s[18:19], s[18:19], exec
	v_mov_b32_e32 v26, 0
	s_or_b64 s[2:3], s[2:3], s[18:19]
	s_or_b64 exec, exec, s[16:17]
	s_and_saveexec_b64 s[16:17], s[2:3]
	s_cbranch_execnz .LBB278_398
	s_branch .LBB278_399
.LBB278_529:                            ;   in Loop: Header=BB278_268 Depth=1
	v_cmp_eq_u16_e64 s[2:3], s28, v8
	s_mov_b64 s[16:17], -1
                                        ; implicit-def: $sgpr37
	s_and_saveexec_b64 s[20:21], s[2:3]
; %bb.530:                              ;   in Loop: Header=BB278_268 Depth=1
	s_mov_b32 s37, 0x7fc02000
	s_xor_b64 s[16:17], exec, -1
; %bb.531:                              ;   in Loop: Header=BB278_268 Depth=1
	s_or_b64 exec, exec, s[20:21]
	s_and_b64 s[16:17], s[16:17], exec
	s_or_saveexec_b64 s[18:19], s[18:19]
	v_mov_b32_e32 v27, s37
	s_xor_b64 exec, exec, s[18:19]
	s_cbranch_execz .LBB278_401
.LBB278_532:                            ;   in Loop: Header=BB278_268 Depth=1
	v_cmp_ne_u16_e64 s[2:3], 0, v8
	s_andn2_b64 s[16:17], s[16:17], exec
	s_and_b64 s[2:3], s[2:3], exec
	v_mov_b32_e32 v27, 0
	s_or_b64 s[16:17], s[16:17], s[2:3]
	s_or_b64 exec, exec, s[18:19]
	s_and_saveexec_b64 s[18:19], s[16:17]
	s_cbranch_execnz .LBB278_402
	s_branch .LBB278_403
.LBB278_533:
	s_or_b64 exec, exec, s[8:9]
.LBB278_534:
	s_or_b64 exec, exec, s[10:11]
	ds_bpermute_b32 v2, v1, v12
	ds_bpermute_b32 v3, v1, v13
	;; [unrolled: 1-line block ×4, first 2 shown]
	v_and_b32_e32 v1, 0x3c0, v0
	v_cmp_eq_u32_e32 vcc, 64, v1
	s_waitcnt lgkmcnt(2)
	v_pk_add_f32 v[4:5], v[12:13], v[2:3]
	s_waitcnt lgkmcnt(0)
	v_pk_add_f32 v[2:3], v[6:7], v[8:9]
	s_barrier
	s_and_saveexec_b64 s[2:3], vcc
	s_cbranch_execz .LBB278_539
; %bb.535:
	v_cmp_eq_u32_e32 vcc, 0, v30
	s_and_saveexec_b64 s[0:1], vcc
	s_cbranch_execz .LBB278_537
; %bb.536:
	v_mov_b32_e32 v1, 0xf0
	v_lshl_add_u32 v1, v31, 2, v1
	ds_write2_b32 v1, v4, v5 offset1:32
	ds_write_b32 v1, v2 offset:256
.LBB278_537:
	s_or_b64 exec, exec, s[0:1]
	v_or_b32_e32 v1, 0x60, v31
	s_movk_i32 s0, 0x70
	v_cmp_gt_u32_e64 s[0:1], s0, v1
	s_and_b64 s[0:1], vcc, s[0:1]
	s_and_b64 exec, exec, s[0:1]
	s_cbranch_execz .LBB278_539
; %bb.538:
	v_mov_b32_e32 v1, 0xf0
	v_lshl_add_u32 v1, v31, 2, v1
	ds_write_b32 v1, v3 offset:384
.LBB278_539:
	s_or_b64 exec, exec, s[2:3]
	v_cmp_gt_u32_e32 vcc, 64, v0
	v_lshrrev_b32_e32 v0, 1, v0
	s_waitcnt lgkmcnt(0)
	s_barrier
	s_and_saveexec_b64 s[8:9], vcc
	s_cbranch_execz .LBB278_547
; %bb.540:
	v_cmp_eq_u32_e64 s[0:1], 0, v30
	s_and_saveexec_b64 s[2:3], s[0:1]
	s_cbranch_execnz .LBB278_553
; %bb.541:
	s_or_b64 exec, exec, s[2:3]
	s_and_saveexec_b64 s[2:3], s[0:1]
	s_cbranch_execnz .LBB278_554
.LBB278_542:
	s_or_b64 exec, exec, s[2:3]
	s_and_saveexec_b64 s[2:3], s[0:1]
	s_cbranch_execz .LBB278_544
.LBB278_543:
	v_mov_b32_e32 v1, 0xf0
	v_lshl_add_u32 v1, v0, 2, v1
	ds_read_b32 v1, v1 offset:256
	s_waitcnt lgkmcnt(0)
	v_add_f32_e32 v2, v2, v1
.LBB278_544:
	s_or_b64 exec, exec, s[2:3]
	v_or_b32_e32 v1, 0x60, v0
	s_movk_i32 s2, 0x70
	v_cmp_gt_u32_e64 s[2:3], s2, v1
	s_and_b64 s[2:3], s[0:1], s[2:3]
	s_and_saveexec_b64 s[0:1], s[2:3]
	s_cbranch_execz .LBB278_546
; %bb.545:
	v_mov_b32_e32 v1, 0xf0
	v_lshl_add_u32 v1, v0, 2, v1
	ds_read_b32 v1, v1 offset:384
	s_waitcnt lgkmcnt(0)
	v_add_f32_e32 v3, v3, v1
.LBB278_546:
	s_or_b64 exec, exec, s[0:1]
.LBB278_547:
	s_or_b64 exec, exec, s[8:9]
	s_barrier
	s_and_saveexec_b64 s[0:1], vcc
	s_cbranch_execz .LBB278_552
; %bb.548:
	s_mul_i32 s0, s6, 0x70
	s_ashr_i32 s1, s0, 31
	s_lshl_b64 s[0:1], s[0:1], 1
	s_add_u32 s2, s26, s0
	s_mul_i32 s0, s25, s24
	s_addc_u32 s3, s27, s1
	s_ashr_i32 s1, s0, 31
	s_lshl_b64 s[0:1], s[0:1], 1
	s_add_u32 s2, s2, s0
	s_mul_i32 s0, s4, 0x70
	s_addc_u32 s3, s3, s1
	s_ashr_i32 s1, s0, 31
	s_lshl_b64 s[0:1], s[0:1], 1
	s_add_u32 s2, s2, s0
	s_movk_i32 s5, 0x70
	s_addc_u32 s3, s3, s1
	v_cmp_eq_u32_e32 vcc, 0, v30
	v_lshlrev_b32_e32 v1, 1, v0
	s_and_saveexec_b64 s[0:1], vcc
	s_cbranch_execz .LBB278_550
; %bb.549:
	;;#ASMSTART
	v_cvt_f16_f32 v4, v4;

	;;#ASMEND
	global_store_short v1, v4, s[2:3]
	;;#ASMSTART
	v_cvt_f16_f32 v4, v5;

	;;#ASMEND
	global_store_short v1, v4, s[2:3] offset:64
	;;#ASMSTART
	v_cvt_f16_f32 v2, v2;

	;;#ASMEND
	global_store_short v1, v2, s[2:3] offset:128
.LBB278_550:
	s_or_b64 exec, exec, s[0:1]
	v_or_b32_e32 v0, 0x60, v0
	v_cmp_gt_u32_e64 s[0:1], s5, v0
	s_and_b64 s[0:1], vcc, s[0:1]
	s_and_b64 exec, exec, s[0:1]
	s_cbranch_execz .LBB278_552
; %bb.551:
	;;#ASMSTART
	v_cvt_f16_f32 v0, v3;

	;;#ASMEND
	global_store_short v1, v0, s[2:3] offset:192
.LBB278_552:
	s_endpgm
.LBB278_553:
	v_mov_b32_e32 v1, 0xf0
	v_lshl_add_u32 v1, v0, 2, v1
	ds_read_b32 v1, v1
	s_waitcnt lgkmcnt(0)
	v_add_f32_e32 v4, v4, v1
	s_or_b64 exec, exec, s[2:3]
	s_and_saveexec_b64 s[2:3], s[0:1]
	s_cbranch_execz .LBB278_542
.LBB278_554:
	v_mov_b32_e32 v1, 0xf0
	v_lshl_add_u32 v1, v0, 2, v1
	ds_read_b32 v1, v1 offset:128
	s_waitcnt lgkmcnt(0)
	v_add_f32_e32 v5, v5, v1
	s_or_b64 exec, exec, s[2:3]
	s_and_saveexec_b64 s[2:3], s[0:1]
	s_cbranch_execnz .LBB278_543
	s_branch .LBB278_544
	.section	.rodata,"a",@progbits
	.p2align	6, 0x0
	.amdhsa_kernel _ZN4vllm25paged_attention_v2_kernelIthLi112ELi16ELi128ELNS_18Fp8KVCacheDataTypeE1ELb0ELi512EEEvPfS2_PT_PKS3_PKT0_S9_ifPKiSB_iPKfiiiSD_SD_iiiii
		.amdhsa_group_segment_fixed_size 240
		.amdhsa_private_segment_fixed_size 0
		.amdhsa_kernarg_size 400
		.amdhsa_user_sgpr_count 2
		.amdhsa_user_sgpr_dispatch_ptr 0
		.amdhsa_user_sgpr_queue_ptr 0
		.amdhsa_user_sgpr_kernarg_segment_ptr 1
		.amdhsa_user_sgpr_dispatch_id 0
		.amdhsa_user_sgpr_kernarg_preload_length 0
		.amdhsa_user_sgpr_kernarg_preload_offset 0
		.amdhsa_user_sgpr_private_segment_size 0
		.amdhsa_uses_dynamic_stack 0
		.amdhsa_enable_private_segment 0
		.amdhsa_system_sgpr_workgroup_id_x 1
		.amdhsa_system_sgpr_workgroup_id_y 1
		.amdhsa_system_sgpr_workgroup_id_z 1
		.amdhsa_system_sgpr_workgroup_info 0
		.amdhsa_system_vgpr_workitem_id 0
		.amdhsa_next_free_vgpr 63
		.amdhsa_next_free_sgpr 56
		.amdhsa_accum_offset 64
		.amdhsa_reserve_vcc 1
		.amdhsa_float_round_mode_32 0
		.amdhsa_float_round_mode_16_64 0
		.amdhsa_float_denorm_mode_32 3
		.amdhsa_float_denorm_mode_16_64 3
		.amdhsa_dx10_clamp 1
		.amdhsa_ieee_mode 1
		.amdhsa_fp16_overflow 0
		.amdhsa_tg_split 0
		.amdhsa_exception_fp_ieee_invalid_op 0
		.amdhsa_exception_fp_denorm_src 0
		.amdhsa_exception_fp_ieee_div_zero 0
		.amdhsa_exception_fp_ieee_overflow 0
		.amdhsa_exception_fp_ieee_underflow 0
		.amdhsa_exception_fp_ieee_inexact 0
		.amdhsa_exception_int_div_zero 0
	.end_amdhsa_kernel
	.section	.text._ZN4vllm25paged_attention_v2_kernelIthLi112ELi16ELi128ELNS_18Fp8KVCacheDataTypeE1ELb0ELi512EEEvPfS2_PT_PKS3_PKT0_S9_ifPKiSB_iPKfiiiSD_SD_iiiii,"axG",@progbits,_ZN4vllm25paged_attention_v2_kernelIthLi112ELi16ELi128ELNS_18Fp8KVCacheDataTypeE1ELb0ELi512EEEvPfS2_PT_PKS3_PKT0_S9_ifPKiSB_iPKfiiiSD_SD_iiiii,comdat
.Lfunc_end278:
	.size	_ZN4vllm25paged_attention_v2_kernelIthLi112ELi16ELi128ELNS_18Fp8KVCacheDataTypeE1ELb0ELi512EEEvPfS2_PT_PKS3_PKT0_S9_ifPKiSB_iPKfiiiSD_SD_iiiii, .Lfunc_end278-_ZN4vllm25paged_attention_v2_kernelIthLi112ELi16ELi128ELNS_18Fp8KVCacheDataTypeE1ELb0ELi512EEEvPfS2_PT_PKS3_PKT0_S9_ifPKiSB_iPKfiiiSD_SD_iiiii
                                        ; -- End function
	.section	.AMDGPU.csdata,"",@progbits
; Kernel info:
; codeLenInByte = 22404
; NumSgprs: 62
; NumVgprs: 63
; NumAgprs: 0
; TotalNumVgprs: 63
; ScratchSize: 0
; MemoryBound: 0
; FloatMode: 240
; IeeeMode: 1
; LDSByteSize: 240 bytes/workgroup (compile time only)
; SGPRBlocks: 7
; VGPRBlocks: 7
; NumSGPRsForWavesPerEU: 62
; NumVGPRsForWavesPerEU: 63
; AccumOffset: 64
; Occupancy: 8
; WaveLimiterHint : 1
; COMPUTE_PGM_RSRC2:SCRATCH_EN: 0
; COMPUTE_PGM_RSRC2:USER_SGPR: 2
; COMPUTE_PGM_RSRC2:TRAP_HANDLER: 0
; COMPUTE_PGM_RSRC2:TGID_X_EN: 1
; COMPUTE_PGM_RSRC2:TGID_Y_EN: 1
; COMPUTE_PGM_RSRC2:TGID_Z_EN: 1
; COMPUTE_PGM_RSRC2:TIDIG_COMP_CNT: 0
; COMPUTE_PGM_RSRC3_GFX90A:ACCUM_OFFSET: 15
; COMPUTE_PGM_RSRC3_GFX90A:TG_SPLIT: 0
	.section	.text._ZN4vllm25paged_attention_v2_kernelIthLi120ELi16ELi128ELNS_18Fp8KVCacheDataTypeE1ELb0ELi512EEEvPfS2_PT_PKS3_PKT0_S9_ifPKiSB_iPKfiiiSD_SD_iiiii,"axG",@progbits,_ZN4vllm25paged_attention_v2_kernelIthLi120ELi16ELi128ELNS_18Fp8KVCacheDataTypeE1ELb0ELi512EEEvPfS2_PT_PKS3_PKT0_S9_ifPKiSB_iPKfiiiSD_SD_iiiii,comdat
	.protected	_ZN4vllm25paged_attention_v2_kernelIthLi120ELi16ELi128ELNS_18Fp8KVCacheDataTypeE1ELb0ELi512EEEvPfS2_PT_PKS3_PKT0_S9_ifPKiSB_iPKfiiiSD_SD_iiiii ; -- Begin function _ZN4vllm25paged_attention_v2_kernelIthLi120ELi16ELi128ELNS_18Fp8KVCacheDataTypeE1ELb0ELi512EEEvPfS2_PT_PKS3_PKT0_S9_ifPKiSB_iPKfiiiSD_SD_iiiii
	.globl	_ZN4vllm25paged_attention_v2_kernelIthLi120ELi16ELi128ELNS_18Fp8KVCacheDataTypeE1ELb0ELi512EEEvPfS2_PT_PKS3_PKT0_S9_ifPKiSB_iPKfiiiSD_SD_iiiii
	.p2align	8
	.type	_ZN4vllm25paged_attention_v2_kernelIthLi120ELi16ELi128ELNS_18Fp8KVCacheDataTypeE1ELb0ELi512EEEvPfS2_PT_PKS3_PKT0_S9_ifPKiSB_iPKfiiiSD_SD_iiiii,@function
_ZN4vllm25paged_attention_v2_kernelIthLi120ELi16ELi128ELNS_18Fp8KVCacheDataTypeE1ELb0ELi512EEEvPfS2_PT_PKS3_PKT0_S9_ifPKiSB_iPKfiiiSD_SD_iiiii: ; @_ZN4vllm25paged_attention_v2_kernelIthLi120ELi16ELi128ELNS_18Fp8KVCacheDataTypeE1ELb0ELi512EEEvPfS2_PT_PKS3_PKT0_S9_ifPKiSB_iPKfiiiSD_SD_iiiii
; %bb.0:
	s_load_dwordx2 s[6:7], s[0:1], 0x40
	s_mov_b32 s28, s3
	s_ashr_i32 s29, s3, 31
	s_lshl_b64 s[8:9], s[28:29], 2
	s_waitcnt lgkmcnt(0)
	s_add_u32 s6, s6, s8
	s_addc_u32 s7, s7, s9
	s_load_dword s29, s[6:7], 0x0
	s_lshl_b32 s46, s4, 9
	s_waitcnt lgkmcnt(0)
	s_cmp_ge_i32 s46, s29
	s_cbranch_scc1 .LBB279_568
; %bb.1:
	s_load_dword s5, s[0:1], 0x90
	s_load_dwordx2 s[10:11], s[0:1], 0x30
	s_mov_b32 s47, 0
	s_waitcnt lgkmcnt(0)
	s_abs_i32 s7, s5
	s_abs_i32 s3, s10
	v_cvt_f32_u32_e32 v1, s3
	s_sub_i32 s8, 0, s3
	s_xor_b32 s6, s5, s10
	s_ashr_i32 s6, s6, 31
	v_rcp_iflag_f32_e32 v1, v1
	s_nop 0
	v_mul_f32_e32 v1, 0x4f7ffffe, v1
	v_cvt_u32_f32_e32 v1, v1
	s_nop 0
	v_readfirstlane_b32 s9, v1
	s_mul_i32 s8, s8, s9
	s_mul_hi_u32 s8, s9, s8
	s_add_i32 s9, s9, s8
	s_mul_hi_u32 s8, s7, s9
	s_mul_i32 s9, s8, s3
	s_sub_i32 s7, s7, s9
	s_add_i32 s10, s8, 1
	s_sub_i32 s9, s7, s3
	s_cmp_ge_u32 s7, s3
	s_cselect_b32 s8, s10, s8
	s_cselect_b32 s7, s9, s7
	s_add_i32 s9, s8, 1
	s_cmp_ge_u32 s7, s3
	s_cselect_b32 s3, s9, s8
	s_xor_b32 s3, s3, s6
	s_sub_i32 s10, s3, s6
	s_abs_i32 s8, s10
	v_cvt_f32_u32_e32 v1, s8
	s_load_dwordx2 s[6:7], s[0:1], 0x50
	s_sub_i32 s3, 0, s8
	s_abs_i32 s9, s2
	v_rcp_iflag_f32_e32 v1, v1
	s_nop 0
	v_mul_f32_e32 v1, 0x4f7ffffe, v1
	v_cvt_u32_f32_e32 v1, v1
	s_nop 0
	v_readfirstlane_b32 s12, v1
	s_mul_i32 s3, s3, s12
	s_mul_hi_u32 s3, s12, s3
	s_add_i32 s12, s12, s3
	s_waitcnt lgkmcnt(0)
	s_cmp_eq_u64 s[6:7], 0
	s_mul_hi_u32 s12, s9, s12
	s_cbranch_scc1 .LBB279_3
; %bb.2:
	s_ashr_i32 s3, s2, 31
	s_lshl_b64 s[14:15], s[2:3], 2
	s_add_u32 s6, s6, s14
	s_addc_u32 s7, s7, s15
	s_load_dword s47, s[6:7], 0x0
.LBB279_3:
	s_load_dwordx4 s[16:19], s[0:1], 0x58
	s_ashr_i32 s13, s2, 31
	s_ashr_i32 s14, s10, 31
	v_and_b32_e32 v9, 3, v0
	s_mul_i32 s24, s2, 0x78
	v_cmp_gt_u32_e32 vcc, 60, v0
	s_and_saveexec_b64 s[6:7], vcc
	s_cbranch_execz .LBB279_5
; %bb.4:
	s_load_dwordx2 s[20:21], s[0:1], 0x18
	s_waitcnt lgkmcnt(0)
	s_mul_i32 s22, s28, s16
	s_ashr_i32 s23, s22, 31
	s_lshl_b64 s[22:23], s[22:23], 1
	v_lshlrev_b32_e32 v1, 2, v0
	s_add_u32 s3, s20, s22
	s_addc_u32 s10, s21, s23
	s_ashr_i32 s25, s24, 31
	s_lshl_b64 s[20:21], s[24:25], 1
	s_add_u32 s20, s3, s20
	s_addc_u32 s21, s10, s21
	global_load_dword v1, v1, s[20:21]
	v_and_b32_e32 v2, 0x3fc, v0
	v_mad_u32_u24 v2, v9, 60, v2
	s_waitcnt vmcnt(0)
	ds_write_b32 v2, v1
.LBB279_5:
	s_or_b64 exec, exec, s[6:7]
	s_add_i32 s3, s29, 15
	s_ashr_i32 s6, s3, 31
	s_lshr_b32 s6, s6, 28
	s_add_i32 s3, s3, s6
	s_lshl_b32 s10, s4, 5
	s_mul_i32 s7, s12, s8
	s_ashr_i32 s3, s3, 4
	s_add_i32 s6, s10, 32
	s_sub_i32 s7, s9, s7
	s_min_i32 s33, s6, s3
	s_xor_b32 s6, s13, s14
	s_add_i32 s9, s12, 1
	s_sub_i32 s13, s7, s8
	s_cmp_ge_u32 s7, s8
	s_cselect_b32 s9, s9, s12
	s_cselect_b32 s7, s13, s7
	s_add_i32 s12, s9, 1
	s_cmp_ge_u32 s7, s8
	s_load_dwordx2 s[30:31], s[0:1], 0x38
	s_load_dword s8, s[0:1], 0x48
	v_lshrrev_b32_e32 v14, 6, v0
	s_cselect_b32 s7, s12, s9
	s_xor_b32 s7, s7, s6
	v_or_b32_e32 v2, s10, v14
	s_waitcnt lgkmcnt(0)
	s_mul_i32 s34, s28, s8
	s_sub_i32 s16, s7, s6
	s_ashr_i32 s35, s34, 31
	v_cmp_gt_i32_e64 s[8:9], s33, v2
	v_cmp_le_i32_e32 vcc, s33, v2
	v_mbcnt_lo_u32_b32 v12, -1, 0
	s_barrier
	s_waitcnt lgkmcnt(0)
                                        ; implicit-def: $sgpr19
                                        ; implicit-def: $vgpr16
                                        ; implicit-def: $vgpr4
	s_and_saveexec_b64 s[6:7], vcc
	s_xor_b64 s[6:7], exec, s[6:7]
; %bb.6:
	v_mbcnt_hi_u32_b32 v16, -1, v12
	v_and_b32_e32 v1, 64, v16
	v_add_u32_e32 v4, 64, v1
	s_mov_b32 s19, 0xff7fffff
                                        ; implicit-def: $vgpr9
                                        ; implicit-def: $vgpr12
; %bb.7:
	s_or_saveexec_b64 s[38:39], s[6:7]
	s_load_dwordx4 s[20:23], s[0:1], 0x0
	s_load_dwordx2 s[26:27], s[0:1], 0x10
	s_load_dword s25, s[0:1], 0x98
	s_load_dwordx2 s[36:37], s[0:1], 0x28
	s_load_dwordx4 s[12:15], s[0:1], 0x68
	v_mov_b32_e32 v1, s19
	s_mul_i32 s16, s16, s18
	v_ashrrev_i32_e32 v3, 31, v2
	v_lshlrev_b32_e32 v15, 4, v14
	s_xor_b64 exec, exec, s[38:39]
	s_cbranch_execz .LBB279_253
; %bb.8:
	s_load_dwordx2 s[0:1], s[0:1], 0x20
	s_ashr_i32 s6, s16, 31
	v_bfe_u32 v1, v0, 2, 4
	v_lshlrev_b32_e32 v4, 4, v1
	v_mov_b32_e32 v5, 0
	s_waitcnt lgkmcnt(0)
	s_add_u32 s0, s0, s16
	s_addc_u32 s1, s1, s6
	v_lshl_add_u64 v[6:7], s[0:1], 0, v[4:5]
	s_sub_i32 s49, 1, s29
	s_lshl_b64 s[0:1], s[34:35], 2
	v_add3_u32 v18, s46, v15, v1
	v_lshlrev_b32_e32 v1, 2, v1
	s_add_u32 s0, s30, s0
	v_lshl_or_b32 v1, v14, 6, v1
	s_addc_u32 s1, s31, s1
	s_mov_b32 s48, s17
	v_lshlrev_b32_e32 v8, 1, v9
	v_mul_u32_u24_e32 v17, 60, v9
	v_cmp_eq_u32_e32 vcc, 0, v9
	v_cmp_neq_f32_e64 s[6:7], s47, 0
	v_mov_b32_e32 v9, v5
	v_add_u32_e32 v19, 0x100, v1
	v_lshl_add_u64 v[10:11], v[2:3], 2, s[0:1]
	s_mov_b64 s[18:19], 0
	v_mov_b32_e32 v1, 0xff7fffff
	s_movk_i32 s50, 0x7f
	s_movk_i32 s51, 0x80
	s_mov_b32 s52, 0x8000
	v_mbcnt_hi_u32_b32 v16, -1, v12
	v_mov_b32_e32 v20, 0x1c00
	v_mov_b32_e32 v21, v2
	s_branch .LBB279_10
.LBB279_9:                              ;   in Loop: Header=BB279_10 Depth=1
	s_or_b64 exec, exec, s[40:41]
	v_add_u32_e32 v21, 2, v21
	v_cmp_le_i32_e64 s[0:1], s33, v21
	v_add_u32_e32 v18, 32, v18
	v_add_u32_e32 v19, 0x80, v19
	s_or_b64 s[18:19], s[0:1], s[18:19]
	v_lshl_add_u64 v[10:11], v[10:11], 0, 8
	s_andn2_b64 exec, exec, s[18:19]
	s_cbranch_execz .LBB279_252
.LBB279_10:                             ; =>This Inner Loop Header: Depth=1
	global_load_dword v4, v[10:11], off
                                        ; implicit-def: $sgpr44
	s_waitcnt vmcnt(0) lgkmcnt(0)
	v_mad_i64_i32 v[12:13], s[0:1], v4, s48, v[6:7]
	v_lshl_add_u64 v[12:13], v[12:13], 0, v[8:9]
	global_load_ushort v4, v[12:13], off
	global_load_dword v22, v5, s[12:13]
	s_mov_b64 s[0:1], 0
	s_waitcnt vmcnt(1)
	v_cmp_gt_i16_sdwa s[40:41], v4, s50 src0_sel:BYTE_0 src1_sel:DWORD
	s_and_saveexec_b64 s[42:43], s[40:41]
	s_xor_b64 s[40:41], exec, s[42:43]
	s_cbranch_execnz .LBB279_132
; %bb.11:                               ;   in Loop: Header=BB279_10 Depth=1
	s_or_saveexec_b64 s[40:41], s[40:41]
	v_mov_b32_e32 v23, s44
	s_xor_b64 exec, exec, s[40:41]
	s_cbranch_execnz .LBB279_135
.LBB279_12:                             ;   in Loop: Header=BB279_10 Depth=1
	s_or_b64 exec, exec, s[40:41]
	v_and_b32_e32 v4, 0xffff, v4
	s_and_saveexec_b64 s[40:41], s[0:1]
	s_cbranch_execz .LBB279_14
.LBB279_13:                             ;   in Loop: Header=BB279_10 Depth=1
	v_and_b32_e32 v23, 7, v4
	v_ffbh_u32_e32 v24, v23
	v_min_u32_e32 v27, 32, v24
	v_subrev_u32_e32 v24, 28, v27
	v_bfe_u32 v26, v4, 3, 4
	v_lshlrev_b64 v[24:25], v24, v[4:5]
	v_sub_u32_e32 v25, 29, v27
	v_cmp_eq_u32_e64 s[0:1], 0, v26
	v_and_b32_e32 v24, 7, v24
	s_nop 0
	v_cndmask_b32_e64 v25, v26, v25, s[0:1]
	v_cndmask_b32_e64 v23, v23, v24, s[0:1]
	v_lshlrev_b32_e32 v24, 8, v4
	v_lshl_add_u32 v25, v25, 10, v20
	v_and_or_b32 v24, v24, s52, v25
	v_lshl_or_b32 v23, v23, 7, v24
	v_cvt_f32_f16_e32 v23, v23
.LBB279_14:                             ;   in Loop: Header=BB279_10 Depth=1
	s_or_b64 exec, exec, s[40:41]
	v_lshrrev_b16_e32 v4, 8, v4
	v_cmp_lt_i16_e64 s[0:1], s50, v4
	s_mov_b64 s[40:41], 0
                                        ; implicit-def: $sgpr53
	s_and_saveexec_b64 s[42:43], s[0:1]
	s_xor_b64 s[42:43], exec, s[42:43]
	s_cbranch_execnz .LBB279_136
; %bb.15:                               ;   in Loop: Header=BB279_10 Depth=1
	s_or_saveexec_b64 s[42:43], s[42:43]
	v_mov_b32_e32 v24, s53
	s_xor_b64 exec, exec, s[42:43]
	s_cbranch_execnz .LBB279_139
.LBB279_16:                             ;   in Loop: Header=BB279_10 Depth=1
	s_or_b64 exec, exec, s[42:43]
	s_and_saveexec_b64 s[42:43], s[40:41]
	s_cbranch_execz .LBB279_18
.LBB279_17:                             ;   in Loop: Header=BB279_10 Depth=1
	v_and_b32_e32 v26, 7, v4
	v_ffbh_u32_e32 v24, v26
	v_min_u32_e32 v28, 32, v24
	v_subrev_u32_e32 v24, 28, v28
	v_bfe_u32 v27, v4, 3, 4
	v_lshlrev_b64 v[24:25], v24, v[4:5]
	v_sub_u32_e32 v25, 29, v28
	v_cmp_eq_u32_e64 s[0:1], 0, v27
	v_and_b32_e32 v24, 7, v24
	v_lshlrev_b32_e32 v4, 8, v4
	v_cndmask_b32_e64 v25, v27, v25, s[0:1]
	v_lshl_add_u32 v25, v25, 10, v20
	v_cndmask_b32_e64 v24, v26, v24, s[0:1]
	v_and_or_b32 v4, v4, s52, v25
	v_lshl_or_b32 v4, v24, 7, v4
	v_cvt_f32_f16_e32 v24, v4
.LBB279_18:                             ;   in Loop: Header=BB279_10 Depth=1
	s_or_b64 exec, exec, s[42:43]
	global_load_ushort v4, v[12:13], off offset:8
	s_mov_b64 s[0:1], 0
                                        ; implicit-def: $sgpr44
	s_waitcnt vmcnt(0)
	v_cmp_gt_i16_sdwa s[40:41], v4, s50 src0_sel:BYTE_0 src1_sel:DWORD
	s_and_saveexec_b64 s[42:43], s[40:41]
	s_xor_b64 s[40:41], exec, s[42:43]
	s_cbranch_execnz .LBB279_140
; %bb.19:                               ;   in Loop: Header=BB279_10 Depth=1
	s_or_saveexec_b64 s[40:41], s[40:41]
	v_mov_b32_e32 v25, s44
	s_xor_b64 exec, exec, s[40:41]
	s_cbranch_execnz .LBB279_143
.LBB279_20:                             ;   in Loop: Header=BB279_10 Depth=1
	s_or_b64 exec, exec, s[40:41]
	v_and_b32_e32 v4, 0xffff, v4
	s_and_saveexec_b64 s[40:41], s[0:1]
	s_cbranch_execz .LBB279_22
.LBB279_21:                             ;   in Loop: Header=BB279_10 Depth=1
	v_and_b32_e32 v25, 7, v4
	v_ffbh_u32_e32 v26, v25
	v_min_u32_e32 v29, 32, v26
	v_subrev_u32_e32 v26, 28, v29
	v_bfe_u32 v28, v4, 3, 4
	v_lshlrev_b64 v[26:27], v26, v[4:5]
	v_sub_u32_e32 v27, 29, v29
	v_cmp_eq_u32_e64 s[0:1], 0, v28
	v_and_b32_e32 v26, 7, v26
	s_nop 0
	v_cndmask_b32_e64 v27, v28, v27, s[0:1]
	v_cndmask_b32_e64 v25, v25, v26, s[0:1]
	v_lshlrev_b32_e32 v26, 8, v4
	v_lshl_add_u32 v27, v27, 10, v20
	v_and_or_b32 v26, v26, s52, v27
	v_lshl_or_b32 v25, v25, 7, v26
	v_cvt_f32_f16_e32 v25, v25
.LBB279_22:                             ;   in Loop: Header=BB279_10 Depth=1
	s_or_b64 exec, exec, s[40:41]
	v_lshrrev_b16_e32 v4, 8, v4
	v_cmp_lt_i16_e64 s[0:1], s50, v4
	s_mov_b64 s[40:41], 0
                                        ; implicit-def: $sgpr53
	s_and_saveexec_b64 s[42:43], s[0:1]
	s_xor_b64 s[42:43], exec, s[42:43]
	s_cbranch_execnz .LBB279_144
; %bb.23:                               ;   in Loop: Header=BB279_10 Depth=1
	s_or_saveexec_b64 s[42:43], s[42:43]
	v_mov_b32_e32 v26, s53
	s_xor_b64 exec, exec, s[42:43]
	s_cbranch_execnz .LBB279_147
.LBB279_24:                             ;   in Loop: Header=BB279_10 Depth=1
	s_or_b64 exec, exec, s[42:43]
	s_and_saveexec_b64 s[42:43], s[40:41]
	s_cbranch_execz .LBB279_26
.LBB279_25:                             ;   in Loop: Header=BB279_10 Depth=1
	v_and_b32_e32 v28, 7, v4
	v_ffbh_u32_e32 v26, v28
	v_min_u32_e32 v30, 32, v26
	v_subrev_u32_e32 v26, 28, v30
	v_bfe_u32 v29, v4, 3, 4
	v_lshlrev_b64 v[26:27], v26, v[4:5]
	v_sub_u32_e32 v27, 29, v30
	v_cmp_eq_u32_e64 s[0:1], 0, v29
	v_and_b32_e32 v26, 7, v26
	v_lshlrev_b32_e32 v4, 8, v4
	v_cndmask_b32_e64 v27, v29, v27, s[0:1]
	v_lshl_add_u32 v27, v27, 10, v20
	v_cndmask_b32_e64 v26, v28, v26, s[0:1]
	v_and_or_b32 v4, v4, s52, v27
	v_lshl_or_b32 v4, v26, 7, v4
	v_cvt_f32_f16_e32 v26, v4
.LBB279_26:                             ;   in Loop: Header=BB279_10 Depth=1
	s_or_b64 exec, exec, s[42:43]
	global_load_ushort v4, v[12:13], off offset:256
	s_mov_b64 s[0:1], 0
                                        ; implicit-def: $sgpr44
	s_waitcnt vmcnt(0)
	v_cmp_gt_i16_sdwa s[40:41], v4, s50 src0_sel:BYTE_0 src1_sel:DWORD
	s_and_saveexec_b64 s[42:43], s[40:41]
	s_xor_b64 s[40:41], exec, s[42:43]
	s_cbranch_execnz .LBB279_148
; %bb.27:                               ;   in Loop: Header=BB279_10 Depth=1
	s_or_saveexec_b64 s[40:41], s[40:41]
	v_mov_b32_e32 v27, s44
	s_xor_b64 exec, exec, s[40:41]
	s_cbranch_execnz .LBB279_151
.LBB279_28:                             ;   in Loop: Header=BB279_10 Depth=1
	s_or_b64 exec, exec, s[40:41]
	v_and_b32_e32 v4, 0xffff, v4
	s_and_saveexec_b64 s[40:41], s[0:1]
	s_cbranch_execz .LBB279_30
.LBB279_29:                             ;   in Loop: Header=BB279_10 Depth=1
	v_and_b32_e32 v27, 7, v4
	v_ffbh_u32_e32 v28, v27
	v_min_u32_e32 v31, 32, v28
	v_subrev_u32_e32 v28, 28, v31
	v_bfe_u32 v30, v4, 3, 4
	v_lshlrev_b64 v[28:29], v28, v[4:5]
	v_sub_u32_e32 v29, 29, v31
	v_cmp_eq_u32_e64 s[0:1], 0, v30
	v_and_b32_e32 v28, 7, v28
	s_nop 0
	v_cndmask_b32_e64 v29, v30, v29, s[0:1]
	v_cndmask_b32_e64 v27, v27, v28, s[0:1]
	v_lshlrev_b32_e32 v28, 8, v4
	v_lshl_add_u32 v29, v29, 10, v20
	v_and_or_b32 v28, v28, s52, v29
	v_lshl_or_b32 v27, v27, 7, v28
	v_cvt_f32_f16_e32 v27, v27
.LBB279_30:                             ;   in Loop: Header=BB279_10 Depth=1
	s_or_b64 exec, exec, s[40:41]
	v_lshrrev_b16_e32 v4, 8, v4
	v_cmp_lt_i16_e64 s[0:1], s50, v4
	s_mov_b64 s[40:41], 0
                                        ; implicit-def: $sgpr53
	s_and_saveexec_b64 s[42:43], s[0:1]
	s_xor_b64 s[42:43], exec, s[42:43]
	s_cbranch_execnz .LBB279_152
; %bb.31:                               ;   in Loop: Header=BB279_10 Depth=1
	s_or_saveexec_b64 s[42:43], s[42:43]
	v_mov_b32_e32 v28, s53
	s_xor_b64 exec, exec, s[42:43]
	s_cbranch_execnz .LBB279_155
.LBB279_32:                             ;   in Loop: Header=BB279_10 Depth=1
	s_or_b64 exec, exec, s[42:43]
	s_and_saveexec_b64 s[42:43], s[40:41]
	s_cbranch_execz .LBB279_34
.LBB279_33:                             ;   in Loop: Header=BB279_10 Depth=1
	v_and_b32_e32 v30, 7, v4
	v_ffbh_u32_e32 v28, v30
	v_min_u32_e32 v32, 32, v28
	v_subrev_u32_e32 v28, 28, v32
	v_bfe_u32 v31, v4, 3, 4
	v_lshlrev_b64 v[28:29], v28, v[4:5]
	v_sub_u32_e32 v29, 29, v32
	v_cmp_eq_u32_e64 s[0:1], 0, v31
	v_and_b32_e32 v28, 7, v28
	v_lshlrev_b32_e32 v4, 8, v4
	v_cndmask_b32_e64 v29, v31, v29, s[0:1]
	v_lshl_add_u32 v29, v29, 10, v20
	v_cndmask_b32_e64 v28, v30, v28, s[0:1]
	v_and_or_b32 v4, v4, s52, v29
	v_lshl_or_b32 v4, v28, 7, v4
	v_cvt_f32_f16_e32 v28, v4
.LBB279_34:                             ;   in Loop: Header=BB279_10 Depth=1
	s_or_b64 exec, exec, s[42:43]
	global_load_ushort v4, v[12:13], off offset:264
	s_mov_b64 s[0:1], 0
                                        ; implicit-def: $sgpr44
	s_waitcnt vmcnt(0)
	v_cmp_gt_i16_sdwa s[40:41], v4, s50 src0_sel:BYTE_0 src1_sel:DWORD
	s_and_saveexec_b64 s[42:43], s[40:41]
	s_xor_b64 s[40:41], exec, s[42:43]
	s_cbranch_execnz .LBB279_156
; %bb.35:                               ;   in Loop: Header=BB279_10 Depth=1
	s_or_saveexec_b64 s[40:41], s[40:41]
	v_mov_b32_e32 v29, s44
	s_xor_b64 exec, exec, s[40:41]
	s_cbranch_execnz .LBB279_159
.LBB279_36:                             ;   in Loop: Header=BB279_10 Depth=1
	s_or_b64 exec, exec, s[40:41]
	v_and_b32_e32 v4, 0xffff, v4
	s_and_saveexec_b64 s[40:41], s[0:1]
	s_cbranch_execz .LBB279_38
.LBB279_37:                             ;   in Loop: Header=BB279_10 Depth=1
	v_and_b32_e32 v29, 7, v4
	v_ffbh_u32_e32 v30, v29
	v_min_u32_e32 v33, 32, v30
	v_subrev_u32_e32 v30, 28, v33
	v_bfe_u32 v32, v4, 3, 4
	v_lshlrev_b64 v[30:31], v30, v[4:5]
	v_sub_u32_e32 v31, 29, v33
	v_cmp_eq_u32_e64 s[0:1], 0, v32
	v_and_b32_e32 v30, 7, v30
	s_nop 0
	v_cndmask_b32_e64 v31, v32, v31, s[0:1]
	v_cndmask_b32_e64 v29, v29, v30, s[0:1]
	v_lshlrev_b32_e32 v30, 8, v4
	v_lshl_add_u32 v31, v31, 10, v20
	v_and_or_b32 v30, v30, s52, v31
	v_lshl_or_b32 v29, v29, 7, v30
	v_cvt_f32_f16_e32 v29, v29
.LBB279_38:                             ;   in Loop: Header=BB279_10 Depth=1
	s_or_b64 exec, exec, s[40:41]
	v_lshrrev_b16_e32 v4, 8, v4
	v_cmp_lt_i16_e64 s[0:1], s50, v4
	s_mov_b64 s[40:41], 0
                                        ; implicit-def: $sgpr53
	s_and_saveexec_b64 s[42:43], s[0:1]
	s_xor_b64 s[42:43], exec, s[42:43]
	s_cbranch_execnz .LBB279_160
; %bb.39:                               ;   in Loop: Header=BB279_10 Depth=1
	s_or_saveexec_b64 s[42:43], s[42:43]
	v_mov_b32_e32 v30, s53
	s_xor_b64 exec, exec, s[42:43]
	s_cbranch_execnz .LBB279_163
.LBB279_40:                             ;   in Loop: Header=BB279_10 Depth=1
	s_or_b64 exec, exec, s[42:43]
	s_and_saveexec_b64 s[42:43], s[40:41]
	s_cbranch_execz .LBB279_42
.LBB279_41:                             ;   in Loop: Header=BB279_10 Depth=1
	v_and_b32_e32 v32, 7, v4
	v_ffbh_u32_e32 v30, v32
	v_min_u32_e32 v34, 32, v30
	v_subrev_u32_e32 v30, 28, v34
	v_bfe_u32 v33, v4, 3, 4
	v_lshlrev_b64 v[30:31], v30, v[4:5]
	v_sub_u32_e32 v31, 29, v34
	v_cmp_eq_u32_e64 s[0:1], 0, v33
	v_and_b32_e32 v30, 7, v30
	v_lshlrev_b32_e32 v4, 8, v4
	v_cndmask_b32_e64 v31, v33, v31, s[0:1]
	v_lshl_add_u32 v31, v31, 10, v20
	v_cndmask_b32_e64 v30, v32, v30, s[0:1]
	v_and_or_b32 v4, v4, s52, v31
	v_lshl_or_b32 v4, v30, 7, v4
	v_cvt_f32_f16_e32 v30, v4
.LBB279_42:                             ;   in Loop: Header=BB279_10 Depth=1
	s_or_b64 exec, exec, s[42:43]
	global_load_ushort v4, v[12:13], off offset:512
	s_mov_b64 s[0:1], 0
                                        ; implicit-def: $sgpr44
	s_waitcnt vmcnt(0)
	v_cmp_gt_i16_sdwa s[40:41], v4, s50 src0_sel:BYTE_0 src1_sel:DWORD
	s_and_saveexec_b64 s[42:43], s[40:41]
	s_xor_b64 s[40:41], exec, s[42:43]
	s_cbranch_execnz .LBB279_164
; %bb.43:                               ;   in Loop: Header=BB279_10 Depth=1
	s_or_saveexec_b64 s[40:41], s[40:41]
	v_mov_b32_e32 v31, s44
	s_xor_b64 exec, exec, s[40:41]
	s_cbranch_execnz .LBB279_167
.LBB279_44:                             ;   in Loop: Header=BB279_10 Depth=1
	s_or_b64 exec, exec, s[40:41]
	v_and_b32_e32 v4, 0xffff, v4
	s_and_saveexec_b64 s[40:41], s[0:1]
	s_cbranch_execz .LBB279_46
.LBB279_45:                             ;   in Loop: Header=BB279_10 Depth=1
	v_and_b32_e32 v31, 7, v4
	v_ffbh_u32_e32 v32, v31
	v_min_u32_e32 v35, 32, v32
	v_subrev_u32_e32 v32, 28, v35
	v_bfe_u32 v34, v4, 3, 4
	v_lshlrev_b64 v[32:33], v32, v[4:5]
	v_sub_u32_e32 v33, 29, v35
	v_cmp_eq_u32_e64 s[0:1], 0, v34
	v_and_b32_e32 v32, 7, v32
	s_nop 0
	v_cndmask_b32_e64 v33, v34, v33, s[0:1]
	v_cndmask_b32_e64 v31, v31, v32, s[0:1]
	v_lshlrev_b32_e32 v32, 8, v4
	v_lshl_add_u32 v33, v33, 10, v20
	v_and_or_b32 v32, v32, s52, v33
	v_lshl_or_b32 v31, v31, 7, v32
	v_cvt_f32_f16_e32 v31, v31
.LBB279_46:                             ;   in Loop: Header=BB279_10 Depth=1
	s_or_b64 exec, exec, s[40:41]
	v_lshrrev_b16_e32 v4, 8, v4
	v_cmp_lt_i16_e64 s[0:1], s50, v4
	s_mov_b64 s[40:41], 0
                                        ; implicit-def: $sgpr53
	s_and_saveexec_b64 s[42:43], s[0:1]
	s_xor_b64 s[42:43], exec, s[42:43]
	s_cbranch_execnz .LBB279_168
; %bb.47:                               ;   in Loop: Header=BB279_10 Depth=1
	s_or_saveexec_b64 s[42:43], s[42:43]
	v_mov_b32_e32 v32, s53
	s_xor_b64 exec, exec, s[42:43]
	s_cbranch_execnz .LBB279_171
.LBB279_48:                             ;   in Loop: Header=BB279_10 Depth=1
	s_or_b64 exec, exec, s[42:43]
	s_and_saveexec_b64 s[42:43], s[40:41]
	s_cbranch_execz .LBB279_50
.LBB279_49:                             ;   in Loop: Header=BB279_10 Depth=1
	v_and_b32_e32 v34, 7, v4
	v_ffbh_u32_e32 v32, v34
	v_min_u32_e32 v36, 32, v32
	v_subrev_u32_e32 v32, 28, v36
	v_bfe_u32 v35, v4, 3, 4
	v_lshlrev_b64 v[32:33], v32, v[4:5]
	v_sub_u32_e32 v33, 29, v36
	v_cmp_eq_u32_e64 s[0:1], 0, v35
	v_and_b32_e32 v32, 7, v32
	v_lshlrev_b32_e32 v4, 8, v4
	v_cndmask_b32_e64 v33, v35, v33, s[0:1]
	v_lshl_add_u32 v33, v33, 10, v20
	v_cndmask_b32_e64 v32, v34, v32, s[0:1]
	v_and_or_b32 v4, v4, s52, v33
	v_lshl_or_b32 v4, v32, 7, v4
	v_cvt_f32_f16_e32 v32, v4
.LBB279_50:                             ;   in Loop: Header=BB279_10 Depth=1
	s_or_b64 exec, exec, s[42:43]
	global_load_ushort v4, v[12:13], off offset:520
	s_mov_b64 s[0:1], 0
                                        ; implicit-def: $sgpr44
	s_waitcnt vmcnt(0)
	v_cmp_gt_i16_sdwa s[40:41], v4, s50 src0_sel:BYTE_0 src1_sel:DWORD
	s_and_saveexec_b64 s[42:43], s[40:41]
	s_xor_b64 s[40:41], exec, s[42:43]
	s_cbranch_execnz .LBB279_172
; %bb.51:                               ;   in Loop: Header=BB279_10 Depth=1
	s_or_saveexec_b64 s[40:41], s[40:41]
	v_mov_b32_e32 v33, s44
	s_xor_b64 exec, exec, s[40:41]
	s_cbranch_execnz .LBB279_175
.LBB279_52:                             ;   in Loop: Header=BB279_10 Depth=1
	s_or_b64 exec, exec, s[40:41]
	v_and_b32_e32 v4, 0xffff, v4
	s_and_saveexec_b64 s[40:41], s[0:1]
	s_cbranch_execz .LBB279_54
.LBB279_53:                             ;   in Loop: Header=BB279_10 Depth=1
	v_and_b32_e32 v33, 7, v4
	v_ffbh_u32_e32 v34, v33
	v_min_u32_e32 v37, 32, v34
	v_subrev_u32_e32 v34, 28, v37
	v_bfe_u32 v36, v4, 3, 4
	v_lshlrev_b64 v[34:35], v34, v[4:5]
	v_sub_u32_e32 v35, 29, v37
	v_cmp_eq_u32_e64 s[0:1], 0, v36
	v_and_b32_e32 v34, 7, v34
	s_nop 0
	v_cndmask_b32_e64 v35, v36, v35, s[0:1]
	v_cndmask_b32_e64 v33, v33, v34, s[0:1]
	v_lshlrev_b32_e32 v34, 8, v4
	v_lshl_add_u32 v35, v35, 10, v20
	v_and_or_b32 v34, v34, s52, v35
	v_lshl_or_b32 v33, v33, 7, v34
	v_cvt_f32_f16_e32 v33, v33
.LBB279_54:                             ;   in Loop: Header=BB279_10 Depth=1
	s_or_b64 exec, exec, s[40:41]
	v_lshrrev_b16_e32 v4, 8, v4
	v_cmp_lt_i16_e64 s[0:1], s50, v4
	s_mov_b64 s[40:41], 0
                                        ; implicit-def: $sgpr53
	s_and_saveexec_b64 s[42:43], s[0:1]
	s_xor_b64 s[42:43], exec, s[42:43]
	s_cbranch_execnz .LBB279_176
; %bb.55:                               ;   in Loop: Header=BB279_10 Depth=1
	s_or_saveexec_b64 s[42:43], s[42:43]
	v_mov_b32_e32 v34, s53
	s_xor_b64 exec, exec, s[42:43]
	s_cbranch_execnz .LBB279_179
.LBB279_56:                             ;   in Loop: Header=BB279_10 Depth=1
	s_or_b64 exec, exec, s[42:43]
	s_and_saveexec_b64 s[42:43], s[40:41]
	s_cbranch_execz .LBB279_58
.LBB279_57:                             ;   in Loop: Header=BB279_10 Depth=1
	v_and_b32_e32 v36, 7, v4
	v_ffbh_u32_e32 v34, v36
	v_min_u32_e32 v38, 32, v34
	v_subrev_u32_e32 v34, 28, v38
	v_bfe_u32 v37, v4, 3, 4
	v_lshlrev_b64 v[34:35], v34, v[4:5]
	v_sub_u32_e32 v35, 29, v38
	v_cmp_eq_u32_e64 s[0:1], 0, v37
	v_and_b32_e32 v34, 7, v34
	v_lshlrev_b32_e32 v4, 8, v4
	v_cndmask_b32_e64 v35, v37, v35, s[0:1]
	v_lshl_add_u32 v35, v35, 10, v20
	v_cndmask_b32_e64 v34, v36, v34, s[0:1]
	v_and_or_b32 v4, v4, s52, v35
	v_lshl_or_b32 v4, v34, 7, v4
	v_cvt_f32_f16_e32 v34, v4
.LBB279_58:                             ;   in Loop: Header=BB279_10 Depth=1
	s_or_b64 exec, exec, s[42:43]
	global_load_ushort v4, v[12:13], off offset:768
	s_mov_b64 s[0:1], 0
                                        ; implicit-def: $sgpr44
	s_waitcnt vmcnt(0)
	v_cmp_gt_i16_sdwa s[40:41], v4, s50 src0_sel:BYTE_0 src1_sel:DWORD
	s_and_saveexec_b64 s[42:43], s[40:41]
	s_xor_b64 s[40:41], exec, s[42:43]
	s_cbranch_execnz .LBB279_180
; %bb.59:                               ;   in Loop: Header=BB279_10 Depth=1
	s_or_saveexec_b64 s[40:41], s[40:41]
	v_mov_b32_e32 v35, s44
	s_xor_b64 exec, exec, s[40:41]
	s_cbranch_execnz .LBB279_183
.LBB279_60:                             ;   in Loop: Header=BB279_10 Depth=1
	s_or_b64 exec, exec, s[40:41]
	v_and_b32_e32 v4, 0xffff, v4
	s_and_saveexec_b64 s[40:41], s[0:1]
	s_cbranch_execz .LBB279_62
.LBB279_61:                             ;   in Loop: Header=BB279_10 Depth=1
	v_and_b32_e32 v35, 7, v4
	v_ffbh_u32_e32 v36, v35
	v_min_u32_e32 v39, 32, v36
	v_subrev_u32_e32 v36, 28, v39
	v_bfe_u32 v38, v4, 3, 4
	v_lshlrev_b64 v[36:37], v36, v[4:5]
	v_sub_u32_e32 v37, 29, v39
	v_cmp_eq_u32_e64 s[0:1], 0, v38
	v_and_b32_e32 v36, 7, v36
	s_nop 0
	v_cndmask_b32_e64 v37, v38, v37, s[0:1]
	v_cndmask_b32_e64 v35, v35, v36, s[0:1]
	v_lshlrev_b32_e32 v36, 8, v4
	v_lshl_add_u32 v37, v37, 10, v20
	v_and_or_b32 v36, v36, s52, v37
	v_lshl_or_b32 v35, v35, 7, v36
	v_cvt_f32_f16_e32 v35, v35
.LBB279_62:                             ;   in Loop: Header=BB279_10 Depth=1
	s_or_b64 exec, exec, s[40:41]
	v_lshrrev_b16_e32 v4, 8, v4
	v_cmp_lt_i16_e64 s[0:1], s50, v4
	s_mov_b64 s[40:41], 0
                                        ; implicit-def: $sgpr53
	s_and_saveexec_b64 s[42:43], s[0:1]
	s_xor_b64 s[42:43], exec, s[42:43]
	s_cbranch_execnz .LBB279_184
; %bb.63:                               ;   in Loop: Header=BB279_10 Depth=1
	s_or_saveexec_b64 s[42:43], s[42:43]
	v_mov_b32_e32 v36, s53
	s_xor_b64 exec, exec, s[42:43]
	s_cbranch_execnz .LBB279_187
.LBB279_64:                             ;   in Loop: Header=BB279_10 Depth=1
	s_or_b64 exec, exec, s[42:43]
	s_and_saveexec_b64 s[42:43], s[40:41]
	s_cbranch_execz .LBB279_66
.LBB279_65:                             ;   in Loop: Header=BB279_10 Depth=1
	v_and_b32_e32 v38, 7, v4
	v_ffbh_u32_e32 v36, v38
	v_min_u32_e32 v40, 32, v36
	v_subrev_u32_e32 v36, 28, v40
	v_bfe_u32 v39, v4, 3, 4
	v_lshlrev_b64 v[36:37], v36, v[4:5]
	v_sub_u32_e32 v37, 29, v40
	v_cmp_eq_u32_e64 s[0:1], 0, v39
	v_and_b32_e32 v36, 7, v36
	v_lshlrev_b32_e32 v4, 8, v4
	v_cndmask_b32_e64 v37, v39, v37, s[0:1]
	v_lshl_add_u32 v37, v37, 10, v20
	v_cndmask_b32_e64 v36, v38, v36, s[0:1]
	v_and_or_b32 v4, v4, s52, v37
	v_lshl_or_b32 v4, v36, 7, v4
	v_cvt_f32_f16_e32 v36, v4
.LBB279_66:                             ;   in Loop: Header=BB279_10 Depth=1
	s_or_b64 exec, exec, s[42:43]
	global_load_ushort v4, v[12:13], off offset:776
	s_mov_b64 s[0:1], 0
                                        ; implicit-def: $sgpr44
	s_waitcnt vmcnt(0)
	v_cmp_gt_i16_sdwa s[40:41], v4, s50 src0_sel:BYTE_0 src1_sel:DWORD
	s_and_saveexec_b64 s[42:43], s[40:41]
	s_xor_b64 s[40:41], exec, s[42:43]
	s_cbranch_execnz .LBB279_188
; %bb.67:                               ;   in Loop: Header=BB279_10 Depth=1
	s_or_saveexec_b64 s[40:41], s[40:41]
	v_mov_b32_e32 v37, s44
	s_xor_b64 exec, exec, s[40:41]
	s_cbranch_execnz .LBB279_191
.LBB279_68:                             ;   in Loop: Header=BB279_10 Depth=1
	s_or_b64 exec, exec, s[40:41]
	v_and_b32_e32 v4, 0xffff, v4
	s_and_saveexec_b64 s[40:41], s[0:1]
	s_cbranch_execz .LBB279_70
.LBB279_69:                             ;   in Loop: Header=BB279_10 Depth=1
	v_and_b32_e32 v37, 7, v4
	v_ffbh_u32_e32 v38, v37
	v_min_u32_e32 v41, 32, v38
	v_subrev_u32_e32 v38, 28, v41
	v_bfe_u32 v40, v4, 3, 4
	v_lshlrev_b64 v[38:39], v38, v[4:5]
	v_sub_u32_e32 v39, 29, v41
	v_cmp_eq_u32_e64 s[0:1], 0, v40
	v_and_b32_e32 v38, 7, v38
	s_nop 0
	v_cndmask_b32_e64 v39, v40, v39, s[0:1]
	v_cndmask_b32_e64 v37, v37, v38, s[0:1]
	v_lshlrev_b32_e32 v38, 8, v4
	v_lshl_add_u32 v39, v39, 10, v20
	v_and_or_b32 v38, v38, s52, v39
	v_lshl_or_b32 v37, v37, 7, v38
	v_cvt_f32_f16_e32 v37, v37
.LBB279_70:                             ;   in Loop: Header=BB279_10 Depth=1
	s_or_b64 exec, exec, s[40:41]
	v_lshrrev_b16_e32 v4, 8, v4
	v_cmp_lt_i16_e64 s[0:1], s50, v4
	s_mov_b64 s[40:41], 0
                                        ; implicit-def: $sgpr53
	s_and_saveexec_b64 s[42:43], s[0:1]
	s_xor_b64 s[42:43], exec, s[42:43]
	s_cbranch_execnz .LBB279_192
; %bb.71:                               ;   in Loop: Header=BB279_10 Depth=1
	s_or_saveexec_b64 s[42:43], s[42:43]
	v_mov_b32_e32 v38, s53
	s_xor_b64 exec, exec, s[42:43]
	s_cbranch_execnz .LBB279_195
.LBB279_72:                             ;   in Loop: Header=BB279_10 Depth=1
	s_or_b64 exec, exec, s[42:43]
	s_and_saveexec_b64 s[42:43], s[40:41]
	s_cbranch_execz .LBB279_74
.LBB279_73:                             ;   in Loop: Header=BB279_10 Depth=1
	v_and_b32_e32 v40, 7, v4
	v_ffbh_u32_e32 v38, v40
	v_min_u32_e32 v42, 32, v38
	v_subrev_u32_e32 v38, 28, v42
	v_bfe_u32 v41, v4, 3, 4
	v_lshlrev_b64 v[38:39], v38, v[4:5]
	v_sub_u32_e32 v39, 29, v42
	v_cmp_eq_u32_e64 s[0:1], 0, v41
	v_and_b32_e32 v38, 7, v38
	v_lshlrev_b32_e32 v4, 8, v4
	v_cndmask_b32_e64 v39, v41, v39, s[0:1]
	v_lshl_add_u32 v39, v39, 10, v20
	v_cndmask_b32_e64 v38, v40, v38, s[0:1]
	v_and_or_b32 v4, v4, s52, v39
	v_lshl_or_b32 v4, v38, 7, v4
	v_cvt_f32_f16_e32 v38, v4
.LBB279_74:                             ;   in Loop: Header=BB279_10 Depth=1
	s_or_b64 exec, exec, s[42:43]
	global_load_ushort v4, v[12:13], off offset:1024
	s_mov_b64 s[0:1], 0
                                        ; implicit-def: $sgpr44
	s_waitcnt vmcnt(0)
	v_cmp_gt_i16_sdwa s[40:41], v4, s50 src0_sel:BYTE_0 src1_sel:DWORD
	s_and_saveexec_b64 s[42:43], s[40:41]
	s_xor_b64 s[40:41], exec, s[42:43]
	s_cbranch_execnz .LBB279_196
; %bb.75:                               ;   in Loop: Header=BB279_10 Depth=1
	s_or_saveexec_b64 s[40:41], s[40:41]
	v_mov_b32_e32 v39, s44
	s_xor_b64 exec, exec, s[40:41]
	s_cbranch_execnz .LBB279_199
.LBB279_76:                             ;   in Loop: Header=BB279_10 Depth=1
	s_or_b64 exec, exec, s[40:41]
	v_and_b32_e32 v4, 0xffff, v4
	s_and_saveexec_b64 s[40:41], s[0:1]
	s_cbranch_execz .LBB279_78
.LBB279_77:                             ;   in Loop: Header=BB279_10 Depth=1
	v_and_b32_e32 v39, 7, v4
	v_ffbh_u32_e32 v40, v39
	v_min_u32_e32 v43, 32, v40
	v_subrev_u32_e32 v40, 28, v43
	v_bfe_u32 v42, v4, 3, 4
	v_lshlrev_b64 v[40:41], v40, v[4:5]
	v_sub_u32_e32 v41, 29, v43
	v_cmp_eq_u32_e64 s[0:1], 0, v42
	v_and_b32_e32 v40, 7, v40
	s_nop 0
	v_cndmask_b32_e64 v41, v42, v41, s[0:1]
	v_cndmask_b32_e64 v39, v39, v40, s[0:1]
	v_lshlrev_b32_e32 v40, 8, v4
	v_lshl_add_u32 v41, v41, 10, v20
	v_and_or_b32 v40, v40, s52, v41
	v_lshl_or_b32 v39, v39, 7, v40
	v_cvt_f32_f16_e32 v39, v39
.LBB279_78:                             ;   in Loop: Header=BB279_10 Depth=1
	s_or_b64 exec, exec, s[40:41]
	v_lshrrev_b16_e32 v4, 8, v4
	v_cmp_lt_i16_e64 s[0:1], s50, v4
	s_mov_b64 s[40:41], 0
                                        ; implicit-def: $sgpr53
	s_and_saveexec_b64 s[42:43], s[0:1]
	s_xor_b64 s[42:43], exec, s[42:43]
	s_cbranch_execnz .LBB279_200
; %bb.79:                               ;   in Loop: Header=BB279_10 Depth=1
	s_or_saveexec_b64 s[42:43], s[42:43]
	v_mov_b32_e32 v40, s53
	s_xor_b64 exec, exec, s[42:43]
	s_cbranch_execnz .LBB279_203
.LBB279_80:                             ;   in Loop: Header=BB279_10 Depth=1
	s_or_b64 exec, exec, s[42:43]
	s_and_saveexec_b64 s[42:43], s[40:41]
	s_cbranch_execz .LBB279_82
.LBB279_81:                             ;   in Loop: Header=BB279_10 Depth=1
	v_and_b32_e32 v42, 7, v4
	v_ffbh_u32_e32 v40, v42
	v_min_u32_e32 v44, 32, v40
	v_subrev_u32_e32 v40, 28, v44
	v_bfe_u32 v43, v4, 3, 4
	v_lshlrev_b64 v[40:41], v40, v[4:5]
	v_sub_u32_e32 v41, 29, v44
	v_cmp_eq_u32_e64 s[0:1], 0, v43
	v_and_b32_e32 v40, 7, v40
	v_lshlrev_b32_e32 v4, 8, v4
	v_cndmask_b32_e64 v41, v43, v41, s[0:1]
	v_lshl_add_u32 v41, v41, 10, v20
	v_cndmask_b32_e64 v40, v42, v40, s[0:1]
	v_and_or_b32 v4, v4, s52, v41
	v_lshl_or_b32 v4, v40, 7, v4
	v_cvt_f32_f16_e32 v40, v4
.LBB279_82:                             ;   in Loop: Header=BB279_10 Depth=1
	s_or_b64 exec, exec, s[42:43]
	global_load_ushort v4, v[12:13], off offset:1032
	s_mov_b64 s[0:1], 0
                                        ; implicit-def: $sgpr44
	s_waitcnt vmcnt(0)
	v_cmp_gt_i16_sdwa s[40:41], v4, s50 src0_sel:BYTE_0 src1_sel:DWORD
	s_and_saveexec_b64 s[42:43], s[40:41]
	s_xor_b64 s[40:41], exec, s[42:43]
	s_cbranch_execnz .LBB279_204
; %bb.83:                               ;   in Loop: Header=BB279_10 Depth=1
	s_or_saveexec_b64 s[40:41], s[40:41]
	v_mov_b32_e32 v41, s44
	s_xor_b64 exec, exec, s[40:41]
	s_cbranch_execnz .LBB279_207
.LBB279_84:                             ;   in Loop: Header=BB279_10 Depth=1
	s_or_b64 exec, exec, s[40:41]
	v_and_b32_e32 v4, 0xffff, v4
	s_and_saveexec_b64 s[40:41], s[0:1]
	s_cbranch_execz .LBB279_86
.LBB279_85:                             ;   in Loop: Header=BB279_10 Depth=1
	v_and_b32_e32 v41, 7, v4
	v_ffbh_u32_e32 v42, v41
	v_min_u32_e32 v45, 32, v42
	v_subrev_u32_e32 v42, 28, v45
	v_bfe_u32 v44, v4, 3, 4
	v_lshlrev_b64 v[42:43], v42, v[4:5]
	v_sub_u32_e32 v43, 29, v45
	v_cmp_eq_u32_e64 s[0:1], 0, v44
	v_and_b32_e32 v42, 7, v42
	s_nop 0
	v_cndmask_b32_e64 v43, v44, v43, s[0:1]
	v_cndmask_b32_e64 v41, v41, v42, s[0:1]
	v_lshlrev_b32_e32 v42, 8, v4
	v_lshl_add_u32 v43, v43, 10, v20
	v_and_or_b32 v42, v42, s52, v43
	v_lshl_or_b32 v41, v41, 7, v42
	v_cvt_f32_f16_e32 v41, v41
.LBB279_86:                             ;   in Loop: Header=BB279_10 Depth=1
	s_or_b64 exec, exec, s[40:41]
	v_lshrrev_b16_e32 v4, 8, v4
	v_cmp_lt_i16_e64 s[0:1], s50, v4
	s_mov_b64 s[40:41], 0
                                        ; implicit-def: $sgpr53
	s_and_saveexec_b64 s[42:43], s[0:1]
	s_xor_b64 s[42:43], exec, s[42:43]
	s_cbranch_execnz .LBB279_208
; %bb.87:                               ;   in Loop: Header=BB279_10 Depth=1
	s_or_saveexec_b64 s[42:43], s[42:43]
	v_mov_b32_e32 v42, s53
	s_xor_b64 exec, exec, s[42:43]
	s_cbranch_execnz .LBB279_211
.LBB279_88:                             ;   in Loop: Header=BB279_10 Depth=1
	s_or_b64 exec, exec, s[42:43]
	s_and_saveexec_b64 s[42:43], s[40:41]
	s_cbranch_execz .LBB279_90
.LBB279_89:                             ;   in Loop: Header=BB279_10 Depth=1
	v_and_b32_e32 v44, 7, v4
	v_ffbh_u32_e32 v42, v44
	v_min_u32_e32 v46, 32, v42
	v_subrev_u32_e32 v42, 28, v46
	v_bfe_u32 v45, v4, 3, 4
	v_lshlrev_b64 v[42:43], v42, v[4:5]
	v_sub_u32_e32 v43, 29, v46
	v_cmp_eq_u32_e64 s[0:1], 0, v45
	v_and_b32_e32 v42, 7, v42
	v_lshlrev_b32_e32 v4, 8, v4
	v_cndmask_b32_e64 v43, v45, v43, s[0:1]
	v_lshl_add_u32 v43, v43, 10, v20
	v_cndmask_b32_e64 v42, v44, v42, s[0:1]
	v_and_or_b32 v4, v4, s52, v43
	v_lshl_or_b32 v4, v42, 7, v4
	v_cvt_f32_f16_e32 v42, v4
.LBB279_90:                             ;   in Loop: Header=BB279_10 Depth=1
	s_or_b64 exec, exec, s[42:43]
	global_load_ushort v4, v[12:13], off offset:1280
	s_mov_b64 s[0:1], 0
                                        ; implicit-def: $sgpr44
	s_waitcnt vmcnt(0)
	v_cmp_gt_i16_sdwa s[40:41], v4, s50 src0_sel:BYTE_0 src1_sel:DWORD
	s_and_saveexec_b64 s[42:43], s[40:41]
	s_xor_b64 s[40:41], exec, s[42:43]
	s_cbranch_execnz .LBB279_212
; %bb.91:                               ;   in Loop: Header=BB279_10 Depth=1
	s_or_saveexec_b64 s[40:41], s[40:41]
	v_mov_b32_e32 v43, s44
	s_xor_b64 exec, exec, s[40:41]
	s_cbranch_execnz .LBB279_215
.LBB279_92:                             ;   in Loop: Header=BB279_10 Depth=1
	s_or_b64 exec, exec, s[40:41]
	v_and_b32_e32 v4, 0xffff, v4
	s_and_saveexec_b64 s[40:41], s[0:1]
	s_cbranch_execz .LBB279_94
.LBB279_93:                             ;   in Loop: Header=BB279_10 Depth=1
	v_and_b32_e32 v43, 7, v4
	v_ffbh_u32_e32 v44, v43
	v_min_u32_e32 v47, 32, v44
	v_subrev_u32_e32 v44, 28, v47
	v_bfe_u32 v46, v4, 3, 4
	v_lshlrev_b64 v[44:45], v44, v[4:5]
	v_sub_u32_e32 v45, 29, v47
	v_cmp_eq_u32_e64 s[0:1], 0, v46
	v_and_b32_e32 v44, 7, v44
	s_nop 0
	v_cndmask_b32_e64 v45, v46, v45, s[0:1]
	v_cndmask_b32_e64 v43, v43, v44, s[0:1]
	v_lshlrev_b32_e32 v44, 8, v4
	v_lshl_add_u32 v45, v45, 10, v20
	v_and_or_b32 v44, v44, s52, v45
	v_lshl_or_b32 v43, v43, 7, v44
	v_cvt_f32_f16_e32 v43, v43
.LBB279_94:                             ;   in Loop: Header=BB279_10 Depth=1
	s_or_b64 exec, exec, s[40:41]
	v_lshrrev_b16_e32 v4, 8, v4
	v_cmp_lt_i16_e64 s[0:1], s50, v4
	s_mov_b64 s[40:41], 0
                                        ; implicit-def: $sgpr53
	s_and_saveexec_b64 s[42:43], s[0:1]
	s_xor_b64 s[42:43], exec, s[42:43]
	s_cbranch_execnz .LBB279_216
; %bb.95:                               ;   in Loop: Header=BB279_10 Depth=1
	s_or_saveexec_b64 s[42:43], s[42:43]
	v_mov_b32_e32 v44, s53
	s_xor_b64 exec, exec, s[42:43]
	s_cbranch_execnz .LBB279_219
.LBB279_96:                             ;   in Loop: Header=BB279_10 Depth=1
	s_or_b64 exec, exec, s[42:43]
	s_and_saveexec_b64 s[42:43], s[40:41]
	s_cbranch_execz .LBB279_98
.LBB279_97:                             ;   in Loop: Header=BB279_10 Depth=1
	v_and_b32_e32 v46, 7, v4
	v_ffbh_u32_e32 v44, v46
	v_min_u32_e32 v48, 32, v44
	v_subrev_u32_e32 v44, 28, v48
	v_bfe_u32 v47, v4, 3, 4
	v_lshlrev_b64 v[44:45], v44, v[4:5]
	v_sub_u32_e32 v45, 29, v48
	v_cmp_eq_u32_e64 s[0:1], 0, v47
	v_and_b32_e32 v44, 7, v44
	v_lshlrev_b32_e32 v4, 8, v4
	v_cndmask_b32_e64 v45, v47, v45, s[0:1]
	v_lshl_add_u32 v45, v45, 10, v20
	v_cndmask_b32_e64 v44, v46, v44, s[0:1]
	v_and_or_b32 v4, v4, s52, v45
	v_lshl_or_b32 v4, v44, 7, v4
	v_cvt_f32_f16_e32 v44, v4
.LBB279_98:                             ;   in Loop: Header=BB279_10 Depth=1
	s_or_b64 exec, exec, s[42:43]
	global_load_ushort v4, v[12:13], off offset:1288
	s_mov_b64 s[0:1], 0
                                        ; implicit-def: $sgpr44
	s_waitcnt vmcnt(0)
	v_cmp_gt_i16_sdwa s[40:41], v4, s50 src0_sel:BYTE_0 src1_sel:DWORD
	s_and_saveexec_b64 s[42:43], s[40:41]
	s_xor_b64 s[40:41], exec, s[42:43]
	s_cbranch_execnz .LBB279_220
; %bb.99:                               ;   in Loop: Header=BB279_10 Depth=1
	s_or_saveexec_b64 s[40:41], s[40:41]
	v_mov_b32_e32 v45, s44
	s_xor_b64 exec, exec, s[40:41]
	s_cbranch_execnz .LBB279_223
.LBB279_100:                            ;   in Loop: Header=BB279_10 Depth=1
	s_or_b64 exec, exec, s[40:41]
	v_and_b32_e32 v4, 0xffff, v4
	s_and_saveexec_b64 s[40:41], s[0:1]
	s_cbranch_execz .LBB279_102
.LBB279_101:                            ;   in Loop: Header=BB279_10 Depth=1
	v_and_b32_e32 v45, 7, v4
	v_ffbh_u32_e32 v46, v45
	v_min_u32_e32 v49, 32, v46
	v_subrev_u32_e32 v46, 28, v49
	v_bfe_u32 v48, v4, 3, 4
	v_lshlrev_b64 v[46:47], v46, v[4:5]
	v_sub_u32_e32 v47, 29, v49
	v_cmp_eq_u32_e64 s[0:1], 0, v48
	v_and_b32_e32 v46, 7, v46
	s_nop 0
	v_cndmask_b32_e64 v47, v48, v47, s[0:1]
	v_cndmask_b32_e64 v45, v45, v46, s[0:1]
	v_lshlrev_b32_e32 v46, 8, v4
	v_lshl_add_u32 v47, v47, 10, v20
	v_and_or_b32 v46, v46, s52, v47
	v_lshl_or_b32 v45, v45, 7, v46
	v_cvt_f32_f16_e32 v45, v45
.LBB279_102:                            ;   in Loop: Header=BB279_10 Depth=1
	s_or_b64 exec, exec, s[40:41]
	v_lshrrev_b16_e32 v4, 8, v4
	v_cmp_lt_i16_e64 s[0:1], s50, v4
	s_mov_b64 s[40:41], 0
                                        ; implicit-def: $sgpr53
	s_and_saveexec_b64 s[42:43], s[0:1]
	s_xor_b64 s[42:43], exec, s[42:43]
	s_cbranch_execnz .LBB279_224
; %bb.103:                              ;   in Loop: Header=BB279_10 Depth=1
	s_or_saveexec_b64 s[42:43], s[42:43]
	v_mov_b32_e32 v46, s53
	s_xor_b64 exec, exec, s[42:43]
	s_cbranch_execnz .LBB279_227
.LBB279_104:                            ;   in Loop: Header=BB279_10 Depth=1
	s_or_b64 exec, exec, s[42:43]
	s_and_saveexec_b64 s[42:43], s[40:41]
	s_cbranch_execz .LBB279_106
.LBB279_105:                            ;   in Loop: Header=BB279_10 Depth=1
	v_and_b32_e32 v48, 7, v4
	v_ffbh_u32_e32 v46, v48
	v_min_u32_e32 v50, 32, v46
	v_subrev_u32_e32 v46, 28, v50
	v_bfe_u32 v49, v4, 3, 4
	v_lshlrev_b64 v[46:47], v46, v[4:5]
	v_sub_u32_e32 v47, 29, v50
	v_cmp_eq_u32_e64 s[0:1], 0, v49
	v_and_b32_e32 v46, 7, v46
	v_lshlrev_b32_e32 v4, 8, v4
	v_cndmask_b32_e64 v47, v49, v47, s[0:1]
	v_lshl_add_u32 v47, v47, 10, v20
	v_cndmask_b32_e64 v46, v48, v46, s[0:1]
	v_and_or_b32 v4, v4, s52, v47
	v_lshl_or_b32 v4, v46, 7, v4
	v_cvt_f32_f16_e32 v46, v4
.LBB279_106:                            ;   in Loop: Header=BB279_10 Depth=1
	s_or_b64 exec, exec, s[42:43]
	global_load_ushort v4, v[12:13], off offset:1536
	s_mov_b64 s[0:1], 0
                                        ; implicit-def: $sgpr44
	s_waitcnt vmcnt(0)
	v_cmp_gt_i16_sdwa s[40:41], v4, s50 src0_sel:BYTE_0 src1_sel:DWORD
	s_and_saveexec_b64 s[42:43], s[40:41]
	s_xor_b64 s[40:41], exec, s[42:43]
	s_cbranch_execnz .LBB279_228
; %bb.107:                              ;   in Loop: Header=BB279_10 Depth=1
	s_or_saveexec_b64 s[40:41], s[40:41]
	v_mov_b32_e32 v47, s44
	s_xor_b64 exec, exec, s[40:41]
	s_cbranch_execnz .LBB279_231
.LBB279_108:                            ;   in Loop: Header=BB279_10 Depth=1
	s_or_b64 exec, exec, s[40:41]
	v_and_b32_e32 v4, 0xffff, v4
	s_and_saveexec_b64 s[40:41], s[0:1]
	s_cbranch_execz .LBB279_110
.LBB279_109:                            ;   in Loop: Header=BB279_10 Depth=1
	v_and_b32_e32 v47, 7, v4
	v_ffbh_u32_e32 v48, v47
	v_min_u32_e32 v51, 32, v48
	v_subrev_u32_e32 v48, 28, v51
	v_bfe_u32 v50, v4, 3, 4
	v_lshlrev_b64 v[48:49], v48, v[4:5]
	v_sub_u32_e32 v49, 29, v51
	v_cmp_eq_u32_e64 s[0:1], 0, v50
	v_and_b32_e32 v48, 7, v48
	s_nop 0
	v_cndmask_b32_e64 v49, v50, v49, s[0:1]
	v_cndmask_b32_e64 v47, v47, v48, s[0:1]
	v_lshlrev_b32_e32 v48, 8, v4
	v_lshl_add_u32 v49, v49, 10, v20
	v_and_or_b32 v48, v48, s52, v49
	v_lshl_or_b32 v47, v47, 7, v48
	v_cvt_f32_f16_e32 v47, v47
.LBB279_110:                            ;   in Loop: Header=BB279_10 Depth=1
	s_or_b64 exec, exec, s[40:41]
	v_lshrrev_b16_e32 v4, 8, v4
	v_cmp_lt_i16_e64 s[0:1], s50, v4
	s_mov_b64 s[40:41], 0
                                        ; implicit-def: $sgpr53
	s_and_saveexec_b64 s[42:43], s[0:1]
	s_xor_b64 s[42:43], exec, s[42:43]
	s_cbranch_execnz .LBB279_232
; %bb.111:                              ;   in Loop: Header=BB279_10 Depth=1
	s_or_saveexec_b64 s[42:43], s[42:43]
	v_mov_b32_e32 v48, s53
	s_xor_b64 exec, exec, s[42:43]
	s_cbranch_execnz .LBB279_235
.LBB279_112:                            ;   in Loop: Header=BB279_10 Depth=1
	s_or_b64 exec, exec, s[42:43]
	s_and_saveexec_b64 s[42:43], s[40:41]
	s_cbranch_execz .LBB279_114
.LBB279_113:                            ;   in Loop: Header=BB279_10 Depth=1
	v_and_b32_e32 v50, 7, v4
	v_ffbh_u32_e32 v48, v50
	v_min_u32_e32 v52, 32, v48
	v_subrev_u32_e32 v48, 28, v52
	v_bfe_u32 v51, v4, 3, 4
	v_lshlrev_b64 v[48:49], v48, v[4:5]
	v_sub_u32_e32 v49, 29, v52
	v_cmp_eq_u32_e64 s[0:1], 0, v51
	v_and_b32_e32 v48, 7, v48
	v_lshlrev_b32_e32 v4, 8, v4
	v_cndmask_b32_e64 v49, v51, v49, s[0:1]
	v_lshl_add_u32 v49, v49, 10, v20
	v_cndmask_b32_e64 v48, v50, v48, s[0:1]
	v_and_or_b32 v4, v4, s52, v49
	v_lshl_or_b32 v4, v48, 7, v4
	v_cvt_f32_f16_e32 v48, v4
.LBB279_114:                            ;   in Loop: Header=BB279_10 Depth=1
	s_or_b64 exec, exec, s[42:43]
	global_load_ushort v4, v[12:13], off offset:1544
	s_mov_b64 s[0:1], 0
                                        ; implicit-def: $sgpr44
	s_waitcnt vmcnt(0)
	v_cmp_gt_i16_sdwa s[40:41], v4, s50 src0_sel:BYTE_0 src1_sel:DWORD
	s_and_saveexec_b64 s[42:43], s[40:41]
	s_xor_b64 s[40:41], exec, s[42:43]
	s_cbranch_execnz .LBB279_236
; %bb.115:                              ;   in Loop: Header=BB279_10 Depth=1
	s_or_saveexec_b64 s[40:41], s[40:41]
	v_mov_b32_e32 v49, s44
	s_xor_b64 exec, exec, s[40:41]
	s_cbranch_execnz .LBB279_239
.LBB279_116:                            ;   in Loop: Header=BB279_10 Depth=1
	s_or_b64 exec, exec, s[40:41]
	v_and_b32_e32 v4, 0xffff, v4
	s_and_saveexec_b64 s[40:41], s[0:1]
	s_cbranch_execz .LBB279_118
.LBB279_117:                            ;   in Loop: Header=BB279_10 Depth=1
	v_and_b32_e32 v49, 7, v4
	v_ffbh_u32_e32 v50, v49
	v_min_u32_e32 v53, 32, v50
	v_subrev_u32_e32 v50, 28, v53
	v_bfe_u32 v52, v4, 3, 4
	v_lshlrev_b64 v[50:51], v50, v[4:5]
	v_sub_u32_e32 v51, 29, v53
	v_cmp_eq_u32_e64 s[0:1], 0, v52
	v_and_b32_e32 v50, 7, v50
	s_nop 0
	v_cndmask_b32_e64 v51, v52, v51, s[0:1]
	v_cndmask_b32_e64 v49, v49, v50, s[0:1]
	v_lshlrev_b32_e32 v50, 8, v4
	v_lshl_add_u32 v51, v51, 10, v20
	v_and_or_b32 v50, v50, s52, v51
	v_lshl_or_b32 v49, v49, 7, v50
	v_cvt_f32_f16_e32 v49, v49
.LBB279_118:                            ;   in Loop: Header=BB279_10 Depth=1
	s_or_b64 exec, exec, s[40:41]
	v_lshrrev_b16_e32 v4, 8, v4
	v_cmp_lt_i16_e64 s[0:1], s50, v4
	s_mov_b64 s[40:41], 0
                                        ; implicit-def: $sgpr53
	s_and_saveexec_b64 s[42:43], s[0:1]
	s_xor_b64 s[42:43], exec, s[42:43]
	s_cbranch_execnz .LBB279_240
; %bb.119:                              ;   in Loop: Header=BB279_10 Depth=1
	s_or_saveexec_b64 s[42:43], s[42:43]
	v_mov_b32_e32 v50, s53
	s_xor_b64 exec, exec, s[42:43]
	s_cbranch_execnz .LBB279_243
.LBB279_120:                            ;   in Loop: Header=BB279_10 Depth=1
	s_or_b64 exec, exec, s[42:43]
	s_and_saveexec_b64 s[42:43], s[40:41]
	s_cbranch_execz .LBB279_122
.LBB279_121:                            ;   in Loop: Header=BB279_10 Depth=1
	v_and_b32_e32 v52, 7, v4
	v_ffbh_u32_e32 v50, v52
	v_min_u32_e32 v54, 32, v50
	v_subrev_u32_e32 v50, 28, v54
	v_bfe_u32 v53, v4, 3, 4
	v_lshlrev_b64 v[50:51], v50, v[4:5]
	v_sub_u32_e32 v51, 29, v54
	v_cmp_eq_u32_e64 s[0:1], 0, v53
	v_and_b32_e32 v50, 7, v50
	v_lshlrev_b32_e32 v4, 8, v4
	v_cndmask_b32_e64 v51, v53, v51, s[0:1]
	v_lshl_add_u32 v51, v51, 10, v20
	v_cndmask_b32_e64 v50, v52, v50, s[0:1]
	v_and_or_b32 v4, v4, s52, v51
	v_lshl_or_b32 v4, v50, 7, v4
	v_cvt_f32_f16_e32 v50, v4
.LBB279_122:                            ;   in Loop: Header=BB279_10 Depth=1
	s_or_b64 exec, exec, s[42:43]
	global_load_ushort v4, v[12:13], off offset:1792
	s_mov_b64 s[0:1], 0
                                        ; implicit-def: $sgpr44
	s_waitcnt vmcnt(0)
	v_cmp_gt_i16_sdwa s[40:41], v4, s50 src0_sel:BYTE_0 src1_sel:DWORD
	s_and_saveexec_b64 s[42:43], s[40:41]
	s_xor_b64 s[40:41], exec, s[42:43]
	s_cbranch_execnz .LBB279_244
; %bb.123:                              ;   in Loop: Header=BB279_10 Depth=1
	s_or_saveexec_b64 s[40:41], s[40:41]
	v_mov_b32_e32 v12, s44
	s_xor_b64 exec, exec, s[40:41]
	s_cbranch_execnz .LBB279_247
.LBB279_124:                            ;   in Loop: Header=BB279_10 Depth=1
	s_or_b64 exec, exec, s[40:41]
	v_and_b32_e32 v4, 0xffff, v4
	s_and_saveexec_b64 s[40:41], s[0:1]
	s_cbranch_execz .LBB279_126
.LBB279_125:                            ;   in Loop: Header=BB279_10 Depth=1
	v_and_b32_e32 v51, 7, v4
	v_ffbh_u32_e32 v12, v51
	v_min_u32_e32 v53, 32, v12
	v_subrev_u32_e32 v12, 28, v53
	v_bfe_u32 v52, v4, 3, 4
	v_lshlrev_b64 v[12:13], v12, v[4:5]
	v_sub_u32_e32 v13, 29, v53
	v_cmp_eq_u32_e64 s[0:1], 0, v52
	v_and_b32_e32 v12, 7, v12
	s_nop 0
	v_cndmask_b32_e64 v13, v52, v13, s[0:1]
	v_cndmask_b32_e64 v12, v51, v12, s[0:1]
	v_lshlrev_b32_e32 v51, 8, v4
	v_lshl_add_u32 v13, v13, 10, v20
	v_and_or_b32 v13, v51, s52, v13
	v_lshl_or_b32 v12, v12, 7, v13
	v_cvt_f32_f16_e32 v12, v12
.LBB279_126:                            ;   in Loop: Header=BB279_10 Depth=1
	s_or_b64 exec, exec, s[40:41]
	v_lshrrev_b16_e32 v4, 8, v4
	v_cmp_lt_i16_e64 s[0:1], s50, v4
	s_mov_b64 s[40:41], 0
                                        ; implicit-def: $sgpr53
	s_and_saveexec_b64 s[42:43], s[0:1]
	s_xor_b64 s[42:43], exec, s[42:43]
	s_cbranch_execnz .LBB279_248
; %bb.127:                              ;   in Loop: Header=BB279_10 Depth=1
	s_or_saveexec_b64 s[42:43], s[42:43]
	v_mov_b32_e32 v13, s53
	s_xor_b64 exec, exec, s[42:43]
	s_cbranch_execnz .LBB279_251
.LBB279_128:                            ;   in Loop: Header=BB279_10 Depth=1
	s_or_b64 exec, exec, s[42:43]
	s_and_saveexec_b64 s[42:43], s[40:41]
	s_cbranch_execz .LBB279_130
.LBB279_129:                            ;   in Loop: Header=BB279_10 Depth=1
	v_and_b32_e32 v13, 7, v4
	v_ffbh_u32_e32 v52, v13
	v_min_u32_e32 v54, 32, v52
	v_subrev_u32_e32 v52, 28, v54
	v_bfe_u32 v51, v4, 3, 4
	v_lshlrev_b64 v[52:53], v52, v[4:5]
	v_sub_u32_e32 v53, 29, v54
	v_cmp_eq_u32_e64 s[0:1], 0, v51
	v_and_b32_e32 v52, 7, v52
	v_lshlrev_b32_e32 v4, 8, v4
	v_cndmask_b32_e64 v51, v51, v53, s[0:1]
	v_lshl_add_u32 v51, v51, 10, v20
	v_cndmask_b32_e64 v13, v13, v52, s[0:1]
	v_and_or_b32 v4, v4, s52, v51
	v_lshl_or_b32 v4, v13, 7, v4
	v_cvt_f32_f16_e32 v13, v4
.LBB279_130:                            ;   in Loop: Header=BB279_10 Depth=1
	s_or_b64 exec, exec, s[42:43]
	ds_read_b32 v4, v17
	v_fma_mixlo_f16 v23, v22, v23, 0
	v_fma_mixlo_f16 v24, v22, v24, 0
	v_and_b32_e32 v23, 0xffff, v23
	v_and_b32_e32 v24, 0xffff, v24
	s_waitcnt lgkmcnt(0)
	v_lshrrev_b32_e32 v51, 16, v4
	v_and_b32_e32 v4, 0xffff, v4
	;;#ASMSTART
	v_cvt_f32_f16 v4, v4;
	;;#ASMEND
	;;#ASMSTART
	v_cvt_f32_f16 v51, v51;
	;;#ASMEND
	;;#ASMSTART
	v_cvt_f32_f16 v23, v23;
	;;#ASMEND
	;;#ASMSTART
	v_cvt_f32_f16 v24, v24;
	;;#ASMEND
	ds_read_b32 v52, v17 offset:4
	v_fma_mixlo_f16 v25, v22, v25, 0
	v_fma_mixlo_f16 v26, v22, v26, 0
	v_and_b32_e32 v25, 0xffff, v25
	v_and_b32_e32 v26, 0xffff, v26
	s_waitcnt lgkmcnt(0)
	v_lshrrev_b32_e32 v53, 16, v52
	v_and_b32_e32 v52, 0xffff, v52
	;;#ASMSTART
	v_cvt_f32_f16 v52, v52;
	;;#ASMEND
	;;#ASMSTART
	v_cvt_f32_f16 v53, v53;
	;;#ASMEND
	;;#ASMSTART
	v_cvt_f32_f16 v25, v25;
	;;#ASMEND
	;;#ASMSTART
	v_cvt_f32_f16 v26, v26;
	;;#ASMEND
	ds_read_b32 v54, v17 offset:8
	v_fma_mixlo_f16 v27, v22, v27, 0
	v_fma_mixlo_f16 v28, v22, v28, 0
	v_and_b32_e32 v27, 0xffff, v27
	v_and_b32_e32 v28, 0xffff, v28
	s_waitcnt lgkmcnt(0)
	v_lshrrev_b32_e32 v55, 16, v54
	v_and_b32_e32 v54, 0xffff, v54
	;;#ASMSTART
	v_cvt_f32_f16 v54, v54;
	;;#ASMEND
	;;#ASMSTART
	v_cvt_f32_f16 v55, v55;
	;;#ASMEND
	;;#ASMSTART
	v_cvt_f32_f16 v27, v27;
	;;#ASMEND
	;;#ASMSTART
	v_cvt_f32_f16 v28, v28;
	;;#ASMEND
	ds_read_b32 v56, v17 offset:12
	v_fma_mixlo_f16 v29, v22, v29, 0
	v_fma_mixlo_f16 v30, v22, v30, 0
	v_and_b32_e32 v29, 0xffff, v29
	v_and_b32_e32 v30, 0xffff, v30
	s_waitcnt lgkmcnt(0)
	v_lshrrev_b32_e32 v57, 16, v56
	v_and_b32_e32 v56, 0xffff, v56
	;;#ASMSTART
	v_cvt_f32_f16 v56, v56;
	;;#ASMEND
	;;#ASMSTART
	v_cvt_f32_f16 v57, v57;
	;;#ASMEND
	;;#ASMSTART
	v_cvt_f32_f16 v29, v29;
	;;#ASMEND
	;;#ASMSTART
	v_cvt_f32_f16 v30, v30;
	;;#ASMEND
	ds_read_b32 v58, v17 offset:16
	v_fma_mixlo_f16 v31, v22, v31, 0
	v_fma_mixlo_f16 v32, v22, v32, 0
	v_and_b32_e32 v31, 0xffff, v31
	v_and_b32_e32 v32, 0xffff, v32
	s_waitcnt lgkmcnt(0)
	v_lshrrev_b32_e32 v59, 16, v58
	v_and_b32_e32 v58, 0xffff, v58
	;;#ASMSTART
	v_cvt_f32_f16 v58, v58;
	;;#ASMEND
	;;#ASMSTART
	v_cvt_f32_f16 v59, v59;
	;;#ASMEND
	;;#ASMSTART
	v_cvt_f32_f16 v31, v31;
	;;#ASMEND
	;;#ASMSTART
	v_cvt_f32_f16 v32, v32;
	;;#ASMEND
	ds_read_b32 v60, v17 offset:20
	v_fma_mixlo_f16 v33, v22, v33, 0
	v_fma_mixlo_f16 v34, v22, v34, 0
	v_and_b32_e32 v33, 0xffff, v33
	v_and_b32_e32 v34, 0xffff, v34
	s_waitcnt lgkmcnt(0)
	v_lshrrev_b32_e32 v61, 16, v60
	v_and_b32_e32 v60, 0xffff, v60
	;;#ASMSTART
	v_cvt_f32_f16 v60, v60;
	;;#ASMEND
	;;#ASMSTART
	v_cvt_f32_f16 v61, v61;
	;;#ASMEND
	;;#ASMSTART
	v_cvt_f32_f16 v33, v33;
	;;#ASMEND
	;;#ASMSTART
	v_cvt_f32_f16 v34, v34;
	;;#ASMEND
	ds_read_b32 v62, v17 offset:24
	v_fma_mixlo_f16 v35, v22, v35, 0
	v_fma_mixlo_f16 v36, v22, v36, 0
	v_and_b32_e32 v35, 0xffff, v35
	v_and_b32_e32 v36, 0xffff, v36
	s_waitcnt lgkmcnt(0)
	v_lshrrev_b32_e32 v63, 16, v62
	v_and_b32_e32 v62, 0xffff, v62
	;;#ASMSTART
	v_cvt_f32_f16 v62, v62;
	;;#ASMEND
	;;#ASMSTART
	v_cvt_f32_f16 v63, v63;
	;;#ASMEND
	;;#ASMSTART
	v_cvt_f32_f16 v35, v35;
	;;#ASMEND
	;;#ASMSTART
	v_cvt_f32_f16 v36, v36;
	;;#ASMEND
	ds_read_b32 v64, v17 offset:28
	v_fma_mixlo_f16 v37, v22, v37, 0
	v_fma_mixlo_f16 v38, v22, v38, 0
	;; [unrolled: 1-line block ×16, first 2 shown]
	s_waitcnt lgkmcnt(0)
	v_lshrrev_b32_e32 v22, 16, v64
	v_and_b32_e32 v64, 0xffff, v64
	v_and_b32_e32 v37, 0xffff, v37
	;; [unrolled: 1-line block ×3, first 2 shown]
	;;#ASMSTART
	v_cvt_f32_f16 v64, v64;
	;;#ASMEND
	;;#ASMSTART
	v_cvt_f32_f16 v22, v22;
	;;#ASMEND
	;; [unrolled: 3-line block ×4, first 2 shown]
	ds_read_b32 v65, v17 offset:32
	v_mul_f32_e32 v25, v52, v25
	v_fmac_f32_e32 v25, v4, v23
	v_mul_f32_e32 v4, v53, v26
	v_fmac_f32_e32 v4, v51, v24
	s_waitcnt lgkmcnt(0)
	v_lshrrev_b32_e32 v23, 16, v65
	v_and_b32_e32 v24, 0xffff, v65
	v_and_b32_e32 v26, 0xffff, v39
	v_and_b32_e32 v39, 0xffff, v40
	;;#ASMSTART
	v_cvt_f32_f16 v24, v24;
	;;#ASMEND
	;;#ASMSTART
	v_cvt_f32_f16 v23, v23;
	;;#ASMEND
	;;#ASMSTART
	v_cvt_f32_f16 v26, v26;
	;;#ASMEND
	;;#ASMSTART
	v_cvt_f32_f16 v39, v39;
	;;#ASMEND
	ds_read_b32 v40, v17 offset:36
	v_fmac_f32_e32 v25, v54, v27
	v_fmac_f32_e32 v4, v55, v28
	v_fmac_f32_e32 v25, v56, v29
	v_fmac_f32_e32 v4, v57, v30
	s_waitcnt lgkmcnt(0)
	v_lshrrev_b32_e32 v27, 16, v40
	v_and_b32_e32 v28, 0xffff, v40
	v_and_b32_e32 v29, 0xffff, v41
	v_and_b32_e32 v30, 0xffff, v42
	;;#ASMSTART
	v_cvt_f32_f16 v28, v28;
	;;#ASMEND
	;;#ASMSTART
	v_cvt_f32_f16 v27, v27;
	;;#ASMEND
	;;#ASMSTART
	v_cvt_f32_f16 v29, v29;
	;;#ASMEND
	;;#ASMSTART
	v_cvt_f32_f16 v30, v30;
	;;#ASMEND
	ds_read_b32 v40, v17 offset:40
	v_fmac_f32_e32 v25, v58, v31
	v_fmac_f32_e32 v4, v59, v32
	v_fmac_f32_e32 v25, v60, v33
	;; [unrolled: 22-line block ×4, first 2 shown]
	v_and_b32_e32 v26, 0xffff, v47
	s_waitcnt lgkmcnt(0)
	v_lshrrev_b32_e32 v23, 16, v38
	v_and_b32_e32 v24, 0xffff, v38
	v_and_b32_e32 v27, 0xffff, v48
	v_fmac_f32_e32 v25, v28, v29
	;;#ASMSTART
	v_cvt_f32_f16 v24, v24;
	;;#ASMEND
	;;#ASMSTART
	v_cvt_f32_f16 v23, v23;
	;;#ASMEND
	;; [unrolled: 3-line block ×4, first 2 shown]
	ds_read_b32 v28, v17 offset:52
	v_fmac_f32_e32 v4, v31, v34
	v_fmac_f32_e32 v4, v22, v37
	v_and_b32_e32 v29, 0xffff, v49
	v_and_b32_e32 v30, 0xffff, v50
	s_waitcnt lgkmcnt(0)
	v_lshrrev_b32_e32 v22, 16, v28
	v_and_b32_e32 v28, 0xffff, v28
	;;#ASMSTART
	v_cvt_f32_f16 v28, v28;
	;;#ASMEND
	;;#ASMSTART
	v_cvt_f32_f16 v22, v22;
	;;#ASMEND
	;;#ASMSTART
	v_cvt_f32_f16 v29, v29;
	;;#ASMEND
	;;#ASMSTART
	v_cvt_f32_f16 v30, v30;
	;;#ASMEND
	ds_read_b32 v31, v17 offset:56
	v_fmac_f32_e32 v25, v32, v33
	v_fmac_f32_e32 v25, v35, v36
	;; [unrolled: 1-line block ×6, first 2 shown]
	s_waitcnt lgkmcnt(0)
	v_lshrrev_b32_e32 v22, 16, v31
	v_and_b32_e32 v23, 0xffff, v31
	v_and_b32_e32 v12, 0xffff, v12
	;; [unrolled: 1-line block ×3, first 2 shown]
	;;#ASMSTART
	v_cvt_f32_f16 v23, v23;
	;;#ASMEND
	;;#ASMSTART
	v_cvt_f32_f16 v22, v22;
	;;#ASMEND
	;; [unrolled: 3-line block ×4, first 2 shown]
	s_nop 0
	v_fmac_f32_e32 v25, v23, v12
	v_fmac_f32_e32 v4, v22, v13
	v_add_f32_e32 v12, v25, v4
	v_and_b32_e32 v4, 64, v16
	v_add_u32_e32 v4, 64, v4
	v_xor_b32_e32 v13, 2, v16
	v_cmp_lt_i32_e64 s[0:1], v13, v4
	s_nop 1
	v_cndmask_b32_e64 v13, v16, v13, s[0:1]
	v_lshlrev_b32_e32 v13, 2, v13
	ds_bpermute_b32 v13, v13, v12
	s_waitcnt lgkmcnt(0)
	v_add_f32_e32 v12, v12, v13
	v_xor_b32_e32 v13, 1, v16
	v_cmp_lt_i32_e64 s[0:1], v13, v4
	s_nop 1
	v_cndmask_b32_e64 v13, v16, v13, s[0:1]
	v_lshlrev_b32_e32 v13, 2, v13
	ds_bpermute_b32 v13, v13, v12
	s_and_saveexec_b64 s[40:41], vcc
	s_cbranch_execz .LBB279_9
; %bb.131:                              ;   in Loop: Header=BB279_10 Depth=1
	v_add_u32_e32 v22, s49, v18
	v_cvt_f32_i32_e32 v22, v22
	s_waitcnt lgkmcnt(0)
	v_add_f32_e32 v12, v12, v13
	v_cmp_gt_i32_e64 s[0:1], s29, v18
	v_max_f32_e32 v13, v1, v1
	v_mul_f32_e32 v22, s47, v22
	v_cndmask_b32_e64 v22, 0, v22, s[6:7]
	v_fmac_f32_e32 v22, s11, v12
	v_cndmask_b32_e64 v12, 0, v22, s[0:1]
	ds_write_b32 v19, v12
	v_max_f32_e32 v12, v13, v22
	v_cndmask_b32_e64 v1, v1, v12, s[0:1]
	s_branch .LBB279_9
.LBB279_132:                            ;   in Loop: Header=BB279_10 Depth=1
	v_cmp_eq_u16_sdwa s[54:55], v4, s51 src0_sel:BYTE_0 src1_sel:DWORD
	s_mov_b64 s[0:1], -1
                                        ; implicit-def: $sgpr44
	s_and_saveexec_b64 s[42:43], s[54:55]
; %bb.133:                              ;   in Loop: Header=BB279_10 Depth=1
	s_mov_b32 s44, 0x7fc02000
	s_xor_b64 s[0:1], exec, -1
; %bb.134:                              ;   in Loop: Header=BB279_10 Depth=1
	s_or_b64 exec, exec, s[42:43]
	s_and_b64 s[0:1], s[0:1], exec
	s_or_saveexec_b64 s[40:41], s[40:41]
	v_mov_b32_e32 v23, s44
	s_xor_b64 exec, exec, s[40:41]
	s_cbranch_execz .LBB279_12
.LBB279_135:                            ;   in Loop: Header=BB279_10 Depth=1
	v_cmp_ne_u16_sdwa s[42:43], v4, v5 src0_sel:BYTE_0 src1_sel:DWORD
	s_andn2_b64 s[0:1], s[0:1], exec
	s_and_b64 s[42:43], s[42:43], exec
	v_mov_b32_e32 v23, 0
	s_or_b64 s[0:1], s[0:1], s[42:43]
	s_or_b64 exec, exec, s[40:41]
	v_and_b32_e32 v4, 0xffff, v4
	s_and_saveexec_b64 s[40:41], s[0:1]
	s_cbranch_execnz .LBB279_13
	s_branch .LBB279_14
.LBB279_136:                            ;   in Loop: Header=BB279_10 Depth=1
	v_cmp_eq_u16_e64 s[0:1], s51, v4
	s_mov_b64 s[40:41], -1
                                        ; implicit-def: $sgpr53
	s_and_saveexec_b64 s[44:45], s[0:1]
; %bb.137:                              ;   in Loop: Header=BB279_10 Depth=1
	s_mov_b32 s53, 0x7fc02000
	s_xor_b64 s[40:41], exec, -1
; %bb.138:                              ;   in Loop: Header=BB279_10 Depth=1
	s_or_b64 exec, exec, s[44:45]
	s_and_b64 s[40:41], s[40:41], exec
	s_or_saveexec_b64 s[42:43], s[42:43]
	v_mov_b32_e32 v24, s53
	s_xor_b64 exec, exec, s[42:43]
	s_cbranch_execz .LBB279_16
.LBB279_139:                            ;   in Loop: Header=BB279_10 Depth=1
	v_cmp_ne_u16_e64 s[0:1], 0, v4
	s_andn2_b64 s[40:41], s[40:41], exec
	s_and_b64 s[0:1], s[0:1], exec
	v_mov_b32_e32 v24, 0
	s_or_b64 s[40:41], s[40:41], s[0:1]
	s_or_b64 exec, exec, s[42:43]
	s_and_saveexec_b64 s[42:43], s[40:41]
	s_cbranch_execnz .LBB279_17
	s_branch .LBB279_18
.LBB279_140:                            ;   in Loop: Header=BB279_10 Depth=1
	v_cmp_eq_u16_sdwa s[54:55], v4, s51 src0_sel:BYTE_0 src1_sel:DWORD
	s_mov_b64 s[0:1], -1
                                        ; implicit-def: $sgpr44
	s_and_saveexec_b64 s[42:43], s[54:55]
; %bb.141:                              ;   in Loop: Header=BB279_10 Depth=1
	s_mov_b32 s44, 0x7fc02000
	s_xor_b64 s[0:1], exec, -1
; %bb.142:                              ;   in Loop: Header=BB279_10 Depth=1
	s_or_b64 exec, exec, s[42:43]
	s_and_b64 s[0:1], s[0:1], exec
	s_or_saveexec_b64 s[40:41], s[40:41]
	v_mov_b32_e32 v25, s44
	s_xor_b64 exec, exec, s[40:41]
	s_cbranch_execz .LBB279_20
.LBB279_143:                            ;   in Loop: Header=BB279_10 Depth=1
	v_cmp_ne_u16_sdwa s[42:43], v4, v5 src0_sel:BYTE_0 src1_sel:DWORD
	s_andn2_b64 s[0:1], s[0:1], exec
	s_and_b64 s[42:43], s[42:43], exec
	v_mov_b32_e32 v25, 0
	s_or_b64 s[0:1], s[0:1], s[42:43]
	s_or_b64 exec, exec, s[40:41]
	v_and_b32_e32 v4, 0xffff, v4
	s_and_saveexec_b64 s[40:41], s[0:1]
	s_cbranch_execnz .LBB279_21
	s_branch .LBB279_22
.LBB279_144:                            ;   in Loop: Header=BB279_10 Depth=1
	v_cmp_eq_u16_e64 s[0:1], s51, v4
	s_mov_b64 s[40:41], -1
                                        ; implicit-def: $sgpr53
	s_and_saveexec_b64 s[44:45], s[0:1]
; %bb.145:                              ;   in Loop: Header=BB279_10 Depth=1
	s_mov_b32 s53, 0x7fc02000
	s_xor_b64 s[40:41], exec, -1
; %bb.146:                              ;   in Loop: Header=BB279_10 Depth=1
	s_or_b64 exec, exec, s[44:45]
	s_and_b64 s[40:41], s[40:41], exec
	s_or_saveexec_b64 s[42:43], s[42:43]
	v_mov_b32_e32 v26, s53
	s_xor_b64 exec, exec, s[42:43]
	s_cbranch_execz .LBB279_24
.LBB279_147:                            ;   in Loop: Header=BB279_10 Depth=1
	v_cmp_ne_u16_e64 s[0:1], 0, v4
	s_andn2_b64 s[40:41], s[40:41], exec
	s_and_b64 s[0:1], s[0:1], exec
	v_mov_b32_e32 v26, 0
	s_or_b64 s[40:41], s[40:41], s[0:1]
	s_or_b64 exec, exec, s[42:43]
	s_and_saveexec_b64 s[42:43], s[40:41]
	s_cbranch_execnz .LBB279_25
	s_branch .LBB279_26
.LBB279_148:                            ;   in Loop: Header=BB279_10 Depth=1
	v_cmp_eq_u16_sdwa s[54:55], v4, s51 src0_sel:BYTE_0 src1_sel:DWORD
	s_mov_b64 s[0:1], -1
                                        ; implicit-def: $sgpr44
	s_and_saveexec_b64 s[42:43], s[54:55]
; %bb.149:                              ;   in Loop: Header=BB279_10 Depth=1
	s_mov_b32 s44, 0x7fc02000
	s_xor_b64 s[0:1], exec, -1
; %bb.150:                              ;   in Loop: Header=BB279_10 Depth=1
	s_or_b64 exec, exec, s[42:43]
	s_and_b64 s[0:1], s[0:1], exec
	s_or_saveexec_b64 s[40:41], s[40:41]
	v_mov_b32_e32 v27, s44
	s_xor_b64 exec, exec, s[40:41]
	s_cbranch_execz .LBB279_28
.LBB279_151:                            ;   in Loop: Header=BB279_10 Depth=1
	v_cmp_ne_u16_sdwa s[42:43], v4, v5 src0_sel:BYTE_0 src1_sel:DWORD
	s_andn2_b64 s[0:1], s[0:1], exec
	s_and_b64 s[42:43], s[42:43], exec
	v_mov_b32_e32 v27, 0
	s_or_b64 s[0:1], s[0:1], s[42:43]
	s_or_b64 exec, exec, s[40:41]
	v_and_b32_e32 v4, 0xffff, v4
	s_and_saveexec_b64 s[40:41], s[0:1]
	s_cbranch_execnz .LBB279_29
	s_branch .LBB279_30
.LBB279_152:                            ;   in Loop: Header=BB279_10 Depth=1
	v_cmp_eq_u16_e64 s[0:1], s51, v4
	s_mov_b64 s[40:41], -1
                                        ; implicit-def: $sgpr53
	s_and_saveexec_b64 s[44:45], s[0:1]
; %bb.153:                              ;   in Loop: Header=BB279_10 Depth=1
	s_mov_b32 s53, 0x7fc02000
	s_xor_b64 s[40:41], exec, -1
; %bb.154:                              ;   in Loop: Header=BB279_10 Depth=1
	s_or_b64 exec, exec, s[44:45]
	s_and_b64 s[40:41], s[40:41], exec
	s_or_saveexec_b64 s[42:43], s[42:43]
	v_mov_b32_e32 v28, s53
	s_xor_b64 exec, exec, s[42:43]
	s_cbranch_execz .LBB279_32
.LBB279_155:                            ;   in Loop: Header=BB279_10 Depth=1
	v_cmp_ne_u16_e64 s[0:1], 0, v4
	s_andn2_b64 s[40:41], s[40:41], exec
	s_and_b64 s[0:1], s[0:1], exec
	v_mov_b32_e32 v28, 0
	s_or_b64 s[40:41], s[40:41], s[0:1]
	s_or_b64 exec, exec, s[42:43]
	s_and_saveexec_b64 s[42:43], s[40:41]
	s_cbranch_execnz .LBB279_33
	s_branch .LBB279_34
.LBB279_156:                            ;   in Loop: Header=BB279_10 Depth=1
	v_cmp_eq_u16_sdwa s[54:55], v4, s51 src0_sel:BYTE_0 src1_sel:DWORD
	s_mov_b64 s[0:1], -1
                                        ; implicit-def: $sgpr44
	s_and_saveexec_b64 s[42:43], s[54:55]
; %bb.157:                              ;   in Loop: Header=BB279_10 Depth=1
	s_mov_b32 s44, 0x7fc02000
	s_xor_b64 s[0:1], exec, -1
; %bb.158:                              ;   in Loop: Header=BB279_10 Depth=1
	s_or_b64 exec, exec, s[42:43]
	s_and_b64 s[0:1], s[0:1], exec
	s_or_saveexec_b64 s[40:41], s[40:41]
	v_mov_b32_e32 v29, s44
	s_xor_b64 exec, exec, s[40:41]
	s_cbranch_execz .LBB279_36
.LBB279_159:                            ;   in Loop: Header=BB279_10 Depth=1
	v_cmp_ne_u16_sdwa s[42:43], v4, v5 src0_sel:BYTE_0 src1_sel:DWORD
	s_andn2_b64 s[0:1], s[0:1], exec
	s_and_b64 s[42:43], s[42:43], exec
	v_mov_b32_e32 v29, 0
	s_or_b64 s[0:1], s[0:1], s[42:43]
	s_or_b64 exec, exec, s[40:41]
	v_and_b32_e32 v4, 0xffff, v4
	s_and_saveexec_b64 s[40:41], s[0:1]
	s_cbranch_execnz .LBB279_37
	s_branch .LBB279_38
.LBB279_160:                            ;   in Loop: Header=BB279_10 Depth=1
	v_cmp_eq_u16_e64 s[0:1], s51, v4
	s_mov_b64 s[40:41], -1
                                        ; implicit-def: $sgpr53
	s_and_saveexec_b64 s[44:45], s[0:1]
; %bb.161:                              ;   in Loop: Header=BB279_10 Depth=1
	s_mov_b32 s53, 0x7fc02000
	s_xor_b64 s[40:41], exec, -1
; %bb.162:                              ;   in Loop: Header=BB279_10 Depth=1
	s_or_b64 exec, exec, s[44:45]
	s_and_b64 s[40:41], s[40:41], exec
	s_or_saveexec_b64 s[42:43], s[42:43]
	v_mov_b32_e32 v30, s53
	s_xor_b64 exec, exec, s[42:43]
	s_cbranch_execz .LBB279_40
.LBB279_163:                            ;   in Loop: Header=BB279_10 Depth=1
	v_cmp_ne_u16_e64 s[0:1], 0, v4
	s_andn2_b64 s[40:41], s[40:41], exec
	s_and_b64 s[0:1], s[0:1], exec
	v_mov_b32_e32 v30, 0
	s_or_b64 s[40:41], s[40:41], s[0:1]
	s_or_b64 exec, exec, s[42:43]
	s_and_saveexec_b64 s[42:43], s[40:41]
	s_cbranch_execnz .LBB279_41
	s_branch .LBB279_42
.LBB279_164:                            ;   in Loop: Header=BB279_10 Depth=1
	v_cmp_eq_u16_sdwa s[54:55], v4, s51 src0_sel:BYTE_0 src1_sel:DWORD
	s_mov_b64 s[0:1], -1
                                        ; implicit-def: $sgpr44
	s_and_saveexec_b64 s[42:43], s[54:55]
; %bb.165:                              ;   in Loop: Header=BB279_10 Depth=1
	s_mov_b32 s44, 0x7fc02000
	s_xor_b64 s[0:1], exec, -1
; %bb.166:                              ;   in Loop: Header=BB279_10 Depth=1
	s_or_b64 exec, exec, s[42:43]
	s_and_b64 s[0:1], s[0:1], exec
	s_or_saveexec_b64 s[40:41], s[40:41]
	v_mov_b32_e32 v31, s44
	s_xor_b64 exec, exec, s[40:41]
	s_cbranch_execz .LBB279_44
.LBB279_167:                            ;   in Loop: Header=BB279_10 Depth=1
	v_cmp_ne_u16_sdwa s[42:43], v4, v5 src0_sel:BYTE_0 src1_sel:DWORD
	s_andn2_b64 s[0:1], s[0:1], exec
	s_and_b64 s[42:43], s[42:43], exec
	v_mov_b32_e32 v31, 0
	s_or_b64 s[0:1], s[0:1], s[42:43]
	s_or_b64 exec, exec, s[40:41]
	v_and_b32_e32 v4, 0xffff, v4
	s_and_saveexec_b64 s[40:41], s[0:1]
	s_cbranch_execnz .LBB279_45
	s_branch .LBB279_46
.LBB279_168:                            ;   in Loop: Header=BB279_10 Depth=1
	v_cmp_eq_u16_e64 s[0:1], s51, v4
	s_mov_b64 s[40:41], -1
                                        ; implicit-def: $sgpr53
	s_and_saveexec_b64 s[44:45], s[0:1]
; %bb.169:                              ;   in Loop: Header=BB279_10 Depth=1
	s_mov_b32 s53, 0x7fc02000
	s_xor_b64 s[40:41], exec, -1
; %bb.170:                              ;   in Loop: Header=BB279_10 Depth=1
	s_or_b64 exec, exec, s[44:45]
	s_and_b64 s[40:41], s[40:41], exec
	s_or_saveexec_b64 s[42:43], s[42:43]
	v_mov_b32_e32 v32, s53
	s_xor_b64 exec, exec, s[42:43]
	s_cbranch_execz .LBB279_48
.LBB279_171:                            ;   in Loop: Header=BB279_10 Depth=1
	v_cmp_ne_u16_e64 s[0:1], 0, v4
	s_andn2_b64 s[40:41], s[40:41], exec
	s_and_b64 s[0:1], s[0:1], exec
	v_mov_b32_e32 v32, 0
	s_or_b64 s[40:41], s[40:41], s[0:1]
	s_or_b64 exec, exec, s[42:43]
	s_and_saveexec_b64 s[42:43], s[40:41]
	s_cbranch_execnz .LBB279_49
	s_branch .LBB279_50
.LBB279_172:                            ;   in Loop: Header=BB279_10 Depth=1
	v_cmp_eq_u16_sdwa s[54:55], v4, s51 src0_sel:BYTE_0 src1_sel:DWORD
	s_mov_b64 s[0:1], -1
                                        ; implicit-def: $sgpr44
	s_and_saveexec_b64 s[42:43], s[54:55]
; %bb.173:                              ;   in Loop: Header=BB279_10 Depth=1
	s_mov_b32 s44, 0x7fc02000
	s_xor_b64 s[0:1], exec, -1
; %bb.174:                              ;   in Loop: Header=BB279_10 Depth=1
	s_or_b64 exec, exec, s[42:43]
	s_and_b64 s[0:1], s[0:1], exec
	s_or_saveexec_b64 s[40:41], s[40:41]
	v_mov_b32_e32 v33, s44
	s_xor_b64 exec, exec, s[40:41]
	s_cbranch_execz .LBB279_52
.LBB279_175:                            ;   in Loop: Header=BB279_10 Depth=1
	v_cmp_ne_u16_sdwa s[42:43], v4, v5 src0_sel:BYTE_0 src1_sel:DWORD
	s_andn2_b64 s[0:1], s[0:1], exec
	s_and_b64 s[42:43], s[42:43], exec
	v_mov_b32_e32 v33, 0
	s_or_b64 s[0:1], s[0:1], s[42:43]
	s_or_b64 exec, exec, s[40:41]
	v_and_b32_e32 v4, 0xffff, v4
	s_and_saveexec_b64 s[40:41], s[0:1]
	s_cbranch_execnz .LBB279_53
	s_branch .LBB279_54
.LBB279_176:                            ;   in Loop: Header=BB279_10 Depth=1
	v_cmp_eq_u16_e64 s[0:1], s51, v4
	s_mov_b64 s[40:41], -1
                                        ; implicit-def: $sgpr53
	s_and_saveexec_b64 s[44:45], s[0:1]
; %bb.177:                              ;   in Loop: Header=BB279_10 Depth=1
	s_mov_b32 s53, 0x7fc02000
	s_xor_b64 s[40:41], exec, -1
; %bb.178:                              ;   in Loop: Header=BB279_10 Depth=1
	s_or_b64 exec, exec, s[44:45]
	s_and_b64 s[40:41], s[40:41], exec
	s_or_saveexec_b64 s[42:43], s[42:43]
	v_mov_b32_e32 v34, s53
	s_xor_b64 exec, exec, s[42:43]
	s_cbranch_execz .LBB279_56
.LBB279_179:                            ;   in Loop: Header=BB279_10 Depth=1
	v_cmp_ne_u16_e64 s[0:1], 0, v4
	s_andn2_b64 s[40:41], s[40:41], exec
	s_and_b64 s[0:1], s[0:1], exec
	v_mov_b32_e32 v34, 0
	s_or_b64 s[40:41], s[40:41], s[0:1]
	s_or_b64 exec, exec, s[42:43]
	s_and_saveexec_b64 s[42:43], s[40:41]
	s_cbranch_execnz .LBB279_57
	s_branch .LBB279_58
.LBB279_180:                            ;   in Loop: Header=BB279_10 Depth=1
	v_cmp_eq_u16_sdwa s[54:55], v4, s51 src0_sel:BYTE_0 src1_sel:DWORD
	s_mov_b64 s[0:1], -1
                                        ; implicit-def: $sgpr44
	s_and_saveexec_b64 s[42:43], s[54:55]
; %bb.181:                              ;   in Loop: Header=BB279_10 Depth=1
	s_mov_b32 s44, 0x7fc02000
	s_xor_b64 s[0:1], exec, -1
; %bb.182:                              ;   in Loop: Header=BB279_10 Depth=1
	s_or_b64 exec, exec, s[42:43]
	s_and_b64 s[0:1], s[0:1], exec
	s_or_saveexec_b64 s[40:41], s[40:41]
	v_mov_b32_e32 v35, s44
	s_xor_b64 exec, exec, s[40:41]
	s_cbranch_execz .LBB279_60
.LBB279_183:                            ;   in Loop: Header=BB279_10 Depth=1
	v_cmp_ne_u16_sdwa s[42:43], v4, v5 src0_sel:BYTE_0 src1_sel:DWORD
	s_andn2_b64 s[0:1], s[0:1], exec
	s_and_b64 s[42:43], s[42:43], exec
	v_mov_b32_e32 v35, 0
	s_or_b64 s[0:1], s[0:1], s[42:43]
	s_or_b64 exec, exec, s[40:41]
	v_and_b32_e32 v4, 0xffff, v4
	s_and_saveexec_b64 s[40:41], s[0:1]
	s_cbranch_execnz .LBB279_61
	s_branch .LBB279_62
.LBB279_184:                            ;   in Loop: Header=BB279_10 Depth=1
	v_cmp_eq_u16_e64 s[0:1], s51, v4
	s_mov_b64 s[40:41], -1
                                        ; implicit-def: $sgpr53
	s_and_saveexec_b64 s[44:45], s[0:1]
; %bb.185:                              ;   in Loop: Header=BB279_10 Depth=1
	s_mov_b32 s53, 0x7fc02000
	s_xor_b64 s[40:41], exec, -1
; %bb.186:                              ;   in Loop: Header=BB279_10 Depth=1
	s_or_b64 exec, exec, s[44:45]
	s_and_b64 s[40:41], s[40:41], exec
	s_or_saveexec_b64 s[42:43], s[42:43]
	v_mov_b32_e32 v36, s53
	s_xor_b64 exec, exec, s[42:43]
	s_cbranch_execz .LBB279_64
.LBB279_187:                            ;   in Loop: Header=BB279_10 Depth=1
	v_cmp_ne_u16_e64 s[0:1], 0, v4
	s_andn2_b64 s[40:41], s[40:41], exec
	s_and_b64 s[0:1], s[0:1], exec
	v_mov_b32_e32 v36, 0
	s_or_b64 s[40:41], s[40:41], s[0:1]
	s_or_b64 exec, exec, s[42:43]
	s_and_saveexec_b64 s[42:43], s[40:41]
	s_cbranch_execnz .LBB279_65
	s_branch .LBB279_66
.LBB279_188:                            ;   in Loop: Header=BB279_10 Depth=1
	v_cmp_eq_u16_sdwa s[54:55], v4, s51 src0_sel:BYTE_0 src1_sel:DWORD
	s_mov_b64 s[0:1], -1
                                        ; implicit-def: $sgpr44
	s_and_saveexec_b64 s[42:43], s[54:55]
; %bb.189:                              ;   in Loop: Header=BB279_10 Depth=1
	s_mov_b32 s44, 0x7fc02000
	s_xor_b64 s[0:1], exec, -1
; %bb.190:                              ;   in Loop: Header=BB279_10 Depth=1
	s_or_b64 exec, exec, s[42:43]
	s_and_b64 s[0:1], s[0:1], exec
	s_or_saveexec_b64 s[40:41], s[40:41]
	v_mov_b32_e32 v37, s44
	s_xor_b64 exec, exec, s[40:41]
	s_cbranch_execz .LBB279_68
.LBB279_191:                            ;   in Loop: Header=BB279_10 Depth=1
	v_cmp_ne_u16_sdwa s[42:43], v4, v5 src0_sel:BYTE_0 src1_sel:DWORD
	s_andn2_b64 s[0:1], s[0:1], exec
	s_and_b64 s[42:43], s[42:43], exec
	v_mov_b32_e32 v37, 0
	s_or_b64 s[0:1], s[0:1], s[42:43]
	s_or_b64 exec, exec, s[40:41]
	v_and_b32_e32 v4, 0xffff, v4
	s_and_saveexec_b64 s[40:41], s[0:1]
	s_cbranch_execnz .LBB279_69
	s_branch .LBB279_70
.LBB279_192:                            ;   in Loop: Header=BB279_10 Depth=1
	v_cmp_eq_u16_e64 s[0:1], s51, v4
	s_mov_b64 s[40:41], -1
                                        ; implicit-def: $sgpr53
	s_and_saveexec_b64 s[44:45], s[0:1]
; %bb.193:                              ;   in Loop: Header=BB279_10 Depth=1
	s_mov_b32 s53, 0x7fc02000
	s_xor_b64 s[40:41], exec, -1
; %bb.194:                              ;   in Loop: Header=BB279_10 Depth=1
	s_or_b64 exec, exec, s[44:45]
	s_and_b64 s[40:41], s[40:41], exec
	s_or_saveexec_b64 s[42:43], s[42:43]
	v_mov_b32_e32 v38, s53
	s_xor_b64 exec, exec, s[42:43]
	s_cbranch_execz .LBB279_72
.LBB279_195:                            ;   in Loop: Header=BB279_10 Depth=1
	v_cmp_ne_u16_e64 s[0:1], 0, v4
	s_andn2_b64 s[40:41], s[40:41], exec
	s_and_b64 s[0:1], s[0:1], exec
	v_mov_b32_e32 v38, 0
	s_or_b64 s[40:41], s[40:41], s[0:1]
	s_or_b64 exec, exec, s[42:43]
	s_and_saveexec_b64 s[42:43], s[40:41]
	s_cbranch_execnz .LBB279_73
	s_branch .LBB279_74
.LBB279_196:                            ;   in Loop: Header=BB279_10 Depth=1
	v_cmp_eq_u16_sdwa s[54:55], v4, s51 src0_sel:BYTE_0 src1_sel:DWORD
	s_mov_b64 s[0:1], -1
                                        ; implicit-def: $sgpr44
	s_and_saveexec_b64 s[42:43], s[54:55]
; %bb.197:                              ;   in Loop: Header=BB279_10 Depth=1
	s_mov_b32 s44, 0x7fc02000
	s_xor_b64 s[0:1], exec, -1
; %bb.198:                              ;   in Loop: Header=BB279_10 Depth=1
	s_or_b64 exec, exec, s[42:43]
	s_and_b64 s[0:1], s[0:1], exec
	s_or_saveexec_b64 s[40:41], s[40:41]
	v_mov_b32_e32 v39, s44
	s_xor_b64 exec, exec, s[40:41]
	s_cbranch_execz .LBB279_76
.LBB279_199:                            ;   in Loop: Header=BB279_10 Depth=1
	v_cmp_ne_u16_sdwa s[42:43], v4, v5 src0_sel:BYTE_0 src1_sel:DWORD
	s_andn2_b64 s[0:1], s[0:1], exec
	s_and_b64 s[42:43], s[42:43], exec
	v_mov_b32_e32 v39, 0
	s_or_b64 s[0:1], s[0:1], s[42:43]
	s_or_b64 exec, exec, s[40:41]
	v_and_b32_e32 v4, 0xffff, v4
	s_and_saveexec_b64 s[40:41], s[0:1]
	s_cbranch_execnz .LBB279_77
	s_branch .LBB279_78
.LBB279_200:                            ;   in Loop: Header=BB279_10 Depth=1
	v_cmp_eq_u16_e64 s[0:1], s51, v4
	s_mov_b64 s[40:41], -1
                                        ; implicit-def: $sgpr53
	s_and_saveexec_b64 s[44:45], s[0:1]
; %bb.201:                              ;   in Loop: Header=BB279_10 Depth=1
	s_mov_b32 s53, 0x7fc02000
	s_xor_b64 s[40:41], exec, -1
; %bb.202:                              ;   in Loop: Header=BB279_10 Depth=1
	s_or_b64 exec, exec, s[44:45]
	s_and_b64 s[40:41], s[40:41], exec
	s_or_saveexec_b64 s[42:43], s[42:43]
	v_mov_b32_e32 v40, s53
	s_xor_b64 exec, exec, s[42:43]
	s_cbranch_execz .LBB279_80
.LBB279_203:                            ;   in Loop: Header=BB279_10 Depth=1
	v_cmp_ne_u16_e64 s[0:1], 0, v4
	s_andn2_b64 s[40:41], s[40:41], exec
	s_and_b64 s[0:1], s[0:1], exec
	v_mov_b32_e32 v40, 0
	s_or_b64 s[40:41], s[40:41], s[0:1]
	s_or_b64 exec, exec, s[42:43]
	s_and_saveexec_b64 s[42:43], s[40:41]
	s_cbranch_execnz .LBB279_81
	s_branch .LBB279_82
.LBB279_204:                            ;   in Loop: Header=BB279_10 Depth=1
	v_cmp_eq_u16_sdwa s[54:55], v4, s51 src0_sel:BYTE_0 src1_sel:DWORD
	s_mov_b64 s[0:1], -1
                                        ; implicit-def: $sgpr44
	s_and_saveexec_b64 s[42:43], s[54:55]
; %bb.205:                              ;   in Loop: Header=BB279_10 Depth=1
	s_mov_b32 s44, 0x7fc02000
	s_xor_b64 s[0:1], exec, -1
; %bb.206:                              ;   in Loop: Header=BB279_10 Depth=1
	s_or_b64 exec, exec, s[42:43]
	s_and_b64 s[0:1], s[0:1], exec
	s_or_saveexec_b64 s[40:41], s[40:41]
	v_mov_b32_e32 v41, s44
	s_xor_b64 exec, exec, s[40:41]
	s_cbranch_execz .LBB279_84
.LBB279_207:                            ;   in Loop: Header=BB279_10 Depth=1
	v_cmp_ne_u16_sdwa s[42:43], v4, v5 src0_sel:BYTE_0 src1_sel:DWORD
	s_andn2_b64 s[0:1], s[0:1], exec
	s_and_b64 s[42:43], s[42:43], exec
	v_mov_b32_e32 v41, 0
	s_or_b64 s[0:1], s[0:1], s[42:43]
	s_or_b64 exec, exec, s[40:41]
	v_and_b32_e32 v4, 0xffff, v4
	s_and_saveexec_b64 s[40:41], s[0:1]
	s_cbranch_execnz .LBB279_85
	s_branch .LBB279_86
.LBB279_208:                            ;   in Loop: Header=BB279_10 Depth=1
	v_cmp_eq_u16_e64 s[0:1], s51, v4
	s_mov_b64 s[40:41], -1
                                        ; implicit-def: $sgpr53
	s_and_saveexec_b64 s[44:45], s[0:1]
; %bb.209:                              ;   in Loop: Header=BB279_10 Depth=1
	s_mov_b32 s53, 0x7fc02000
	s_xor_b64 s[40:41], exec, -1
; %bb.210:                              ;   in Loop: Header=BB279_10 Depth=1
	s_or_b64 exec, exec, s[44:45]
	s_and_b64 s[40:41], s[40:41], exec
	s_or_saveexec_b64 s[42:43], s[42:43]
	v_mov_b32_e32 v42, s53
	s_xor_b64 exec, exec, s[42:43]
	s_cbranch_execz .LBB279_88
.LBB279_211:                            ;   in Loop: Header=BB279_10 Depth=1
	v_cmp_ne_u16_e64 s[0:1], 0, v4
	s_andn2_b64 s[40:41], s[40:41], exec
	s_and_b64 s[0:1], s[0:1], exec
	v_mov_b32_e32 v42, 0
	s_or_b64 s[40:41], s[40:41], s[0:1]
	s_or_b64 exec, exec, s[42:43]
	s_and_saveexec_b64 s[42:43], s[40:41]
	s_cbranch_execnz .LBB279_89
	s_branch .LBB279_90
.LBB279_212:                            ;   in Loop: Header=BB279_10 Depth=1
	v_cmp_eq_u16_sdwa s[54:55], v4, s51 src0_sel:BYTE_0 src1_sel:DWORD
	s_mov_b64 s[0:1], -1
                                        ; implicit-def: $sgpr44
	s_and_saveexec_b64 s[42:43], s[54:55]
; %bb.213:                              ;   in Loop: Header=BB279_10 Depth=1
	s_mov_b32 s44, 0x7fc02000
	s_xor_b64 s[0:1], exec, -1
; %bb.214:                              ;   in Loop: Header=BB279_10 Depth=1
	s_or_b64 exec, exec, s[42:43]
	s_and_b64 s[0:1], s[0:1], exec
	s_or_saveexec_b64 s[40:41], s[40:41]
	v_mov_b32_e32 v43, s44
	s_xor_b64 exec, exec, s[40:41]
	s_cbranch_execz .LBB279_92
.LBB279_215:                            ;   in Loop: Header=BB279_10 Depth=1
	v_cmp_ne_u16_sdwa s[42:43], v4, v5 src0_sel:BYTE_0 src1_sel:DWORD
	s_andn2_b64 s[0:1], s[0:1], exec
	s_and_b64 s[42:43], s[42:43], exec
	v_mov_b32_e32 v43, 0
	s_or_b64 s[0:1], s[0:1], s[42:43]
	s_or_b64 exec, exec, s[40:41]
	v_and_b32_e32 v4, 0xffff, v4
	s_and_saveexec_b64 s[40:41], s[0:1]
	s_cbranch_execnz .LBB279_93
	s_branch .LBB279_94
.LBB279_216:                            ;   in Loop: Header=BB279_10 Depth=1
	v_cmp_eq_u16_e64 s[0:1], s51, v4
	s_mov_b64 s[40:41], -1
                                        ; implicit-def: $sgpr53
	s_and_saveexec_b64 s[44:45], s[0:1]
; %bb.217:                              ;   in Loop: Header=BB279_10 Depth=1
	s_mov_b32 s53, 0x7fc02000
	s_xor_b64 s[40:41], exec, -1
; %bb.218:                              ;   in Loop: Header=BB279_10 Depth=1
	s_or_b64 exec, exec, s[44:45]
	s_and_b64 s[40:41], s[40:41], exec
	s_or_saveexec_b64 s[42:43], s[42:43]
	v_mov_b32_e32 v44, s53
	s_xor_b64 exec, exec, s[42:43]
	s_cbranch_execz .LBB279_96
.LBB279_219:                            ;   in Loop: Header=BB279_10 Depth=1
	v_cmp_ne_u16_e64 s[0:1], 0, v4
	s_andn2_b64 s[40:41], s[40:41], exec
	s_and_b64 s[0:1], s[0:1], exec
	v_mov_b32_e32 v44, 0
	s_or_b64 s[40:41], s[40:41], s[0:1]
	s_or_b64 exec, exec, s[42:43]
	s_and_saveexec_b64 s[42:43], s[40:41]
	s_cbranch_execnz .LBB279_97
	s_branch .LBB279_98
.LBB279_220:                            ;   in Loop: Header=BB279_10 Depth=1
	v_cmp_eq_u16_sdwa s[54:55], v4, s51 src0_sel:BYTE_0 src1_sel:DWORD
	s_mov_b64 s[0:1], -1
                                        ; implicit-def: $sgpr44
	s_and_saveexec_b64 s[42:43], s[54:55]
; %bb.221:                              ;   in Loop: Header=BB279_10 Depth=1
	s_mov_b32 s44, 0x7fc02000
	s_xor_b64 s[0:1], exec, -1
; %bb.222:                              ;   in Loop: Header=BB279_10 Depth=1
	s_or_b64 exec, exec, s[42:43]
	s_and_b64 s[0:1], s[0:1], exec
	s_or_saveexec_b64 s[40:41], s[40:41]
	v_mov_b32_e32 v45, s44
	s_xor_b64 exec, exec, s[40:41]
	s_cbranch_execz .LBB279_100
.LBB279_223:                            ;   in Loop: Header=BB279_10 Depth=1
	v_cmp_ne_u16_sdwa s[42:43], v4, v5 src0_sel:BYTE_0 src1_sel:DWORD
	s_andn2_b64 s[0:1], s[0:1], exec
	s_and_b64 s[42:43], s[42:43], exec
	v_mov_b32_e32 v45, 0
	s_or_b64 s[0:1], s[0:1], s[42:43]
	s_or_b64 exec, exec, s[40:41]
	v_and_b32_e32 v4, 0xffff, v4
	s_and_saveexec_b64 s[40:41], s[0:1]
	s_cbranch_execnz .LBB279_101
	s_branch .LBB279_102
.LBB279_224:                            ;   in Loop: Header=BB279_10 Depth=1
	v_cmp_eq_u16_e64 s[0:1], s51, v4
	s_mov_b64 s[40:41], -1
                                        ; implicit-def: $sgpr53
	s_and_saveexec_b64 s[44:45], s[0:1]
; %bb.225:                              ;   in Loop: Header=BB279_10 Depth=1
	s_mov_b32 s53, 0x7fc02000
	s_xor_b64 s[40:41], exec, -1
; %bb.226:                              ;   in Loop: Header=BB279_10 Depth=1
	s_or_b64 exec, exec, s[44:45]
	s_and_b64 s[40:41], s[40:41], exec
	s_or_saveexec_b64 s[42:43], s[42:43]
	v_mov_b32_e32 v46, s53
	s_xor_b64 exec, exec, s[42:43]
	s_cbranch_execz .LBB279_104
.LBB279_227:                            ;   in Loop: Header=BB279_10 Depth=1
	v_cmp_ne_u16_e64 s[0:1], 0, v4
	s_andn2_b64 s[40:41], s[40:41], exec
	s_and_b64 s[0:1], s[0:1], exec
	v_mov_b32_e32 v46, 0
	s_or_b64 s[40:41], s[40:41], s[0:1]
	s_or_b64 exec, exec, s[42:43]
	s_and_saveexec_b64 s[42:43], s[40:41]
	s_cbranch_execnz .LBB279_105
	s_branch .LBB279_106
.LBB279_228:                            ;   in Loop: Header=BB279_10 Depth=1
	v_cmp_eq_u16_sdwa s[54:55], v4, s51 src0_sel:BYTE_0 src1_sel:DWORD
	s_mov_b64 s[0:1], -1
                                        ; implicit-def: $sgpr44
	s_and_saveexec_b64 s[42:43], s[54:55]
; %bb.229:                              ;   in Loop: Header=BB279_10 Depth=1
	s_mov_b32 s44, 0x7fc02000
	s_xor_b64 s[0:1], exec, -1
; %bb.230:                              ;   in Loop: Header=BB279_10 Depth=1
	s_or_b64 exec, exec, s[42:43]
	s_and_b64 s[0:1], s[0:1], exec
	s_or_saveexec_b64 s[40:41], s[40:41]
	v_mov_b32_e32 v47, s44
	s_xor_b64 exec, exec, s[40:41]
	s_cbranch_execz .LBB279_108
.LBB279_231:                            ;   in Loop: Header=BB279_10 Depth=1
	v_cmp_ne_u16_sdwa s[42:43], v4, v5 src0_sel:BYTE_0 src1_sel:DWORD
	s_andn2_b64 s[0:1], s[0:1], exec
	s_and_b64 s[42:43], s[42:43], exec
	v_mov_b32_e32 v47, 0
	s_or_b64 s[0:1], s[0:1], s[42:43]
	s_or_b64 exec, exec, s[40:41]
	v_and_b32_e32 v4, 0xffff, v4
	s_and_saveexec_b64 s[40:41], s[0:1]
	s_cbranch_execnz .LBB279_109
	s_branch .LBB279_110
.LBB279_232:                            ;   in Loop: Header=BB279_10 Depth=1
	v_cmp_eq_u16_e64 s[0:1], s51, v4
	s_mov_b64 s[40:41], -1
                                        ; implicit-def: $sgpr53
	s_and_saveexec_b64 s[44:45], s[0:1]
; %bb.233:                              ;   in Loop: Header=BB279_10 Depth=1
	s_mov_b32 s53, 0x7fc02000
	s_xor_b64 s[40:41], exec, -1
; %bb.234:                              ;   in Loop: Header=BB279_10 Depth=1
	s_or_b64 exec, exec, s[44:45]
	s_and_b64 s[40:41], s[40:41], exec
	s_or_saveexec_b64 s[42:43], s[42:43]
	v_mov_b32_e32 v48, s53
	s_xor_b64 exec, exec, s[42:43]
	s_cbranch_execz .LBB279_112
.LBB279_235:                            ;   in Loop: Header=BB279_10 Depth=1
	v_cmp_ne_u16_e64 s[0:1], 0, v4
	s_andn2_b64 s[40:41], s[40:41], exec
	s_and_b64 s[0:1], s[0:1], exec
	v_mov_b32_e32 v48, 0
	s_or_b64 s[40:41], s[40:41], s[0:1]
	s_or_b64 exec, exec, s[42:43]
	s_and_saveexec_b64 s[42:43], s[40:41]
	s_cbranch_execnz .LBB279_113
	s_branch .LBB279_114
.LBB279_236:                            ;   in Loop: Header=BB279_10 Depth=1
	v_cmp_eq_u16_sdwa s[54:55], v4, s51 src0_sel:BYTE_0 src1_sel:DWORD
	s_mov_b64 s[0:1], -1
                                        ; implicit-def: $sgpr44
	s_and_saveexec_b64 s[42:43], s[54:55]
; %bb.237:                              ;   in Loop: Header=BB279_10 Depth=1
	s_mov_b32 s44, 0x7fc02000
	s_xor_b64 s[0:1], exec, -1
; %bb.238:                              ;   in Loop: Header=BB279_10 Depth=1
	s_or_b64 exec, exec, s[42:43]
	s_and_b64 s[0:1], s[0:1], exec
	s_or_saveexec_b64 s[40:41], s[40:41]
	v_mov_b32_e32 v49, s44
	s_xor_b64 exec, exec, s[40:41]
	s_cbranch_execz .LBB279_116
.LBB279_239:                            ;   in Loop: Header=BB279_10 Depth=1
	v_cmp_ne_u16_sdwa s[42:43], v4, v5 src0_sel:BYTE_0 src1_sel:DWORD
	s_andn2_b64 s[0:1], s[0:1], exec
	s_and_b64 s[42:43], s[42:43], exec
	v_mov_b32_e32 v49, 0
	s_or_b64 s[0:1], s[0:1], s[42:43]
	s_or_b64 exec, exec, s[40:41]
	v_and_b32_e32 v4, 0xffff, v4
	s_and_saveexec_b64 s[40:41], s[0:1]
	s_cbranch_execnz .LBB279_117
	s_branch .LBB279_118
.LBB279_240:                            ;   in Loop: Header=BB279_10 Depth=1
	v_cmp_eq_u16_e64 s[0:1], s51, v4
	s_mov_b64 s[40:41], -1
                                        ; implicit-def: $sgpr53
	s_and_saveexec_b64 s[44:45], s[0:1]
; %bb.241:                              ;   in Loop: Header=BB279_10 Depth=1
	s_mov_b32 s53, 0x7fc02000
	s_xor_b64 s[40:41], exec, -1
; %bb.242:                              ;   in Loop: Header=BB279_10 Depth=1
	s_or_b64 exec, exec, s[44:45]
	s_and_b64 s[40:41], s[40:41], exec
	s_or_saveexec_b64 s[42:43], s[42:43]
	v_mov_b32_e32 v50, s53
	s_xor_b64 exec, exec, s[42:43]
	s_cbranch_execz .LBB279_120
.LBB279_243:                            ;   in Loop: Header=BB279_10 Depth=1
	v_cmp_ne_u16_e64 s[0:1], 0, v4
	s_andn2_b64 s[40:41], s[40:41], exec
	s_and_b64 s[0:1], s[0:1], exec
	v_mov_b32_e32 v50, 0
	s_or_b64 s[40:41], s[40:41], s[0:1]
	s_or_b64 exec, exec, s[42:43]
	s_and_saveexec_b64 s[42:43], s[40:41]
	s_cbranch_execnz .LBB279_121
	s_branch .LBB279_122
.LBB279_244:                            ;   in Loop: Header=BB279_10 Depth=1
	v_cmp_eq_u16_sdwa s[54:55], v4, s51 src0_sel:BYTE_0 src1_sel:DWORD
	s_mov_b64 s[0:1], -1
                                        ; implicit-def: $sgpr44
	s_and_saveexec_b64 s[42:43], s[54:55]
; %bb.245:                              ;   in Loop: Header=BB279_10 Depth=1
	s_mov_b32 s44, 0x7fc02000
	s_xor_b64 s[0:1], exec, -1
; %bb.246:                              ;   in Loop: Header=BB279_10 Depth=1
	s_or_b64 exec, exec, s[42:43]
	s_and_b64 s[0:1], s[0:1], exec
	s_or_saveexec_b64 s[40:41], s[40:41]
	v_mov_b32_e32 v12, s44
	s_xor_b64 exec, exec, s[40:41]
	s_cbranch_execz .LBB279_124
.LBB279_247:                            ;   in Loop: Header=BB279_10 Depth=1
	v_cmp_ne_u16_sdwa s[42:43], v4, v5 src0_sel:BYTE_0 src1_sel:DWORD
	s_andn2_b64 s[0:1], s[0:1], exec
	s_and_b64 s[42:43], s[42:43], exec
	v_mov_b32_e32 v12, 0
	s_or_b64 s[0:1], s[0:1], s[42:43]
	s_or_b64 exec, exec, s[40:41]
	v_and_b32_e32 v4, 0xffff, v4
	s_and_saveexec_b64 s[40:41], s[0:1]
	s_cbranch_execnz .LBB279_125
	s_branch .LBB279_126
.LBB279_248:                            ;   in Loop: Header=BB279_10 Depth=1
	v_cmp_eq_u16_e64 s[0:1], s51, v4
	s_mov_b64 s[40:41], -1
                                        ; implicit-def: $sgpr53
	s_and_saveexec_b64 s[44:45], s[0:1]
; %bb.249:                              ;   in Loop: Header=BB279_10 Depth=1
	s_mov_b32 s53, 0x7fc02000
	s_xor_b64 s[40:41], exec, -1
; %bb.250:                              ;   in Loop: Header=BB279_10 Depth=1
	s_or_b64 exec, exec, s[44:45]
	s_and_b64 s[40:41], s[40:41], exec
	s_or_saveexec_b64 s[42:43], s[42:43]
	v_mov_b32_e32 v13, s53
	s_xor_b64 exec, exec, s[42:43]
	s_cbranch_execz .LBB279_128
.LBB279_251:                            ;   in Loop: Header=BB279_10 Depth=1
	v_cmp_ne_u16_e64 s[0:1], 0, v4
	s_andn2_b64 s[40:41], s[40:41], exec
	s_and_b64 s[0:1], s[0:1], exec
	v_mov_b32_e32 v13, 0
	s_or_b64 s[40:41], s[40:41], s[0:1]
	s_or_b64 exec, exec, s[42:43]
	s_and_saveexec_b64 s[42:43], s[40:41]
	s_cbranch_execnz .LBB279_129
	s_branch .LBB279_130
.LBB279_252:
	s_or_b64 exec, exec, s[18:19]
.LBB279_253:
	s_or_b64 exec, exec, s[38:39]
	v_xor_b32_e32 v5, 32, v16
	v_cmp_lt_i32_e32 vcc, v5, v4
	v_xor_b32_e32 v7, 16, v16
	v_lshlrev_b32_e32 v9, 2, v14
	v_cndmask_b32_e32 v5, v16, v5, vcc
	v_lshlrev_b32_e32 v5, 2, v5
	ds_bpermute_b32 v6, v5, v1
	v_max_f32_e32 v1, v1, v1
	v_cmp_lt_i32_e32 vcc, v7, v4
	s_waitcnt lgkmcnt(0)
	v_max_f32_e32 v6, v6, v6
	v_max_f32_e32 v1, v1, v6
	v_cndmask_b32_e32 v6, v16, v7, vcc
	v_lshlrev_b32_e32 v8, 2, v6
	ds_bpermute_b32 v6, v8, v1
	v_xor_b32_e32 v7, 8, v16
	v_cmp_lt_i32_e32 vcc, v7, v4
	s_waitcnt lgkmcnt(0)
	v_max_f32_e32 v6, v6, v6
	v_max_f32_e32 v1, v1, v6
	v_cndmask_b32_e32 v6, v16, v7, vcc
	v_lshlrev_b32_e32 v11, 2, v6
	ds_bpermute_b32 v6, v11, v1
	v_xor_b32_e32 v7, 4, v16
	v_cmp_lt_i32_e32 vcc, v7, v4
	s_waitcnt lgkmcnt(0)
	v_max_f32_e32 v6, v6, v6
	v_max_f32_e32 v1, v1, v6
	v_cndmask_b32_e32 v6, v16, v7, vcc
	v_lshlrev_b32_e32 v12, 2, v6
	ds_bpermute_b32 v7, v12, v1
	v_and_b32_e32 v6, 63, v0
	v_cmp_eq_u32_e32 vcc, 0, v6
	s_and_saveexec_b64 s[0:1], vcc
	s_cbranch_execz .LBB279_255
; %bb.254:
	s_waitcnt lgkmcnt(0)
	v_max_f32_e32 v7, v7, v7
	v_max_f32_e32 v1, v1, v1
	;; [unrolled: 1-line block ×3, first 2 shown]
	ds_write_b32 v9, v1 offset:240
.LBB279_255:
	s_or_b64 exec, exec, s[0:1]
	v_cmp_gt_u32_e64 s[0:1], 2, v6
	s_waitcnt lgkmcnt(0)
	v_mov_b32_e32 v7, 0xff7fffff
	v_lshlrev_b32_e32 v10, 2, v6
	s_barrier
	s_and_saveexec_b64 s[6:7], s[0:1]
	s_cbranch_execz .LBB279_257
; %bb.256:
	ds_read_b32 v7, v10 offset:240
.LBB279_257:
	s_or_b64 exec, exec, s[6:7]
	v_xor_b32_e32 v1, 1, v16
	v_cmp_lt_i32_e64 s[6:7], v1, v4
	v_mov_b32_e32 v17, 0
	s_nop 0
	v_cndmask_b32_e64 v1, v16, v1, s[6:7]
	v_lshlrev_b32_e32 v1, 2, v1
	s_waitcnt lgkmcnt(0)
	ds_bpermute_b32 v13, v1, v7
	v_max_f32_e32 v7, v7, v7
	s_sub_i32 s6, s33, s10
	s_lshl_b32 s6, s6, 4
	s_add_i32 s6, s6, s46
	s_waitcnt lgkmcnt(0)
	v_max_f32_e32 v13, v13, v13
	v_max_f32_e32 v7, v7, v13
	v_lshlrev_b32_e32 v13, 2, v16
	v_and_b32_e32 v13, 0xffffff00, v13
	ds_bpermute_b32 v7, v13, v7
	s_min_i32 s39, s6, s29
	s_sub_i32 s38, s39, s46
	v_cmp_gt_i32_e64 s[6:7], s38, v0
	s_and_saveexec_b64 s[12:13], s[6:7]
	s_cbranch_execz .LBB279_261
; %bb.258:
	v_mov_b32_e32 v17, 0x100
	v_lshl_add_u32 v18, v0, 2, v17
	s_mov_b64 s[18:19], 0
	v_mov_b32_e32 v17, 0
	v_mov_b32_e32 v19, v0
.LBB279_259:                            ; =>This Inner Loop Header: Depth=1
	ds_read_b32 v20, v18
	v_add_u32_e32 v19, 0x80, v19
	v_cmp_le_i32_e64 s[10:11], s38, v19
	s_or_b64 s[18:19], s[10:11], s[18:19]
	s_waitcnt lgkmcnt(0)
	v_sub_f32_e32 v20, v20, v7
	v_mul_f32_e32 v20, 0x3fb8aa3b, v20
	v_exp_f32_e32 v20, v20
	ds_write_b32 v18, v20
	v_add_f32_e32 v17, v17, v20
	v_add_u32_e32 v18, 0x200, v18
	s_andn2_b64 exec, exec, s[18:19]
	s_cbranch_execnz .LBB279_259
; %bb.260:
	s_or_b64 exec, exec, s[18:19]
.LBB279_261:
	s_or_b64 exec, exec, s[12:13]
	ds_bpermute_b32 v5, v5, v17
	s_waitcnt lgkmcnt(0)
	v_add_f32_e32 v5, v17, v5
	ds_bpermute_b32 v8, v8, v5
	s_waitcnt lgkmcnt(0)
	v_add_f32_e32 v5, v5, v8
	ds_bpermute_b32 v8, v11, v5
	v_xor_b32_e32 v11, 2, v16
	v_cmp_lt_i32_e64 s[10:11], v11, v4
	s_waitcnt lgkmcnt(0)
	v_add_f32_e32 v5, v5, v8
	ds_bpermute_b32 v8, v12, v5
	v_cndmask_b32_e64 v4, v16, v11, s[10:11]
	v_lshlrev_b32_e32 v4, 2, v4
	s_waitcnt lgkmcnt(0)
	v_add_f32_e32 v5, v5, v8
	ds_bpermute_b32 v4, v4, v5
	s_waitcnt lgkmcnt(0)
	v_add_f32_e32 v4, v5, v4
	ds_bpermute_b32 v5, v1, v4
	s_waitcnt lgkmcnt(0)
	v_add_f32_e32 v4, v4, v5
	s_and_saveexec_b64 s[10:11], vcc
	s_cbranch_execz .LBB279_263
; %bb.262:
	ds_write_b32 v9, v4 offset:248
.LBB279_263:
	s_or_b64 exec, exec, s[10:11]
	s_waitcnt lgkmcnt(0)
	s_barrier
	s_and_saveexec_b64 s[10:11], s[0:1]
	s_cbranch_execz .LBB279_265
; %bb.264:
	ds_read_b32 v4, v10 offset:248
.LBB279_265:
	s_or_b64 exec, exec, s[10:11]
	s_waitcnt lgkmcnt(0)
	ds_bpermute_b32 v5, v1, v4
	s_waitcnt lgkmcnt(0)
	v_add_f32_e32 v4, v4, v5
	ds_bpermute_b32 v8, v13, v4
	s_and_saveexec_b64 s[0:1], s[6:7]
	s_cbranch_execz .LBB279_278
; %bb.266:
	s_waitcnt lgkmcnt(0)
	v_add_f32_e32 v4, 0x358637bd, v8
	v_div_scale_f32 v5, s[6:7], v4, v4, 1.0
	v_rcp_f32_e32 v9, v5
	v_div_scale_f32 v10, vcc, 1.0, v4, 1.0
	s_movk_i32 s6, 0x7f
	v_fma_f32 v11, -v5, v9, 1.0
	v_fmac_f32_e32 v9, v11, v9
	v_mul_f32_e32 v11, v10, v9
	v_fma_f32 v12, -v5, v11, v10
	v_fmac_f32_e32 v11, v12, v9
	v_fma_f32 v5, -v5, v11, v10
	v_div_fmas_f32 v5, v5, v9, v11
	v_div_fixup_f32 v4, v5, v4, 1.0
	v_xad_u32 v5, v0, -1, s39
	v_subrev_u32_e32 v9, s46, v5
	v_cmp_lt_u32_e32 vcc, s6, v9
	s_mov_b64 s[10:11], -1
	v_mov_b32_e32 v5, v0
	s_and_saveexec_b64 s[6:7], vcc
	s_cbranch_execz .LBB279_275
; %bb.267:
	v_lshrrev_b32_e32 v9, 7, v9
	v_add_u32_e32 v11, -1, v9
	v_lshrrev_b32_e32 v10, 1, v11
	v_mov_b32_e32 v5, v4
	v_add_u32_e32 v10, 1, v10
	v_cmp_lt_u32_e32 vcc, 13, v11
	v_mov_b32_e32 v13, 0
	s_and_saveexec_b64 s[10:11], vcc
	s_cbranch_execz .LBB279_271
; %bb.268:
	v_mov_b32_e32 v12, 0x100
	v_and_b32_e32 v11, -8, v10
	v_lshl_add_u32 v12, v0, 2, v12
	s_mov_b32 s18, 0
	s_mov_b64 s[12:13], 0
.LBB279_269:                            ; =>This Inner Loop Header: Depth=1
	ds_read2st64_b32 v[16:17], v12 offset1:2
	ds_read2st64_b32 v[18:19], v12 offset0:4 offset1:6
	ds_read2st64_b32 v[20:21], v12 offset0:8 offset1:10
	ds_read2st64_b32 v[22:23], v12 offset0:12 offset1:14
	v_add_u32_e32 v11, -8, v11
	s_waitcnt lgkmcnt(3)
	v_pk_mul_f32 v[16:17], v[4:5], v[16:17]
	s_waitcnt lgkmcnt(2)
	v_pk_mul_f32 v[18:19], v[4:5], v[18:19]
	ds_write2st64_b32 v12, v16, v17 offset1:2
	ds_write2st64_b32 v12, v18, v19 offset0:4 offset1:6
	ds_read2st64_b32 v[18:19], v12 offset0:16 offset1:18
	s_waitcnt lgkmcnt(4)
	v_pk_mul_f32 v[16:17], v[4:5], v[20:21]
	ds_write2st64_b32 v12, v16, v17 offset0:8 offset1:10
	s_waitcnt lgkmcnt(4)
	v_pk_mul_f32 v[16:17], v[4:5], v[22:23]
	ds_write2st64_b32 v12, v16, v17 offset0:12 offset1:14
	ds_read2st64_b32 v[16:17], v12 offset0:20 offset1:22
	s_waitcnt lgkmcnt(3)
	v_pk_mul_f32 v[18:19], v[4:5], v[18:19]
	ds_read2st64_b32 v[20:21], v12 offset0:24 offset1:26
	ds_write2st64_b32 v12, v18, v19 offset0:16 offset1:18
	ds_read2st64_b32 v[18:19], v12 offset0:28 offset1:30
	s_waitcnt lgkmcnt(3)
	v_pk_mul_f32 v[16:17], v[4:5], v[16:17]
	ds_write2st64_b32 v12, v16, v17 offset0:20 offset1:22
	s_waitcnt lgkmcnt(3)
	v_pk_mul_f32 v[16:17], v[4:5], v[20:21]
	ds_write2st64_b32 v12, v16, v17 offset0:24 offset1:26
	s_waitcnt lgkmcnt(2)
	v_pk_mul_f32 v[16:17], v[4:5], v[18:19]
	s_add_i32 s18, s18, 16
	v_cmp_eq_u32_e32 vcc, 0, v11
	ds_write2st64_b32 v12, v16, v17 offset0:28 offset1:30
	v_add_u32_e32 v12, 0x2000, v12
	s_or_b64 s[12:13], vcc, s[12:13]
	v_mov_b32_e32 v13, s18
	s_andn2_b64 exec, exec, s[12:13]
	s_cbranch_execnz .LBB279_269
; %bb.270:
	s_or_b64 exec, exec, s[12:13]
.LBB279_271:
	s_or_b64 exec, exec, s[10:11]
	v_and_b32_e32 v10, 7, v10
	v_cmp_ne_u32_e32 vcc, 0, v10
	s_and_saveexec_b64 s[10:11], vcc
	s_cbranch_execz .LBB279_274
; %bb.272:
	v_lshlrev_b32_e32 v11, 9, v13
	v_lshlrev_b32_e32 v12, 2, v0
	s_movk_i32 s12, 0x100
	v_add3_u32 v11, v11, v12, s12
	s_mov_b64 s[12:13], 0
.LBB279_273:                            ; =>This Inner Loop Header: Depth=1
	ds_read2st64_b32 v[12:13], v11 offset1:2
	v_add_u32_e32 v10, -1, v10
	v_cmp_eq_u32_e32 vcc, 0, v10
	s_or_b64 s[12:13], vcc, s[12:13]
	s_waitcnt lgkmcnt(0)
	v_pk_mul_f32 v[12:13], v[4:5], v[12:13]
	ds_write2st64_b32 v11, v12, v13 offset1:2
	v_add_u32_e32 v11, 0x400, v11
	s_andn2_b64 exec, exec, s[12:13]
	s_cbranch_execnz .LBB279_273
.LBB279_274:
	s_or_b64 exec, exec, s[10:11]
	v_add_u32_e32 v9, 1, v9
	v_and_b32_e32 v10, 0x3fffffe, v9
	v_cmp_ne_u32_e32 vcc, v9, v10
	v_lshl_add_u32 v5, v10, 7, v0
	s_orn2_b64 s[10:11], vcc, exec
.LBB279_275:
	s_or_b64 exec, exec, s[6:7]
	s_and_b64 exec, exec, s[10:11]
	s_cbranch_execz .LBB279_278
; %bb.276:
	v_mov_b32_e32 v9, 0x100
	v_lshl_add_u32 v9, v5, 2, v9
	s_mov_b64 s[6:7], 0
.LBB279_277:                            ; =>This Inner Loop Header: Depth=1
	ds_read_b32 v10, v9
	v_add_u32_e32 v5, 0x80, v5
	v_cmp_le_i32_e32 vcc, s38, v5
	s_or_b64 s[6:7], vcc, s[6:7]
	s_waitcnt lgkmcnt(0)
	v_mul_f32_e32 v10, v4, v10
	ds_write_b32 v9, v10
	v_add_u32_e32 v9, 0x200, v9
	s_andn2_b64 exec, exec, s[6:7]
	s_cbranch_execnz .LBB279_277
.LBB279_278:
	s_or_b64 exec, exec, s[0:1]
	s_mul_i32 s0, s25, s28
	v_cmp_eq_u32_e32 vcc, 0, v0
	s_mul_i32 s6, s0, s5
	s_waitcnt lgkmcnt(0)
	s_barrier
	s_and_saveexec_b64 s[0:1], vcc
	s_cbranch_execz .LBB279_280
; %bb.279:
	s_ashr_i32 s7, s6, 31
	s_lshl_b64 s[10:11], s[6:7], 2
	s_add_u32 s5, s22, s10
	s_mul_i32 s12, s25, s2
	s_addc_u32 s7, s23, s11
	s_ashr_i32 s13, s12, 31
	s_lshl_b64 s[12:13], s[12:13], 2
	s_add_u32 s2, s5, s12
	s_addc_u32 s7, s7, s13
	s_ashr_i32 s5, s4, 31
	s_lshl_b64 s[18:19], s[4:5], 2
	s_add_u32 s22, s2, s18
	s_addc_u32 s23, s7, s19
	s_add_u32 s2, s20, s10
	s_addc_u32 s5, s21, s11
	;; [unrolled: 2-line block ×3, first 2 shown]
	s_add_u32 s10, s2, s18
	v_mov_b32_e32 v4, 0
	s_addc_u32 s11, s5, s19
	global_store_dword v4, v7, s[22:23]
	global_store_dword v4, v8, s[10:11]
.LBB279_280:
	s_or_b64 exec, exec, s[0:1]
	v_mov_b32_e32 v7, 0
	v_lshrrev_b32_e32 v31, 1, v6
	v_and_b32_e32 v30, 1, v0
	v_mov_b32_e32 v6, v7
	v_mov_b32_e32 v13, v7
	;; [unrolled: 1-line block ×3, first 2 shown]
	s_and_saveexec_b64 s[10:11], s[8:9]
	s_cbranch_execz .LBB279_550
; %bb.281:
	s_ashr_i32 s1, s16, 31
	v_lshlrev_b32_e32 v4, 3, v0
	s_add_u32 s0, s36, s16
	v_or_b32_e32 v7, 0x60, v31
	s_movk_i32 s2, 0x78
	v_and_b32_e32 v6, 8, v4
	s_addc_u32 s1, s37, s1
	s_add_i32 s7, s3, -1
	v_cmp_gt_u32_e32 vcc, s2, v7
	s_lshl_b64 s[2:3], s[34:35], 2
	v_lshl_or_b32 v4, v31, 4, v6
	v_lshl_or_b32 v10, v7, 4, v6
	v_add3_u32 v32, s46, v15, v6
	v_lshlrev_b32_e32 v6, 5, v30
	s_add_u32 s2, s30, s2
	v_mov_b32_e32 v9, 0
	v_lshl_or_b32 v6, v14, 6, v6
	s_addc_u32 s3, s31, s3
	s_mov_b32 s5, s17
	v_mov_b32_e32 v5, v9
	v_mov_b32_e32 v11, v9
	s_mov_b32 s22, s29
	v_add_u32_e32 v33, 0x100, v6
	v_lshl_add_u64 v[14:15], v[2:3], 2, s[2:3]
	s_mov_b64 s[8:9], 0
	v_mov_b64_e32 v[16:17], s[0:1]
	s_movk_i32 s23, 0x7f
	s_movk_i32 s28, 0x80
	s_mov_b32 s30, 0x8000
	s_movk_i32 s31, 0x380
	s_mov_b32 s34, 0x3020706
	s_mov_b32 s35, 0x1000504
	;; [unrolled: 1-line block ×3, first 2 shown]
	v_mov_b32_e32 v3, 0x1c00
	v_mov_b32_e32 v12, v9
	;; [unrolled: 1-line block ×5, first 2 shown]
	s_branch .LBB279_284
.LBB279_282:                            ;   in Loop: Header=BB279_284 Depth=1
	s_or_b64 exec, exec, s[2:3]
	;;#ASMSTART
	v_pk_mul_f16 v20, v37, v21;

	;;#ASMEND
	;;#ASMSTART
	v_pk_mul_f16 v8, v36, v8;

	;;#ASMEND
	;; [unrolled: 4-line block ×4, first 2 shown]
	s_nop 0
	;;#ASMSTART
	v_pk_add_f16 v8, v20, v8;

	;;#ASMEND
	s_nop 0
	;;#ASMSTART
	v_pk_add_f16 v8, v8, v19;

	;;#ASMEND
	;; [unrolled: 5-line block ×3, first 2 shown]
	s_nop 0
	v_lshrrev_b32_e32 v18, 16, v8
	v_and_b32_e32 v8, 0xffff, v8
	;;#ASMSTART
	v_cvt_f32_f16 v8, v8;
	;;#ASMEND
	;;#ASMSTART
	v_cvt_f32_f16 v18, v18;
	;;#ASMEND
	s_nop 0
	v_add_f32_e32 v8, v8, v18
	v_add_f32_e32 v7, v7, v8
.LBB279_283:                            ;   in Loop: Header=BB279_284 Depth=1
	s_or_b64 exec, exec, s[12:13]
	v_add_u32_e32 v2, 2, v2
	v_cmp_le_i32_e64 s[0:1], s33, v2
	v_add_u32_e32 v32, 32, v32
	v_add_u32_e32 v33, 0x80, v33
	s_or_b64 s[8:9], s[0:1], s[8:9]
	v_lshl_add_u64 v[14:15], v[14:15], 0, 8
	s_andn2_b64 exec, exec, s[8:9]
	s_cbranch_execz .LBB279_549
.LBB279_284:                            ; =>This Inner Loop Header: Depth=1
	ds_read2_b64 v[18:21], v33 offset1:1
	ds_read2_b64 v[24:27], v33 offset0:2 offset1:3
                                        ; implicit-def: $sgpr16
	s_waitcnt lgkmcnt(1)
	;;#ASMSTART
	v_cvt_f16_f32 v23, v18;

	;;#ASMEND
	;;#ASMSTART
	v_cvt_f16_f32 v34, v19;

	;;#ASMEND
	;; [unrolled: 4-line block ×4, first 2 shown]
	s_waitcnt lgkmcnt(0)
	;;#ASMSTART
	v_cvt_f16_f32 v38, v24;

	;;#ASMEND
	;;#ASMSTART
	v_cvt_f16_f32 v39, v25;

	;;#ASMEND
	;;#ASMSTART
	v_cvt_f16_f32 v40, v26;

	;;#ASMEND
	;;#ASMSTART
	v_cvt_f16_f32 v41, v27;

	;;#ASMEND
	global_load_dword v8, v[14:15], off
	s_waitcnt vmcnt(0)
	v_mad_i64_i32 v[18:19], s[0:1], v8, s5, v[16:17]
	v_lshl_add_u64 v[20:21], v[18:19], 0, v[4:5]
	global_load_dwordx2 v[24:25], v[20:21], off
	global_load_dword v22, v9, s[14:15]
	s_mov_b64 s[0:1], 0
	s_waitcnt vmcnt(1)
	v_cmp_gt_i16_sdwa s[2:3], v24, s23 src0_sel:BYTE_0 src1_sel:DWORD
	s_and_saveexec_b64 s[12:13], s[2:3]
	s_xor_b64 s[2:3], exec, s[12:13]
	s_cbranch_execnz .LBB279_421
; %bb.285:                              ;   in Loop: Header=BB279_284 Depth=1
	s_or_saveexec_b64 s[2:3], s[2:3]
	v_mov_b32_e32 v26, s16
	s_xor_b64 exec, exec, s[2:3]
	s_cbranch_execnz .LBB279_424
.LBB279_286:                            ;   in Loop: Header=BB279_284 Depth=1
	s_or_b64 exec, exec, s[2:3]
	s_and_saveexec_b64 s[2:3], s[0:1]
	s_cbranch_execz .LBB279_288
.LBB279_287:                            ;   in Loop: Header=BB279_284 Depth=1
	v_and_b32_e32 v8, 7, v24
	v_ffbh_u32_e32 v8, v8
	v_bfe_u32 v26, v24, 3, 4
	v_min_u32_e32 v8, 32, v8
	v_subrev_u32_e32 v27, 28, v8
	v_sub_u32_e32 v8, 29, v8
	v_cmp_eq_u32_e64 s[0:1], 0, v26
	s_nop 1
	v_cndmask_b32_e64 v8, v26, v8, s[0:1]
	v_cndmask_b32_e64 v26, 0, v27, s[0:1]
	v_lshlrev_b64 v[26:27], v26, v[24:25]
	v_lshlrev_b32_e32 v27, 8, v24
	v_lshl_add_u32 v8, v8, 10, v3
	v_lshlrev_b32_e32 v26, 7, v26
	v_and_or_b32 v8, v27, s30, v8
	v_and_or_b32 v8, v26, s31, v8
	v_cvt_f32_f16_e32 v26, v8
.LBB279_288:                            ;   in Loop: Header=BB279_284 Depth=1
	s_or_b64 exec, exec, s[2:3]
	v_lshrrev_b16_e32 v8, 8, v24
	v_cmp_lt_i16_e64 s[0:1], s23, v8
	s_mov_b64 s[2:3], 0
                                        ; implicit-def: $sgpr18
	s_and_saveexec_b64 s[12:13], s[0:1]
	s_xor_b64 s[12:13], exec, s[12:13]
	s_cbranch_execnz .LBB279_425
; %bb.289:                              ;   in Loop: Header=BB279_284 Depth=1
	s_or_saveexec_b64 s[12:13], s[12:13]
	v_mov_b32_e32 v28, s18
	s_xor_b64 exec, exec, s[12:13]
	s_cbranch_execnz .LBB279_428
.LBB279_290:                            ;   in Loop: Header=BB279_284 Depth=1
	s_or_b64 exec, exec, s[12:13]
	s_and_saveexec_b64 s[12:13], s[2:3]
	s_cbranch_execz .LBB279_292
.LBB279_291:                            ;   in Loop: Header=BB279_284 Depth=1
	v_and_b32_e32 v27, 7, v8
	v_ffbh_u32_e32 v28, v27
	v_min_u32_e32 v42, 32, v28
	v_subrev_u32_e32 v28, 28, v42
	v_bfe_u32 v37, v8, 3, 4
	v_lshlrev_b64 v[28:29], v28, v[8:9]
	v_sub_u32_e32 v29, 29, v42
	v_cmp_eq_u32_e64 s[0:1], 0, v37
	v_and_b32_e32 v28, 7, v28
	v_lshlrev_b32_e32 v8, 8, v8
	v_cndmask_b32_e64 v29, v37, v29, s[0:1]
	v_cndmask_b32_e64 v27, v27, v28, s[0:1]
	v_lshl_add_u32 v28, v29, 10, v3
	v_and_or_b32 v8, v8, s30, v28
	v_lshl_or_b32 v8, v27, 7, v8
	v_cvt_f32_f16_e32 v28, v8
.LBB279_292:                            ;   in Loop: Header=BB279_284 Depth=1
	s_or_b64 exec, exec, s[12:13]
	v_lshrrev_b32_e32 v8, 16, v24
	v_cmp_gt_i16_sdwa s[2:3], v8, s23 src0_sel:BYTE_0 src1_sel:DWORD
	s_mov_b64 s[0:1], 0
                                        ; implicit-def: $sgpr16
	s_and_saveexec_b64 s[12:13], s[2:3]
	s_xor_b64 s[2:3], exec, s[12:13]
	s_cbranch_execnz .LBB279_429
; %bb.293:                              ;   in Loop: Header=BB279_284 Depth=1
	s_or_saveexec_b64 s[2:3], s[2:3]
	v_mov_b32_e32 v27, s16
	s_xor_b64 exec, exec, s[2:3]
	s_cbranch_execnz .LBB279_432
.LBB279_294:                            ;   in Loop: Header=BB279_284 Depth=1
	s_or_b64 exec, exec, s[2:3]
	s_and_saveexec_b64 s[2:3], s[0:1]
	s_cbranch_execz .LBB279_296
.LBB279_295:                            ;   in Loop: Header=BB279_284 Depth=1
	v_bfe_u32 v27, v24, 16, 3
	v_ffbh_u32_e32 v37, v27
	v_bfe_u32 v29, v24, 19, 4
	v_min_u32_e32 v37, 32, v37
	v_subrev_u32_e32 v42, 28, v37
	v_sub_u32_e32 v37, 29, v37
	v_cmp_eq_u32_e64 s[0:1], 0, v29
	v_lshlrev_b64 v[42:43], v42, v[8:9]
	v_and_b32_e32 v42, 7, v42
	v_cndmask_b32_e64 v29, v29, v37, s[0:1]
	v_lshlrev_b32_e32 v8, 8, v8
	v_lshl_add_u32 v29, v29, 10, v3
	v_cndmask_b32_e64 v27, v27, v42, s[0:1]
	v_and_or_b32 v8, v8, s30, v29
	v_lshl_or_b32 v8, v27, 7, v8
	v_cvt_f32_f16_e32 v27, v8
.LBB279_296:                            ;   in Loop: Header=BB279_284 Depth=1
	s_or_b64 exec, exec, s[2:3]
	v_lshrrev_b32_e32 v8, 24, v24
	v_cmp_lt_i16_e64 s[0:1], s23, v8
	s_mov_b64 s[2:3], 0
                                        ; implicit-def: $sgpr18
	s_and_saveexec_b64 s[12:13], s[0:1]
	s_xor_b64 s[12:13], exec, s[12:13]
	s_cbranch_execnz .LBB279_433
; %bb.297:                              ;   in Loop: Header=BB279_284 Depth=1
	s_or_saveexec_b64 s[12:13], s[12:13]
	v_mov_b32_e32 v29, s18
	s_xor_b64 exec, exec, s[12:13]
	s_cbranch_execnz .LBB279_436
.LBB279_298:                            ;   in Loop: Header=BB279_284 Depth=1
	s_or_b64 exec, exec, s[12:13]
	s_and_saveexec_b64 s[12:13], s[2:3]
	s_cbranch_execz .LBB279_300
.LBB279_299:                            ;   in Loop: Header=BB279_284 Depth=1
	v_bfe_u32 v29, v24, 24, 3
	v_ffbh_u32_e32 v37, v29
	v_bfe_u32 v24, v24, 27, 4
	v_min_u32_e32 v37, 32, v37
	v_subrev_u32_e32 v42, 28, v37
	v_sub_u32_e32 v37, 29, v37
	v_cmp_eq_u32_e64 s[0:1], 0, v24
	v_lshlrev_b64 v[42:43], v42, v[8:9]
	v_and_b32_e32 v42, 7, v42
	v_cndmask_b32_e64 v24, v24, v37, s[0:1]
	v_lshlrev_b32_e32 v8, 8, v8
	v_lshl_add_u32 v24, v24, 10, v3
	v_cndmask_b32_e64 v29, v29, v42, s[0:1]
	v_and_or_b32 v8, v8, s30, v24
	v_lshl_or_b32 v8, v29, 7, v8
	v_cvt_f32_f16_e32 v29, v8
.LBB279_300:                            ;   in Loop: Header=BB279_284 Depth=1
	s_or_b64 exec, exec, s[12:13]
	v_cmp_gt_i16_sdwa s[2:3], v25, s23 src0_sel:BYTE_0 src1_sel:DWORD
	s_mov_b64 s[0:1], 0
                                        ; implicit-def: $sgpr16
	s_and_saveexec_b64 s[12:13], s[2:3]
	s_xor_b64 s[2:3], exec, s[12:13]
	s_cbranch_execnz .LBB279_437
; %bb.301:                              ;   in Loop: Header=BB279_284 Depth=1
	s_or_saveexec_b64 s[2:3], s[2:3]
	v_mov_b32_e32 v24, s16
	s_xor_b64 exec, exec, s[2:3]
	s_cbranch_execnz .LBB279_440
.LBB279_302:                            ;   in Loop: Header=BB279_284 Depth=1
	s_or_b64 exec, exec, s[2:3]
	v_mov_b32_e32 v8, v25
	s_and_saveexec_b64 s[2:3], s[0:1]
	s_cbranch_execz .LBB279_304
.LBB279_303:                            ;   in Loop: Header=BB279_284 Depth=1
	v_and_b32_e32 v24, 7, v25
	v_ffbh_u32_e32 v24, v24
	v_bfe_u32 v37, v25, 3, 4
	v_min_u32_e32 v24, 32, v24
	v_subrev_u32_e32 v42, 28, v24
	v_sub_u32_e32 v24, 29, v24
	v_cmp_eq_u32_e64 s[0:1], 0, v37
	s_nop 1
	v_cndmask_b32_e64 v24, v37, v24, s[0:1]
	v_cndmask_b32_e64 v37, 0, v42, s[0:1]
	v_lshlrev_b64 v[42:43], v37, v[8:9]
	v_lshlrev_b32_e32 v37, 7, v42
	v_lshlrev_b32_e32 v42, 8, v25
	v_lshl_add_u32 v24, v24, 10, v3
	v_and_or_b32 v24, v42, s30, v24
	v_and_or_b32 v24, v37, s31, v24
	v_cvt_f32_f16_e32 v24, v24
.LBB279_304:                            ;   in Loop: Header=BB279_284 Depth=1
	s_or_b64 exec, exec, s[2:3]
	v_lshrrev_b16_e32 v8, 8, v8
	v_cmp_lt_i16_e64 s[0:1], s23, v8
	s_mov_b64 s[2:3], 0
                                        ; implicit-def: $sgpr18
	s_and_saveexec_b64 s[12:13], s[0:1]
	s_xor_b64 s[12:13], exec, s[12:13]
	s_cbranch_execnz .LBB279_441
; %bb.305:                              ;   in Loop: Header=BB279_284 Depth=1
	s_or_saveexec_b64 s[12:13], s[12:13]
	v_mov_b32_e32 v37, s18
	s_xor_b64 exec, exec, s[12:13]
	s_cbranch_execnz .LBB279_444
.LBB279_306:                            ;   in Loop: Header=BB279_284 Depth=1
	s_or_b64 exec, exec, s[12:13]
	s_and_saveexec_b64 s[12:13], s[2:3]
	s_cbranch_execz .LBB279_308
.LBB279_307:                            ;   in Loop: Header=BB279_284 Depth=1
	v_and_b32_e32 v37, 7, v8
	v_ffbh_u32_e32 v42, v37
	v_min_u32_e32 v45, 32, v42
	v_subrev_u32_e32 v42, 28, v45
	v_bfe_u32 v44, v8, 3, 4
	v_lshlrev_b64 v[42:43], v42, v[8:9]
	v_sub_u32_e32 v43, 29, v45
	v_cmp_eq_u32_e64 s[0:1], 0, v44
	v_and_b32_e32 v42, 7, v42
	v_lshlrev_b32_e32 v8, 8, v8
	v_cndmask_b32_e64 v43, v44, v43, s[0:1]
	v_cndmask_b32_e64 v37, v37, v42, s[0:1]
	v_lshl_add_u32 v42, v43, 10, v3
	v_and_or_b32 v8, v8, s30, v42
	v_lshl_or_b32 v8, v37, 7, v8
	v_cvt_f32_f16_e32 v37, v8
.LBB279_308:                            ;   in Loop: Header=BB279_284 Depth=1
	s_or_b64 exec, exec, s[12:13]
	v_lshrrev_b32_e32 v8, 16, v25
	v_cmp_gt_i16_sdwa s[2:3], v8, s23 src0_sel:BYTE_0 src1_sel:DWORD
	s_mov_b64 s[0:1], 0
                                        ; implicit-def: $sgpr16
	s_and_saveexec_b64 s[12:13], s[2:3]
	s_xor_b64 s[2:3], exec, s[12:13]
	s_cbranch_execnz .LBB279_445
; %bb.309:                              ;   in Loop: Header=BB279_284 Depth=1
	s_or_saveexec_b64 s[2:3], s[2:3]
	v_mov_b32_e32 v42, s16
	s_xor_b64 exec, exec, s[2:3]
	s_cbranch_execnz .LBB279_448
.LBB279_310:                            ;   in Loop: Header=BB279_284 Depth=1
	s_or_b64 exec, exec, s[2:3]
	s_and_saveexec_b64 s[2:3], s[0:1]
	s_cbranch_execz .LBB279_312
.LBB279_311:                            ;   in Loop: Header=BB279_284 Depth=1
	v_bfe_u32 v44, v25, 16, 3
	v_ffbh_u32_e32 v42, v44
	v_min_u32_e32 v46, 32, v42
	v_subrev_u32_e32 v42, 28, v46
	v_bfe_u32 v45, v25, 19, 4
	v_lshlrev_b64 v[42:43], v42, v[8:9]
	v_sub_u32_e32 v43, 29, v46
	v_cmp_eq_u32_e64 s[0:1], 0, v45
	v_and_b32_e32 v42, 7, v42
	v_lshlrev_b32_e32 v8, 8, v8
	v_cndmask_b32_e64 v43, v45, v43, s[0:1]
	v_lshl_add_u32 v43, v43, 10, v3
	v_cndmask_b32_e64 v42, v44, v42, s[0:1]
	v_and_or_b32 v8, v8, s30, v43
	v_lshl_or_b32 v8, v42, 7, v8
	v_cvt_f32_f16_e32 v42, v8
.LBB279_312:                            ;   in Loop: Header=BB279_284 Depth=1
	s_or_b64 exec, exec, s[2:3]
	v_lshrrev_b32_e32 v8, 24, v25
	v_cmp_lt_i16_e64 s[0:1], s23, v8
	s_mov_b64 s[2:3], 0
                                        ; implicit-def: $sgpr18
	s_and_saveexec_b64 s[12:13], s[0:1]
	s_xor_b64 s[12:13], exec, s[12:13]
	s_cbranch_execnz .LBB279_449
; %bb.313:                              ;   in Loop: Header=BB279_284 Depth=1
	s_or_saveexec_b64 s[12:13], s[12:13]
	v_mov_b32_e32 v43, s18
	s_xor_b64 exec, exec, s[12:13]
	s_cbranch_execnz .LBB279_452
.LBB279_314:                            ;   in Loop: Header=BB279_284 Depth=1
	s_or_b64 exec, exec, s[12:13]
	s_and_saveexec_b64 s[12:13], s[2:3]
	s_cbranch_execz .LBB279_316
.LBB279_315:                            ;   in Loop: Header=BB279_284 Depth=1
	v_bfe_u32 v43, v25, 24, 3
	v_ffbh_u32_e32 v44, v43
	v_min_u32_e32 v46, 32, v44
	v_subrev_u32_e32 v44, 28, v46
	v_bfe_u32 v25, v25, 27, 4
	v_lshlrev_b64 v[44:45], v44, v[8:9]
	v_sub_u32_e32 v45, 29, v46
	v_cmp_eq_u32_e64 s[0:1], 0, v25
	v_and_b32_e32 v44, 7, v44
	v_lshlrev_b32_e32 v8, 8, v8
	v_cndmask_b32_e64 v25, v25, v45, s[0:1]
	v_lshl_add_u32 v25, v25, 10, v3
	v_cndmask_b32_e64 v43, v43, v44, s[0:1]
	v_and_or_b32 v8, v8, s30, v25
	v_lshl_or_b32 v8, v43, 7, v8
	v_cvt_f32_f16_e32 v43, v8
.LBB279_316:                            ;   in Loop: Header=BB279_284 Depth=1
	s_or_b64 exec, exec, s[12:13]
	s_waitcnt vmcnt(0)
	v_pk_mul_f32 v[28:29], v[22:23], v[28:29] op_sel_hi:[0,1]
	v_pk_mul_f32 v[26:27], v[22:23], v[26:27] op_sel_hi:[0,1]
	v_cvt_f16_f32_e32 v8, v29
	v_cvt_f16_f32_e32 v25, v28
	;; [unrolled: 1-line block ×4, first 2 shown]
	v_fma_mixlo_f16 v24, v22, v24, 0
	v_pack_b32_f16 v25, v25, v8
	v_cmp_eq_u32_e64 s[0:1], s7, v2
	v_pack_b32_f16 v26, v26, v27
	v_perm_b32 v8, v26, v25, s34
	v_perm_b32 v25, v26, v25, s35
	v_fma_mixlo_f16 v26, v22, v37, 0
	v_lshlrev_b32_e32 v26, 16, v26
	v_or_b32_sdwa v24, v26, v24 dst_sel:DWORD dst_unused:UNUSED_PAD src0_sel:DWORD src1_sel:WORD_0
	v_fma_mixlo_f16 v26, v22, v42, 0
	v_fma_mixlo_f16 v22, v22, v43, 0
	v_lshlrev_b32_e32 v22, 16, v22
	v_or_b32_sdwa v22, v22, v26 dst_sel:DWORD dst_unused:UNUSED_PAD src0_sel:DWORD src1_sel:WORD_0
	s_and_saveexec_b64 s[12:13], s[0:1]
	s_cbranch_execz .LBB279_318
; %bb.317:                              ;   in Loop: Header=BB279_284 Depth=1
	v_add_u32_e32 v27, 1, v32
	v_lshrrev_b32_e32 v28, 16, v25
	v_cmp_gt_i32_e64 s[2:3], s22, v27
	v_lshrrev_b32_e32 v29, 16, v8
	v_lshrrev_b32_e32 v22, 16, v22
	v_cndmask_b32_e64 v27, 0, v28, s[2:3]
	v_cmp_gt_i32_e64 s[2:3], s29, v32
	v_or_b32_e32 v28, 2, v32
	s_nop 0
	v_cndmask_b32_e64 v25, 0, v25, s[2:3]
	v_perm_b32 v25, v27, v25, s36
	v_or_b32_e32 v27, 3, v32
	v_cmp_gt_i32_e64 s[2:3], s22, v27
	s_nop 1
	v_cndmask_b32_e64 v27, 0, v29, s[2:3]
	v_cmp_gt_i32_e64 s[2:3], s29, v28
	v_or_b32_e32 v28, 4, v32
	v_lshrrev_b32_e32 v29, 16, v24
	v_cndmask_b32_e64 v8, 0, v8, s[2:3]
	v_perm_b32 v8, v27, v8, s36
	v_or_b32_e32 v27, 5, v32
	v_cmp_gt_i32_e64 s[2:3], s22, v27
	s_nop 1
	v_cndmask_b32_e64 v27, 0, v29, s[2:3]
	v_cmp_gt_i32_e64 s[2:3], s29, v28
	v_or_b32_e32 v28, 6, v32
	s_nop 0
	v_cndmask_b32_e64 v24, 0, v24, s[2:3]
	v_perm_b32 v24, v27, v24, s36
	v_or_b32_e32 v27, 7, v32
	v_cmp_gt_i32_e64 s[2:3], s22, v27
	s_nop 1
	v_cndmask_b32_e64 v22, 0, v22, s[2:3]
	v_cmp_gt_i32_e64 s[2:3], s29, v28
	s_nop 1
	v_cndmask_b32_e64 v26, 0, v26, s[2:3]
	v_perm_b32 v22, v22, v26, s36
.LBB279_318:                            ;   in Loop: Header=BB279_284 Depth=1
	s_or_b64 exec, exec, s[12:13]
	v_and_b32_e32 v23, 0xffff, v23
	v_lshl_or_b32 v37, v34, 16, v23
	v_and_b32_e32 v23, 0xffff, v35
	v_lshl_or_b32 v36, v36, 16, v23
	;; [unrolled: 2-line block ×4, first 2 shown]
	;;#ASMSTART
	v_pk_mul_f16 v23, v37, v25;

	;;#ASMEND
	;;#ASMSTART
	v_pk_mul_f16 v8, v36, v8;

	;;#ASMEND
	;; [unrolled: 4-line block ×4, first 2 shown]
	s_mov_b64 s[2:3], 0
	;;#ASMSTART
	v_pk_add_f16 v8, v23, v8;

	;;#ASMEND
                                        ; implicit-def: $sgpr18
	s_nop 0
	;;#ASMSTART
	v_pk_add_f16 v8, v8, v24;

	;;#ASMEND
	s_nop 0
	;;#ASMSTART
	v_pk_add_f16 v8, v8, v22;

	;;#ASMEND
	s_nop 0
	v_lshrrev_b32_e32 v22, 16, v8
	v_and_b32_e32 v8, 0xffff, v8
	;;#ASMSTART
	v_cvt_f32_f16 v23, v8;
	;;#ASMEND
	;;#ASMSTART
	v_cvt_f32_f16 v38, v22;
	;;#ASMEND
	global_load_dwordx2 v[24:25], v[20:21], off offset:512
	global_load_dword v22, v9, s[14:15]
	s_waitcnt vmcnt(1)
	v_cmp_gt_i16_sdwa s[12:13], v24, s23 src0_sel:BYTE_0 src1_sel:DWORD
	s_and_saveexec_b64 s[16:17], s[12:13]
	s_xor_b64 s[12:13], exec, s[16:17]
	s_cbranch_execnz .LBB279_453
; %bb.319:                              ;   in Loop: Header=BB279_284 Depth=1
	s_or_saveexec_b64 s[12:13], s[12:13]
	v_mov_b32_e32 v26, s18
	s_xor_b64 exec, exec, s[12:13]
	s_cbranch_execnz .LBB279_456
.LBB279_320:                            ;   in Loop: Header=BB279_284 Depth=1
	s_or_b64 exec, exec, s[12:13]
	s_and_saveexec_b64 s[12:13], s[2:3]
	s_cbranch_execz .LBB279_322
.LBB279_321:                            ;   in Loop: Header=BB279_284 Depth=1
	v_and_b32_e32 v8, 7, v24
	v_ffbh_u32_e32 v8, v8
	v_bfe_u32 v26, v24, 3, 4
	v_min_u32_e32 v8, 32, v8
	v_subrev_u32_e32 v27, 28, v8
	v_sub_u32_e32 v8, 29, v8
	v_cmp_eq_u32_e64 s[2:3], 0, v26
	s_nop 1
	v_cndmask_b32_e64 v8, v26, v8, s[2:3]
	v_cndmask_b32_e64 v26, 0, v27, s[2:3]
	v_lshlrev_b64 v[26:27], v26, v[24:25]
	v_lshlrev_b32_e32 v27, 8, v24
	v_lshl_add_u32 v8, v8, 10, v3
	v_lshlrev_b32_e32 v26, 7, v26
	v_and_or_b32 v8, v27, s30, v8
	v_and_or_b32 v8, v26, s31, v8
	v_cvt_f32_f16_e32 v26, v8
.LBB279_322:                            ;   in Loop: Header=BB279_284 Depth=1
	s_or_b64 exec, exec, s[12:13]
	v_lshrrev_b16_e32 v8, 8, v24
	v_cmp_lt_i16_e64 s[2:3], s23, v8
	s_mov_b64 s[12:13], 0
                                        ; implicit-def: $sgpr20
	s_and_saveexec_b64 s[16:17], s[2:3]
	s_xor_b64 s[16:17], exec, s[16:17]
	s_cbranch_execnz .LBB279_457
; %bb.323:                              ;   in Loop: Header=BB279_284 Depth=1
	s_or_saveexec_b64 s[16:17], s[16:17]
	v_mov_b32_e32 v28, s20
	s_xor_b64 exec, exec, s[16:17]
	s_cbranch_execnz .LBB279_460
.LBB279_324:                            ;   in Loop: Header=BB279_284 Depth=1
	s_or_b64 exec, exec, s[16:17]
	s_and_saveexec_b64 s[16:17], s[12:13]
	s_cbranch_execz .LBB279_326
.LBB279_325:                            ;   in Loop: Header=BB279_284 Depth=1
	v_and_b32_e32 v27, 7, v8
	v_ffbh_u32_e32 v28, v27
	v_min_u32_e32 v40, 32, v28
	v_subrev_u32_e32 v28, 28, v40
	v_bfe_u32 v39, v8, 3, 4
	v_lshlrev_b64 v[28:29], v28, v[8:9]
	v_sub_u32_e32 v29, 29, v40
	v_cmp_eq_u32_e64 s[2:3], 0, v39
	v_and_b32_e32 v28, 7, v28
	v_lshlrev_b32_e32 v8, 8, v8
	v_cndmask_b32_e64 v29, v39, v29, s[2:3]
	v_cndmask_b32_e64 v27, v27, v28, s[2:3]
	v_lshl_add_u32 v28, v29, 10, v3
	v_and_or_b32 v8, v8, s30, v28
	v_lshl_or_b32 v8, v27, 7, v8
	v_cvt_f32_f16_e32 v28, v8
.LBB279_326:                            ;   in Loop: Header=BB279_284 Depth=1
	s_or_b64 exec, exec, s[16:17]
	v_lshrrev_b32_e32 v8, 16, v24
	v_cmp_gt_i16_sdwa s[12:13], v8, s23 src0_sel:BYTE_0 src1_sel:DWORD
	s_mov_b64 s[2:3], 0
                                        ; implicit-def: $sgpr18
	s_and_saveexec_b64 s[16:17], s[12:13]
	s_xor_b64 s[12:13], exec, s[16:17]
	s_cbranch_execnz .LBB279_461
; %bb.327:                              ;   in Loop: Header=BB279_284 Depth=1
	s_or_saveexec_b64 s[12:13], s[12:13]
	v_mov_b32_e32 v27, s18
	s_xor_b64 exec, exec, s[12:13]
	s_cbranch_execnz .LBB279_464
.LBB279_328:                            ;   in Loop: Header=BB279_284 Depth=1
	s_or_b64 exec, exec, s[12:13]
	s_and_saveexec_b64 s[12:13], s[2:3]
	s_cbranch_execz .LBB279_330
.LBB279_329:                            ;   in Loop: Header=BB279_284 Depth=1
	v_bfe_u32 v27, v24, 16, 3
	v_ffbh_u32_e32 v39, v27
	v_bfe_u32 v29, v24, 19, 4
	v_min_u32_e32 v39, 32, v39
	v_subrev_u32_e32 v40, 28, v39
	v_sub_u32_e32 v39, 29, v39
	v_cmp_eq_u32_e64 s[2:3], 0, v29
	v_lshlrev_b64 v[40:41], v40, v[8:9]
	v_and_b32_e32 v40, 7, v40
	v_cndmask_b32_e64 v29, v29, v39, s[2:3]
	v_lshlrev_b32_e32 v8, 8, v8
	v_lshl_add_u32 v29, v29, 10, v3
	v_cndmask_b32_e64 v27, v27, v40, s[2:3]
	v_and_or_b32 v8, v8, s30, v29
	v_lshl_or_b32 v8, v27, 7, v8
	v_cvt_f32_f16_e32 v27, v8
.LBB279_330:                            ;   in Loop: Header=BB279_284 Depth=1
	s_or_b64 exec, exec, s[12:13]
	v_lshrrev_b32_e32 v8, 24, v24
	v_cmp_lt_i16_e64 s[2:3], s23, v8
	s_mov_b64 s[12:13], 0
                                        ; implicit-def: $sgpr20
	s_and_saveexec_b64 s[16:17], s[2:3]
	s_xor_b64 s[16:17], exec, s[16:17]
	s_cbranch_execnz .LBB279_465
; %bb.331:                              ;   in Loop: Header=BB279_284 Depth=1
	s_or_saveexec_b64 s[16:17], s[16:17]
	v_mov_b32_e32 v29, s20
	s_xor_b64 exec, exec, s[16:17]
	s_cbranch_execnz .LBB279_468
.LBB279_332:                            ;   in Loop: Header=BB279_284 Depth=1
	s_or_b64 exec, exec, s[16:17]
	s_and_saveexec_b64 s[16:17], s[12:13]
	s_cbranch_execz .LBB279_334
.LBB279_333:                            ;   in Loop: Header=BB279_284 Depth=1
	v_bfe_u32 v29, v24, 24, 3
	v_ffbh_u32_e32 v39, v29
	v_bfe_u32 v24, v24, 27, 4
	v_min_u32_e32 v39, 32, v39
	v_subrev_u32_e32 v40, 28, v39
	v_sub_u32_e32 v39, 29, v39
	v_cmp_eq_u32_e64 s[2:3], 0, v24
	v_lshlrev_b64 v[40:41], v40, v[8:9]
	v_and_b32_e32 v40, 7, v40
	v_cndmask_b32_e64 v24, v24, v39, s[2:3]
	v_lshlrev_b32_e32 v8, 8, v8
	v_lshl_add_u32 v24, v24, 10, v3
	v_cndmask_b32_e64 v29, v29, v40, s[2:3]
	v_and_or_b32 v8, v8, s30, v24
	v_lshl_or_b32 v8, v29, 7, v8
	v_cvt_f32_f16_e32 v29, v8
.LBB279_334:                            ;   in Loop: Header=BB279_284 Depth=1
	s_or_b64 exec, exec, s[16:17]
	v_cmp_gt_i16_sdwa s[12:13], v25, s23 src0_sel:BYTE_0 src1_sel:DWORD
	s_mov_b64 s[2:3], 0
                                        ; implicit-def: $sgpr18
	s_and_saveexec_b64 s[16:17], s[12:13]
	s_xor_b64 s[12:13], exec, s[16:17]
	s_cbranch_execnz .LBB279_469
; %bb.335:                              ;   in Loop: Header=BB279_284 Depth=1
	s_or_saveexec_b64 s[12:13], s[12:13]
	v_mov_b32_e32 v24, s18
	s_xor_b64 exec, exec, s[12:13]
	s_cbranch_execnz .LBB279_472
.LBB279_336:                            ;   in Loop: Header=BB279_284 Depth=1
	s_or_b64 exec, exec, s[12:13]
	v_mov_b32_e32 v8, v25
	s_and_saveexec_b64 s[12:13], s[2:3]
	s_cbranch_execz .LBB279_338
.LBB279_337:                            ;   in Loop: Header=BB279_284 Depth=1
	v_and_b32_e32 v24, 7, v25
	v_ffbh_u32_e32 v24, v24
	v_bfe_u32 v39, v25, 3, 4
	v_min_u32_e32 v24, 32, v24
	v_subrev_u32_e32 v40, 28, v24
	v_sub_u32_e32 v24, 29, v24
	v_cmp_eq_u32_e64 s[2:3], 0, v39
	s_nop 1
	v_cndmask_b32_e64 v24, v39, v24, s[2:3]
	v_cndmask_b32_e64 v39, 0, v40, s[2:3]
	v_lshlrev_b64 v[40:41], v39, v[8:9]
	v_lshlrev_b32_e32 v39, 7, v40
	v_lshlrev_b32_e32 v40, 8, v25
	v_lshl_add_u32 v24, v24, 10, v3
	v_and_or_b32 v24, v40, s30, v24
	v_and_or_b32 v24, v39, s31, v24
	v_cvt_f32_f16_e32 v24, v24
.LBB279_338:                            ;   in Loop: Header=BB279_284 Depth=1
	s_or_b64 exec, exec, s[12:13]
	v_lshrrev_b16_e32 v8, 8, v8
	v_cmp_lt_i16_e64 s[2:3], s23, v8
	s_mov_b64 s[12:13], 0
                                        ; implicit-def: $sgpr20
	s_and_saveexec_b64 s[16:17], s[2:3]
	s_xor_b64 s[16:17], exec, s[16:17]
	s_cbranch_execnz .LBB279_473
; %bb.339:                              ;   in Loop: Header=BB279_284 Depth=1
	s_or_saveexec_b64 s[16:17], s[16:17]
	v_mov_b32_e32 v39, s20
	s_xor_b64 exec, exec, s[16:17]
	s_cbranch_execnz .LBB279_476
.LBB279_340:                            ;   in Loop: Header=BB279_284 Depth=1
	s_or_b64 exec, exec, s[16:17]
	s_and_saveexec_b64 s[16:17], s[12:13]
	s_cbranch_execz .LBB279_342
.LBB279_341:                            ;   in Loop: Header=BB279_284 Depth=1
	v_and_b32_e32 v39, 7, v8
	v_ffbh_u32_e32 v40, v39
	v_min_u32_e32 v43, 32, v40
	v_subrev_u32_e32 v40, 28, v43
	v_bfe_u32 v42, v8, 3, 4
	v_lshlrev_b64 v[40:41], v40, v[8:9]
	v_sub_u32_e32 v41, 29, v43
	v_cmp_eq_u32_e64 s[2:3], 0, v42
	v_and_b32_e32 v40, 7, v40
	v_lshlrev_b32_e32 v8, 8, v8
	v_cndmask_b32_e64 v41, v42, v41, s[2:3]
	v_cndmask_b32_e64 v39, v39, v40, s[2:3]
	v_lshl_add_u32 v40, v41, 10, v3
	v_and_or_b32 v8, v8, s30, v40
	v_lshl_or_b32 v8, v39, 7, v8
	v_cvt_f32_f16_e32 v39, v8
.LBB279_342:                            ;   in Loop: Header=BB279_284 Depth=1
	s_or_b64 exec, exec, s[16:17]
	v_lshrrev_b32_e32 v8, 16, v25
	v_cmp_gt_i16_sdwa s[12:13], v8, s23 src0_sel:BYTE_0 src1_sel:DWORD
	s_mov_b64 s[2:3], 0
                                        ; implicit-def: $sgpr18
	s_and_saveexec_b64 s[16:17], s[12:13]
	s_xor_b64 s[12:13], exec, s[16:17]
	s_cbranch_execnz .LBB279_477
; %bb.343:                              ;   in Loop: Header=BB279_284 Depth=1
	s_or_saveexec_b64 s[12:13], s[12:13]
	v_mov_b32_e32 v40, s18
	s_xor_b64 exec, exec, s[12:13]
	s_cbranch_execnz .LBB279_480
.LBB279_344:                            ;   in Loop: Header=BB279_284 Depth=1
	s_or_b64 exec, exec, s[12:13]
	s_and_saveexec_b64 s[12:13], s[2:3]
	s_cbranch_execz .LBB279_346
.LBB279_345:                            ;   in Loop: Header=BB279_284 Depth=1
	v_bfe_u32 v42, v25, 16, 3
	v_ffbh_u32_e32 v40, v42
	v_min_u32_e32 v44, 32, v40
	v_subrev_u32_e32 v40, 28, v44
	v_bfe_u32 v43, v25, 19, 4
	v_lshlrev_b64 v[40:41], v40, v[8:9]
	v_sub_u32_e32 v41, 29, v44
	v_cmp_eq_u32_e64 s[2:3], 0, v43
	v_and_b32_e32 v40, 7, v40
	v_lshlrev_b32_e32 v8, 8, v8
	v_cndmask_b32_e64 v41, v43, v41, s[2:3]
	v_lshl_add_u32 v41, v41, 10, v3
	v_cndmask_b32_e64 v40, v42, v40, s[2:3]
	v_and_or_b32 v8, v8, s30, v41
	v_lshl_or_b32 v8, v40, 7, v8
	v_cvt_f32_f16_e32 v40, v8
.LBB279_346:                            ;   in Loop: Header=BB279_284 Depth=1
	s_or_b64 exec, exec, s[12:13]
	v_lshrrev_b32_e32 v8, 24, v25
	v_cmp_lt_i16_e64 s[2:3], s23, v8
	s_mov_b64 s[12:13], 0
                                        ; implicit-def: $sgpr20
	s_and_saveexec_b64 s[16:17], s[2:3]
	s_xor_b64 s[16:17], exec, s[16:17]
	s_cbranch_execnz .LBB279_481
; %bb.347:                              ;   in Loop: Header=BB279_284 Depth=1
	s_or_saveexec_b64 s[16:17], s[16:17]
	v_mov_b32_e32 v41, s20
	s_xor_b64 exec, exec, s[16:17]
	s_cbranch_execnz .LBB279_484
.LBB279_348:                            ;   in Loop: Header=BB279_284 Depth=1
	s_or_b64 exec, exec, s[16:17]
	s_and_saveexec_b64 s[16:17], s[12:13]
	s_cbranch_execz .LBB279_350
.LBB279_349:                            ;   in Loop: Header=BB279_284 Depth=1
	v_bfe_u32 v41, v25, 24, 3
	v_ffbh_u32_e32 v42, v41
	v_min_u32_e32 v44, 32, v42
	v_subrev_u32_e32 v42, 28, v44
	v_bfe_u32 v25, v25, 27, 4
	v_lshlrev_b64 v[42:43], v42, v[8:9]
	v_sub_u32_e32 v43, 29, v44
	v_cmp_eq_u32_e64 s[2:3], 0, v25
	v_and_b32_e32 v42, 7, v42
	v_lshlrev_b32_e32 v8, 8, v8
	v_cndmask_b32_e64 v25, v25, v43, s[2:3]
	v_lshl_add_u32 v25, v25, 10, v3
	v_cndmask_b32_e64 v41, v41, v42, s[2:3]
	v_and_or_b32 v8, v8, s30, v25
	v_lshl_or_b32 v8, v41, 7, v8
	v_cvt_f32_f16_e32 v41, v8
.LBB279_350:                            ;   in Loop: Header=BB279_284 Depth=1
	s_or_b64 exec, exec, s[16:17]
	s_waitcnt vmcnt(0)
	v_pk_mul_f32 v[28:29], v[22:23], v[28:29] op_sel_hi:[0,1]
	v_pk_mul_f32 v[26:27], v[22:23], v[26:27] op_sel_hi:[0,1]
	v_cvt_f16_f32_e32 v8, v29
	v_cvt_f16_f32_e32 v25, v28
	;; [unrolled: 1-line block ×4, first 2 shown]
	v_fma_mixlo_f16 v24, v22, v24, 0
	v_pack_b32_f16 v25, v25, v8
	v_pack_b32_f16 v26, v26, v27
	v_perm_b32 v8, v26, v25, s34
	v_perm_b32 v25, v26, v25, s35
	v_fma_mixlo_f16 v26, v22, v39, 0
	v_lshlrev_b32_e32 v26, 16, v26
	v_or_b32_sdwa v24, v26, v24 dst_sel:DWORD dst_unused:UNUSED_PAD src0_sel:DWORD src1_sel:WORD_0
	v_fma_mixlo_f16 v26, v22, v40, 0
	v_fma_mixlo_f16 v22, v22, v41, 0
	v_lshlrev_b32_e32 v22, 16, v22
	v_or_b32_sdwa v22, v22, v26 dst_sel:DWORD dst_unused:UNUSED_PAD src0_sel:DWORD src1_sel:WORD_0
	s_and_saveexec_b64 s[12:13], s[0:1]
	s_cbranch_execz .LBB279_352
; %bb.351:                              ;   in Loop: Header=BB279_284 Depth=1
	v_add_u32_e32 v27, 1, v32
	v_lshrrev_b32_e32 v28, 16, v25
	v_cmp_gt_i32_e64 s[2:3], s22, v27
	v_lshrrev_b32_e32 v29, 16, v8
	v_lshrrev_b32_e32 v22, 16, v22
	v_cndmask_b32_e64 v27, 0, v28, s[2:3]
	v_cmp_gt_i32_e64 s[2:3], s29, v32
	v_or_b32_e32 v28, 2, v32
	s_nop 0
	v_cndmask_b32_e64 v25, 0, v25, s[2:3]
	v_perm_b32 v25, v27, v25, s36
	v_or_b32_e32 v27, 3, v32
	v_cmp_gt_i32_e64 s[2:3], s22, v27
	s_nop 1
	v_cndmask_b32_e64 v27, 0, v29, s[2:3]
	v_cmp_gt_i32_e64 s[2:3], s29, v28
	v_or_b32_e32 v28, 4, v32
	v_lshrrev_b32_e32 v29, 16, v24
	v_cndmask_b32_e64 v8, 0, v8, s[2:3]
	v_perm_b32 v8, v27, v8, s36
	v_or_b32_e32 v27, 5, v32
	v_cmp_gt_i32_e64 s[2:3], s22, v27
	s_nop 1
	v_cndmask_b32_e64 v27, 0, v29, s[2:3]
	v_cmp_gt_i32_e64 s[2:3], s29, v28
	v_or_b32_e32 v28, 6, v32
	s_nop 0
	v_cndmask_b32_e64 v24, 0, v24, s[2:3]
	v_perm_b32 v24, v27, v24, s36
	v_or_b32_e32 v27, 7, v32
	v_cmp_gt_i32_e64 s[2:3], s22, v27
	s_nop 1
	v_cndmask_b32_e64 v22, 0, v22, s[2:3]
	v_cmp_gt_i32_e64 s[2:3], s29, v28
	s_nop 1
	v_cndmask_b32_e64 v26, 0, v26, s[2:3]
	v_perm_b32 v22, v22, v26, s36
.LBB279_352:                            ;   in Loop: Header=BB279_284 Depth=1
	s_or_b64 exec, exec, s[12:13]
	;;#ASMSTART
	v_pk_mul_f16 v25, v37, v25;

	;;#ASMEND
	;;#ASMSTART
	v_pk_mul_f16 v8, v36, v8;

	;;#ASMEND
	;; [unrolled: 4-line block ×4, first 2 shown]
	s_mov_b64 s[2:3], 0
	;;#ASMSTART
	v_pk_add_f16 v8, v25, v8;

	;;#ASMEND
                                        ; implicit-def: $sgpr18
	s_nop 0
	;;#ASMSTART
	v_pk_add_f16 v8, v8, v24;

	;;#ASMEND
	s_nop 0
	;;#ASMSTART
	v_pk_add_f16 v8, v8, v22;

	;;#ASMEND
	s_nop 0
	v_lshrrev_b32_e32 v22, 16, v8
	v_and_b32_e32 v8, 0xffff, v8
	;;#ASMSTART
	v_cvt_f32_f16 v28, v8;
	;;#ASMEND
	;;#ASMSTART
	v_cvt_f32_f16 v29, v22;
	;;#ASMEND
	global_load_dwordx2 v[24:25], v[20:21], off offset:1024
	global_load_dword v22, v9, s[14:15]
	s_waitcnt vmcnt(1)
	v_cmp_gt_i16_sdwa s[12:13], v24, s23 src0_sel:BYTE_0 src1_sel:DWORD
	s_and_saveexec_b64 s[16:17], s[12:13]
	s_xor_b64 s[12:13], exec, s[16:17]
	s_cbranch_execnz .LBB279_485
; %bb.353:                              ;   in Loop: Header=BB279_284 Depth=1
	s_or_saveexec_b64 s[12:13], s[12:13]
	v_mov_b32_e32 v20, s18
	s_xor_b64 exec, exec, s[12:13]
	s_cbranch_execnz .LBB279_488
.LBB279_354:                            ;   in Loop: Header=BB279_284 Depth=1
	s_or_b64 exec, exec, s[12:13]
	s_and_saveexec_b64 s[12:13], s[2:3]
	s_cbranch_execz .LBB279_356
.LBB279_355:                            ;   in Loop: Header=BB279_284 Depth=1
	v_and_b32_e32 v8, 7, v24
	v_ffbh_u32_e32 v8, v8
	v_bfe_u32 v20, v24, 3, 4
	v_min_u32_e32 v8, 32, v8
	v_subrev_u32_e32 v21, 28, v8
	v_sub_u32_e32 v8, 29, v8
	v_cmp_eq_u32_e64 s[2:3], 0, v20
	s_nop 1
	v_cndmask_b32_e64 v8, v20, v8, s[2:3]
	v_cndmask_b32_e64 v20, 0, v21, s[2:3]
	v_lshlrev_b64 v[20:21], v20, v[24:25]
	v_lshlrev_b32_e32 v21, 8, v24
	v_lshl_add_u32 v8, v8, 10, v3
	v_lshlrev_b32_e32 v20, 7, v20
	v_and_or_b32 v8, v21, s30, v8
	v_and_or_b32 v8, v20, s31, v8
	v_cvt_f32_f16_e32 v20, v8
.LBB279_356:                            ;   in Loop: Header=BB279_284 Depth=1
	s_or_b64 exec, exec, s[12:13]
	v_lshrrev_b16_e32 v8, 8, v24
	v_cmp_lt_i16_e64 s[2:3], s23, v8
	s_mov_b64 s[12:13], 0
                                        ; implicit-def: $sgpr20
	s_and_saveexec_b64 s[16:17], s[2:3]
	s_xor_b64 s[16:17], exec, s[16:17]
	s_cbranch_execnz .LBB279_489
; %bb.357:                              ;   in Loop: Header=BB279_284 Depth=1
	s_or_saveexec_b64 s[16:17], s[16:17]
	v_mov_b32_e32 v26, s20
	s_xor_b64 exec, exec, s[16:17]
	s_cbranch_execnz .LBB279_492
.LBB279_358:                            ;   in Loop: Header=BB279_284 Depth=1
	s_or_b64 exec, exec, s[16:17]
	s_and_saveexec_b64 s[16:17], s[12:13]
	s_cbranch_execz .LBB279_360
.LBB279_359:                            ;   in Loop: Header=BB279_284 Depth=1
	v_and_b32_e32 v21, 7, v8
	v_ffbh_u32_e32 v26, v21
	v_min_u32_e32 v40, 32, v26
	v_subrev_u32_e32 v26, 28, v40
	v_bfe_u32 v39, v8, 3, 4
	v_lshlrev_b64 v[26:27], v26, v[8:9]
	v_sub_u32_e32 v27, 29, v40
	v_cmp_eq_u32_e64 s[2:3], 0, v39
	v_and_b32_e32 v26, 7, v26
	v_lshlrev_b32_e32 v8, 8, v8
	v_cndmask_b32_e64 v27, v39, v27, s[2:3]
	v_cndmask_b32_e64 v21, v21, v26, s[2:3]
	v_lshl_add_u32 v26, v27, 10, v3
	v_and_or_b32 v8, v8, s30, v26
	v_lshl_or_b32 v8, v21, 7, v8
	v_cvt_f32_f16_e32 v26, v8
.LBB279_360:                            ;   in Loop: Header=BB279_284 Depth=1
	s_or_b64 exec, exec, s[16:17]
	v_lshrrev_b32_e32 v8, 16, v24
	v_cmp_gt_i16_sdwa s[12:13], v8, s23 src0_sel:BYTE_0 src1_sel:DWORD
	s_mov_b64 s[2:3], 0
                                        ; implicit-def: $sgpr18
	s_and_saveexec_b64 s[16:17], s[12:13]
	s_xor_b64 s[12:13], exec, s[16:17]
	s_cbranch_execnz .LBB279_493
; %bb.361:                              ;   in Loop: Header=BB279_284 Depth=1
	s_or_saveexec_b64 s[12:13], s[12:13]
	v_mov_b32_e32 v21, s18
	s_xor_b64 exec, exec, s[12:13]
	s_cbranch_execnz .LBB279_496
.LBB279_362:                            ;   in Loop: Header=BB279_284 Depth=1
	s_or_b64 exec, exec, s[12:13]
	s_and_saveexec_b64 s[12:13], s[2:3]
	s_cbranch_execz .LBB279_364
.LBB279_363:                            ;   in Loop: Header=BB279_284 Depth=1
	v_bfe_u32 v21, v24, 16, 3
	v_ffbh_u32_e32 v39, v21
	v_bfe_u32 v27, v24, 19, 4
	v_min_u32_e32 v39, 32, v39
	v_subrev_u32_e32 v40, 28, v39
	v_sub_u32_e32 v39, 29, v39
	v_cmp_eq_u32_e64 s[2:3], 0, v27
	v_lshlrev_b64 v[40:41], v40, v[8:9]
	v_and_b32_e32 v40, 7, v40
	v_cndmask_b32_e64 v27, v27, v39, s[2:3]
	v_lshlrev_b32_e32 v8, 8, v8
	v_lshl_add_u32 v27, v27, 10, v3
	v_cndmask_b32_e64 v21, v21, v40, s[2:3]
	v_and_or_b32 v8, v8, s30, v27
	v_lshl_or_b32 v8, v21, 7, v8
	v_cvt_f32_f16_e32 v21, v8
.LBB279_364:                            ;   in Loop: Header=BB279_284 Depth=1
	s_or_b64 exec, exec, s[12:13]
	v_lshrrev_b32_e32 v8, 24, v24
	v_cmp_lt_i16_e64 s[2:3], s23, v8
	s_mov_b64 s[12:13], 0
                                        ; implicit-def: $sgpr20
	s_and_saveexec_b64 s[16:17], s[2:3]
	s_xor_b64 s[16:17], exec, s[16:17]
	s_cbranch_execnz .LBB279_497
; %bb.365:                              ;   in Loop: Header=BB279_284 Depth=1
	s_or_saveexec_b64 s[16:17], s[16:17]
	v_mov_b32_e32 v27, s20
	s_xor_b64 exec, exec, s[16:17]
	s_cbranch_execnz .LBB279_500
.LBB279_366:                            ;   in Loop: Header=BB279_284 Depth=1
	s_or_b64 exec, exec, s[16:17]
	s_and_saveexec_b64 s[16:17], s[12:13]
	s_cbranch_execz .LBB279_368
.LBB279_367:                            ;   in Loop: Header=BB279_284 Depth=1
	v_bfe_u32 v27, v24, 24, 3
	v_ffbh_u32_e32 v39, v27
	v_bfe_u32 v24, v24, 27, 4
	v_min_u32_e32 v39, 32, v39
	v_subrev_u32_e32 v40, 28, v39
	v_sub_u32_e32 v39, 29, v39
	v_cmp_eq_u32_e64 s[2:3], 0, v24
	v_lshlrev_b64 v[40:41], v40, v[8:9]
	v_and_b32_e32 v40, 7, v40
	v_cndmask_b32_e64 v24, v24, v39, s[2:3]
	v_lshlrev_b32_e32 v8, 8, v8
	v_lshl_add_u32 v24, v24, 10, v3
	v_cndmask_b32_e64 v27, v27, v40, s[2:3]
	v_and_or_b32 v8, v8, s30, v24
	v_lshl_or_b32 v8, v27, 7, v8
	v_cvt_f32_f16_e32 v27, v8
.LBB279_368:                            ;   in Loop: Header=BB279_284 Depth=1
	s_or_b64 exec, exec, s[16:17]
	v_cmp_gt_i16_sdwa s[12:13], v25, s23 src0_sel:BYTE_0 src1_sel:DWORD
	s_mov_b64 s[2:3], 0
                                        ; implicit-def: $sgpr18
	s_and_saveexec_b64 s[16:17], s[12:13]
	s_xor_b64 s[12:13], exec, s[16:17]
	s_cbranch_execnz .LBB279_501
; %bb.369:                              ;   in Loop: Header=BB279_284 Depth=1
	s_or_saveexec_b64 s[12:13], s[12:13]
	v_mov_b32_e32 v24, s18
	s_xor_b64 exec, exec, s[12:13]
	s_cbranch_execnz .LBB279_504
.LBB279_370:                            ;   in Loop: Header=BB279_284 Depth=1
	s_or_b64 exec, exec, s[12:13]
	v_mov_b32_e32 v8, v25
	s_and_saveexec_b64 s[12:13], s[2:3]
	s_cbranch_execz .LBB279_372
.LBB279_371:                            ;   in Loop: Header=BB279_284 Depth=1
	v_and_b32_e32 v24, 7, v25
	v_ffbh_u32_e32 v24, v24
	v_bfe_u32 v39, v25, 3, 4
	v_min_u32_e32 v24, 32, v24
	v_subrev_u32_e32 v40, 28, v24
	v_sub_u32_e32 v24, 29, v24
	v_cmp_eq_u32_e64 s[2:3], 0, v39
	s_nop 1
	v_cndmask_b32_e64 v24, v39, v24, s[2:3]
	v_cndmask_b32_e64 v39, 0, v40, s[2:3]
	v_lshlrev_b64 v[40:41], v39, v[8:9]
	v_lshlrev_b32_e32 v39, 7, v40
	v_lshlrev_b32_e32 v40, 8, v25
	v_lshl_add_u32 v24, v24, 10, v3
	v_and_or_b32 v24, v40, s30, v24
	v_and_or_b32 v24, v39, s31, v24
	v_cvt_f32_f16_e32 v24, v24
.LBB279_372:                            ;   in Loop: Header=BB279_284 Depth=1
	s_or_b64 exec, exec, s[12:13]
	v_lshrrev_b16_e32 v8, 8, v8
	v_cmp_lt_i16_e64 s[2:3], s23, v8
	s_mov_b64 s[12:13], 0
                                        ; implicit-def: $sgpr20
	s_and_saveexec_b64 s[16:17], s[2:3]
	s_xor_b64 s[16:17], exec, s[16:17]
	s_cbranch_execnz .LBB279_505
; %bb.373:                              ;   in Loop: Header=BB279_284 Depth=1
	s_or_saveexec_b64 s[16:17], s[16:17]
	v_mov_b32_e32 v39, s20
	s_xor_b64 exec, exec, s[16:17]
	s_cbranch_execnz .LBB279_508
.LBB279_374:                            ;   in Loop: Header=BB279_284 Depth=1
	s_or_b64 exec, exec, s[16:17]
	s_and_saveexec_b64 s[16:17], s[12:13]
	s_cbranch_execz .LBB279_376
.LBB279_375:                            ;   in Loop: Header=BB279_284 Depth=1
	v_and_b32_e32 v39, 7, v8
	v_ffbh_u32_e32 v40, v39
	v_min_u32_e32 v43, 32, v40
	v_subrev_u32_e32 v40, 28, v43
	v_bfe_u32 v42, v8, 3, 4
	v_lshlrev_b64 v[40:41], v40, v[8:9]
	v_sub_u32_e32 v41, 29, v43
	v_cmp_eq_u32_e64 s[2:3], 0, v42
	v_and_b32_e32 v40, 7, v40
	v_lshlrev_b32_e32 v8, 8, v8
	v_cndmask_b32_e64 v41, v42, v41, s[2:3]
	v_cndmask_b32_e64 v39, v39, v40, s[2:3]
	v_lshl_add_u32 v40, v41, 10, v3
	v_and_or_b32 v8, v8, s30, v40
	v_lshl_or_b32 v8, v39, 7, v8
	v_cvt_f32_f16_e32 v39, v8
.LBB279_376:                            ;   in Loop: Header=BB279_284 Depth=1
	s_or_b64 exec, exec, s[16:17]
	v_lshrrev_b32_e32 v8, 16, v25
	v_cmp_gt_i16_sdwa s[12:13], v8, s23 src0_sel:BYTE_0 src1_sel:DWORD
	s_mov_b64 s[2:3], 0
                                        ; implicit-def: $sgpr18
	s_and_saveexec_b64 s[16:17], s[12:13]
	s_xor_b64 s[12:13], exec, s[16:17]
	s_cbranch_execnz .LBB279_509
; %bb.377:                              ;   in Loop: Header=BB279_284 Depth=1
	s_or_saveexec_b64 s[12:13], s[12:13]
	v_mov_b32_e32 v40, s18
	s_xor_b64 exec, exec, s[12:13]
	s_cbranch_execnz .LBB279_512
.LBB279_378:                            ;   in Loop: Header=BB279_284 Depth=1
	s_or_b64 exec, exec, s[12:13]
	s_and_saveexec_b64 s[12:13], s[2:3]
	s_cbranch_execz .LBB279_380
.LBB279_379:                            ;   in Loop: Header=BB279_284 Depth=1
	v_bfe_u32 v42, v25, 16, 3
	v_ffbh_u32_e32 v40, v42
	v_min_u32_e32 v44, 32, v40
	v_subrev_u32_e32 v40, 28, v44
	v_bfe_u32 v43, v25, 19, 4
	v_lshlrev_b64 v[40:41], v40, v[8:9]
	v_sub_u32_e32 v41, 29, v44
	v_cmp_eq_u32_e64 s[2:3], 0, v43
	v_and_b32_e32 v40, 7, v40
	v_lshlrev_b32_e32 v8, 8, v8
	v_cndmask_b32_e64 v41, v43, v41, s[2:3]
	v_lshl_add_u32 v41, v41, 10, v3
	v_cndmask_b32_e64 v40, v42, v40, s[2:3]
	v_and_or_b32 v8, v8, s30, v41
	v_lshl_or_b32 v8, v40, 7, v8
	v_cvt_f32_f16_e32 v40, v8
.LBB279_380:                            ;   in Loop: Header=BB279_284 Depth=1
	s_or_b64 exec, exec, s[12:13]
	v_lshrrev_b32_e32 v8, 24, v25
	v_cmp_lt_i16_e64 s[2:3], s23, v8
	s_mov_b64 s[12:13], 0
                                        ; implicit-def: $sgpr20
	s_and_saveexec_b64 s[16:17], s[2:3]
	s_xor_b64 s[16:17], exec, s[16:17]
	s_cbranch_execnz .LBB279_513
; %bb.381:                              ;   in Loop: Header=BB279_284 Depth=1
	s_or_saveexec_b64 s[16:17], s[16:17]
	v_mov_b32_e32 v41, s20
	s_xor_b64 exec, exec, s[16:17]
	s_cbranch_execnz .LBB279_516
.LBB279_382:                            ;   in Loop: Header=BB279_284 Depth=1
	s_or_b64 exec, exec, s[16:17]
	s_and_saveexec_b64 s[16:17], s[12:13]
	s_cbranch_execz .LBB279_384
.LBB279_383:                            ;   in Loop: Header=BB279_284 Depth=1
	v_bfe_u32 v41, v25, 24, 3
	v_ffbh_u32_e32 v42, v41
	v_min_u32_e32 v44, 32, v42
	v_subrev_u32_e32 v42, 28, v44
	v_bfe_u32 v25, v25, 27, 4
	v_lshlrev_b64 v[42:43], v42, v[8:9]
	v_sub_u32_e32 v43, 29, v44
	v_cmp_eq_u32_e64 s[2:3], 0, v25
	v_and_b32_e32 v42, 7, v42
	v_lshlrev_b32_e32 v8, 8, v8
	v_cndmask_b32_e64 v25, v25, v43, s[2:3]
	v_lshl_add_u32 v25, v25, 10, v3
	v_cndmask_b32_e64 v41, v41, v42, s[2:3]
	v_and_or_b32 v8, v8, s30, v25
	v_lshl_or_b32 v8, v41, 7, v8
	v_cvt_f32_f16_e32 v41, v8
.LBB279_384:                            ;   in Loop: Header=BB279_284 Depth=1
	s_or_b64 exec, exec, s[16:17]
	s_waitcnt vmcnt(0)
	v_pk_mul_f32 v[20:21], v[22:23], v[20:21] op_sel_hi:[0,1]
	v_cvt_f16_f32_e32 v21, v21
	v_cvt_f16_f32_e32 v20, v20
	v_pk_mul_f32 v[26:27], v[22:23], v[26:27] op_sel_hi:[0,1]
	v_cvt_f16_f32_e32 v8, v27
	v_cvt_f16_f32_e32 v25, v26
	v_pack_b32_f16 v20, v20, v21
	v_fma_mixlo_f16 v21, v22, v39, 0
	v_lshlrev_b32_e32 v21, 16, v21
	v_fma_mixlo_f16 v24, v22, v24, 0
	v_or_b32_sdwa v21, v21, v24 dst_sel:DWORD dst_unused:UNUSED_PAD src0_sel:DWORD src1_sel:WORD_0
	v_fma_mixlo_f16 v24, v22, v40, 0
	v_fma_mixlo_f16 v22, v22, v41, 0
	v_pack_b32_f16 v25, v25, v8
	v_lshlrev_b32_e32 v22, 16, v22
	v_perm_b32 v8, v20, v25, s34
	v_perm_b32 v20, v20, v25, s35
	v_or_b32_sdwa v22, v22, v24 dst_sel:DWORD dst_unused:UNUSED_PAD src0_sel:DWORD src1_sel:WORD_0
	s_and_saveexec_b64 s[12:13], s[0:1]
	s_cbranch_execz .LBB279_386
; %bb.385:                              ;   in Loop: Header=BB279_284 Depth=1
	v_add_u32_e32 v25, 1, v32
	v_lshrrev_b32_e32 v26, 16, v20
	v_cmp_gt_i32_e64 s[2:3], s22, v25
	v_lshrrev_b32_e32 v27, 16, v8
	v_lshrrev_b32_e32 v22, 16, v22
	v_cndmask_b32_e64 v25, 0, v26, s[2:3]
	v_cmp_gt_i32_e64 s[2:3], s29, v32
	v_or_b32_e32 v26, 2, v32
	s_nop 0
	v_cndmask_b32_e64 v20, 0, v20, s[2:3]
	v_perm_b32 v20, v25, v20, s36
	v_or_b32_e32 v25, 3, v32
	v_cmp_gt_i32_e64 s[2:3], s22, v25
	s_nop 1
	v_cndmask_b32_e64 v25, 0, v27, s[2:3]
	v_cmp_gt_i32_e64 s[2:3], s29, v26
	v_or_b32_e32 v26, 4, v32
	v_lshrrev_b32_e32 v27, 16, v21
	v_cndmask_b32_e64 v8, 0, v8, s[2:3]
	v_perm_b32 v8, v25, v8, s36
	v_or_b32_e32 v25, 5, v32
	v_cmp_gt_i32_e64 s[2:3], s22, v25
	s_nop 1
	v_cndmask_b32_e64 v25, 0, v27, s[2:3]
	v_cmp_gt_i32_e64 s[2:3], s29, v26
	v_or_b32_e32 v26, 6, v32
	s_nop 0
	v_cndmask_b32_e64 v21, 0, v21, s[2:3]
	v_perm_b32 v21, v25, v21, s36
	v_or_b32_e32 v25, 7, v32
	v_cmp_gt_i32_e64 s[2:3], s22, v25
	s_nop 1
	v_cndmask_b32_e64 v22, 0, v22, s[2:3]
	v_cmp_gt_i32_e64 s[2:3], s29, v26
	s_nop 1
	v_cndmask_b32_e64 v24, 0, v24, s[2:3]
	v_perm_b32 v22, v22, v24, s36
.LBB279_386:                            ;   in Loop: Header=BB279_284 Depth=1
	s_or_b64 exec, exec, s[12:13]
	;;#ASMSTART
	v_pk_mul_f16 v20, v37, v20;

	;;#ASMEND
	;;#ASMSTART
	v_pk_mul_f16 v8, v36, v8;

	;;#ASMEND
	;; [unrolled: 4-line block ×4, first 2 shown]
	v_add_f32_e32 v23, v23, v38
	;;#ASMSTART
	v_pk_add_f16 v8, v20, v8;

	;;#ASMEND
	v_add_f32_e32 v12, v12, v23
	;;#ASMSTART
	v_pk_add_f16 v8, v8, v21;

	;;#ASMEND
	;; [unrolled: 5-line block ×3, first 2 shown]
	v_add_f32_e32 v13, v13, v23
	v_lshrrev_b32_e32 v20, 16, v8
	v_and_b32_e32 v8, 0xffff, v8
	;;#ASMSTART
	v_cvt_f32_f16 v8, v8;
	;;#ASMEND
	;;#ASMSTART
	v_cvt_f32_f16 v20, v20;
	;;#ASMEND
	s_nop 0
	v_add_f32_e32 v8, v8, v20
	v_add_f32_e32 v6, v6, v8
	s_and_saveexec_b64 s[12:13], vcc
	s_cbranch_execz .LBB279_283
; %bb.387:                              ;   in Loop: Header=BB279_284 Depth=1
	v_lshl_add_u64 v[22:23], v[18:19], 0, v[10:11]
	global_load_dwordx2 v[20:21], v[22:23], off
	global_load_dword v18, v9, s[14:15]
	s_mov_b64 s[2:3], 0
                                        ; implicit-def: $sgpr20
	s_waitcnt vmcnt(1)
	v_cmp_gt_i16_sdwa s[16:17], v20, s23 src0_sel:BYTE_0 src1_sel:DWORD
	s_and_saveexec_b64 s[18:19], s[16:17]
	s_xor_b64 s[16:17], exec, s[18:19]
	s_cbranch_execnz .LBB279_517
; %bb.388:                              ;   in Loop: Header=BB279_284 Depth=1
	s_or_saveexec_b64 s[16:17], s[16:17]
	v_mov_b32_e32 v22, s20
	s_xor_b64 exec, exec, s[16:17]
	s_cbranch_execnz .LBB279_520
.LBB279_389:                            ;   in Loop: Header=BB279_284 Depth=1
	s_or_b64 exec, exec, s[16:17]
	s_and_saveexec_b64 s[16:17], s[2:3]
	s_cbranch_execz .LBB279_391
.LBB279_390:                            ;   in Loop: Header=BB279_284 Depth=1
	v_and_b32_e32 v8, 7, v20
	v_ffbh_u32_e32 v8, v8
	v_bfe_u32 v19, v20, 3, 4
	v_min_u32_e32 v8, 32, v8
	v_subrev_u32_e32 v22, 28, v8
	v_sub_u32_e32 v8, 29, v8
	v_cmp_eq_u32_e64 s[2:3], 0, v19
	s_nop 1
	v_cndmask_b32_e64 v8, v19, v8, s[2:3]
	v_cndmask_b32_e64 v19, 0, v22, s[2:3]
	v_lshlrev_b64 v[22:23], v19, v[20:21]
	v_lshlrev_b32_e32 v19, 7, v22
	v_lshlrev_b32_e32 v22, 8, v20
	v_lshl_add_u32 v8, v8, 10, v3
	v_and_or_b32 v8, v22, s30, v8
	v_and_or_b32 v8, v19, s31, v8
	v_cvt_f32_f16_e32 v22, v8
.LBB279_391:                            ;   in Loop: Header=BB279_284 Depth=1
	s_or_b64 exec, exec, s[16:17]
	v_lshrrev_b16_e32 v8, 8, v20
	v_cmp_lt_i16_e64 s[2:3], s23, v8
	s_mov_b64 s[16:17], 0
                                        ; implicit-def: $sgpr37
	s_and_saveexec_b64 s[18:19], s[2:3]
	s_xor_b64 s[18:19], exec, s[18:19]
	s_cbranch_execnz .LBB279_521
; %bb.392:                              ;   in Loop: Header=BB279_284 Depth=1
	s_or_saveexec_b64 s[18:19], s[18:19]
	v_mov_b32_e32 v24, s37
	s_xor_b64 exec, exec, s[18:19]
	s_cbranch_execnz .LBB279_524
.LBB279_393:                            ;   in Loop: Header=BB279_284 Depth=1
	s_or_b64 exec, exec, s[18:19]
	s_and_saveexec_b64 s[18:19], s[16:17]
	s_cbranch_execz .LBB279_395
.LBB279_394:                            ;   in Loop: Header=BB279_284 Depth=1
	v_and_b32_e32 v19, 7, v8
	v_ffbh_u32_e32 v24, v19
	v_min_u32_e32 v26, 32, v24
	v_subrev_u32_e32 v24, 28, v26
	v_bfe_u32 v23, v8, 3, 4
	v_lshlrev_b64 v[24:25], v24, v[8:9]
	v_sub_u32_e32 v25, 29, v26
	v_cmp_eq_u32_e64 s[2:3], 0, v23
	v_and_b32_e32 v24, 7, v24
	v_lshlrev_b32_e32 v8, 8, v8
	v_cndmask_b32_e64 v23, v23, v25, s[2:3]
	v_lshl_add_u32 v23, v23, 10, v3
	v_cndmask_b32_e64 v19, v19, v24, s[2:3]
	v_and_or_b32 v8, v8, s30, v23
	v_lshl_or_b32 v8, v19, 7, v8
	v_cvt_f32_f16_e32 v24, v8
.LBB279_395:                            ;   in Loop: Header=BB279_284 Depth=1
	s_or_b64 exec, exec, s[18:19]
	v_lshrrev_b32_e32 v8, 16, v20
	v_cmp_gt_i16_sdwa s[16:17], v8, s23 src0_sel:BYTE_0 src1_sel:DWORD
	s_mov_b64 s[2:3], 0
                                        ; implicit-def: $sgpr20
	s_and_saveexec_b64 s[18:19], s[16:17]
	s_xor_b64 s[16:17], exec, s[18:19]
	s_cbranch_execnz .LBB279_525
; %bb.396:                              ;   in Loop: Header=BB279_284 Depth=1
	s_or_saveexec_b64 s[16:17], s[16:17]
	v_mov_b32_e32 v23, s20
	s_xor_b64 exec, exec, s[16:17]
	s_cbranch_execnz .LBB279_528
.LBB279_397:                            ;   in Loop: Header=BB279_284 Depth=1
	s_or_b64 exec, exec, s[16:17]
	s_and_saveexec_b64 s[16:17], s[2:3]
	s_cbranch_execz .LBB279_399
.LBB279_398:                            ;   in Loop: Header=BB279_284 Depth=1
	v_bfe_u32 v19, v20, 16, 3
	v_ffbh_u32_e32 v25, v19
	v_bfe_u32 v23, v20, 19, 4
	v_min_u32_e32 v25, 32, v25
	v_subrev_u32_e32 v26, 28, v25
	v_sub_u32_e32 v25, 29, v25
	v_cmp_eq_u32_e64 s[2:3], 0, v23
	v_lshlrev_b64 v[26:27], v26, v[8:9]
	v_and_b32_e32 v26, 7, v26
	v_cndmask_b32_e64 v23, v23, v25, s[2:3]
	v_lshlrev_b32_e32 v8, 8, v8
	v_lshl_add_u32 v23, v23, 10, v3
	v_cndmask_b32_e64 v19, v19, v26, s[2:3]
	v_and_or_b32 v8, v8, s30, v23
	v_lshl_or_b32 v8, v19, 7, v8
	v_cvt_f32_f16_e32 v23, v8
.LBB279_399:                            ;   in Loop: Header=BB279_284 Depth=1
	s_or_b64 exec, exec, s[16:17]
	v_lshrrev_b32_e32 v8, 24, v20
	v_cmp_lt_i16_e64 s[2:3], s23, v8
	s_mov_b64 s[16:17], 0
                                        ; implicit-def: $sgpr37
	s_and_saveexec_b64 s[18:19], s[2:3]
	s_xor_b64 s[18:19], exec, s[18:19]
	s_cbranch_execnz .LBB279_529
; %bb.400:                              ;   in Loop: Header=BB279_284 Depth=1
	s_or_saveexec_b64 s[18:19], s[18:19]
	v_mov_b32_e32 v25, s37
	s_xor_b64 exec, exec, s[18:19]
	s_cbranch_execnz .LBB279_532
.LBB279_401:                            ;   in Loop: Header=BB279_284 Depth=1
	s_or_b64 exec, exec, s[18:19]
	s_and_saveexec_b64 s[18:19], s[16:17]
	s_cbranch_execz .LBB279_403
.LBB279_402:                            ;   in Loop: Header=BB279_284 Depth=1
	v_bfe_u32 v19, v20, 24, 3
	v_ffbh_u32_e32 v25, v19
	v_bfe_u32 v20, v20, 27, 4
	v_min_u32_e32 v25, 32, v25
	v_subrev_u32_e32 v26, 28, v25
	v_sub_u32_e32 v25, 29, v25
	v_cmp_eq_u32_e64 s[2:3], 0, v20
	v_lshlrev_b64 v[26:27], v26, v[8:9]
	v_and_b32_e32 v26, 7, v26
	v_cndmask_b32_e64 v20, v20, v25, s[2:3]
	v_lshlrev_b32_e32 v8, 8, v8
	v_lshl_add_u32 v20, v20, 10, v3
	v_cndmask_b32_e64 v19, v19, v26, s[2:3]
	v_and_or_b32 v8, v8, s30, v20
	v_lshl_or_b32 v8, v19, 7, v8
	v_cvt_f32_f16_e32 v25, v8
.LBB279_403:                            ;   in Loop: Header=BB279_284 Depth=1
	s_or_b64 exec, exec, s[18:19]
	v_cmp_gt_i16_sdwa s[16:17], v21, s23 src0_sel:BYTE_0 src1_sel:DWORD
	s_mov_b64 s[2:3], 0
                                        ; implicit-def: $sgpr20
	s_and_saveexec_b64 s[18:19], s[16:17]
	s_xor_b64 s[16:17], exec, s[18:19]
	s_cbranch_execnz .LBB279_533
; %bb.404:                              ;   in Loop: Header=BB279_284 Depth=1
	s_or_saveexec_b64 s[16:17], s[16:17]
	v_mov_b32_e32 v19, s20
	s_xor_b64 exec, exec, s[16:17]
	s_cbranch_execnz .LBB279_536
.LBB279_405:                            ;   in Loop: Header=BB279_284 Depth=1
	s_or_b64 exec, exec, s[16:17]
	v_mov_b32_e32 v8, v21
	s_and_saveexec_b64 s[16:17], s[2:3]
	s_cbranch_execz .LBB279_407
.LBB279_406:                            ;   in Loop: Header=BB279_284 Depth=1
	v_and_b32_e32 v19, 7, v21
	v_ffbh_u32_e32 v19, v19
	v_bfe_u32 v20, v21, 3, 4
	v_min_u32_e32 v19, 32, v19
	v_subrev_u32_e32 v26, 28, v19
	v_sub_u32_e32 v19, 29, v19
	v_cmp_eq_u32_e64 s[2:3], 0, v20
	s_nop 1
	v_cndmask_b32_e64 v19, v20, v19, s[2:3]
	v_cndmask_b32_e64 v20, 0, v26, s[2:3]
	v_lshlrev_b64 v[26:27], v20, v[8:9]
	v_lshlrev_b32_e32 v20, 7, v26
	v_lshlrev_b32_e32 v26, 8, v21
	v_lshl_add_u32 v19, v19, 10, v3
	v_and_or_b32 v19, v26, s30, v19
	v_and_or_b32 v19, v20, s31, v19
	v_cvt_f32_f16_e32 v19, v19
.LBB279_407:                            ;   in Loop: Header=BB279_284 Depth=1
	s_or_b64 exec, exec, s[16:17]
	v_lshrrev_b16_e32 v8, 8, v8
	v_cmp_lt_i16_e64 s[2:3], s23, v8
	s_mov_b64 s[16:17], 0
                                        ; implicit-def: $sgpr37
	s_and_saveexec_b64 s[18:19], s[2:3]
	s_xor_b64 s[18:19], exec, s[18:19]
	s_cbranch_execnz .LBB279_537
; %bb.408:                              ;   in Loop: Header=BB279_284 Depth=1
	s_or_saveexec_b64 s[18:19], s[18:19]
	v_mov_b32_e32 v20, s37
	s_xor_b64 exec, exec, s[18:19]
	s_cbranch_execnz .LBB279_540
.LBB279_409:                            ;   in Loop: Header=BB279_284 Depth=1
	s_or_b64 exec, exec, s[18:19]
	s_and_saveexec_b64 s[18:19], s[16:17]
	s_cbranch_execz .LBB279_411
.LBB279_410:                            ;   in Loop: Header=BB279_284 Depth=1
	v_and_b32_e32 v20, 7, v8
	v_ffbh_u32_e32 v26, v20
	v_min_u32_e32 v29, 32, v26
	v_subrev_u32_e32 v26, 28, v29
	v_bfe_u32 v28, v8, 3, 4
	v_lshlrev_b64 v[26:27], v26, v[8:9]
	v_sub_u32_e32 v27, 29, v29
	v_cmp_eq_u32_e64 s[2:3], 0, v28
	v_and_b32_e32 v26, 7, v26
	v_lshlrev_b32_e32 v8, 8, v8
	v_cndmask_b32_e64 v27, v28, v27, s[2:3]
	v_cndmask_b32_e64 v20, v20, v26, s[2:3]
	v_lshl_add_u32 v26, v27, 10, v3
	v_and_or_b32 v8, v8, s30, v26
	v_lshl_or_b32 v8, v20, 7, v8
	v_cvt_f32_f16_e32 v20, v8
.LBB279_411:                            ;   in Loop: Header=BB279_284 Depth=1
	s_or_b64 exec, exec, s[18:19]
	v_lshrrev_b32_e32 v8, 16, v21
	v_cmp_gt_i16_sdwa s[16:17], v8, s23 src0_sel:BYTE_0 src1_sel:DWORD
	s_mov_b64 s[2:3], 0
                                        ; implicit-def: $sgpr20
	s_and_saveexec_b64 s[18:19], s[16:17]
	s_xor_b64 s[16:17], exec, s[18:19]
	s_cbranch_execnz .LBB279_541
; %bb.412:                              ;   in Loop: Header=BB279_284 Depth=1
	s_or_saveexec_b64 s[16:17], s[16:17]
	v_mov_b32_e32 v26, s20
	s_xor_b64 exec, exec, s[16:17]
	s_cbranch_execnz .LBB279_544
.LBB279_413:                            ;   in Loop: Header=BB279_284 Depth=1
	s_or_b64 exec, exec, s[16:17]
	s_and_saveexec_b64 s[16:17], s[2:3]
	s_cbranch_execz .LBB279_415
.LBB279_414:                            ;   in Loop: Header=BB279_284 Depth=1
	v_bfe_u32 v28, v21, 16, 3
	v_ffbh_u32_e32 v26, v28
	v_min_u32_e32 v38, 32, v26
	v_subrev_u32_e32 v26, 28, v38
	v_bfe_u32 v29, v21, 19, 4
	v_lshlrev_b64 v[26:27], v26, v[8:9]
	v_sub_u32_e32 v27, 29, v38
	v_cmp_eq_u32_e64 s[2:3], 0, v29
	v_and_b32_e32 v26, 7, v26
	v_lshlrev_b32_e32 v8, 8, v8
	v_cndmask_b32_e64 v27, v29, v27, s[2:3]
	v_lshl_add_u32 v27, v27, 10, v3
	v_cndmask_b32_e64 v26, v28, v26, s[2:3]
	v_and_or_b32 v8, v8, s30, v27
	v_lshl_or_b32 v8, v26, 7, v8
	v_cvt_f32_f16_e32 v26, v8
.LBB279_415:                            ;   in Loop: Header=BB279_284 Depth=1
	s_or_b64 exec, exec, s[16:17]
	v_lshrrev_b32_e32 v8, 24, v21
	v_cmp_lt_i16_e64 s[2:3], s23, v8
	s_mov_b64 s[16:17], 0
                                        ; implicit-def: $sgpr37
	s_and_saveexec_b64 s[18:19], s[2:3]
	s_xor_b64 s[18:19], exec, s[18:19]
	s_cbranch_execnz .LBB279_545
; %bb.416:                              ;   in Loop: Header=BB279_284 Depth=1
	s_or_saveexec_b64 s[18:19], s[18:19]
	v_mov_b32_e32 v27, s37
	s_xor_b64 exec, exec, s[18:19]
	s_cbranch_execnz .LBB279_548
.LBB279_417:                            ;   in Loop: Header=BB279_284 Depth=1
	s_or_b64 exec, exec, s[18:19]
	s_and_saveexec_b64 s[18:19], s[16:17]
	s_cbranch_execz .LBB279_419
.LBB279_418:                            ;   in Loop: Header=BB279_284 Depth=1
	v_bfe_u32 v27, v21, 24, 3
	v_ffbh_u32_e32 v28, v27
	v_min_u32_e32 v38, 32, v28
	v_subrev_u32_e32 v28, 28, v38
	v_bfe_u32 v21, v21, 27, 4
	v_lshlrev_b64 v[28:29], v28, v[8:9]
	v_sub_u32_e32 v29, 29, v38
	v_cmp_eq_u32_e64 s[2:3], 0, v21
	v_and_b32_e32 v28, 7, v28
	v_lshlrev_b32_e32 v8, 8, v8
	v_cndmask_b32_e64 v21, v21, v29, s[2:3]
	v_lshl_add_u32 v21, v21, 10, v3
	v_cndmask_b32_e64 v27, v27, v28, s[2:3]
	v_and_or_b32 v8, v8, s30, v21
	v_lshl_or_b32 v8, v27, 7, v8
	v_cvt_f32_f16_e32 v27, v8
.LBB279_419:                            ;   in Loop: Header=BB279_284 Depth=1
	s_or_b64 exec, exec, s[18:19]
	s_waitcnt vmcnt(0)
	v_pk_mul_f32 v[24:25], v[18:19], v[24:25] op_sel_hi:[0,1]
	v_pk_mul_f32 v[22:23], v[18:19], v[22:23] op_sel_hi:[0,1]
	v_cvt_f16_f32_e32 v8, v25
	v_cvt_f16_f32_e32 v21, v24
	;; [unrolled: 1-line block ×4, first 2 shown]
	v_fma_mixlo_f16 v20, v18, v20, 0
	v_lshlrev_b32_e32 v20, 16, v20
	v_fma_mixlo_f16 v19, v18, v19, 0
	v_or_b32_sdwa v19, v20, v19 dst_sel:DWORD dst_unused:UNUSED_PAD src0_sel:DWORD src1_sel:WORD_0
	v_fma_mixlo_f16 v20, v18, v26, 0
	v_fma_mixlo_f16 v18, v18, v27, 0
	v_pack_b32_f16 v21, v21, v8
	v_pack_b32_f16 v22, v22, v23
	v_lshlrev_b32_e32 v18, 16, v18
	v_perm_b32 v8, v22, v21, s34
	v_perm_b32 v21, v22, v21, s35
	v_or_b32_sdwa v18, v18, v20 dst_sel:DWORD dst_unused:UNUSED_PAD src0_sel:DWORD src1_sel:WORD_0
	s_and_saveexec_b64 s[2:3], s[0:1]
	s_cbranch_execz .LBB279_282
; %bb.420:                              ;   in Loop: Header=BB279_284 Depth=1
	v_add_u32_e32 v22, 1, v32
	v_lshrrev_b32_e32 v23, 16, v21
	v_cmp_gt_i32_e64 s[0:1], s22, v22
	v_lshrrev_b32_e32 v24, 16, v8
	v_lshrrev_b32_e32 v18, 16, v18
	v_cndmask_b32_e64 v22, 0, v23, s[0:1]
	v_cmp_gt_i32_e64 s[0:1], s29, v32
	v_or_b32_e32 v23, 2, v32
	s_nop 0
	v_cndmask_b32_e64 v21, 0, v21, s[0:1]
	v_perm_b32 v21, v22, v21, s36
	v_or_b32_e32 v22, 3, v32
	v_cmp_gt_i32_e64 s[0:1], s22, v22
	s_nop 1
	v_cndmask_b32_e64 v22, 0, v24, s[0:1]
	v_cmp_gt_i32_e64 s[0:1], s29, v23
	v_or_b32_e32 v23, 4, v32
	v_lshrrev_b32_e32 v24, 16, v19
	v_cndmask_b32_e64 v8, 0, v8, s[0:1]
	v_perm_b32 v8, v22, v8, s36
	v_or_b32_e32 v22, 5, v32
	v_cmp_gt_i32_e64 s[0:1], s22, v22
	s_nop 1
	v_cndmask_b32_e64 v22, 0, v24, s[0:1]
	v_cmp_gt_i32_e64 s[0:1], s29, v23
	v_or_b32_e32 v23, 6, v32
	s_nop 0
	v_cndmask_b32_e64 v19, 0, v19, s[0:1]
	v_perm_b32 v19, v22, v19, s36
	v_or_b32_e32 v22, 7, v32
	v_cmp_gt_i32_e64 s[0:1], s22, v22
	s_nop 1
	v_cndmask_b32_e64 v18, 0, v18, s[0:1]
	v_cmp_gt_i32_e64 s[0:1], s29, v23
	s_nop 1
	v_cndmask_b32_e64 v20, 0, v20, s[0:1]
	v_perm_b32 v18, v18, v20, s36
	s_branch .LBB279_282
.LBB279_421:                            ;   in Loop: Header=BB279_284 Depth=1
	v_cmp_eq_u16_sdwa s[18:19], v24, s28 src0_sel:BYTE_0 src1_sel:DWORD
	s_mov_b64 s[0:1], -1
                                        ; implicit-def: $sgpr16
	s_and_saveexec_b64 s[12:13], s[18:19]
; %bb.422:                              ;   in Loop: Header=BB279_284 Depth=1
	s_mov_b32 s16, 0x7fc02000
	s_xor_b64 s[0:1], exec, -1
; %bb.423:                              ;   in Loop: Header=BB279_284 Depth=1
	s_or_b64 exec, exec, s[12:13]
	s_and_b64 s[0:1], s[0:1], exec
	s_or_saveexec_b64 s[2:3], s[2:3]
	v_mov_b32_e32 v26, s16
	s_xor_b64 exec, exec, s[2:3]
	s_cbranch_execz .LBB279_286
.LBB279_424:                            ;   in Loop: Header=BB279_284 Depth=1
	v_cmp_ne_u16_sdwa s[12:13], v24, v9 src0_sel:BYTE_0 src1_sel:DWORD
	s_andn2_b64 s[0:1], s[0:1], exec
	s_and_b64 s[12:13], s[12:13], exec
	v_mov_b32_e32 v26, 0
	s_or_b64 s[0:1], s[0:1], s[12:13]
	s_or_b64 exec, exec, s[2:3]
	s_and_saveexec_b64 s[2:3], s[0:1]
	s_cbranch_execnz .LBB279_287
	s_branch .LBB279_288
.LBB279_425:                            ;   in Loop: Header=BB279_284 Depth=1
	v_cmp_eq_u16_e64 s[0:1], s28, v8
	s_mov_b64 s[2:3], -1
                                        ; implicit-def: $sgpr18
	s_and_saveexec_b64 s[16:17], s[0:1]
; %bb.426:                              ;   in Loop: Header=BB279_284 Depth=1
	s_mov_b32 s18, 0x7fc02000
	s_xor_b64 s[2:3], exec, -1
; %bb.427:                              ;   in Loop: Header=BB279_284 Depth=1
	s_or_b64 exec, exec, s[16:17]
	s_and_b64 s[2:3], s[2:3], exec
	s_or_saveexec_b64 s[12:13], s[12:13]
	v_mov_b32_e32 v28, s18
	s_xor_b64 exec, exec, s[12:13]
	s_cbranch_execz .LBB279_290
.LBB279_428:                            ;   in Loop: Header=BB279_284 Depth=1
	v_cmp_ne_u16_e64 s[0:1], 0, v8
	s_andn2_b64 s[2:3], s[2:3], exec
	s_and_b64 s[0:1], s[0:1], exec
	v_mov_b32_e32 v28, 0
	s_or_b64 s[2:3], s[2:3], s[0:1]
	s_or_b64 exec, exec, s[12:13]
	s_and_saveexec_b64 s[12:13], s[2:3]
	s_cbranch_execnz .LBB279_291
	s_branch .LBB279_292
.LBB279_429:                            ;   in Loop: Header=BB279_284 Depth=1
	v_cmp_eq_u16_sdwa s[18:19], v8, s28 src0_sel:BYTE_0 src1_sel:DWORD
	s_mov_b64 s[0:1], -1
                                        ; implicit-def: $sgpr16
	s_and_saveexec_b64 s[12:13], s[18:19]
; %bb.430:                              ;   in Loop: Header=BB279_284 Depth=1
	s_mov_b32 s16, 0x7fc02000
	s_xor_b64 s[0:1], exec, -1
; %bb.431:                              ;   in Loop: Header=BB279_284 Depth=1
	s_or_b64 exec, exec, s[12:13]
	s_and_b64 s[0:1], s[0:1], exec
	s_or_saveexec_b64 s[2:3], s[2:3]
	v_mov_b32_e32 v27, s16
	s_xor_b64 exec, exec, s[2:3]
	s_cbranch_execz .LBB279_294
.LBB279_432:                            ;   in Loop: Header=BB279_284 Depth=1
	v_cmp_ne_u16_sdwa s[12:13], v8, v9 src0_sel:BYTE_0 src1_sel:DWORD
	s_andn2_b64 s[0:1], s[0:1], exec
	s_and_b64 s[12:13], s[12:13], exec
	v_mov_b32_e32 v27, 0
	s_or_b64 s[0:1], s[0:1], s[12:13]
	s_or_b64 exec, exec, s[2:3]
	s_and_saveexec_b64 s[2:3], s[0:1]
	s_cbranch_execnz .LBB279_295
	s_branch .LBB279_296
.LBB279_433:                            ;   in Loop: Header=BB279_284 Depth=1
	v_cmp_eq_u16_e64 s[0:1], s28, v8
	s_mov_b64 s[2:3], -1
                                        ; implicit-def: $sgpr18
	s_and_saveexec_b64 s[16:17], s[0:1]
; %bb.434:                              ;   in Loop: Header=BB279_284 Depth=1
	s_mov_b32 s18, 0x7fc02000
	s_xor_b64 s[2:3], exec, -1
; %bb.435:                              ;   in Loop: Header=BB279_284 Depth=1
	s_or_b64 exec, exec, s[16:17]
	s_and_b64 s[2:3], s[2:3], exec
	s_or_saveexec_b64 s[12:13], s[12:13]
	v_mov_b32_e32 v29, s18
	s_xor_b64 exec, exec, s[12:13]
	s_cbranch_execz .LBB279_298
.LBB279_436:                            ;   in Loop: Header=BB279_284 Depth=1
	v_cmp_ne_u16_e64 s[0:1], 0, v8
	s_andn2_b64 s[2:3], s[2:3], exec
	s_and_b64 s[0:1], s[0:1], exec
	v_mov_b32_e32 v29, 0
	s_or_b64 s[2:3], s[2:3], s[0:1]
	s_or_b64 exec, exec, s[12:13]
	s_and_saveexec_b64 s[12:13], s[2:3]
	s_cbranch_execnz .LBB279_299
	s_branch .LBB279_300
.LBB279_437:                            ;   in Loop: Header=BB279_284 Depth=1
	v_cmp_eq_u16_sdwa s[18:19], v25, s28 src0_sel:BYTE_0 src1_sel:DWORD
	s_mov_b64 s[0:1], -1
                                        ; implicit-def: $sgpr16
	s_and_saveexec_b64 s[12:13], s[18:19]
; %bb.438:                              ;   in Loop: Header=BB279_284 Depth=1
	s_mov_b32 s16, 0x7fc02000
	s_xor_b64 s[0:1], exec, -1
; %bb.439:                              ;   in Loop: Header=BB279_284 Depth=1
	s_or_b64 exec, exec, s[12:13]
	s_and_b64 s[0:1], s[0:1], exec
	s_or_saveexec_b64 s[2:3], s[2:3]
	v_mov_b32_e32 v24, s16
	s_xor_b64 exec, exec, s[2:3]
	s_cbranch_execz .LBB279_302
.LBB279_440:                            ;   in Loop: Header=BB279_284 Depth=1
	v_cmp_ne_u16_sdwa s[12:13], v25, v9 src0_sel:BYTE_0 src1_sel:DWORD
	s_andn2_b64 s[0:1], s[0:1], exec
	s_and_b64 s[12:13], s[12:13], exec
	v_mov_b32_e32 v24, 0
	s_or_b64 s[0:1], s[0:1], s[12:13]
	s_or_b64 exec, exec, s[2:3]
	v_mov_b32_e32 v8, v25
	s_and_saveexec_b64 s[2:3], s[0:1]
	s_cbranch_execnz .LBB279_303
	s_branch .LBB279_304
.LBB279_441:                            ;   in Loop: Header=BB279_284 Depth=1
	v_cmp_eq_u16_e64 s[0:1], s28, v8
	s_mov_b64 s[2:3], -1
                                        ; implicit-def: $sgpr18
	s_and_saveexec_b64 s[16:17], s[0:1]
; %bb.442:                              ;   in Loop: Header=BB279_284 Depth=1
	s_mov_b32 s18, 0x7fc02000
	s_xor_b64 s[2:3], exec, -1
; %bb.443:                              ;   in Loop: Header=BB279_284 Depth=1
	s_or_b64 exec, exec, s[16:17]
	s_and_b64 s[2:3], s[2:3], exec
	s_or_saveexec_b64 s[12:13], s[12:13]
	v_mov_b32_e32 v37, s18
	s_xor_b64 exec, exec, s[12:13]
	s_cbranch_execz .LBB279_306
.LBB279_444:                            ;   in Loop: Header=BB279_284 Depth=1
	v_cmp_ne_u16_e64 s[0:1], 0, v8
	s_andn2_b64 s[2:3], s[2:3], exec
	s_and_b64 s[0:1], s[0:1], exec
	v_mov_b32_e32 v37, 0
	s_or_b64 s[2:3], s[2:3], s[0:1]
	s_or_b64 exec, exec, s[12:13]
	s_and_saveexec_b64 s[12:13], s[2:3]
	s_cbranch_execnz .LBB279_307
	s_branch .LBB279_308
.LBB279_445:                            ;   in Loop: Header=BB279_284 Depth=1
	v_cmp_eq_u16_sdwa s[18:19], v8, s28 src0_sel:BYTE_0 src1_sel:DWORD
	s_mov_b64 s[0:1], -1
                                        ; implicit-def: $sgpr16
	s_and_saveexec_b64 s[12:13], s[18:19]
; %bb.446:                              ;   in Loop: Header=BB279_284 Depth=1
	s_mov_b32 s16, 0x7fc02000
	s_xor_b64 s[0:1], exec, -1
; %bb.447:                              ;   in Loop: Header=BB279_284 Depth=1
	s_or_b64 exec, exec, s[12:13]
	s_and_b64 s[0:1], s[0:1], exec
	s_or_saveexec_b64 s[2:3], s[2:3]
	v_mov_b32_e32 v42, s16
	s_xor_b64 exec, exec, s[2:3]
	s_cbranch_execz .LBB279_310
.LBB279_448:                            ;   in Loop: Header=BB279_284 Depth=1
	v_cmp_ne_u16_sdwa s[12:13], v8, v9 src0_sel:BYTE_0 src1_sel:DWORD
	s_andn2_b64 s[0:1], s[0:1], exec
	s_and_b64 s[12:13], s[12:13], exec
	v_mov_b32_e32 v42, 0
	s_or_b64 s[0:1], s[0:1], s[12:13]
	s_or_b64 exec, exec, s[2:3]
	s_and_saveexec_b64 s[2:3], s[0:1]
	s_cbranch_execnz .LBB279_311
	s_branch .LBB279_312
.LBB279_449:                            ;   in Loop: Header=BB279_284 Depth=1
	v_cmp_eq_u16_e64 s[0:1], s28, v8
	s_mov_b64 s[2:3], -1
                                        ; implicit-def: $sgpr18
	s_and_saveexec_b64 s[16:17], s[0:1]
; %bb.450:                              ;   in Loop: Header=BB279_284 Depth=1
	s_mov_b32 s18, 0x7fc02000
	s_xor_b64 s[2:3], exec, -1
; %bb.451:                              ;   in Loop: Header=BB279_284 Depth=1
	s_or_b64 exec, exec, s[16:17]
	s_and_b64 s[2:3], s[2:3], exec
	s_or_saveexec_b64 s[12:13], s[12:13]
	v_mov_b32_e32 v43, s18
	s_xor_b64 exec, exec, s[12:13]
	s_cbranch_execz .LBB279_314
.LBB279_452:                            ;   in Loop: Header=BB279_284 Depth=1
	v_cmp_ne_u16_e64 s[0:1], 0, v8
	s_andn2_b64 s[2:3], s[2:3], exec
	s_and_b64 s[0:1], s[0:1], exec
	v_mov_b32_e32 v43, 0
	s_or_b64 s[2:3], s[2:3], s[0:1]
	s_or_b64 exec, exec, s[12:13]
	s_and_saveexec_b64 s[12:13], s[2:3]
	s_cbranch_execnz .LBB279_315
	s_branch .LBB279_316
.LBB279_453:                            ;   in Loop: Header=BB279_284 Depth=1
	v_cmp_eq_u16_sdwa s[20:21], v24, s28 src0_sel:BYTE_0 src1_sel:DWORD
	s_mov_b64 s[2:3], -1
                                        ; implicit-def: $sgpr18
	s_and_saveexec_b64 s[16:17], s[20:21]
; %bb.454:                              ;   in Loop: Header=BB279_284 Depth=1
	s_mov_b32 s18, 0x7fc02000
	s_xor_b64 s[2:3], exec, -1
; %bb.455:                              ;   in Loop: Header=BB279_284 Depth=1
	s_or_b64 exec, exec, s[16:17]
	s_and_b64 s[2:3], s[2:3], exec
	s_or_saveexec_b64 s[12:13], s[12:13]
	v_mov_b32_e32 v26, s18
	s_xor_b64 exec, exec, s[12:13]
	s_cbranch_execz .LBB279_320
.LBB279_456:                            ;   in Loop: Header=BB279_284 Depth=1
	v_cmp_ne_u16_sdwa s[16:17], v24, v9 src0_sel:BYTE_0 src1_sel:DWORD
	s_andn2_b64 s[2:3], s[2:3], exec
	s_and_b64 s[16:17], s[16:17], exec
	v_mov_b32_e32 v26, 0
	s_or_b64 s[2:3], s[2:3], s[16:17]
	s_or_b64 exec, exec, s[12:13]
	s_and_saveexec_b64 s[12:13], s[2:3]
	s_cbranch_execnz .LBB279_321
	s_branch .LBB279_322
.LBB279_457:                            ;   in Loop: Header=BB279_284 Depth=1
	v_cmp_eq_u16_e64 s[2:3], s28, v8
	s_mov_b64 s[12:13], -1
                                        ; implicit-def: $sgpr20
	s_and_saveexec_b64 s[18:19], s[2:3]
; %bb.458:                              ;   in Loop: Header=BB279_284 Depth=1
	s_mov_b32 s20, 0x7fc02000
	s_xor_b64 s[12:13], exec, -1
; %bb.459:                              ;   in Loop: Header=BB279_284 Depth=1
	s_or_b64 exec, exec, s[18:19]
	s_and_b64 s[12:13], s[12:13], exec
	s_or_saveexec_b64 s[16:17], s[16:17]
	v_mov_b32_e32 v28, s20
	s_xor_b64 exec, exec, s[16:17]
	s_cbranch_execz .LBB279_324
.LBB279_460:                            ;   in Loop: Header=BB279_284 Depth=1
	v_cmp_ne_u16_e64 s[2:3], 0, v8
	s_andn2_b64 s[12:13], s[12:13], exec
	s_and_b64 s[2:3], s[2:3], exec
	v_mov_b32_e32 v28, 0
	s_or_b64 s[12:13], s[12:13], s[2:3]
	s_or_b64 exec, exec, s[16:17]
	s_and_saveexec_b64 s[16:17], s[12:13]
	s_cbranch_execnz .LBB279_325
	s_branch .LBB279_326
.LBB279_461:                            ;   in Loop: Header=BB279_284 Depth=1
	v_cmp_eq_u16_sdwa s[20:21], v8, s28 src0_sel:BYTE_0 src1_sel:DWORD
	s_mov_b64 s[2:3], -1
                                        ; implicit-def: $sgpr18
	s_and_saveexec_b64 s[16:17], s[20:21]
; %bb.462:                              ;   in Loop: Header=BB279_284 Depth=1
	s_mov_b32 s18, 0x7fc02000
	s_xor_b64 s[2:3], exec, -1
; %bb.463:                              ;   in Loop: Header=BB279_284 Depth=1
	s_or_b64 exec, exec, s[16:17]
	s_and_b64 s[2:3], s[2:3], exec
	s_or_saveexec_b64 s[12:13], s[12:13]
	v_mov_b32_e32 v27, s18
	s_xor_b64 exec, exec, s[12:13]
	s_cbranch_execz .LBB279_328
.LBB279_464:                            ;   in Loop: Header=BB279_284 Depth=1
	v_cmp_ne_u16_sdwa s[16:17], v8, v9 src0_sel:BYTE_0 src1_sel:DWORD
	s_andn2_b64 s[2:3], s[2:3], exec
	s_and_b64 s[16:17], s[16:17], exec
	v_mov_b32_e32 v27, 0
	s_or_b64 s[2:3], s[2:3], s[16:17]
	s_or_b64 exec, exec, s[12:13]
	s_and_saveexec_b64 s[12:13], s[2:3]
	s_cbranch_execnz .LBB279_329
	s_branch .LBB279_330
.LBB279_465:                            ;   in Loop: Header=BB279_284 Depth=1
	v_cmp_eq_u16_e64 s[2:3], s28, v8
	s_mov_b64 s[12:13], -1
                                        ; implicit-def: $sgpr20
	s_and_saveexec_b64 s[18:19], s[2:3]
; %bb.466:                              ;   in Loop: Header=BB279_284 Depth=1
	s_mov_b32 s20, 0x7fc02000
	s_xor_b64 s[12:13], exec, -1
; %bb.467:                              ;   in Loop: Header=BB279_284 Depth=1
	s_or_b64 exec, exec, s[18:19]
	s_and_b64 s[12:13], s[12:13], exec
	s_or_saveexec_b64 s[16:17], s[16:17]
	v_mov_b32_e32 v29, s20
	s_xor_b64 exec, exec, s[16:17]
	s_cbranch_execz .LBB279_332
.LBB279_468:                            ;   in Loop: Header=BB279_284 Depth=1
	v_cmp_ne_u16_e64 s[2:3], 0, v8
	s_andn2_b64 s[12:13], s[12:13], exec
	s_and_b64 s[2:3], s[2:3], exec
	v_mov_b32_e32 v29, 0
	s_or_b64 s[12:13], s[12:13], s[2:3]
	s_or_b64 exec, exec, s[16:17]
	s_and_saveexec_b64 s[16:17], s[12:13]
	s_cbranch_execnz .LBB279_333
	s_branch .LBB279_334
.LBB279_469:                            ;   in Loop: Header=BB279_284 Depth=1
	v_cmp_eq_u16_sdwa s[20:21], v25, s28 src0_sel:BYTE_0 src1_sel:DWORD
	s_mov_b64 s[2:3], -1
                                        ; implicit-def: $sgpr18
	s_and_saveexec_b64 s[16:17], s[20:21]
; %bb.470:                              ;   in Loop: Header=BB279_284 Depth=1
	s_mov_b32 s18, 0x7fc02000
	s_xor_b64 s[2:3], exec, -1
; %bb.471:                              ;   in Loop: Header=BB279_284 Depth=1
	s_or_b64 exec, exec, s[16:17]
	s_and_b64 s[2:3], s[2:3], exec
	s_or_saveexec_b64 s[12:13], s[12:13]
	v_mov_b32_e32 v24, s18
	s_xor_b64 exec, exec, s[12:13]
	s_cbranch_execz .LBB279_336
.LBB279_472:                            ;   in Loop: Header=BB279_284 Depth=1
	v_cmp_ne_u16_sdwa s[16:17], v25, v9 src0_sel:BYTE_0 src1_sel:DWORD
	s_andn2_b64 s[2:3], s[2:3], exec
	s_and_b64 s[16:17], s[16:17], exec
	v_mov_b32_e32 v24, 0
	s_or_b64 s[2:3], s[2:3], s[16:17]
	s_or_b64 exec, exec, s[12:13]
	v_mov_b32_e32 v8, v25
	s_and_saveexec_b64 s[12:13], s[2:3]
	s_cbranch_execnz .LBB279_337
	s_branch .LBB279_338
.LBB279_473:                            ;   in Loop: Header=BB279_284 Depth=1
	v_cmp_eq_u16_e64 s[2:3], s28, v8
	s_mov_b64 s[12:13], -1
                                        ; implicit-def: $sgpr20
	s_and_saveexec_b64 s[18:19], s[2:3]
; %bb.474:                              ;   in Loop: Header=BB279_284 Depth=1
	s_mov_b32 s20, 0x7fc02000
	s_xor_b64 s[12:13], exec, -1
; %bb.475:                              ;   in Loop: Header=BB279_284 Depth=1
	s_or_b64 exec, exec, s[18:19]
	s_and_b64 s[12:13], s[12:13], exec
	s_or_saveexec_b64 s[16:17], s[16:17]
	v_mov_b32_e32 v39, s20
	s_xor_b64 exec, exec, s[16:17]
	s_cbranch_execz .LBB279_340
.LBB279_476:                            ;   in Loop: Header=BB279_284 Depth=1
	v_cmp_ne_u16_e64 s[2:3], 0, v8
	s_andn2_b64 s[12:13], s[12:13], exec
	s_and_b64 s[2:3], s[2:3], exec
	v_mov_b32_e32 v39, 0
	s_or_b64 s[12:13], s[12:13], s[2:3]
	s_or_b64 exec, exec, s[16:17]
	s_and_saveexec_b64 s[16:17], s[12:13]
	s_cbranch_execnz .LBB279_341
	s_branch .LBB279_342
.LBB279_477:                            ;   in Loop: Header=BB279_284 Depth=1
	v_cmp_eq_u16_sdwa s[20:21], v8, s28 src0_sel:BYTE_0 src1_sel:DWORD
	s_mov_b64 s[2:3], -1
                                        ; implicit-def: $sgpr18
	s_and_saveexec_b64 s[16:17], s[20:21]
; %bb.478:                              ;   in Loop: Header=BB279_284 Depth=1
	s_mov_b32 s18, 0x7fc02000
	s_xor_b64 s[2:3], exec, -1
; %bb.479:                              ;   in Loop: Header=BB279_284 Depth=1
	s_or_b64 exec, exec, s[16:17]
	s_and_b64 s[2:3], s[2:3], exec
	s_or_saveexec_b64 s[12:13], s[12:13]
	v_mov_b32_e32 v40, s18
	s_xor_b64 exec, exec, s[12:13]
	s_cbranch_execz .LBB279_344
.LBB279_480:                            ;   in Loop: Header=BB279_284 Depth=1
	v_cmp_ne_u16_sdwa s[16:17], v8, v9 src0_sel:BYTE_0 src1_sel:DWORD
	s_andn2_b64 s[2:3], s[2:3], exec
	s_and_b64 s[16:17], s[16:17], exec
	v_mov_b32_e32 v40, 0
	s_or_b64 s[2:3], s[2:3], s[16:17]
	s_or_b64 exec, exec, s[12:13]
	s_and_saveexec_b64 s[12:13], s[2:3]
	s_cbranch_execnz .LBB279_345
	s_branch .LBB279_346
.LBB279_481:                            ;   in Loop: Header=BB279_284 Depth=1
	v_cmp_eq_u16_e64 s[2:3], s28, v8
	s_mov_b64 s[12:13], -1
                                        ; implicit-def: $sgpr20
	s_and_saveexec_b64 s[18:19], s[2:3]
; %bb.482:                              ;   in Loop: Header=BB279_284 Depth=1
	s_mov_b32 s20, 0x7fc02000
	s_xor_b64 s[12:13], exec, -1
; %bb.483:                              ;   in Loop: Header=BB279_284 Depth=1
	s_or_b64 exec, exec, s[18:19]
	s_and_b64 s[12:13], s[12:13], exec
	s_or_saveexec_b64 s[16:17], s[16:17]
	v_mov_b32_e32 v41, s20
	s_xor_b64 exec, exec, s[16:17]
	s_cbranch_execz .LBB279_348
.LBB279_484:                            ;   in Loop: Header=BB279_284 Depth=1
	v_cmp_ne_u16_e64 s[2:3], 0, v8
	s_andn2_b64 s[12:13], s[12:13], exec
	s_and_b64 s[2:3], s[2:3], exec
	v_mov_b32_e32 v41, 0
	s_or_b64 s[12:13], s[12:13], s[2:3]
	s_or_b64 exec, exec, s[16:17]
	s_and_saveexec_b64 s[16:17], s[12:13]
	s_cbranch_execnz .LBB279_349
	s_branch .LBB279_350
.LBB279_485:                            ;   in Loop: Header=BB279_284 Depth=1
	v_cmp_eq_u16_sdwa s[20:21], v24, s28 src0_sel:BYTE_0 src1_sel:DWORD
	s_mov_b64 s[2:3], -1
                                        ; implicit-def: $sgpr18
	s_and_saveexec_b64 s[16:17], s[20:21]
; %bb.486:                              ;   in Loop: Header=BB279_284 Depth=1
	s_mov_b32 s18, 0x7fc02000
	s_xor_b64 s[2:3], exec, -1
; %bb.487:                              ;   in Loop: Header=BB279_284 Depth=1
	s_or_b64 exec, exec, s[16:17]
	s_and_b64 s[2:3], s[2:3], exec
	s_or_saveexec_b64 s[12:13], s[12:13]
	v_mov_b32_e32 v20, s18
	s_xor_b64 exec, exec, s[12:13]
	s_cbranch_execz .LBB279_354
.LBB279_488:                            ;   in Loop: Header=BB279_284 Depth=1
	v_cmp_ne_u16_sdwa s[16:17], v24, v9 src0_sel:BYTE_0 src1_sel:DWORD
	s_andn2_b64 s[2:3], s[2:3], exec
	s_and_b64 s[16:17], s[16:17], exec
	v_mov_b32_e32 v20, 0
	s_or_b64 s[2:3], s[2:3], s[16:17]
	s_or_b64 exec, exec, s[12:13]
	s_and_saveexec_b64 s[12:13], s[2:3]
	s_cbranch_execnz .LBB279_355
	s_branch .LBB279_356
.LBB279_489:                            ;   in Loop: Header=BB279_284 Depth=1
	v_cmp_eq_u16_e64 s[2:3], s28, v8
	s_mov_b64 s[12:13], -1
                                        ; implicit-def: $sgpr20
	s_and_saveexec_b64 s[18:19], s[2:3]
; %bb.490:                              ;   in Loop: Header=BB279_284 Depth=1
	s_mov_b32 s20, 0x7fc02000
	s_xor_b64 s[12:13], exec, -1
; %bb.491:                              ;   in Loop: Header=BB279_284 Depth=1
	s_or_b64 exec, exec, s[18:19]
	s_and_b64 s[12:13], s[12:13], exec
	s_or_saveexec_b64 s[16:17], s[16:17]
	v_mov_b32_e32 v26, s20
	s_xor_b64 exec, exec, s[16:17]
	s_cbranch_execz .LBB279_358
.LBB279_492:                            ;   in Loop: Header=BB279_284 Depth=1
	v_cmp_ne_u16_e64 s[2:3], 0, v8
	s_andn2_b64 s[12:13], s[12:13], exec
	s_and_b64 s[2:3], s[2:3], exec
	v_mov_b32_e32 v26, 0
	s_or_b64 s[12:13], s[12:13], s[2:3]
	s_or_b64 exec, exec, s[16:17]
	s_and_saveexec_b64 s[16:17], s[12:13]
	s_cbranch_execnz .LBB279_359
	s_branch .LBB279_360
.LBB279_493:                            ;   in Loop: Header=BB279_284 Depth=1
	v_cmp_eq_u16_sdwa s[20:21], v8, s28 src0_sel:BYTE_0 src1_sel:DWORD
	s_mov_b64 s[2:3], -1
                                        ; implicit-def: $sgpr18
	s_and_saveexec_b64 s[16:17], s[20:21]
; %bb.494:                              ;   in Loop: Header=BB279_284 Depth=1
	s_mov_b32 s18, 0x7fc02000
	s_xor_b64 s[2:3], exec, -1
; %bb.495:                              ;   in Loop: Header=BB279_284 Depth=1
	s_or_b64 exec, exec, s[16:17]
	s_and_b64 s[2:3], s[2:3], exec
	s_or_saveexec_b64 s[12:13], s[12:13]
	v_mov_b32_e32 v21, s18
	s_xor_b64 exec, exec, s[12:13]
	s_cbranch_execz .LBB279_362
.LBB279_496:                            ;   in Loop: Header=BB279_284 Depth=1
	v_cmp_ne_u16_sdwa s[16:17], v8, v9 src0_sel:BYTE_0 src1_sel:DWORD
	s_andn2_b64 s[2:3], s[2:3], exec
	s_and_b64 s[16:17], s[16:17], exec
	v_mov_b32_e32 v21, 0
	s_or_b64 s[2:3], s[2:3], s[16:17]
	s_or_b64 exec, exec, s[12:13]
	s_and_saveexec_b64 s[12:13], s[2:3]
	s_cbranch_execnz .LBB279_363
	s_branch .LBB279_364
.LBB279_497:                            ;   in Loop: Header=BB279_284 Depth=1
	v_cmp_eq_u16_e64 s[2:3], s28, v8
	s_mov_b64 s[12:13], -1
                                        ; implicit-def: $sgpr20
	s_and_saveexec_b64 s[18:19], s[2:3]
; %bb.498:                              ;   in Loop: Header=BB279_284 Depth=1
	s_mov_b32 s20, 0x7fc02000
	s_xor_b64 s[12:13], exec, -1
; %bb.499:                              ;   in Loop: Header=BB279_284 Depth=1
	s_or_b64 exec, exec, s[18:19]
	s_and_b64 s[12:13], s[12:13], exec
	s_or_saveexec_b64 s[16:17], s[16:17]
	v_mov_b32_e32 v27, s20
	s_xor_b64 exec, exec, s[16:17]
	s_cbranch_execz .LBB279_366
.LBB279_500:                            ;   in Loop: Header=BB279_284 Depth=1
	v_cmp_ne_u16_e64 s[2:3], 0, v8
	s_andn2_b64 s[12:13], s[12:13], exec
	s_and_b64 s[2:3], s[2:3], exec
	v_mov_b32_e32 v27, 0
	s_or_b64 s[12:13], s[12:13], s[2:3]
	s_or_b64 exec, exec, s[16:17]
	s_and_saveexec_b64 s[16:17], s[12:13]
	s_cbranch_execnz .LBB279_367
	s_branch .LBB279_368
.LBB279_501:                            ;   in Loop: Header=BB279_284 Depth=1
	v_cmp_eq_u16_sdwa s[20:21], v25, s28 src0_sel:BYTE_0 src1_sel:DWORD
	s_mov_b64 s[2:3], -1
                                        ; implicit-def: $sgpr18
	s_and_saveexec_b64 s[16:17], s[20:21]
; %bb.502:                              ;   in Loop: Header=BB279_284 Depth=1
	s_mov_b32 s18, 0x7fc02000
	s_xor_b64 s[2:3], exec, -1
; %bb.503:                              ;   in Loop: Header=BB279_284 Depth=1
	s_or_b64 exec, exec, s[16:17]
	s_and_b64 s[2:3], s[2:3], exec
	s_or_saveexec_b64 s[12:13], s[12:13]
	v_mov_b32_e32 v24, s18
	s_xor_b64 exec, exec, s[12:13]
	s_cbranch_execz .LBB279_370
.LBB279_504:                            ;   in Loop: Header=BB279_284 Depth=1
	v_cmp_ne_u16_sdwa s[16:17], v25, v9 src0_sel:BYTE_0 src1_sel:DWORD
	s_andn2_b64 s[2:3], s[2:3], exec
	s_and_b64 s[16:17], s[16:17], exec
	v_mov_b32_e32 v24, 0
	s_or_b64 s[2:3], s[2:3], s[16:17]
	s_or_b64 exec, exec, s[12:13]
	v_mov_b32_e32 v8, v25
	s_and_saveexec_b64 s[12:13], s[2:3]
	s_cbranch_execnz .LBB279_371
	s_branch .LBB279_372
.LBB279_505:                            ;   in Loop: Header=BB279_284 Depth=1
	v_cmp_eq_u16_e64 s[2:3], s28, v8
	s_mov_b64 s[12:13], -1
                                        ; implicit-def: $sgpr20
	s_and_saveexec_b64 s[18:19], s[2:3]
; %bb.506:                              ;   in Loop: Header=BB279_284 Depth=1
	s_mov_b32 s20, 0x7fc02000
	s_xor_b64 s[12:13], exec, -1
; %bb.507:                              ;   in Loop: Header=BB279_284 Depth=1
	s_or_b64 exec, exec, s[18:19]
	s_and_b64 s[12:13], s[12:13], exec
	s_or_saveexec_b64 s[16:17], s[16:17]
	v_mov_b32_e32 v39, s20
	s_xor_b64 exec, exec, s[16:17]
	s_cbranch_execz .LBB279_374
.LBB279_508:                            ;   in Loop: Header=BB279_284 Depth=1
	v_cmp_ne_u16_e64 s[2:3], 0, v8
	s_andn2_b64 s[12:13], s[12:13], exec
	s_and_b64 s[2:3], s[2:3], exec
	v_mov_b32_e32 v39, 0
	s_or_b64 s[12:13], s[12:13], s[2:3]
	s_or_b64 exec, exec, s[16:17]
	s_and_saveexec_b64 s[16:17], s[12:13]
	s_cbranch_execnz .LBB279_375
	s_branch .LBB279_376
.LBB279_509:                            ;   in Loop: Header=BB279_284 Depth=1
	v_cmp_eq_u16_sdwa s[20:21], v8, s28 src0_sel:BYTE_0 src1_sel:DWORD
	s_mov_b64 s[2:3], -1
                                        ; implicit-def: $sgpr18
	s_and_saveexec_b64 s[16:17], s[20:21]
; %bb.510:                              ;   in Loop: Header=BB279_284 Depth=1
	s_mov_b32 s18, 0x7fc02000
	s_xor_b64 s[2:3], exec, -1
; %bb.511:                              ;   in Loop: Header=BB279_284 Depth=1
	s_or_b64 exec, exec, s[16:17]
	s_and_b64 s[2:3], s[2:3], exec
	s_or_saveexec_b64 s[12:13], s[12:13]
	v_mov_b32_e32 v40, s18
	s_xor_b64 exec, exec, s[12:13]
	s_cbranch_execz .LBB279_378
.LBB279_512:                            ;   in Loop: Header=BB279_284 Depth=1
	v_cmp_ne_u16_sdwa s[16:17], v8, v9 src0_sel:BYTE_0 src1_sel:DWORD
	s_andn2_b64 s[2:3], s[2:3], exec
	s_and_b64 s[16:17], s[16:17], exec
	v_mov_b32_e32 v40, 0
	s_or_b64 s[2:3], s[2:3], s[16:17]
	s_or_b64 exec, exec, s[12:13]
	s_and_saveexec_b64 s[12:13], s[2:3]
	s_cbranch_execnz .LBB279_379
	s_branch .LBB279_380
.LBB279_513:                            ;   in Loop: Header=BB279_284 Depth=1
	v_cmp_eq_u16_e64 s[2:3], s28, v8
	s_mov_b64 s[12:13], -1
                                        ; implicit-def: $sgpr20
	s_and_saveexec_b64 s[18:19], s[2:3]
; %bb.514:                              ;   in Loop: Header=BB279_284 Depth=1
	s_mov_b32 s20, 0x7fc02000
	s_xor_b64 s[12:13], exec, -1
; %bb.515:                              ;   in Loop: Header=BB279_284 Depth=1
	s_or_b64 exec, exec, s[18:19]
	s_and_b64 s[12:13], s[12:13], exec
	s_or_saveexec_b64 s[16:17], s[16:17]
	v_mov_b32_e32 v41, s20
	s_xor_b64 exec, exec, s[16:17]
	s_cbranch_execz .LBB279_382
.LBB279_516:                            ;   in Loop: Header=BB279_284 Depth=1
	v_cmp_ne_u16_e64 s[2:3], 0, v8
	s_andn2_b64 s[12:13], s[12:13], exec
	s_and_b64 s[2:3], s[2:3], exec
	v_mov_b32_e32 v41, 0
	s_or_b64 s[12:13], s[12:13], s[2:3]
	s_or_b64 exec, exec, s[16:17]
	s_and_saveexec_b64 s[16:17], s[12:13]
	s_cbranch_execnz .LBB279_383
	s_branch .LBB279_384
.LBB279_517:                            ;   in Loop: Header=BB279_284 Depth=1
	v_cmp_eq_u16_sdwa s[38:39], v20, s28 src0_sel:BYTE_0 src1_sel:DWORD
	s_mov_b64 s[2:3], -1
                                        ; implicit-def: $sgpr20
	s_and_saveexec_b64 s[18:19], s[38:39]
; %bb.518:                              ;   in Loop: Header=BB279_284 Depth=1
	s_mov_b32 s20, 0x7fc02000
	s_xor_b64 s[2:3], exec, -1
; %bb.519:                              ;   in Loop: Header=BB279_284 Depth=1
	s_or_b64 exec, exec, s[18:19]
	s_and_b64 s[2:3], s[2:3], exec
	s_or_saveexec_b64 s[16:17], s[16:17]
	v_mov_b32_e32 v22, s20
	s_xor_b64 exec, exec, s[16:17]
	s_cbranch_execz .LBB279_389
.LBB279_520:                            ;   in Loop: Header=BB279_284 Depth=1
	v_cmp_ne_u16_sdwa s[18:19], v20, v9 src0_sel:BYTE_0 src1_sel:DWORD
	s_andn2_b64 s[2:3], s[2:3], exec
	s_and_b64 s[18:19], s[18:19], exec
	v_mov_b32_e32 v22, 0
	s_or_b64 s[2:3], s[2:3], s[18:19]
	s_or_b64 exec, exec, s[16:17]
	s_and_saveexec_b64 s[16:17], s[2:3]
	s_cbranch_execnz .LBB279_390
	s_branch .LBB279_391
.LBB279_521:                            ;   in Loop: Header=BB279_284 Depth=1
	v_cmp_eq_u16_e64 s[2:3], s28, v8
	s_mov_b64 s[16:17], -1
                                        ; implicit-def: $sgpr37
	s_and_saveexec_b64 s[20:21], s[2:3]
; %bb.522:                              ;   in Loop: Header=BB279_284 Depth=1
	s_mov_b32 s37, 0x7fc02000
	s_xor_b64 s[16:17], exec, -1
; %bb.523:                              ;   in Loop: Header=BB279_284 Depth=1
	s_or_b64 exec, exec, s[20:21]
	s_and_b64 s[16:17], s[16:17], exec
	s_or_saveexec_b64 s[18:19], s[18:19]
	v_mov_b32_e32 v24, s37
	s_xor_b64 exec, exec, s[18:19]
	s_cbranch_execz .LBB279_393
.LBB279_524:                            ;   in Loop: Header=BB279_284 Depth=1
	v_cmp_ne_u16_e64 s[2:3], 0, v8
	s_andn2_b64 s[16:17], s[16:17], exec
	s_and_b64 s[2:3], s[2:3], exec
	v_mov_b32_e32 v24, 0
	s_or_b64 s[16:17], s[16:17], s[2:3]
	s_or_b64 exec, exec, s[18:19]
	s_and_saveexec_b64 s[18:19], s[16:17]
	s_cbranch_execnz .LBB279_394
	s_branch .LBB279_395
.LBB279_525:                            ;   in Loop: Header=BB279_284 Depth=1
	v_cmp_eq_u16_sdwa s[38:39], v8, s28 src0_sel:BYTE_0 src1_sel:DWORD
	s_mov_b64 s[2:3], -1
                                        ; implicit-def: $sgpr20
	s_and_saveexec_b64 s[18:19], s[38:39]
; %bb.526:                              ;   in Loop: Header=BB279_284 Depth=1
	s_mov_b32 s20, 0x7fc02000
	s_xor_b64 s[2:3], exec, -1
; %bb.527:                              ;   in Loop: Header=BB279_284 Depth=1
	s_or_b64 exec, exec, s[18:19]
	s_and_b64 s[2:3], s[2:3], exec
	s_or_saveexec_b64 s[16:17], s[16:17]
	v_mov_b32_e32 v23, s20
	s_xor_b64 exec, exec, s[16:17]
	s_cbranch_execz .LBB279_397
.LBB279_528:                            ;   in Loop: Header=BB279_284 Depth=1
	v_cmp_ne_u16_sdwa s[18:19], v8, v9 src0_sel:BYTE_0 src1_sel:DWORD
	s_andn2_b64 s[2:3], s[2:3], exec
	s_and_b64 s[18:19], s[18:19], exec
	v_mov_b32_e32 v23, 0
	s_or_b64 s[2:3], s[2:3], s[18:19]
	s_or_b64 exec, exec, s[16:17]
	s_and_saveexec_b64 s[16:17], s[2:3]
	s_cbranch_execnz .LBB279_398
	s_branch .LBB279_399
.LBB279_529:                            ;   in Loop: Header=BB279_284 Depth=1
	v_cmp_eq_u16_e64 s[2:3], s28, v8
	s_mov_b64 s[16:17], -1
                                        ; implicit-def: $sgpr37
	s_and_saveexec_b64 s[20:21], s[2:3]
; %bb.530:                              ;   in Loop: Header=BB279_284 Depth=1
	s_mov_b32 s37, 0x7fc02000
	s_xor_b64 s[16:17], exec, -1
; %bb.531:                              ;   in Loop: Header=BB279_284 Depth=1
	s_or_b64 exec, exec, s[20:21]
	s_and_b64 s[16:17], s[16:17], exec
	s_or_saveexec_b64 s[18:19], s[18:19]
	v_mov_b32_e32 v25, s37
	s_xor_b64 exec, exec, s[18:19]
	s_cbranch_execz .LBB279_401
.LBB279_532:                            ;   in Loop: Header=BB279_284 Depth=1
	v_cmp_ne_u16_e64 s[2:3], 0, v8
	s_andn2_b64 s[16:17], s[16:17], exec
	s_and_b64 s[2:3], s[2:3], exec
	v_mov_b32_e32 v25, 0
	s_or_b64 s[16:17], s[16:17], s[2:3]
	s_or_b64 exec, exec, s[18:19]
	s_and_saveexec_b64 s[18:19], s[16:17]
	s_cbranch_execnz .LBB279_402
	s_branch .LBB279_403
.LBB279_533:                            ;   in Loop: Header=BB279_284 Depth=1
	v_cmp_eq_u16_sdwa s[38:39], v21, s28 src0_sel:BYTE_0 src1_sel:DWORD
	s_mov_b64 s[2:3], -1
                                        ; implicit-def: $sgpr20
	s_and_saveexec_b64 s[18:19], s[38:39]
; %bb.534:                              ;   in Loop: Header=BB279_284 Depth=1
	s_mov_b32 s20, 0x7fc02000
	s_xor_b64 s[2:3], exec, -1
; %bb.535:                              ;   in Loop: Header=BB279_284 Depth=1
	s_or_b64 exec, exec, s[18:19]
	s_and_b64 s[2:3], s[2:3], exec
	s_or_saveexec_b64 s[16:17], s[16:17]
	v_mov_b32_e32 v19, s20
	s_xor_b64 exec, exec, s[16:17]
	s_cbranch_execz .LBB279_405
.LBB279_536:                            ;   in Loop: Header=BB279_284 Depth=1
	v_cmp_ne_u16_sdwa s[18:19], v21, v9 src0_sel:BYTE_0 src1_sel:DWORD
	s_andn2_b64 s[2:3], s[2:3], exec
	s_and_b64 s[18:19], s[18:19], exec
	v_mov_b32_e32 v19, 0
	s_or_b64 s[2:3], s[2:3], s[18:19]
	s_or_b64 exec, exec, s[16:17]
	v_mov_b32_e32 v8, v21
	s_and_saveexec_b64 s[16:17], s[2:3]
	s_cbranch_execnz .LBB279_406
	s_branch .LBB279_407
.LBB279_537:                            ;   in Loop: Header=BB279_284 Depth=1
	v_cmp_eq_u16_e64 s[2:3], s28, v8
	s_mov_b64 s[16:17], -1
                                        ; implicit-def: $sgpr37
	s_and_saveexec_b64 s[20:21], s[2:3]
; %bb.538:                              ;   in Loop: Header=BB279_284 Depth=1
	s_mov_b32 s37, 0x7fc02000
	s_xor_b64 s[16:17], exec, -1
; %bb.539:                              ;   in Loop: Header=BB279_284 Depth=1
	s_or_b64 exec, exec, s[20:21]
	s_and_b64 s[16:17], s[16:17], exec
	s_or_saveexec_b64 s[18:19], s[18:19]
	v_mov_b32_e32 v20, s37
	s_xor_b64 exec, exec, s[18:19]
	s_cbranch_execz .LBB279_409
.LBB279_540:                            ;   in Loop: Header=BB279_284 Depth=1
	v_cmp_ne_u16_e64 s[2:3], 0, v8
	s_andn2_b64 s[16:17], s[16:17], exec
	s_and_b64 s[2:3], s[2:3], exec
	v_mov_b32_e32 v20, 0
	s_or_b64 s[16:17], s[16:17], s[2:3]
	s_or_b64 exec, exec, s[18:19]
	s_and_saveexec_b64 s[18:19], s[16:17]
	s_cbranch_execnz .LBB279_410
	s_branch .LBB279_411
.LBB279_541:                            ;   in Loop: Header=BB279_284 Depth=1
	v_cmp_eq_u16_sdwa s[38:39], v8, s28 src0_sel:BYTE_0 src1_sel:DWORD
	s_mov_b64 s[2:3], -1
                                        ; implicit-def: $sgpr20
	s_and_saveexec_b64 s[18:19], s[38:39]
; %bb.542:                              ;   in Loop: Header=BB279_284 Depth=1
	s_mov_b32 s20, 0x7fc02000
	s_xor_b64 s[2:3], exec, -1
; %bb.543:                              ;   in Loop: Header=BB279_284 Depth=1
	s_or_b64 exec, exec, s[18:19]
	s_and_b64 s[2:3], s[2:3], exec
	s_or_saveexec_b64 s[16:17], s[16:17]
	v_mov_b32_e32 v26, s20
	s_xor_b64 exec, exec, s[16:17]
	s_cbranch_execz .LBB279_413
.LBB279_544:                            ;   in Loop: Header=BB279_284 Depth=1
	v_cmp_ne_u16_sdwa s[18:19], v8, v9 src0_sel:BYTE_0 src1_sel:DWORD
	s_andn2_b64 s[2:3], s[2:3], exec
	s_and_b64 s[18:19], s[18:19], exec
	v_mov_b32_e32 v26, 0
	s_or_b64 s[2:3], s[2:3], s[18:19]
	s_or_b64 exec, exec, s[16:17]
	s_and_saveexec_b64 s[16:17], s[2:3]
	s_cbranch_execnz .LBB279_414
	s_branch .LBB279_415
.LBB279_545:                            ;   in Loop: Header=BB279_284 Depth=1
	v_cmp_eq_u16_e64 s[2:3], s28, v8
	s_mov_b64 s[16:17], -1
                                        ; implicit-def: $sgpr37
	s_and_saveexec_b64 s[20:21], s[2:3]
; %bb.546:                              ;   in Loop: Header=BB279_284 Depth=1
	s_mov_b32 s37, 0x7fc02000
	s_xor_b64 s[16:17], exec, -1
; %bb.547:                              ;   in Loop: Header=BB279_284 Depth=1
	s_or_b64 exec, exec, s[20:21]
	s_and_b64 s[16:17], s[16:17], exec
	s_or_saveexec_b64 s[18:19], s[18:19]
	v_mov_b32_e32 v27, s37
	s_xor_b64 exec, exec, s[18:19]
	s_cbranch_execz .LBB279_417
.LBB279_548:                            ;   in Loop: Header=BB279_284 Depth=1
	v_cmp_ne_u16_e64 s[2:3], 0, v8
	s_andn2_b64 s[16:17], s[16:17], exec
	s_and_b64 s[2:3], s[2:3], exec
	v_mov_b32_e32 v27, 0
	s_or_b64 s[16:17], s[16:17], s[2:3]
	s_or_b64 exec, exec, s[18:19]
	s_and_saveexec_b64 s[18:19], s[16:17]
	s_cbranch_execnz .LBB279_418
	s_branch .LBB279_419
.LBB279_549:
	s_or_b64 exec, exec, s[8:9]
.LBB279_550:
	s_or_b64 exec, exec, s[10:11]
	ds_bpermute_b32 v2, v1, v12
	ds_bpermute_b32 v3, v1, v13
	ds_bpermute_b32 v8, v1, v6
	ds_bpermute_b32 v9, v1, v7
	v_and_b32_e32 v1, 0x3c0, v0
	v_cmp_eq_u32_e32 vcc, 64, v1
	s_waitcnt lgkmcnt(2)
	v_pk_add_f32 v[4:5], v[12:13], v[2:3]
	s_waitcnt lgkmcnt(0)
	v_pk_add_f32 v[2:3], v[6:7], v[8:9]
	s_barrier
	s_and_saveexec_b64 s[2:3], vcc
	s_cbranch_execz .LBB279_555
; %bb.551:
	v_cmp_eq_u32_e32 vcc, 0, v30
	s_and_saveexec_b64 s[0:1], vcc
	s_cbranch_execz .LBB279_553
; %bb.552:
	v_mov_b32_e32 v1, 0x100
	v_lshl_add_u32 v1, v31, 2, v1
	ds_write2_b32 v1, v4, v5 offset1:32
	ds_write_b32 v1, v2 offset:256
.LBB279_553:
	s_or_b64 exec, exec, s[0:1]
	v_or_b32_e32 v1, 0x60, v31
	s_movk_i32 s0, 0x78
	v_cmp_gt_u32_e64 s[0:1], s0, v1
	s_and_b64 s[0:1], vcc, s[0:1]
	s_and_b64 exec, exec, s[0:1]
	s_cbranch_execz .LBB279_555
; %bb.554:
	v_mov_b32_e32 v1, 0x100
	v_lshl_add_u32 v1, v31, 2, v1
	ds_write_b32 v1, v3 offset:384
.LBB279_555:
	s_or_b64 exec, exec, s[2:3]
	v_cmp_gt_u32_e32 vcc, 64, v0
	v_lshrrev_b32_e32 v0, 1, v0
	s_waitcnt lgkmcnt(0)
	s_barrier
	s_and_saveexec_b64 s[8:9], vcc
	s_cbranch_execz .LBB279_563
; %bb.556:
	v_cmp_eq_u32_e64 s[0:1], 0, v30
	s_and_saveexec_b64 s[2:3], s[0:1]
	s_cbranch_execnz .LBB279_569
; %bb.557:
	s_or_b64 exec, exec, s[2:3]
	s_and_saveexec_b64 s[2:3], s[0:1]
	s_cbranch_execnz .LBB279_570
.LBB279_558:
	s_or_b64 exec, exec, s[2:3]
	s_and_saveexec_b64 s[2:3], s[0:1]
	s_cbranch_execz .LBB279_560
.LBB279_559:
	v_mov_b32_e32 v1, 0x100
	v_lshl_add_u32 v1, v0, 2, v1
	ds_read_b32 v1, v1 offset:256
	s_waitcnt lgkmcnt(0)
	v_add_f32_e32 v2, v2, v1
.LBB279_560:
	s_or_b64 exec, exec, s[2:3]
	v_or_b32_e32 v1, 0x60, v0
	s_movk_i32 s2, 0x78
	v_cmp_gt_u32_e64 s[2:3], s2, v1
	s_and_b64 s[2:3], s[0:1], s[2:3]
	s_and_saveexec_b64 s[0:1], s[2:3]
	s_cbranch_execz .LBB279_562
; %bb.561:
	v_mov_b32_e32 v1, 0x100
	v_lshl_add_u32 v1, v0, 2, v1
	ds_read_b32 v1, v1 offset:384
	s_waitcnt lgkmcnt(0)
	v_add_f32_e32 v3, v3, v1
.LBB279_562:
	s_or_b64 exec, exec, s[0:1]
.LBB279_563:
	s_or_b64 exec, exec, s[8:9]
	s_barrier
	s_and_saveexec_b64 s[0:1], vcc
	s_cbranch_execz .LBB279_568
; %bb.564:
	s_mul_i32 s0, s6, 0x78
	s_ashr_i32 s1, s0, 31
	s_lshl_b64 s[0:1], s[0:1], 1
	s_add_u32 s2, s26, s0
	s_mul_i32 s0, s25, s24
	s_addc_u32 s3, s27, s1
	s_ashr_i32 s1, s0, 31
	s_lshl_b64 s[0:1], s[0:1], 1
	s_add_u32 s2, s2, s0
	s_mul_i32 s0, s4, 0x78
	s_addc_u32 s3, s3, s1
	s_ashr_i32 s1, s0, 31
	s_lshl_b64 s[0:1], s[0:1], 1
	s_add_u32 s2, s2, s0
	s_movk_i32 s5, 0x78
	s_addc_u32 s3, s3, s1
	v_cmp_eq_u32_e32 vcc, 0, v30
	v_lshlrev_b32_e32 v1, 1, v0
	s_and_saveexec_b64 s[0:1], vcc
	s_cbranch_execz .LBB279_566
; %bb.565:
	;;#ASMSTART
	v_cvt_f16_f32 v4, v4;

	;;#ASMEND
	global_store_short v1, v4, s[2:3]
	;;#ASMSTART
	v_cvt_f16_f32 v4, v5;

	;;#ASMEND
	global_store_short v1, v4, s[2:3] offset:64
	;;#ASMSTART
	v_cvt_f16_f32 v2, v2;

	;;#ASMEND
	global_store_short v1, v2, s[2:3] offset:128
.LBB279_566:
	s_or_b64 exec, exec, s[0:1]
	v_or_b32_e32 v0, 0x60, v0
	v_cmp_gt_u32_e64 s[0:1], s5, v0
	s_and_b64 s[0:1], vcc, s[0:1]
	s_and_b64 exec, exec, s[0:1]
	s_cbranch_execz .LBB279_568
; %bb.567:
	;;#ASMSTART
	v_cvt_f16_f32 v0, v3;

	;;#ASMEND
	global_store_short v1, v0, s[2:3] offset:192
.LBB279_568:
	s_endpgm
.LBB279_569:
	v_mov_b32_e32 v1, 0x100
	v_lshl_add_u32 v1, v0, 2, v1
	ds_read_b32 v1, v1
	s_waitcnt lgkmcnt(0)
	v_add_f32_e32 v4, v4, v1
	s_or_b64 exec, exec, s[2:3]
	s_and_saveexec_b64 s[2:3], s[0:1]
	s_cbranch_execz .LBB279_558
.LBB279_570:
	v_mov_b32_e32 v1, 0x100
	v_lshl_add_u32 v1, v0, 2, v1
	ds_read_b32 v1, v1 offset:128
	s_waitcnt lgkmcnt(0)
	v_add_f32_e32 v5, v5, v1
	s_or_b64 exec, exec, s[2:3]
	s_and_saveexec_b64 s[2:3], s[0:1]
	s_cbranch_execnz .LBB279_559
	s_branch .LBB279_560
	.section	.rodata,"a",@progbits
	.p2align	6, 0x0
	.amdhsa_kernel _ZN4vllm25paged_attention_v2_kernelIthLi120ELi16ELi128ELNS_18Fp8KVCacheDataTypeE1ELb0ELi512EEEvPfS2_PT_PKS3_PKT0_S9_ifPKiSB_iPKfiiiSD_SD_iiiii
		.amdhsa_group_segment_fixed_size 256
		.amdhsa_private_segment_fixed_size 0
		.amdhsa_kernarg_size 400
		.amdhsa_user_sgpr_count 2
		.amdhsa_user_sgpr_dispatch_ptr 0
		.amdhsa_user_sgpr_queue_ptr 0
		.amdhsa_user_sgpr_kernarg_segment_ptr 1
		.amdhsa_user_sgpr_dispatch_id 0
		.amdhsa_user_sgpr_kernarg_preload_length 0
		.amdhsa_user_sgpr_kernarg_preload_offset 0
		.amdhsa_user_sgpr_private_segment_size 0
		.amdhsa_uses_dynamic_stack 0
		.amdhsa_enable_private_segment 0
		.amdhsa_system_sgpr_workgroup_id_x 1
		.amdhsa_system_sgpr_workgroup_id_y 1
		.amdhsa_system_sgpr_workgroup_id_z 1
		.amdhsa_system_sgpr_workgroup_info 0
		.amdhsa_system_vgpr_workitem_id 0
		.amdhsa_next_free_vgpr 66
		.amdhsa_next_free_sgpr 56
		.amdhsa_accum_offset 68
		.amdhsa_reserve_vcc 1
		.amdhsa_float_round_mode_32 0
		.amdhsa_float_round_mode_16_64 0
		.amdhsa_float_denorm_mode_32 3
		.amdhsa_float_denorm_mode_16_64 3
		.amdhsa_dx10_clamp 1
		.amdhsa_ieee_mode 1
		.amdhsa_fp16_overflow 0
		.amdhsa_tg_split 0
		.amdhsa_exception_fp_ieee_invalid_op 0
		.amdhsa_exception_fp_denorm_src 0
		.amdhsa_exception_fp_ieee_div_zero 0
		.amdhsa_exception_fp_ieee_overflow 0
		.amdhsa_exception_fp_ieee_underflow 0
		.amdhsa_exception_fp_ieee_inexact 0
		.amdhsa_exception_int_div_zero 0
	.end_amdhsa_kernel
	.section	.text._ZN4vllm25paged_attention_v2_kernelIthLi120ELi16ELi128ELNS_18Fp8KVCacheDataTypeE1ELb0ELi512EEEvPfS2_PT_PKS3_PKT0_S9_ifPKiSB_iPKfiiiSD_SD_iiiii,"axG",@progbits,_ZN4vllm25paged_attention_v2_kernelIthLi120ELi16ELi128ELNS_18Fp8KVCacheDataTypeE1ELb0ELi512EEEvPfS2_PT_PKS3_PKT0_S9_ifPKiSB_iPKfiiiSD_SD_iiiii,comdat
.Lfunc_end279:
	.size	_ZN4vllm25paged_attention_v2_kernelIthLi120ELi16ELi128ELNS_18Fp8KVCacheDataTypeE1ELb0ELi512EEEvPfS2_PT_PKS3_PKT0_S9_ifPKiSB_iPKfiiiSD_SD_iiiii, .Lfunc_end279-_ZN4vllm25paged_attention_v2_kernelIthLi120ELi16ELi128ELNS_18Fp8KVCacheDataTypeE1ELb0ELi512EEEvPfS2_PT_PKS3_PKT0_S9_ifPKiSB_iPKfiiiSD_SD_iiiii
                                        ; -- End function
	.section	.AMDGPU.csdata,"",@progbits
; Kernel info:
; codeLenInByte = 23032
; NumSgprs: 62
; NumVgprs: 66
; NumAgprs: 0
; TotalNumVgprs: 66
; ScratchSize: 0
; MemoryBound: 0
; FloatMode: 240
; IeeeMode: 1
; LDSByteSize: 256 bytes/workgroup (compile time only)
; SGPRBlocks: 7
; VGPRBlocks: 8
; NumSGPRsForWavesPerEU: 62
; NumVGPRsForWavesPerEU: 66
; AccumOffset: 68
; Occupancy: 7
; WaveLimiterHint : 1
; COMPUTE_PGM_RSRC2:SCRATCH_EN: 0
; COMPUTE_PGM_RSRC2:USER_SGPR: 2
; COMPUTE_PGM_RSRC2:TRAP_HANDLER: 0
; COMPUTE_PGM_RSRC2:TGID_X_EN: 1
; COMPUTE_PGM_RSRC2:TGID_Y_EN: 1
; COMPUTE_PGM_RSRC2:TGID_Z_EN: 1
; COMPUTE_PGM_RSRC2:TIDIG_COMP_CNT: 0
; COMPUTE_PGM_RSRC3_GFX90A:ACCUM_OFFSET: 16
; COMPUTE_PGM_RSRC3_GFX90A:TG_SPLIT: 0
	.section	.text._ZN4vllm25paged_attention_v2_kernelIthLi128ELi16ELi128ELNS_18Fp8KVCacheDataTypeE1ELb0ELi512EEEvPfS2_PT_PKS3_PKT0_S9_ifPKiSB_iPKfiiiSD_SD_iiiii,"axG",@progbits,_ZN4vllm25paged_attention_v2_kernelIthLi128ELi16ELi128ELNS_18Fp8KVCacheDataTypeE1ELb0ELi512EEEvPfS2_PT_PKS3_PKT0_S9_ifPKiSB_iPKfiiiSD_SD_iiiii,comdat
	.protected	_ZN4vllm25paged_attention_v2_kernelIthLi128ELi16ELi128ELNS_18Fp8KVCacheDataTypeE1ELb0ELi512EEEvPfS2_PT_PKS3_PKT0_S9_ifPKiSB_iPKfiiiSD_SD_iiiii ; -- Begin function _ZN4vllm25paged_attention_v2_kernelIthLi128ELi16ELi128ELNS_18Fp8KVCacheDataTypeE1ELb0ELi512EEEvPfS2_PT_PKS3_PKT0_S9_ifPKiSB_iPKfiiiSD_SD_iiiii
	.globl	_ZN4vllm25paged_attention_v2_kernelIthLi128ELi16ELi128ELNS_18Fp8KVCacheDataTypeE1ELb0ELi512EEEvPfS2_PT_PKS3_PKT0_S9_ifPKiSB_iPKfiiiSD_SD_iiiii
	.p2align	8
	.type	_ZN4vllm25paged_attention_v2_kernelIthLi128ELi16ELi128ELNS_18Fp8KVCacheDataTypeE1ELb0ELi512EEEvPfS2_PT_PKS3_PKT0_S9_ifPKiSB_iPKfiiiSD_SD_iiiii,@function
_ZN4vllm25paged_attention_v2_kernelIthLi128ELi16ELi128ELNS_18Fp8KVCacheDataTypeE1ELb0ELi512EEEvPfS2_PT_PKS3_PKT0_S9_ifPKiSB_iPKfiiiSD_SD_iiiii: ; @_ZN4vllm25paged_attention_v2_kernelIthLi128ELi16ELi128ELNS_18Fp8KVCacheDataTypeE1ELb0ELi512EEEvPfS2_PT_PKS3_PKT0_S9_ifPKiSB_iPKfiiiSD_SD_iiiii
; %bb.0:
	s_load_dwordx2 s[6:7], s[0:1], 0x40
	s_mov_b32 s28, s3
	s_ashr_i32 s29, s3, 31
	s_lshl_b64 s[8:9], s[28:29], 2
	s_waitcnt lgkmcnt(0)
	s_add_u32 s6, s6, s8
	s_addc_u32 s7, s7, s9
	s_load_dword s29, s[6:7], 0x0
	s_lshl_b32 s48, s4, 9
	s_waitcnt lgkmcnt(0)
	s_cmp_ge_i32 s48, s29
	s_cbranch_scc1 .LBB280_575
; %bb.1:
	s_load_dword s5, s[0:1], 0x90
	s_load_dwordx2 s[38:39], s[0:1], 0x30
	s_waitcnt lgkmcnt(0)
	s_abs_i32 s7, s5
	s_abs_i32 s3, s38
	v_cvt_f32_u32_e32 v1, s3
	s_sub_i32 s8, 0, s3
	s_xor_b32 s6, s5, s38
	s_ashr_i32 s6, s6, 31
	v_rcp_iflag_f32_e32 v1, v1
	s_mov_b32 s38, 0
	v_mul_f32_e32 v1, 0x4f7ffffe, v1
	v_cvt_u32_f32_e32 v1, v1
	s_nop 0
	v_readfirstlane_b32 s9, v1
	s_mul_i32 s8, s8, s9
	s_mul_hi_u32 s8, s9, s8
	s_add_i32 s9, s9, s8
	s_mul_hi_u32 s8, s7, s9
	s_mul_i32 s9, s8, s3
	s_sub_i32 s7, s7, s9
	s_add_i32 s10, s8, 1
	s_sub_i32 s9, s7, s3
	s_cmp_ge_u32 s7, s3
	s_cselect_b32 s8, s10, s8
	s_cselect_b32 s7, s9, s7
	s_add_i32 s9, s8, 1
	s_cmp_ge_u32 s7, s3
	s_cselect_b32 s3, s9, s8
	s_xor_b32 s3, s3, s6
	s_sub_i32 s10, s3, s6
	s_abs_i32 s8, s10
	v_cvt_f32_u32_e32 v1, s8
	s_load_dwordx2 s[6:7], s[0:1], 0x50
	s_sub_i32 s3, 0, s8
	s_abs_i32 s9, s2
	v_rcp_iflag_f32_e32 v1, v1
	s_nop 0
	v_mul_f32_e32 v1, 0x4f7ffffe, v1
	v_cvt_u32_f32_e32 v1, v1
	s_nop 0
	v_readfirstlane_b32 s11, v1
	s_mul_i32 s3, s3, s11
	s_mul_hi_u32 s3, s11, s3
	s_add_i32 s11, s11, s3
	s_waitcnt lgkmcnt(0)
	s_cmp_eq_u64 s[6:7], 0
	s_mul_hi_u32 s12, s9, s11
	s_cbranch_scc1 .LBB280_3
; %bb.2:
	s_ashr_i32 s3, s2, 31
	s_lshl_b64 s[14:15], s[2:3], 2
	s_add_u32 s6, s6, s14
	s_addc_u32 s7, s7, s15
	s_load_dword s38, s[6:7], 0x0
.LBB280_3:
	s_load_dwordx4 s[16:19], s[0:1], 0x58
	s_ashr_i32 s13, s2, 31
	s_ashr_i32 s14, s10, 31
	v_and_b32_e32 v9, 3, v0
	s_lshl_b32 s24, s2, 7
	v_cmp_gt_u32_e64 s[10:11], 64, v0
	s_and_saveexec_b64 s[6:7], s[10:11]
	s_cbranch_execz .LBB280_5
; %bb.4:
	s_load_dwordx2 s[20:21], s[0:1], 0x18
	s_waitcnt lgkmcnt(0)
	s_mul_i32 s22, s28, s16
	s_ashr_i32 s23, s22, 31
	s_lshl_b64 s[22:23], s[22:23], 1
	v_lshlrev_b32_e32 v1, 2, v0
	s_add_u32 s3, s20, s22
	s_addc_u32 s15, s21, s23
	s_ashr_i32 s25, s24, 31
	s_lshl_b64 s[20:21], s[24:25], 1
	s_add_u32 s20, s3, s20
	s_addc_u32 s21, s15, s21
	global_load_dword v1, v1, s[20:21]
	v_and_b32_e32 v2, 0x3fc, v0
	v_lshl_add_u32 v2, v9, 6, v2
	s_waitcnt vmcnt(0)
	ds_write_b32 v2, v1
.LBB280_5:
	s_or_b64 exec, exec, s[6:7]
	s_add_i32 s3, s29, 15
	s_ashr_i32 s6, s3, 31
	s_lshr_b32 s6, s6, 28
	s_add_i32 s3, s3, s6
	s_waitcnt lgkmcnt(0)
	s_ashr_i32 s16, s3, 4
	s_lshl_b32 s3, s4, 5
	s_mul_i32 s7, s12, s8
	s_add_i32 s6, s3, 32
	s_sub_i32 s7, s9, s7
	s_min_i32 s33, s6, s16
	s_xor_b32 s6, s13, s14
	s_add_i32 s9, s12, 1
	s_sub_i32 s13, s7, s8
	s_cmp_ge_u32 s7, s8
	s_cselect_b32 s9, s9, s12
	s_cselect_b32 s7, s13, s7
	s_add_i32 s12, s9, 1
	s_cmp_ge_u32 s7, s8
	s_load_dwordx2 s[30:31], s[0:1], 0x38
	s_load_dword s8, s[0:1], 0x48
	v_lshrrev_b32_e32 v1, 6, v0
	s_cselect_b32 s7, s12, s9
	s_xor_b32 s7, s7, s6
	v_or_b32_e32 v2, s3, v1
	s_waitcnt lgkmcnt(0)
	s_mul_i32 s34, s28, s8
	s_sub_i32 s49, s7, s6
	s_ashr_i32 s35, s34, 31
	v_cmp_gt_i32_e64 s[6:7], s33, v2
	v_cmp_le_i32_e32 vcc, s33, v2
	v_mbcnt_lo_u32_b32 v12, -1, 0
	s_barrier
	s_waitcnt lgkmcnt(0)
                                        ; implicit-def: $sgpr19
                                        ; implicit-def: $vgpr15
                                        ; implicit-def: $vgpr4
	s_and_saveexec_b64 s[8:9], vcc
	s_xor_b64 s[8:9], exec, s[8:9]
; %bb.6:
	v_mbcnt_hi_u32_b32 v15, -1, v12
	v_and_b32_e32 v3, 64, v15
	v_add_u32_e32 v4, 64, v3
	s_mov_b32 s19, 0xff7fffff
                                        ; implicit-def: $vgpr9
                                        ; implicit-def: $vgpr12
; %bb.7:
	s_or_saveexec_b64 s[40:41], s[8:9]
	s_load_dwordx4 s[20:23], s[0:1], 0x0
	s_load_dwordx2 s[26:27], s[0:1], 0x10
	s_load_dword s25, s[0:1], 0x98
	s_load_dwordx2 s[36:37], s[0:1], 0x28
	s_load_dwordx4 s[12:15], s[0:1], 0x68
	v_mov_b32_e32 v16, s19
	s_mul_i32 s49, s49, s18
	v_ashrrev_i32_e32 v3, 31, v2
	v_lshlrev_b32_e32 v14, 4, v1
	s_xor_b64 exec, exec, s[40:41]
	s_cbranch_execz .LBB280_269
; %bb.8:
	s_load_dwordx2 s[0:1], s[0:1], 0x20
	s_ashr_i32 s8, s49, 31
	v_bfe_u32 v10, v0, 2, 4
	v_lshlrev_b32_e32 v4, 4, v10
	v_mov_b32_e32 v5, 0
	s_waitcnt lgkmcnt(0)
	s_add_u32 s0, s0, s49
	s_addc_u32 s1, s1, s8
	v_lshl_add_u64 v[6:7], s[0:1], 0, v[4:5]
	s_sub_i32 s51, 1, s29
	s_lshl_b64 s[0:1], s[34:35], 2
	v_lshlrev_b32_e32 v4, 2, v10
	s_add_u32 s0, s30, s0
	v_lshl_or_b32 v4, v1, 6, v4
	s_addc_u32 s1, s31, s1
	s_mov_b32 s50, s17
	v_lshlrev_b32_e32 v8, 1, v9
	v_lshlrev_b32_e32 v17, 6, v9
	v_cmp_eq_u32_e32 vcc, 0, v9
	v_cmp_neq_f32_e64 s[8:9], s38, 0
	v_mov_b32_e32 v9, v5
	v_add3_u32 v18, s48, v14, v10
	v_add_u32_e32 v19, 0x110, v4
	v_lshl_add_u64 v[10:11], v[2:3], 2, s[0:1]
	s_mov_b64 s[18:19], 0
	v_mov_b32_e32 v16, 0xff7fffff
	s_movk_i32 s52, 0x7f
	s_movk_i32 s53, 0x80
	s_mov_b32 s54, 0x8000
	v_mbcnt_hi_u32_b32 v15, -1, v12
	v_mov_b32_e32 v20, 0x1c00
	v_mov_b32_e32 v21, v2
	s_branch .LBB280_10
.LBB280_9:                              ;   in Loop: Header=BB280_10 Depth=1
	s_or_b64 exec, exec, s[42:43]
	v_add_u32_e32 v21, 2, v21
	v_cmp_le_i32_e64 s[0:1], s33, v21
	v_add_u32_e32 v18, 32, v18
	v_add_u32_e32 v19, 0x80, v19
	s_or_b64 s[18:19], s[0:1], s[18:19]
	v_lshl_add_u64 v[10:11], v[10:11], 0, 8
	s_andn2_b64 exec, exec, s[18:19]
	s_cbranch_execz .LBB280_268
.LBB280_10:                             ; =>This Inner Loop Header: Depth=1
	global_load_dword v4, v[10:11], off
                                        ; implicit-def: $sgpr46
	s_waitcnt vmcnt(0) lgkmcnt(0)
	v_mad_i64_i32 v[12:13], s[0:1], v4, s50, v[6:7]
	v_lshl_add_u64 v[12:13], v[12:13], 0, v[8:9]
	global_load_ushort v4, v[12:13], off
	global_load_dword v22, v5, s[12:13]
	s_mov_b64 s[0:1], 0
	s_waitcnt vmcnt(1)
	v_cmp_gt_i16_sdwa s[42:43], v4, s52 src0_sel:BYTE_0 src1_sel:DWORD
	s_and_saveexec_b64 s[44:45], s[42:43]
	s_xor_b64 s[42:43], exec, s[44:45]
	s_cbranch_execnz .LBB280_140
; %bb.11:                               ;   in Loop: Header=BB280_10 Depth=1
	s_or_saveexec_b64 s[42:43], s[42:43]
	v_mov_b32_e32 v23, s46
	s_xor_b64 exec, exec, s[42:43]
	s_cbranch_execnz .LBB280_143
.LBB280_12:                             ;   in Loop: Header=BB280_10 Depth=1
	s_or_b64 exec, exec, s[42:43]
	v_and_b32_e32 v4, 0xffff, v4
	s_and_saveexec_b64 s[42:43], s[0:1]
	s_cbranch_execz .LBB280_14
.LBB280_13:                             ;   in Loop: Header=BB280_10 Depth=1
	v_and_b32_e32 v23, 7, v4
	v_ffbh_u32_e32 v24, v23
	v_min_u32_e32 v27, 32, v24
	v_subrev_u32_e32 v24, 28, v27
	v_bfe_u32 v26, v4, 3, 4
	v_lshlrev_b64 v[24:25], v24, v[4:5]
	v_sub_u32_e32 v25, 29, v27
	v_cmp_eq_u32_e64 s[0:1], 0, v26
	v_and_b32_e32 v24, 7, v24
	s_nop 0
	v_cndmask_b32_e64 v25, v26, v25, s[0:1]
	v_cndmask_b32_e64 v23, v23, v24, s[0:1]
	v_lshlrev_b32_e32 v24, 8, v4
	v_lshl_add_u32 v25, v25, 10, v20
	v_and_or_b32 v24, v24, s54, v25
	v_lshl_or_b32 v23, v23, 7, v24
	v_cvt_f32_f16_e32 v23, v23
.LBB280_14:                             ;   in Loop: Header=BB280_10 Depth=1
	s_or_b64 exec, exec, s[42:43]
	v_lshrrev_b16_e32 v4, 8, v4
	v_cmp_lt_i16_e64 s[0:1], s52, v4
	s_mov_b64 s[42:43], 0
                                        ; implicit-def: $sgpr55
	s_and_saveexec_b64 s[44:45], s[0:1]
	s_xor_b64 s[44:45], exec, s[44:45]
	s_cbranch_execnz .LBB280_144
; %bb.15:                               ;   in Loop: Header=BB280_10 Depth=1
	s_or_saveexec_b64 s[44:45], s[44:45]
	v_mov_b32_e32 v24, s55
	s_xor_b64 exec, exec, s[44:45]
	s_cbranch_execnz .LBB280_147
.LBB280_16:                             ;   in Loop: Header=BB280_10 Depth=1
	s_or_b64 exec, exec, s[44:45]
	s_and_saveexec_b64 s[44:45], s[42:43]
	s_cbranch_execz .LBB280_18
.LBB280_17:                             ;   in Loop: Header=BB280_10 Depth=1
	v_and_b32_e32 v26, 7, v4
	v_ffbh_u32_e32 v24, v26
	v_min_u32_e32 v28, 32, v24
	v_subrev_u32_e32 v24, 28, v28
	v_bfe_u32 v27, v4, 3, 4
	v_lshlrev_b64 v[24:25], v24, v[4:5]
	v_sub_u32_e32 v25, 29, v28
	v_cmp_eq_u32_e64 s[0:1], 0, v27
	v_and_b32_e32 v24, 7, v24
	v_lshlrev_b32_e32 v4, 8, v4
	v_cndmask_b32_e64 v25, v27, v25, s[0:1]
	v_lshl_add_u32 v25, v25, 10, v20
	v_cndmask_b32_e64 v24, v26, v24, s[0:1]
	v_and_or_b32 v4, v4, s54, v25
	v_lshl_or_b32 v4, v24, 7, v4
	v_cvt_f32_f16_e32 v24, v4
.LBB280_18:                             ;   in Loop: Header=BB280_10 Depth=1
	s_or_b64 exec, exec, s[44:45]
	global_load_ushort v4, v[12:13], off offset:8
	s_mov_b64 s[0:1], 0
                                        ; implicit-def: $sgpr46
	s_waitcnt vmcnt(0)
	v_cmp_gt_i16_sdwa s[42:43], v4, s52 src0_sel:BYTE_0 src1_sel:DWORD
	s_and_saveexec_b64 s[44:45], s[42:43]
	s_xor_b64 s[42:43], exec, s[44:45]
	s_cbranch_execnz .LBB280_148
; %bb.19:                               ;   in Loop: Header=BB280_10 Depth=1
	s_or_saveexec_b64 s[42:43], s[42:43]
	v_mov_b32_e32 v25, s46
	s_xor_b64 exec, exec, s[42:43]
	s_cbranch_execnz .LBB280_151
.LBB280_20:                             ;   in Loop: Header=BB280_10 Depth=1
	s_or_b64 exec, exec, s[42:43]
	v_and_b32_e32 v4, 0xffff, v4
	s_and_saveexec_b64 s[42:43], s[0:1]
	s_cbranch_execz .LBB280_22
.LBB280_21:                             ;   in Loop: Header=BB280_10 Depth=1
	v_and_b32_e32 v25, 7, v4
	v_ffbh_u32_e32 v26, v25
	v_min_u32_e32 v29, 32, v26
	v_subrev_u32_e32 v26, 28, v29
	v_bfe_u32 v28, v4, 3, 4
	v_lshlrev_b64 v[26:27], v26, v[4:5]
	v_sub_u32_e32 v27, 29, v29
	v_cmp_eq_u32_e64 s[0:1], 0, v28
	v_and_b32_e32 v26, 7, v26
	s_nop 0
	v_cndmask_b32_e64 v27, v28, v27, s[0:1]
	v_cndmask_b32_e64 v25, v25, v26, s[0:1]
	v_lshlrev_b32_e32 v26, 8, v4
	v_lshl_add_u32 v27, v27, 10, v20
	v_and_or_b32 v26, v26, s54, v27
	v_lshl_or_b32 v25, v25, 7, v26
	v_cvt_f32_f16_e32 v25, v25
.LBB280_22:                             ;   in Loop: Header=BB280_10 Depth=1
	s_or_b64 exec, exec, s[42:43]
	v_lshrrev_b16_e32 v4, 8, v4
	v_cmp_lt_i16_e64 s[0:1], s52, v4
	s_mov_b64 s[42:43], 0
                                        ; implicit-def: $sgpr55
	s_and_saveexec_b64 s[44:45], s[0:1]
	s_xor_b64 s[44:45], exec, s[44:45]
	s_cbranch_execnz .LBB280_152
; %bb.23:                               ;   in Loop: Header=BB280_10 Depth=1
	s_or_saveexec_b64 s[44:45], s[44:45]
	v_mov_b32_e32 v26, s55
	s_xor_b64 exec, exec, s[44:45]
	s_cbranch_execnz .LBB280_155
.LBB280_24:                             ;   in Loop: Header=BB280_10 Depth=1
	s_or_b64 exec, exec, s[44:45]
	s_and_saveexec_b64 s[44:45], s[42:43]
	s_cbranch_execz .LBB280_26
.LBB280_25:                             ;   in Loop: Header=BB280_10 Depth=1
	v_and_b32_e32 v28, 7, v4
	v_ffbh_u32_e32 v26, v28
	v_min_u32_e32 v30, 32, v26
	v_subrev_u32_e32 v26, 28, v30
	v_bfe_u32 v29, v4, 3, 4
	v_lshlrev_b64 v[26:27], v26, v[4:5]
	v_sub_u32_e32 v27, 29, v30
	v_cmp_eq_u32_e64 s[0:1], 0, v29
	v_and_b32_e32 v26, 7, v26
	v_lshlrev_b32_e32 v4, 8, v4
	v_cndmask_b32_e64 v27, v29, v27, s[0:1]
	v_lshl_add_u32 v27, v27, 10, v20
	v_cndmask_b32_e64 v26, v28, v26, s[0:1]
	v_and_or_b32 v4, v4, s54, v27
	v_lshl_or_b32 v4, v26, 7, v4
	v_cvt_f32_f16_e32 v26, v4
.LBB280_26:                             ;   in Loop: Header=BB280_10 Depth=1
	s_or_b64 exec, exec, s[44:45]
	global_load_ushort v4, v[12:13], off offset:256
	s_mov_b64 s[0:1], 0
                                        ; implicit-def: $sgpr46
	s_waitcnt vmcnt(0)
	v_cmp_gt_i16_sdwa s[42:43], v4, s52 src0_sel:BYTE_0 src1_sel:DWORD
	s_and_saveexec_b64 s[44:45], s[42:43]
	s_xor_b64 s[42:43], exec, s[44:45]
	s_cbranch_execnz .LBB280_156
; %bb.27:                               ;   in Loop: Header=BB280_10 Depth=1
	s_or_saveexec_b64 s[42:43], s[42:43]
	v_mov_b32_e32 v27, s46
	s_xor_b64 exec, exec, s[42:43]
	s_cbranch_execnz .LBB280_159
.LBB280_28:                             ;   in Loop: Header=BB280_10 Depth=1
	s_or_b64 exec, exec, s[42:43]
	v_and_b32_e32 v4, 0xffff, v4
	s_and_saveexec_b64 s[42:43], s[0:1]
	s_cbranch_execz .LBB280_30
.LBB280_29:                             ;   in Loop: Header=BB280_10 Depth=1
	v_and_b32_e32 v27, 7, v4
	v_ffbh_u32_e32 v28, v27
	v_min_u32_e32 v31, 32, v28
	v_subrev_u32_e32 v28, 28, v31
	v_bfe_u32 v30, v4, 3, 4
	v_lshlrev_b64 v[28:29], v28, v[4:5]
	v_sub_u32_e32 v29, 29, v31
	v_cmp_eq_u32_e64 s[0:1], 0, v30
	v_and_b32_e32 v28, 7, v28
	s_nop 0
	v_cndmask_b32_e64 v29, v30, v29, s[0:1]
	v_cndmask_b32_e64 v27, v27, v28, s[0:1]
	v_lshlrev_b32_e32 v28, 8, v4
	v_lshl_add_u32 v29, v29, 10, v20
	v_and_or_b32 v28, v28, s54, v29
	v_lshl_or_b32 v27, v27, 7, v28
	v_cvt_f32_f16_e32 v27, v27
.LBB280_30:                             ;   in Loop: Header=BB280_10 Depth=1
	s_or_b64 exec, exec, s[42:43]
	v_lshrrev_b16_e32 v4, 8, v4
	v_cmp_lt_i16_e64 s[0:1], s52, v4
	s_mov_b64 s[42:43], 0
                                        ; implicit-def: $sgpr55
	s_and_saveexec_b64 s[44:45], s[0:1]
	s_xor_b64 s[44:45], exec, s[44:45]
	s_cbranch_execnz .LBB280_160
; %bb.31:                               ;   in Loop: Header=BB280_10 Depth=1
	s_or_saveexec_b64 s[44:45], s[44:45]
	v_mov_b32_e32 v28, s55
	s_xor_b64 exec, exec, s[44:45]
	s_cbranch_execnz .LBB280_163
.LBB280_32:                             ;   in Loop: Header=BB280_10 Depth=1
	s_or_b64 exec, exec, s[44:45]
	s_and_saveexec_b64 s[44:45], s[42:43]
	s_cbranch_execz .LBB280_34
.LBB280_33:                             ;   in Loop: Header=BB280_10 Depth=1
	v_and_b32_e32 v30, 7, v4
	v_ffbh_u32_e32 v28, v30
	v_min_u32_e32 v32, 32, v28
	v_subrev_u32_e32 v28, 28, v32
	v_bfe_u32 v31, v4, 3, 4
	v_lshlrev_b64 v[28:29], v28, v[4:5]
	v_sub_u32_e32 v29, 29, v32
	v_cmp_eq_u32_e64 s[0:1], 0, v31
	v_and_b32_e32 v28, 7, v28
	v_lshlrev_b32_e32 v4, 8, v4
	v_cndmask_b32_e64 v29, v31, v29, s[0:1]
	v_lshl_add_u32 v29, v29, 10, v20
	v_cndmask_b32_e64 v28, v30, v28, s[0:1]
	v_and_or_b32 v4, v4, s54, v29
	v_lshl_or_b32 v4, v28, 7, v4
	v_cvt_f32_f16_e32 v28, v4
.LBB280_34:                             ;   in Loop: Header=BB280_10 Depth=1
	s_or_b64 exec, exec, s[44:45]
	global_load_ushort v4, v[12:13], off offset:264
	s_mov_b64 s[0:1], 0
                                        ; implicit-def: $sgpr46
	s_waitcnt vmcnt(0)
	v_cmp_gt_i16_sdwa s[42:43], v4, s52 src0_sel:BYTE_0 src1_sel:DWORD
	s_and_saveexec_b64 s[44:45], s[42:43]
	s_xor_b64 s[42:43], exec, s[44:45]
	s_cbranch_execnz .LBB280_164
; %bb.35:                               ;   in Loop: Header=BB280_10 Depth=1
	s_or_saveexec_b64 s[42:43], s[42:43]
	v_mov_b32_e32 v29, s46
	s_xor_b64 exec, exec, s[42:43]
	s_cbranch_execnz .LBB280_167
.LBB280_36:                             ;   in Loop: Header=BB280_10 Depth=1
	s_or_b64 exec, exec, s[42:43]
	v_and_b32_e32 v4, 0xffff, v4
	s_and_saveexec_b64 s[42:43], s[0:1]
	s_cbranch_execz .LBB280_38
.LBB280_37:                             ;   in Loop: Header=BB280_10 Depth=1
	v_and_b32_e32 v29, 7, v4
	v_ffbh_u32_e32 v30, v29
	v_min_u32_e32 v33, 32, v30
	v_subrev_u32_e32 v30, 28, v33
	v_bfe_u32 v32, v4, 3, 4
	v_lshlrev_b64 v[30:31], v30, v[4:5]
	v_sub_u32_e32 v31, 29, v33
	v_cmp_eq_u32_e64 s[0:1], 0, v32
	v_and_b32_e32 v30, 7, v30
	s_nop 0
	v_cndmask_b32_e64 v31, v32, v31, s[0:1]
	v_cndmask_b32_e64 v29, v29, v30, s[0:1]
	v_lshlrev_b32_e32 v30, 8, v4
	v_lshl_add_u32 v31, v31, 10, v20
	v_and_or_b32 v30, v30, s54, v31
	v_lshl_or_b32 v29, v29, 7, v30
	v_cvt_f32_f16_e32 v29, v29
.LBB280_38:                             ;   in Loop: Header=BB280_10 Depth=1
	s_or_b64 exec, exec, s[42:43]
	v_lshrrev_b16_e32 v4, 8, v4
	v_cmp_lt_i16_e64 s[0:1], s52, v4
	s_mov_b64 s[42:43], 0
                                        ; implicit-def: $sgpr55
	s_and_saveexec_b64 s[44:45], s[0:1]
	s_xor_b64 s[44:45], exec, s[44:45]
	s_cbranch_execnz .LBB280_168
; %bb.39:                               ;   in Loop: Header=BB280_10 Depth=1
	s_or_saveexec_b64 s[44:45], s[44:45]
	v_mov_b32_e32 v30, s55
	s_xor_b64 exec, exec, s[44:45]
	s_cbranch_execnz .LBB280_171
.LBB280_40:                             ;   in Loop: Header=BB280_10 Depth=1
	s_or_b64 exec, exec, s[44:45]
	s_and_saveexec_b64 s[44:45], s[42:43]
	s_cbranch_execz .LBB280_42
.LBB280_41:                             ;   in Loop: Header=BB280_10 Depth=1
	v_and_b32_e32 v32, 7, v4
	v_ffbh_u32_e32 v30, v32
	v_min_u32_e32 v34, 32, v30
	v_subrev_u32_e32 v30, 28, v34
	v_bfe_u32 v33, v4, 3, 4
	v_lshlrev_b64 v[30:31], v30, v[4:5]
	v_sub_u32_e32 v31, 29, v34
	v_cmp_eq_u32_e64 s[0:1], 0, v33
	v_and_b32_e32 v30, 7, v30
	v_lshlrev_b32_e32 v4, 8, v4
	v_cndmask_b32_e64 v31, v33, v31, s[0:1]
	v_lshl_add_u32 v31, v31, 10, v20
	v_cndmask_b32_e64 v30, v32, v30, s[0:1]
	v_and_or_b32 v4, v4, s54, v31
	v_lshl_or_b32 v4, v30, 7, v4
	v_cvt_f32_f16_e32 v30, v4
.LBB280_42:                             ;   in Loop: Header=BB280_10 Depth=1
	s_or_b64 exec, exec, s[44:45]
	global_load_ushort v4, v[12:13], off offset:512
	s_mov_b64 s[0:1], 0
                                        ; implicit-def: $sgpr46
	s_waitcnt vmcnt(0)
	v_cmp_gt_i16_sdwa s[42:43], v4, s52 src0_sel:BYTE_0 src1_sel:DWORD
	s_and_saveexec_b64 s[44:45], s[42:43]
	s_xor_b64 s[42:43], exec, s[44:45]
	s_cbranch_execnz .LBB280_172
; %bb.43:                               ;   in Loop: Header=BB280_10 Depth=1
	s_or_saveexec_b64 s[42:43], s[42:43]
	v_mov_b32_e32 v31, s46
	s_xor_b64 exec, exec, s[42:43]
	s_cbranch_execnz .LBB280_175
.LBB280_44:                             ;   in Loop: Header=BB280_10 Depth=1
	s_or_b64 exec, exec, s[42:43]
	v_and_b32_e32 v4, 0xffff, v4
	s_and_saveexec_b64 s[42:43], s[0:1]
	s_cbranch_execz .LBB280_46
.LBB280_45:                             ;   in Loop: Header=BB280_10 Depth=1
	v_and_b32_e32 v31, 7, v4
	v_ffbh_u32_e32 v32, v31
	v_min_u32_e32 v35, 32, v32
	v_subrev_u32_e32 v32, 28, v35
	v_bfe_u32 v34, v4, 3, 4
	v_lshlrev_b64 v[32:33], v32, v[4:5]
	v_sub_u32_e32 v33, 29, v35
	v_cmp_eq_u32_e64 s[0:1], 0, v34
	v_and_b32_e32 v32, 7, v32
	s_nop 0
	v_cndmask_b32_e64 v33, v34, v33, s[0:1]
	v_cndmask_b32_e64 v31, v31, v32, s[0:1]
	v_lshlrev_b32_e32 v32, 8, v4
	v_lshl_add_u32 v33, v33, 10, v20
	v_and_or_b32 v32, v32, s54, v33
	v_lshl_or_b32 v31, v31, 7, v32
	v_cvt_f32_f16_e32 v31, v31
.LBB280_46:                             ;   in Loop: Header=BB280_10 Depth=1
	s_or_b64 exec, exec, s[42:43]
	v_lshrrev_b16_e32 v4, 8, v4
	v_cmp_lt_i16_e64 s[0:1], s52, v4
	s_mov_b64 s[42:43], 0
                                        ; implicit-def: $sgpr55
	s_and_saveexec_b64 s[44:45], s[0:1]
	s_xor_b64 s[44:45], exec, s[44:45]
	s_cbranch_execnz .LBB280_176
; %bb.47:                               ;   in Loop: Header=BB280_10 Depth=1
	s_or_saveexec_b64 s[44:45], s[44:45]
	v_mov_b32_e32 v32, s55
	s_xor_b64 exec, exec, s[44:45]
	s_cbranch_execnz .LBB280_179
.LBB280_48:                             ;   in Loop: Header=BB280_10 Depth=1
	s_or_b64 exec, exec, s[44:45]
	s_and_saveexec_b64 s[44:45], s[42:43]
	s_cbranch_execz .LBB280_50
.LBB280_49:                             ;   in Loop: Header=BB280_10 Depth=1
	v_and_b32_e32 v34, 7, v4
	v_ffbh_u32_e32 v32, v34
	v_min_u32_e32 v36, 32, v32
	v_subrev_u32_e32 v32, 28, v36
	v_bfe_u32 v35, v4, 3, 4
	v_lshlrev_b64 v[32:33], v32, v[4:5]
	v_sub_u32_e32 v33, 29, v36
	v_cmp_eq_u32_e64 s[0:1], 0, v35
	v_and_b32_e32 v32, 7, v32
	v_lshlrev_b32_e32 v4, 8, v4
	v_cndmask_b32_e64 v33, v35, v33, s[0:1]
	v_lshl_add_u32 v33, v33, 10, v20
	v_cndmask_b32_e64 v32, v34, v32, s[0:1]
	v_and_or_b32 v4, v4, s54, v33
	v_lshl_or_b32 v4, v32, 7, v4
	v_cvt_f32_f16_e32 v32, v4
.LBB280_50:                             ;   in Loop: Header=BB280_10 Depth=1
	s_or_b64 exec, exec, s[44:45]
	global_load_ushort v4, v[12:13], off offset:520
	s_mov_b64 s[0:1], 0
                                        ; implicit-def: $sgpr46
	s_waitcnt vmcnt(0)
	v_cmp_gt_i16_sdwa s[42:43], v4, s52 src0_sel:BYTE_0 src1_sel:DWORD
	s_and_saveexec_b64 s[44:45], s[42:43]
	s_xor_b64 s[42:43], exec, s[44:45]
	s_cbranch_execnz .LBB280_180
; %bb.51:                               ;   in Loop: Header=BB280_10 Depth=1
	s_or_saveexec_b64 s[42:43], s[42:43]
	v_mov_b32_e32 v33, s46
	s_xor_b64 exec, exec, s[42:43]
	s_cbranch_execnz .LBB280_183
.LBB280_52:                             ;   in Loop: Header=BB280_10 Depth=1
	s_or_b64 exec, exec, s[42:43]
	v_and_b32_e32 v4, 0xffff, v4
	s_and_saveexec_b64 s[42:43], s[0:1]
	s_cbranch_execz .LBB280_54
.LBB280_53:                             ;   in Loop: Header=BB280_10 Depth=1
	v_and_b32_e32 v33, 7, v4
	v_ffbh_u32_e32 v34, v33
	v_min_u32_e32 v37, 32, v34
	v_subrev_u32_e32 v34, 28, v37
	v_bfe_u32 v36, v4, 3, 4
	v_lshlrev_b64 v[34:35], v34, v[4:5]
	v_sub_u32_e32 v35, 29, v37
	v_cmp_eq_u32_e64 s[0:1], 0, v36
	v_and_b32_e32 v34, 7, v34
	s_nop 0
	v_cndmask_b32_e64 v35, v36, v35, s[0:1]
	v_cndmask_b32_e64 v33, v33, v34, s[0:1]
	v_lshlrev_b32_e32 v34, 8, v4
	v_lshl_add_u32 v35, v35, 10, v20
	v_and_or_b32 v34, v34, s54, v35
	v_lshl_or_b32 v33, v33, 7, v34
	v_cvt_f32_f16_e32 v33, v33
.LBB280_54:                             ;   in Loop: Header=BB280_10 Depth=1
	s_or_b64 exec, exec, s[42:43]
	v_lshrrev_b16_e32 v4, 8, v4
	v_cmp_lt_i16_e64 s[0:1], s52, v4
	s_mov_b64 s[42:43], 0
                                        ; implicit-def: $sgpr55
	s_and_saveexec_b64 s[44:45], s[0:1]
	s_xor_b64 s[44:45], exec, s[44:45]
	s_cbranch_execnz .LBB280_184
; %bb.55:                               ;   in Loop: Header=BB280_10 Depth=1
	s_or_saveexec_b64 s[44:45], s[44:45]
	v_mov_b32_e32 v34, s55
	s_xor_b64 exec, exec, s[44:45]
	s_cbranch_execnz .LBB280_187
.LBB280_56:                             ;   in Loop: Header=BB280_10 Depth=1
	s_or_b64 exec, exec, s[44:45]
	s_and_saveexec_b64 s[44:45], s[42:43]
	s_cbranch_execz .LBB280_58
.LBB280_57:                             ;   in Loop: Header=BB280_10 Depth=1
	v_and_b32_e32 v36, 7, v4
	v_ffbh_u32_e32 v34, v36
	v_min_u32_e32 v38, 32, v34
	v_subrev_u32_e32 v34, 28, v38
	v_bfe_u32 v37, v4, 3, 4
	v_lshlrev_b64 v[34:35], v34, v[4:5]
	v_sub_u32_e32 v35, 29, v38
	v_cmp_eq_u32_e64 s[0:1], 0, v37
	v_and_b32_e32 v34, 7, v34
	v_lshlrev_b32_e32 v4, 8, v4
	v_cndmask_b32_e64 v35, v37, v35, s[0:1]
	v_lshl_add_u32 v35, v35, 10, v20
	v_cndmask_b32_e64 v34, v36, v34, s[0:1]
	v_and_or_b32 v4, v4, s54, v35
	v_lshl_or_b32 v4, v34, 7, v4
	v_cvt_f32_f16_e32 v34, v4
.LBB280_58:                             ;   in Loop: Header=BB280_10 Depth=1
	s_or_b64 exec, exec, s[44:45]
	global_load_ushort v4, v[12:13], off offset:768
	s_mov_b64 s[0:1], 0
                                        ; implicit-def: $sgpr46
	s_waitcnt vmcnt(0)
	v_cmp_gt_i16_sdwa s[42:43], v4, s52 src0_sel:BYTE_0 src1_sel:DWORD
	s_and_saveexec_b64 s[44:45], s[42:43]
	s_xor_b64 s[42:43], exec, s[44:45]
	s_cbranch_execnz .LBB280_188
; %bb.59:                               ;   in Loop: Header=BB280_10 Depth=1
	s_or_saveexec_b64 s[42:43], s[42:43]
	v_mov_b32_e32 v35, s46
	s_xor_b64 exec, exec, s[42:43]
	s_cbranch_execnz .LBB280_191
.LBB280_60:                             ;   in Loop: Header=BB280_10 Depth=1
	s_or_b64 exec, exec, s[42:43]
	v_and_b32_e32 v4, 0xffff, v4
	s_and_saveexec_b64 s[42:43], s[0:1]
	s_cbranch_execz .LBB280_62
.LBB280_61:                             ;   in Loop: Header=BB280_10 Depth=1
	v_and_b32_e32 v35, 7, v4
	v_ffbh_u32_e32 v36, v35
	v_min_u32_e32 v39, 32, v36
	v_subrev_u32_e32 v36, 28, v39
	v_bfe_u32 v38, v4, 3, 4
	v_lshlrev_b64 v[36:37], v36, v[4:5]
	v_sub_u32_e32 v37, 29, v39
	v_cmp_eq_u32_e64 s[0:1], 0, v38
	v_and_b32_e32 v36, 7, v36
	s_nop 0
	v_cndmask_b32_e64 v37, v38, v37, s[0:1]
	v_cndmask_b32_e64 v35, v35, v36, s[0:1]
	v_lshlrev_b32_e32 v36, 8, v4
	v_lshl_add_u32 v37, v37, 10, v20
	v_and_or_b32 v36, v36, s54, v37
	v_lshl_or_b32 v35, v35, 7, v36
	v_cvt_f32_f16_e32 v35, v35
.LBB280_62:                             ;   in Loop: Header=BB280_10 Depth=1
	s_or_b64 exec, exec, s[42:43]
	v_lshrrev_b16_e32 v4, 8, v4
	v_cmp_lt_i16_e64 s[0:1], s52, v4
	s_mov_b64 s[42:43], 0
                                        ; implicit-def: $sgpr55
	s_and_saveexec_b64 s[44:45], s[0:1]
	s_xor_b64 s[44:45], exec, s[44:45]
	s_cbranch_execnz .LBB280_192
; %bb.63:                               ;   in Loop: Header=BB280_10 Depth=1
	s_or_saveexec_b64 s[44:45], s[44:45]
	v_mov_b32_e32 v36, s55
	s_xor_b64 exec, exec, s[44:45]
	s_cbranch_execnz .LBB280_195
.LBB280_64:                             ;   in Loop: Header=BB280_10 Depth=1
	s_or_b64 exec, exec, s[44:45]
	s_and_saveexec_b64 s[44:45], s[42:43]
	s_cbranch_execz .LBB280_66
.LBB280_65:                             ;   in Loop: Header=BB280_10 Depth=1
	v_and_b32_e32 v38, 7, v4
	v_ffbh_u32_e32 v36, v38
	v_min_u32_e32 v40, 32, v36
	v_subrev_u32_e32 v36, 28, v40
	v_bfe_u32 v39, v4, 3, 4
	v_lshlrev_b64 v[36:37], v36, v[4:5]
	v_sub_u32_e32 v37, 29, v40
	v_cmp_eq_u32_e64 s[0:1], 0, v39
	v_and_b32_e32 v36, 7, v36
	v_lshlrev_b32_e32 v4, 8, v4
	v_cndmask_b32_e64 v37, v39, v37, s[0:1]
	v_lshl_add_u32 v37, v37, 10, v20
	v_cndmask_b32_e64 v36, v38, v36, s[0:1]
	v_and_or_b32 v4, v4, s54, v37
	v_lshl_or_b32 v4, v36, 7, v4
	v_cvt_f32_f16_e32 v36, v4
.LBB280_66:                             ;   in Loop: Header=BB280_10 Depth=1
	s_or_b64 exec, exec, s[44:45]
	global_load_ushort v4, v[12:13], off offset:776
	s_mov_b64 s[0:1], 0
                                        ; implicit-def: $sgpr46
	s_waitcnt vmcnt(0)
	v_cmp_gt_i16_sdwa s[42:43], v4, s52 src0_sel:BYTE_0 src1_sel:DWORD
	s_and_saveexec_b64 s[44:45], s[42:43]
	s_xor_b64 s[42:43], exec, s[44:45]
	s_cbranch_execnz .LBB280_196
; %bb.67:                               ;   in Loop: Header=BB280_10 Depth=1
	s_or_saveexec_b64 s[42:43], s[42:43]
	v_mov_b32_e32 v37, s46
	s_xor_b64 exec, exec, s[42:43]
	s_cbranch_execnz .LBB280_199
.LBB280_68:                             ;   in Loop: Header=BB280_10 Depth=1
	s_or_b64 exec, exec, s[42:43]
	v_and_b32_e32 v4, 0xffff, v4
	s_and_saveexec_b64 s[42:43], s[0:1]
	s_cbranch_execz .LBB280_70
.LBB280_69:                             ;   in Loop: Header=BB280_10 Depth=1
	v_and_b32_e32 v37, 7, v4
	v_ffbh_u32_e32 v38, v37
	v_min_u32_e32 v41, 32, v38
	v_subrev_u32_e32 v38, 28, v41
	v_bfe_u32 v40, v4, 3, 4
	v_lshlrev_b64 v[38:39], v38, v[4:5]
	v_sub_u32_e32 v39, 29, v41
	v_cmp_eq_u32_e64 s[0:1], 0, v40
	v_and_b32_e32 v38, 7, v38
	s_nop 0
	v_cndmask_b32_e64 v39, v40, v39, s[0:1]
	v_cndmask_b32_e64 v37, v37, v38, s[0:1]
	v_lshlrev_b32_e32 v38, 8, v4
	v_lshl_add_u32 v39, v39, 10, v20
	v_and_or_b32 v38, v38, s54, v39
	v_lshl_or_b32 v37, v37, 7, v38
	v_cvt_f32_f16_e32 v37, v37
.LBB280_70:                             ;   in Loop: Header=BB280_10 Depth=1
	s_or_b64 exec, exec, s[42:43]
	v_lshrrev_b16_e32 v4, 8, v4
	v_cmp_lt_i16_e64 s[0:1], s52, v4
	s_mov_b64 s[42:43], 0
                                        ; implicit-def: $sgpr55
	s_and_saveexec_b64 s[44:45], s[0:1]
	s_xor_b64 s[44:45], exec, s[44:45]
	s_cbranch_execnz .LBB280_200
; %bb.71:                               ;   in Loop: Header=BB280_10 Depth=1
	s_or_saveexec_b64 s[44:45], s[44:45]
	v_mov_b32_e32 v38, s55
	s_xor_b64 exec, exec, s[44:45]
	s_cbranch_execnz .LBB280_203
.LBB280_72:                             ;   in Loop: Header=BB280_10 Depth=1
	s_or_b64 exec, exec, s[44:45]
	s_and_saveexec_b64 s[44:45], s[42:43]
	s_cbranch_execz .LBB280_74
.LBB280_73:                             ;   in Loop: Header=BB280_10 Depth=1
	v_and_b32_e32 v40, 7, v4
	v_ffbh_u32_e32 v38, v40
	v_min_u32_e32 v42, 32, v38
	v_subrev_u32_e32 v38, 28, v42
	v_bfe_u32 v41, v4, 3, 4
	v_lshlrev_b64 v[38:39], v38, v[4:5]
	v_sub_u32_e32 v39, 29, v42
	v_cmp_eq_u32_e64 s[0:1], 0, v41
	v_and_b32_e32 v38, 7, v38
	v_lshlrev_b32_e32 v4, 8, v4
	v_cndmask_b32_e64 v39, v41, v39, s[0:1]
	v_lshl_add_u32 v39, v39, 10, v20
	v_cndmask_b32_e64 v38, v40, v38, s[0:1]
	v_and_or_b32 v4, v4, s54, v39
	v_lshl_or_b32 v4, v38, 7, v4
	v_cvt_f32_f16_e32 v38, v4
.LBB280_74:                             ;   in Loop: Header=BB280_10 Depth=1
	s_or_b64 exec, exec, s[44:45]
	global_load_ushort v4, v[12:13], off offset:1024
	s_mov_b64 s[0:1], 0
                                        ; implicit-def: $sgpr46
	s_waitcnt vmcnt(0)
	v_cmp_gt_i16_sdwa s[42:43], v4, s52 src0_sel:BYTE_0 src1_sel:DWORD
	s_and_saveexec_b64 s[44:45], s[42:43]
	s_xor_b64 s[42:43], exec, s[44:45]
	s_cbranch_execnz .LBB280_204
; %bb.75:                               ;   in Loop: Header=BB280_10 Depth=1
	s_or_saveexec_b64 s[42:43], s[42:43]
	v_mov_b32_e32 v39, s46
	s_xor_b64 exec, exec, s[42:43]
	s_cbranch_execnz .LBB280_207
.LBB280_76:                             ;   in Loop: Header=BB280_10 Depth=1
	s_or_b64 exec, exec, s[42:43]
	v_and_b32_e32 v4, 0xffff, v4
	s_and_saveexec_b64 s[42:43], s[0:1]
	s_cbranch_execz .LBB280_78
.LBB280_77:                             ;   in Loop: Header=BB280_10 Depth=1
	v_and_b32_e32 v39, 7, v4
	v_ffbh_u32_e32 v40, v39
	v_min_u32_e32 v43, 32, v40
	v_subrev_u32_e32 v40, 28, v43
	v_bfe_u32 v42, v4, 3, 4
	v_lshlrev_b64 v[40:41], v40, v[4:5]
	v_sub_u32_e32 v41, 29, v43
	v_cmp_eq_u32_e64 s[0:1], 0, v42
	v_and_b32_e32 v40, 7, v40
	s_nop 0
	v_cndmask_b32_e64 v41, v42, v41, s[0:1]
	v_cndmask_b32_e64 v39, v39, v40, s[0:1]
	v_lshlrev_b32_e32 v40, 8, v4
	v_lshl_add_u32 v41, v41, 10, v20
	v_and_or_b32 v40, v40, s54, v41
	v_lshl_or_b32 v39, v39, 7, v40
	v_cvt_f32_f16_e32 v39, v39
.LBB280_78:                             ;   in Loop: Header=BB280_10 Depth=1
	s_or_b64 exec, exec, s[42:43]
	v_lshrrev_b16_e32 v4, 8, v4
	v_cmp_lt_i16_e64 s[0:1], s52, v4
	s_mov_b64 s[42:43], 0
                                        ; implicit-def: $sgpr55
	s_and_saveexec_b64 s[44:45], s[0:1]
	s_xor_b64 s[44:45], exec, s[44:45]
	s_cbranch_execnz .LBB280_208
; %bb.79:                               ;   in Loop: Header=BB280_10 Depth=1
	s_or_saveexec_b64 s[44:45], s[44:45]
	v_mov_b32_e32 v40, s55
	s_xor_b64 exec, exec, s[44:45]
	s_cbranch_execnz .LBB280_211
.LBB280_80:                             ;   in Loop: Header=BB280_10 Depth=1
	s_or_b64 exec, exec, s[44:45]
	s_and_saveexec_b64 s[44:45], s[42:43]
	s_cbranch_execz .LBB280_82
.LBB280_81:                             ;   in Loop: Header=BB280_10 Depth=1
	v_and_b32_e32 v42, 7, v4
	v_ffbh_u32_e32 v40, v42
	v_min_u32_e32 v44, 32, v40
	v_subrev_u32_e32 v40, 28, v44
	v_bfe_u32 v43, v4, 3, 4
	v_lshlrev_b64 v[40:41], v40, v[4:5]
	v_sub_u32_e32 v41, 29, v44
	v_cmp_eq_u32_e64 s[0:1], 0, v43
	v_and_b32_e32 v40, 7, v40
	v_lshlrev_b32_e32 v4, 8, v4
	v_cndmask_b32_e64 v41, v43, v41, s[0:1]
	v_lshl_add_u32 v41, v41, 10, v20
	v_cndmask_b32_e64 v40, v42, v40, s[0:1]
	v_and_or_b32 v4, v4, s54, v41
	v_lshl_or_b32 v4, v40, 7, v4
	v_cvt_f32_f16_e32 v40, v4
.LBB280_82:                             ;   in Loop: Header=BB280_10 Depth=1
	s_or_b64 exec, exec, s[44:45]
	global_load_ushort v4, v[12:13], off offset:1032
	s_mov_b64 s[0:1], 0
                                        ; implicit-def: $sgpr46
	s_waitcnt vmcnt(0)
	v_cmp_gt_i16_sdwa s[42:43], v4, s52 src0_sel:BYTE_0 src1_sel:DWORD
	s_and_saveexec_b64 s[44:45], s[42:43]
	s_xor_b64 s[42:43], exec, s[44:45]
	s_cbranch_execnz .LBB280_212
; %bb.83:                               ;   in Loop: Header=BB280_10 Depth=1
	s_or_saveexec_b64 s[42:43], s[42:43]
	v_mov_b32_e32 v41, s46
	s_xor_b64 exec, exec, s[42:43]
	s_cbranch_execnz .LBB280_215
.LBB280_84:                             ;   in Loop: Header=BB280_10 Depth=1
	s_or_b64 exec, exec, s[42:43]
	v_and_b32_e32 v4, 0xffff, v4
	s_and_saveexec_b64 s[42:43], s[0:1]
	s_cbranch_execz .LBB280_86
.LBB280_85:                             ;   in Loop: Header=BB280_10 Depth=1
	v_and_b32_e32 v41, 7, v4
	v_ffbh_u32_e32 v42, v41
	v_min_u32_e32 v45, 32, v42
	v_subrev_u32_e32 v42, 28, v45
	v_bfe_u32 v44, v4, 3, 4
	v_lshlrev_b64 v[42:43], v42, v[4:5]
	v_sub_u32_e32 v43, 29, v45
	v_cmp_eq_u32_e64 s[0:1], 0, v44
	v_and_b32_e32 v42, 7, v42
	s_nop 0
	v_cndmask_b32_e64 v43, v44, v43, s[0:1]
	v_cndmask_b32_e64 v41, v41, v42, s[0:1]
	v_lshlrev_b32_e32 v42, 8, v4
	v_lshl_add_u32 v43, v43, 10, v20
	v_and_or_b32 v42, v42, s54, v43
	v_lshl_or_b32 v41, v41, 7, v42
	v_cvt_f32_f16_e32 v41, v41
.LBB280_86:                             ;   in Loop: Header=BB280_10 Depth=1
	s_or_b64 exec, exec, s[42:43]
	v_lshrrev_b16_e32 v4, 8, v4
	v_cmp_lt_i16_e64 s[0:1], s52, v4
	s_mov_b64 s[42:43], 0
                                        ; implicit-def: $sgpr55
	s_and_saveexec_b64 s[44:45], s[0:1]
	s_xor_b64 s[44:45], exec, s[44:45]
	s_cbranch_execnz .LBB280_216
; %bb.87:                               ;   in Loop: Header=BB280_10 Depth=1
	s_or_saveexec_b64 s[44:45], s[44:45]
	v_mov_b32_e32 v42, s55
	s_xor_b64 exec, exec, s[44:45]
	s_cbranch_execnz .LBB280_219
.LBB280_88:                             ;   in Loop: Header=BB280_10 Depth=1
	s_or_b64 exec, exec, s[44:45]
	s_and_saveexec_b64 s[44:45], s[42:43]
	s_cbranch_execz .LBB280_90
.LBB280_89:                             ;   in Loop: Header=BB280_10 Depth=1
	v_and_b32_e32 v44, 7, v4
	v_ffbh_u32_e32 v42, v44
	v_min_u32_e32 v46, 32, v42
	v_subrev_u32_e32 v42, 28, v46
	v_bfe_u32 v45, v4, 3, 4
	v_lshlrev_b64 v[42:43], v42, v[4:5]
	v_sub_u32_e32 v43, 29, v46
	v_cmp_eq_u32_e64 s[0:1], 0, v45
	v_and_b32_e32 v42, 7, v42
	v_lshlrev_b32_e32 v4, 8, v4
	v_cndmask_b32_e64 v43, v45, v43, s[0:1]
	v_lshl_add_u32 v43, v43, 10, v20
	v_cndmask_b32_e64 v42, v44, v42, s[0:1]
	v_and_or_b32 v4, v4, s54, v43
	v_lshl_or_b32 v4, v42, 7, v4
	v_cvt_f32_f16_e32 v42, v4
.LBB280_90:                             ;   in Loop: Header=BB280_10 Depth=1
	s_or_b64 exec, exec, s[44:45]
	global_load_ushort v4, v[12:13], off offset:1280
	s_mov_b64 s[0:1], 0
                                        ; implicit-def: $sgpr46
	s_waitcnt vmcnt(0)
	v_cmp_gt_i16_sdwa s[42:43], v4, s52 src0_sel:BYTE_0 src1_sel:DWORD
	s_and_saveexec_b64 s[44:45], s[42:43]
	s_xor_b64 s[42:43], exec, s[44:45]
	s_cbranch_execnz .LBB280_220
; %bb.91:                               ;   in Loop: Header=BB280_10 Depth=1
	s_or_saveexec_b64 s[42:43], s[42:43]
	v_mov_b32_e32 v43, s46
	s_xor_b64 exec, exec, s[42:43]
	s_cbranch_execnz .LBB280_223
.LBB280_92:                             ;   in Loop: Header=BB280_10 Depth=1
	s_or_b64 exec, exec, s[42:43]
	v_and_b32_e32 v4, 0xffff, v4
	s_and_saveexec_b64 s[42:43], s[0:1]
	s_cbranch_execz .LBB280_94
.LBB280_93:                             ;   in Loop: Header=BB280_10 Depth=1
	v_and_b32_e32 v43, 7, v4
	v_ffbh_u32_e32 v44, v43
	v_min_u32_e32 v47, 32, v44
	v_subrev_u32_e32 v44, 28, v47
	v_bfe_u32 v46, v4, 3, 4
	v_lshlrev_b64 v[44:45], v44, v[4:5]
	v_sub_u32_e32 v45, 29, v47
	v_cmp_eq_u32_e64 s[0:1], 0, v46
	v_and_b32_e32 v44, 7, v44
	s_nop 0
	v_cndmask_b32_e64 v45, v46, v45, s[0:1]
	v_cndmask_b32_e64 v43, v43, v44, s[0:1]
	v_lshlrev_b32_e32 v44, 8, v4
	v_lshl_add_u32 v45, v45, 10, v20
	v_and_or_b32 v44, v44, s54, v45
	v_lshl_or_b32 v43, v43, 7, v44
	v_cvt_f32_f16_e32 v43, v43
.LBB280_94:                             ;   in Loop: Header=BB280_10 Depth=1
	s_or_b64 exec, exec, s[42:43]
	v_lshrrev_b16_e32 v4, 8, v4
	v_cmp_lt_i16_e64 s[0:1], s52, v4
	s_mov_b64 s[42:43], 0
                                        ; implicit-def: $sgpr55
	s_and_saveexec_b64 s[44:45], s[0:1]
	s_xor_b64 s[44:45], exec, s[44:45]
	s_cbranch_execnz .LBB280_224
; %bb.95:                               ;   in Loop: Header=BB280_10 Depth=1
	s_or_saveexec_b64 s[44:45], s[44:45]
	v_mov_b32_e32 v44, s55
	s_xor_b64 exec, exec, s[44:45]
	s_cbranch_execnz .LBB280_227
.LBB280_96:                             ;   in Loop: Header=BB280_10 Depth=1
	s_or_b64 exec, exec, s[44:45]
	s_and_saveexec_b64 s[44:45], s[42:43]
	s_cbranch_execz .LBB280_98
.LBB280_97:                             ;   in Loop: Header=BB280_10 Depth=1
	v_and_b32_e32 v46, 7, v4
	v_ffbh_u32_e32 v44, v46
	v_min_u32_e32 v48, 32, v44
	v_subrev_u32_e32 v44, 28, v48
	v_bfe_u32 v47, v4, 3, 4
	v_lshlrev_b64 v[44:45], v44, v[4:5]
	v_sub_u32_e32 v45, 29, v48
	v_cmp_eq_u32_e64 s[0:1], 0, v47
	v_and_b32_e32 v44, 7, v44
	v_lshlrev_b32_e32 v4, 8, v4
	v_cndmask_b32_e64 v45, v47, v45, s[0:1]
	v_lshl_add_u32 v45, v45, 10, v20
	v_cndmask_b32_e64 v44, v46, v44, s[0:1]
	v_and_or_b32 v4, v4, s54, v45
	v_lshl_or_b32 v4, v44, 7, v4
	v_cvt_f32_f16_e32 v44, v4
.LBB280_98:                             ;   in Loop: Header=BB280_10 Depth=1
	s_or_b64 exec, exec, s[44:45]
	global_load_ushort v4, v[12:13], off offset:1288
	s_mov_b64 s[0:1], 0
                                        ; implicit-def: $sgpr46
	s_waitcnt vmcnt(0)
	v_cmp_gt_i16_sdwa s[42:43], v4, s52 src0_sel:BYTE_0 src1_sel:DWORD
	s_and_saveexec_b64 s[44:45], s[42:43]
	s_xor_b64 s[42:43], exec, s[44:45]
	s_cbranch_execnz .LBB280_228
; %bb.99:                               ;   in Loop: Header=BB280_10 Depth=1
	s_or_saveexec_b64 s[42:43], s[42:43]
	v_mov_b32_e32 v45, s46
	s_xor_b64 exec, exec, s[42:43]
	s_cbranch_execnz .LBB280_231
.LBB280_100:                            ;   in Loop: Header=BB280_10 Depth=1
	s_or_b64 exec, exec, s[42:43]
	v_and_b32_e32 v4, 0xffff, v4
	s_and_saveexec_b64 s[42:43], s[0:1]
	s_cbranch_execz .LBB280_102
.LBB280_101:                            ;   in Loop: Header=BB280_10 Depth=1
	v_and_b32_e32 v45, 7, v4
	v_ffbh_u32_e32 v46, v45
	v_min_u32_e32 v49, 32, v46
	v_subrev_u32_e32 v46, 28, v49
	v_bfe_u32 v48, v4, 3, 4
	v_lshlrev_b64 v[46:47], v46, v[4:5]
	v_sub_u32_e32 v47, 29, v49
	v_cmp_eq_u32_e64 s[0:1], 0, v48
	v_and_b32_e32 v46, 7, v46
	s_nop 0
	v_cndmask_b32_e64 v47, v48, v47, s[0:1]
	v_cndmask_b32_e64 v45, v45, v46, s[0:1]
	v_lshlrev_b32_e32 v46, 8, v4
	v_lshl_add_u32 v47, v47, 10, v20
	v_and_or_b32 v46, v46, s54, v47
	v_lshl_or_b32 v45, v45, 7, v46
	v_cvt_f32_f16_e32 v45, v45
.LBB280_102:                            ;   in Loop: Header=BB280_10 Depth=1
	s_or_b64 exec, exec, s[42:43]
	v_lshrrev_b16_e32 v4, 8, v4
	v_cmp_lt_i16_e64 s[0:1], s52, v4
	s_mov_b64 s[42:43], 0
                                        ; implicit-def: $sgpr55
	s_and_saveexec_b64 s[44:45], s[0:1]
	s_xor_b64 s[44:45], exec, s[44:45]
	s_cbranch_execnz .LBB280_232
; %bb.103:                              ;   in Loop: Header=BB280_10 Depth=1
	s_or_saveexec_b64 s[44:45], s[44:45]
	v_mov_b32_e32 v46, s55
	s_xor_b64 exec, exec, s[44:45]
	s_cbranch_execnz .LBB280_235
.LBB280_104:                            ;   in Loop: Header=BB280_10 Depth=1
	s_or_b64 exec, exec, s[44:45]
	s_and_saveexec_b64 s[44:45], s[42:43]
	s_cbranch_execz .LBB280_106
.LBB280_105:                            ;   in Loop: Header=BB280_10 Depth=1
	v_and_b32_e32 v48, 7, v4
	v_ffbh_u32_e32 v46, v48
	v_min_u32_e32 v50, 32, v46
	v_subrev_u32_e32 v46, 28, v50
	v_bfe_u32 v49, v4, 3, 4
	v_lshlrev_b64 v[46:47], v46, v[4:5]
	v_sub_u32_e32 v47, 29, v50
	v_cmp_eq_u32_e64 s[0:1], 0, v49
	v_and_b32_e32 v46, 7, v46
	v_lshlrev_b32_e32 v4, 8, v4
	v_cndmask_b32_e64 v47, v49, v47, s[0:1]
	v_lshl_add_u32 v47, v47, 10, v20
	v_cndmask_b32_e64 v46, v48, v46, s[0:1]
	v_and_or_b32 v4, v4, s54, v47
	v_lshl_or_b32 v4, v46, 7, v4
	v_cvt_f32_f16_e32 v46, v4
.LBB280_106:                            ;   in Loop: Header=BB280_10 Depth=1
	s_or_b64 exec, exec, s[44:45]
	global_load_ushort v4, v[12:13], off offset:1536
	s_mov_b64 s[0:1], 0
                                        ; implicit-def: $sgpr46
	s_waitcnt vmcnt(0)
	v_cmp_gt_i16_sdwa s[42:43], v4, s52 src0_sel:BYTE_0 src1_sel:DWORD
	s_and_saveexec_b64 s[44:45], s[42:43]
	s_xor_b64 s[42:43], exec, s[44:45]
	s_cbranch_execnz .LBB280_236
; %bb.107:                              ;   in Loop: Header=BB280_10 Depth=1
	s_or_saveexec_b64 s[42:43], s[42:43]
	v_mov_b32_e32 v47, s46
	s_xor_b64 exec, exec, s[42:43]
	s_cbranch_execnz .LBB280_239
.LBB280_108:                            ;   in Loop: Header=BB280_10 Depth=1
	s_or_b64 exec, exec, s[42:43]
	v_and_b32_e32 v4, 0xffff, v4
	s_and_saveexec_b64 s[42:43], s[0:1]
	s_cbranch_execz .LBB280_110
.LBB280_109:                            ;   in Loop: Header=BB280_10 Depth=1
	v_and_b32_e32 v47, 7, v4
	v_ffbh_u32_e32 v48, v47
	v_min_u32_e32 v51, 32, v48
	v_subrev_u32_e32 v48, 28, v51
	v_bfe_u32 v50, v4, 3, 4
	v_lshlrev_b64 v[48:49], v48, v[4:5]
	v_sub_u32_e32 v49, 29, v51
	v_cmp_eq_u32_e64 s[0:1], 0, v50
	v_and_b32_e32 v48, 7, v48
	s_nop 0
	v_cndmask_b32_e64 v49, v50, v49, s[0:1]
	v_cndmask_b32_e64 v47, v47, v48, s[0:1]
	v_lshlrev_b32_e32 v48, 8, v4
	v_lshl_add_u32 v49, v49, 10, v20
	v_and_or_b32 v48, v48, s54, v49
	v_lshl_or_b32 v47, v47, 7, v48
	v_cvt_f32_f16_e32 v47, v47
.LBB280_110:                            ;   in Loop: Header=BB280_10 Depth=1
	s_or_b64 exec, exec, s[42:43]
	v_lshrrev_b16_e32 v4, 8, v4
	v_cmp_lt_i16_e64 s[0:1], s52, v4
	s_mov_b64 s[42:43], 0
                                        ; implicit-def: $sgpr55
	s_and_saveexec_b64 s[44:45], s[0:1]
	s_xor_b64 s[44:45], exec, s[44:45]
	s_cbranch_execnz .LBB280_240
; %bb.111:                              ;   in Loop: Header=BB280_10 Depth=1
	s_or_saveexec_b64 s[44:45], s[44:45]
	v_mov_b32_e32 v48, s55
	s_xor_b64 exec, exec, s[44:45]
	s_cbranch_execnz .LBB280_243
.LBB280_112:                            ;   in Loop: Header=BB280_10 Depth=1
	s_or_b64 exec, exec, s[44:45]
	s_and_saveexec_b64 s[44:45], s[42:43]
	s_cbranch_execz .LBB280_114
.LBB280_113:                            ;   in Loop: Header=BB280_10 Depth=1
	v_and_b32_e32 v50, 7, v4
	v_ffbh_u32_e32 v48, v50
	v_min_u32_e32 v52, 32, v48
	v_subrev_u32_e32 v48, 28, v52
	v_bfe_u32 v51, v4, 3, 4
	v_lshlrev_b64 v[48:49], v48, v[4:5]
	v_sub_u32_e32 v49, 29, v52
	v_cmp_eq_u32_e64 s[0:1], 0, v51
	v_and_b32_e32 v48, 7, v48
	v_lshlrev_b32_e32 v4, 8, v4
	v_cndmask_b32_e64 v49, v51, v49, s[0:1]
	v_lshl_add_u32 v49, v49, 10, v20
	v_cndmask_b32_e64 v48, v50, v48, s[0:1]
	v_and_or_b32 v4, v4, s54, v49
	v_lshl_or_b32 v4, v48, 7, v4
	v_cvt_f32_f16_e32 v48, v4
.LBB280_114:                            ;   in Loop: Header=BB280_10 Depth=1
	s_or_b64 exec, exec, s[44:45]
	global_load_ushort v4, v[12:13], off offset:1544
	s_mov_b64 s[0:1], 0
                                        ; implicit-def: $sgpr46
	s_waitcnt vmcnt(0)
	v_cmp_gt_i16_sdwa s[42:43], v4, s52 src0_sel:BYTE_0 src1_sel:DWORD
	s_and_saveexec_b64 s[44:45], s[42:43]
	s_xor_b64 s[42:43], exec, s[44:45]
	s_cbranch_execnz .LBB280_244
; %bb.115:                              ;   in Loop: Header=BB280_10 Depth=1
	s_or_saveexec_b64 s[42:43], s[42:43]
	v_mov_b32_e32 v49, s46
	s_xor_b64 exec, exec, s[42:43]
	s_cbranch_execnz .LBB280_247
.LBB280_116:                            ;   in Loop: Header=BB280_10 Depth=1
	s_or_b64 exec, exec, s[42:43]
	v_and_b32_e32 v4, 0xffff, v4
	s_and_saveexec_b64 s[42:43], s[0:1]
	s_cbranch_execz .LBB280_118
.LBB280_117:                            ;   in Loop: Header=BB280_10 Depth=1
	v_and_b32_e32 v49, 7, v4
	v_ffbh_u32_e32 v50, v49
	v_min_u32_e32 v53, 32, v50
	v_subrev_u32_e32 v50, 28, v53
	v_bfe_u32 v52, v4, 3, 4
	v_lshlrev_b64 v[50:51], v50, v[4:5]
	v_sub_u32_e32 v51, 29, v53
	v_cmp_eq_u32_e64 s[0:1], 0, v52
	v_and_b32_e32 v50, 7, v50
	s_nop 0
	v_cndmask_b32_e64 v51, v52, v51, s[0:1]
	v_cndmask_b32_e64 v49, v49, v50, s[0:1]
	v_lshlrev_b32_e32 v50, 8, v4
	v_lshl_add_u32 v51, v51, 10, v20
	v_and_or_b32 v50, v50, s54, v51
	v_lshl_or_b32 v49, v49, 7, v50
	v_cvt_f32_f16_e32 v49, v49
.LBB280_118:                            ;   in Loop: Header=BB280_10 Depth=1
	s_or_b64 exec, exec, s[42:43]
	v_lshrrev_b16_e32 v4, 8, v4
	v_cmp_lt_i16_e64 s[0:1], s52, v4
	s_mov_b64 s[42:43], 0
                                        ; implicit-def: $sgpr55
	s_and_saveexec_b64 s[44:45], s[0:1]
	s_xor_b64 s[44:45], exec, s[44:45]
	s_cbranch_execnz .LBB280_248
; %bb.119:                              ;   in Loop: Header=BB280_10 Depth=1
	s_or_saveexec_b64 s[44:45], s[44:45]
	v_mov_b32_e32 v50, s55
	s_xor_b64 exec, exec, s[44:45]
	s_cbranch_execnz .LBB280_251
.LBB280_120:                            ;   in Loop: Header=BB280_10 Depth=1
	s_or_b64 exec, exec, s[44:45]
	s_and_saveexec_b64 s[44:45], s[42:43]
	s_cbranch_execz .LBB280_122
.LBB280_121:                            ;   in Loop: Header=BB280_10 Depth=1
	v_and_b32_e32 v52, 7, v4
	v_ffbh_u32_e32 v50, v52
	v_min_u32_e32 v54, 32, v50
	v_subrev_u32_e32 v50, 28, v54
	v_bfe_u32 v53, v4, 3, 4
	v_lshlrev_b64 v[50:51], v50, v[4:5]
	v_sub_u32_e32 v51, 29, v54
	v_cmp_eq_u32_e64 s[0:1], 0, v53
	v_and_b32_e32 v50, 7, v50
	v_lshlrev_b32_e32 v4, 8, v4
	v_cndmask_b32_e64 v51, v53, v51, s[0:1]
	v_lshl_add_u32 v51, v51, 10, v20
	v_cndmask_b32_e64 v50, v52, v50, s[0:1]
	v_and_or_b32 v4, v4, s54, v51
	v_lshl_or_b32 v4, v50, 7, v4
	v_cvt_f32_f16_e32 v50, v4
.LBB280_122:                            ;   in Loop: Header=BB280_10 Depth=1
	s_or_b64 exec, exec, s[44:45]
	global_load_ushort v4, v[12:13], off offset:1792
	s_mov_b64 s[0:1], 0
                                        ; implicit-def: $sgpr46
	s_waitcnt vmcnt(0)
	v_cmp_gt_i16_sdwa s[42:43], v4, s52 src0_sel:BYTE_0 src1_sel:DWORD
	s_and_saveexec_b64 s[44:45], s[42:43]
	s_xor_b64 s[42:43], exec, s[44:45]
	s_cbranch_execnz .LBB280_252
; %bb.123:                              ;   in Loop: Header=BB280_10 Depth=1
	s_or_saveexec_b64 s[42:43], s[42:43]
	v_mov_b32_e32 v51, s46
	s_xor_b64 exec, exec, s[42:43]
	s_cbranch_execnz .LBB280_255
.LBB280_124:                            ;   in Loop: Header=BB280_10 Depth=1
	s_or_b64 exec, exec, s[42:43]
	v_and_b32_e32 v4, 0xffff, v4
	s_and_saveexec_b64 s[42:43], s[0:1]
	s_cbranch_execz .LBB280_126
.LBB280_125:                            ;   in Loop: Header=BB280_10 Depth=1
	v_and_b32_e32 v51, 7, v4
	v_ffbh_u32_e32 v52, v51
	v_min_u32_e32 v55, 32, v52
	v_subrev_u32_e32 v52, 28, v55
	v_bfe_u32 v54, v4, 3, 4
	v_lshlrev_b64 v[52:53], v52, v[4:5]
	v_sub_u32_e32 v53, 29, v55
	v_cmp_eq_u32_e64 s[0:1], 0, v54
	v_and_b32_e32 v52, 7, v52
	s_nop 0
	v_cndmask_b32_e64 v53, v54, v53, s[0:1]
	v_cndmask_b32_e64 v51, v51, v52, s[0:1]
	v_lshlrev_b32_e32 v52, 8, v4
	v_lshl_add_u32 v53, v53, 10, v20
	v_and_or_b32 v52, v52, s54, v53
	v_lshl_or_b32 v51, v51, 7, v52
	v_cvt_f32_f16_e32 v51, v51
.LBB280_126:                            ;   in Loop: Header=BB280_10 Depth=1
	s_or_b64 exec, exec, s[42:43]
	v_lshrrev_b16_e32 v4, 8, v4
	v_cmp_lt_i16_e64 s[0:1], s52, v4
	s_mov_b64 s[42:43], 0
                                        ; implicit-def: $sgpr55
	s_and_saveexec_b64 s[44:45], s[0:1]
	s_xor_b64 s[44:45], exec, s[44:45]
	s_cbranch_execnz .LBB280_256
; %bb.127:                              ;   in Loop: Header=BB280_10 Depth=1
	s_or_saveexec_b64 s[44:45], s[44:45]
	v_mov_b32_e32 v52, s55
	s_xor_b64 exec, exec, s[44:45]
	s_cbranch_execnz .LBB280_259
.LBB280_128:                            ;   in Loop: Header=BB280_10 Depth=1
	s_or_b64 exec, exec, s[44:45]
	s_and_saveexec_b64 s[44:45], s[42:43]
	s_cbranch_execz .LBB280_130
.LBB280_129:                            ;   in Loop: Header=BB280_10 Depth=1
	v_and_b32_e32 v54, 7, v4
	v_ffbh_u32_e32 v52, v54
	v_min_u32_e32 v56, 32, v52
	v_subrev_u32_e32 v52, 28, v56
	v_bfe_u32 v55, v4, 3, 4
	v_lshlrev_b64 v[52:53], v52, v[4:5]
	v_sub_u32_e32 v53, 29, v56
	v_cmp_eq_u32_e64 s[0:1], 0, v55
	v_and_b32_e32 v52, 7, v52
	v_lshlrev_b32_e32 v4, 8, v4
	v_cndmask_b32_e64 v53, v55, v53, s[0:1]
	v_lshl_add_u32 v53, v53, 10, v20
	v_cndmask_b32_e64 v52, v54, v52, s[0:1]
	v_and_or_b32 v4, v4, s54, v53
	v_lshl_or_b32 v4, v52, 7, v4
	v_cvt_f32_f16_e32 v52, v4
.LBB280_130:                            ;   in Loop: Header=BB280_10 Depth=1
	s_or_b64 exec, exec, s[44:45]
	global_load_ushort v4, v[12:13], off offset:1800
	s_mov_b64 s[0:1], 0
                                        ; implicit-def: $sgpr46
	s_waitcnt vmcnt(0)
	v_cmp_gt_i16_sdwa s[42:43], v4, s52 src0_sel:BYTE_0 src1_sel:DWORD
	s_and_saveexec_b64 s[44:45], s[42:43]
	s_xor_b64 s[42:43], exec, s[44:45]
	s_cbranch_execnz .LBB280_260
; %bb.131:                              ;   in Loop: Header=BB280_10 Depth=1
	s_or_saveexec_b64 s[42:43], s[42:43]
	v_mov_b32_e32 v12, s46
	s_xor_b64 exec, exec, s[42:43]
	s_cbranch_execnz .LBB280_263
.LBB280_132:                            ;   in Loop: Header=BB280_10 Depth=1
	s_or_b64 exec, exec, s[42:43]
	v_and_b32_e32 v4, 0xffff, v4
	s_and_saveexec_b64 s[42:43], s[0:1]
	s_cbranch_execz .LBB280_134
.LBB280_133:                            ;   in Loop: Header=BB280_10 Depth=1
	v_and_b32_e32 v53, 7, v4
	v_ffbh_u32_e32 v12, v53
	v_min_u32_e32 v55, 32, v12
	v_subrev_u32_e32 v12, 28, v55
	v_bfe_u32 v54, v4, 3, 4
	v_lshlrev_b64 v[12:13], v12, v[4:5]
	v_sub_u32_e32 v13, 29, v55
	v_cmp_eq_u32_e64 s[0:1], 0, v54
	v_and_b32_e32 v12, 7, v12
	s_nop 0
	v_cndmask_b32_e64 v13, v54, v13, s[0:1]
	v_cndmask_b32_e64 v12, v53, v12, s[0:1]
	v_lshlrev_b32_e32 v53, 8, v4
	v_lshl_add_u32 v13, v13, 10, v20
	v_and_or_b32 v13, v53, s54, v13
	v_lshl_or_b32 v12, v12, 7, v13
	v_cvt_f32_f16_e32 v12, v12
.LBB280_134:                            ;   in Loop: Header=BB280_10 Depth=1
	s_or_b64 exec, exec, s[42:43]
	v_lshrrev_b16_e32 v4, 8, v4
	v_cmp_lt_i16_e64 s[0:1], s52, v4
	s_mov_b64 s[42:43], 0
                                        ; implicit-def: $sgpr55
	s_and_saveexec_b64 s[44:45], s[0:1]
	s_xor_b64 s[44:45], exec, s[44:45]
	s_cbranch_execnz .LBB280_264
; %bb.135:                              ;   in Loop: Header=BB280_10 Depth=1
	s_or_saveexec_b64 s[44:45], s[44:45]
	v_mov_b32_e32 v13, s55
	s_xor_b64 exec, exec, s[44:45]
	s_cbranch_execnz .LBB280_267
.LBB280_136:                            ;   in Loop: Header=BB280_10 Depth=1
	s_or_b64 exec, exec, s[44:45]
	s_and_saveexec_b64 s[44:45], s[42:43]
	s_cbranch_execz .LBB280_138
.LBB280_137:                            ;   in Loop: Header=BB280_10 Depth=1
	v_and_b32_e32 v13, 7, v4
	v_ffbh_u32_e32 v54, v13
	v_min_u32_e32 v56, 32, v54
	v_subrev_u32_e32 v54, 28, v56
	v_bfe_u32 v53, v4, 3, 4
	v_lshlrev_b64 v[54:55], v54, v[4:5]
	v_sub_u32_e32 v55, 29, v56
	v_cmp_eq_u32_e64 s[0:1], 0, v53
	v_and_b32_e32 v54, 7, v54
	v_lshlrev_b32_e32 v4, 8, v4
	v_cndmask_b32_e64 v53, v53, v55, s[0:1]
	v_lshl_add_u32 v53, v53, 10, v20
	v_cndmask_b32_e64 v13, v13, v54, s[0:1]
	v_and_or_b32 v4, v4, s54, v53
	v_lshl_or_b32 v4, v13, 7, v4
	v_cvt_f32_f16_e32 v13, v4
.LBB280_138:                            ;   in Loop: Header=BB280_10 Depth=1
	s_or_b64 exec, exec, s[44:45]
	ds_read_b32 v4, v17
	v_fma_mixlo_f16 v23, v22, v23, 0
	v_fma_mixlo_f16 v24, v22, v24, 0
	v_and_b32_e32 v23, 0xffff, v23
	v_and_b32_e32 v24, 0xffff, v24
	s_waitcnt lgkmcnt(0)
	v_lshrrev_b32_e32 v53, 16, v4
	v_and_b32_e32 v4, 0xffff, v4
	;;#ASMSTART
	v_cvt_f32_f16 v4, v4;
	;;#ASMEND
	;;#ASMSTART
	v_cvt_f32_f16 v53, v53;
	;;#ASMEND
	;;#ASMSTART
	v_cvt_f32_f16 v23, v23;
	;;#ASMEND
	;;#ASMSTART
	v_cvt_f32_f16 v24, v24;
	;;#ASMEND
	ds_read_b32 v54, v17 offset:4
	v_fma_mixlo_f16 v25, v22, v25, 0
	v_fma_mixlo_f16 v26, v22, v26, 0
	v_and_b32_e32 v25, 0xffff, v25
	v_and_b32_e32 v26, 0xffff, v26
	s_waitcnt lgkmcnt(0)
	v_lshrrev_b32_e32 v55, 16, v54
	v_and_b32_e32 v54, 0xffff, v54
	;;#ASMSTART
	v_cvt_f32_f16 v54, v54;
	;;#ASMEND
	;;#ASMSTART
	v_cvt_f32_f16 v55, v55;
	;;#ASMEND
	;;#ASMSTART
	v_cvt_f32_f16 v25, v25;
	;;#ASMEND
	;;#ASMSTART
	v_cvt_f32_f16 v26, v26;
	;;#ASMEND
	ds_read_b32 v56, v17 offset:8
	;; [unrolled: 20-line block ×8, first 2 shown]
	v_fma_mixlo_f16 v51, v22, v51, 0
	v_fma_mixlo_f16 v52, v22, v52, 0
	;; [unrolled: 1-line block ×16, first 2 shown]
	v_mul_f32_e32 v22, v54, v25
	v_fmac_f32_e32 v22, v4, v23
	s_waitcnt lgkmcnt(0)
	v_lshrrev_b32_e32 v4, 16, v68
	v_and_b32_e32 v23, 0xffff, v68
	v_and_b32_e32 v25, 0xffff, v39
	;; [unrolled: 1-line block ×3, first 2 shown]
	;;#ASMSTART
	v_cvt_f32_f16 v23, v23;
	;;#ASMEND
	;;#ASMSTART
	v_cvt_f32_f16 v4, v4;
	;;#ASMEND
	;; [unrolled: 3-line block ×4, first 2 shown]
	ds_read_b32 v40, v17 offset:36
	v_mul_f32_e32 v26, v55, v26
	v_fmac_f32_e32 v26, v53, v24
	v_fmac_f32_e32 v22, v56, v27
	v_fmac_f32_e32 v26, v57, v28
	s_waitcnt lgkmcnt(0)
	v_lshrrev_b32_e32 v24, 16, v40
	v_and_b32_e32 v27, 0xffff, v40
	v_and_b32_e32 v28, 0xffff, v41
	v_and_b32_e32 v40, 0xffff, v42
	;;#ASMSTART
	v_cvt_f32_f16 v27, v27;
	;;#ASMEND
	;;#ASMSTART
	v_cvt_f32_f16 v24, v24;
	;;#ASMEND
	;;#ASMSTART
	v_cvt_f32_f16 v28, v28;
	;;#ASMEND
	;;#ASMSTART
	v_cvt_f32_f16 v40, v40;
	;;#ASMEND
	ds_read_b32 v41, v17 offset:40
	v_fmac_f32_e32 v22, v58, v29
	v_fmac_f32_e32 v26, v59, v30
	v_fmac_f32_e32 v22, v60, v31
	v_fmac_f32_e32 v26, v61, v32
	s_waitcnt lgkmcnt(0)
	v_lshrrev_b32_e32 v29, 16, v41
	v_and_b32_e32 v30, 0xffff, v41
	v_and_b32_e32 v31, 0xffff, v43
	v_and_b32_e32 v32, 0xffff, v44
	;;#ASMSTART
	v_cvt_f32_f16 v30, v30;
	;;#ASMEND
	;;#ASMSTART
	v_cvt_f32_f16 v29, v29;
	;;#ASMEND
	;;#ASMSTART
	v_cvt_f32_f16 v31, v31;
	;;#ASMEND
	;;#ASMSTART
	v_cvt_f32_f16 v32, v32;
	;;#ASMEND
	ds_read_b32 v41, v17 offset:44
	v_fmac_f32_e32 v22, v62, v33
	;; [unrolled: 22-line block ×4, first 2 shown]
	v_fmac_f32_e32 v22, v27, v28
	v_fmac_f32_e32 v26, v29, v32
	v_and_b32_e32 v28, 0xffff, v49
	s_waitcnt lgkmcnt(0)
	v_lshrrev_b32_e32 v24, 16, v38
	v_and_b32_e32 v27, 0xffff, v38
	v_and_b32_e32 v29, 0xffff, v50
	v_fmac_f32_e32 v22, v30, v31
	;;#ASMSTART
	v_cvt_f32_f16 v27, v27;
	;;#ASMEND
	;;#ASMSTART
	v_cvt_f32_f16 v24, v24;
	;;#ASMEND
	;; [unrolled: 3-line block ×4, first 2 shown]
	ds_read_b32 v30, v17 offset:56
	v_fmac_f32_e32 v22, v34, v35
	v_fmac_f32_e32 v26, v33, v36
	;; [unrolled: 1-line block ×4, first 2 shown]
	s_waitcnt lgkmcnt(0)
	v_lshrrev_b32_e32 v4, 16, v30
	v_and_b32_e32 v23, 0xffff, v30
	v_and_b32_e32 v25, 0xffff, v51
	;; [unrolled: 1-line block ×3, first 2 shown]
	;;#ASMSTART
	v_cvt_f32_f16 v23, v23;
	;;#ASMEND
	;;#ASMSTART
	v_cvt_f32_f16 v4, v4;
	;;#ASMEND
	;; [unrolled: 3-line block ×4, first 2 shown]
	ds_read_b32 v31, v17 offset:60
	v_fmac_f32_e32 v22, v27, v28
	v_fmac_f32_e32 v26, v24, v29
	;; [unrolled: 1-line block ×4, first 2 shown]
	s_waitcnt lgkmcnt(0)
	v_lshrrev_b32_e32 v4, 16, v31
	v_and_b32_e32 v23, 0xffff, v31
	;;#ASMSTART
	v_cvt_f32_f16 v23, v23;
	;;#ASMEND
	;;#ASMSTART
	v_cvt_f32_f16 v4, v4;
	;;#ASMEND
	v_and_b32_e32 v12, 0xffff, v12
	v_and_b32_e32 v13, 0xffff, v13
	;;#ASMSTART
	v_cvt_f32_f16 v12, v12;
	;;#ASMEND
	;;#ASMSTART
	v_cvt_f32_f16 v13, v13;
	;;#ASMEND
	s_nop 0
	v_fmac_f32_e32 v26, v4, v13
	v_and_b32_e32 v4, 64, v15
	v_add_u32_e32 v4, 64, v4
	v_xor_b32_e32 v13, 2, v15
	v_cmp_lt_i32_e64 s[0:1], v13, v4
	v_fmac_f32_e32 v22, v23, v12
	v_add_f32_e32 v12, v22, v26
	v_cndmask_b32_e64 v13, v15, v13, s[0:1]
	v_lshlrev_b32_e32 v13, 2, v13
	ds_bpermute_b32 v13, v13, v12
	s_waitcnt lgkmcnt(0)
	v_add_f32_e32 v12, v12, v13
	v_xor_b32_e32 v13, 1, v15
	v_cmp_lt_i32_e64 s[0:1], v13, v4
	s_nop 1
	v_cndmask_b32_e64 v13, v15, v13, s[0:1]
	v_lshlrev_b32_e32 v13, 2, v13
	ds_bpermute_b32 v13, v13, v12
	s_and_saveexec_b64 s[42:43], vcc
	s_cbranch_execz .LBB280_9
; %bb.139:                              ;   in Loop: Header=BB280_10 Depth=1
	v_add_u32_e32 v22, s51, v18
	v_cvt_f32_i32_e32 v22, v22
	s_waitcnt lgkmcnt(0)
	v_add_f32_e32 v12, v12, v13
	v_cmp_gt_i32_e64 s[0:1], s29, v18
	v_max_f32_e32 v13, v16, v16
	v_mul_f32_e32 v22, s38, v22
	v_cndmask_b32_e64 v22, 0, v22, s[8:9]
	v_fmac_f32_e32 v22, s39, v12
	v_cndmask_b32_e64 v12, 0, v22, s[0:1]
	ds_write_b32 v19, v12
	v_max_f32_e32 v12, v13, v22
	v_cndmask_b32_e64 v16, v16, v12, s[0:1]
	s_branch .LBB280_9
.LBB280_140:                            ;   in Loop: Header=BB280_10 Depth=1
	v_cmp_eq_u16_sdwa s[56:57], v4, s53 src0_sel:BYTE_0 src1_sel:DWORD
	s_mov_b64 s[0:1], -1
                                        ; implicit-def: $sgpr46
	s_and_saveexec_b64 s[44:45], s[56:57]
; %bb.141:                              ;   in Loop: Header=BB280_10 Depth=1
	s_mov_b32 s46, 0x7fc02000
	s_xor_b64 s[0:1], exec, -1
; %bb.142:                              ;   in Loop: Header=BB280_10 Depth=1
	s_or_b64 exec, exec, s[44:45]
	s_and_b64 s[0:1], s[0:1], exec
	s_or_saveexec_b64 s[42:43], s[42:43]
	v_mov_b32_e32 v23, s46
	s_xor_b64 exec, exec, s[42:43]
	s_cbranch_execz .LBB280_12
.LBB280_143:                            ;   in Loop: Header=BB280_10 Depth=1
	v_cmp_ne_u16_sdwa s[44:45], v4, v5 src0_sel:BYTE_0 src1_sel:DWORD
	s_andn2_b64 s[0:1], s[0:1], exec
	s_and_b64 s[44:45], s[44:45], exec
	v_mov_b32_e32 v23, 0
	s_or_b64 s[0:1], s[0:1], s[44:45]
	s_or_b64 exec, exec, s[42:43]
	v_and_b32_e32 v4, 0xffff, v4
	s_and_saveexec_b64 s[42:43], s[0:1]
	s_cbranch_execnz .LBB280_13
	s_branch .LBB280_14
.LBB280_144:                            ;   in Loop: Header=BB280_10 Depth=1
	v_cmp_eq_u16_e64 s[0:1], s53, v4
	s_mov_b64 s[42:43], -1
                                        ; implicit-def: $sgpr55
	s_and_saveexec_b64 s[46:47], s[0:1]
; %bb.145:                              ;   in Loop: Header=BB280_10 Depth=1
	s_mov_b32 s55, 0x7fc02000
	s_xor_b64 s[42:43], exec, -1
; %bb.146:                              ;   in Loop: Header=BB280_10 Depth=1
	s_or_b64 exec, exec, s[46:47]
	s_and_b64 s[42:43], s[42:43], exec
	s_or_saveexec_b64 s[44:45], s[44:45]
	v_mov_b32_e32 v24, s55
	s_xor_b64 exec, exec, s[44:45]
	s_cbranch_execz .LBB280_16
.LBB280_147:                            ;   in Loop: Header=BB280_10 Depth=1
	v_cmp_ne_u16_e64 s[0:1], 0, v4
	s_andn2_b64 s[42:43], s[42:43], exec
	s_and_b64 s[0:1], s[0:1], exec
	v_mov_b32_e32 v24, 0
	s_or_b64 s[42:43], s[42:43], s[0:1]
	s_or_b64 exec, exec, s[44:45]
	s_and_saveexec_b64 s[44:45], s[42:43]
	s_cbranch_execnz .LBB280_17
	s_branch .LBB280_18
.LBB280_148:                            ;   in Loop: Header=BB280_10 Depth=1
	v_cmp_eq_u16_sdwa s[56:57], v4, s53 src0_sel:BYTE_0 src1_sel:DWORD
	s_mov_b64 s[0:1], -1
                                        ; implicit-def: $sgpr46
	s_and_saveexec_b64 s[44:45], s[56:57]
; %bb.149:                              ;   in Loop: Header=BB280_10 Depth=1
	s_mov_b32 s46, 0x7fc02000
	s_xor_b64 s[0:1], exec, -1
; %bb.150:                              ;   in Loop: Header=BB280_10 Depth=1
	s_or_b64 exec, exec, s[44:45]
	s_and_b64 s[0:1], s[0:1], exec
	s_or_saveexec_b64 s[42:43], s[42:43]
	v_mov_b32_e32 v25, s46
	s_xor_b64 exec, exec, s[42:43]
	s_cbranch_execz .LBB280_20
.LBB280_151:                            ;   in Loop: Header=BB280_10 Depth=1
	v_cmp_ne_u16_sdwa s[44:45], v4, v5 src0_sel:BYTE_0 src1_sel:DWORD
	s_andn2_b64 s[0:1], s[0:1], exec
	s_and_b64 s[44:45], s[44:45], exec
	v_mov_b32_e32 v25, 0
	s_or_b64 s[0:1], s[0:1], s[44:45]
	s_or_b64 exec, exec, s[42:43]
	v_and_b32_e32 v4, 0xffff, v4
	s_and_saveexec_b64 s[42:43], s[0:1]
	s_cbranch_execnz .LBB280_21
	s_branch .LBB280_22
.LBB280_152:                            ;   in Loop: Header=BB280_10 Depth=1
	v_cmp_eq_u16_e64 s[0:1], s53, v4
	s_mov_b64 s[42:43], -1
                                        ; implicit-def: $sgpr55
	s_and_saveexec_b64 s[46:47], s[0:1]
; %bb.153:                              ;   in Loop: Header=BB280_10 Depth=1
	s_mov_b32 s55, 0x7fc02000
	s_xor_b64 s[42:43], exec, -1
; %bb.154:                              ;   in Loop: Header=BB280_10 Depth=1
	s_or_b64 exec, exec, s[46:47]
	s_and_b64 s[42:43], s[42:43], exec
	s_or_saveexec_b64 s[44:45], s[44:45]
	v_mov_b32_e32 v26, s55
	s_xor_b64 exec, exec, s[44:45]
	s_cbranch_execz .LBB280_24
.LBB280_155:                            ;   in Loop: Header=BB280_10 Depth=1
	v_cmp_ne_u16_e64 s[0:1], 0, v4
	s_andn2_b64 s[42:43], s[42:43], exec
	s_and_b64 s[0:1], s[0:1], exec
	v_mov_b32_e32 v26, 0
	s_or_b64 s[42:43], s[42:43], s[0:1]
	s_or_b64 exec, exec, s[44:45]
	s_and_saveexec_b64 s[44:45], s[42:43]
	s_cbranch_execnz .LBB280_25
	s_branch .LBB280_26
.LBB280_156:                            ;   in Loop: Header=BB280_10 Depth=1
	v_cmp_eq_u16_sdwa s[56:57], v4, s53 src0_sel:BYTE_0 src1_sel:DWORD
	s_mov_b64 s[0:1], -1
                                        ; implicit-def: $sgpr46
	s_and_saveexec_b64 s[44:45], s[56:57]
; %bb.157:                              ;   in Loop: Header=BB280_10 Depth=1
	s_mov_b32 s46, 0x7fc02000
	s_xor_b64 s[0:1], exec, -1
; %bb.158:                              ;   in Loop: Header=BB280_10 Depth=1
	s_or_b64 exec, exec, s[44:45]
	s_and_b64 s[0:1], s[0:1], exec
	s_or_saveexec_b64 s[42:43], s[42:43]
	v_mov_b32_e32 v27, s46
	s_xor_b64 exec, exec, s[42:43]
	s_cbranch_execz .LBB280_28
.LBB280_159:                            ;   in Loop: Header=BB280_10 Depth=1
	v_cmp_ne_u16_sdwa s[44:45], v4, v5 src0_sel:BYTE_0 src1_sel:DWORD
	s_andn2_b64 s[0:1], s[0:1], exec
	s_and_b64 s[44:45], s[44:45], exec
	v_mov_b32_e32 v27, 0
	s_or_b64 s[0:1], s[0:1], s[44:45]
	s_or_b64 exec, exec, s[42:43]
	v_and_b32_e32 v4, 0xffff, v4
	s_and_saveexec_b64 s[42:43], s[0:1]
	s_cbranch_execnz .LBB280_29
	s_branch .LBB280_30
.LBB280_160:                            ;   in Loop: Header=BB280_10 Depth=1
	v_cmp_eq_u16_e64 s[0:1], s53, v4
	s_mov_b64 s[42:43], -1
                                        ; implicit-def: $sgpr55
	s_and_saveexec_b64 s[46:47], s[0:1]
; %bb.161:                              ;   in Loop: Header=BB280_10 Depth=1
	s_mov_b32 s55, 0x7fc02000
	s_xor_b64 s[42:43], exec, -1
; %bb.162:                              ;   in Loop: Header=BB280_10 Depth=1
	s_or_b64 exec, exec, s[46:47]
	s_and_b64 s[42:43], s[42:43], exec
	s_or_saveexec_b64 s[44:45], s[44:45]
	v_mov_b32_e32 v28, s55
	s_xor_b64 exec, exec, s[44:45]
	s_cbranch_execz .LBB280_32
.LBB280_163:                            ;   in Loop: Header=BB280_10 Depth=1
	v_cmp_ne_u16_e64 s[0:1], 0, v4
	s_andn2_b64 s[42:43], s[42:43], exec
	s_and_b64 s[0:1], s[0:1], exec
	v_mov_b32_e32 v28, 0
	s_or_b64 s[42:43], s[42:43], s[0:1]
	s_or_b64 exec, exec, s[44:45]
	s_and_saveexec_b64 s[44:45], s[42:43]
	s_cbranch_execnz .LBB280_33
	s_branch .LBB280_34
.LBB280_164:                            ;   in Loop: Header=BB280_10 Depth=1
	v_cmp_eq_u16_sdwa s[56:57], v4, s53 src0_sel:BYTE_0 src1_sel:DWORD
	s_mov_b64 s[0:1], -1
                                        ; implicit-def: $sgpr46
	s_and_saveexec_b64 s[44:45], s[56:57]
; %bb.165:                              ;   in Loop: Header=BB280_10 Depth=1
	s_mov_b32 s46, 0x7fc02000
	s_xor_b64 s[0:1], exec, -1
; %bb.166:                              ;   in Loop: Header=BB280_10 Depth=1
	s_or_b64 exec, exec, s[44:45]
	s_and_b64 s[0:1], s[0:1], exec
	s_or_saveexec_b64 s[42:43], s[42:43]
	v_mov_b32_e32 v29, s46
	s_xor_b64 exec, exec, s[42:43]
	s_cbranch_execz .LBB280_36
.LBB280_167:                            ;   in Loop: Header=BB280_10 Depth=1
	v_cmp_ne_u16_sdwa s[44:45], v4, v5 src0_sel:BYTE_0 src1_sel:DWORD
	s_andn2_b64 s[0:1], s[0:1], exec
	s_and_b64 s[44:45], s[44:45], exec
	v_mov_b32_e32 v29, 0
	s_or_b64 s[0:1], s[0:1], s[44:45]
	s_or_b64 exec, exec, s[42:43]
	v_and_b32_e32 v4, 0xffff, v4
	s_and_saveexec_b64 s[42:43], s[0:1]
	s_cbranch_execnz .LBB280_37
	s_branch .LBB280_38
.LBB280_168:                            ;   in Loop: Header=BB280_10 Depth=1
	v_cmp_eq_u16_e64 s[0:1], s53, v4
	s_mov_b64 s[42:43], -1
                                        ; implicit-def: $sgpr55
	s_and_saveexec_b64 s[46:47], s[0:1]
; %bb.169:                              ;   in Loop: Header=BB280_10 Depth=1
	s_mov_b32 s55, 0x7fc02000
	s_xor_b64 s[42:43], exec, -1
; %bb.170:                              ;   in Loop: Header=BB280_10 Depth=1
	s_or_b64 exec, exec, s[46:47]
	s_and_b64 s[42:43], s[42:43], exec
	s_or_saveexec_b64 s[44:45], s[44:45]
	v_mov_b32_e32 v30, s55
	s_xor_b64 exec, exec, s[44:45]
	s_cbranch_execz .LBB280_40
.LBB280_171:                            ;   in Loop: Header=BB280_10 Depth=1
	v_cmp_ne_u16_e64 s[0:1], 0, v4
	s_andn2_b64 s[42:43], s[42:43], exec
	s_and_b64 s[0:1], s[0:1], exec
	v_mov_b32_e32 v30, 0
	s_or_b64 s[42:43], s[42:43], s[0:1]
	s_or_b64 exec, exec, s[44:45]
	s_and_saveexec_b64 s[44:45], s[42:43]
	s_cbranch_execnz .LBB280_41
	s_branch .LBB280_42
.LBB280_172:                            ;   in Loop: Header=BB280_10 Depth=1
	v_cmp_eq_u16_sdwa s[56:57], v4, s53 src0_sel:BYTE_0 src1_sel:DWORD
	s_mov_b64 s[0:1], -1
                                        ; implicit-def: $sgpr46
	s_and_saveexec_b64 s[44:45], s[56:57]
; %bb.173:                              ;   in Loop: Header=BB280_10 Depth=1
	s_mov_b32 s46, 0x7fc02000
	s_xor_b64 s[0:1], exec, -1
; %bb.174:                              ;   in Loop: Header=BB280_10 Depth=1
	s_or_b64 exec, exec, s[44:45]
	s_and_b64 s[0:1], s[0:1], exec
	s_or_saveexec_b64 s[42:43], s[42:43]
	v_mov_b32_e32 v31, s46
	s_xor_b64 exec, exec, s[42:43]
	s_cbranch_execz .LBB280_44
.LBB280_175:                            ;   in Loop: Header=BB280_10 Depth=1
	v_cmp_ne_u16_sdwa s[44:45], v4, v5 src0_sel:BYTE_0 src1_sel:DWORD
	s_andn2_b64 s[0:1], s[0:1], exec
	s_and_b64 s[44:45], s[44:45], exec
	v_mov_b32_e32 v31, 0
	s_or_b64 s[0:1], s[0:1], s[44:45]
	s_or_b64 exec, exec, s[42:43]
	v_and_b32_e32 v4, 0xffff, v4
	s_and_saveexec_b64 s[42:43], s[0:1]
	s_cbranch_execnz .LBB280_45
	s_branch .LBB280_46
.LBB280_176:                            ;   in Loop: Header=BB280_10 Depth=1
	v_cmp_eq_u16_e64 s[0:1], s53, v4
	s_mov_b64 s[42:43], -1
                                        ; implicit-def: $sgpr55
	s_and_saveexec_b64 s[46:47], s[0:1]
; %bb.177:                              ;   in Loop: Header=BB280_10 Depth=1
	s_mov_b32 s55, 0x7fc02000
	s_xor_b64 s[42:43], exec, -1
; %bb.178:                              ;   in Loop: Header=BB280_10 Depth=1
	s_or_b64 exec, exec, s[46:47]
	s_and_b64 s[42:43], s[42:43], exec
	s_or_saveexec_b64 s[44:45], s[44:45]
	v_mov_b32_e32 v32, s55
	s_xor_b64 exec, exec, s[44:45]
	s_cbranch_execz .LBB280_48
.LBB280_179:                            ;   in Loop: Header=BB280_10 Depth=1
	v_cmp_ne_u16_e64 s[0:1], 0, v4
	s_andn2_b64 s[42:43], s[42:43], exec
	s_and_b64 s[0:1], s[0:1], exec
	v_mov_b32_e32 v32, 0
	s_or_b64 s[42:43], s[42:43], s[0:1]
	s_or_b64 exec, exec, s[44:45]
	s_and_saveexec_b64 s[44:45], s[42:43]
	s_cbranch_execnz .LBB280_49
	s_branch .LBB280_50
.LBB280_180:                            ;   in Loop: Header=BB280_10 Depth=1
	v_cmp_eq_u16_sdwa s[56:57], v4, s53 src0_sel:BYTE_0 src1_sel:DWORD
	s_mov_b64 s[0:1], -1
                                        ; implicit-def: $sgpr46
	s_and_saveexec_b64 s[44:45], s[56:57]
; %bb.181:                              ;   in Loop: Header=BB280_10 Depth=1
	s_mov_b32 s46, 0x7fc02000
	s_xor_b64 s[0:1], exec, -1
; %bb.182:                              ;   in Loop: Header=BB280_10 Depth=1
	s_or_b64 exec, exec, s[44:45]
	s_and_b64 s[0:1], s[0:1], exec
	s_or_saveexec_b64 s[42:43], s[42:43]
	v_mov_b32_e32 v33, s46
	s_xor_b64 exec, exec, s[42:43]
	s_cbranch_execz .LBB280_52
.LBB280_183:                            ;   in Loop: Header=BB280_10 Depth=1
	v_cmp_ne_u16_sdwa s[44:45], v4, v5 src0_sel:BYTE_0 src1_sel:DWORD
	s_andn2_b64 s[0:1], s[0:1], exec
	s_and_b64 s[44:45], s[44:45], exec
	v_mov_b32_e32 v33, 0
	s_or_b64 s[0:1], s[0:1], s[44:45]
	s_or_b64 exec, exec, s[42:43]
	v_and_b32_e32 v4, 0xffff, v4
	s_and_saveexec_b64 s[42:43], s[0:1]
	s_cbranch_execnz .LBB280_53
	s_branch .LBB280_54
.LBB280_184:                            ;   in Loop: Header=BB280_10 Depth=1
	v_cmp_eq_u16_e64 s[0:1], s53, v4
	s_mov_b64 s[42:43], -1
                                        ; implicit-def: $sgpr55
	s_and_saveexec_b64 s[46:47], s[0:1]
; %bb.185:                              ;   in Loop: Header=BB280_10 Depth=1
	s_mov_b32 s55, 0x7fc02000
	s_xor_b64 s[42:43], exec, -1
; %bb.186:                              ;   in Loop: Header=BB280_10 Depth=1
	s_or_b64 exec, exec, s[46:47]
	s_and_b64 s[42:43], s[42:43], exec
	s_or_saveexec_b64 s[44:45], s[44:45]
	v_mov_b32_e32 v34, s55
	s_xor_b64 exec, exec, s[44:45]
	s_cbranch_execz .LBB280_56
.LBB280_187:                            ;   in Loop: Header=BB280_10 Depth=1
	v_cmp_ne_u16_e64 s[0:1], 0, v4
	s_andn2_b64 s[42:43], s[42:43], exec
	s_and_b64 s[0:1], s[0:1], exec
	v_mov_b32_e32 v34, 0
	s_or_b64 s[42:43], s[42:43], s[0:1]
	s_or_b64 exec, exec, s[44:45]
	s_and_saveexec_b64 s[44:45], s[42:43]
	s_cbranch_execnz .LBB280_57
	s_branch .LBB280_58
.LBB280_188:                            ;   in Loop: Header=BB280_10 Depth=1
	v_cmp_eq_u16_sdwa s[56:57], v4, s53 src0_sel:BYTE_0 src1_sel:DWORD
	s_mov_b64 s[0:1], -1
                                        ; implicit-def: $sgpr46
	s_and_saveexec_b64 s[44:45], s[56:57]
; %bb.189:                              ;   in Loop: Header=BB280_10 Depth=1
	s_mov_b32 s46, 0x7fc02000
	s_xor_b64 s[0:1], exec, -1
; %bb.190:                              ;   in Loop: Header=BB280_10 Depth=1
	s_or_b64 exec, exec, s[44:45]
	s_and_b64 s[0:1], s[0:1], exec
	s_or_saveexec_b64 s[42:43], s[42:43]
	v_mov_b32_e32 v35, s46
	s_xor_b64 exec, exec, s[42:43]
	s_cbranch_execz .LBB280_60
.LBB280_191:                            ;   in Loop: Header=BB280_10 Depth=1
	v_cmp_ne_u16_sdwa s[44:45], v4, v5 src0_sel:BYTE_0 src1_sel:DWORD
	s_andn2_b64 s[0:1], s[0:1], exec
	s_and_b64 s[44:45], s[44:45], exec
	v_mov_b32_e32 v35, 0
	s_or_b64 s[0:1], s[0:1], s[44:45]
	s_or_b64 exec, exec, s[42:43]
	v_and_b32_e32 v4, 0xffff, v4
	s_and_saveexec_b64 s[42:43], s[0:1]
	s_cbranch_execnz .LBB280_61
	s_branch .LBB280_62
.LBB280_192:                            ;   in Loop: Header=BB280_10 Depth=1
	v_cmp_eq_u16_e64 s[0:1], s53, v4
	s_mov_b64 s[42:43], -1
                                        ; implicit-def: $sgpr55
	s_and_saveexec_b64 s[46:47], s[0:1]
; %bb.193:                              ;   in Loop: Header=BB280_10 Depth=1
	s_mov_b32 s55, 0x7fc02000
	s_xor_b64 s[42:43], exec, -1
; %bb.194:                              ;   in Loop: Header=BB280_10 Depth=1
	s_or_b64 exec, exec, s[46:47]
	s_and_b64 s[42:43], s[42:43], exec
	s_or_saveexec_b64 s[44:45], s[44:45]
	v_mov_b32_e32 v36, s55
	s_xor_b64 exec, exec, s[44:45]
	s_cbranch_execz .LBB280_64
.LBB280_195:                            ;   in Loop: Header=BB280_10 Depth=1
	v_cmp_ne_u16_e64 s[0:1], 0, v4
	s_andn2_b64 s[42:43], s[42:43], exec
	s_and_b64 s[0:1], s[0:1], exec
	v_mov_b32_e32 v36, 0
	s_or_b64 s[42:43], s[42:43], s[0:1]
	s_or_b64 exec, exec, s[44:45]
	s_and_saveexec_b64 s[44:45], s[42:43]
	s_cbranch_execnz .LBB280_65
	s_branch .LBB280_66
.LBB280_196:                            ;   in Loop: Header=BB280_10 Depth=1
	v_cmp_eq_u16_sdwa s[56:57], v4, s53 src0_sel:BYTE_0 src1_sel:DWORD
	s_mov_b64 s[0:1], -1
                                        ; implicit-def: $sgpr46
	s_and_saveexec_b64 s[44:45], s[56:57]
; %bb.197:                              ;   in Loop: Header=BB280_10 Depth=1
	s_mov_b32 s46, 0x7fc02000
	s_xor_b64 s[0:1], exec, -1
; %bb.198:                              ;   in Loop: Header=BB280_10 Depth=1
	s_or_b64 exec, exec, s[44:45]
	s_and_b64 s[0:1], s[0:1], exec
	s_or_saveexec_b64 s[42:43], s[42:43]
	v_mov_b32_e32 v37, s46
	s_xor_b64 exec, exec, s[42:43]
	s_cbranch_execz .LBB280_68
.LBB280_199:                            ;   in Loop: Header=BB280_10 Depth=1
	v_cmp_ne_u16_sdwa s[44:45], v4, v5 src0_sel:BYTE_0 src1_sel:DWORD
	s_andn2_b64 s[0:1], s[0:1], exec
	s_and_b64 s[44:45], s[44:45], exec
	v_mov_b32_e32 v37, 0
	s_or_b64 s[0:1], s[0:1], s[44:45]
	s_or_b64 exec, exec, s[42:43]
	v_and_b32_e32 v4, 0xffff, v4
	s_and_saveexec_b64 s[42:43], s[0:1]
	s_cbranch_execnz .LBB280_69
	s_branch .LBB280_70
.LBB280_200:                            ;   in Loop: Header=BB280_10 Depth=1
	v_cmp_eq_u16_e64 s[0:1], s53, v4
	s_mov_b64 s[42:43], -1
                                        ; implicit-def: $sgpr55
	s_and_saveexec_b64 s[46:47], s[0:1]
; %bb.201:                              ;   in Loop: Header=BB280_10 Depth=1
	s_mov_b32 s55, 0x7fc02000
	s_xor_b64 s[42:43], exec, -1
; %bb.202:                              ;   in Loop: Header=BB280_10 Depth=1
	s_or_b64 exec, exec, s[46:47]
	s_and_b64 s[42:43], s[42:43], exec
	s_or_saveexec_b64 s[44:45], s[44:45]
	v_mov_b32_e32 v38, s55
	s_xor_b64 exec, exec, s[44:45]
	s_cbranch_execz .LBB280_72
.LBB280_203:                            ;   in Loop: Header=BB280_10 Depth=1
	v_cmp_ne_u16_e64 s[0:1], 0, v4
	s_andn2_b64 s[42:43], s[42:43], exec
	s_and_b64 s[0:1], s[0:1], exec
	v_mov_b32_e32 v38, 0
	s_or_b64 s[42:43], s[42:43], s[0:1]
	s_or_b64 exec, exec, s[44:45]
	s_and_saveexec_b64 s[44:45], s[42:43]
	s_cbranch_execnz .LBB280_73
	s_branch .LBB280_74
.LBB280_204:                            ;   in Loop: Header=BB280_10 Depth=1
	v_cmp_eq_u16_sdwa s[56:57], v4, s53 src0_sel:BYTE_0 src1_sel:DWORD
	s_mov_b64 s[0:1], -1
                                        ; implicit-def: $sgpr46
	s_and_saveexec_b64 s[44:45], s[56:57]
; %bb.205:                              ;   in Loop: Header=BB280_10 Depth=1
	s_mov_b32 s46, 0x7fc02000
	s_xor_b64 s[0:1], exec, -1
; %bb.206:                              ;   in Loop: Header=BB280_10 Depth=1
	s_or_b64 exec, exec, s[44:45]
	s_and_b64 s[0:1], s[0:1], exec
	s_or_saveexec_b64 s[42:43], s[42:43]
	v_mov_b32_e32 v39, s46
	s_xor_b64 exec, exec, s[42:43]
	s_cbranch_execz .LBB280_76
.LBB280_207:                            ;   in Loop: Header=BB280_10 Depth=1
	v_cmp_ne_u16_sdwa s[44:45], v4, v5 src0_sel:BYTE_0 src1_sel:DWORD
	s_andn2_b64 s[0:1], s[0:1], exec
	s_and_b64 s[44:45], s[44:45], exec
	v_mov_b32_e32 v39, 0
	s_or_b64 s[0:1], s[0:1], s[44:45]
	s_or_b64 exec, exec, s[42:43]
	v_and_b32_e32 v4, 0xffff, v4
	s_and_saveexec_b64 s[42:43], s[0:1]
	s_cbranch_execnz .LBB280_77
	s_branch .LBB280_78
.LBB280_208:                            ;   in Loop: Header=BB280_10 Depth=1
	v_cmp_eq_u16_e64 s[0:1], s53, v4
	s_mov_b64 s[42:43], -1
                                        ; implicit-def: $sgpr55
	s_and_saveexec_b64 s[46:47], s[0:1]
; %bb.209:                              ;   in Loop: Header=BB280_10 Depth=1
	s_mov_b32 s55, 0x7fc02000
	s_xor_b64 s[42:43], exec, -1
; %bb.210:                              ;   in Loop: Header=BB280_10 Depth=1
	s_or_b64 exec, exec, s[46:47]
	s_and_b64 s[42:43], s[42:43], exec
	s_or_saveexec_b64 s[44:45], s[44:45]
	v_mov_b32_e32 v40, s55
	s_xor_b64 exec, exec, s[44:45]
	s_cbranch_execz .LBB280_80
.LBB280_211:                            ;   in Loop: Header=BB280_10 Depth=1
	v_cmp_ne_u16_e64 s[0:1], 0, v4
	s_andn2_b64 s[42:43], s[42:43], exec
	s_and_b64 s[0:1], s[0:1], exec
	v_mov_b32_e32 v40, 0
	s_or_b64 s[42:43], s[42:43], s[0:1]
	s_or_b64 exec, exec, s[44:45]
	s_and_saveexec_b64 s[44:45], s[42:43]
	s_cbranch_execnz .LBB280_81
	s_branch .LBB280_82
.LBB280_212:                            ;   in Loop: Header=BB280_10 Depth=1
	v_cmp_eq_u16_sdwa s[56:57], v4, s53 src0_sel:BYTE_0 src1_sel:DWORD
	s_mov_b64 s[0:1], -1
                                        ; implicit-def: $sgpr46
	s_and_saveexec_b64 s[44:45], s[56:57]
; %bb.213:                              ;   in Loop: Header=BB280_10 Depth=1
	s_mov_b32 s46, 0x7fc02000
	s_xor_b64 s[0:1], exec, -1
; %bb.214:                              ;   in Loop: Header=BB280_10 Depth=1
	s_or_b64 exec, exec, s[44:45]
	s_and_b64 s[0:1], s[0:1], exec
	s_or_saveexec_b64 s[42:43], s[42:43]
	v_mov_b32_e32 v41, s46
	s_xor_b64 exec, exec, s[42:43]
	s_cbranch_execz .LBB280_84
.LBB280_215:                            ;   in Loop: Header=BB280_10 Depth=1
	v_cmp_ne_u16_sdwa s[44:45], v4, v5 src0_sel:BYTE_0 src1_sel:DWORD
	s_andn2_b64 s[0:1], s[0:1], exec
	s_and_b64 s[44:45], s[44:45], exec
	v_mov_b32_e32 v41, 0
	s_or_b64 s[0:1], s[0:1], s[44:45]
	s_or_b64 exec, exec, s[42:43]
	v_and_b32_e32 v4, 0xffff, v4
	s_and_saveexec_b64 s[42:43], s[0:1]
	s_cbranch_execnz .LBB280_85
	s_branch .LBB280_86
.LBB280_216:                            ;   in Loop: Header=BB280_10 Depth=1
	v_cmp_eq_u16_e64 s[0:1], s53, v4
	s_mov_b64 s[42:43], -1
                                        ; implicit-def: $sgpr55
	s_and_saveexec_b64 s[46:47], s[0:1]
; %bb.217:                              ;   in Loop: Header=BB280_10 Depth=1
	s_mov_b32 s55, 0x7fc02000
	s_xor_b64 s[42:43], exec, -1
; %bb.218:                              ;   in Loop: Header=BB280_10 Depth=1
	s_or_b64 exec, exec, s[46:47]
	s_and_b64 s[42:43], s[42:43], exec
	s_or_saveexec_b64 s[44:45], s[44:45]
	v_mov_b32_e32 v42, s55
	s_xor_b64 exec, exec, s[44:45]
	s_cbranch_execz .LBB280_88
.LBB280_219:                            ;   in Loop: Header=BB280_10 Depth=1
	v_cmp_ne_u16_e64 s[0:1], 0, v4
	s_andn2_b64 s[42:43], s[42:43], exec
	s_and_b64 s[0:1], s[0:1], exec
	v_mov_b32_e32 v42, 0
	s_or_b64 s[42:43], s[42:43], s[0:1]
	s_or_b64 exec, exec, s[44:45]
	s_and_saveexec_b64 s[44:45], s[42:43]
	s_cbranch_execnz .LBB280_89
	s_branch .LBB280_90
.LBB280_220:                            ;   in Loop: Header=BB280_10 Depth=1
	v_cmp_eq_u16_sdwa s[56:57], v4, s53 src0_sel:BYTE_0 src1_sel:DWORD
	s_mov_b64 s[0:1], -1
                                        ; implicit-def: $sgpr46
	s_and_saveexec_b64 s[44:45], s[56:57]
; %bb.221:                              ;   in Loop: Header=BB280_10 Depth=1
	s_mov_b32 s46, 0x7fc02000
	s_xor_b64 s[0:1], exec, -1
; %bb.222:                              ;   in Loop: Header=BB280_10 Depth=1
	s_or_b64 exec, exec, s[44:45]
	s_and_b64 s[0:1], s[0:1], exec
	s_or_saveexec_b64 s[42:43], s[42:43]
	v_mov_b32_e32 v43, s46
	s_xor_b64 exec, exec, s[42:43]
	s_cbranch_execz .LBB280_92
.LBB280_223:                            ;   in Loop: Header=BB280_10 Depth=1
	v_cmp_ne_u16_sdwa s[44:45], v4, v5 src0_sel:BYTE_0 src1_sel:DWORD
	s_andn2_b64 s[0:1], s[0:1], exec
	s_and_b64 s[44:45], s[44:45], exec
	v_mov_b32_e32 v43, 0
	s_or_b64 s[0:1], s[0:1], s[44:45]
	s_or_b64 exec, exec, s[42:43]
	v_and_b32_e32 v4, 0xffff, v4
	s_and_saveexec_b64 s[42:43], s[0:1]
	s_cbranch_execnz .LBB280_93
	s_branch .LBB280_94
.LBB280_224:                            ;   in Loop: Header=BB280_10 Depth=1
	v_cmp_eq_u16_e64 s[0:1], s53, v4
	s_mov_b64 s[42:43], -1
                                        ; implicit-def: $sgpr55
	s_and_saveexec_b64 s[46:47], s[0:1]
; %bb.225:                              ;   in Loop: Header=BB280_10 Depth=1
	s_mov_b32 s55, 0x7fc02000
	s_xor_b64 s[42:43], exec, -1
; %bb.226:                              ;   in Loop: Header=BB280_10 Depth=1
	s_or_b64 exec, exec, s[46:47]
	s_and_b64 s[42:43], s[42:43], exec
	s_or_saveexec_b64 s[44:45], s[44:45]
	v_mov_b32_e32 v44, s55
	s_xor_b64 exec, exec, s[44:45]
	s_cbranch_execz .LBB280_96
.LBB280_227:                            ;   in Loop: Header=BB280_10 Depth=1
	v_cmp_ne_u16_e64 s[0:1], 0, v4
	s_andn2_b64 s[42:43], s[42:43], exec
	s_and_b64 s[0:1], s[0:1], exec
	v_mov_b32_e32 v44, 0
	s_or_b64 s[42:43], s[42:43], s[0:1]
	s_or_b64 exec, exec, s[44:45]
	s_and_saveexec_b64 s[44:45], s[42:43]
	s_cbranch_execnz .LBB280_97
	s_branch .LBB280_98
.LBB280_228:                            ;   in Loop: Header=BB280_10 Depth=1
	v_cmp_eq_u16_sdwa s[56:57], v4, s53 src0_sel:BYTE_0 src1_sel:DWORD
	s_mov_b64 s[0:1], -1
                                        ; implicit-def: $sgpr46
	s_and_saveexec_b64 s[44:45], s[56:57]
; %bb.229:                              ;   in Loop: Header=BB280_10 Depth=1
	s_mov_b32 s46, 0x7fc02000
	s_xor_b64 s[0:1], exec, -1
; %bb.230:                              ;   in Loop: Header=BB280_10 Depth=1
	s_or_b64 exec, exec, s[44:45]
	s_and_b64 s[0:1], s[0:1], exec
	s_or_saveexec_b64 s[42:43], s[42:43]
	v_mov_b32_e32 v45, s46
	s_xor_b64 exec, exec, s[42:43]
	s_cbranch_execz .LBB280_100
.LBB280_231:                            ;   in Loop: Header=BB280_10 Depth=1
	v_cmp_ne_u16_sdwa s[44:45], v4, v5 src0_sel:BYTE_0 src1_sel:DWORD
	s_andn2_b64 s[0:1], s[0:1], exec
	s_and_b64 s[44:45], s[44:45], exec
	v_mov_b32_e32 v45, 0
	s_or_b64 s[0:1], s[0:1], s[44:45]
	s_or_b64 exec, exec, s[42:43]
	v_and_b32_e32 v4, 0xffff, v4
	s_and_saveexec_b64 s[42:43], s[0:1]
	s_cbranch_execnz .LBB280_101
	s_branch .LBB280_102
.LBB280_232:                            ;   in Loop: Header=BB280_10 Depth=1
	v_cmp_eq_u16_e64 s[0:1], s53, v4
	s_mov_b64 s[42:43], -1
                                        ; implicit-def: $sgpr55
	s_and_saveexec_b64 s[46:47], s[0:1]
; %bb.233:                              ;   in Loop: Header=BB280_10 Depth=1
	s_mov_b32 s55, 0x7fc02000
	s_xor_b64 s[42:43], exec, -1
; %bb.234:                              ;   in Loop: Header=BB280_10 Depth=1
	s_or_b64 exec, exec, s[46:47]
	s_and_b64 s[42:43], s[42:43], exec
	s_or_saveexec_b64 s[44:45], s[44:45]
	v_mov_b32_e32 v46, s55
	s_xor_b64 exec, exec, s[44:45]
	s_cbranch_execz .LBB280_104
.LBB280_235:                            ;   in Loop: Header=BB280_10 Depth=1
	v_cmp_ne_u16_e64 s[0:1], 0, v4
	s_andn2_b64 s[42:43], s[42:43], exec
	s_and_b64 s[0:1], s[0:1], exec
	v_mov_b32_e32 v46, 0
	s_or_b64 s[42:43], s[42:43], s[0:1]
	s_or_b64 exec, exec, s[44:45]
	s_and_saveexec_b64 s[44:45], s[42:43]
	s_cbranch_execnz .LBB280_105
	s_branch .LBB280_106
.LBB280_236:                            ;   in Loop: Header=BB280_10 Depth=1
	v_cmp_eq_u16_sdwa s[56:57], v4, s53 src0_sel:BYTE_0 src1_sel:DWORD
	s_mov_b64 s[0:1], -1
                                        ; implicit-def: $sgpr46
	s_and_saveexec_b64 s[44:45], s[56:57]
; %bb.237:                              ;   in Loop: Header=BB280_10 Depth=1
	s_mov_b32 s46, 0x7fc02000
	s_xor_b64 s[0:1], exec, -1
; %bb.238:                              ;   in Loop: Header=BB280_10 Depth=1
	s_or_b64 exec, exec, s[44:45]
	s_and_b64 s[0:1], s[0:1], exec
	s_or_saveexec_b64 s[42:43], s[42:43]
	v_mov_b32_e32 v47, s46
	s_xor_b64 exec, exec, s[42:43]
	s_cbranch_execz .LBB280_108
.LBB280_239:                            ;   in Loop: Header=BB280_10 Depth=1
	v_cmp_ne_u16_sdwa s[44:45], v4, v5 src0_sel:BYTE_0 src1_sel:DWORD
	s_andn2_b64 s[0:1], s[0:1], exec
	s_and_b64 s[44:45], s[44:45], exec
	v_mov_b32_e32 v47, 0
	s_or_b64 s[0:1], s[0:1], s[44:45]
	s_or_b64 exec, exec, s[42:43]
	v_and_b32_e32 v4, 0xffff, v4
	s_and_saveexec_b64 s[42:43], s[0:1]
	s_cbranch_execnz .LBB280_109
	s_branch .LBB280_110
.LBB280_240:                            ;   in Loop: Header=BB280_10 Depth=1
	v_cmp_eq_u16_e64 s[0:1], s53, v4
	s_mov_b64 s[42:43], -1
                                        ; implicit-def: $sgpr55
	s_and_saveexec_b64 s[46:47], s[0:1]
; %bb.241:                              ;   in Loop: Header=BB280_10 Depth=1
	s_mov_b32 s55, 0x7fc02000
	s_xor_b64 s[42:43], exec, -1
; %bb.242:                              ;   in Loop: Header=BB280_10 Depth=1
	s_or_b64 exec, exec, s[46:47]
	s_and_b64 s[42:43], s[42:43], exec
	s_or_saveexec_b64 s[44:45], s[44:45]
	v_mov_b32_e32 v48, s55
	s_xor_b64 exec, exec, s[44:45]
	s_cbranch_execz .LBB280_112
.LBB280_243:                            ;   in Loop: Header=BB280_10 Depth=1
	v_cmp_ne_u16_e64 s[0:1], 0, v4
	s_andn2_b64 s[42:43], s[42:43], exec
	s_and_b64 s[0:1], s[0:1], exec
	v_mov_b32_e32 v48, 0
	s_or_b64 s[42:43], s[42:43], s[0:1]
	s_or_b64 exec, exec, s[44:45]
	s_and_saveexec_b64 s[44:45], s[42:43]
	s_cbranch_execnz .LBB280_113
	s_branch .LBB280_114
.LBB280_244:                            ;   in Loop: Header=BB280_10 Depth=1
	v_cmp_eq_u16_sdwa s[56:57], v4, s53 src0_sel:BYTE_0 src1_sel:DWORD
	s_mov_b64 s[0:1], -1
                                        ; implicit-def: $sgpr46
	s_and_saveexec_b64 s[44:45], s[56:57]
; %bb.245:                              ;   in Loop: Header=BB280_10 Depth=1
	s_mov_b32 s46, 0x7fc02000
	s_xor_b64 s[0:1], exec, -1
; %bb.246:                              ;   in Loop: Header=BB280_10 Depth=1
	s_or_b64 exec, exec, s[44:45]
	s_and_b64 s[0:1], s[0:1], exec
	s_or_saveexec_b64 s[42:43], s[42:43]
	v_mov_b32_e32 v49, s46
	s_xor_b64 exec, exec, s[42:43]
	s_cbranch_execz .LBB280_116
.LBB280_247:                            ;   in Loop: Header=BB280_10 Depth=1
	v_cmp_ne_u16_sdwa s[44:45], v4, v5 src0_sel:BYTE_0 src1_sel:DWORD
	s_andn2_b64 s[0:1], s[0:1], exec
	s_and_b64 s[44:45], s[44:45], exec
	v_mov_b32_e32 v49, 0
	s_or_b64 s[0:1], s[0:1], s[44:45]
	s_or_b64 exec, exec, s[42:43]
	v_and_b32_e32 v4, 0xffff, v4
	s_and_saveexec_b64 s[42:43], s[0:1]
	s_cbranch_execnz .LBB280_117
	s_branch .LBB280_118
.LBB280_248:                            ;   in Loop: Header=BB280_10 Depth=1
	v_cmp_eq_u16_e64 s[0:1], s53, v4
	s_mov_b64 s[42:43], -1
                                        ; implicit-def: $sgpr55
	s_and_saveexec_b64 s[46:47], s[0:1]
; %bb.249:                              ;   in Loop: Header=BB280_10 Depth=1
	s_mov_b32 s55, 0x7fc02000
	s_xor_b64 s[42:43], exec, -1
; %bb.250:                              ;   in Loop: Header=BB280_10 Depth=1
	s_or_b64 exec, exec, s[46:47]
	s_and_b64 s[42:43], s[42:43], exec
	s_or_saveexec_b64 s[44:45], s[44:45]
	v_mov_b32_e32 v50, s55
	s_xor_b64 exec, exec, s[44:45]
	s_cbranch_execz .LBB280_120
.LBB280_251:                            ;   in Loop: Header=BB280_10 Depth=1
	v_cmp_ne_u16_e64 s[0:1], 0, v4
	s_andn2_b64 s[42:43], s[42:43], exec
	s_and_b64 s[0:1], s[0:1], exec
	v_mov_b32_e32 v50, 0
	s_or_b64 s[42:43], s[42:43], s[0:1]
	s_or_b64 exec, exec, s[44:45]
	s_and_saveexec_b64 s[44:45], s[42:43]
	s_cbranch_execnz .LBB280_121
	s_branch .LBB280_122
.LBB280_252:                            ;   in Loop: Header=BB280_10 Depth=1
	v_cmp_eq_u16_sdwa s[56:57], v4, s53 src0_sel:BYTE_0 src1_sel:DWORD
	s_mov_b64 s[0:1], -1
                                        ; implicit-def: $sgpr46
	s_and_saveexec_b64 s[44:45], s[56:57]
; %bb.253:                              ;   in Loop: Header=BB280_10 Depth=1
	s_mov_b32 s46, 0x7fc02000
	s_xor_b64 s[0:1], exec, -1
; %bb.254:                              ;   in Loop: Header=BB280_10 Depth=1
	s_or_b64 exec, exec, s[44:45]
	s_and_b64 s[0:1], s[0:1], exec
	s_or_saveexec_b64 s[42:43], s[42:43]
	v_mov_b32_e32 v51, s46
	s_xor_b64 exec, exec, s[42:43]
	s_cbranch_execz .LBB280_124
.LBB280_255:                            ;   in Loop: Header=BB280_10 Depth=1
	v_cmp_ne_u16_sdwa s[44:45], v4, v5 src0_sel:BYTE_0 src1_sel:DWORD
	s_andn2_b64 s[0:1], s[0:1], exec
	s_and_b64 s[44:45], s[44:45], exec
	v_mov_b32_e32 v51, 0
	s_or_b64 s[0:1], s[0:1], s[44:45]
	s_or_b64 exec, exec, s[42:43]
	v_and_b32_e32 v4, 0xffff, v4
	s_and_saveexec_b64 s[42:43], s[0:1]
	s_cbranch_execnz .LBB280_125
	s_branch .LBB280_126
.LBB280_256:                            ;   in Loop: Header=BB280_10 Depth=1
	v_cmp_eq_u16_e64 s[0:1], s53, v4
	s_mov_b64 s[42:43], -1
                                        ; implicit-def: $sgpr55
	s_and_saveexec_b64 s[46:47], s[0:1]
; %bb.257:                              ;   in Loop: Header=BB280_10 Depth=1
	s_mov_b32 s55, 0x7fc02000
	s_xor_b64 s[42:43], exec, -1
; %bb.258:                              ;   in Loop: Header=BB280_10 Depth=1
	s_or_b64 exec, exec, s[46:47]
	s_and_b64 s[42:43], s[42:43], exec
	s_or_saveexec_b64 s[44:45], s[44:45]
	v_mov_b32_e32 v52, s55
	s_xor_b64 exec, exec, s[44:45]
	s_cbranch_execz .LBB280_128
.LBB280_259:                            ;   in Loop: Header=BB280_10 Depth=1
	v_cmp_ne_u16_e64 s[0:1], 0, v4
	s_andn2_b64 s[42:43], s[42:43], exec
	s_and_b64 s[0:1], s[0:1], exec
	v_mov_b32_e32 v52, 0
	s_or_b64 s[42:43], s[42:43], s[0:1]
	s_or_b64 exec, exec, s[44:45]
	s_and_saveexec_b64 s[44:45], s[42:43]
	s_cbranch_execnz .LBB280_129
	s_branch .LBB280_130
.LBB280_260:                            ;   in Loop: Header=BB280_10 Depth=1
	v_cmp_eq_u16_sdwa s[56:57], v4, s53 src0_sel:BYTE_0 src1_sel:DWORD
	s_mov_b64 s[0:1], -1
                                        ; implicit-def: $sgpr46
	s_and_saveexec_b64 s[44:45], s[56:57]
; %bb.261:                              ;   in Loop: Header=BB280_10 Depth=1
	s_mov_b32 s46, 0x7fc02000
	s_xor_b64 s[0:1], exec, -1
; %bb.262:                              ;   in Loop: Header=BB280_10 Depth=1
	s_or_b64 exec, exec, s[44:45]
	s_and_b64 s[0:1], s[0:1], exec
	s_or_saveexec_b64 s[42:43], s[42:43]
	v_mov_b32_e32 v12, s46
	s_xor_b64 exec, exec, s[42:43]
	s_cbranch_execz .LBB280_132
.LBB280_263:                            ;   in Loop: Header=BB280_10 Depth=1
	v_cmp_ne_u16_sdwa s[44:45], v4, v5 src0_sel:BYTE_0 src1_sel:DWORD
	s_andn2_b64 s[0:1], s[0:1], exec
	s_and_b64 s[44:45], s[44:45], exec
	v_mov_b32_e32 v12, 0
	s_or_b64 s[0:1], s[0:1], s[44:45]
	s_or_b64 exec, exec, s[42:43]
	v_and_b32_e32 v4, 0xffff, v4
	s_and_saveexec_b64 s[42:43], s[0:1]
	s_cbranch_execnz .LBB280_133
	s_branch .LBB280_134
.LBB280_264:                            ;   in Loop: Header=BB280_10 Depth=1
	v_cmp_eq_u16_e64 s[0:1], s53, v4
	s_mov_b64 s[42:43], -1
                                        ; implicit-def: $sgpr55
	s_and_saveexec_b64 s[46:47], s[0:1]
; %bb.265:                              ;   in Loop: Header=BB280_10 Depth=1
	s_mov_b32 s55, 0x7fc02000
	s_xor_b64 s[42:43], exec, -1
; %bb.266:                              ;   in Loop: Header=BB280_10 Depth=1
	s_or_b64 exec, exec, s[46:47]
	s_and_b64 s[42:43], s[42:43], exec
	s_or_saveexec_b64 s[44:45], s[44:45]
	v_mov_b32_e32 v13, s55
	s_xor_b64 exec, exec, s[44:45]
	s_cbranch_execz .LBB280_136
.LBB280_267:                            ;   in Loop: Header=BB280_10 Depth=1
	v_cmp_ne_u16_e64 s[0:1], 0, v4
	s_andn2_b64 s[42:43], s[42:43], exec
	s_and_b64 s[0:1], s[0:1], exec
	v_mov_b32_e32 v13, 0
	s_or_b64 s[42:43], s[42:43], s[0:1]
	s_or_b64 exec, exec, s[44:45]
	s_and_saveexec_b64 s[44:45], s[42:43]
	s_cbranch_execnz .LBB280_137
	s_branch .LBB280_138
.LBB280_268:
	s_or_b64 exec, exec, s[18:19]
.LBB280_269:
	s_or_b64 exec, exec, s[40:41]
	v_xor_b32_e32 v5, 32, v15
	v_cmp_lt_i32_e32 vcc, v5, v4
	v_xor_b32_e32 v8, 16, v15
	v_max_f32_e32 v7, v16, v16
	v_cndmask_b32_e32 v5, v15, v5, vcc
	v_lshlrev_b32_e32 v5, 2, v5
	ds_bpermute_b32 v6, v5, v16
	v_cmp_lt_i32_e32 vcc, v8, v4
	v_xor_b32_e32 v9, 8, v15
	v_and_b32_e32 v17, 63, v0
	s_waitcnt lgkmcnt(0)
	v_max_f32_e32 v6, v6, v6
	v_max_f32_e32 v6, v7, v6
	v_cndmask_b32_e32 v7, v15, v8, vcc
	v_lshlrev_b32_e32 v7, 2, v7
	ds_bpermute_b32 v8, v7, v6
	v_cmp_lt_i32_e32 vcc, v9, v4
	s_waitcnt lgkmcnt(0)
	v_max_f32_e32 v8, v8, v8
	v_max_f32_e32 v6, v6, v8
	v_cndmask_b32_e32 v8, v15, v9, vcc
	v_lshlrev_b32_e32 v10, 2, v8
	ds_bpermute_b32 v8, v10, v6
	v_xor_b32_e32 v9, 4, v15
	v_cmp_lt_i32_e32 vcc, v9, v4
	s_waitcnt lgkmcnt(0)
	v_max_f32_e32 v8, v8, v8
	v_max_f32_e32 v6, v6, v8
	v_cndmask_b32_e32 v8, v15, v9, vcc
	v_lshlrev_b32_e32 v11, 2, v8
	ds_bpermute_b32 v9, v11, v6
	v_cmp_eq_u32_e32 vcc, 0, v17
	v_lshlrev_b32_e32 v8, 2, v1
	s_and_saveexec_b64 s[0:1], vcc
	s_cbranch_execz .LBB280_271
; %bb.270:
	s_waitcnt lgkmcnt(0)
	v_max_f32_e32 v9, v9, v9
	v_max_f32_e32 v6, v6, v6
	;; [unrolled: 1-line block ×3, first 2 shown]
	ds_write_b32 v8, v6 offset:256
.LBB280_271:
	s_or_b64 exec, exec, s[0:1]
	v_cmp_gt_u32_e64 s[0:1], 2, v17
	v_mov_b32_e32 v6, 0xff7fffff
	s_waitcnt lgkmcnt(0)
	v_lshlrev_b32_e32 v9, 2, v17
	s_barrier
	s_and_saveexec_b64 s[8:9], s[0:1]
	s_cbranch_execz .LBB280_273
; %bb.272:
	ds_read_b32 v6, v9 offset:256
.LBB280_273:
	s_or_b64 exec, exec, s[8:9]
	v_xor_b32_e32 v12, 1, v15
	v_cmp_lt_i32_e64 s[8:9], v12, v4
	s_sub_i32 s3, s33, s3
	s_lshl_b32 s3, s3, 4
	v_cndmask_b32_e64 v12, v15, v12, s[8:9]
	v_lshlrev_b32_e32 v24, 2, v12
	s_waitcnt lgkmcnt(0)
	ds_bpermute_b32 v12, v24, v6
	v_max_f32_e32 v6, v6, v6
	s_add_i32 s3, s3, s48
	s_min_i32 s40, s3, s29
	s_sub_i32 s3, s40, s48
	s_waitcnt lgkmcnt(0)
	v_max_f32_e32 v12, v12, v12
	v_max_f32_e32 v6, v6, v12
	v_lshlrev_b32_e32 v12, 2, v15
	v_and_b32_e32 v12, 0xffffff00, v12
	ds_bpermute_b32 v6, v12, v6
	v_cmp_gt_i32_e64 s[8:9], s3, v0
	v_mov_b32_e32 v13, 0
	s_and_saveexec_b64 s[18:19], s[8:9]
	s_cbranch_execz .LBB280_277
; %bb.274:
	v_mov_b32_e32 v13, 0x110
	v_lshl_add_u32 v16, v0, 2, v13
	s_mov_b64 s[38:39], 0
	v_mov_b32_e32 v13, 0
	v_mov_b32_e32 v18, v0
.LBB280_275:                            ; =>This Inner Loop Header: Depth=1
	ds_read_b32 v19, v16
	v_add_u32_e32 v18, 0x80, v18
	v_cmp_le_i32_e64 s[12:13], s3, v18
	s_or_b64 s[38:39], s[12:13], s[38:39]
	s_waitcnt lgkmcnt(0)
	v_sub_f32_e32 v19, v19, v6
	v_mul_f32_e32 v19, 0x3fb8aa3b, v19
	v_exp_f32_e32 v19, v19
	ds_write_b32 v16, v19
	v_add_f32_e32 v13, v13, v19
	v_add_u32_e32 v16, 0x200, v16
	s_andn2_b64 exec, exec, s[38:39]
	s_cbranch_execnz .LBB280_275
; %bb.276:
	s_or_b64 exec, exec, s[38:39]
.LBB280_277:
	s_or_b64 exec, exec, s[18:19]
	ds_bpermute_b32 v5, v5, v13
	s_waitcnt lgkmcnt(0)
	v_add_f32_e32 v5, v13, v5
	ds_bpermute_b32 v7, v7, v5
	s_waitcnt lgkmcnt(0)
	v_add_f32_e32 v5, v5, v7
	ds_bpermute_b32 v7, v10, v5
	v_xor_b32_e32 v10, 2, v15
	v_cmp_lt_i32_e64 s[12:13], v10, v4
	s_waitcnt lgkmcnt(0)
	v_add_f32_e32 v5, v5, v7
	ds_bpermute_b32 v7, v11, v5
	v_cndmask_b32_e64 v4, v15, v10, s[12:13]
	v_lshlrev_b32_e32 v4, 2, v4
	s_waitcnt lgkmcnt(0)
	v_add_f32_e32 v5, v5, v7
	ds_bpermute_b32 v4, v4, v5
	s_waitcnt lgkmcnt(0)
	v_add_f32_e32 v4, v5, v4
	ds_bpermute_b32 v5, v24, v4
	s_waitcnt lgkmcnt(0)
	v_add_f32_e32 v4, v4, v5
	s_and_saveexec_b64 s[12:13], vcc
	s_cbranch_execz .LBB280_279
; %bb.278:
	ds_write_b32 v8, v4 offset:264
.LBB280_279:
	s_or_b64 exec, exec, s[12:13]
	s_waitcnt lgkmcnt(0)
	s_barrier
	s_and_saveexec_b64 s[12:13], s[0:1]
	s_cbranch_execz .LBB280_281
; %bb.280:
	ds_read_b32 v4, v9 offset:264
.LBB280_281:
	s_or_b64 exec, exec, s[12:13]
	s_waitcnt lgkmcnt(0)
	ds_bpermute_b32 v5, v24, v4
	s_waitcnt lgkmcnt(0)
	v_add_f32_e32 v4, v4, v5
	ds_bpermute_b32 v7, v12, v4
	s_and_saveexec_b64 s[0:1], s[8:9]
	s_cbranch_execz .LBB280_294
; %bb.282:
	s_waitcnt lgkmcnt(0)
	v_add_f32_e32 v4, 0x358637bd, v7
	v_div_scale_f32 v5, s[8:9], v4, v4, 1.0
	v_rcp_f32_e32 v8, v5
	v_div_scale_f32 v9, vcc, 1.0, v4, 1.0
	s_movk_i32 s8, 0x7f
	v_fma_f32 v10, -v5, v8, 1.0
	v_fmac_f32_e32 v8, v10, v8
	v_mul_f32_e32 v10, v9, v8
	v_fma_f32 v11, -v5, v10, v9
	v_fmac_f32_e32 v10, v11, v8
	v_fma_f32 v5, -v5, v10, v9
	v_div_fmas_f32 v5, v5, v8, v10
	v_div_fixup_f32 v4, v5, v4, 1.0
	v_xad_u32 v5, v0, -1, s40
	v_subrev_u32_e32 v8, s48, v5
	v_cmp_lt_u32_e32 vcc, s8, v8
	s_mov_b64 s[12:13], -1
	v_mov_b32_e32 v5, v0
	s_and_saveexec_b64 s[8:9], vcc
	s_cbranch_execz .LBB280_291
; %bb.283:
	v_lshrrev_b32_e32 v8, 7, v8
	v_add_u32_e32 v10, -1, v8
	v_lshrrev_b32_e32 v9, 1, v10
	v_mov_b32_e32 v5, v4
	v_add_u32_e32 v9, 1, v9
	v_cmp_lt_u32_e32 vcc, 13, v10
	v_mov_b32_e32 v12, 0
	s_and_saveexec_b64 s[12:13], vcc
	s_cbranch_execz .LBB280_287
; %bb.284:
	v_mov_b32_e32 v11, 0x110
	v_and_b32_e32 v10, -8, v9
	v_lshl_add_u32 v11, v0, 2, v11
	s_mov_b32 s38, 0
	s_mov_b64 s[18:19], 0
.LBB280_285:                            ; =>This Inner Loop Header: Depth=1
	ds_read2st64_b32 v[12:13], v11 offset1:2
	ds_read2st64_b32 v[18:19], v11 offset0:4 offset1:6
	ds_read2st64_b32 v[20:21], v11 offset0:8 offset1:10
	;; [unrolled: 1-line block ×3, first 2 shown]
	v_add_u32_e32 v10, -8, v10
	s_waitcnt lgkmcnt(3)
	v_pk_mul_f32 v[12:13], v[4:5], v[12:13]
	s_waitcnt lgkmcnt(2)
	v_pk_mul_f32 v[18:19], v[4:5], v[18:19]
	ds_write2st64_b32 v11, v12, v13 offset1:2
	ds_write2st64_b32 v11, v18, v19 offset0:4 offset1:6
	ds_read2st64_b32 v[18:19], v11 offset0:16 offset1:18
	s_waitcnt lgkmcnt(4)
	v_pk_mul_f32 v[12:13], v[4:5], v[20:21]
	ds_write2st64_b32 v11, v12, v13 offset0:8 offset1:10
	s_waitcnt lgkmcnt(4)
	v_pk_mul_f32 v[12:13], v[4:5], v[22:23]
	ds_write2st64_b32 v11, v12, v13 offset0:12 offset1:14
	ds_read2st64_b32 v[12:13], v11 offset0:20 offset1:22
	s_waitcnt lgkmcnt(3)
	v_pk_mul_f32 v[18:19], v[4:5], v[18:19]
	ds_read2st64_b32 v[20:21], v11 offset0:24 offset1:26
	ds_write2st64_b32 v11, v18, v19 offset0:16 offset1:18
	ds_read2st64_b32 v[18:19], v11 offset0:28 offset1:30
	s_waitcnt lgkmcnt(3)
	v_pk_mul_f32 v[12:13], v[4:5], v[12:13]
	ds_write2st64_b32 v11, v12, v13 offset0:20 offset1:22
	s_waitcnt lgkmcnt(3)
	v_pk_mul_f32 v[12:13], v[4:5], v[20:21]
	ds_write2st64_b32 v11, v12, v13 offset0:24 offset1:26
	s_waitcnt lgkmcnt(2)
	v_pk_mul_f32 v[12:13], v[4:5], v[18:19]
	s_add_i32 s38, s38, 16
	v_cmp_eq_u32_e32 vcc, 0, v10
	ds_write2st64_b32 v11, v12, v13 offset0:28 offset1:30
	v_add_u32_e32 v11, 0x2000, v11
	s_or_b64 s[18:19], vcc, s[18:19]
	v_mov_b32_e32 v12, s38
	s_andn2_b64 exec, exec, s[18:19]
	s_cbranch_execnz .LBB280_285
; %bb.286:
	s_or_b64 exec, exec, s[18:19]
.LBB280_287:
	s_or_b64 exec, exec, s[12:13]
	v_and_b32_e32 v9, 7, v9
	v_cmp_ne_u32_e32 vcc, 0, v9
	s_and_saveexec_b64 s[12:13], vcc
	s_cbranch_execz .LBB280_290
; %bb.288:
	v_lshlrev_b32_e32 v10, 9, v12
	v_lshlrev_b32_e32 v11, 2, v0
	s_movk_i32 s18, 0x110
	v_add3_u32 v10, v10, v11, s18
	s_mov_b64 s[18:19], 0
.LBB280_289:                            ; =>This Inner Loop Header: Depth=1
	ds_read2st64_b32 v[12:13], v10 offset1:2
	v_add_u32_e32 v9, -1, v9
	v_cmp_eq_u32_e32 vcc, 0, v9
	s_or_b64 s[18:19], vcc, s[18:19]
	s_waitcnt lgkmcnt(0)
	v_pk_mul_f32 v[12:13], v[4:5], v[12:13]
	ds_write2st64_b32 v10, v12, v13 offset1:2
	v_add_u32_e32 v10, 0x400, v10
	s_andn2_b64 exec, exec, s[18:19]
	s_cbranch_execnz .LBB280_289
.LBB280_290:
	s_or_b64 exec, exec, s[12:13]
	v_add_u32_e32 v8, 1, v8
	v_and_b32_e32 v9, 0x3fffffe, v8
	v_cmp_ne_u32_e32 vcc, v8, v9
	v_lshl_add_u32 v5, v9, 7, v0
	s_orn2_b64 s[12:13], vcc, exec
.LBB280_291:
	s_or_b64 exec, exec, s[8:9]
	s_and_b64 exec, exec, s[12:13]
	s_cbranch_execz .LBB280_294
; %bb.292:
	v_mov_b32_e32 v8, 0x110
	v_lshl_add_u32 v8, v5, 2, v8
	s_mov_b64 s[8:9], 0
.LBB280_293:                            ; =>This Inner Loop Header: Depth=1
	ds_read_b32 v9, v8
	v_add_u32_e32 v5, 0x80, v5
	v_cmp_le_i32_e32 vcc, s3, v5
	s_or_b64 s[8:9], vcc, s[8:9]
	s_waitcnt lgkmcnt(0)
	v_mul_f32_e32 v9, v4, v9
	ds_write_b32 v8, v9
	v_add_u32_e32 v8, 0x200, v8
	s_andn2_b64 exec, exec, s[8:9]
	s_cbranch_execnz .LBB280_293
.LBB280_294:
	s_or_b64 exec, exec, s[0:1]
	s_mul_i32 s0, s25, s28
	v_cmp_eq_u32_e32 vcc, 0, v0
	s_mul_i32 s8, s0, s5
	s_waitcnt lgkmcnt(0)
	s_barrier
	s_and_saveexec_b64 s[0:1], vcc
	s_cbranch_execz .LBB280_296
; %bb.295:
	s_ashr_i32 s9, s8, 31
	s_lshl_b64 s[12:13], s[8:9], 2
	s_add_u32 s5, s22, s12
	s_mul_i32 s2, s25, s2
	s_addc_u32 s9, s23, s13
	s_ashr_i32 s3, s2, 31
	s_lshl_b64 s[2:3], s[2:3], 2
	s_add_u32 s22, s5, s2
	s_addc_u32 s9, s9, s3
	s_ashr_i32 s5, s4, 31
	s_lshl_b64 s[18:19], s[4:5], 2
	s_add_u32 s22, s22, s18
	s_addc_u32 s23, s9, s19
	s_add_u32 s5, s20, s12
	s_addc_u32 s9, s21, s13
	;; [unrolled: 2-line block ×3, first 2 shown]
	s_add_u32 s2, s2, s18
	v_mov_b32_e32 v4, 0
	s_addc_u32 s3, s3, s19
	global_store_dword v4, v6, s[22:23]
	global_store_dword v4, v7, s[2:3]
.LBB280_296:
	s_or_b64 exec, exec, s[0:1]
	v_mov_b32_e32 v5, 0
	v_and_b32_e32 v25, 1, v0
	v_mov_b32_e32 v4, 0
	v_mov_b32_e32 v9, 0
	;; [unrolled: 1-line block ×3, first 2 shown]
	s_and_saveexec_b64 s[2:3], s[6:7]
	s_cbranch_execz .LBB280_564
; %bb.297:
	s_ashr_i32 s1, s49, 31
	v_lshlrev_b32_e32 v4, 3, v0
	s_add_u32 s0, s36, s49
	s_addc_u32 s1, s37, s1
	v_and_b32_e32 v6, 0x1f8, v4
	v_mov_b32_e32 v7, 0
	s_add_i32 s9, s16, -1
	v_lshl_add_u64 v[10:11], s[0:1], 0, v[6:7]
	s_lshl_b64 s[0:1], s[34:35], 2
	v_and_b32_e32 v5, 8, v4
	v_lshlrev_b32_e32 v4, 5, v25
	s_add_u32 s0, s30, s0
	v_lshl_or_b32 v1, v1, 6, v4
	s_addc_u32 s1, s31, s1
	s_mov_b32 s5, s17
	s_mov_b32 s20, s29
	v_add3_u32 v26, s48, v14, v5
	v_add_u32_e32 v1, 0x110, v1
	v_lshl_add_u64 v[12:13], v[2:3], 2, s[0:1]
	s_mov_b64 s[6:7], 0
	s_movk_i32 s21, 0x7f
	s_movk_i32 s22, 0x80
	s_mov_b32 s23, 0x8000
	s_movk_i32 s28, 0x380
	s_mov_b32 s30, 0x3020706
	s_mov_b32 s31, 0x1000504
	;; [unrolled: 1-line block ×3, first 2 shown]
	v_mov_b32_e32 v3, 0x1c00
	v_mov_b32_e32 v8, 0
	;; [unrolled: 1-line block ×5, first 2 shown]
	s_branch .LBB280_299
.LBB280_298:                            ;   in Loop: Header=BB280_299 Depth=1
	s_or_b64 exec, exec, s[0:1]
	;;#ASMSTART
	v_pk_mul_f16 v14, v34, v14;

	;;#ASMEND
	;;#ASMSTART
	v_pk_mul_f16 v6, v35, v6;

	;;#ASMEND
	;; [unrolled: 4-line block ×4, first 2 shown]
	v_add_f32_e32 v18, v38, v39
	;;#ASMSTART
	v_pk_add_f16 v6, v14, v6;

	;;#ASMEND
	v_add_f32_e32 v8, v8, v18
	;;#ASMSTART
	v_pk_add_f16 v6, v6, v15;

	;;#ASMEND
	;; [unrolled: 5-line block ×3, first 2 shown]
	v_add_u32_e32 v2, 2, v2
	v_lshrrev_b32_e32 v14, 16, v6
	v_and_b32_e32 v6, 0xffff, v6
	;;#ASMSTART
	v_cvt_f32_f16 v6, v6;
	;;#ASMEND
	v_add_f32_e32 v9, v9, v18
	v_add_f32_e32 v18, v22, v23
	;;#ASMSTART
	v_cvt_f32_f16 v14, v14;
	;;#ASMEND
	v_cmp_le_i32_e32 vcc, s33, v2
	v_add_f32_e32 v6, v6, v14
	v_add_f32_e32 v4, v4, v18
	;; [unrolled: 1-line block ×3, first 2 shown]
	v_add_u32_e32 v26, 32, v26
	v_add_u32_e32 v1, 0x80, v1
	s_or_b64 s[6:7], vcc, s[6:7]
	v_lshl_add_u64 v[12:13], v[12:13], 0, 8
	s_andn2_b64 exec, exec, s[6:7]
	s_cbranch_execz .LBB280_563
.LBB280_299:                            ; =>This Inner Loop Header: Depth=1
	ds_read2_b64 v[18:21], v1 offset1:1
	ds_read2_b64 v[28:31], v1 offset0:2 offset1:3
                                        ; implicit-def: $sgpr18
	s_waitcnt lgkmcnt(1)
	;;#ASMSTART
	v_cvt_f16_f32 v34, v18;

	;;#ASMEND
	;;#ASMSTART
	v_cvt_f16_f32 v35, v19;

	;;#ASMEND
	;; [unrolled: 4-line block ×4, first 2 shown]
	s_waitcnt lgkmcnt(0)
	;;#ASMSTART
	v_cvt_f16_f32 v38, v28;

	;;#ASMEND
	;;#ASMSTART
	v_cvt_f16_f32 v39, v29;

	;;#ASMEND
	;; [unrolled: 4-line block ×4, first 2 shown]
	global_load_dword v6, v[12:13], off
	s_waitcnt vmcnt(0)
	v_mad_i64_i32 v[14:15], s[0:1], v6, s5, v[10:11]
	global_load_dwordx2 v[18:19], v[14:15], off
	global_load_dword v16, v7, s[14:15]
	s_mov_b64 s[0:1], 0
	s_waitcnt vmcnt(1)
	v_cmp_gt_i16_sdwa s[12:13], v18, s21 src0_sel:BYTE_0 src1_sel:DWORD
	s_and_saveexec_b64 s[16:17], s[12:13]
	s_xor_b64 s[12:13], exec, s[16:17]
	s_cbranch_execnz .LBB280_435
; %bb.300:                              ;   in Loop: Header=BB280_299 Depth=1
	s_or_saveexec_b64 s[12:13], s[12:13]
	v_mov_b32_e32 v20, s18
	s_xor_b64 exec, exec, s[12:13]
	s_cbranch_execnz .LBB280_438
.LBB280_301:                            ;   in Loop: Header=BB280_299 Depth=1
	s_or_b64 exec, exec, s[12:13]
	s_and_saveexec_b64 s[12:13], s[0:1]
	s_cbranch_execz .LBB280_303
.LBB280_302:                            ;   in Loop: Header=BB280_299 Depth=1
	v_and_b32_e32 v6, 7, v18
	v_ffbh_u32_e32 v6, v6
	v_bfe_u32 v20, v18, 3, 4
	v_min_u32_e32 v6, 32, v6
	v_subrev_u32_e32 v21, 28, v6
	v_sub_u32_e32 v6, 29, v6
	v_cmp_eq_u32_e32 vcc, 0, v20
	s_nop 1
	v_cndmask_b32_e32 v6, v20, v6, vcc
	v_cndmask_b32_e32 v20, 0, v21, vcc
	v_lshlrev_b64 v[20:21], v20, v[18:19]
	v_lshlrev_b32_e32 v21, 8, v18
	v_lshl_add_u32 v6, v6, 10, v3
	v_lshlrev_b32_e32 v20, 7, v20
	v_and_or_b32 v6, v21, s23, v6
	v_and_or_b32 v6, v20, s28, v6
	v_cvt_f32_f16_e32 v20, v6
.LBB280_303:                            ;   in Loop: Header=BB280_299 Depth=1
	s_or_b64 exec, exec, s[12:13]
	v_lshrrev_b16_e32 v6, 8, v18
	v_cmp_lt_i16_e32 vcc, s21, v6
	s_mov_b64 s[0:1], 0
                                        ; implicit-def: $sgpr18
	s_and_saveexec_b64 s[12:13], vcc
	s_xor_b64 s[12:13], exec, s[12:13]
	s_cbranch_execnz .LBB280_439
; %bb.304:                              ;   in Loop: Header=BB280_299 Depth=1
	s_or_saveexec_b64 s[12:13], s[12:13]
	v_mov_b32_e32 v22, s18
	s_xor_b64 exec, exec, s[12:13]
	s_cbranch_execnz .LBB280_442
.LBB280_305:                            ;   in Loop: Header=BB280_299 Depth=1
	s_or_b64 exec, exec, s[12:13]
	s_and_saveexec_b64 s[12:13], s[0:1]
	s_cbranch_execz .LBB280_307
.LBB280_306:                            ;   in Loop: Header=BB280_299 Depth=1
	v_and_b32_e32 v21, 7, v6
	v_ffbh_u32_e32 v22, v21
	v_min_u32_e32 v28, 32, v22
	v_subrev_u32_e32 v22, 28, v28
	v_bfe_u32 v27, v6, 3, 4
	v_lshlrev_b64 v[22:23], v22, v[6:7]
	v_sub_u32_e32 v23, 29, v28
	v_cmp_eq_u32_e32 vcc, 0, v27
	v_and_b32_e32 v22, 7, v22
	v_lshlrev_b32_e32 v6, 8, v6
	v_cndmask_b32_e32 v23, v27, v23, vcc
	v_cndmask_b32_e32 v21, v21, v22, vcc
	v_lshl_add_u32 v22, v23, 10, v3
	v_and_or_b32 v6, v6, s23, v22
	v_lshl_or_b32 v6, v21, 7, v6
	v_cvt_f32_f16_e32 v22, v6
.LBB280_307:                            ;   in Loop: Header=BB280_299 Depth=1
	s_or_b64 exec, exec, s[12:13]
	v_lshrrev_b32_e32 v6, 16, v18
	v_cmp_gt_i16_sdwa s[12:13], v6, s21 src0_sel:BYTE_0 src1_sel:DWORD
	s_mov_b64 s[0:1], 0
                                        ; implicit-def: $sgpr18
	s_and_saveexec_b64 s[16:17], s[12:13]
	s_xor_b64 s[12:13], exec, s[16:17]
	s_cbranch_execnz .LBB280_443
; %bb.308:                              ;   in Loop: Header=BB280_299 Depth=1
	s_or_saveexec_b64 s[12:13], s[12:13]
	v_mov_b32_e32 v21, s18
	s_xor_b64 exec, exec, s[12:13]
	s_cbranch_execnz .LBB280_446
.LBB280_309:                            ;   in Loop: Header=BB280_299 Depth=1
	s_or_b64 exec, exec, s[12:13]
	s_and_saveexec_b64 s[12:13], s[0:1]
	s_cbranch_execz .LBB280_311
.LBB280_310:                            ;   in Loop: Header=BB280_299 Depth=1
	v_bfe_u32 v21, v18, 16, 3
	v_ffbh_u32_e32 v27, v21
	v_bfe_u32 v23, v18, 19, 4
	v_min_u32_e32 v27, 32, v27
	v_subrev_u32_e32 v28, 28, v27
	v_sub_u32_e32 v27, 29, v27
	v_cmp_eq_u32_e32 vcc, 0, v23
	v_lshlrev_b64 v[28:29], v28, v[6:7]
	v_and_b32_e32 v28, 7, v28
	v_cndmask_b32_e32 v23, v23, v27, vcc
	v_lshlrev_b32_e32 v6, 8, v6
	v_lshl_add_u32 v23, v23, 10, v3
	v_cndmask_b32_e32 v21, v21, v28, vcc
	v_and_or_b32 v6, v6, s23, v23
	v_lshl_or_b32 v6, v21, 7, v6
	v_cvt_f32_f16_e32 v21, v6
.LBB280_311:                            ;   in Loop: Header=BB280_299 Depth=1
	s_or_b64 exec, exec, s[12:13]
	v_lshrrev_b32_e32 v6, 24, v18
	v_cmp_lt_i16_e32 vcc, s21, v6
	s_mov_b64 s[0:1], 0
                                        ; implicit-def: $sgpr18
	s_and_saveexec_b64 s[12:13], vcc
	s_xor_b64 s[12:13], exec, s[12:13]
	s_cbranch_execnz .LBB280_447
; %bb.312:                              ;   in Loop: Header=BB280_299 Depth=1
	s_or_saveexec_b64 s[12:13], s[12:13]
	v_mov_b32_e32 v23, s18
	s_xor_b64 exec, exec, s[12:13]
	s_cbranch_execnz .LBB280_450
.LBB280_313:                            ;   in Loop: Header=BB280_299 Depth=1
	s_or_b64 exec, exec, s[12:13]
	s_and_saveexec_b64 s[12:13], s[0:1]
	s_cbranch_execz .LBB280_315
.LBB280_314:                            ;   in Loop: Header=BB280_299 Depth=1
	v_bfe_u32 v23, v18, 24, 3
	v_ffbh_u32_e32 v27, v23
	v_bfe_u32 v18, v18, 27, 4
	v_min_u32_e32 v27, 32, v27
	v_subrev_u32_e32 v28, 28, v27
	v_sub_u32_e32 v27, 29, v27
	v_cmp_eq_u32_e32 vcc, 0, v18
	v_lshlrev_b64 v[28:29], v28, v[6:7]
	v_and_b32_e32 v28, 7, v28
	v_cndmask_b32_e32 v18, v18, v27, vcc
	v_lshlrev_b32_e32 v6, 8, v6
	v_lshl_add_u32 v18, v18, 10, v3
	v_cndmask_b32_e32 v23, v23, v28, vcc
	v_and_or_b32 v6, v6, s23, v18
	v_lshl_or_b32 v6, v23, 7, v6
	v_cvt_f32_f16_e32 v23, v6
.LBB280_315:                            ;   in Loop: Header=BB280_299 Depth=1
	s_or_b64 exec, exec, s[12:13]
	v_cmp_gt_i16_sdwa s[12:13], v19, s21 src0_sel:BYTE_0 src1_sel:DWORD
	s_mov_b64 s[0:1], 0
                                        ; implicit-def: $sgpr18
	s_and_saveexec_b64 s[16:17], s[12:13]
	s_xor_b64 s[12:13], exec, s[16:17]
	s_cbranch_execnz .LBB280_451
; %bb.316:                              ;   in Loop: Header=BB280_299 Depth=1
	s_or_saveexec_b64 s[12:13], s[12:13]
	v_mov_b32_e32 v18, s18
	s_xor_b64 exec, exec, s[12:13]
	s_cbranch_execnz .LBB280_454
.LBB280_317:                            ;   in Loop: Header=BB280_299 Depth=1
	s_or_b64 exec, exec, s[12:13]
	v_mov_b32_e32 v6, v19
	s_and_saveexec_b64 s[12:13], s[0:1]
	s_cbranch_execz .LBB280_319
.LBB280_318:                            ;   in Loop: Header=BB280_299 Depth=1
	v_and_b32_e32 v18, 7, v19
	v_ffbh_u32_e32 v18, v18
	v_bfe_u32 v27, v19, 3, 4
	v_min_u32_e32 v18, 32, v18
	v_subrev_u32_e32 v28, 28, v18
	v_sub_u32_e32 v18, 29, v18
	v_cmp_eq_u32_e32 vcc, 0, v27
	s_nop 1
	v_cndmask_b32_e32 v18, v27, v18, vcc
	v_cndmask_b32_e32 v27, 0, v28, vcc
	v_lshlrev_b64 v[28:29], v27, v[6:7]
	v_lshlrev_b32_e32 v27, 7, v28
	v_lshlrev_b32_e32 v28, 8, v19
	v_lshl_add_u32 v18, v18, 10, v3
	v_and_or_b32 v18, v28, s23, v18
	v_and_or_b32 v18, v27, s28, v18
	v_cvt_f32_f16_e32 v18, v18
.LBB280_319:                            ;   in Loop: Header=BB280_299 Depth=1
	s_or_b64 exec, exec, s[12:13]
	v_lshrrev_b16_e32 v6, 8, v6
	v_cmp_lt_i16_e32 vcc, s21, v6
	s_mov_b64 s[0:1], 0
                                        ; implicit-def: $sgpr18
	s_and_saveexec_b64 s[12:13], vcc
	s_xor_b64 s[12:13], exec, s[12:13]
	s_cbranch_execnz .LBB280_455
; %bb.320:                              ;   in Loop: Header=BB280_299 Depth=1
	s_or_saveexec_b64 s[12:13], s[12:13]
	v_mov_b32_e32 v27, s18
	s_xor_b64 exec, exec, s[12:13]
	s_cbranch_execnz .LBB280_458
.LBB280_321:                            ;   in Loop: Header=BB280_299 Depth=1
	s_or_b64 exec, exec, s[12:13]
	s_and_saveexec_b64 s[12:13], s[0:1]
	s_cbranch_execz .LBB280_323
.LBB280_322:                            ;   in Loop: Header=BB280_299 Depth=1
	v_and_b32_e32 v27, 7, v6
	v_ffbh_u32_e32 v28, v27
	v_min_u32_e32 v31, 32, v28
	v_subrev_u32_e32 v28, 28, v31
	v_bfe_u32 v30, v6, 3, 4
	v_lshlrev_b64 v[28:29], v28, v[6:7]
	v_sub_u32_e32 v29, 29, v31
	v_cmp_eq_u32_e32 vcc, 0, v30
	v_and_b32_e32 v28, 7, v28
	v_lshlrev_b32_e32 v6, 8, v6
	v_cndmask_b32_e32 v29, v30, v29, vcc
	v_cndmask_b32_e32 v27, v27, v28, vcc
	v_lshl_add_u32 v28, v29, 10, v3
	v_and_or_b32 v6, v6, s23, v28
	v_lshl_or_b32 v6, v27, 7, v6
	v_cvt_f32_f16_e32 v27, v6
.LBB280_323:                            ;   in Loop: Header=BB280_299 Depth=1
	s_or_b64 exec, exec, s[12:13]
	v_lshrrev_b32_e32 v6, 16, v19
	v_cmp_gt_i16_sdwa s[12:13], v6, s21 src0_sel:BYTE_0 src1_sel:DWORD
	s_mov_b64 s[0:1], 0
                                        ; implicit-def: $sgpr18
	s_and_saveexec_b64 s[16:17], s[12:13]
	s_xor_b64 s[12:13], exec, s[16:17]
	s_cbranch_execnz .LBB280_459
; %bb.324:                              ;   in Loop: Header=BB280_299 Depth=1
	s_or_saveexec_b64 s[12:13], s[12:13]
	v_mov_b32_e32 v28, s18
	s_xor_b64 exec, exec, s[12:13]
	s_cbranch_execnz .LBB280_462
.LBB280_325:                            ;   in Loop: Header=BB280_299 Depth=1
	s_or_b64 exec, exec, s[12:13]
	s_and_saveexec_b64 s[12:13], s[0:1]
	s_cbranch_execz .LBB280_327
.LBB280_326:                            ;   in Loop: Header=BB280_299 Depth=1
	v_bfe_u32 v30, v19, 16, 3
	v_ffbh_u32_e32 v28, v30
	v_min_u32_e32 v32, 32, v28
	v_subrev_u32_e32 v28, 28, v32
	v_bfe_u32 v31, v19, 19, 4
	v_lshlrev_b64 v[28:29], v28, v[6:7]
	v_sub_u32_e32 v29, 29, v32
	v_cmp_eq_u32_e32 vcc, 0, v31
	v_and_b32_e32 v28, 7, v28
	v_lshlrev_b32_e32 v6, 8, v6
	v_cndmask_b32_e32 v29, v31, v29, vcc
	v_lshl_add_u32 v29, v29, 10, v3
	v_cndmask_b32_e32 v28, v30, v28, vcc
	v_and_or_b32 v6, v6, s23, v29
	v_lshl_or_b32 v6, v28, 7, v6
	v_cvt_f32_f16_e32 v28, v6
.LBB280_327:                            ;   in Loop: Header=BB280_299 Depth=1
	s_or_b64 exec, exec, s[12:13]
	v_lshrrev_b32_e32 v6, 24, v19
	v_cmp_lt_i16_e32 vcc, s21, v6
	s_mov_b64 s[0:1], 0
                                        ; implicit-def: $sgpr18
	s_and_saveexec_b64 s[12:13], vcc
	s_xor_b64 s[12:13], exec, s[12:13]
	s_cbranch_execnz .LBB280_463
; %bb.328:                              ;   in Loop: Header=BB280_299 Depth=1
	s_or_saveexec_b64 s[12:13], s[12:13]
	v_mov_b32_e32 v29, s18
	s_xor_b64 exec, exec, s[12:13]
	s_cbranch_execnz .LBB280_466
.LBB280_329:                            ;   in Loop: Header=BB280_299 Depth=1
	s_or_b64 exec, exec, s[12:13]
	s_and_saveexec_b64 s[12:13], s[0:1]
	s_cbranch_execz .LBB280_331
.LBB280_330:                            ;   in Loop: Header=BB280_299 Depth=1
	v_bfe_u32 v29, v19, 24, 3
	v_ffbh_u32_e32 v30, v29
	v_min_u32_e32 v32, 32, v30
	v_subrev_u32_e32 v30, 28, v32
	v_bfe_u32 v19, v19, 27, 4
	v_lshlrev_b64 v[30:31], v30, v[6:7]
	v_sub_u32_e32 v31, 29, v32
	v_cmp_eq_u32_e32 vcc, 0, v19
	v_and_b32_e32 v30, 7, v30
	v_lshlrev_b32_e32 v6, 8, v6
	v_cndmask_b32_e32 v19, v19, v31, vcc
	v_lshl_add_u32 v19, v19, 10, v3
	v_cndmask_b32_e32 v29, v29, v30, vcc
	v_and_or_b32 v6, v6, s23, v19
	v_lshl_or_b32 v6, v29, 7, v6
	v_cvt_f32_f16_e32 v29, v6
.LBB280_331:                            ;   in Loop: Header=BB280_299 Depth=1
	s_or_b64 exec, exec, s[12:13]
	s_waitcnt vmcnt(0)
	v_pk_mul_f32 v[22:23], v[16:17], v[22:23] op_sel_hi:[0,1]
	v_pk_mul_f32 v[20:21], v[16:17], v[20:21] op_sel_hi:[0,1]
	v_cvt_f16_f32_e32 v6, v23
	v_cvt_f16_f32_e32 v19, v22
	;; [unrolled: 1-line block ×4, first 2 shown]
	v_fma_mixlo_f16 v18, v16, v18, 0
	v_pack_b32_f16 v19, v19, v6
	v_cmp_eq_u32_e32 vcc, s9, v2
	v_pack_b32_f16 v20, v20, v21
	v_perm_b32 v6, v20, v19, s30
	v_perm_b32 v19, v20, v19, s31
	v_fma_mixlo_f16 v20, v16, v27, 0
	v_lshlrev_b32_e32 v20, 16, v20
	v_or_b32_sdwa v18, v20, v18 dst_sel:DWORD dst_unused:UNUSED_PAD src0_sel:DWORD src1_sel:WORD_0
	v_fma_mixlo_f16 v20, v16, v28, 0
	v_fma_mixlo_f16 v16, v16, v29, 0
	v_lshlrev_b32_e32 v16, 16, v16
	v_or_b32_sdwa v16, v16, v20 dst_sel:DWORD dst_unused:UNUSED_PAD src0_sel:DWORD src1_sel:WORD_0
	v_add_u32_e32 v33, 1, v26
	v_or_b32_e32 v32, 3, v26
	v_or_b32_e32 v31, 2, v26
	;; [unrolled: 1-line block ×6, first 2 shown]
	s_and_saveexec_b64 s[12:13], vcc
	s_cbranch_execz .LBB280_333
; %bb.332:                              ;   in Loop: Header=BB280_299 Depth=1
	v_lshrrev_b32_e32 v21, 16, v19
	v_cmp_gt_i32_e64 s[0:1], s20, v33
	v_lshrrev_b32_e32 v16, 16, v16
	s_nop 0
	v_cndmask_b32_e64 v21, 0, v21, s[0:1]
	v_cmp_gt_i32_e64 s[0:1], s29, v26
	s_nop 1
	v_cndmask_b32_e64 v19, 0, v19, s[0:1]
	v_perm_b32 v19, v21, v19, s34
	v_lshrrev_b32_e32 v21, 16, v6
	v_cmp_gt_i32_e64 s[0:1], s20, v32
	s_nop 1
	v_cndmask_b32_e64 v21, 0, v21, s[0:1]
	v_cmp_gt_i32_e64 s[0:1], s29, v31
	s_nop 1
	v_cndmask_b32_e64 v6, 0, v6, s[0:1]
	v_perm_b32 v6, v21, v6, s34
	v_lshrrev_b32_e32 v21, 16, v18
	v_cmp_gt_i32_e64 s[0:1], s20, v30
	s_nop 1
	v_cndmask_b32_e64 v21, 0, v21, s[0:1]
	v_cmp_gt_i32_e64 s[0:1], s29, v29
	s_nop 1
	v_cndmask_b32_e64 v18, 0, v18, s[0:1]
	v_cmp_gt_i32_e64 s[0:1], s20, v28
	v_perm_b32 v18, v21, v18, s34
	s_nop 0
	v_cndmask_b32_e64 v16, 0, v16, s[0:1]
	v_cmp_gt_i32_e64 s[0:1], s29, v27
	s_nop 1
	v_cndmask_b32_e64 v20, 0, v20, s[0:1]
	v_perm_b32 v16, v16, v20, s34
.LBB280_333:                            ;   in Loop: Header=BB280_299 Depth=1
	s_or_b64 exec, exec, s[12:13]
	v_and_b32_e32 v20, 0xffff, v34
	v_lshl_or_b32 v34, v35, 16, v20
	v_and_b32_e32 v20, 0xffff, v36
	v_lshl_or_b32 v35, v37, 16, v20
	;; [unrolled: 2-line block ×3, first 2 shown]
	v_and_b32_e32 v20, 0xffff, v40
	;;#ASMSTART
	v_pk_mul_f16 v19, v34, v19;

	;;#ASMEND
	;;#ASMSTART
	v_pk_mul_f16 v6, v35, v6;

	;;#ASMEND
	v_lshl_or_b32 v37, v41, 16, v20
	;;#ASMSTART
	v_pk_mul_f16 v18, v36, v18;

	;;#ASMEND
	;;#ASMSTART
	v_pk_mul_f16 v16, v37, v16;

	;;#ASMEND
	;;#ASMSTART
	v_pk_add_f16 v6, v19, v6;

	;;#ASMEND
	s_mov_b64 s[0:1], 0
	;;#ASMSTART
	v_pk_add_f16 v6, v6, v18;

	;;#ASMEND
                                        ; implicit-def: $sgpr18
	s_nop 0
	;;#ASMSTART
	v_pk_add_f16 v6, v6, v16;

	;;#ASMEND
	s_nop 0
	v_lshrrev_b32_e32 v16, 16, v6
	v_and_b32_e32 v6, 0xffff, v6
	;;#ASMSTART
	v_cvt_f32_f16 v38, v6;
	;;#ASMEND
	;;#ASMSTART
	v_cvt_f32_f16 v39, v16;
	;;#ASMEND
	global_load_dwordx2 v[18:19], v[14:15], off offset:512
	global_load_dword v16, v7, s[14:15]
	s_waitcnt vmcnt(1)
	v_cmp_gt_i16_sdwa s[12:13], v18, s21 src0_sel:BYTE_0 src1_sel:DWORD
	s_and_saveexec_b64 s[16:17], s[12:13]
	s_xor_b64 s[12:13], exec, s[16:17]
	s_cbranch_execnz .LBB280_467
; %bb.334:                              ;   in Loop: Header=BB280_299 Depth=1
	s_or_saveexec_b64 s[12:13], s[12:13]
	v_mov_b32_e32 v20, s18
	s_xor_b64 exec, exec, s[12:13]
	s_cbranch_execnz .LBB280_470
.LBB280_335:                            ;   in Loop: Header=BB280_299 Depth=1
	s_or_b64 exec, exec, s[12:13]
	s_and_saveexec_b64 s[12:13], s[0:1]
	s_cbranch_execz .LBB280_337
.LBB280_336:                            ;   in Loop: Header=BB280_299 Depth=1
	v_and_b32_e32 v6, 7, v18
	v_ffbh_u32_e32 v6, v6
	v_bfe_u32 v20, v18, 3, 4
	v_min_u32_e32 v6, 32, v6
	v_subrev_u32_e32 v21, 28, v6
	v_sub_u32_e32 v6, 29, v6
	v_cmp_eq_u32_e64 s[0:1], 0, v20
	s_nop 1
	v_cndmask_b32_e64 v6, v20, v6, s[0:1]
	v_cndmask_b32_e64 v20, 0, v21, s[0:1]
	v_lshlrev_b64 v[20:21], v20, v[18:19]
	v_lshlrev_b32_e32 v21, 8, v18
	v_lshl_add_u32 v6, v6, 10, v3
	v_lshlrev_b32_e32 v20, 7, v20
	v_and_or_b32 v6, v21, s23, v6
	v_and_or_b32 v6, v20, s28, v6
	v_cvt_f32_f16_e32 v20, v6
.LBB280_337:                            ;   in Loop: Header=BB280_299 Depth=1
	s_or_b64 exec, exec, s[12:13]
	v_lshrrev_b16_e32 v6, 8, v18
	v_cmp_lt_i16_e64 s[0:1], s21, v6
	s_mov_b64 s[12:13], 0
                                        ; implicit-def: $sgpr35
	s_and_saveexec_b64 s[16:17], s[0:1]
	s_xor_b64 s[16:17], exec, s[16:17]
	s_cbranch_execnz .LBB280_471
; %bb.338:                              ;   in Loop: Header=BB280_299 Depth=1
	s_or_saveexec_b64 s[16:17], s[16:17]
	v_mov_b32_e32 v22, s35
	s_xor_b64 exec, exec, s[16:17]
	s_cbranch_execnz .LBB280_474
.LBB280_339:                            ;   in Loop: Header=BB280_299 Depth=1
	s_or_b64 exec, exec, s[16:17]
	s_and_saveexec_b64 s[16:17], s[12:13]
	s_cbranch_execz .LBB280_341
.LBB280_340:                            ;   in Loop: Header=BB280_299 Depth=1
	v_and_b32_e32 v21, 7, v6
	v_ffbh_u32_e32 v22, v21
	v_min_u32_e32 v41, 32, v22
	v_subrev_u32_e32 v22, 28, v41
	v_bfe_u32 v40, v6, 3, 4
	v_lshlrev_b64 v[22:23], v22, v[6:7]
	v_sub_u32_e32 v23, 29, v41
	v_cmp_eq_u32_e64 s[0:1], 0, v40
	v_and_b32_e32 v22, 7, v22
	v_lshlrev_b32_e32 v6, 8, v6
	v_cndmask_b32_e64 v23, v40, v23, s[0:1]
	v_cndmask_b32_e64 v21, v21, v22, s[0:1]
	v_lshl_add_u32 v22, v23, 10, v3
	v_and_or_b32 v6, v6, s23, v22
	v_lshl_or_b32 v6, v21, 7, v6
	v_cvt_f32_f16_e32 v22, v6
.LBB280_341:                            ;   in Loop: Header=BB280_299 Depth=1
	s_or_b64 exec, exec, s[16:17]
	v_lshrrev_b32_e32 v6, 16, v18
	v_cmp_gt_i16_sdwa s[12:13], v6, s21 src0_sel:BYTE_0 src1_sel:DWORD
	s_mov_b64 s[0:1], 0
                                        ; implicit-def: $sgpr18
	s_and_saveexec_b64 s[16:17], s[12:13]
	s_xor_b64 s[12:13], exec, s[16:17]
	s_cbranch_execnz .LBB280_475
; %bb.342:                              ;   in Loop: Header=BB280_299 Depth=1
	s_or_saveexec_b64 s[12:13], s[12:13]
	v_mov_b32_e32 v21, s18
	s_xor_b64 exec, exec, s[12:13]
	s_cbranch_execnz .LBB280_478
.LBB280_343:                            ;   in Loop: Header=BB280_299 Depth=1
	s_or_b64 exec, exec, s[12:13]
	s_and_saveexec_b64 s[12:13], s[0:1]
	s_cbranch_execz .LBB280_345
.LBB280_344:                            ;   in Loop: Header=BB280_299 Depth=1
	v_bfe_u32 v21, v18, 16, 3
	v_ffbh_u32_e32 v40, v21
	v_min_u32_e32 v42, 32, v40
	v_subrev_u32_e32 v40, 28, v42
	v_bfe_u32 v23, v18, 19, 4
	v_lshlrev_b64 v[40:41], v40, v[6:7]
	v_sub_u32_e32 v41, 29, v42
	v_cmp_eq_u32_e64 s[0:1], 0, v23
	v_and_b32_e32 v40, 7, v40
	v_lshlrev_b32_e32 v6, 8, v6
	v_cndmask_b32_e64 v23, v23, v41, s[0:1]
	v_lshl_add_u32 v23, v23, 10, v3
	v_cndmask_b32_e64 v21, v21, v40, s[0:1]
	v_and_or_b32 v6, v6, s23, v23
	v_lshl_or_b32 v6, v21, 7, v6
	v_cvt_f32_f16_e32 v21, v6
.LBB280_345:                            ;   in Loop: Header=BB280_299 Depth=1
	s_or_b64 exec, exec, s[12:13]
	v_lshrrev_b32_e32 v6, 24, v18
	v_cmp_lt_i16_e64 s[0:1], s21, v6
	s_mov_b64 s[12:13], 0
                                        ; implicit-def: $sgpr35
	s_and_saveexec_b64 s[16:17], s[0:1]
	s_xor_b64 s[16:17], exec, s[16:17]
	s_cbranch_execnz .LBB280_479
; %bb.346:                              ;   in Loop: Header=BB280_299 Depth=1
	s_or_saveexec_b64 s[16:17], s[16:17]
	v_mov_b32_e32 v23, s35
	s_xor_b64 exec, exec, s[16:17]
	s_cbranch_execnz .LBB280_482
.LBB280_347:                            ;   in Loop: Header=BB280_299 Depth=1
	s_or_b64 exec, exec, s[16:17]
	s_and_saveexec_b64 s[16:17], s[12:13]
	s_cbranch_execz .LBB280_349
.LBB280_348:                            ;   in Loop: Header=BB280_299 Depth=1
	v_bfe_u32 v23, v18, 24, 3
	v_ffbh_u32_e32 v40, v23
	v_min_u32_e32 v42, 32, v40
	v_subrev_u32_e32 v40, 28, v42
	v_bfe_u32 v18, v18, 27, 4
	v_lshlrev_b64 v[40:41], v40, v[6:7]
	v_sub_u32_e32 v41, 29, v42
	v_cmp_eq_u32_e64 s[0:1], 0, v18
	v_and_b32_e32 v40, 7, v40
	v_lshlrev_b32_e32 v6, 8, v6
	v_cndmask_b32_e64 v18, v18, v41, s[0:1]
	v_lshl_add_u32 v18, v18, 10, v3
	v_cndmask_b32_e64 v23, v23, v40, s[0:1]
	v_and_or_b32 v6, v6, s23, v18
	v_lshl_or_b32 v6, v23, 7, v6
	v_cvt_f32_f16_e32 v23, v6
.LBB280_349:                            ;   in Loop: Header=BB280_299 Depth=1
	s_or_b64 exec, exec, s[16:17]
	v_cmp_gt_i16_sdwa s[12:13], v19, s21 src0_sel:BYTE_0 src1_sel:DWORD
	s_mov_b64 s[0:1], 0
                                        ; implicit-def: $sgpr18
	s_and_saveexec_b64 s[16:17], s[12:13]
	s_xor_b64 s[12:13], exec, s[16:17]
	s_cbranch_execnz .LBB280_483
; %bb.350:                              ;   in Loop: Header=BB280_299 Depth=1
	s_or_saveexec_b64 s[12:13], s[12:13]
	v_mov_b32_e32 v18, s18
	s_xor_b64 exec, exec, s[12:13]
	s_cbranch_execnz .LBB280_486
.LBB280_351:                            ;   in Loop: Header=BB280_299 Depth=1
	s_or_b64 exec, exec, s[12:13]
	v_mov_b32_e32 v6, v19
	s_and_saveexec_b64 s[12:13], s[0:1]
	s_cbranch_execz .LBB280_353
.LBB280_352:                            ;   in Loop: Header=BB280_299 Depth=1
	v_and_b32_e32 v18, 7, v19
	v_ffbh_u32_e32 v18, v18
	v_bfe_u32 v40, v19, 3, 4
	v_min_u32_e32 v18, 32, v18
	v_subrev_u32_e32 v41, 28, v18
	v_sub_u32_e32 v18, 29, v18
	v_cmp_eq_u32_e64 s[0:1], 0, v40
	s_nop 1
	v_cndmask_b32_e64 v18, v40, v18, s[0:1]
	v_cndmask_b32_e64 v40, 0, v41, s[0:1]
	v_lshlrev_b64 v[40:41], v40, v[6:7]
	v_lshlrev_b32_e32 v41, 8, v19
	v_lshl_add_u32 v18, v18, 10, v3
	v_lshlrev_b32_e32 v40, 7, v40
	v_and_or_b32 v18, v41, s23, v18
	v_and_or_b32 v18, v40, s28, v18
	v_cvt_f32_f16_e32 v18, v18
.LBB280_353:                            ;   in Loop: Header=BB280_299 Depth=1
	s_or_b64 exec, exec, s[12:13]
	v_lshrrev_b16_e32 v6, 8, v6
	v_cmp_lt_i16_e64 s[0:1], s21, v6
	s_mov_b64 s[12:13], 0
                                        ; implicit-def: $sgpr35
	s_and_saveexec_b64 s[16:17], s[0:1]
	s_xor_b64 s[16:17], exec, s[16:17]
	s_cbranch_execnz .LBB280_487
; %bb.354:                              ;   in Loop: Header=BB280_299 Depth=1
	s_or_saveexec_b64 s[16:17], s[16:17]
	v_mov_b32_e32 v40, s35
	s_xor_b64 exec, exec, s[16:17]
	s_cbranch_execnz .LBB280_490
.LBB280_355:                            ;   in Loop: Header=BB280_299 Depth=1
	s_or_b64 exec, exec, s[16:17]
	s_and_saveexec_b64 s[16:17], s[12:13]
	s_cbranch_execz .LBB280_357
.LBB280_356:                            ;   in Loop: Header=BB280_299 Depth=1
	v_and_b32_e32 v42, 7, v6
	v_ffbh_u32_e32 v40, v42
	v_min_u32_e32 v44, 32, v40
	v_subrev_u32_e32 v40, 28, v44
	v_bfe_u32 v43, v6, 3, 4
	v_lshlrev_b64 v[40:41], v40, v[6:7]
	v_sub_u32_e32 v41, 29, v44
	v_cmp_eq_u32_e64 s[0:1], 0, v43
	v_and_b32_e32 v40, 7, v40
	v_lshlrev_b32_e32 v6, 8, v6
	v_cndmask_b32_e64 v41, v43, v41, s[0:1]
	v_lshl_add_u32 v41, v41, 10, v3
	v_cndmask_b32_e64 v40, v42, v40, s[0:1]
	v_and_or_b32 v6, v6, s23, v41
	v_lshl_or_b32 v6, v40, 7, v6
	v_cvt_f32_f16_e32 v40, v6
.LBB280_357:                            ;   in Loop: Header=BB280_299 Depth=1
	s_or_b64 exec, exec, s[16:17]
	v_lshrrev_b32_e32 v6, 16, v19
	v_cmp_gt_i16_sdwa s[12:13], v6, s21 src0_sel:BYTE_0 src1_sel:DWORD
	s_mov_b64 s[0:1], 0
                                        ; implicit-def: $sgpr18
	s_and_saveexec_b64 s[16:17], s[12:13]
	s_xor_b64 s[12:13], exec, s[16:17]
	s_cbranch_execnz .LBB280_491
; %bb.358:                              ;   in Loop: Header=BB280_299 Depth=1
	s_or_saveexec_b64 s[12:13], s[12:13]
	v_mov_b32_e32 v41, s18
	s_xor_b64 exec, exec, s[12:13]
	s_cbranch_execnz .LBB280_494
.LBB280_359:                            ;   in Loop: Header=BB280_299 Depth=1
	s_or_b64 exec, exec, s[12:13]
	s_and_saveexec_b64 s[12:13], s[0:1]
	s_cbranch_execz .LBB280_361
.LBB280_360:                            ;   in Loop: Header=BB280_299 Depth=1
	v_bfe_u32 v41, v19, 16, 3
	v_ffbh_u32_e32 v42, v41
	v_min_u32_e32 v45, 32, v42
	v_subrev_u32_e32 v42, 28, v45
	v_bfe_u32 v44, v19, 19, 4
	v_lshlrev_b64 v[42:43], v42, v[6:7]
	v_sub_u32_e32 v43, 29, v45
	v_cmp_eq_u32_e64 s[0:1], 0, v44
	v_and_b32_e32 v42, 7, v42
	v_lshlrev_b32_e32 v6, 8, v6
	v_cndmask_b32_e64 v43, v44, v43, s[0:1]
	v_cndmask_b32_e64 v41, v41, v42, s[0:1]
	v_lshl_add_u32 v42, v43, 10, v3
	v_and_or_b32 v6, v6, s23, v42
	v_lshl_or_b32 v6, v41, 7, v6
	v_cvt_f32_f16_e32 v41, v6
.LBB280_361:                            ;   in Loop: Header=BB280_299 Depth=1
	s_or_b64 exec, exec, s[12:13]
	v_lshrrev_b32_e32 v6, 24, v19
	v_cmp_lt_i16_e64 s[0:1], s21, v6
	s_mov_b64 s[12:13], 0
                                        ; implicit-def: $sgpr35
	s_and_saveexec_b64 s[16:17], s[0:1]
	s_xor_b64 s[16:17], exec, s[16:17]
	s_cbranch_execnz .LBB280_495
; %bb.362:                              ;   in Loop: Header=BB280_299 Depth=1
	s_or_saveexec_b64 s[16:17], s[16:17]
	v_mov_b32_e32 v42, s35
	s_xor_b64 exec, exec, s[16:17]
	s_cbranch_execnz .LBB280_498
.LBB280_363:                            ;   in Loop: Header=BB280_299 Depth=1
	s_or_b64 exec, exec, s[16:17]
	s_and_saveexec_b64 s[16:17], s[12:13]
	s_cbranch_execz .LBB280_365
.LBB280_364:                            ;   in Loop: Header=BB280_299 Depth=1
	v_bfe_u32 v44, v19, 24, 3
	v_ffbh_u32_e32 v42, v44
	v_min_u32_e32 v45, 32, v42
	v_subrev_u32_e32 v42, 28, v45
	v_bfe_u32 v19, v19, 27, 4
	v_lshlrev_b64 v[42:43], v42, v[6:7]
	v_sub_u32_e32 v43, 29, v45
	v_cmp_eq_u32_e64 s[0:1], 0, v19
	v_and_b32_e32 v42, 7, v42
	v_lshlrev_b32_e32 v6, 8, v6
	v_cndmask_b32_e64 v19, v19, v43, s[0:1]
	v_lshl_add_u32 v19, v19, 10, v3
	v_cndmask_b32_e64 v42, v44, v42, s[0:1]
	v_and_or_b32 v6, v6, s23, v19
	v_lshl_or_b32 v6, v42, 7, v6
	v_cvt_f32_f16_e32 v42, v6
.LBB280_365:                            ;   in Loop: Header=BB280_299 Depth=1
	s_or_b64 exec, exec, s[16:17]
	s_waitcnt vmcnt(0)
	v_pk_mul_f32 v[22:23], v[16:17], v[22:23] op_sel_hi:[0,1]
	v_pk_mul_f32 v[20:21], v[16:17], v[20:21] op_sel_hi:[0,1]
	v_cvt_f16_f32_e32 v6, v23
	v_cvt_f16_f32_e32 v19, v22
	v_cvt_f16_f32_e32 v21, v21
	v_cvt_f16_f32_e32 v20, v20
	v_fma_mixlo_f16 v18, v16, v18, 0
	v_pack_b32_f16 v19, v19, v6
	v_pack_b32_f16 v20, v20, v21
	v_perm_b32 v6, v20, v19, s30
	v_perm_b32 v19, v20, v19, s31
	v_fma_mixlo_f16 v20, v16, v40, 0
	v_lshlrev_b32_e32 v20, 16, v20
	v_or_b32_sdwa v18, v20, v18 dst_sel:DWORD dst_unused:UNUSED_PAD src0_sel:DWORD src1_sel:WORD_0
	v_fma_mixlo_f16 v20, v16, v41, 0
	v_fma_mixlo_f16 v16, v16, v42, 0
	v_lshlrev_b32_e32 v16, 16, v16
	v_or_b32_sdwa v16, v16, v20 dst_sel:DWORD dst_unused:UNUSED_PAD src0_sel:DWORD src1_sel:WORD_0
	s_and_saveexec_b64 s[12:13], vcc
	s_cbranch_execz .LBB280_367
; %bb.366:                              ;   in Loop: Header=BB280_299 Depth=1
	v_lshrrev_b32_e32 v21, 16, v19
	v_cmp_gt_i32_e64 s[0:1], s20, v33
	v_lshrrev_b32_e32 v16, 16, v16
	s_nop 0
	v_cndmask_b32_e64 v21, 0, v21, s[0:1]
	v_cmp_gt_i32_e64 s[0:1], s29, v26
	s_nop 1
	v_cndmask_b32_e64 v19, 0, v19, s[0:1]
	v_perm_b32 v19, v21, v19, s34
	v_lshrrev_b32_e32 v21, 16, v6
	v_cmp_gt_i32_e64 s[0:1], s20, v32
	s_nop 1
	v_cndmask_b32_e64 v21, 0, v21, s[0:1]
	v_cmp_gt_i32_e64 s[0:1], s29, v31
	s_nop 1
	v_cndmask_b32_e64 v6, 0, v6, s[0:1]
	v_perm_b32 v6, v21, v6, s34
	v_lshrrev_b32_e32 v21, 16, v18
	v_cmp_gt_i32_e64 s[0:1], s20, v30
	s_nop 1
	v_cndmask_b32_e64 v21, 0, v21, s[0:1]
	v_cmp_gt_i32_e64 s[0:1], s29, v29
	s_nop 1
	v_cndmask_b32_e64 v18, 0, v18, s[0:1]
	v_cmp_gt_i32_e64 s[0:1], s20, v28
	v_perm_b32 v18, v21, v18, s34
	s_nop 0
	v_cndmask_b32_e64 v16, 0, v16, s[0:1]
	v_cmp_gt_i32_e64 s[0:1], s29, v27
	s_nop 1
	v_cndmask_b32_e64 v20, 0, v20, s[0:1]
	v_perm_b32 v16, v16, v20, s34
.LBB280_367:                            ;   in Loop: Header=BB280_299 Depth=1
	s_or_b64 exec, exec, s[12:13]
	;;#ASMSTART
	v_pk_mul_f16 v19, v34, v19;

	;;#ASMEND
	;;#ASMSTART
	v_pk_mul_f16 v6, v35, v6;

	;;#ASMEND
	;; [unrolled: 4-line block ×4, first 2 shown]
	s_mov_b64 s[0:1], 0
	;;#ASMSTART
	v_pk_add_f16 v6, v19, v6;

	;;#ASMEND
                                        ; implicit-def: $sgpr18
	s_nop 0
	;;#ASMSTART
	v_pk_add_f16 v6, v6, v18;

	;;#ASMEND
	s_nop 0
	;;#ASMSTART
	v_pk_add_f16 v6, v6, v16;

	;;#ASMEND
	s_nop 0
	v_lshrrev_b32_e32 v16, 16, v6
	v_and_b32_e32 v6, 0xffff, v6
	;;#ASMSTART
	v_cvt_f32_f16 v40, v6;
	;;#ASMEND
	;;#ASMSTART
	v_cvt_f32_f16 v41, v16;
	;;#ASMEND
	global_load_dwordx2 v[18:19], v[14:15], off offset:1024
	global_load_dword v16, v7, s[14:15]
	s_waitcnt vmcnt(1)
	v_cmp_gt_i16_sdwa s[12:13], v18, s21 src0_sel:BYTE_0 src1_sel:DWORD
	s_and_saveexec_b64 s[16:17], s[12:13]
	s_xor_b64 s[12:13], exec, s[16:17]
	s_cbranch_execnz .LBB280_499
; %bb.368:                              ;   in Loop: Header=BB280_299 Depth=1
	s_or_saveexec_b64 s[12:13], s[12:13]
	v_mov_b32_e32 v20, s18
	s_xor_b64 exec, exec, s[12:13]
	s_cbranch_execnz .LBB280_502
.LBB280_369:                            ;   in Loop: Header=BB280_299 Depth=1
	s_or_b64 exec, exec, s[12:13]
	s_and_saveexec_b64 s[12:13], s[0:1]
	s_cbranch_execz .LBB280_371
.LBB280_370:                            ;   in Loop: Header=BB280_299 Depth=1
	v_and_b32_e32 v6, 7, v18
	v_ffbh_u32_e32 v6, v6
	v_bfe_u32 v20, v18, 3, 4
	v_min_u32_e32 v6, 32, v6
	v_subrev_u32_e32 v21, 28, v6
	v_sub_u32_e32 v6, 29, v6
	v_cmp_eq_u32_e64 s[0:1], 0, v20
	s_nop 1
	v_cndmask_b32_e64 v6, v20, v6, s[0:1]
	v_cndmask_b32_e64 v20, 0, v21, s[0:1]
	v_lshlrev_b64 v[20:21], v20, v[18:19]
	v_lshlrev_b32_e32 v21, 8, v18
	v_lshl_add_u32 v6, v6, 10, v3
	v_lshlrev_b32_e32 v20, 7, v20
	v_and_or_b32 v6, v21, s23, v6
	v_and_or_b32 v6, v20, s28, v6
	v_cvt_f32_f16_e32 v20, v6
.LBB280_371:                            ;   in Loop: Header=BB280_299 Depth=1
	s_or_b64 exec, exec, s[12:13]
	v_lshrrev_b16_e32 v6, 8, v18
	v_cmp_lt_i16_e64 s[0:1], s21, v6
	s_mov_b64 s[12:13], 0
                                        ; implicit-def: $sgpr35
	s_and_saveexec_b64 s[16:17], s[0:1]
	s_xor_b64 s[16:17], exec, s[16:17]
	s_cbranch_execnz .LBB280_503
; %bb.372:                              ;   in Loop: Header=BB280_299 Depth=1
	s_or_saveexec_b64 s[16:17], s[16:17]
	v_mov_b32_e32 v22, s35
	s_xor_b64 exec, exec, s[16:17]
	s_cbranch_execnz .LBB280_506
.LBB280_373:                            ;   in Loop: Header=BB280_299 Depth=1
	s_or_b64 exec, exec, s[16:17]
	s_and_saveexec_b64 s[16:17], s[12:13]
	s_cbranch_execz .LBB280_375
.LBB280_374:                            ;   in Loop: Header=BB280_299 Depth=1
	v_and_b32_e32 v21, 7, v6
	v_ffbh_u32_e32 v22, v21
	v_min_u32_e32 v43, 32, v22
	v_subrev_u32_e32 v22, 28, v43
	v_bfe_u32 v42, v6, 3, 4
	v_lshlrev_b64 v[22:23], v22, v[6:7]
	v_sub_u32_e32 v23, 29, v43
	v_cmp_eq_u32_e64 s[0:1], 0, v42
	v_and_b32_e32 v22, 7, v22
	v_lshlrev_b32_e32 v6, 8, v6
	v_cndmask_b32_e64 v23, v42, v23, s[0:1]
	v_cndmask_b32_e64 v21, v21, v22, s[0:1]
	v_lshl_add_u32 v22, v23, 10, v3
	v_and_or_b32 v6, v6, s23, v22
	v_lshl_or_b32 v6, v21, 7, v6
	v_cvt_f32_f16_e32 v22, v6
.LBB280_375:                            ;   in Loop: Header=BB280_299 Depth=1
	s_or_b64 exec, exec, s[16:17]
	v_lshrrev_b32_e32 v6, 16, v18
	v_cmp_gt_i16_sdwa s[12:13], v6, s21 src0_sel:BYTE_0 src1_sel:DWORD
	s_mov_b64 s[0:1], 0
                                        ; implicit-def: $sgpr18
	s_and_saveexec_b64 s[16:17], s[12:13]
	s_xor_b64 s[12:13], exec, s[16:17]
	s_cbranch_execnz .LBB280_507
; %bb.376:                              ;   in Loop: Header=BB280_299 Depth=1
	s_or_saveexec_b64 s[12:13], s[12:13]
	v_mov_b32_e32 v21, s18
	s_xor_b64 exec, exec, s[12:13]
	s_cbranch_execnz .LBB280_510
.LBB280_377:                            ;   in Loop: Header=BB280_299 Depth=1
	s_or_b64 exec, exec, s[12:13]
	s_and_saveexec_b64 s[12:13], s[0:1]
	s_cbranch_execz .LBB280_379
.LBB280_378:                            ;   in Loop: Header=BB280_299 Depth=1
	v_bfe_u32 v21, v18, 16, 3
	v_ffbh_u32_e32 v42, v21
	v_min_u32_e32 v44, 32, v42
	v_subrev_u32_e32 v42, 28, v44
	v_bfe_u32 v23, v18, 19, 4
	v_lshlrev_b64 v[42:43], v42, v[6:7]
	v_sub_u32_e32 v43, 29, v44
	v_cmp_eq_u32_e64 s[0:1], 0, v23
	v_and_b32_e32 v42, 7, v42
	v_lshlrev_b32_e32 v6, 8, v6
	v_cndmask_b32_e64 v23, v23, v43, s[0:1]
	v_lshl_add_u32 v23, v23, 10, v3
	v_cndmask_b32_e64 v21, v21, v42, s[0:1]
	v_and_or_b32 v6, v6, s23, v23
	v_lshl_or_b32 v6, v21, 7, v6
	v_cvt_f32_f16_e32 v21, v6
.LBB280_379:                            ;   in Loop: Header=BB280_299 Depth=1
	s_or_b64 exec, exec, s[12:13]
	v_lshrrev_b32_e32 v6, 24, v18
	v_cmp_lt_i16_e64 s[0:1], s21, v6
	s_mov_b64 s[12:13], 0
                                        ; implicit-def: $sgpr35
	s_and_saveexec_b64 s[16:17], s[0:1]
	s_xor_b64 s[16:17], exec, s[16:17]
	s_cbranch_execnz .LBB280_511
; %bb.380:                              ;   in Loop: Header=BB280_299 Depth=1
	s_or_saveexec_b64 s[16:17], s[16:17]
	v_mov_b32_e32 v23, s35
	s_xor_b64 exec, exec, s[16:17]
	s_cbranch_execnz .LBB280_514
.LBB280_381:                            ;   in Loop: Header=BB280_299 Depth=1
	s_or_b64 exec, exec, s[16:17]
	s_and_saveexec_b64 s[16:17], s[12:13]
	s_cbranch_execz .LBB280_383
.LBB280_382:                            ;   in Loop: Header=BB280_299 Depth=1
	v_bfe_u32 v23, v18, 24, 3
	v_ffbh_u32_e32 v42, v23
	v_min_u32_e32 v44, 32, v42
	v_subrev_u32_e32 v42, 28, v44
	v_bfe_u32 v18, v18, 27, 4
	v_lshlrev_b64 v[42:43], v42, v[6:7]
	v_sub_u32_e32 v43, 29, v44
	v_cmp_eq_u32_e64 s[0:1], 0, v18
	v_and_b32_e32 v42, 7, v42
	v_lshlrev_b32_e32 v6, 8, v6
	v_cndmask_b32_e64 v18, v18, v43, s[0:1]
	v_lshl_add_u32 v18, v18, 10, v3
	v_cndmask_b32_e64 v23, v23, v42, s[0:1]
	v_and_or_b32 v6, v6, s23, v18
	v_lshl_or_b32 v6, v23, 7, v6
	v_cvt_f32_f16_e32 v23, v6
.LBB280_383:                            ;   in Loop: Header=BB280_299 Depth=1
	s_or_b64 exec, exec, s[16:17]
	v_cmp_gt_i16_sdwa s[12:13], v19, s21 src0_sel:BYTE_0 src1_sel:DWORD
	s_mov_b64 s[0:1], 0
                                        ; implicit-def: $sgpr18
	s_and_saveexec_b64 s[16:17], s[12:13]
	s_xor_b64 s[12:13], exec, s[16:17]
	s_cbranch_execnz .LBB280_515
; %bb.384:                              ;   in Loop: Header=BB280_299 Depth=1
	s_or_saveexec_b64 s[12:13], s[12:13]
	v_mov_b32_e32 v18, s18
	s_xor_b64 exec, exec, s[12:13]
	s_cbranch_execnz .LBB280_518
.LBB280_385:                            ;   in Loop: Header=BB280_299 Depth=1
	s_or_b64 exec, exec, s[12:13]
	v_mov_b32_e32 v6, v19
	s_and_saveexec_b64 s[12:13], s[0:1]
	s_cbranch_execz .LBB280_387
.LBB280_386:                            ;   in Loop: Header=BB280_299 Depth=1
	v_and_b32_e32 v18, 7, v19
	v_ffbh_u32_e32 v18, v18
	v_bfe_u32 v42, v19, 3, 4
	v_min_u32_e32 v18, 32, v18
	v_subrev_u32_e32 v43, 28, v18
	v_sub_u32_e32 v18, 29, v18
	v_cmp_eq_u32_e64 s[0:1], 0, v42
	s_nop 1
	v_cndmask_b32_e64 v18, v42, v18, s[0:1]
	v_cndmask_b32_e64 v42, 0, v43, s[0:1]
	v_lshlrev_b64 v[42:43], v42, v[6:7]
	v_lshlrev_b32_e32 v43, 8, v19
	v_lshl_add_u32 v18, v18, 10, v3
	v_lshlrev_b32_e32 v42, 7, v42
	v_and_or_b32 v18, v43, s23, v18
	v_and_or_b32 v18, v42, s28, v18
	v_cvt_f32_f16_e32 v18, v18
.LBB280_387:                            ;   in Loop: Header=BB280_299 Depth=1
	s_or_b64 exec, exec, s[12:13]
	v_lshrrev_b16_e32 v6, 8, v6
	v_cmp_lt_i16_e64 s[0:1], s21, v6
	s_mov_b64 s[12:13], 0
                                        ; implicit-def: $sgpr35
	s_and_saveexec_b64 s[16:17], s[0:1]
	s_xor_b64 s[16:17], exec, s[16:17]
	s_cbranch_execnz .LBB280_519
; %bb.388:                              ;   in Loop: Header=BB280_299 Depth=1
	s_or_saveexec_b64 s[16:17], s[16:17]
	v_mov_b32_e32 v42, s35
	s_xor_b64 exec, exec, s[16:17]
	s_cbranch_execnz .LBB280_522
.LBB280_389:                            ;   in Loop: Header=BB280_299 Depth=1
	s_or_b64 exec, exec, s[16:17]
	s_and_saveexec_b64 s[16:17], s[12:13]
	s_cbranch_execz .LBB280_391
.LBB280_390:                            ;   in Loop: Header=BB280_299 Depth=1
	v_and_b32_e32 v44, 7, v6
	v_ffbh_u32_e32 v42, v44
	v_min_u32_e32 v46, 32, v42
	v_subrev_u32_e32 v42, 28, v46
	v_bfe_u32 v45, v6, 3, 4
	v_lshlrev_b64 v[42:43], v42, v[6:7]
	v_sub_u32_e32 v43, 29, v46
	v_cmp_eq_u32_e64 s[0:1], 0, v45
	v_and_b32_e32 v42, 7, v42
	v_lshlrev_b32_e32 v6, 8, v6
	v_cndmask_b32_e64 v43, v45, v43, s[0:1]
	v_lshl_add_u32 v43, v43, 10, v3
	v_cndmask_b32_e64 v42, v44, v42, s[0:1]
	v_and_or_b32 v6, v6, s23, v43
	v_lshl_or_b32 v6, v42, 7, v6
	v_cvt_f32_f16_e32 v42, v6
.LBB280_391:                            ;   in Loop: Header=BB280_299 Depth=1
	s_or_b64 exec, exec, s[16:17]
	v_lshrrev_b32_e32 v6, 16, v19
	v_cmp_gt_i16_sdwa s[12:13], v6, s21 src0_sel:BYTE_0 src1_sel:DWORD
	s_mov_b64 s[0:1], 0
                                        ; implicit-def: $sgpr18
	s_and_saveexec_b64 s[16:17], s[12:13]
	s_xor_b64 s[12:13], exec, s[16:17]
	s_cbranch_execnz .LBB280_523
; %bb.392:                              ;   in Loop: Header=BB280_299 Depth=1
	s_or_saveexec_b64 s[12:13], s[12:13]
	v_mov_b32_e32 v43, s18
	s_xor_b64 exec, exec, s[12:13]
	s_cbranch_execnz .LBB280_526
.LBB280_393:                            ;   in Loop: Header=BB280_299 Depth=1
	s_or_b64 exec, exec, s[12:13]
	s_and_saveexec_b64 s[12:13], s[0:1]
	s_cbranch_execz .LBB280_395
.LBB280_394:                            ;   in Loop: Header=BB280_299 Depth=1
	v_bfe_u32 v43, v19, 16, 3
	v_ffbh_u32_e32 v44, v43
	v_min_u32_e32 v47, 32, v44
	v_subrev_u32_e32 v44, 28, v47
	v_bfe_u32 v46, v19, 19, 4
	v_lshlrev_b64 v[44:45], v44, v[6:7]
	v_sub_u32_e32 v45, 29, v47
	v_cmp_eq_u32_e64 s[0:1], 0, v46
	v_and_b32_e32 v44, 7, v44
	v_lshlrev_b32_e32 v6, 8, v6
	v_cndmask_b32_e64 v45, v46, v45, s[0:1]
	v_cndmask_b32_e64 v43, v43, v44, s[0:1]
	v_lshl_add_u32 v44, v45, 10, v3
	v_and_or_b32 v6, v6, s23, v44
	v_lshl_or_b32 v6, v43, 7, v6
	v_cvt_f32_f16_e32 v43, v6
.LBB280_395:                            ;   in Loop: Header=BB280_299 Depth=1
	s_or_b64 exec, exec, s[12:13]
	v_lshrrev_b32_e32 v6, 24, v19
	v_cmp_lt_i16_e64 s[0:1], s21, v6
	s_mov_b64 s[12:13], 0
                                        ; implicit-def: $sgpr35
	s_and_saveexec_b64 s[16:17], s[0:1]
	s_xor_b64 s[16:17], exec, s[16:17]
	s_cbranch_execnz .LBB280_527
; %bb.396:                              ;   in Loop: Header=BB280_299 Depth=1
	s_or_saveexec_b64 s[16:17], s[16:17]
	v_mov_b32_e32 v44, s35
	s_xor_b64 exec, exec, s[16:17]
	s_cbranch_execnz .LBB280_530
.LBB280_397:                            ;   in Loop: Header=BB280_299 Depth=1
	s_or_b64 exec, exec, s[16:17]
	s_and_saveexec_b64 s[16:17], s[12:13]
	s_cbranch_execz .LBB280_399
.LBB280_398:                            ;   in Loop: Header=BB280_299 Depth=1
	v_bfe_u32 v46, v19, 24, 3
	v_ffbh_u32_e32 v44, v46
	v_min_u32_e32 v47, 32, v44
	v_subrev_u32_e32 v44, 28, v47
	v_bfe_u32 v19, v19, 27, 4
	v_lshlrev_b64 v[44:45], v44, v[6:7]
	v_sub_u32_e32 v45, 29, v47
	v_cmp_eq_u32_e64 s[0:1], 0, v19
	v_and_b32_e32 v44, 7, v44
	v_lshlrev_b32_e32 v6, 8, v6
	v_cndmask_b32_e64 v19, v19, v45, s[0:1]
	v_lshl_add_u32 v19, v19, 10, v3
	v_cndmask_b32_e64 v44, v46, v44, s[0:1]
	v_and_or_b32 v6, v6, s23, v19
	v_lshl_or_b32 v6, v44, 7, v6
	v_cvt_f32_f16_e32 v44, v6
.LBB280_399:                            ;   in Loop: Header=BB280_299 Depth=1
	s_or_b64 exec, exec, s[16:17]
	s_waitcnt vmcnt(0)
	v_pk_mul_f32 v[22:23], v[16:17], v[22:23] op_sel_hi:[0,1]
	v_pk_mul_f32 v[20:21], v[16:17], v[20:21] op_sel_hi:[0,1]
	v_cvt_f16_f32_e32 v6, v23
	v_cvt_f16_f32_e32 v19, v22
	;; [unrolled: 1-line block ×4, first 2 shown]
	v_fma_mixlo_f16 v18, v16, v18, 0
	v_pack_b32_f16 v19, v19, v6
	v_pack_b32_f16 v20, v20, v21
	v_perm_b32 v6, v20, v19, s30
	v_perm_b32 v19, v20, v19, s31
	v_fma_mixlo_f16 v20, v16, v42, 0
	v_lshlrev_b32_e32 v20, 16, v20
	v_or_b32_sdwa v18, v20, v18 dst_sel:DWORD dst_unused:UNUSED_PAD src0_sel:DWORD src1_sel:WORD_0
	v_fma_mixlo_f16 v20, v16, v43, 0
	v_fma_mixlo_f16 v16, v16, v44, 0
	v_lshlrev_b32_e32 v16, 16, v16
	v_or_b32_sdwa v16, v16, v20 dst_sel:DWORD dst_unused:UNUSED_PAD src0_sel:DWORD src1_sel:WORD_0
	s_and_saveexec_b64 s[12:13], vcc
	s_cbranch_execz .LBB280_401
; %bb.400:                              ;   in Loop: Header=BB280_299 Depth=1
	v_lshrrev_b32_e32 v21, 16, v19
	v_cmp_gt_i32_e64 s[0:1], s20, v33
	v_lshrrev_b32_e32 v16, 16, v16
	s_nop 0
	v_cndmask_b32_e64 v21, 0, v21, s[0:1]
	v_cmp_gt_i32_e64 s[0:1], s29, v26
	s_nop 1
	v_cndmask_b32_e64 v19, 0, v19, s[0:1]
	v_perm_b32 v19, v21, v19, s34
	v_lshrrev_b32_e32 v21, 16, v6
	v_cmp_gt_i32_e64 s[0:1], s20, v32
	s_nop 1
	v_cndmask_b32_e64 v21, 0, v21, s[0:1]
	v_cmp_gt_i32_e64 s[0:1], s29, v31
	s_nop 1
	v_cndmask_b32_e64 v6, 0, v6, s[0:1]
	v_perm_b32 v6, v21, v6, s34
	v_lshrrev_b32_e32 v21, 16, v18
	v_cmp_gt_i32_e64 s[0:1], s20, v30
	s_nop 1
	v_cndmask_b32_e64 v21, 0, v21, s[0:1]
	v_cmp_gt_i32_e64 s[0:1], s29, v29
	s_nop 1
	v_cndmask_b32_e64 v18, 0, v18, s[0:1]
	v_cmp_gt_i32_e64 s[0:1], s20, v28
	v_perm_b32 v18, v21, v18, s34
	s_nop 0
	v_cndmask_b32_e64 v16, 0, v16, s[0:1]
	v_cmp_gt_i32_e64 s[0:1], s29, v27
	s_nop 1
	v_cndmask_b32_e64 v20, 0, v20, s[0:1]
	v_perm_b32 v16, v16, v20, s34
.LBB280_401:                            ;   in Loop: Header=BB280_299 Depth=1
	s_or_b64 exec, exec, s[12:13]
	;;#ASMSTART
	v_pk_mul_f16 v19, v34, v19;

	;;#ASMEND
	;;#ASMSTART
	v_pk_mul_f16 v6, v35, v6;

	;;#ASMEND
	;; [unrolled: 4-line block ×4, first 2 shown]
	s_mov_b64 s[0:1], 0
	;;#ASMSTART
	v_pk_add_f16 v6, v19, v6;

	;;#ASMEND
                                        ; implicit-def: $sgpr18
	s_nop 0
	;;#ASMSTART
	v_pk_add_f16 v6, v6, v18;

	;;#ASMEND
	s_nop 0
	;;#ASMSTART
	v_pk_add_f16 v6, v6, v16;

	;;#ASMEND
	s_nop 0
	v_lshrrev_b32_e32 v16, 16, v6
	v_and_b32_e32 v6, 0xffff, v6
	;;#ASMSTART
	v_cvt_f32_f16 v22, v6;
	;;#ASMEND
	;;#ASMSTART
	v_cvt_f32_f16 v23, v16;
	;;#ASMEND
	global_load_dwordx2 v[18:19], v[14:15], off offset:1536
	global_load_dword v16, v7, s[14:15]
	s_waitcnt vmcnt(1)
	v_cmp_gt_i16_sdwa s[12:13], v18, s21 src0_sel:BYTE_0 src1_sel:DWORD
	s_and_saveexec_b64 s[16:17], s[12:13]
	s_xor_b64 s[12:13], exec, s[16:17]
	s_cbranch_execnz .LBB280_531
; %bb.402:                              ;   in Loop: Header=BB280_299 Depth=1
	s_or_saveexec_b64 s[12:13], s[12:13]
	v_mov_b32_e32 v14, s18
	s_xor_b64 exec, exec, s[12:13]
	s_cbranch_execnz .LBB280_534
.LBB280_403:                            ;   in Loop: Header=BB280_299 Depth=1
	s_or_b64 exec, exec, s[12:13]
	s_and_saveexec_b64 s[12:13], s[0:1]
	s_cbranch_execz .LBB280_405
.LBB280_404:                            ;   in Loop: Header=BB280_299 Depth=1
	v_and_b32_e32 v6, 7, v18
	v_ffbh_u32_e32 v6, v6
	v_bfe_u32 v14, v18, 3, 4
	v_min_u32_e32 v6, 32, v6
	v_subrev_u32_e32 v15, 28, v6
	v_sub_u32_e32 v6, 29, v6
	v_cmp_eq_u32_e64 s[0:1], 0, v14
	s_nop 1
	v_cndmask_b32_e64 v6, v14, v6, s[0:1]
	v_cndmask_b32_e64 v14, 0, v15, s[0:1]
	v_lshlrev_b64 v[14:15], v14, v[18:19]
	v_lshlrev_b32_e32 v15, 8, v18
	v_lshl_add_u32 v6, v6, 10, v3
	v_lshlrev_b32_e32 v14, 7, v14
	v_and_or_b32 v6, v15, s23, v6
	v_and_or_b32 v6, v14, s28, v6
	v_cvt_f32_f16_e32 v14, v6
.LBB280_405:                            ;   in Loop: Header=BB280_299 Depth=1
	s_or_b64 exec, exec, s[12:13]
	v_lshrrev_b16_e32 v6, 8, v18
	v_cmp_lt_i16_e64 s[0:1], s21, v6
	s_mov_b64 s[12:13], 0
                                        ; implicit-def: $sgpr35
	s_and_saveexec_b64 s[16:17], s[0:1]
	s_xor_b64 s[16:17], exec, s[16:17]
	s_cbranch_execnz .LBB280_535
; %bb.406:                              ;   in Loop: Header=BB280_299 Depth=1
	s_or_saveexec_b64 s[16:17], s[16:17]
	v_mov_b32_e32 v20, s35
	s_xor_b64 exec, exec, s[16:17]
	s_cbranch_execnz .LBB280_538
.LBB280_407:                            ;   in Loop: Header=BB280_299 Depth=1
	s_or_b64 exec, exec, s[16:17]
	s_and_saveexec_b64 s[16:17], s[12:13]
	s_cbranch_execz .LBB280_409
.LBB280_408:                            ;   in Loop: Header=BB280_299 Depth=1
	v_and_b32_e32 v15, 7, v6
	v_ffbh_u32_e32 v20, v15
	v_min_u32_e32 v43, 32, v20
	v_subrev_u32_e32 v20, 28, v43
	v_bfe_u32 v42, v6, 3, 4
	v_lshlrev_b64 v[20:21], v20, v[6:7]
	v_sub_u32_e32 v21, 29, v43
	v_cmp_eq_u32_e64 s[0:1], 0, v42
	v_and_b32_e32 v20, 7, v20
	v_lshlrev_b32_e32 v6, 8, v6
	v_cndmask_b32_e64 v21, v42, v21, s[0:1]
	v_cndmask_b32_e64 v15, v15, v20, s[0:1]
	v_lshl_add_u32 v20, v21, 10, v3
	v_and_or_b32 v6, v6, s23, v20
	v_lshl_or_b32 v6, v15, 7, v6
	v_cvt_f32_f16_e32 v20, v6
.LBB280_409:                            ;   in Loop: Header=BB280_299 Depth=1
	s_or_b64 exec, exec, s[16:17]
	v_lshrrev_b32_e32 v6, 16, v18
	v_cmp_gt_i16_sdwa s[12:13], v6, s21 src0_sel:BYTE_0 src1_sel:DWORD
	s_mov_b64 s[0:1], 0
                                        ; implicit-def: $sgpr18
	s_and_saveexec_b64 s[16:17], s[12:13]
	s_xor_b64 s[12:13], exec, s[16:17]
	s_cbranch_execnz .LBB280_539
; %bb.410:                              ;   in Loop: Header=BB280_299 Depth=1
	s_or_saveexec_b64 s[12:13], s[12:13]
	v_mov_b32_e32 v15, s18
	s_xor_b64 exec, exec, s[12:13]
	s_cbranch_execnz .LBB280_542
.LBB280_411:                            ;   in Loop: Header=BB280_299 Depth=1
	s_or_b64 exec, exec, s[12:13]
	s_and_saveexec_b64 s[12:13], s[0:1]
	s_cbranch_execz .LBB280_413
.LBB280_412:                            ;   in Loop: Header=BB280_299 Depth=1
	v_bfe_u32 v15, v18, 16, 3
	v_ffbh_u32_e32 v42, v15
	v_min_u32_e32 v44, 32, v42
	v_subrev_u32_e32 v42, 28, v44
	v_bfe_u32 v21, v18, 19, 4
	v_lshlrev_b64 v[42:43], v42, v[6:7]
	v_sub_u32_e32 v43, 29, v44
	v_cmp_eq_u32_e64 s[0:1], 0, v21
	v_and_b32_e32 v42, 7, v42
	v_lshlrev_b32_e32 v6, 8, v6
	v_cndmask_b32_e64 v21, v21, v43, s[0:1]
	v_lshl_add_u32 v21, v21, 10, v3
	v_cndmask_b32_e64 v15, v15, v42, s[0:1]
	v_and_or_b32 v6, v6, s23, v21
	v_lshl_or_b32 v6, v15, 7, v6
	v_cvt_f32_f16_e32 v15, v6
.LBB280_413:                            ;   in Loop: Header=BB280_299 Depth=1
	s_or_b64 exec, exec, s[12:13]
	v_lshrrev_b32_e32 v6, 24, v18
	v_cmp_lt_i16_e64 s[0:1], s21, v6
	s_mov_b64 s[12:13], 0
                                        ; implicit-def: $sgpr35
	s_and_saveexec_b64 s[16:17], s[0:1]
	s_xor_b64 s[16:17], exec, s[16:17]
	s_cbranch_execnz .LBB280_543
; %bb.414:                              ;   in Loop: Header=BB280_299 Depth=1
	s_or_saveexec_b64 s[16:17], s[16:17]
	v_mov_b32_e32 v21, s35
	s_xor_b64 exec, exec, s[16:17]
	s_cbranch_execnz .LBB280_546
.LBB280_415:                            ;   in Loop: Header=BB280_299 Depth=1
	s_or_b64 exec, exec, s[16:17]
	s_and_saveexec_b64 s[16:17], s[12:13]
	s_cbranch_execz .LBB280_417
.LBB280_416:                            ;   in Loop: Header=BB280_299 Depth=1
	v_bfe_u32 v21, v18, 24, 3
	v_ffbh_u32_e32 v42, v21
	v_min_u32_e32 v44, 32, v42
	v_subrev_u32_e32 v42, 28, v44
	v_bfe_u32 v18, v18, 27, 4
	v_lshlrev_b64 v[42:43], v42, v[6:7]
	v_sub_u32_e32 v43, 29, v44
	v_cmp_eq_u32_e64 s[0:1], 0, v18
	v_and_b32_e32 v42, 7, v42
	v_lshlrev_b32_e32 v6, 8, v6
	v_cndmask_b32_e64 v18, v18, v43, s[0:1]
	v_lshl_add_u32 v18, v18, 10, v3
	v_cndmask_b32_e64 v21, v21, v42, s[0:1]
	v_and_or_b32 v6, v6, s23, v18
	v_lshl_or_b32 v6, v21, 7, v6
	v_cvt_f32_f16_e32 v21, v6
.LBB280_417:                            ;   in Loop: Header=BB280_299 Depth=1
	s_or_b64 exec, exec, s[16:17]
	v_cmp_gt_i16_sdwa s[12:13], v19, s21 src0_sel:BYTE_0 src1_sel:DWORD
	s_mov_b64 s[0:1], 0
                                        ; implicit-def: $sgpr18
	s_and_saveexec_b64 s[16:17], s[12:13]
	s_xor_b64 s[12:13], exec, s[16:17]
	s_cbranch_execnz .LBB280_547
; %bb.418:                              ;   in Loop: Header=BB280_299 Depth=1
	s_or_saveexec_b64 s[12:13], s[12:13]
	v_mov_b32_e32 v18, s18
	s_xor_b64 exec, exec, s[12:13]
	s_cbranch_execnz .LBB280_550
.LBB280_419:                            ;   in Loop: Header=BB280_299 Depth=1
	s_or_b64 exec, exec, s[12:13]
	v_mov_b32_e32 v6, v19
	s_and_saveexec_b64 s[12:13], s[0:1]
	s_cbranch_execz .LBB280_421
.LBB280_420:                            ;   in Loop: Header=BB280_299 Depth=1
	v_and_b32_e32 v18, 7, v19
	v_ffbh_u32_e32 v18, v18
	v_bfe_u32 v42, v19, 3, 4
	v_min_u32_e32 v18, 32, v18
	v_subrev_u32_e32 v43, 28, v18
	v_sub_u32_e32 v18, 29, v18
	v_cmp_eq_u32_e64 s[0:1], 0, v42
	s_nop 1
	v_cndmask_b32_e64 v18, v42, v18, s[0:1]
	v_cndmask_b32_e64 v42, 0, v43, s[0:1]
	v_lshlrev_b64 v[42:43], v42, v[6:7]
	v_lshlrev_b32_e32 v43, 8, v19
	v_lshl_add_u32 v18, v18, 10, v3
	v_lshlrev_b32_e32 v42, 7, v42
	v_and_or_b32 v18, v43, s23, v18
	v_and_or_b32 v18, v42, s28, v18
	v_cvt_f32_f16_e32 v18, v18
.LBB280_421:                            ;   in Loop: Header=BB280_299 Depth=1
	s_or_b64 exec, exec, s[12:13]
	v_lshrrev_b16_e32 v6, 8, v6
	v_cmp_lt_i16_e64 s[0:1], s21, v6
	s_mov_b64 s[12:13], 0
                                        ; implicit-def: $sgpr35
	s_and_saveexec_b64 s[16:17], s[0:1]
	s_xor_b64 s[16:17], exec, s[16:17]
	s_cbranch_execnz .LBB280_551
; %bb.422:                              ;   in Loop: Header=BB280_299 Depth=1
	s_or_saveexec_b64 s[16:17], s[16:17]
	v_mov_b32_e32 v42, s35
	s_xor_b64 exec, exec, s[16:17]
	s_cbranch_execnz .LBB280_554
.LBB280_423:                            ;   in Loop: Header=BB280_299 Depth=1
	s_or_b64 exec, exec, s[16:17]
	s_and_saveexec_b64 s[16:17], s[12:13]
	s_cbranch_execz .LBB280_425
.LBB280_424:                            ;   in Loop: Header=BB280_299 Depth=1
	v_and_b32_e32 v44, 7, v6
	v_ffbh_u32_e32 v42, v44
	v_min_u32_e32 v46, 32, v42
	v_subrev_u32_e32 v42, 28, v46
	v_bfe_u32 v45, v6, 3, 4
	v_lshlrev_b64 v[42:43], v42, v[6:7]
	v_sub_u32_e32 v43, 29, v46
	v_cmp_eq_u32_e64 s[0:1], 0, v45
	v_and_b32_e32 v42, 7, v42
	v_lshlrev_b32_e32 v6, 8, v6
	v_cndmask_b32_e64 v43, v45, v43, s[0:1]
	v_lshl_add_u32 v43, v43, 10, v3
	v_cndmask_b32_e64 v42, v44, v42, s[0:1]
	v_and_or_b32 v6, v6, s23, v43
	v_lshl_or_b32 v6, v42, 7, v6
	v_cvt_f32_f16_e32 v42, v6
.LBB280_425:                            ;   in Loop: Header=BB280_299 Depth=1
	s_or_b64 exec, exec, s[16:17]
	v_lshrrev_b32_e32 v6, 16, v19
	v_cmp_gt_i16_sdwa s[12:13], v6, s21 src0_sel:BYTE_0 src1_sel:DWORD
	s_mov_b64 s[0:1], 0
                                        ; implicit-def: $sgpr18
	s_and_saveexec_b64 s[16:17], s[12:13]
	s_xor_b64 s[12:13], exec, s[16:17]
	s_cbranch_execnz .LBB280_555
; %bb.426:                              ;   in Loop: Header=BB280_299 Depth=1
	s_or_saveexec_b64 s[12:13], s[12:13]
	v_mov_b32_e32 v43, s18
	s_xor_b64 exec, exec, s[12:13]
	s_cbranch_execnz .LBB280_558
.LBB280_427:                            ;   in Loop: Header=BB280_299 Depth=1
	s_or_b64 exec, exec, s[12:13]
	s_and_saveexec_b64 s[12:13], s[0:1]
	s_cbranch_execz .LBB280_429
.LBB280_428:                            ;   in Loop: Header=BB280_299 Depth=1
	v_bfe_u32 v43, v19, 16, 3
	v_ffbh_u32_e32 v44, v43
	v_min_u32_e32 v47, 32, v44
	v_subrev_u32_e32 v44, 28, v47
	v_bfe_u32 v46, v19, 19, 4
	v_lshlrev_b64 v[44:45], v44, v[6:7]
	v_sub_u32_e32 v45, 29, v47
	v_cmp_eq_u32_e64 s[0:1], 0, v46
	v_and_b32_e32 v44, 7, v44
	v_lshlrev_b32_e32 v6, 8, v6
	v_cndmask_b32_e64 v45, v46, v45, s[0:1]
	v_cndmask_b32_e64 v43, v43, v44, s[0:1]
	v_lshl_add_u32 v44, v45, 10, v3
	v_and_or_b32 v6, v6, s23, v44
	v_lshl_or_b32 v6, v43, 7, v6
	v_cvt_f32_f16_e32 v43, v6
.LBB280_429:                            ;   in Loop: Header=BB280_299 Depth=1
	s_or_b64 exec, exec, s[12:13]
	v_lshrrev_b32_e32 v6, 24, v19
	v_cmp_lt_i16_e64 s[0:1], s21, v6
	s_mov_b64 s[12:13], 0
                                        ; implicit-def: $sgpr35
	s_and_saveexec_b64 s[16:17], s[0:1]
	s_xor_b64 s[16:17], exec, s[16:17]
	s_cbranch_execnz .LBB280_559
; %bb.430:                              ;   in Loop: Header=BB280_299 Depth=1
	s_or_saveexec_b64 s[16:17], s[16:17]
	v_mov_b32_e32 v44, s35
	s_xor_b64 exec, exec, s[16:17]
	s_cbranch_execnz .LBB280_562
.LBB280_431:                            ;   in Loop: Header=BB280_299 Depth=1
	s_or_b64 exec, exec, s[16:17]
	s_and_saveexec_b64 s[16:17], s[12:13]
	s_cbranch_execz .LBB280_433
.LBB280_432:                            ;   in Loop: Header=BB280_299 Depth=1
	v_bfe_u32 v46, v19, 24, 3
	v_ffbh_u32_e32 v44, v46
	v_min_u32_e32 v47, 32, v44
	v_subrev_u32_e32 v44, 28, v47
	v_bfe_u32 v19, v19, 27, 4
	v_lshlrev_b64 v[44:45], v44, v[6:7]
	v_sub_u32_e32 v45, 29, v47
	v_cmp_eq_u32_e64 s[0:1], 0, v19
	v_and_b32_e32 v44, 7, v44
	v_lshlrev_b32_e32 v6, 8, v6
	v_cndmask_b32_e64 v19, v19, v45, s[0:1]
	v_lshl_add_u32 v19, v19, 10, v3
	v_cndmask_b32_e64 v44, v46, v44, s[0:1]
	v_and_or_b32 v6, v6, s23, v19
	v_lshl_or_b32 v6, v44, 7, v6
	v_cvt_f32_f16_e32 v44, v6
.LBB280_433:                            ;   in Loop: Header=BB280_299 Depth=1
	s_or_b64 exec, exec, s[16:17]
	s_waitcnt vmcnt(0)
	v_pk_mul_f32 v[14:15], v[16:17], v[14:15] op_sel_hi:[0,1]
	v_cvt_f16_f32_e32 v15, v15
	v_cvt_f16_f32_e32 v14, v14
	v_pk_mul_f32 v[20:21], v[16:17], v[20:21] op_sel_hi:[0,1]
	v_cvt_f16_f32_e32 v6, v21
	v_cvt_f16_f32_e32 v19, v20
	v_pack_b32_f16 v14, v14, v15
	v_fma_mixlo_f16 v15, v16, v42, 0
	v_lshlrev_b32_e32 v15, 16, v15
	v_fma_mixlo_f16 v18, v16, v18, 0
	v_or_b32_sdwa v15, v15, v18 dst_sel:DWORD dst_unused:UNUSED_PAD src0_sel:DWORD src1_sel:WORD_0
	v_fma_mixlo_f16 v18, v16, v43, 0
	v_fma_mixlo_f16 v16, v16, v44, 0
	v_pack_b32_f16 v19, v19, v6
	v_lshlrev_b32_e32 v16, 16, v16
	v_perm_b32 v6, v14, v19, s30
	v_perm_b32 v14, v14, v19, s31
	v_or_b32_sdwa v16, v16, v18 dst_sel:DWORD dst_unused:UNUSED_PAD src0_sel:DWORD src1_sel:WORD_0
	s_and_saveexec_b64 s[0:1], vcc
	s_cbranch_execz .LBB280_298
; %bb.434:                              ;   in Loop: Header=BB280_299 Depth=1
	v_lshrrev_b32_e32 v19, 16, v14
	v_cmp_gt_i32_e32 vcc, s20, v33
	v_lshrrev_b32_e32 v16, 16, v16
	s_nop 0
	v_cndmask_b32_e32 v19, 0, v19, vcc
	v_cmp_gt_i32_e32 vcc, s29, v26
	s_nop 1
	v_cndmask_b32_e32 v14, 0, v14, vcc
	v_perm_b32 v14, v19, v14, s34
	v_lshrrev_b32_e32 v19, 16, v6
	v_cmp_gt_i32_e32 vcc, s20, v32
	s_nop 1
	v_cndmask_b32_e32 v19, 0, v19, vcc
	v_cmp_gt_i32_e32 vcc, s29, v31
	s_nop 1
	v_cndmask_b32_e32 v6, 0, v6, vcc
	v_perm_b32 v6, v19, v6, s34
	v_lshrrev_b32_e32 v19, 16, v15
	v_cmp_gt_i32_e32 vcc, s20, v30
	s_nop 1
	v_cndmask_b32_e32 v19, 0, v19, vcc
	v_cmp_gt_i32_e32 vcc, s29, v29
	s_nop 1
	v_cndmask_b32_e32 v15, 0, v15, vcc
	v_cmp_gt_i32_e32 vcc, s20, v28
	v_perm_b32 v15, v19, v15, s34
	s_nop 0
	v_cndmask_b32_e32 v16, 0, v16, vcc
	v_cmp_gt_i32_e32 vcc, s29, v27
	s_nop 1
	v_cndmask_b32_e32 v18, 0, v18, vcc
	v_perm_b32 v16, v16, v18, s34
	s_branch .LBB280_298
.LBB280_435:                            ;   in Loop: Header=BB280_299 Depth=1
	v_cmp_eq_u16_sdwa s[36:37], v18, s22 src0_sel:BYTE_0 src1_sel:DWORD
	s_mov_b64 s[0:1], -1
                                        ; implicit-def: $sgpr18
	s_and_saveexec_b64 s[16:17], s[36:37]
; %bb.436:                              ;   in Loop: Header=BB280_299 Depth=1
	s_mov_b32 s18, 0x7fc02000
	s_xor_b64 s[0:1], exec, -1
; %bb.437:                              ;   in Loop: Header=BB280_299 Depth=1
	s_or_b64 exec, exec, s[16:17]
	s_and_b64 s[0:1], s[0:1], exec
	s_or_saveexec_b64 s[12:13], s[12:13]
	v_mov_b32_e32 v20, s18
	s_xor_b64 exec, exec, s[12:13]
	s_cbranch_execz .LBB280_301
.LBB280_438:                            ;   in Loop: Header=BB280_299 Depth=1
	v_cmp_ne_u16_sdwa s[16:17], v18, v7 src0_sel:BYTE_0 src1_sel:DWORD
	s_andn2_b64 s[0:1], s[0:1], exec
	s_and_b64 s[16:17], s[16:17], exec
	v_mov_b32_e32 v20, 0
	s_or_b64 s[0:1], s[0:1], s[16:17]
	s_or_b64 exec, exec, s[12:13]
	s_and_saveexec_b64 s[12:13], s[0:1]
	s_cbranch_execnz .LBB280_302
	s_branch .LBB280_303
.LBB280_439:                            ;   in Loop: Header=BB280_299 Depth=1
	v_cmp_eq_u16_e32 vcc, s22, v6
	s_mov_b64 s[0:1], -1
                                        ; implicit-def: $sgpr18
	s_and_saveexec_b64 s[16:17], vcc
; %bb.440:                              ;   in Loop: Header=BB280_299 Depth=1
	s_mov_b32 s18, 0x7fc02000
	s_xor_b64 s[0:1], exec, -1
; %bb.441:                              ;   in Loop: Header=BB280_299 Depth=1
	s_or_b64 exec, exec, s[16:17]
	s_and_b64 s[0:1], s[0:1], exec
	s_or_saveexec_b64 s[12:13], s[12:13]
	v_mov_b32_e32 v22, s18
	s_xor_b64 exec, exec, s[12:13]
	s_cbranch_execz .LBB280_305
.LBB280_442:                            ;   in Loop: Header=BB280_299 Depth=1
	v_cmp_ne_u16_e32 vcc, 0, v6
	s_andn2_b64 s[0:1], s[0:1], exec
	s_and_b64 s[16:17], vcc, exec
	v_mov_b32_e32 v22, 0
	s_or_b64 s[0:1], s[0:1], s[16:17]
	s_or_b64 exec, exec, s[12:13]
	s_and_saveexec_b64 s[12:13], s[0:1]
	s_cbranch_execnz .LBB280_306
	s_branch .LBB280_307
.LBB280_443:                            ;   in Loop: Header=BB280_299 Depth=1
	v_cmp_eq_u16_sdwa s[36:37], v6, s22 src0_sel:BYTE_0 src1_sel:DWORD
	s_mov_b64 s[0:1], -1
                                        ; implicit-def: $sgpr18
	s_and_saveexec_b64 s[16:17], s[36:37]
; %bb.444:                              ;   in Loop: Header=BB280_299 Depth=1
	s_mov_b32 s18, 0x7fc02000
	s_xor_b64 s[0:1], exec, -1
; %bb.445:                              ;   in Loop: Header=BB280_299 Depth=1
	s_or_b64 exec, exec, s[16:17]
	s_and_b64 s[0:1], s[0:1], exec
	s_or_saveexec_b64 s[12:13], s[12:13]
	v_mov_b32_e32 v21, s18
	s_xor_b64 exec, exec, s[12:13]
	s_cbranch_execz .LBB280_309
.LBB280_446:                            ;   in Loop: Header=BB280_299 Depth=1
	v_cmp_ne_u16_sdwa s[16:17], v6, v7 src0_sel:BYTE_0 src1_sel:DWORD
	s_andn2_b64 s[0:1], s[0:1], exec
	s_and_b64 s[16:17], s[16:17], exec
	v_mov_b32_e32 v21, 0
	s_or_b64 s[0:1], s[0:1], s[16:17]
	s_or_b64 exec, exec, s[12:13]
	s_and_saveexec_b64 s[12:13], s[0:1]
	s_cbranch_execnz .LBB280_310
	s_branch .LBB280_311
.LBB280_447:                            ;   in Loop: Header=BB280_299 Depth=1
	v_cmp_eq_u16_e32 vcc, s22, v6
	s_mov_b64 s[0:1], -1
                                        ; implicit-def: $sgpr18
	s_and_saveexec_b64 s[16:17], vcc
; %bb.448:                              ;   in Loop: Header=BB280_299 Depth=1
	s_mov_b32 s18, 0x7fc02000
	s_xor_b64 s[0:1], exec, -1
; %bb.449:                              ;   in Loop: Header=BB280_299 Depth=1
	s_or_b64 exec, exec, s[16:17]
	s_and_b64 s[0:1], s[0:1], exec
	s_or_saveexec_b64 s[12:13], s[12:13]
	v_mov_b32_e32 v23, s18
	s_xor_b64 exec, exec, s[12:13]
	s_cbranch_execz .LBB280_313
.LBB280_450:                            ;   in Loop: Header=BB280_299 Depth=1
	v_cmp_ne_u16_e32 vcc, 0, v6
	s_andn2_b64 s[0:1], s[0:1], exec
	s_and_b64 s[16:17], vcc, exec
	v_mov_b32_e32 v23, 0
	s_or_b64 s[0:1], s[0:1], s[16:17]
	s_or_b64 exec, exec, s[12:13]
	s_and_saveexec_b64 s[12:13], s[0:1]
	s_cbranch_execnz .LBB280_314
	s_branch .LBB280_315
.LBB280_451:                            ;   in Loop: Header=BB280_299 Depth=1
	v_cmp_eq_u16_sdwa s[36:37], v19, s22 src0_sel:BYTE_0 src1_sel:DWORD
	s_mov_b64 s[0:1], -1
                                        ; implicit-def: $sgpr18
	s_and_saveexec_b64 s[16:17], s[36:37]
; %bb.452:                              ;   in Loop: Header=BB280_299 Depth=1
	s_mov_b32 s18, 0x7fc02000
	s_xor_b64 s[0:1], exec, -1
; %bb.453:                              ;   in Loop: Header=BB280_299 Depth=1
	s_or_b64 exec, exec, s[16:17]
	s_and_b64 s[0:1], s[0:1], exec
	s_or_saveexec_b64 s[12:13], s[12:13]
	v_mov_b32_e32 v18, s18
	s_xor_b64 exec, exec, s[12:13]
	s_cbranch_execz .LBB280_317
.LBB280_454:                            ;   in Loop: Header=BB280_299 Depth=1
	v_cmp_ne_u16_sdwa s[16:17], v19, v7 src0_sel:BYTE_0 src1_sel:DWORD
	s_andn2_b64 s[0:1], s[0:1], exec
	s_and_b64 s[16:17], s[16:17], exec
	v_mov_b32_e32 v18, 0
	s_or_b64 s[0:1], s[0:1], s[16:17]
	s_or_b64 exec, exec, s[12:13]
	v_mov_b32_e32 v6, v19
	s_and_saveexec_b64 s[12:13], s[0:1]
	s_cbranch_execnz .LBB280_318
	s_branch .LBB280_319
.LBB280_455:                            ;   in Loop: Header=BB280_299 Depth=1
	v_cmp_eq_u16_e32 vcc, s22, v6
	s_mov_b64 s[0:1], -1
                                        ; implicit-def: $sgpr18
	s_and_saveexec_b64 s[16:17], vcc
; %bb.456:                              ;   in Loop: Header=BB280_299 Depth=1
	s_mov_b32 s18, 0x7fc02000
	s_xor_b64 s[0:1], exec, -1
; %bb.457:                              ;   in Loop: Header=BB280_299 Depth=1
	s_or_b64 exec, exec, s[16:17]
	s_and_b64 s[0:1], s[0:1], exec
	s_or_saveexec_b64 s[12:13], s[12:13]
	v_mov_b32_e32 v27, s18
	s_xor_b64 exec, exec, s[12:13]
	s_cbranch_execz .LBB280_321
.LBB280_458:                            ;   in Loop: Header=BB280_299 Depth=1
	v_cmp_ne_u16_e32 vcc, 0, v6
	s_andn2_b64 s[0:1], s[0:1], exec
	s_and_b64 s[16:17], vcc, exec
	v_mov_b32_e32 v27, 0
	s_or_b64 s[0:1], s[0:1], s[16:17]
	s_or_b64 exec, exec, s[12:13]
	s_and_saveexec_b64 s[12:13], s[0:1]
	s_cbranch_execnz .LBB280_322
	s_branch .LBB280_323
.LBB280_459:                            ;   in Loop: Header=BB280_299 Depth=1
	v_cmp_eq_u16_sdwa s[36:37], v6, s22 src0_sel:BYTE_0 src1_sel:DWORD
	s_mov_b64 s[0:1], -1
                                        ; implicit-def: $sgpr18
	s_and_saveexec_b64 s[16:17], s[36:37]
; %bb.460:                              ;   in Loop: Header=BB280_299 Depth=1
	s_mov_b32 s18, 0x7fc02000
	s_xor_b64 s[0:1], exec, -1
; %bb.461:                              ;   in Loop: Header=BB280_299 Depth=1
	s_or_b64 exec, exec, s[16:17]
	s_and_b64 s[0:1], s[0:1], exec
	s_or_saveexec_b64 s[12:13], s[12:13]
	v_mov_b32_e32 v28, s18
	s_xor_b64 exec, exec, s[12:13]
	s_cbranch_execz .LBB280_325
.LBB280_462:                            ;   in Loop: Header=BB280_299 Depth=1
	v_cmp_ne_u16_sdwa s[16:17], v6, v7 src0_sel:BYTE_0 src1_sel:DWORD
	s_andn2_b64 s[0:1], s[0:1], exec
	s_and_b64 s[16:17], s[16:17], exec
	v_mov_b32_e32 v28, 0
	s_or_b64 s[0:1], s[0:1], s[16:17]
	s_or_b64 exec, exec, s[12:13]
	s_and_saveexec_b64 s[12:13], s[0:1]
	s_cbranch_execnz .LBB280_326
	s_branch .LBB280_327
.LBB280_463:                            ;   in Loop: Header=BB280_299 Depth=1
	v_cmp_eq_u16_e32 vcc, s22, v6
	s_mov_b64 s[0:1], -1
                                        ; implicit-def: $sgpr18
	s_and_saveexec_b64 s[16:17], vcc
; %bb.464:                              ;   in Loop: Header=BB280_299 Depth=1
	s_mov_b32 s18, 0x7fc02000
	s_xor_b64 s[0:1], exec, -1
; %bb.465:                              ;   in Loop: Header=BB280_299 Depth=1
	s_or_b64 exec, exec, s[16:17]
	s_and_b64 s[0:1], s[0:1], exec
	s_or_saveexec_b64 s[12:13], s[12:13]
	v_mov_b32_e32 v29, s18
	s_xor_b64 exec, exec, s[12:13]
	s_cbranch_execz .LBB280_329
.LBB280_466:                            ;   in Loop: Header=BB280_299 Depth=1
	v_cmp_ne_u16_e32 vcc, 0, v6
	s_andn2_b64 s[0:1], s[0:1], exec
	s_and_b64 s[16:17], vcc, exec
	v_mov_b32_e32 v29, 0
	s_or_b64 s[0:1], s[0:1], s[16:17]
	s_or_b64 exec, exec, s[12:13]
	s_and_saveexec_b64 s[12:13], s[0:1]
	s_cbranch_execnz .LBB280_330
	s_branch .LBB280_331
.LBB280_467:                            ;   in Loop: Header=BB280_299 Depth=1
	v_cmp_eq_u16_sdwa s[36:37], v18, s22 src0_sel:BYTE_0 src1_sel:DWORD
	s_mov_b64 s[0:1], -1
                                        ; implicit-def: $sgpr18
	s_and_saveexec_b64 s[16:17], s[36:37]
; %bb.468:                              ;   in Loop: Header=BB280_299 Depth=1
	s_mov_b32 s18, 0x7fc02000
	s_xor_b64 s[0:1], exec, -1
; %bb.469:                              ;   in Loop: Header=BB280_299 Depth=1
	s_or_b64 exec, exec, s[16:17]
	s_and_b64 s[0:1], s[0:1], exec
	s_or_saveexec_b64 s[12:13], s[12:13]
	v_mov_b32_e32 v20, s18
	s_xor_b64 exec, exec, s[12:13]
	s_cbranch_execz .LBB280_335
.LBB280_470:                            ;   in Loop: Header=BB280_299 Depth=1
	v_cmp_ne_u16_sdwa s[16:17], v18, v7 src0_sel:BYTE_0 src1_sel:DWORD
	s_andn2_b64 s[0:1], s[0:1], exec
	s_and_b64 s[16:17], s[16:17], exec
	v_mov_b32_e32 v20, 0
	s_or_b64 s[0:1], s[0:1], s[16:17]
	s_or_b64 exec, exec, s[12:13]
	s_and_saveexec_b64 s[12:13], s[0:1]
	s_cbranch_execnz .LBB280_336
	s_branch .LBB280_337
.LBB280_471:                            ;   in Loop: Header=BB280_299 Depth=1
	v_cmp_eq_u16_e64 s[0:1], s22, v6
	s_mov_b64 s[12:13], -1
                                        ; implicit-def: $sgpr35
	s_and_saveexec_b64 s[18:19], s[0:1]
; %bb.472:                              ;   in Loop: Header=BB280_299 Depth=1
	s_mov_b32 s35, 0x7fc02000
	s_xor_b64 s[12:13], exec, -1
; %bb.473:                              ;   in Loop: Header=BB280_299 Depth=1
	s_or_b64 exec, exec, s[18:19]
	s_and_b64 s[12:13], s[12:13], exec
	s_or_saveexec_b64 s[16:17], s[16:17]
	v_mov_b32_e32 v22, s35
	s_xor_b64 exec, exec, s[16:17]
	s_cbranch_execz .LBB280_339
.LBB280_474:                            ;   in Loop: Header=BB280_299 Depth=1
	v_cmp_ne_u16_e64 s[0:1], 0, v6
	s_andn2_b64 s[12:13], s[12:13], exec
	s_and_b64 s[0:1], s[0:1], exec
	v_mov_b32_e32 v22, 0
	s_or_b64 s[12:13], s[12:13], s[0:1]
	s_or_b64 exec, exec, s[16:17]
	s_and_saveexec_b64 s[16:17], s[12:13]
	s_cbranch_execnz .LBB280_340
	s_branch .LBB280_341
.LBB280_475:                            ;   in Loop: Header=BB280_299 Depth=1
	v_cmp_eq_u16_sdwa s[36:37], v6, s22 src0_sel:BYTE_0 src1_sel:DWORD
	s_mov_b64 s[0:1], -1
                                        ; implicit-def: $sgpr18
	s_and_saveexec_b64 s[16:17], s[36:37]
; %bb.476:                              ;   in Loop: Header=BB280_299 Depth=1
	s_mov_b32 s18, 0x7fc02000
	s_xor_b64 s[0:1], exec, -1
; %bb.477:                              ;   in Loop: Header=BB280_299 Depth=1
	s_or_b64 exec, exec, s[16:17]
	s_and_b64 s[0:1], s[0:1], exec
	s_or_saveexec_b64 s[12:13], s[12:13]
	v_mov_b32_e32 v21, s18
	s_xor_b64 exec, exec, s[12:13]
	s_cbranch_execz .LBB280_343
.LBB280_478:                            ;   in Loop: Header=BB280_299 Depth=1
	v_cmp_ne_u16_sdwa s[16:17], v6, v7 src0_sel:BYTE_0 src1_sel:DWORD
	s_andn2_b64 s[0:1], s[0:1], exec
	s_and_b64 s[16:17], s[16:17], exec
	v_mov_b32_e32 v21, 0
	s_or_b64 s[0:1], s[0:1], s[16:17]
	s_or_b64 exec, exec, s[12:13]
	s_and_saveexec_b64 s[12:13], s[0:1]
	s_cbranch_execnz .LBB280_344
	s_branch .LBB280_345
.LBB280_479:                            ;   in Loop: Header=BB280_299 Depth=1
	v_cmp_eq_u16_e64 s[0:1], s22, v6
	s_mov_b64 s[12:13], -1
                                        ; implicit-def: $sgpr35
	s_and_saveexec_b64 s[18:19], s[0:1]
; %bb.480:                              ;   in Loop: Header=BB280_299 Depth=1
	s_mov_b32 s35, 0x7fc02000
	s_xor_b64 s[12:13], exec, -1
; %bb.481:                              ;   in Loop: Header=BB280_299 Depth=1
	s_or_b64 exec, exec, s[18:19]
	s_and_b64 s[12:13], s[12:13], exec
	s_or_saveexec_b64 s[16:17], s[16:17]
	v_mov_b32_e32 v23, s35
	s_xor_b64 exec, exec, s[16:17]
	s_cbranch_execz .LBB280_347
.LBB280_482:                            ;   in Loop: Header=BB280_299 Depth=1
	v_cmp_ne_u16_e64 s[0:1], 0, v6
	s_andn2_b64 s[12:13], s[12:13], exec
	s_and_b64 s[0:1], s[0:1], exec
	v_mov_b32_e32 v23, 0
	s_or_b64 s[12:13], s[12:13], s[0:1]
	s_or_b64 exec, exec, s[16:17]
	s_and_saveexec_b64 s[16:17], s[12:13]
	s_cbranch_execnz .LBB280_348
	s_branch .LBB280_349
.LBB280_483:                            ;   in Loop: Header=BB280_299 Depth=1
	v_cmp_eq_u16_sdwa s[36:37], v19, s22 src0_sel:BYTE_0 src1_sel:DWORD
	s_mov_b64 s[0:1], -1
                                        ; implicit-def: $sgpr18
	s_and_saveexec_b64 s[16:17], s[36:37]
; %bb.484:                              ;   in Loop: Header=BB280_299 Depth=1
	s_mov_b32 s18, 0x7fc02000
	s_xor_b64 s[0:1], exec, -1
; %bb.485:                              ;   in Loop: Header=BB280_299 Depth=1
	s_or_b64 exec, exec, s[16:17]
	s_and_b64 s[0:1], s[0:1], exec
	s_or_saveexec_b64 s[12:13], s[12:13]
	v_mov_b32_e32 v18, s18
	s_xor_b64 exec, exec, s[12:13]
	s_cbranch_execz .LBB280_351
.LBB280_486:                            ;   in Loop: Header=BB280_299 Depth=1
	v_cmp_ne_u16_sdwa s[16:17], v19, v7 src0_sel:BYTE_0 src1_sel:DWORD
	s_andn2_b64 s[0:1], s[0:1], exec
	s_and_b64 s[16:17], s[16:17], exec
	v_mov_b32_e32 v18, 0
	s_or_b64 s[0:1], s[0:1], s[16:17]
	s_or_b64 exec, exec, s[12:13]
	v_mov_b32_e32 v6, v19
	s_and_saveexec_b64 s[12:13], s[0:1]
	s_cbranch_execnz .LBB280_352
	s_branch .LBB280_353
.LBB280_487:                            ;   in Loop: Header=BB280_299 Depth=1
	v_cmp_eq_u16_e64 s[0:1], s22, v6
	s_mov_b64 s[12:13], -1
                                        ; implicit-def: $sgpr35
	s_and_saveexec_b64 s[18:19], s[0:1]
; %bb.488:                              ;   in Loop: Header=BB280_299 Depth=1
	s_mov_b32 s35, 0x7fc02000
	s_xor_b64 s[12:13], exec, -1
; %bb.489:                              ;   in Loop: Header=BB280_299 Depth=1
	s_or_b64 exec, exec, s[18:19]
	s_and_b64 s[12:13], s[12:13], exec
	s_or_saveexec_b64 s[16:17], s[16:17]
	v_mov_b32_e32 v40, s35
	s_xor_b64 exec, exec, s[16:17]
	s_cbranch_execz .LBB280_355
.LBB280_490:                            ;   in Loop: Header=BB280_299 Depth=1
	v_cmp_ne_u16_e64 s[0:1], 0, v6
	s_andn2_b64 s[12:13], s[12:13], exec
	s_and_b64 s[0:1], s[0:1], exec
	v_mov_b32_e32 v40, 0
	s_or_b64 s[12:13], s[12:13], s[0:1]
	s_or_b64 exec, exec, s[16:17]
	s_and_saveexec_b64 s[16:17], s[12:13]
	s_cbranch_execnz .LBB280_356
	s_branch .LBB280_357
.LBB280_491:                            ;   in Loop: Header=BB280_299 Depth=1
	v_cmp_eq_u16_sdwa s[36:37], v6, s22 src0_sel:BYTE_0 src1_sel:DWORD
	s_mov_b64 s[0:1], -1
                                        ; implicit-def: $sgpr18
	s_and_saveexec_b64 s[16:17], s[36:37]
; %bb.492:                              ;   in Loop: Header=BB280_299 Depth=1
	s_mov_b32 s18, 0x7fc02000
	s_xor_b64 s[0:1], exec, -1
; %bb.493:                              ;   in Loop: Header=BB280_299 Depth=1
	s_or_b64 exec, exec, s[16:17]
	s_and_b64 s[0:1], s[0:1], exec
	s_or_saveexec_b64 s[12:13], s[12:13]
	v_mov_b32_e32 v41, s18
	s_xor_b64 exec, exec, s[12:13]
	s_cbranch_execz .LBB280_359
.LBB280_494:                            ;   in Loop: Header=BB280_299 Depth=1
	v_cmp_ne_u16_sdwa s[16:17], v6, v7 src0_sel:BYTE_0 src1_sel:DWORD
	s_andn2_b64 s[0:1], s[0:1], exec
	s_and_b64 s[16:17], s[16:17], exec
	v_mov_b32_e32 v41, 0
	s_or_b64 s[0:1], s[0:1], s[16:17]
	s_or_b64 exec, exec, s[12:13]
	s_and_saveexec_b64 s[12:13], s[0:1]
	s_cbranch_execnz .LBB280_360
	s_branch .LBB280_361
.LBB280_495:                            ;   in Loop: Header=BB280_299 Depth=1
	v_cmp_eq_u16_e64 s[0:1], s22, v6
	s_mov_b64 s[12:13], -1
                                        ; implicit-def: $sgpr35
	s_and_saveexec_b64 s[18:19], s[0:1]
; %bb.496:                              ;   in Loop: Header=BB280_299 Depth=1
	s_mov_b32 s35, 0x7fc02000
	s_xor_b64 s[12:13], exec, -1
; %bb.497:                              ;   in Loop: Header=BB280_299 Depth=1
	s_or_b64 exec, exec, s[18:19]
	s_and_b64 s[12:13], s[12:13], exec
	s_or_saveexec_b64 s[16:17], s[16:17]
	v_mov_b32_e32 v42, s35
	s_xor_b64 exec, exec, s[16:17]
	s_cbranch_execz .LBB280_363
.LBB280_498:                            ;   in Loop: Header=BB280_299 Depth=1
	v_cmp_ne_u16_e64 s[0:1], 0, v6
	s_andn2_b64 s[12:13], s[12:13], exec
	s_and_b64 s[0:1], s[0:1], exec
	v_mov_b32_e32 v42, 0
	s_or_b64 s[12:13], s[12:13], s[0:1]
	s_or_b64 exec, exec, s[16:17]
	s_and_saveexec_b64 s[16:17], s[12:13]
	s_cbranch_execnz .LBB280_364
	s_branch .LBB280_365
.LBB280_499:                            ;   in Loop: Header=BB280_299 Depth=1
	v_cmp_eq_u16_sdwa s[36:37], v18, s22 src0_sel:BYTE_0 src1_sel:DWORD
	s_mov_b64 s[0:1], -1
                                        ; implicit-def: $sgpr18
	s_and_saveexec_b64 s[16:17], s[36:37]
; %bb.500:                              ;   in Loop: Header=BB280_299 Depth=1
	s_mov_b32 s18, 0x7fc02000
	s_xor_b64 s[0:1], exec, -1
; %bb.501:                              ;   in Loop: Header=BB280_299 Depth=1
	s_or_b64 exec, exec, s[16:17]
	s_and_b64 s[0:1], s[0:1], exec
	s_or_saveexec_b64 s[12:13], s[12:13]
	v_mov_b32_e32 v20, s18
	s_xor_b64 exec, exec, s[12:13]
	s_cbranch_execz .LBB280_369
.LBB280_502:                            ;   in Loop: Header=BB280_299 Depth=1
	v_cmp_ne_u16_sdwa s[16:17], v18, v7 src0_sel:BYTE_0 src1_sel:DWORD
	s_andn2_b64 s[0:1], s[0:1], exec
	s_and_b64 s[16:17], s[16:17], exec
	v_mov_b32_e32 v20, 0
	s_or_b64 s[0:1], s[0:1], s[16:17]
	s_or_b64 exec, exec, s[12:13]
	s_and_saveexec_b64 s[12:13], s[0:1]
	s_cbranch_execnz .LBB280_370
	s_branch .LBB280_371
.LBB280_503:                            ;   in Loop: Header=BB280_299 Depth=1
	v_cmp_eq_u16_e64 s[0:1], s22, v6
	s_mov_b64 s[12:13], -1
                                        ; implicit-def: $sgpr35
	s_and_saveexec_b64 s[18:19], s[0:1]
; %bb.504:                              ;   in Loop: Header=BB280_299 Depth=1
	s_mov_b32 s35, 0x7fc02000
	s_xor_b64 s[12:13], exec, -1
; %bb.505:                              ;   in Loop: Header=BB280_299 Depth=1
	s_or_b64 exec, exec, s[18:19]
	s_and_b64 s[12:13], s[12:13], exec
	s_or_saveexec_b64 s[16:17], s[16:17]
	v_mov_b32_e32 v22, s35
	s_xor_b64 exec, exec, s[16:17]
	s_cbranch_execz .LBB280_373
.LBB280_506:                            ;   in Loop: Header=BB280_299 Depth=1
	v_cmp_ne_u16_e64 s[0:1], 0, v6
	s_andn2_b64 s[12:13], s[12:13], exec
	s_and_b64 s[0:1], s[0:1], exec
	v_mov_b32_e32 v22, 0
	s_or_b64 s[12:13], s[12:13], s[0:1]
	s_or_b64 exec, exec, s[16:17]
	s_and_saveexec_b64 s[16:17], s[12:13]
	s_cbranch_execnz .LBB280_374
	s_branch .LBB280_375
.LBB280_507:                            ;   in Loop: Header=BB280_299 Depth=1
	v_cmp_eq_u16_sdwa s[36:37], v6, s22 src0_sel:BYTE_0 src1_sel:DWORD
	s_mov_b64 s[0:1], -1
                                        ; implicit-def: $sgpr18
	s_and_saveexec_b64 s[16:17], s[36:37]
; %bb.508:                              ;   in Loop: Header=BB280_299 Depth=1
	s_mov_b32 s18, 0x7fc02000
	s_xor_b64 s[0:1], exec, -1
; %bb.509:                              ;   in Loop: Header=BB280_299 Depth=1
	s_or_b64 exec, exec, s[16:17]
	s_and_b64 s[0:1], s[0:1], exec
	s_or_saveexec_b64 s[12:13], s[12:13]
	v_mov_b32_e32 v21, s18
	s_xor_b64 exec, exec, s[12:13]
	s_cbranch_execz .LBB280_377
.LBB280_510:                            ;   in Loop: Header=BB280_299 Depth=1
	v_cmp_ne_u16_sdwa s[16:17], v6, v7 src0_sel:BYTE_0 src1_sel:DWORD
	s_andn2_b64 s[0:1], s[0:1], exec
	s_and_b64 s[16:17], s[16:17], exec
	v_mov_b32_e32 v21, 0
	s_or_b64 s[0:1], s[0:1], s[16:17]
	s_or_b64 exec, exec, s[12:13]
	s_and_saveexec_b64 s[12:13], s[0:1]
	s_cbranch_execnz .LBB280_378
	s_branch .LBB280_379
.LBB280_511:                            ;   in Loop: Header=BB280_299 Depth=1
	v_cmp_eq_u16_e64 s[0:1], s22, v6
	s_mov_b64 s[12:13], -1
                                        ; implicit-def: $sgpr35
	s_and_saveexec_b64 s[18:19], s[0:1]
; %bb.512:                              ;   in Loop: Header=BB280_299 Depth=1
	s_mov_b32 s35, 0x7fc02000
	s_xor_b64 s[12:13], exec, -1
; %bb.513:                              ;   in Loop: Header=BB280_299 Depth=1
	s_or_b64 exec, exec, s[18:19]
	s_and_b64 s[12:13], s[12:13], exec
	s_or_saveexec_b64 s[16:17], s[16:17]
	v_mov_b32_e32 v23, s35
	s_xor_b64 exec, exec, s[16:17]
	s_cbranch_execz .LBB280_381
.LBB280_514:                            ;   in Loop: Header=BB280_299 Depth=1
	v_cmp_ne_u16_e64 s[0:1], 0, v6
	s_andn2_b64 s[12:13], s[12:13], exec
	s_and_b64 s[0:1], s[0:1], exec
	v_mov_b32_e32 v23, 0
	s_or_b64 s[12:13], s[12:13], s[0:1]
	s_or_b64 exec, exec, s[16:17]
	s_and_saveexec_b64 s[16:17], s[12:13]
	s_cbranch_execnz .LBB280_382
	s_branch .LBB280_383
.LBB280_515:                            ;   in Loop: Header=BB280_299 Depth=1
	v_cmp_eq_u16_sdwa s[36:37], v19, s22 src0_sel:BYTE_0 src1_sel:DWORD
	s_mov_b64 s[0:1], -1
                                        ; implicit-def: $sgpr18
	s_and_saveexec_b64 s[16:17], s[36:37]
; %bb.516:                              ;   in Loop: Header=BB280_299 Depth=1
	s_mov_b32 s18, 0x7fc02000
	s_xor_b64 s[0:1], exec, -1
; %bb.517:                              ;   in Loop: Header=BB280_299 Depth=1
	s_or_b64 exec, exec, s[16:17]
	s_and_b64 s[0:1], s[0:1], exec
	s_or_saveexec_b64 s[12:13], s[12:13]
	v_mov_b32_e32 v18, s18
	s_xor_b64 exec, exec, s[12:13]
	s_cbranch_execz .LBB280_385
.LBB280_518:                            ;   in Loop: Header=BB280_299 Depth=1
	v_cmp_ne_u16_sdwa s[16:17], v19, v7 src0_sel:BYTE_0 src1_sel:DWORD
	s_andn2_b64 s[0:1], s[0:1], exec
	s_and_b64 s[16:17], s[16:17], exec
	v_mov_b32_e32 v18, 0
	s_or_b64 s[0:1], s[0:1], s[16:17]
	s_or_b64 exec, exec, s[12:13]
	v_mov_b32_e32 v6, v19
	s_and_saveexec_b64 s[12:13], s[0:1]
	s_cbranch_execnz .LBB280_386
	s_branch .LBB280_387
.LBB280_519:                            ;   in Loop: Header=BB280_299 Depth=1
	v_cmp_eq_u16_e64 s[0:1], s22, v6
	s_mov_b64 s[12:13], -1
                                        ; implicit-def: $sgpr35
	s_and_saveexec_b64 s[18:19], s[0:1]
; %bb.520:                              ;   in Loop: Header=BB280_299 Depth=1
	s_mov_b32 s35, 0x7fc02000
	s_xor_b64 s[12:13], exec, -1
; %bb.521:                              ;   in Loop: Header=BB280_299 Depth=1
	s_or_b64 exec, exec, s[18:19]
	s_and_b64 s[12:13], s[12:13], exec
	s_or_saveexec_b64 s[16:17], s[16:17]
	v_mov_b32_e32 v42, s35
	s_xor_b64 exec, exec, s[16:17]
	s_cbranch_execz .LBB280_389
.LBB280_522:                            ;   in Loop: Header=BB280_299 Depth=1
	v_cmp_ne_u16_e64 s[0:1], 0, v6
	s_andn2_b64 s[12:13], s[12:13], exec
	s_and_b64 s[0:1], s[0:1], exec
	v_mov_b32_e32 v42, 0
	s_or_b64 s[12:13], s[12:13], s[0:1]
	s_or_b64 exec, exec, s[16:17]
	s_and_saveexec_b64 s[16:17], s[12:13]
	s_cbranch_execnz .LBB280_390
	s_branch .LBB280_391
.LBB280_523:                            ;   in Loop: Header=BB280_299 Depth=1
	v_cmp_eq_u16_sdwa s[36:37], v6, s22 src0_sel:BYTE_0 src1_sel:DWORD
	s_mov_b64 s[0:1], -1
                                        ; implicit-def: $sgpr18
	s_and_saveexec_b64 s[16:17], s[36:37]
; %bb.524:                              ;   in Loop: Header=BB280_299 Depth=1
	s_mov_b32 s18, 0x7fc02000
	s_xor_b64 s[0:1], exec, -1
; %bb.525:                              ;   in Loop: Header=BB280_299 Depth=1
	s_or_b64 exec, exec, s[16:17]
	s_and_b64 s[0:1], s[0:1], exec
	s_or_saveexec_b64 s[12:13], s[12:13]
	v_mov_b32_e32 v43, s18
	s_xor_b64 exec, exec, s[12:13]
	s_cbranch_execz .LBB280_393
.LBB280_526:                            ;   in Loop: Header=BB280_299 Depth=1
	v_cmp_ne_u16_sdwa s[16:17], v6, v7 src0_sel:BYTE_0 src1_sel:DWORD
	s_andn2_b64 s[0:1], s[0:1], exec
	s_and_b64 s[16:17], s[16:17], exec
	v_mov_b32_e32 v43, 0
	s_or_b64 s[0:1], s[0:1], s[16:17]
	s_or_b64 exec, exec, s[12:13]
	s_and_saveexec_b64 s[12:13], s[0:1]
	s_cbranch_execnz .LBB280_394
	s_branch .LBB280_395
.LBB280_527:                            ;   in Loop: Header=BB280_299 Depth=1
	v_cmp_eq_u16_e64 s[0:1], s22, v6
	s_mov_b64 s[12:13], -1
                                        ; implicit-def: $sgpr35
	s_and_saveexec_b64 s[18:19], s[0:1]
; %bb.528:                              ;   in Loop: Header=BB280_299 Depth=1
	s_mov_b32 s35, 0x7fc02000
	s_xor_b64 s[12:13], exec, -1
; %bb.529:                              ;   in Loop: Header=BB280_299 Depth=1
	s_or_b64 exec, exec, s[18:19]
	s_and_b64 s[12:13], s[12:13], exec
	s_or_saveexec_b64 s[16:17], s[16:17]
	v_mov_b32_e32 v44, s35
	s_xor_b64 exec, exec, s[16:17]
	s_cbranch_execz .LBB280_397
.LBB280_530:                            ;   in Loop: Header=BB280_299 Depth=1
	v_cmp_ne_u16_e64 s[0:1], 0, v6
	s_andn2_b64 s[12:13], s[12:13], exec
	s_and_b64 s[0:1], s[0:1], exec
	v_mov_b32_e32 v44, 0
	s_or_b64 s[12:13], s[12:13], s[0:1]
	s_or_b64 exec, exec, s[16:17]
	s_and_saveexec_b64 s[16:17], s[12:13]
	s_cbranch_execnz .LBB280_398
	s_branch .LBB280_399
.LBB280_531:                            ;   in Loop: Header=BB280_299 Depth=1
	v_cmp_eq_u16_sdwa s[36:37], v18, s22 src0_sel:BYTE_0 src1_sel:DWORD
	s_mov_b64 s[0:1], -1
                                        ; implicit-def: $sgpr18
	s_and_saveexec_b64 s[16:17], s[36:37]
; %bb.532:                              ;   in Loop: Header=BB280_299 Depth=1
	s_mov_b32 s18, 0x7fc02000
	s_xor_b64 s[0:1], exec, -1
; %bb.533:                              ;   in Loop: Header=BB280_299 Depth=1
	s_or_b64 exec, exec, s[16:17]
	s_and_b64 s[0:1], s[0:1], exec
	s_or_saveexec_b64 s[12:13], s[12:13]
	v_mov_b32_e32 v14, s18
	s_xor_b64 exec, exec, s[12:13]
	s_cbranch_execz .LBB280_403
.LBB280_534:                            ;   in Loop: Header=BB280_299 Depth=1
	v_cmp_ne_u16_sdwa s[16:17], v18, v7 src0_sel:BYTE_0 src1_sel:DWORD
	s_andn2_b64 s[0:1], s[0:1], exec
	s_and_b64 s[16:17], s[16:17], exec
	v_mov_b32_e32 v14, 0
	s_or_b64 s[0:1], s[0:1], s[16:17]
	s_or_b64 exec, exec, s[12:13]
	s_and_saveexec_b64 s[12:13], s[0:1]
	s_cbranch_execnz .LBB280_404
	s_branch .LBB280_405
.LBB280_535:                            ;   in Loop: Header=BB280_299 Depth=1
	v_cmp_eq_u16_e64 s[0:1], s22, v6
	s_mov_b64 s[12:13], -1
                                        ; implicit-def: $sgpr35
	s_and_saveexec_b64 s[18:19], s[0:1]
; %bb.536:                              ;   in Loop: Header=BB280_299 Depth=1
	s_mov_b32 s35, 0x7fc02000
	s_xor_b64 s[12:13], exec, -1
; %bb.537:                              ;   in Loop: Header=BB280_299 Depth=1
	s_or_b64 exec, exec, s[18:19]
	s_and_b64 s[12:13], s[12:13], exec
	s_or_saveexec_b64 s[16:17], s[16:17]
	v_mov_b32_e32 v20, s35
	s_xor_b64 exec, exec, s[16:17]
	s_cbranch_execz .LBB280_407
.LBB280_538:                            ;   in Loop: Header=BB280_299 Depth=1
	v_cmp_ne_u16_e64 s[0:1], 0, v6
	s_andn2_b64 s[12:13], s[12:13], exec
	s_and_b64 s[0:1], s[0:1], exec
	v_mov_b32_e32 v20, 0
	s_or_b64 s[12:13], s[12:13], s[0:1]
	s_or_b64 exec, exec, s[16:17]
	s_and_saveexec_b64 s[16:17], s[12:13]
	s_cbranch_execnz .LBB280_408
	s_branch .LBB280_409
.LBB280_539:                            ;   in Loop: Header=BB280_299 Depth=1
	v_cmp_eq_u16_sdwa s[36:37], v6, s22 src0_sel:BYTE_0 src1_sel:DWORD
	s_mov_b64 s[0:1], -1
                                        ; implicit-def: $sgpr18
	s_and_saveexec_b64 s[16:17], s[36:37]
; %bb.540:                              ;   in Loop: Header=BB280_299 Depth=1
	s_mov_b32 s18, 0x7fc02000
	s_xor_b64 s[0:1], exec, -1
; %bb.541:                              ;   in Loop: Header=BB280_299 Depth=1
	s_or_b64 exec, exec, s[16:17]
	s_and_b64 s[0:1], s[0:1], exec
	s_or_saveexec_b64 s[12:13], s[12:13]
	v_mov_b32_e32 v15, s18
	s_xor_b64 exec, exec, s[12:13]
	s_cbranch_execz .LBB280_411
.LBB280_542:                            ;   in Loop: Header=BB280_299 Depth=1
	v_cmp_ne_u16_sdwa s[16:17], v6, v7 src0_sel:BYTE_0 src1_sel:DWORD
	s_andn2_b64 s[0:1], s[0:1], exec
	s_and_b64 s[16:17], s[16:17], exec
	v_mov_b32_e32 v15, 0
	s_or_b64 s[0:1], s[0:1], s[16:17]
	s_or_b64 exec, exec, s[12:13]
	s_and_saveexec_b64 s[12:13], s[0:1]
	s_cbranch_execnz .LBB280_412
	s_branch .LBB280_413
.LBB280_543:                            ;   in Loop: Header=BB280_299 Depth=1
	v_cmp_eq_u16_e64 s[0:1], s22, v6
	s_mov_b64 s[12:13], -1
                                        ; implicit-def: $sgpr35
	s_and_saveexec_b64 s[18:19], s[0:1]
; %bb.544:                              ;   in Loop: Header=BB280_299 Depth=1
	s_mov_b32 s35, 0x7fc02000
	s_xor_b64 s[12:13], exec, -1
; %bb.545:                              ;   in Loop: Header=BB280_299 Depth=1
	s_or_b64 exec, exec, s[18:19]
	s_and_b64 s[12:13], s[12:13], exec
	s_or_saveexec_b64 s[16:17], s[16:17]
	v_mov_b32_e32 v21, s35
	s_xor_b64 exec, exec, s[16:17]
	s_cbranch_execz .LBB280_415
.LBB280_546:                            ;   in Loop: Header=BB280_299 Depth=1
	v_cmp_ne_u16_e64 s[0:1], 0, v6
	s_andn2_b64 s[12:13], s[12:13], exec
	s_and_b64 s[0:1], s[0:1], exec
	v_mov_b32_e32 v21, 0
	s_or_b64 s[12:13], s[12:13], s[0:1]
	s_or_b64 exec, exec, s[16:17]
	s_and_saveexec_b64 s[16:17], s[12:13]
	s_cbranch_execnz .LBB280_416
	s_branch .LBB280_417
.LBB280_547:                            ;   in Loop: Header=BB280_299 Depth=1
	v_cmp_eq_u16_sdwa s[36:37], v19, s22 src0_sel:BYTE_0 src1_sel:DWORD
	s_mov_b64 s[0:1], -1
                                        ; implicit-def: $sgpr18
	s_and_saveexec_b64 s[16:17], s[36:37]
; %bb.548:                              ;   in Loop: Header=BB280_299 Depth=1
	s_mov_b32 s18, 0x7fc02000
	s_xor_b64 s[0:1], exec, -1
; %bb.549:                              ;   in Loop: Header=BB280_299 Depth=1
	s_or_b64 exec, exec, s[16:17]
	s_and_b64 s[0:1], s[0:1], exec
	s_or_saveexec_b64 s[12:13], s[12:13]
	v_mov_b32_e32 v18, s18
	s_xor_b64 exec, exec, s[12:13]
	s_cbranch_execz .LBB280_419
.LBB280_550:                            ;   in Loop: Header=BB280_299 Depth=1
	v_cmp_ne_u16_sdwa s[16:17], v19, v7 src0_sel:BYTE_0 src1_sel:DWORD
	s_andn2_b64 s[0:1], s[0:1], exec
	s_and_b64 s[16:17], s[16:17], exec
	v_mov_b32_e32 v18, 0
	s_or_b64 s[0:1], s[0:1], s[16:17]
	s_or_b64 exec, exec, s[12:13]
	v_mov_b32_e32 v6, v19
	s_and_saveexec_b64 s[12:13], s[0:1]
	s_cbranch_execnz .LBB280_420
	s_branch .LBB280_421
.LBB280_551:                            ;   in Loop: Header=BB280_299 Depth=1
	v_cmp_eq_u16_e64 s[0:1], s22, v6
	s_mov_b64 s[12:13], -1
                                        ; implicit-def: $sgpr35
	s_and_saveexec_b64 s[18:19], s[0:1]
; %bb.552:                              ;   in Loop: Header=BB280_299 Depth=1
	s_mov_b32 s35, 0x7fc02000
	s_xor_b64 s[12:13], exec, -1
; %bb.553:                              ;   in Loop: Header=BB280_299 Depth=1
	s_or_b64 exec, exec, s[18:19]
	s_and_b64 s[12:13], s[12:13], exec
	s_or_saveexec_b64 s[16:17], s[16:17]
	v_mov_b32_e32 v42, s35
	s_xor_b64 exec, exec, s[16:17]
	s_cbranch_execz .LBB280_423
.LBB280_554:                            ;   in Loop: Header=BB280_299 Depth=1
	v_cmp_ne_u16_e64 s[0:1], 0, v6
	s_andn2_b64 s[12:13], s[12:13], exec
	s_and_b64 s[0:1], s[0:1], exec
	v_mov_b32_e32 v42, 0
	s_or_b64 s[12:13], s[12:13], s[0:1]
	s_or_b64 exec, exec, s[16:17]
	s_and_saveexec_b64 s[16:17], s[12:13]
	s_cbranch_execnz .LBB280_424
	s_branch .LBB280_425
.LBB280_555:                            ;   in Loop: Header=BB280_299 Depth=1
	v_cmp_eq_u16_sdwa s[36:37], v6, s22 src0_sel:BYTE_0 src1_sel:DWORD
	s_mov_b64 s[0:1], -1
                                        ; implicit-def: $sgpr18
	s_and_saveexec_b64 s[16:17], s[36:37]
; %bb.556:                              ;   in Loop: Header=BB280_299 Depth=1
	s_mov_b32 s18, 0x7fc02000
	s_xor_b64 s[0:1], exec, -1
; %bb.557:                              ;   in Loop: Header=BB280_299 Depth=1
	s_or_b64 exec, exec, s[16:17]
	s_and_b64 s[0:1], s[0:1], exec
	s_or_saveexec_b64 s[12:13], s[12:13]
	v_mov_b32_e32 v43, s18
	s_xor_b64 exec, exec, s[12:13]
	s_cbranch_execz .LBB280_427
.LBB280_558:                            ;   in Loop: Header=BB280_299 Depth=1
	v_cmp_ne_u16_sdwa s[16:17], v6, v7 src0_sel:BYTE_0 src1_sel:DWORD
	s_andn2_b64 s[0:1], s[0:1], exec
	s_and_b64 s[16:17], s[16:17], exec
	v_mov_b32_e32 v43, 0
	s_or_b64 s[0:1], s[0:1], s[16:17]
	s_or_b64 exec, exec, s[12:13]
	s_and_saveexec_b64 s[12:13], s[0:1]
	s_cbranch_execnz .LBB280_428
	s_branch .LBB280_429
.LBB280_559:                            ;   in Loop: Header=BB280_299 Depth=1
	v_cmp_eq_u16_e64 s[0:1], s22, v6
	s_mov_b64 s[12:13], -1
                                        ; implicit-def: $sgpr35
	s_and_saveexec_b64 s[18:19], s[0:1]
; %bb.560:                              ;   in Loop: Header=BB280_299 Depth=1
	s_mov_b32 s35, 0x7fc02000
	s_xor_b64 s[12:13], exec, -1
; %bb.561:                              ;   in Loop: Header=BB280_299 Depth=1
	s_or_b64 exec, exec, s[18:19]
	s_and_b64 s[12:13], s[12:13], exec
	s_or_saveexec_b64 s[16:17], s[16:17]
	v_mov_b32_e32 v44, s35
	s_xor_b64 exec, exec, s[16:17]
	s_cbranch_execz .LBB280_431
.LBB280_562:                            ;   in Loop: Header=BB280_299 Depth=1
	v_cmp_ne_u16_e64 s[0:1], 0, v6
	s_andn2_b64 s[12:13], s[12:13], exec
	s_and_b64 s[0:1], s[0:1], exec
	v_mov_b32_e32 v44, 0
	s_or_b64 s[12:13], s[12:13], s[0:1]
	s_or_b64 exec, exec, s[16:17]
	s_and_saveexec_b64 s[16:17], s[12:13]
	s_cbranch_execnz .LBB280_432
	s_branch .LBB280_433
.LBB280_563:
	s_or_b64 exec, exec, s[6:7]
.LBB280_564:
	s_or_b64 exec, exec, s[2:3]
	ds_bpermute_b32 v2, v24, v8
	ds_bpermute_b32 v3, v24, v9
	;; [unrolled: 1-line block ×4, first 2 shown]
	v_and_b32_e32 v1, 0x3c1, v0
	v_cmp_eq_u32_e32 vcc, 64, v1
	s_waitcnt lgkmcnt(2)
	v_pk_add_f32 v[6:7], v[8:9], v[2:3]
	s_waitcnt lgkmcnt(0)
	v_pk_add_f32 v[2:3], v[4:5], v[10:11]
	s_barrier
	s_and_saveexec_b64 s[0:1], vcc
	s_cbranch_execz .LBB280_566
; %bb.565:
	v_mov_b32_e32 v4, 0x110
	v_lshl_add_u32 v4, v17, 1, v4
	ds_write2_b32 v4, v6, v7 offset1:32
	ds_write2_b32 v4, v2, v3 offset0:64 offset1:96
.LBB280_566:
	s_or_b64 exec, exec, s[0:1]
	s_waitcnt lgkmcnt(0)
	s_barrier
	s_and_saveexec_b64 s[0:1], s[10:11]
	s_cbranch_execz .LBB280_573
; %bb.567:
	v_cmp_eq_u32_e32 vcc, 0, v25
	v_lshrrev_b32_e32 v4, 1, v0
	s_and_saveexec_b64 s[2:3], vcc
	s_cbranch_execnz .LBB280_576
; %bb.568:
	s_or_b64 exec, exec, s[2:3]
	s_and_saveexec_b64 s[2:3], vcc
	s_cbranch_execnz .LBB280_577
.LBB280_569:
	s_or_b64 exec, exec, s[2:3]
	s_and_saveexec_b64 s[2:3], vcc
	s_cbranch_execnz .LBB280_578
.LBB280_570:
	s_or_b64 exec, exec, s[2:3]
	s_and_saveexec_b64 s[2:3], vcc
	s_cbranch_execz .LBB280_572
.LBB280_571:
	v_mov_b32_e32 v5, 0x110
	v_lshl_add_u32 v4, v4, 2, v5
	ds_read_b32 v4, v4 offset:384
	s_waitcnt lgkmcnt(0)
	v_add_f32_e32 v3, v3, v4
.LBB280_572:
	s_or_b64 exec, exec, s[2:3]
.LBB280_573:
	s_or_b64 exec, exec, s[0:1]
	v_cmp_eq_u32_e32 vcc, 0, v1
	s_barrier
	s_and_saveexec_b64 s[0:1], vcc
	s_cbranch_execz .LBB280_575
; %bb.574:
	s_lshl_b32 s0, s8, 7
	s_ashr_i32 s1, s0, 31
	s_lshl_b64 s[0:1], s[0:1], 1
	s_add_u32 s2, s26, s0
	s_mul_i32 s0, s25, s24
	s_addc_u32 s3, s27, s1
	s_ashr_i32 s1, s0, 31
	s_lshl_b64 s[0:1], s[0:1], 1
	s_add_u32 s2, s2, s0
	s_addc_u32 s3, s3, s1
	s_lshl_b32 s0, s4, 7
	s_ashr_i32 s1, s0, 31
	s_lshl_b64 s[0:1], s[0:1], 1
	s_add_u32 s0, s2, s0
	s_addc_u32 s1, s3, s1
	;;#ASMSTART
	v_cvt_f16_f32 v1, v6;

	;;#ASMEND
	global_store_short v0, v1, s[0:1]
	;;#ASMSTART
	v_cvt_f16_f32 v1, v7;

	;;#ASMEND
	global_store_short v0, v1, s[0:1] offset:64
	;;#ASMSTART
	v_cvt_f16_f32 v1, v2;

	;;#ASMEND
	global_store_short v0, v1, s[0:1] offset:128
	;; [unrolled: 5-line block ×3, first 2 shown]
.LBB280_575:
	s_endpgm
.LBB280_576:
	v_mov_b32_e32 v5, 0x110
	v_lshl_add_u32 v5, v4, 2, v5
	ds_read_b32 v5, v5
	s_waitcnt lgkmcnt(0)
	v_add_f32_e32 v6, v6, v5
	s_or_b64 exec, exec, s[2:3]
	s_and_saveexec_b64 s[2:3], vcc
	s_cbranch_execz .LBB280_569
.LBB280_577:
	v_mov_b32_e32 v5, 0x110
	v_lshl_add_u32 v5, v4, 2, v5
	ds_read_b32 v5, v5 offset:128
	s_waitcnt lgkmcnt(0)
	v_add_f32_e32 v7, v7, v5
	s_or_b64 exec, exec, s[2:3]
	s_and_saveexec_b64 s[2:3], vcc
	s_cbranch_execz .LBB280_570
.LBB280_578:
	v_mov_b32_e32 v5, 0x110
	v_lshl_add_u32 v5, v4, 2, v5
	ds_read_b32 v5, v5 offset:256
	s_waitcnt lgkmcnt(0)
	v_add_f32_e32 v2, v2, v5
	s_or_b64 exec, exec, s[2:3]
	s_and_saveexec_b64 s[2:3], vcc
	s_cbranch_execnz .LBB280_571
	s_branch .LBB280_572
	.section	.rodata,"a",@progbits
	.p2align	6, 0x0
	.amdhsa_kernel _ZN4vllm25paged_attention_v2_kernelIthLi128ELi16ELi128ELNS_18Fp8KVCacheDataTypeE1ELb0ELi512EEEvPfS2_PT_PKS3_PKT0_S9_ifPKiSB_iPKfiiiSD_SD_iiiii
		.amdhsa_group_segment_fixed_size 272
		.amdhsa_private_segment_fixed_size 0
		.amdhsa_kernarg_size 400
		.amdhsa_user_sgpr_count 2
		.amdhsa_user_sgpr_dispatch_ptr 0
		.amdhsa_user_sgpr_queue_ptr 0
		.amdhsa_user_sgpr_kernarg_segment_ptr 1
		.amdhsa_user_sgpr_dispatch_id 0
		.amdhsa_user_sgpr_kernarg_preload_length 0
		.amdhsa_user_sgpr_kernarg_preload_offset 0
		.amdhsa_user_sgpr_private_segment_size 0
		.amdhsa_uses_dynamic_stack 0
		.amdhsa_enable_private_segment 0
		.amdhsa_system_sgpr_workgroup_id_x 1
		.amdhsa_system_sgpr_workgroup_id_y 1
		.amdhsa_system_sgpr_workgroup_id_z 1
		.amdhsa_system_sgpr_workgroup_info 0
		.amdhsa_system_vgpr_workitem_id 0
		.amdhsa_next_free_vgpr 69
		.amdhsa_next_free_sgpr 58
		.amdhsa_accum_offset 72
		.amdhsa_reserve_vcc 1
		.amdhsa_float_round_mode_32 0
		.amdhsa_float_round_mode_16_64 0
		.amdhsa_float_denorm_mode_32 3
		.amdhsa_float_denorm_mode_16_64 3
		.amdhsa_dx10_clamp 1
		.amdhsa_ieee_mode 1
		.amdhsa_fp16_overflow 0
		.amdhsa_tg_split 0
		.amdhsa_exception_fp_ieee_invalid_op 0
		.amdhsa_exception_fp_denorm_src 0
		.amdhsa_exception_fp_ieee_div_zero 0
		.amdhsa_exception_fp_ieee_overflow 0
		.amdhsa_exception_fp_ieee_underflow 0
		.amdhsa_exception_fp_ieee_inexact 0
		.amdhsa_exception_int_div_zero 0
	.end_amdhsa_kernel
	.section	.text._ZN4vllm25paged_attention_v2_kernelIthLi128ELi16ELi128ELNS_18Fp8KVCacheDataTypeE1ELb0ELi512EEEvPfS2_PT_PKS3_PKT0_S9_ifPKiSB_iPKfiiiSD_SD_iiiii,"axG",@progbits,_ZN4vllm25paged_attention_v2_kernelIthLi128ELi16ELi128ELNS_18Fp8KVCacheDataTypeE1ELb0ELi512EEEvPfS2_PT_PKS3_PKT0_S9_ifPKiSB_iPKfiiiSD_SD_iiiii,comdat
.Lfunc_end280:
	.size	_ZN4vllm25paged_attention_v2_kernelIthLi128ELi16ELi128ELNS_18Fp8KVCacheDataTypeE1ELb0ELi512EEEvPfS2_PT_PKS3_PKT0_S9_ifPKiSB_iPKfiiiSD_SD_iiiii, .Lfunc_end280-_ZN4vllm25paged_attention_v2_kernelIthLi128ELi16ELi128ELNS_18Fp8KVCacheDataTypeE1ELb0ELi512EEEvPfS2_PT_PKS3_PKT0_S9_ifPKiSB_iPKfiiiSD_SD_iiiii
                                        ; -- End function
	.section	.AMDGPU.csdata,"",@progbits
; Kernel info:
; codeLenInByte = 23152
; NumSgprs: 64
; NumVgprs: 69
; NumAgprs: 0
; TotalNumVgprs: 69
; ScratchSize: 0
; MemoryBound: 0
; FloatMode: 240
; IeeeMode: 1
; LDSByteSize: 272 bytes/workgroup (compile time only)
; SGPRBlocks: 7
; VGPRBlocks: 8
; NumSGPRsForWavesPerEU: 64
; NumVGPRsForWavesPerEU: 69
; AccumOffset: 72
; Occupancy: 7
; WaveLimiterHint : 1
; COMPUTE_PGM_RSRC2:SCRATCH_EN: 0
; COMPUTE_PGM_RSRC2:USER_SGPR: 2
; COMPUTE_PGM_RSRC2:TRAP_HANDLER: 0
; COMPUTE_PGM_RSRC2:TGID_X_EN: 1
; COMPUTE_PGM_RSRC2:TGID_Y_EN: 1
; COMPUTE_PGM_RSRC2:TGID_Z_EN: 1
; COMPUTE_PGM_RSRC2:TIDIG_COMP_CNT: 0
; COMPUTE_PGM_RSRC3_GFX90A:ACCUM_OFFSET: 17
; COMPUTE_PGM_RSRC3_GFX90A:TG_SPLIT: 0
	.text
	.p2align	2                               ; -- Begin function _ZN4vllm22paged_attention_kernelIthLi192ELi16ELi128ELNS_18Fp8KVCacheDataTypeE1ELb0ELi512EEEvPfS2_PT_PKS3_PKT0_S9_ifPKiSB_iPKfiiiSD_SD_iiiii
	.type	_ZN4vllm22paged_attention_kernelIthLi192ELi16ELi128ELNS_18Fp8KVCacheDataTypeE1ELb0ELi512EEEvPfS2_PT_PKS3_PKT0_S9_ifPKiSB_iPKfiiiSD_SD_iiiii,@function
_ZN4vllm22paged_attention_kernelIthLi192ELi16ELi128ELNS_18Fp8KVCacheDataTypeE1ELb0ELi512EEEvPfS2_PT_PKS3_PKT0_S9_ifPKiSB_iPKfiiiSD_SD_iiiii: ; @_ZN4vllm22paged_attention_kernelIthLi192ELi16ELi128ELNS_18Fp8KVCacheDataTypeE1ELb0ELi512EEEvPfS2_PT_PKS3_PKT0_S9_ifPKiSB_iPKfiiiSD_SD_iiiii
; %bb.0:
	s_waitcnt vmcnt(0) expcnt(0) lgkmcnt(0)
	s_or_saveexec_b64 s[0:1], -1
	scratch_store_dword off, v63, s32 offset:124 ; 4-byte Folded Spill
	s_mov_b64 exec, s[0:1]
	scratch_store_dword off, v40, s32 offset:112 ; 4-byte Folded Spill
	scratch_store_dword off, v41, s32 offset:108 ; 4-byte Folded Spill
	;; [unrolled: 1-line block ×28, first 2 shown]
	scratch_store_dword off, a45, s32       ; 4-byte Folded Spill
	v_writelane_b32 v63, s34, 0
	v_writelane_b32 v63, s35, 1
	;; [unrolled: 1-line block ×5, first 2 shown]
	s_nop 1
	v_writelane_b32 v63, s31, 5
	s_mov_b32 s20, s13
	v_accvgpr_write_b32 a4, v26
	s_ashr_i32 s21, s13, 31
	v_accvgpr_write_b32 a5, v27
	v_mov_b32_e32 v27, v1
	v_mov_b32_e32 v26, v0
	v_lshl_add_u64 v[0:1], s[20:21], 2, v[16:17]
	flat_load_dword v0, v[0:1]
	v_accvgpr_write_b32 a27, v25
	v_accvgpr_write_b32 a0, v4
	s_lshl_b32 s21, s14, 9
	v_accvgpr_write_b32 a26, v24
	v_accvgpr_write_b32 a6, v22
	v_mov_b32_e32 v29, v20
	v_mov_b32_e32 v28, v19
	v_accvgpr_write_b32 a23, v13
	v_mov_b32_e32 v25, v11
	v_mov_b32_e32 v24, v10
	;; [unrolled: 3-line block ×3, first 2 shown]
	s_waitcnt vmcnt(0) lgkmcnt(0)
	v_accvgpr_write_b32 a8, v0
	v_cmp_lt_i32_e32 vcc, s21, v0
	s_and_saveexec_b64 s[10:11], vcc
	s_cbranch_execz .LBB281_837
; %bb.1:
	v_sub_u32_e32 v0, 0, v12
	v_max_i32_e32 v0, v12, v0
	v_cvt_f32_u32_e32 v1, v0
	s_load_dword s0, s[8:9], 0x10
	s_load_dword s2, s[8:9], 0x0
	v_sub_u32_e32 v3, 0, v0
	s_mov_b32 s16, s15
	v_rcp_iflag_f32_e32 v1, v1
	s_waitcnt lgkmcnt(0)
	s_lshr_b32 s0, s0, 16
	s_cmp_lg_u32 s0, 0
	s_cselect_b64 s[0:1], -1, 0
	v_mul_f32_e32 v1, 0x4f7ffffe, v1
	v_cvt_u32_f32_e32 v1, v1
	s_cmp_lg_u64 s[0:1], 0
	s_addc_u32 s15, s2, 0
	s_abs_i32 s0, s15
	v_mul_lo_u32 v3, v3, v1
	v_mul_hi_u32 v3, v1, v3
	v_add_u32_e32 v1, v1, v3
	v_mul_hi_u32 v1, s0, v1
	v_mul_lo_u32 v3, v1, v0
	v_sub_u32_e32 v3, s0, v3
	v_add_u32_e32 v4, 1, v1
	v_cmp_ge_u32_e32 vcc, v3, v0
	v_xor_b32_e32 v2, s15, v12
	v_ashrrev_i32_e32 v2, 31, v2
	v_cndmask_b32_e32 v1, v1, v4, vcc
	v_sub_u32_e32 v4, v3, v0
	v_cndmask_b32_e32 v3, v3, v4, vcc
	v_add_u32_e32 v4, 1, v1
	v_cmp_ge_u32_e32 vcc, v3, v0
	s_abs_i32 s2, s12
	s_nop 0
	v_cndmask_b32_e32 v0, v1, v4, vcc
	v_xor_b32_e32 v0, v0, v2
	v_sub_u32_e32 v0, v0, v2
	v_sub_u32_e32 v1, 0, v0
	v_max_i32_e32 v1, v0, v1
	v_cvt_f32_u32_e32 v2, v1
	v_sub_u32_e32 v3, 0, v1
	v_cmp_ne_u64_e32 vcc, 0, v[28:29]
	v_rcp_iflag_f32_e32 v2, v2
	s_nop 0
	v_mul_f32_e32 v2, 0x4f7ffffe, v2
	v_cvt_u32_f32_e32 v2, v2
	v_mul_lo_u32 v3, v3, v2
	v_mul_hi_u32 v3, v2, v3
	v_add_u32_e32 v2, v2, v3
	v_mad_u64_u32 v[32:33], s[0:1], s2, v2, 0
	v_mov_b32_e32 v2, 0
	scratch_store_dword off, v2, s32 offset:120 ; 4-byte Folded Spill
	s_and_saveexec_b64 s[0:1], vcc
	s_cbranch_execz .LBB281_3
; %bb.2:
	s_ashr_i32 s13, s12, 31
	v_lshl_add_u64 v[2:3], s[12:13], 2, v[28:29]
	flat_load_dword v2, v[2:3]
	s_waitcnt vmcnt(0) lgkmcnt(0)
	scratch_store_dword off, v2, s32 offset:120 ; 4-byte Folded Spill
.LBB281_3:
	s_or_b64 exec, exec, s[0:1]
	v_and_b32_e32 v10, 0x3ff, v31
	s_movk_i32 s4, 0x60
	s_ashr_i32 s3, s12, 31
	v_ashrrev_i32_e32 v2, 31, v0
	v_and_b32_e32 v0, 3, v10
	s_mul_i32 s18, s12, 0xc0
	v_cmp_gt_u32_e32 vcc, s4, v10
	s_and_saveexec_b64 s[0:1], vcc
	s_cbranch_execz .LBB281_5
; %bb.4:
	v_mul_lo_u32 v4, s20, v21
	v_ashrrev_i32_e32 v5, 31, v4
	v_lshl_add_u64 v[4:5], v[4:5], 1, v[6:7]
	s_ashr_i32 s19, s18, 31
	v_lshl_add_u64 v[4:5], s[18:19], 1, v[4:5]
	v_lshlrev_b32_e32 v6, 2, v10
	v_mov_b32_e32 v7, 0
	v_lshl_add_u64 v[4:5], v[4:5], 0, v[6:7]
	flat_load_dword v3, v[4:5]
	v_and_b32_e32 v4, 0x3fc, v10
	v_mad_u32_u24 v4, v0, s4, v4
	s_waitcnt vmcnt(0) lgkmcnt(0)
	ds_write_b32 v4, v3
.LBB281_5:
	s_or_b64 exec, exec, s[0:1]
	v_accvgpr_read_b32 v4, a8
	v_add_u32_e32 v3, 15, v4
	v_ashrrev_i32_e32 v4, 31, v3
	v_lshrrev_b32_e32 v4, 28, v4
	v_add_u32_e32 v3, v3, v4
	v_ashrrev_i32_e32 v20, 4, v3
	v_mul_lo_u32 v3, v33, v1
	v_sub_u32_e32 v3, s2, v3
	v_add_u32_e32 v4, 1, v33
	v_cmp_ge_u32_e32 vcc, v3, v1
	v_sub_u32_e32 v5, v3, v1
	s_lshl_b32 s19, s14, 5
	v_cndmask_b32_e32 v4, v33, v4, vcc
	v_cndmask_b32_e32 v3, v3, v5, vcc
	v_add_u32_e32 v5, 1, v4
	v_cmp_ge_u32_e32 vcc, v3, v1
	v_xor_b32_e32 v2, s3, v2
	s_add_i32 s0, s19, 32
	v_cndmask_b32_e32 v1, v4, v5, vcc
	v_lshrrev_b32_e32 v22, 6, v10
	v_xor_b32_e32 v1, v1, v2
	v_min_i32_e32 v6, s0, v20
	v_sub_u32_e32 v3, v1, v2
	v_mul_lo_u32 v28, s20, v18
	v_or_b32_e32 v2, s19, v22
	v_accvgpr_write_b32 a2, v10
	v_ashrrev_i32_e32 v29, 31, v28
	v_cmp_lt_i32_e64 s[0:1], v2, v6
	v_accvgpr_write_b32 a3, v6
	v_mov_b32_e32 v4, v2
	v_cmp_ge_i32_e32 vcc, v2, v6
	v_mbcnt_lo_u32_b32 v1, -1, 0
	s_waitcnt lgkmcnt(0)
	s_barrier
	s_waitcnt lgkmcnt(0)
                                        ; implicit-def: $sgpr4
                                        ; implicit-def: $agpr28
                                        ; implicit-def: $vgpr2
	s_and_saveexec_b64 s[2:3], vcc
	s_xor_b64 s[2:3], exec, s[2:3]
; %bb.6:
	v_mbcnt_hi_u32_b32 v0, -1, v1
	v_accvgpr_write_b32 a28, v0
	v_and_b32_e32 v0, 64, v0
	v_add_u32_e32 v2, 64, v0
	s_mov_b32 s4, 0xff7fffff
                                        ; implicit-def: $vgpr0
                                        ; kill: killed $vgpr0
                                        ; implicit-def: $agpr23
                                        ; implicit-def: $agpr26
                                        ; implicit-def: $vgpr8
                                        ; implicit-def: $vgpr0
                                        ; implicit-def: $vgpr1
; %bb.7:
	s_or_saveexec_b64 s[6:7], s[2:3]
	s_load_dword s30, s[8:9], 0x14
	s_load_dword s13, s[8:9], 0x8
	v_ashrrev_i32_e32 v5, 31, v4
	v_mul_lo_u32 v32, v3, v23
	v_accvgpr_write_b32 a11, v5
	v_mov_b32_e32 v7, s4
	v_accvgpr_write_b32 a10, v4
	v_ashrrev_i32_e32 v33, 31, v32
	v_lshlrev_b32_e32 v30, 4, v22
	s_xor_b64 exec, exec, s[6:7]
	s_cbranch_execz .LBB281_397
; %bb.8:
	v_accvgpr_read_b32 v2, a2
	v_bfe_u32 v4, v2, 2, 4
	v_lshl_add_u64 v[2:3], v[8:9], 0, v[32:33]
	v_lshlrev_b32_e32 v8, 4, v4
	v_mov_b32_e32 v9, 0
	v_lshl_add_u64 v[2:3], v[2:3], 0, v[8:9]
	v_accvgpr_write_b32 a31, v3
	v_accvgpr_write_b32 a30, v2
	v_lshlrev_b32_e32 v2, 1, v0
	v_mul_u32_u24_e32 v23, 0x60, v0
	v_cmp_eq_u32_e32 vcc, 0, v0
	scratch_load_dword v0, off, s32 offset:120 ; 4-byte Folded Reload
	v_mov_b32_e32 v3, v9
	v_accvgpr_read_b32 v6, a10
	v_accvgpr_write_b32 a33, v3
	v_accvgpr_read_b32 v7, a11
	v_accvgpr_write_b32 a32, v2
	s_ashr_i32 s17, s16, 31
	v_lshlrev_b64 v[2:3], 2, v[6:7]
	s_lshl_b64 s[4:5], s[16:17], 2
	v_lshl_add_u64 v[2:3], v[28:29], 2, v[2:3]
	s_getpc_b64 s[8:9]
	s_add_u32 s8, s8, llvm.amdgcn.dynlds.offset.table@rel32@lo+4
	s_addc_u32 s9, s9, llvm.amdgcn.dynlds.offset.table@rel32@hi+12
	v_lshl_add_u64 v[2:3], v[14:15], 0, v[2:3]
	v_accvgpr_write_b32 a18, v36
	v_accvgpr_write_b32 a16, v26
	v_accvgpr_write_b32 a14, v24
	v_accvgpr_write_b32 a24, v32
	s_add_u32 s8, s4, s8
	v_accvgpr_write_b32 a20, v28
	v_accvgpr_write_b32 a12, v14
	;; [unrolled: 1-line block ×8, first 2 shown]
	s_addc_u32 s9, s5, s9
	v_accvgpr_write_b32 a21, v29
	v_accvgpr_write_b32 a13, v15
	;; [unrolled: 1-line block ×5, first 2 shown]
	s_mov_b64 s[22:23], 0
	s_movk_i32 s17, 0x7f
	s_movk_i32 s31, 0x80
	s_mov_b32 s34, 0x8000
	v_mov_b32_e32 v53, 0x1c00
	s_waitcnt vmcnt(0)
	v_cmp_neq_f32_e64 s[2:3], 0, v0
	v_accvgpr_read_b32 v0, a8
	v_sub_u32_e32 v0, 1, v0
	v_accvgpr_write_b32 a29, v0
	v_add3_u32 v0, s21, v30, v4
	v_accvgpr_write_b32 a36, v0
	v_lshlrev_b32_e32 v0, 2, v4
	v_lshl_or_b32 v0, v22, 6, v0
	v_accvgpr_write_b32 a37, v0
	v_mov_b32_e32 v0, 0xff7fffff
	scratch_store_dword off, v0, s32 offset:116 ; 4-byte Folded Spill
	v_mbcnt_hi_u32_b32 v0, -1, v1
	v_accvgpr_write_b32 a28, v0
	s_branch .LBB281_10
.LBB281_9:                              ;   in Loop: Header=BB281_10 Depth=1
	s_or_b64 exec, exec, s[24:25]
	s_waitcnt lgkmcnt(0)
	v_accvgpr_read_b32 v0, a34
	v_accvgpr_read_b32 v1, a35
	v_lshl_add_u64 v[0:1], v[0:1], 0, 8
	v_accvgpr_write_b32 a35, v1
	v_accvgpr_write_b32 a34, v0
	v_accvgpr_read_b32 v0, a36
	v_add_u32_e32 v0, 32, v0
	v_add_u32_e32 v6, 2, v6
	v_accvgpr_write_b32 a36, v0
	v_accvgpr_read_b32 v0, a3
	v_cmp_ge_i32_e64 s[4:5], v6, v0
	v_accvgpr_read_b32 v0, a37
	v_add_u32_e32 v0, 0x80, v0
	s_or_b64 s[22:23], s[4:5], s[22:23]
	v_accvgpr_write_b32 a37, v0
	s_andn2_b64 exec, exec, s[22:23]
	s_cbranch_execz .LBB281_396
.LBB281_10:                             ; =>This Inner Loop Header: Depth=1
	v_accvgpr_read_b32 v0, a34
	v_accvgpr_read_b32 v1, a35
	flat_load_dword v0, v[0:1]
	v_accvgpr_read_b32 v4, a30
	v_accvgpr_read_b32 v2, a6
	;; [unrolled: 1-line block ×3, first 2 shown]
	v_accvgpr_write_b32 a38, v6
                                        ; implicit-def: $sgpr28
	s_waitcnt vmcnt(0) lgkmcnt(0)
	v_mad_i64_i32 v[0:1], s[4:5], v0, v2, v[4:5]
	v_accvgpr_read_b32 v2, a32
	v_accvgpr_read_b32 v3, a33
	v_lshl_add_u64 v[34:35], v[0:1], 0, v[2:3]
	v_accvgpr_read_b32 v2, a26
	flat_load_ushort v0, v[34:35]
	v_accvgpr_read_b32 v3, a27
	flat_load_dword v55, v[2:3]
	s_mov_b64 s[4:5], 0
	s_waitcnt vmcnt(0) lgkmcnt(0)
	v_cmp_gt_i16_sdwa s[24:25], v0, s17 src0_sel:BYTE_0 src1_sel:DWORD
	s_and_saveexec_b64 s[26:27], s[24:25]
	s_xor_b64 s[24:25], exec, s[26:27]
	s_cbranch_execnz .LBB281_208
; %bb.11:                               ;   in Loop: Header=BB281_10 Depth=1
	s_or_saveexec_b64 s[24:25], s[24:25]
	v_mov_b32_e32 v7, s28
	s_xor_b64 exec, exec, s[24:25]
	s_cbranch_execnz .LBB281_211
.LBB281_12:                             ;   in Loop: Header=BB281_10 Depth=1
	s_or_b64 exec, exec, s[24:25]
	v_and_b32_e32 v8, 0xffff, v0
	s_and_saveexec_b64 s[24:25], s[4:5]
	s_cbranch_execz .LBB281_14
.LBB281_13:                             ;   in Loop: Header=BB281_10 Depth=1
	v_and_b32_e32 v2, 7, v8
	v_ffbh_u32_e32 v0, v2
	v_min_u32_e32 v4, 32, v0
	v_subrev_u32_e32 v0, 28, v4
	v_bfe_u32 v3, v8, 3, 4
	v_lshlrev_b64 v[0:1], v0, v[8:9]
	v_sub_u32_e32 v1, 29, v4
	v_cmp_eq_u32_e64 s[4:5], 0, v3
	v_and_b32_e32 v0, 7, v0
	s_nop 0
	v_cndmask_b32_e64 v1, v3, v1, s[4:5]
	v_cndmask_b32_e64 v0, v2, v0, s[4:5]
	v_lshlrev_b32_e32 v2, 8, v8
	v_lshl_add_u32 v1, v1, 10, v53
	v_and_or_b32 v1, v2, s34, v1
	v_lshl_or_b32 v0, v0, 7, v1
	v_cvt_f32_f16_e32 v7, v0
.LBB281_14:                             ;   in Loop: Header=BB281_10 Depth=1
	s_or_b64 exec, exec, s[24:25]
	v_lshrrev_b16_e32 v8, 8, v8
	v_cmp_lt_i16_e64 s[4:5], s17, v8
	s_mov_b64 s[24:25], 0
                                        ; implicit-def: $sgpr35
	s_and_saveexec_b64 s[26:27], s[4:5]
	s_xor_b64 s[26:27], exec, s[26:27]
	s_cbranch_execnz .LBB281_212
; %bb.15:                               ;   in Loop: Header=BB281_10 Depth=1
	s_or_saveexec_b64 s[26:27], s[26:27]
	v_mov_b32_e32 v42, s35
	s_xor_b64 exec, exec, s[26:27]
	s_cbranch_execnz .LBB281_215
.LBB281_16:                             ;   in Loop: Header=BB281_10 Depth=1
	s_or_b64 exec, exec, s[26:27]
	s_and_saveexec_b64 s[26:27], s[24:25]
	s_cbranch_execz .LBB281_18
.LBB281_17:                             ;   in Loop: Header=BB281_10 Depth=1
	v_and_b32_e32 v2, 7, v8
	v_ffbh_u32_e32 v0, v2
	v_min_u32_e32 v4, 32, v0
	v_subrev_u32_e32 v0, 28, v4
	v_bfe_u32 v3, v8, 3, 4
	v_lshlrev_b64 v[0:1], v0, v[8:9]
	v_sub_u32_e32 v1, 29, v4
	v_cmp_eq_u32_e64 s[4:5], 0, v3
	v_and_b32_e32 v0, 7, v0
	s_nop 0
	v_cndmask_b32_e64 v1, v3, v1, s[4:5]
	v_cndmask_b32_e64 v0, v2, v0, s[4:5]
	v_lshlrev_b32_e32 v2, 8, v8
	v_lshl_add_u32 v1, v1, 10, v53
	v_and_or_b32 v1, v2, s34, v1
	v_lshl_or_b32 v0, v0, 7, v1
	v_cvt_f32_f16_e32 v42, v0
.LBB281_18:                             ;   in Loop: Header=BB281_10 Depth=1
	s_or_b64 exec, exec, s[26:27]
	flat_load_ushort v0, v[34:35] offset:8
	s_mov_b64 s[4:5], 0
                                        ; implicit-def: $sgpr28
	s_waitcnt vmcnt(0) lgkmcnt(0)
	v_cmp_gt_i16_sdwa s[24:25], v0, s17 src0_sel:BYTE_0 src1_sel:DWORD
	s_and_saveexec_b64 s[26:27], s[24:25]
	s_xor_b64 s[24:25], exec, s[26:27]
	s_cbranch_execnz .LBB281_216
; %bb.19:                               ;   in Loop: Header=BB281_10 Depth=1
	s_or_saveexec_b64 s[24:25], s[24:25]
	v_mov_b32_e32 v12, s28
	s_xor_b64 exec, exec, s[24:25]
	s_cbranch_execnz .LBB281_219
.LBB281_20:                             ;   in Loop: Header=BB281_10 Depth=1
	s_or_b64 exec, exec, s[24:25]
	v_and_b32_e32 v8, 0xffff, v0
	s_and_saveexec_b64 s[24:25], s[4:5]
	s_cbranch_execz .LBB281_22
.LBB281_21:                             ;   in Loop: Header=BB281_10 Depth=1
	v_and_b32_e32 v2, 7, v8
	v_ffbh_u32_e32 v0, v2
	v_min_u32_e32 v4, 32, v0
	v_subrev_u32_e32 v0, 28, v4
	v_bfe_u32 v3, v8, 3, 4
	v_lshlrev_b64 v[0:1], v0, v[8:9]
	v_sub_u32_e32 v1, 29, v4
	v_cmp_eq_u32_e64 s[4:5], 0, v3
	v_and_b32_e32 v0, 7, v0
	s_nop 0
	v_cndmask_b32_e64 v1, v3, v1, s[4:5]
	v_cndmask_b32_e64 v0, v2, v0, s[4:5]
	v_lshlrev_b32_e32 v2, 8, v8
	v_lshl_add_u32 v1, v1, 10, v53
	v_and_or_b32 v1, v2, s34, v1
	v_lshl_or_b32 v0, v0, 7, v1
	v_cvt_f32_f16_e32 v12, v0
.LBB281_22:                             ;   in Loop: Header=BB281_10 Depth=1
	s_or_b64 exec, exec, s[24:25]
	v_lshrrev_b16_e32 v8, 8, v8
	v_cmp_lt_i16_e64 s[4:5], s17, v8
	s_mov_b64 s[24:25], 0
                                        ; implicit-def: $sgpr35
	s_and_saveexec_b64 s[26:27], s[4:5]
	s_xor_b64 s[26:27], exec, s[26:27]
	s_cbranch_execnz .LBB281_220
; %bb.23:                               ;   in Loop: Header=BB281_10 Depth=1
	s_or_saveexec_b64 s[26:27], s[26:27]
	v_mov_b32_e32 v16, s35
	s_xor_b64 exec, exec, s[26:27]
	s_cbranch_execnz .LBB281_223
.LBB281_24:                             ;   in Loop: Header=BB281_10 Depth=1
	s_or_b64 exec, exec, s[26:27]
	s_and_saveexec_b64 s[26:27], s[24:25]
	s_cbranch_execz .LBB281_26
.LBB281_25:                             ;   in Loop: Header=BB281_10 Depth=1
	v_and_b32_e32 v2, 7, v8
	v_ffbh_u32_e32 v0, v2
	v_min_u32_e32 v4, 32, v0
	v_subrev_u32_e32 v0, 28, v4
	v_bfe_u32 v3, v8, 3, 4
	v_lshlrev_b64 v[0:1], v0, v[8:9]
	v_sub_u32_e32 v1, 29, v4
	v_cmp_eq_u32_e64 s[4:5], 0, v3
	v_and_b32_e32 v0, 7, v0
	s_nop 0
	v_cndmask_b32_e64 v1, v3, v1, s[4:5]
	v_cndmask_b32_e64 v0, v2, v0, s[4:5]
	v_lshlrev_b32_e32 v2, 8, v8
	v_lshl_add_u32 v1, v1, 10, v53
	v_and_or_b32 v1, v2, s34, v1
	v_lshl_or_b32 v0, v0, 7, v1
	v_cvt_f32_f16_e32 v16, v0
.LBB281_26:                             ;   in Loop: Header=BB281_10 Depth=1
	s_or_b64 exec, exec, s[26:27]
	flat_load_ushort v0, v[34:35] offset:256
	s_mov_b64 s[4:5], 0
                                        ; implicit-def: $sgpr28
	s_waitcnt vmcnt(0) lgkmcnt(0)
	v_cmp_gt_i16_sdwa s[24:25], v0, s17 src0_sel:BYTE_0 src1_sel:DWORD
	s_and_saveexec_b64 s[26:27], s[24:25]
	s_xor_b64 s[24:25], exec, s[26:27]
	s_cbranch_execnz .LBB281_224
; %bb.27:                               ;   in Loop: Header=BB281_10 Depth=1
	s_or_saveexec_b64 s[24:25], s[24:25]
	v_mov_b32_e32 v17, s28
	s_xor_b64 exec, exec, s[24:25]
	s_cbranch_execnz .LBB281_227
.LBB281_28:                             ;   in Loop: Header=BB281_10 Depth=1
	s_or_b64 exec, exec, s[24:25]
	v_and_b32_e32 v8, 0xffff, v0
	s_and_saveexec_b64 s[24:25], s[4:5]
	s_cbranch_execz .LBB281_30
.LBB281_29:                             ;   in Loop: Header=BB281_10 Depth=1
	v_and_b32_e32 v2, 7, v8
	v_ffbh_u32_e32 v0, v2
	v_min_u32_e32 v4, 32, v0
	v_subrev_u32_e32 v0, 28, v4
	v_bfe_u32 v3, v8, 3, 4
	v_lshlrev_b64 v[0:1], v0, v[8:9]
	v_sub_u32_e32 v1, 29, v4
	v_cmp_eq_u32_e64 s[4:5], 0, v3
	v_and_b32_e32 v0, 7, v0
	s_nop 0
	v_cndmask_b32_e64 v1, v3, v1, s[4:5]
	v_cndmask_b32_e64 v0, v2, v0, s[4:5]
	v_lshlrev_b32_e32 v2, 8, v8
	v_lshl_add_u32 v1, v1, 10, v53
	v_and_or_b32 v1, v2, s34, v1
	v_lshl_or_b32 v0, v0, 7, v1
	v_cvt_f32_f16_e32 v17, v0
.LBB281_30:                             ;   in Loop: Header=BB281_10 Depth=1
	s_or_b64 exec, exec, s[24:25]
	v_lshrrev_b16_e32 v8, 8, v8
	v_cmp_lt_i16_e64 s[4:5], s17, v8
	s_mov_b64 s[24:25], 0
                                        ; implicit-def: $sgpr35
	s_and_saveexec_b64 s[26:27], s[4:5]
	s_xor_b64 s[26:27], exec, s[26:27]
	s_cbranch_execnz .LBB281_228
; %bb.31:                               ;   in Loop: Header=BB281_10 Depth=1
	s_or_saveexec_b64 s[26:27], s[26:27]
	v_mov_b32_e32 v19, s35
	s_xor_b64 exec, exec, s[26:27]
	s_cbranch_execnz .LBB281_231
.LBB281_32:                             ;   in Loop: Header=BB281_10 Depth=1
	s_or_b64 exec, exec, s[26:27]
	s_and_saveexec_b64 s[26:27], s[24:25]
	s_cbranch_execz .LBB281_34
.LBB281_33:                             ;   in Loop: Header=BB281_10 Depth=1
	v_and_b32_e32 v2, 7, v8
	v_ffbh_u32_e32 v0, v2
	v_min_u32_e32 v4, 32, v0
	v_subrev_u32_e32 v0, 28, v4
	v_bfe_u32 v3, v8, 3, 4
	v_lshlrev_b64 v[0:1], v0, v[8:9]
	v_sub_u32_e32 v1, 29, v4
	v_cmp_eq_u32_e64 s[4:5], 0, v3
	v_and_b32_e32 v0, 7, v0
	s_nop 0
	v_cndmask_b32_e64 v1, v3, v1, s[4:5]
	v_cndmask_b32_e64 v0, v2, v0, s[4:5]
	v_lshlrev_b32_e32 v2, 8, v8
	v_lshl_add_u32 v1, v1, 10, v53
	v_and_or_b32 v1, v2, s34, v1
	v_lshl_or_b32 v0, v0, 7, v1
	v_cvt_f32_f16_e32 v19, v0
.LBB281_34:                             ;   in Loop: Header=BB281_10 Depth=1
	s_or_b64 exec, exec, s[26:27]
	flat_load_ushort v0, v[34:35] offset:264
	s_mov_b64 s[4:5], 0
                                        ; implicit-def: $sgpr28
	s_waitcnt vmcnt(0) lgkmcnt(0)
	v_cmp_gt_i16_sdwa s[24:25], v0, s17 src0_sel:BYTE_0 src1_sel:DWORD
	s_and_saveexec_b64 s[26:27], s[24:25]
	s_xor_b64 s[24:25], exec, s[26:27]
	s_cbranch_execnz .LBB281_232
; %bb.35:                               ;   in Loop: Header=BB281_10 Depth=1
	s_or_saveexec_b64 s[24:25], s[24:25]
	v_mov_b32_e32 v20, s28
	s_xor_b64 exec, exec, s[24:25]
	s_cbranch_execnz .LBB281_235
.LBB281_36:                             ;   in Loop: Header=BB281_10 Depth=1
	s_or_b64 exec, exec, s[24:25]
	v_and_b32_e32 v8, 0xffff, v0
	s_and_saveexec_b64 s[24:25], s[4:5]
	s_cbranch_execz .LBB281_38
.LBB281_37:                             ;   in Loop: Header=BB281_10 Depth=1
	v_and_b32_e32 v2, 7, v8
	v_ffbh_u32_e32 v0, v2
	v_min_u32_e32 v4, 32, v0
	v_subrev_u32_e32 v0, 28, v4
	v_bfe_u32 v3, v8, 3, 4
	v_lshlrev_b64 v[0:1], v0, v[8:9]
	v_sub_u32_e32 v1, 29, v4
	v_cmp_eq_u32_e64 s[4:5], 0, v3
	v_and_b32_e32 v0, 7, v0
	s_nop 0
	v_cndmask_b32_e64 v1, v3, v1, s[4:5]
	v_cndmask_b32_e64 v0, v2, v0, s[4:5]
	v_lshlrev_b32_e32 v2, 8, v8
	v_lshl_add_u32 v1, v1, 10, v53
	v_and_or_b32 v1, v2, s34, v1
	v_lshl_or_b32 v0, v0, 7, v1
	v_cvt_f32_f16_e32 v20, v0
.LBB281_38:                             ;   in Loop: Header=BB281_10 Depth=1
	s_or_b64 exec, exec, s[24:25]
	v_lshrrev_b16_e32 v8, 8, v8
	v_cmp_lt_i16_e64 s[4:5], s17, v8
	s_mov_b64 s[24:25], 0
                                        ; implicit-def: $sgpr35
	s_and_saveexec_b64 s[26:27], s[4:5]
	s_xor_b64 s[26:27], exec, s[26:27]
	s_cbranch_execnz .LBB281_236
; %bb.39:                               ;   in Loop: Header=BB281_10 Depth=1
	s_or_saveexec_b64 s[26:27], s[26:27]
	v_mov_b32_e32 v21, s35
	s_xor_b64 exec, exec, s[26:27]
	s_cbranch_execnz .LBB281_239
.LBB281_40:                             ;   in Loop: Header=BB281_10 Depth=1
	s_or_b64 exec, exec, s[26:27]
	s_and_saveexec_b64 s[26:27], s[24:25]
	s_cbranch_execz .LBB281_42
.LBB281_41:                             ;   in Loop: Header=BB281_10 Depth=1
	v_and_b32_e32 v2, 7, v8
	v_ffbh_u32_e32 v0, v2
	v_min_u32_e32 v4, 32, v0
	v_subrev_u32_e32 v0, 28, v4
	v_bfe_u32 v3, v8, 3, 4
	v_lshlrev_b64 v[0:1], v0, v[8:9]
	v_sub_u32_e32 v1, 29, v4
	v_cmp_eq_u32_e64 s[4:5], 0, v3
	v_and_b32_e32 v0, 7, v0
	s_nop 0
	v_cndmask_b32_e64 v1, v3, v1, s[4:5]
	v_cndmask_b32_e64 v0, v2, v0, s[4:5]
	v_lshlrev_b32_e32 v2, 8, v8
	v_lshl_add_u32 v1, v1, 10, v53
	v_and_or_b32 v1, v2, s34, v1
	v_lshl_or_b32 v0, v0, 7, v1
	v_cvt_f32_f16_e32 v21, v0
.LBB281_42:                             ;   in Loop: Header=BB281_10 Depth=1
	s_or_b64 exec, exec, s[26:27]
	flat_load_ushort v0, v[34:35] offset:512
	s_mov_b64 s[4:5], 0
                                        ; implicit-def: $sgpr28
	s_waitcnt vmcnt(0) lgkmcnt(0)
	v_cmp_gt_i16_sdwa s[24:25], v0, s17 src0_sel:BYTE_0 src1_sel:DWORD
	s_and_saveexec_b64 s[26:27], s[24:25]
	s_xor_b64 s[24:25], exec, s[26:27]
	s_cbranch_execnz .LBB281_240
; %bb.43:                               ;   in Loop: Header=BB281_10 Depth=1
	s_or_saveexec_b64 s[24:25], s[24:25]
	v_mov_b32_e32 v32, s28
	s_xor_b64 exec, exec, s[24:25]
	s_cbranch_execnz .LBB281_243
.LBB281_44:                             ;   in Loop: Header=BB281_10 Depth=1
	s_or_b64 exec, exec, s[24:25]
	v_and_b32_e32 v8, 0xffff, v0
	s_and_saveexec_b64 s[24:25], s[4:5]
	s_cbranch_execz .LBB281_46
.LBB281_45:                             ;   in Loop: Header=BB281_10 Depth=1
	v_and_b32_e32 v2, 7, v8
	v_ffbh_u32_e32 v0, v2
	v_min_u32_e32 v4, 32, v0
	v_subrev_u32_e32 v0, 28, v4
	v_bfe_u32 v3, v8, 3, 4
	v_lshlrev_b64 v[0:1], v0, v[8:9]
	v_sub_u32_e32 v1, 29, v4
	v_cmp_eq_u32_e64 s[4:5], 0, v3
	v_and_b32_e32 v0, 7, v0
	s_nop 0
	v_cndmask_b32_e64 v1, v3, v1, s[4:5]
	v_cndmask_b32_e64 v0, v2, v0, s[4:5]
	v_lshlrev_b32_e32 v2, 8, v8
	v_lshl_add_u32 v1, v1, 10, v53
	v_and_or_b32 v1, v2, s34, v1
	v_lshl_or_b32 v0, v0, 7, v1
	v_cvt_f32_f16_e32 v32, v0
.LBB281_46:                             ;   in Loop: Header=BB281_10 Depth=1
	s_or_b64 exec, exec, s[24:25]
	v_lshrrev_b16_e32 v8, 8, v8
	v_cmp_lt_i16_e64 s[4:5], s17, v8
	s_mov_b64 s[24:25], 0
                                        ; implicit-def: $sgpr35
	s_and_saveexec_b64 s[26:27], s[4:5]
	s_xor_b64 s[26:27], exec, s[26:27]
	s_cbranch_execnz .LBB281_244
; %bb.47:                               ;   in Loop: Header=BB281_10 Depth=1
	s_or_saveexec_b64 s[26:27], s[26:27]
	v_mov_b32_e32 v33, s35
	s_xor_b64 exec, exec, s[26:27]
	s_cbranch_execnz .LBB281_247
.LBB281_48:                             ;   in Loop: Header=BB281_10 Depth=1
	s_or_b64 exec, exec, s[26:27]
	s_and_saveexec_b64 s[26:27], s[24:25]
	s_cbranch_execz .LBB281_50
.LBB281_49:                             ;   in Loop: Header=BB281_10 Depth=1
	v_and_b32_e32 v2, 7, v8
	v_ffbh_u32_e32 v0, v2
	v_min_u32_e32 v4, 32, v0
	v_subrev_u32_e32 v0, 28, v4
	v_bfe_u32 v3, v8, 3, 4
	v_lshlrev_b64 v[0:1], v0, v[8:9]
	v_sub_u32_e32 v1, 29, v4
	v_cmp_eq_u32_e64 s[4:5], 0, v3
	v_and_b32_e32 v0, 7, v0
	s_nop 0
	v_cndmask_b32_e64 v1, v3, v1, s[4:5]
	v_cndmask_b32_e64 v0, v2, v0, s[4:5]
	v_lshlrev_b32_e32 v2, 8, v8
	v_lshl_add_u32 v1, v1, 10, v53
	v_and_or_b32 v1, v2, s34, v1
	v_lshl_or_b32 v0, v0, 7, v1
	v_cvt_f32_f16_e32 v33, v0
.LBB281_50:                             ;   in Loop: Header=BB281_10 Depth=1
	s_or_b64 exec, exec, s[26:27]
	flat_load_ushort v0, v[34:35] offset:520
	s_mov_b64 s[4:5], 0
                                        ; implicit-def: $sgpr28
	s_waitcnt vmcnt(0) lgkmcnt(0)
	v_cmp_gt_i16_sdwa s[24:25], v0, s17 src0_sel:BYTE_0 src1_sel:DWORD
	s_and_saveexec_b64 s[26:27], s[24:25]
	s_xor_b64 s[24:25], exec, s[26:27]
	s_cbranch_execnz .LBB281_248
; %bb.51:                               ;   in Loop: Header=BB281_10 Depth=1
	s_or_saveexec_b64 s[24:25], s[24:25]
	v_mov_b32_e32 v58, s28
	s_xor_b64 exec, exec, s[24:25]
	s_cbranch_execnz .LBB281_251
.LBB281_52:                             ;   in Loop: Header=BB281_10 Depth=1
	s_or_b64 exec, exec, s[24:25]
	v_and_b32_e32 v8, 0xffff, v0
	s_and_saveexec_b64 s[24:25], s[4:5]
	s_cbranch_execz .LBB281_54
.LBB281_53:                             ;   in Loop: Header=BB281_10 Depth=1
	v_and_b32_e32 v2, 7, v8
	v_ffbh_u32_e32 v0, v2
	v_min_u32_e32 v4, 32, v0
	v_subrev_u32_e32 v0, 28, v4
	v_bfe_u32 v3, v8, 3, 4
	v_lshlrev_b64 v[0:1], v0, v[8:9]
	v_sub_u32_e32 v1, 29, v4
	v_cmp_eq_u32_e64 s[4:5], 0, v3
	v_and_b32_e32 v0, 7, v0
	s_nop 0
	v_cndmask_b32_e64 v1, v3, v1, s[4:5]
	v_cndmask_b32_e64 v0, v2, v0, s[4:5]
	v_lshlrev_b32_e32 v2, 8, v8
	v_lshl_add_u32 v1, v1, 10, v53
	v_and_or_b32 v1, v2, s34, v1
	v_lshl_or_b32 v0, v0, 7, v1
	v_cvt_f32_f16_e32 v58, v0
.LBB281_54:                             ;   in Loop: Header=BB281_10 Depth=1
	s_or_b64 exec, exec, s[24:25]
	v_lshrrev_b16_e32 v8, 8, v8
	v_cmp_lt_i16_e64 s[4:5], s17, v8
	s_mov_b64 s[24:25], 0
                                        ; implicit-def: $sgpr35
	s_and_saveexec_b64 s[26:27], s[4:5]
	s_xor_b64 s[26:27], exec, s[26:27]
	s_cbranch_execnz .LBB281_252
; %bb.55:                               ;   in Loop: Header=BB281_10 Depth=1
	s_or_saveexec_b64 s[26:27], s[26:27]
	v_mov_b32_e32 v57, s35
	s_xor_b64 exec, exec, s[26:27]
	s_cbranch_execnz .LBB281_255
.LBB281_56:                             ;   in Loop: Header=BB281_10 Depth=1
	s_or_b64 exec, exec, s[26:27]
	s_and_saveexec_b64 s[26:27], s[24:25]
	s_cbranch_execz .LBB281_58
.LBB281_57:                             ;   in Loop: Header=BB281_10 Depth=1
	v_and_b32_e32 v2, 7, v8
	v_ffbh_u32_e32 v0, v2
	v_min_u32_e32 v4, 32, v0
	v_subrev_u32_e32 v0, 28, v4
	v_bfe_u32 v3, v8, 3, 4
	v_lshlrev_b64 v[0:1], v0, v[8:9]
	v_sub_u32_e32 v1, 29, v4
	v_cmp_eq_u32_e64 s[4:5], 0, v3
	v_and_b32_e32 v0, 7, v0
	s_nop 0
	v_cndmask_b32_e64 v1, v3, v1, s[4:5]
	v_cndmask_b32_e64 v0, v2, v0, s[4:5]
	v_lshlrev_b32_e32 v2, 8, v8
	v_lshl_add_u32 v1, v1, 10, v53
	v_and_or_b32 v1, v2, s34, v1
	v_lshl_or_b32 v0, v0, 7, v1
	v_cvt_f32_f16_e32 v57, v0
.LBB281_58:                             ;   in Loop: Header=BB281_10 Depth=1
	s_or_b64 exec, exec, s[26:27]
	flat_load_ushort v0, v[34:35] offset:768
	s_mov_b64 s[4:5], 0
                                        ; implicit-def: $sgpr28
	s_waitcnt vmcnt(0) lgkmcnt(0)
	v_cmp_gt_i16_sdwa s[24:25], v0, s17 src0_sel:BYTE_0 src1_sel:DWORD
	s_and_saveexec_b64 s[26:27], s[24:25]
	s_xor_b64 s[24:25], exec, s[26:27]
	s_cbranch_execnz .LBB281_256
; %bb.59:                               ;   in Loop: Header=BB281_10 Depth=1
	s_or_saveexec_b64 s[24:25], s[24:25]
	v_mov_b32_e32 v36, s28
	s_xor_b64 exec, exec, s[24:25]
	s_cbranch_execnz .LBB281_259
.LBB281_60:                             ;   in Loop: Header=BB281_10 Depth=1
	s_or_b64 exec, exec, s[24:25]
	v_and_b32_e32 v8, 0xffff, v0
	s_and_saveexec_b64 s[24:25], s[4:5]
	s_cbranch_execz .LBB281_62
.LBB281_61:                             ;   in Loop: Header=BB281_10 Depth=1
	v_and_b32_e32 v2, 7, v8
	v_ffbh_u32_e32 v0, v2
	v_min_u32_e32 v4, 32, v0
	v_subrev_u32_e32 v0, 28, v4
	v_bfe_u32 v3, v8, 3, 4
	v_lshlrev_b64 v[0:1], v0, v[8:9]
	v_sub_u32_e32 v1, 29, v4
	v_cmp_eq_u32_e64 s[4:5], 0, v3
	v_and_b32_e32 v0, 7, v0
	s_nop 0
	v_cndmask_b32_e64 v1, v3, v1, s[4:5]
	v_cndmask_b32_e64 v0, v2, v0, s[4:5]
	v_lshlrev_b32_e32 v2, 8, v8
	v_lshl_add_u32 v1, v1, 10, v53
	v_and_or_b32 v1, v2, s34, v1
	v_lshl_or_b32 v0, v0, 7, v1
	v_cvt_f32_f16_e32 v36, v0
.LBB281_62:                             ;   in Loop: Header=BB281_10 Depth=1
	s_or_b64 exec, exec, s[24:25]
	v_lshrrev_b16_e32 v8, 8, v8
	v_cmp_lt_i16_e64 s[4:5], s17, v8
	s_mov_b64 s[24:25], 0
                                        ; implicit-def: $sgpr35
	s_and_saveexec_b64 s[26:27], s[4:5]
	s_xor_b64 s[26:27], exec, s[26:27]
	s_cbranch_execnz .LBB281_260
; %bb.63:                               ;   in Loop: Header=BB281_10 Depth=1
	s_or_saveexec_b64 s[26:27], s[26:27]
	v_mov_b32_e32 v37, s35
	s_xor_b64 exec, exec, s[26:27]
	s_cbranch_execnz .LBB281_263
.LBB281_64:                             ;   in Loop: Header=BB281_10 Depth=1
	s_or_b64 exec, exec, s[26:27]
	s_and_saveexec_b64 s[26:27], s[24:25]
	s_cbranch_execz .LBB281_66
.LBB281_65:                             ;   in Loop: Header=BB281_10 Depth=1
	v_and_b32_e32 v2, 7, v8
	v_ffbh_u32_e32 v0, v2
	v_min_u32_e32 v4, 32, v0
	v_subrev_u32_e32 v0, 28, v4
	v_bfe_u32 v3, v8, 3, 4
	v_lshlrev_b64 v[0:1], v0, v[8:9]
	v_sub_u32_e32 v1, 29, v4
	v_cmp_eq_u32_e64 s[4:5], 0, v3
	v_and_b32_e32 v0, 7, v0
	s_nop 0
	v_cndmask_b32_e64 v1, v3, v1, s[4:5]
	v_cndmask_b32_e64 v0, v2, v0, s[4:5]
	v_lshlrev_b32_e32 v2, 8, v8
	v_lshl_add_u32 v1, v1, 10, v53
	v_and_or_b32 v1, v2, s34, v1
	v_lshl_or_b32 v0, v0, 7, v1
	v_cvt_f32_f16_e32 v37, v0
.LBB281_66:                             ;   in Loop: Header=BB281_10 Depth=1
	s_or_b64 exec, exec, s[26:27]
	flat_load_ushort v0, v[34:35] offset:776
	s_mov_b64 s[4:5], 0
                                        ; implicit-def: $sgpr28
	s_waitcnt vmcnt(0) lgkmcnt(0)
	v_cmp_gt_i16_sdwa s[24:25], v0, s17 src0_sel:BYTE_0 src1_sel:DWORD
	s_and_saveexec_b64 s[26:27], s[24:25]
	s_xor_b64 s[24:25], exec, s[26:27]
	s_cbranch_execnz .LBB281_264
; %bb.67:                               ;   in Loop: Header=BB281_10 Depth=1
	s_or_saveexec_b64 s[24:25], s[24:25]
	v_mov_b32_e32 v48, s28
	s_xor_b64 exec, exec, s[24:25]
	s_cbranch_execnz .LBB281_267
.LBB281_68:                             ;   in Loop: Header=BB281_10 Depth=1
	s_or_b64 exec, exec, s[24:25]
	v_and_b32_e32 v8, 0xffff, v0
	s_and_saveexec_b64 s[24:25], s[4:5]
	s_cbranch_execz .LBB281_70
.LBB281_69:                             ;   in Loop: Header=BB281_10 Depth=1
	v_and_b32_e32 v2, 7, v8
	v_ffbh_u32_e32 v0, v2
	v_min_u32_e32 v4, 32, v0
	v_subrev_u32_e32 v0, 28, v4
	v_bfe_u32 v3, v8, 3, 4
	v_lshlrev_b64 v[0:1], v0, v[8:9]
	v_sub_u32_e32 v1, 29, v4
	v_cmp_eq_u32_e64 s[4:5], 0, v3
	v_and_b32_e32 v0, 7, v0
	s_nop 0
	v_cndmask_b32_e64 v1, v3, v1, s[4:5]
	v_cndmask_b32_e64 v0, v2, v0, s[4:5]
	v_lshlrev_b32_e32 v2, 8, v8
	v_lshl_add_u32 v1, v1, 10, v53
	v_and_or_b32 v1, v2, s34, v1
	v_lshl_or_b32 v0, v0, 7, v1
	v_cvt_f32_f16_e32 v48, v0
.LBB281_70:                             ;   in Loop: Header=BB281_10 Depth=1
	s_or_b64 exec, exec, s[24:25]
	v_lshrrev_b16_e32 v8, 8, v8
	v_cmp_lt_i16_e64 s[4:5], s17, v8
	s_mov_b64 s[24:25], 0
                                        ; implicit-def: $sgpr35
	s_and_saveexec_b64 s[26:27], s[4:5]
	s_xor_b64 s[26:27], exec, s[26:27]
	s_cbranch_execnz .LBB281_268
; %bb.71:                               ;   in Loop: Header=BB281_10 Depth=1
	s_or_saveexec_b64 s[26:27], s[26:27]
	v_mov_b32_e32 v38, s35
	s_xor_b64 exec, exec, s[26:27]
	s_cbranch_execnz .LBB281_271
.LBB281_72:                             ;   in Loop: Header=BB281_10 Depth=1
	s_or_b64 exec, exec, s[26:27]
	s_and_saveexec_b64 s[26:27], s[24:25]
	s_cbranch_execz .LBB281_74
.LBB281_73:                             ;   in Loop: Header=BB281_10 Depth=1
	v_and_b32_e32 v2, 7, v8
	v_ffbh_u32_e32 v0, v2
	v_min_u32_e32 v4, 32, v0
	v_subrev_u32_e32 v0, 28, v4
	v_bfe_u32 v3, v8, 3, 4
	v_lshlrev_b64 v[0:1], v0, v[8:9]
	v_sub_u32_e32 v1, 29, v4
	v_cmp_eq_u32_e64 s[4:5], 0, v3
	v_and_b32_e32 v0, 7, v0
	s_nop 0
	v_cndmask_b32_e64 v1, v3, v1, s[4:5]
	v_cndmask_b32_e64 v0, v2, v0, s[4:5]
	v_lshlrev_b32_e32 v2, 8, v8
	v_lshl_add_u32 v1, v1, 10, v53
	v_and_or_b32 v1, v2, s34, v1
	v_lshl_or_b32 v0, v0, 7, v1
	v_cvt_f32_f16_e32 v38, v0
.LBB281_74:                             ;   in Loop: Header=BB281_10 Depth=1
	s_or_b64 exec, exec, s[26:27]
	flat_load_ushort v0, v[34:35] offset:1024
	s_mov_b64 s[4:5], 0
                                        ; implicit-def: $sgpr28
	s_waitcnt vmcnt(0) lgkmcnt(0)
	v_cmp_gt_i16_sdwa s[24:25], v0, s17 src0_sel:BYTE_0 src1_sel:DWORD
	s_and_saveexec_b64 s[26:27], s[24:25]
	s_xor_b64 s[24:25], exec, s[26:27]
	s_cbranch_execnz .LBB281_272
; %bb.75:                               ;   in Loop: Header=BB281_10 Depth=1
	s_or_saveexec_b64 s[24:25], s[24:25]
	v_mov_b32_e32 v50, s28
	s_xor_b64 exec, exec, s[24:25]
	s_cbranch_execnz .LBB281_275
.LBB281_76:                             ;   in Loop: Header=BB281_10 Depth=1
	s_or_b64 exec, exec, s[24:25]
	v_and_b32_e32 v8, 0xffff, v0
	s_and_saveexec_b64 s[24:25], s[4:5]
	s_cbranch_execz .LBB281_78
.LBB281_77:                             ;   in Loop: Header=BB281_10 Depth=1
	v_and_b32_e32 v2, 7, v8
	v_ffbh_u32_e32 v0, v2
	v_min_u32_e32 v4, 32, v0
	v_subrev_u32_e32 v0, 28, v4
	v_bfe_u32 v3, v8, 3, 4
	v_lshlrev_b64 v[0:1], v0, v[8:9]
	v_sub_u32_e32 v1, 29, v4
	v_cmp_eq_u32_e64 s[4:5], 0, v3
	v_and_b32_e32 v0, 7, v0
	s_nop 0
	v_cndmask_b32_e64 v1, v3, v1, s[4:5]
	v_cndmask_b32_e64 v0, v2, v0, s[4:5]
	v_lshlrev_b32_e32 v2, 8, v8
	v_lshl_add_u32 v1, v1, 10, v53
	v_and_or_b32 v1, v2, s34, v1
	v_lshl_or_b32 v0, v0, 7, v1
	v_cvt_f32_f16_e32 v50, v0
.LBB281_78:                             ;   in Loop: Header=BB281_10 Depth=1
	s_or_b64 exec, exec, s[24:25]
	v_lshrrev_b16_e32 v8, 8, v8
	v_cmp_lt_i16_e64 s[4:5], s17, v8
	s_mov_b64 s[24:25], 0
                                        ; implicit-def: $sgpr35
	s_and_saveexec_b64 s[26:27], s[4:5]
	s_xor_b64 s[26:27], exec, s[26:27]
	s_cbranch_execnz .LBB281_276
; %bb.79:                               ;   in Loop: Header=BB281_10 Depth=1
	s_or_saveexec_b64 s[26:27], s[26:27]
	v_mov_b32_e32 v18, s35
	s_xor_b64 exec, exec, s[26:27]
	s_cbranch_execnz .LBB281_279
.LBB281_80:                             ;   in Loop: Header=BB281_10 Depth=1
	s_or_b64 exec, exec, s[26:27]
	s_and_saveexec_b64 s[26:27], s[24:25]
	s_cbranch_execz .LBB281_82
.LBB281_81:                             ;   in Loop: Header=BB281_10 Depth=1
	v_and_b32_e32 v2, 7, v8
	v_ffbh_u32_e32 v0, v2
	v_min_u32_e32 v4, 32, v0
	v_subrev_u32_e32 v0, 28, v4
	v_bfe_u32 v3, v8, 3, 4
	v_lshlrev_b64 v[0:1], v0, v[8:9]
	v_sub_u32_e32 v1, 29, v4
	v_cmp_eq_u32_e64 s[4:5], 0, v3
	v_and_b32_e32 v0, 7, v0
	s_nop 0
	v_cndmask_b32_e64 v1, v3, v1, s[4:5]
	v_cndmask_b32_e64 v0, v2, v0, s[4:5]
	v_lshlrev_b32_e32 v2, 8, v8
	v_lshl_add_u32 v1, v1, 10, v53
	v_and_or_b32 v1, v2, s34, v1
	v_lshl_or_b32 v0, v0, 7, v1
	v_cvt_f32_f16_e32 v18, v0
.LBB281_82:                             ;   in Loop: Header=BB281_10 Depth=1
	s_or_b64 exec, exec, s[26:27]
	flat_load_ushort v0, v[34:35] offset:1032
	s_mov_b64 s[4:5], 0
                                        ; implicit-def: $sgpr28
	s_waitcnt vmcnt(0) lgkmcnt(0)
	v_cmp_gt_i16_sdwa s[24:25], v0, s17 src0_sel:BYTE_0 src1_sel:DWORD
	s_and_saveexec_b64 s[26:27], s[24:25]
	s_xor_b64 s[24:25], exec, s[26:27]
	s_cbranch_execnz .LBB281_280
; %bb.83:                               ;   in Loop: Header=BB281_10 Depth=1
	s_or_saveexec_b64 s[24:25], s[24:25]
	v_mov_b32_e32 v51, s28
	s_xor_b64 exec, exec, s[24:25]
	s_cbranch_execnz .LBB281_283
.LBB281_84:                             ;   in Loop: Header=BB281_10 Depth=1
	s_or_b64 exec, exec, s[24:25]
	v_and_b32_e32 v8, 0xffff, v0
	s_and_saveexec_b64 s[24:25], s[4:5]
	s_cbranch_execz .LBB281_86
.LBB281_85:                             ;   in Loop: Header=BB281_10 Depth=1
	v_and_b32_e32 v2, 7, v8
	v_ffbh_u32_e32 v0, v2
	v_min_u32_e32 v4, 32, v0
	v_subrev_u32_e32 v0, 28, v4
	v_bfe_u32 v3, v8, 3, 4
	v_lshlrev_b64 v[0:1], v0, v[8:9]
	v_sub_u32_e32 v1, 29, v4
	v_cmp_eq_u32_e64 s[4:5], 0, v3
	v_and_b32_e32 v0, 7, v0
	s_nop 0
	v_cndmask_b32_e64 v1, v3, v1, s[4:5]
	v_cndmask_b32_e64 v0, v2, v0, s[4:5]
	v_lshlrev_b32_e32 v2, 8, v8
	v_lshl_add_u32 v1, v1, 10, v53
	v_and_or_b32 v1, v2, s34, v1
	v_lshl_or_b32 v0, v0, 7, v1
	v_cvt_f32_f16_e32 v51, v0
.LBB281_86:                             ;   in Loop: Header=BB281_10 Depth=1
	s_or_b64 exec, exec, s[24:25]
	v_lshrrev_b16_e32 v8, 8, v8
	v_cmp_lt_i16_e64 s[4:5], s17, v8
	s_mov_b64 s[24:25], 0
                                        ; implicit-def: $sgpr35
	s_and_saveexec_b64 s[26:27], s[4:5]
	s_xor_b64 s[26:27], exec, s[26:27]
	s_cbranch_execnz .LBB281_284
; %bb.87:                               ;   in Loop: Header=BB281_10 Depth=1
	s_or_saveexec_b64 s[26:27], s[26:27]
	v_mov_b32_e32 v52, s35
	s_xor_b64 exec, exec, s[26:27]
	s_cbranch_execnz .LBB281_287
.LBB281_88:                             ;   in Loop: Header=BB281_10 Depth=1
	s_or_b64 exec, exec, s[26:27]
	s_and_saveexec_b64 s[26:27], s[24:25]
	s_cbranch_execz .LBB281_90
.LBB281_89:                             ;   in Loop: Header=BB281_10 Depth=1
	v_and_b32_e32 v2, 7, v8
	v_ffbh_u32_e32 v0, v2
	v_min_u32_e32 v4, 32, v0
	v_subrev_u32_e32 v0, 28, v4
	v_bfe_u32 v3, v8, 3, 4
	v_lshlrev_b64 v[0:1], v0, v[8:9]
	v_sub_u32_e32 v1, 29, v4
	v_cmp_eq_u32_e64 s[4:5], 0, v3
	v_and_b32_e32 v0, 7, v0
	s_nop 0
	v_cndmask_b32_e64 v1, v3, v1, s[4:5]
	v_cndmask_b32_e64 v0, v2, v0, s[4:5]
	v_lshlrev_b32_e32 v2, 8, v8
	v_lshl_add_u32 v1, v1, 10, v53
	v_and_or_b32 v1, v2, s34, v1
	v_lshl_or_b32 v0, v0, 7, v1
	v_cvt_f32_f16_e32 v52, v0
.LBB281_90:                             ;   in Loop: Header=BB281_10 Depth=1
	s_or_b64 exec, exec, s[26:27]
	flat_load_ushort v0, v[34:35] offset:1280
	s_mov_b64 s[4:5], 0
                                        ; implicit-def: $sgpr28
	s_waitcnt vmcnt(0) lgkmcnt(0)
	v_cmp_gt_i16_sdwa s[24:25], v0, s17 src0_sel:BYTE_0 src1_sel:DWORD
	s_and_saveexec_b64 s[26:27], s[24:25]
	s_xor_b64 s[24:25], exec, s[26:27]
	s_cbranch_execnz .LBB281_288
; %bb.91:                               ;   in Loop: Header=BB281_10 Depth=1
	s_or_saveexec_b64 s[24:25], s[24:25]
	v_mov_b32_e32 v54, s28
	s_xor_b64 exec, exec, s[24:25]
	s_cbranch_execnz .LBB281_291
.LBB281_92:                             ;   in Loop: Header=BB281_10 Depth=1
	s_or_b64 exec, exec, s[24:25]
	v_and_b32_e32 v8, 0xffff, v0
	s_and_saveexec_b64 s[24:25], s[4:5]
	s_cbranch_execz .LBB281_94
.LBB281_93:                             ;   in Loop: Header=BB281_10 Depth=1
	v_and_b32_e32 v2, 7, v8
	v_ffbh_u32_e32 v0, v2
	v_min_u32_e32 v4, 32, v0
	v_subrev_u32_e32 v0, 28, v4
	v_bfe_u32 v3, v8, 3, 4
	v_lshlrev_b64 v[0:1], v0, v[8:9]
	v_sub_u32_e32 v1, 29, v4
	v_cmp_eq_u32_e64 s[4:5], 0, v3
	v_and_b32_e32 v0, 7, v0
	s_nop 0
	v_cndmask_b32_e64 v1, v3, v1, s[4:5]
	v_cndmask_b32_e64 v0, v2, v0, s[4:5]
	v_lshlrev_b32_e32 v2, 8, v8
	v_lshl_add_u32 v1, v1, 10, v53
	v_and_or_b32 v1, v2, s34, v1
	v_lshl_or_b32 v0, v0, 7, v1
	v_cvt_f32_f16_e32 v54, v0
.LBB281_94:                             ;   in Loop: Header=BB281_10 Depth=1
	s_or_b64 exec, exec, s[24:25]
	v_lshrrev_b16_e32 v8, 8, v8
	v_cmp_lt_i16_e64 s[4:5], s17, v8
	s_mov_b64 s[24:25], 0
                                        ; implicit-def: $sgpr35
	s_and_saveexec_b64 s[26:27], s[4:5]
	s_xor_b64 s[26:27], exec, s[26:27]
	s_cbranch_execnz .LBB281_292
; %bb.95:                               ;   in Loop: Header=BB281_10 Depth=1
	s_or_saveexec_b64 s[26:27], s[26:27]
	v_mov_b32_e32 v0, s35
	s_xor_b64 exec, exec, s[26:27]
	s_cbranch_execnz .LBB281_295
.LBB281_96:                             ;   in Loop: Header=BB281_10 Depth=1
	s_or_b64 exec, exec, s[26:27]
	s_and_saveexec_b64 s[26:27], s[24:25]
	s_cbranch_execz .LBB281_98
.LBB281_97:                             ;   in Loop: Header=BB281_10 Depth=1
	v_and_b32_e32 v2, 7, v8
	v_ffbh_u32_e32 v0, v2
	v_min_u32_e32 v4, 32, v0
	v_subrev_u32_e32 v0, 28, v4
	v_bfe_u32 v3, v8, 3, 4
	v_lshlrev_b64 v[0:1], v0, v[8:9]
	v_sub_u32_e32 v1, 29, v4
	v_cmp_eq_u32_e64 s[4:5], 0, v3
	v_and_b32_e32 v0, 7, v0
	s_nop 0
	v_cndmask_b32_e64 v1, v3, v1, s[4:5]
	v_cndmask_b32_e64 v0, v2, v0, s[4:5]
	v_lshlrev_b32_e32 v2, 8, v8
	v_lshl_add_u32 v1, v1, 10, v53
	v_and_or_b32 v1, v2, s34, v1
	v_lshl_or_b32 v0, v0, 7, v1
	v_cvt_f32_f16_e32 v0, v0
.LBB281_98:                             ;   in Loop: Header=BB281_10 Depth=1
	s_or_b64 exec, exec, s[26:27]
	v_accvgpr_write_b32 a39, v0
	flat_load_ushort v0, v[34:35] offset:1288
	s_mov_b64 s[4:5], 0
                                        ; implicit-def: $sgpr28
	s_waitcnt vmcnt(0) lgkmcnt(0)
	v_cmp_gt_i16_sdwa s[24:25], v0, s17 src0_sel:BYTE_0 src1_sel:DWORD
	s_and_saveexec_b64 s[26:27], s[24:25]
	s_xor_b64 s[24:25], exec, s[26:27]
	s_cbranch_execnz .LBB281_296
; %bb.99:                               ;   in Loop: Header=BB281_10 Depth=1
	s_or_saveexec_b64 s[24:25], s[24:25]
	v_mov_b32_e32 v4, s28
	s_xor_b64 exec, exec, s[24:25]
	s_cbranch_execnz .LBB281_299
.LBB281_100:                            ;   in Loop: Header=BB281_10 Depth=1
	s_or_b64 exec, exec, s[24:25]
	v_and_b32_e32 v8, 0xffff, v0
	s_and_saveexec_b64 s[24:25], s[4:5]
	s_cbranch_execz .LBB281_102
.LBB281_101:                            ;   in Loop: Header=BB281_10 Depth=1
	v_and_b32_e32 v2, 7, v8
	v_ffbh_u32_e32 v0, v2
	v_min_u32_e32 v4, 32, v0
	v_subrev_u32_e32 v0, 28, v4
	v_bfe_u32 v3, v8, 3, 4
	v_lshlrev_b64 v[0:1], v0, v[8:9]
	v_sub_u32_e32 v1, 29, v4
	v_cmp_eq_u32_e64 s[4:5], 0, v3
	v_and_b32_e32 v0, 7, v0
	s_nop 0
	v_cndmask_b32_e64 v1, v3, v1, s[4:5]
	v_cndmask_b32_e64 v0, v2, v0, s[4:5]
	v_lshlrev_b32_e32 v2, 8, v8
	v_lshl_add_u32 v1, v1, 10, v53
	v_and_or_b32 v1, v2, s34, v1
	v_lshl_or_b32 v0, v0, 7, v1
	v_cvt_f32_f16_e32 v4, v0
.LBB281_102:                            ;   in Loop: Header=BB281_10 Depth=1
	s_or_b64 exec, exec, s[24:25]
	v_lshrrev_b16_e32 v8, 8, v8
	v_cmp_lt_i16_e64 s[4:5], s17, v8
	s_mov_b64 s[24:25], 0
                                        ; implicit-def: $sgpr35
	s_and_saveexec_b64 s[26:27], s[4:5]
	s_xor_b64 s[26:27], exec, s[26:27]
	s_cbranch_execnz .LBB281_300
; %bb.103:                              ;   in Loop: Header=BB281_10 Depth=1
	s_or_saveexec_b64 s[26:27], s[26:27]
	v_mov_b32_e32 v0, s35
	s_xor_b64 exec, exec, s[26:27]
	s_cbranch_execnz .LBB281_303
.LBB281_104:                            ;   in Loop: Header=BB281_10 Depth=1
	s_or_b64 exec, exec, s[26:27]
	s_and_saveexec_b64 s[26:27], s[24:25]
	s_cbranch_execz .LBB281_106
.LBB281_105:                            ;   in Loop: Header=BB281_10 Depth=1
	v_and_b32_e32 v2, 7, v8
	v_ffbh_u32_e32 v0, v2
	v_min_u32_e32 v5, 32, v0
	v_subrev_u32_e32 v0, 28, v5
	v_bfe_u32 v3, v8, 3, 4
	v_lshlrev_b64 v[0:1], v0, v[8:9]
	v_sub_u32_e32 v1, 29, v5
	v_cmp_eq_u32_e64 s[4:5], 0, v3
	v_and_b32_e32 v0, 7, v0
	s_nop 0
	v_cndmask_b32_e64 v1, v3, v1, s[4:5]
	v_cndmask_b32_e64 v0, v2, v0, s[4:5]
	v_lshlrev_b32_e32 v2, 8, v8
	v_lshl_add_u32 v1, v1, 10, v53
	v_and_or_b32 v1, v2, s34, v1
	v_lshl_or_b32 v0, v0, 7, v1
	v_cvt_f32_f16_e32 v0, v0
.LBB281_106:                            ;   in Loop: Header=BB281_10 Depth=1
	s_or_b64 exec, exec, s[26:27]
	v_accvgpr_write_b32 a41, v0
	flat_load_ushort v0, v[34:35] offset:1536
	s_mov_b64 s[4:5], 0
                                        ; implicit-def: $sgpr28
	s_waitcnt vmcnt(0) lgkmcnt(0)
	v_cmp_gt_i16_sdwa s[24:25], v0, s17 src0_sel:BYTE_0 src1_sel:DWORD
	s_and_saveexec_b64 s[26:27], s[24:25]
	s_xor_b64 s[24:25], exec, s[26:27]
	s_cbranch_execnz .LBB281_304
; %bb.107:                              ;   in Loop: Header=BB281_10 Depth=1
	s_or_saveexec_b64 s[24:25], s[24:25]
	v_mov_b32_e32 v5, s28
	s_xor_b64 exec, exec, s[24:25]
	s_cbranch_execnz .LBB281_307
.LBB281_108:                            ;   in Loop: Header=BB281_10 Depth=1
	s_or_b64 exec, exec, s[24:25]
	v_and_b32_e32 v8, 0xffff, v0
	s_and_saveexec_b64 s[24:25], s[4:5]
	s_cbranch_execz .LBB281_110
.LBB281_109:                            ;   in Loop: Header=BB281_10 Depth=1
	v_and_b32_e32 v2, 7, v8
	v_ffbh_u32_e32 v0, v2
	v_min_u32_e32 v6, 32, v0
	v_subrev_u32_e32 v0, 28, v6
	v_bfe_u32 v3, v8, 3, 4
	v_lshlrev_b64 v[0:1], v0, v[8:9]
	v_sub_u32_e32 v1, 29, v6
	v_cmp_eq_u32_e64 s[4:5], 0, v3
	v_and_b32_e32 v0, 7, v0
	s_nop 0
	v_cndmask_b32_e64 v1, v3, v1, s[4:5]
	v_cndmask_b32_e64 v0, v2, v0, s[4:5]
	v_lshlrev_b32_e32 v2, 8, v8
	v_lshl_add_u32 v1, v1, 10, v53
	v_and_or_b32 v1, v2, s34, v1
	v_lshl_or_b32 v0, v0, 7, v1
	v_cvt_f32_f16_e32 v5, v0
.LBB281_110:                            ;   in Loop: Header=BB281_10 Depth=1
	s_or_b64 exec, exec, s[24:25]
	v_lshrrev_b16_e32 v8, 8, v8
	v_cmp_lt_i16_e64 s[4:5], s17, v8
	s_mov_b64 s[24:25], 0
                                        ; implicit-def: $sgpr35
	s_and_saveexec_b64 s[26:27], s[4:5]
	s_xor_b64 s[26:27], exec, s[26:27]
	s_cbranch_execnz .LBB281_308
; %bb.111:                              ;   in Loop: Header=BB281_10 Depth=1
	s_or_saveexec_b64 s[26:27], s[26:27]
	v_mov_b32_e32 v0, s35
	s_xor_b64 exec, exec, s[26:27]
	s_cbranch_execnz .LBB281_311
.LBB281_112:                            ;   in Loop: Header=BB281_10 Depth=1
	s_or_b64 exec, exec, s[26:27]
	s_and_saveexec_b64 s[26:27], s[24:25]
	s_cbranch_execz .LBB281_114
.LBB281_113:                            ;   in Loop: Header=BB281_10 Depth=1
	v_and_b32_e32 v2, 7, v8
	v_ffbh_u32_e32 v0, v2
	v_min_u32_e32 v6, 32, v0
	v_subrev_u32_e32 v0, 28, v6
	v_bfe_u32 v3, v8, 3, 4
	v_lshlrev_b64 v[0:1], v0, v[8:9]
	v_sub_u32_e32 v1, 29, v6
	v_cmp_eq_u32_e64 s[4:5], 0, v3
	v_and_b32_e32 v0, 7, v0
	s_nop 0
	v_cndmask_b32_e64 v1, v3, v1, s[4:5]
	v_cndmask_b32_e64 v0, v2, v0, s[4:5]
	v_lshlrev_b32_e32 v2, 8, v8
	v_lshl_add_u32 v1, v1, 10, v53
	v_and_or_b32 v1, v2, s34, v1
	v_lshl_or_b32 v0, v0, 7, v1
	v_cvt_f32_f16_e32 v0, v0
.LBB281_114:                            ;   in Loop: Header=BB281_10 Depth=1
	s_or_b64 exec, exec, s[26:27]
	v_accvgpr_write_b32 a43, v0
	flat_load_ushort v0, v[34:35] offset:1544
	s_mov_b64 s[4:5], 0
                                        ; implicit-def: $sgpr28
	s_waitcnt vmcnt(0) lgkmcnt(0)
	v_cmp_gt_i16_sdwa s[24:25], v0, s17 src0_sel:BYTE_0 src1_sel:DWORD
	s_and_saveexec_b64 s[26:27], s[24:25]
	s_xor_b64 s[24:25], exec, s[26:27]
	s_cbranch_execnz .LBB281_312
; %bb.115:                              ;   in Loop: Header=BB281_10 Depth=1
	s_or_saveexec_b64 s[24:25], s[24:25]
	v_mov_b32_e32 v39, s28
	s_xor_b64 exec, exec, s[24:25]
	s_cbranch_execnz .LBB281_315
.LBB281_116:                            ;   in Loop: Header=BB281_10 Depth=1
	s_or_b64 exec, exec, s[24:25]
	v_and_b32_e32 v8, 0xffff, v0
	s_and_saveexec_b64 s[24:25], s[4:5]
	s_cbranch_execz .LBB281_118
.LBB281_117:                            ;   in Loop: Header=BB281_10 Depth=1
	v_and_b32_e32 v2, 7, v8
	v_ffbh_u32_e32 v0, v2
	v_min_u32_e32 v6, 32, v0
	v_subrev_u32_e32 v0, 28, v6
	v_bfe_u32 v3, v8, 3, 4
	v_lshlrev_b64 v[0:1], v0, v[8:9]
	v_sub_u32_e32 v1, 29, v6
	v_cmp_eq_u32_e64 s[4:5], 0, v3
	v_and_b32_e32 v0, 7, v0
	s_nop 0
	v_cndmask_b32_e64 v1, v3, v1, s[4:5]
	v_cndmask_b32_e64 v0, v2, v0, s[4:5]
	v_lshlrev_b32_e32 v2, 8, v8
	v_lshl_add_u32 v1, v1, 10, v53
	v_and_or_b32 v1, v2, s34, v1
	v_lshl_or_b32 v0, v0, 7, v1
	v_cvt_f32_f16_e32 v39, v0
.LBB281_118:                            ;   in Loop: Header=BB281_10 Depth=1
	s_or_b64 exec, exec, s[24:25]
	v_lshrrev_b16_e32 v8, 8, v8
	v_cmp_lt_i16_e64 s[4:5], s17, v8
	s_mov_b64 s[24:25], 0
                                        ; implicit-def: $sgpr35
	s_and_saveexec_b64 s[26:27], s[4:5]
	s_xor_b64 s[26:27], exec, s[26:27]
	s_cbranch_execnz .LBB281_316
; %bb.119:                              ;   in Loop: Header=BB281_10 Depth=1
	s_or_saveexec_b64 s[26:27], s[26:27]
	v_mov_b32_e32 v0, s35
	s_xor_b64 exec, exec, s[26:27]
	s_cbranch_execnz .LBB281_319
.LBB281_120:                            ;   in Loop: Header=BB281_10 Depth=1
	s_or_b64 exec, exec, s[26:27]
	s_and_saveexec_b64 s[26:27], s[24:25]
	s_cbranch_execz .LBB281_122
.LBB281_121:                            ;   in Loop: Header=BB281_10 Depth=1
	v_and_b32_e32 v2, 7, v8
	v_ffbh_u32_e32 v0, v2
	v_min_u32_e32 v6, 32, v0
	v_subrev_u32_e32 v0, 28, v6
	v_bfe_u32 v3, v8, 3, 4
	v_lshlrev_b64 v[0:1], v0, v[8:9]
	v_sub_u32_e32 v1, 29, v6
	v_cmp_eq_u32_e64 s[4:5], 0, v3
	v_and_b32_e32 v0, 7, v0
	s_nop 0
	v_cndmask_b32_e64 v1, v3, v1, s[4:5]
	v_cndmask_b32_e64 v0, v2, v0, s[4:5]
	v_lshlrev_b32_e32 v2, 8, v8
	v_lshl_add_u32 v1, v1, 10, v53
	v_and_or_b32 v1, v2, s34, v1
	v_lshl_or_b32 v0, v0, 7, v1
	v_cvt_f32_f16_e32 v0, v0
.LBB281_122:                            ;   in Loop: Header=BB281_10 Depth=1
	s_or_b64 exec, exec, s[26:27]
	v_accvgpr_write_b32 a45, v0
	flat_load_ushort v0, v[34:35] offset:1792
	s_mov_b64 s[4:5], 0
                                        ; implicit-def: $sgpr28
	s_waitcnt vmcnt(0) lgkmcnt(0)
	v_cmp_gt_i16_sdwa s[24:25], v0, s17 src0_sel:BYTE_0 src1_sel:DWORD
	s_and_saveexec_b64 s[26:27], s[24:25]
	s_xor_b64 s[24:25], exec, s[26:27]
	s_cbranch_execnz .LBB281_320
; %bb.123:                              ;   in Loop: Header=BB281_10 Depth=1
	s_or_saveexec_b64 s[24:25], s[24:25]
	v_mov_b32_e32 v11, s28
	s_xor_b64 exec, exec, s[24:25]
	s_cbranch_execnz .LBB281_323
.LBB281_124:                            ;   in Loop: Header=BB281_10 Depth=1
	s_or_b64 exec, exec, s[24:25]
	v_and_b32_e32 v8, 0xffff, v0
	s_and_saveexec_b64 s[24:25], s[4:5]
	s_cbranch_execz .LBB281_126
.LBB281_125:                            ;   in Loop: Header=BB281_10 Depth=1
	v_and_b32_e32 v2, 7, v8
	v_ffbh_u32_e32 v0, v2
	v_min_u32_e32 v6, 32, v0
	v_subrev_u32_e32 v0, 28, v6
	v_bfe_u32 v3, v8, 3, 4
	v_lshlrev_b64 v[0:1], v0, v[8:9]
	v_sub_u32_e32 v1, 29, v6
	v_cmp_eq_u32_e64 s[4:5], 0, v3
	v_and_b32_e32 v0, 7, v0
	s_nop 0
	v_cndmask_b32_e64 v1, v3, v1, s[4:5]
	v_cndmask_b32_e64 v0, v2, v0, s[4:5]
	v_lshlrev_b32_e32 v2, 8, v8
	v_lshl_add_u32 v1, v1, 10, v53
	v_and_or_b32 v1, v2, s34, v1
	v_lshl_or_b32 v0, v0, 7, v1
	v_cvt_f32_f16_e32 v11, v0
.LBB281_126:                            ;   in Loop: Header=BB281_10 Depth=1
	s_or_b64 exec, exec, s[24:25]
	v_lshrrev_b16_e32 v8, 8, v8
	v_cmp_lt_i16_e64 s[4:5], s17, v8
	s_mov_b64 s[24:25], 0
                                        ; implicit-def: $sgpr35
	s_and_saveexec_b64 s[26:27], s[4:5]
	s_xor_b64 s[26:27], exec, s[26:27]
	s_cbranch_execnz .LBB281_324
; %bb.127:                              ;   in Loop: Header=BB281_10 Depth=1
	s_or_saveexec_b64 s[26:27], s[26:27]
	v_mov_b32_e32 v10, s35
	s_xor_b64 exec, exec, s[26:27]
	s_cbranch_execnz .LBB281_327
.LBB281_128:                            ;   in Loop: Header=BB281_10 Depth=1
	s_or_b64 exec, exec, s[26:27]
	s_and_saveexec_b64 s[26:27], s[24:25]
	s_cbranch_execz .LBB281_130
.LBB281_129:                            ;   in Loop: Header=BB281_10 Depth=1
	v_and_b32_e32 v2, 7, v8
	v_ffbh_u32_e32 v0, v2
	v_min_u32_e32 v6, 32, v0
	v_subrev_u32_e32 v0, 28, v6
	v_bfe_u32 v3, v8, 3, 4
	v_lshlrev_b64 v[0:1], v0, v[8:9]
	v_sub_u32_e32 v1, 29, v6
	v_cmp_eq_u32_e64 s[4:5], 0, v3
	v_and_b32_e32 v0, 7, v0
	s_nop 0
	v_cndmask_b32_e64 v1, v3, v1, s[4:5]
	v_cndmask_b32_e64 v0, v2, v0, s[4:5]
	v_lshlrev_b32_e32 v2, 8, v8
	v_lshl_add_u32 v1, v1, 10, v53
	v_and_or_b32 v1, v2, s34, v1
	v_lshl_or_b32 v0, v0, 7, v1
	v_cvt_f32_f16_e32 v10, v0
.LBB281_130:                            ;   in Loop: Header=BB281_10 Depth=1
	s_or_b64 exec, exec, s[26:27]
	flat_load_ushort v0, v[34:35] offset:1800
	s_mov_b64 s[4:5], 0
                                        ; implicit-def: $sgpr28
	s_waitcnt vmcnt(0) lgkmcnt(0)
	v_cmp_gt_i16_sdwa s[24:25], v0, s17 src0_sel:BYTE_0 src1_sel:DWORD
	s_and_saveexec_b64 s[26:27], s[24:25]
	s_xor_b64 s[24:25], exec, s[26:27]
	s_cbranch_execnz .LBB281_328
; %bb.131:                              ;   in Loop: Header=BB281_10 Depth=1
	s_or_saveexec_b64 s[24:25], s[24:25]
	v_mov_b32_e32 v1, s28
	s_xor_b64 exec, exec, s[24:25]
	s_cbranch_execnz .LBB281_331
.LBB281_132:                            ;   in Loop: Header=BB281_10 Depth=1
	s_or_b64 exec, exec, s[24:25]
	v_and_b32_e32 v8, 0xffff, v0
	s_and_saveexec_b64 s[24:25], s[4:5]
	s_cbranch_execz .LBB281_134
.LBB281_133:                            ;   in Loop: Header=BB281_10 Depth=1
	v_and_b32_e32 v2, 7, v8
	v_ffbh_u32_e32 v0, v2
	v_min_u32_e32 v6, 32, v0
	v_subrev_u32_e32 v0, 28, v6
	v_bfe_u32 v3, v8, 3, 4
	v_lshlrev_b64 v[0:1], v0, v[8:9]
	v_sub_u32_e32 v1, 29, v6
	v_cmp_eq_u32_e64 s[4:5], 0, v3
	v_and_b32_e32 v0, 7, v0
	s_nop 0
	v_cndmask_b32_e64 v1, v3, v1, s[4:5]
	v_cndmask_b32_e64 v0, v2, v0, s[4:5]
	v_lshlrev_b32_e32 v2, 8, v8
	v_lshl_add_u32 v1, v1, 10, v53
	v_and_or_b32 v1, v2, s34, v1
	v_lshl_or_b32 v0, v0, 7, v1
	v_cvt_f32_f16_e32 v1, v0
.LBB281_134:                            ;   in Loop: Header=BB281_10 Depth=1
	s_or_b64 exec, exec, s[24:25]
	v_lshrrev_b16_e32 v8, 8, v8
	v_cmp_lt_i16_e64 s[4:5], s17, v8
	s_mov_b64 s[24:25], 0
                                        ; implicit-def: $sgpr35
	s_and_saveexec_b64 s[26:27], s[4:5]
	s_xor_b64 s[26:27], exec, s[26:27]
	s_cbranch_execnz .LBB281_332
; %bb.135:                              ;   in Loop: Header=BB281_10 Depth=1
	s_or_saveexec_b64 s[26:27], s[26:27]
	v_mov_b32_e32 v0, s35
	s_xor_b64 exec, exec, s[26:27]
	s_cbranch_execnz .LBB281_335
.LBB281_136:                            ;   in Loop: Header=BB281_10 Depth=1
	s_or_b64 exec, exec, s[26:27]
	s_and_saveexec_b64 s[26:27], s[24:25]
	s_cbranch_execz .LBB281_138
.LBB281_137:                            ;   in Loop: Header=BB281_10 Depth=1
	v_and_b32_e32 v0, 7, v8
	v_ffbh_u32_e32 v2, v0
	v_min_u32_e32 v13, 32, v2
	v_subrev_u32_e32 v2, 28, v13
	v_bfe_u32 v6, v8, 3, 4
	v_lshlrev_b64 v[2:3], v2, v[8:9]
	v_sub_u32_e32 v3, 29, v13
	v_cmp_eq_u32_e64 s[4:5], 0, v6
	v_and_b32_e32 v2, 7, v2
	s_nop 0
	v_cndmask_b32_e64 v3, v6, v3, s[4:5]
	v_cndmask_b32_e64 v0, v0, v2, s[4:5]
	v_lshlrev_b32_e32 v2, 8, v8
	v_lshl_add_u32 v3, v3, 10, v53
	v_and_or_b32 v2, v2, s34, v3
	v_lshl_or_b32 v0, v0, 7, v2
	v_cvt_f32_f16_e32 v0, v0
.LBB281_138:                            ;   in Loop: Header=BB281_10 Depth=1
	s_or_b64 exec, exec, s[26:27]
	flat_load_ushort v2, v[34:35] offset:2048
	s_mov_b64 s[4:5], 0
                                        ; implicit-def: $sgpr28
	s_waitcnt vmcnt(0) lgkmcnt(0)
	v_cmp_gt_i16_sdwa s[24:25], v2, s17 src0_sel:BYTE_0 src1_sel:DWORD
	s_and_saveexec_b64 s[26:27], s[24:25]
	s_xor_b64 s[24:25], exec, s[26:27]
	s_cbranch_execnz .LBB281_336
; %bb.139:                              ;   in Loop: Header=BB281_10 Depth=1
	s_or_saveexec_b64 s[24:25], s[24:25]
	v_mov_b32_e32 v3, s28
	s_xor_b64 exec, exec, s[24:25]
	s_cbranch_execnz .LBB281_339
.LBB281_140:                            ;   in Loop: Header=BB281_10 Depth=1
	s_or_b64 exec, exec, s[24:25]
	v_and_b32_e32 v8, 0xffff, v2
	s_and_saveexec_b64 s[24:25], s[4:5]
	s_cbranch_execz .LBB281_142
.LBB281_141:                            ;   in Loop: Header=BB281_10 Depth=1
	v_and_b32_e32 v6, 7, v8
	v_ffbh_u32_e32 v2, v6
	v_min_u32_e32 v14, 32, v2
	v_subrev_u32_e32 v2, 28, v14
	v_bfe_u32 v13, v8, 3, 4
	v_lshlrev_b64 v[2:3], v2, v[8:9]
	v_sub_u32_e32 v3, 29, v14
	v_cmp_eq_u32_e64 s[4:5], 0, v13
	v_and_b32_e32 v2, 7, v2
	s_nop 0
	v_cndmask_b32_e64 v3, v13, v3, s[4:5]
	v_cndmask_b32_e64 v2, v6, v2, s[4:5]
	v_lshlrev_b32_e32 v6, 8, v8
	v_lshl_add_u32 v3, v3, 10, v53
	v_and_or_b32 v3, v6, s34, v3
	v_lshl_or_b32 v2, v2, 7, v3
	v_cvt_f32_f16_e32 v3, v2
.LBB281_142:                            ;   in Loop: Header=BB281_10 Depth=1
	s_or_b64 exec, exec, s[24:25]
	v_lshrrev_b16_e32 v8, 8, v8
	v_cmp_lt_i16_e64 s[4:5], s17, v8
	s_mov_b64 s[24:25], 0
                                        ; implicit-def: $sgpr35
	s_and_saveexec_b64 s[26:27], s[4:5]
	s_xor_b64 s[26:27], exec, s[26:27]
	s_cbranch_execnz .LBB281_340
; %bb.143:                              ;   in Loop: Header=BB281_10 Depth=1
	s_or_saveexec_b64 s[26:27], s[26:27]
	v_mov_b32_e32 v2, s35
	s_xor_b64 exec, exec, s[26:27]
	s_cbranch_execnz .LBB281_343
.LBB281_144:                            ;   in Loop: Header=BB281_10 Depth=1
	s_or_b64 exec, exec, s[26:27]
	s_and_saveexec_b64 s[26:27], s[24:25]
	s_cbranch_execz .LBB281_146
.LBB281_145:                            ;   in Loop: Header=BB281_10 Depth=1
	v_and_b32_e32 v2, 7, v8
	v_ffbh_u32_e32 v13, v2
	v_bfe_u32 v6, v8, 3, 4
	v_min_u32_e32 v13, 32, v13
	v_subrev_u32_e32 v14, 28, v13
	v_sub_u32_e32 v13, 29, v13
	v_cmp_eq_u32_e64 s[4:5], 0, v6
	v_lshlrev_b64 v[14:15], v14, v[8:9]
	v_and_b32_e32 v14, 7, v14
	v_cndmask_b32_e64 v6, v6, v13, s[4:5]
	v_lshlrev_b32_e32 v8, 8, v8
	v_lshl_add_u32 v6, v6, 10, v53
	v_cndmask_b32_e64 v2, v2, v14, s[4:5]
	v_and_or_b32 v6, v8, s34, v6
	v_lshl_or_b32 v2, v2, 7, v6
	v_cvt_f32_f16_e32 v2, v2
.LBB281_146:                            ;   in Loop: Header=BB281_10 Depth=1
	s_or_b64 exec, exec, s[26:27]
	flat_load_ushort v6, v[34:35] offset:2056
	s_mov_b64 s[4:5], 0
                                        ; implicit-def: $sgpr28
	s_waitcnt vmcnt(0) lgkmcnt(0)
	v_cmp_gt_i16_sdwa s[24:25], v6, s17 src0_sel:BYTE_0 src1_sel:DWORD
	s_and_saveexec_b64 s[26:27], s[24:25]
	s_xor_b64 s[24:25], exec, s[26:27]
	s_cbranch_execnz .LBB281_344
; %bb.147:                              ;   in Loop: Header=BB281_10 Depth=1
	s_or_saveexec_b64 s[24:25], s[24:25]
	v_mov_b32_e32 v15, s28
	s_xor_b64 exec, exec, s[24:25]
	s_cbranch_execnz .LBB281_347
.LBB281_148:                            ;   in Loop: Header=BB281_10 Depth=1
	s_or_b64 exec, exec, s[24:25]
	v_and_b32_e32 v8, 0xffff, v6
	s_and_saveexec_b64 s[24:25], s[4:5]
	s_cbranch_execz .LBB281_150
.LBB281_149:                            ;   in Loop: Header=BB281_10 Depth=1
	v_and_b32_e32 v6, 7, v8
	v_ffbh_u32_e32 v14, v6
	v_min_u32_e32 v22, 32, v14
	v_subrev_u32_e32 v14, 28, v22
	v_bfe_u32 v13, v8, 3, 4
	v_lshlrev_b64 v[14:15], v14, v[8:9]
	v_sub_u32_e32 v15, 29, v22
	v_cmp_eq_u32_e64 s[4:5], 0, v13
	v_and_b32_e32 v14, 7, v14
	s_nop 0
	v_cndmask_b32_e64 v13, v13, v15, s[4:5]
	v_cndmask_b32_e64 v6, v6, v14, s[4:5]
	v_lshlrev_b32_e32 v14, 8, v8
	v_lshl_add_u32 v13, v13, 10, v53
	v_and_or_b32 v13, v14, s34, v13
	v_lshl_or_b32 v6, v6, 7, v13
	v_cvt_f32_f16_e32 v15, v6
.LBB281_150:                            ;   in Loop: Header=BB281_10 Depth=1
	s_or_b64 exec, exec, s[24:25]
	v_lshrrev_b16_e32 v8, 8, v8
	v_cmp_lt_i16_e64 s[4:5], s17, v8
	s_mov_b64 s[24:25], 0
                                        ; implicit-def: $sgpr35
	s_and_saveexec_b64 s[26:27], s[4:5]
	s_xor_b64 s[26:27], exec, s[26:27]
	s_cbranch_execnz .LBB281_348
; %bb.151:                              ;   in Loop: Header=BB281_10 Depth=1
	s_or_saveexec_b64 s[26:27], s[26:27]
	v_mov_b32_e32 v14, s35
	s_xor_b64 exec, exec, s[26:27]
	s_cbranch_execnz .LBB281_351
.LBB281_152:                            ;   in Loop: Header=BB281_10 Depth=1
	s_or_b64 exec, exec, s[26:27]
	s_and_saveexec_b64 s[26:27], s[24:25]
	s_cbranch_execz .LBB281_154
.LBB281_153:                            ;   in Loop: Header=BB281_10 Depth=1
	v_and_b32_e32 v6, 7, v8
	v_ffbh_u32_e32 v14, v6
	v_bfe_u32 v13, v8, 3, 4
	v_min_u32_e32 v14, 32, v14
	v_subrev_u32_e32 v22, 28, v14
	v_sub_u32_e32 v14, 29, v14
	v_cmp_eq_u32_e64 s[4:5], 0, v13
	v_lshlrev_b64 v[24:25], v22, v[8:9]
	v_and_b32_e32 v22, 7, v24
	v_cndmask_b32_e64 v13, v13, v14, s[4:5]
	v_lshlrev_b32_e32 v8, 8, v8
	v_lshl_add_u32 v13, v13, 10, v53
	v_cndmask_b32_e64 v6, v6, v22, s[4:5]
	v_and_or_b32 v8, v8, s34, v13
	v_lshl_or_b32 v6, v6, 7, v8
	v_cvt_f32_f16_e32 v14, v6
.LBB281_154:                            ;   in Loop: Header=BB281_10 Depth=1
	s_or_b64 exec, exec, s[26:27]
	flat_load_ushort v6, v[34:35] offset:2304
	s_mov_b64 s[4:5], 0
                                        ; implicit-def: $sgpr28
	s_waitcnt vmcnt(0) lgkmcnt(0)
	v_cmp_gt_i16_sdwa s[24:25], v6, s17 src0_sel:BYTE_0 src1_sel:DWORD
	s_and_saveexec_b64 s[26:27], s[24:25]
	s_xor_b64 s[24:25], exec, s[26:27]
	s_cbranch_execnz .LBB281_352
; %bb.155:                              ;   in Loop: Header=BB281_10 Depth=1
	s_or_saveexec_b64 s[24:25], s[24:25]
	v_mov_b32_e32 v13, s28
	s_xor_b64 exec, exec, s[24:25]
	s_cbranch_execnz .LBB281_355
.LBB281_156:                            ;   in Loop: Header=BB281_10 Depth=1
	s_or_b64 exec, exec, s[24:25]
	v_and_b32_e32 v8, 0xffff, v6
	s_and_saveexec_b64 s[24:25], s[4:5]
	s_cbranch_execz .LBB281_158
.LBB281_157:                            ;   in Loop: Header=BB281_10 Depth=1
	v_and_b32_e32 v6, 7, v8
	v_ffbh_u32_e32 v22, v6
	v_bfe_u32 v13, v8, 3, 4
	v_min_u32_e32 v22, 32, v22
	v_subrev_u32_e32 v24, 28, v22
	v_sub_u32_e32 v22, 29, v22
	v_cmp_eq_u32_e64 s[4:5], 0, v13
	v_lshlrev_b64 v[24:25], v24, v[8:9]
	v_and_b32_e32 v24, 7, v24
	v_cndmask_b32_e64 v13, v13, v22, s[4:5]
	v_lshlrev_b32_e32 v22, 8, v8
	v_lshl_add_u32 v13, v13, 10, v53
	v_cndmask_b32_e64 v6, v6, v24, s[4:5]
	v_and_or_b32 v13, v22, s34, v13
	v_lshl_or_b32 v6, v6, 7, v13
	v_cvt_f32_f16_e32 v13, v6
.LBB281_158:                            ;   in Loop: Header=BB281_10 Depth=1
	s_or_b64 exec, exec, s[24:25]
	v_lshrrev_b16_e32 v8, 8, v8
	v_cmp_lt_i16_e64 s[4:5], s17, v8
	s_mov_b64 s[24:25], 0
                                        ; implicit-def: $sgpr35
	s_and_saveexec_b64 s[26:27], s[4:5]
	s_xor_b64 s[26:27], exec, s[26:27]
	s_cbranch_execnz .LBB281_356
; %bb.159:                              ;   in Loop: Header=BB281_10 Depth=1
	s_or_saveexec_b64 s[26:27], s[26:27]
	v_mov_b32_e32 v28, s35
	s_xor_b64 exec, exec, s[26:27]
	s_cbranch_execnz .LBB281_359
.LBB281_160:                            ;   in Loop: Header=BB281_10 Depth=1
	s_or_b64 exec, exec, s[26:27]
	s_and_saveexec_b64 s[26:27], s[24:25]
	s_cbranch_execz .LBB281_162
.LBB281_161:                            ;   in Loop: Header=BB281_10 Depth=1
	v_and_b32_e32 v6, 7, v8
	v_ffbh_u32_e32 v24, v6
	v_min_u32_e32 v26, 32, v24
	v_subrev_u32_e32 v24, 28, v26
	v_bfe_u32 v22, v8, 3, 4
	v_lshlrev_b64 v[24:25], v24, v[8:9]
	v_sub_u32_e32 v25, 29, v26
	v_cmp_eq_u32_e64 s[4:5], 0, v22
	v_and_b32_e32 v24, 7, v24
	v_lshlrev_b32_e32 v8, 8, v8
	v_cndmask_b32_e64 v22, v22, v25, s[4:5]
	v_lshl_add_u32 v22, v22, 10, v53
	v_cndmask_b32_e64 v6, v6, v24, s[4:5]
	v_and_or_b32 v8, v8, s34, v22
	v_lshl_or_b32 v6, v6, 7, v8
	v_cvt_f32_f16_e32 v28, v6
.LBB281_162:                            ;   in Loop: Header=BB281_10 Depth=1
	s_or_b64 exec, exec, s[26:27]
	flat_load_ushort v6, v[34:35] offset:2312
	s_mov_b64 s[4:5], 0
                                        ; implicit-def: $sgpr28
	s_waitcnt vmcnt(0) lgkmcnt(0)
	v_cmp_gt_i16_sdwa s[24:25], v6, s17 src0_sel:BYTE_0 src1_sel:DWORD
	s_and_saveexec_b64 s[26:27], s[24:25]
	s_xor_b64 s[24:25], exec, s[26:27]
	s_cbranch_execnz .LBB281_360
; %bb.163:                              ;   in Loop: Header=BB281_10 Depth=1
	s_or_saveexec_b64 s[24:25], s[24:25]
	v_mov_b32_e32 v29, s28
	s_xor_b64 exec, exec, s[24:25]
	s_cbranch_execnz .LBB281_363
.LBB281_164:                            ;   in Loop: Header=BB281_10 Depth=1
	s_or_b64 exec, exec, s[24:25]
	v_and_b32_e32 v8, 0xffff, v6
	s_and_saveexec_b64 s[24:25], s[4:5]
	s_cbranch_execz .LBB281_166
.LBB281_165:                            ;   in Loop: Header=BB281_10 Depth=1
	v_and_b32_e32 v6, 7, v8
	v_ffbh_u32_e32 v24, v6
	v_min_u32_e32 v26, 32, v24
	v_subrev_u32_e32 v24, 28, v26
	v_bfe_u32 v22, v8, 3, 4
	v_lshlrev_b64 v[24:25], v24, v[8:9]
	v_sub_u32_e32 v25, 29, v26
	v_cmp_eq_u32_e64 s[4:5], 0, v22
	v_and_b32_e32 v24, 7, v24
	s_nop 0
	v_cndmask_b32_e64 v22, v22, v25, s[4:5]
	v_cndmask_b32_e64 v6, v6, v24, s[4:5]
	v_lshlrev_b32_e32 v24, 8, v8
	v_lshl_add_u32 v22, v22, 10, v53
	v_and_or_b32 v22, v24, s34, v22
	v_lshl_or_b32 v6, v6, 7, v22
	v_cvt_f32_f16_e32 v29, v6
.LBB281_166:                            ;   in Loop: Header=BB281_10 Depth=1
	s_or_b64 exec, exec, s[24:25]
	v_lshrrev_b16_e32 v8, 8, v8
	v_cmp_lt_i16_e64 s[4:5], s17, v8
	s_mov_b64 s[24:25], 0
                                        ; implicit-def: $sgpr35
	s_and_saveexec_b64 s[26:27], s[4:5]
	s_xor_b64 s[26:27], exec, s[26:27]
	s_cbranch_execnz .LBB281_364
; %bb.167:                              ;   in Loop: Header=BB281_10 Depth=1
	s_or_saveexec_b64 s[26:27], s[26:27]
	v_mov_b32_e32 v30, s35
	s_xor_b64 exec, exec, s[26:27]
	s_cbranch_execnz .LBB281_367
.LBB281_168:                            ;   in Loop: Header=BB281_10 Depth=1
	s_or_b64 exec, exec, s[26:27]
	s_and_saveexec_b64 s[26:27], s[24:25]
	s_cbranch_execz .LBB281_170
.LBB281_169:                            ;   in Loop: Header=BB281_10 Depth=1
	v_and_b32_e32 v6, 7, v8
	v_ffbh_u32_e32 v24, v6
	v_min_u32_e32 v26, 32, v24
	v_subrev_u32_e32 v24, 28, v26
	v_bfe_u32 v22, v8, 3, 4
	v_lshlrev_b64 v[24:25], v24, v[8:9]
	v_sub_u32_e32 v25, 29, v26
	v_cmp_eq_u32_e64 s[4:5], 0, v22
	v_and_b32_e32 v24, 7, v24
	v_lshlrev_b32_e32 v8, 8, v8
	v_cndmask_b32_e64 v22, v22, v25, s[4:5]
	v_lshl_add_u32 v22, v22, 10, v53
	v_cndmask_b32_e64 v6, v6, v24, s[4:5]
	v_and_or_b32 v8, v8, s34, v22
	v_lshl_or_b32 v6, v6, 7, v8
	v_cvt_f32_f16_e32 v30, v6
.LBB281_170:                            ;   in Loop: Header=BB281_10 Depth=1
	s_or_b64 exec, exec, s[26:27]
	flat_load_ushort v6, v[34:35] offset:2560
	s_mov_b64 s[4:5], 0
                                        ; implicit-def: $sgpr28
	s_waitcnt vmcnt(0) lgkmcnt(0)
	v_cmp_gt_i16_sdwa s[24:25], v6, s17 src0_sel:BYTE_0 src1_sel:DWORD
	s_and_saveexec_b64 s[26:27], s[24:25]
	s_xor_b64 s[24:25], exec, s[26:27]
	s_cbranch_execnz .LBB281_368
; %bb.171:                              ;   in Loop: Header=BB281_10 Depth=1
	s_or_saveexec_b64 s[24:25], s[24:25]
	v_mov_b32_e32 v31, s28
	s_xor_b64 exec, exec, s[24:25]
	s_cbranch_execnz .LBB281_371
.LBB281_172:                            ;   in Loop: Header=BB281_10 Depth=1
	s_or_b64 exec, exec, s[24:25]
	v_and_b32_e32 v8, 0xffff, v6
	s_and_saveexec_b64 s[24:25], s[4:5]
	s_cbranch_execz .LBB281_174
.LBB281_173:                            ;   in Loop: Header=BB281_10 Depth=1
	v_and_b32_e32 v6, 7, v8
	v_ffbh_u32_e32 v24, v6
	v_min_u32_e32 v26, 32, v24
	v_subrev_u32_e32 v24, 28, v26
	v_bfe_u32 v22, v8, 3, 4
	v_lshlrev_b64 v[24:25], v24, v[8:9]
	v_sub_u32_e32 v25, 29, v26
	v_cmp_eq_u32_e64 s[4:5], 0, v22
	v_and_b32_e32 v24, 7, v24
	s_nop 0
	v_cndmask_b32_e64 v22, v22, v25, s[4:5]
	v_cndmask_b32_e64 v6, v6, v24, s[4:5]
	v_lshlrev_b32_e32 v24, 8, v8
	v_lshl_add_u32 v22, v22, 10, v53
	v_and_or_b32 v22, v24, s34, v22
	v_lshl_or_b32 v6, v6, 7, v22
	v_cvt_f32_f16_e32 v31, v6
.LBB281_174:                            ;   in Loop: Header=BB281_10 Depth=1
	s_or_b64 exec, exec, s[24:25]
	v_lshrrev_b16_e32 v8, 8, v8
	v_cmp_lt_i16_e64 s[4:5], s17, v8
	s_mov_b64 s[24:25], 0
                                        ; implicit-def: $sgpr35
	s_and_saveexec_b64 s[26:27], s[4:5]
	s_xor_b64 s[26:27], exec, s[26:27]
	s_cbranch_execnz .LBB281_372
; %bb.175:                              ;   in Loop: Header=BB281_10 Depth=1
	s_or_saveexec_b64 s[26:27], s[26:27]
	v_mov_b32_e32 v49, s35
	s_xor_b64 exec, exec, s[26:27]
	s_cbranch_execnz .LBB281_375
.LBB281_176:                            ;   in Loop: Header=BB281_10 Depth=1
	s_or_b64 exec, exec, s[26:27]
	s_and_saveexec_b64 s[26:27], s[24:25]
	s_cbranch_execz .LBB281_178
.LBB281_177:                            ;   in Loop: Header=BB281_10 Depth=1
	v_and_b32_e32 v6, 7, v8
	v_ffbh_u32_e32 v24, v6
	v_min_u32_e32 v26, 32, v24
	v_subrev_u32_e32 v24, 28, v26
	v_bfe_u32 v22, v8, 3, 4
	v_lshlrev_b64 v[24:25], v24, v[8:9]
	v_sub_u32_e32 v25, 29, v26
	v_cmp_eq_u32_e64 s[4:5], 0, v22
	v_and_b32_e32 v24, 7, v24
	v_lshlrev_b32_e32 v8, 8, v8
	v_cndmask_b32_e64 v22, v22, v25, s[4:5]
	v_lshl_add_u32 v22, v22, 10, v53
	v_cndmask_b32_e64 v6, v6, v24, s[4:5]
	v_and_or_b32 v8, v8, s34, v22
	v_lshl_or_b32 v6, v6, 7, v8
	v_cvt_f32_f16_e32 v49, v6
.LBB281_178:                            ;   in Loop: Header=BB281_10 Depth=1
	s_or_b64 exec, exec, s[26:27]
	flat_load_ushort v6, v[34:35] offset:2568
	s_mov_b64 s[4:5], 0
                                        ; implicit-def: $sgpr28
	s_waitcnt vmcnt(0) lgkmcnt(0)
	v_cmp_gt_i16_sdwa s[24:25], v6, s17 src0_sel:BYTE_0 src1_sel:DWORD
	s_and_saveexec_b64 s[26:27], s[24:25]
	s_xor_b64 s[24:25], exec, s[26:27]
	s_cbranch_execnz .LBB281_376
; %bb.179:                              ;   in Loop: Header=BB281_10 Depth=1
	s_or_saveexec_b64 s[24:25], s[24:25]
	v_mov_b32_e32 v22, s28
	s_xor_b64 exec, exec, s[24:25]
	s_cbranch_execnz .LBB281_379
.LBB281_180:                            ;   in Loop: Header=BB281_10 Depth=1
	s_or_b64 exec, exec, s[24:25]
	v_and_b32_e32 v8, 0xffff, v6
	s_and_saveexec_b64 s[24:25], s[4:5]
	s_cbranch_execz .LBB281_182
.LBB281_181:                            ;   in Loop: Header=BB281_10 Depth=1
	v_and_b32_e32 v6, 7, v8
	v_ffbh_u32_e32 v24, v6
	v_min_u32_e32 v26, 32, v24
	v_subrev_u32_e32 v24, 28, v26
	v_bfe_u32 v22, v8, 3, 4
	v_lshlrev_b64 v[24:25], v24, v[8:9]
	v_sub_u32_e32 v25, 29, v26
	v_cmp_eq_u32_e64 s[4:5], 0, v22
	v_and_b32_e32 v24, 7, v24
	s_nop 0
	v_cndmask_b32_e64 v22, v22, v25, s[4:5]
	v_cndmask_b32_e64 v6, v6, v24, s[4:5]
	v_lshlrev_b32_e32 v24, 8, v8
	v_lshl_add_u32 v22, v22, 10, v53
	v_and_or_b32 v22, v24, s34, v22
	v_lshl_or_b32 v6, v6, 7, v22
	v_cvt_f32_f16_e32 v22, v6
.LBB281_182:                            ;   in Loop: Header=BB281_10 Depth=1
	s_or_b64 exec, exec, s[24:25]
	v_lshrrev_b16_e32 v8, 8, v8
	v_cmp_lt_i16_e64 s[4:5], s17, v8
	s_mov_b64 s[24:25], 0
                                        ; implicit-def: $sgpr35
	s_and_saveexec_b64 s[26:27], s[4:5]
	s_xor_b64 s[26:27], exec, s[26:27]
	s_cbranch_execnz .LBB281_380
; %bb.183:                              ;   in Loop: Header=BB281_10 Depth=1
	s_or_saveexec_b64 s[26:27], s[26:27]
	v_mov_b32_e32 v25, s35
	s_xor_b64 exec, exec, s[26:27]
	s_cbranch_execnz .LBB281_383
.LBB281_184:                            ;   in Loop: Header=BB281_10 Depth=1
	s_or_b64 exec, exec, s[26:27]
	s_and_saveexec_b64 s[26:27], s[24:25]
	s_cbranch_execz .LBB281_186
.LBB281_185:                            ;   in Loop: Header=BB281_10 Depth=1
	v_and_b32_e32 v6, 7, v8
	v_ffbh_u32_e32 v24, v6
	v_min_u32_e32 v27, 32, v24
	v_subrev_u32_e32 v24, 28, v27
	v_bfe_u32 v26, v8, 3, 4
	v_lshlrev_b64 v[24:25], v24, v[8:9]
	v_sub_u32_e32 v25, 29, v27
	v_cmp_eq_u32_e64 s[4:5], 0, v26
	v_and_b32_e32 v24, 7, v24
	v_lshlrev_b32_e32 v8, 8, v8
	v_cndmask_b32_e64 v25, v26, v25, s[4:5]
	v_cndmask_b32_e64 v6, v6, v24, s[4:5]
	v_lshl_add_u32 v24, v25, 10, v53
	v_and_or_b32 v8, v8, s34, v24
	v_lshl_or_b32 v6, v6, 7, v8
	v_cvt_f32_f16_e32 v25, v6
.LBB281_186:                            ;   in Loop: Header=BB281_10 Depth=1
	s_or_b64 exec, exec, s[26:27]
	flat_load_ushort v6, v[34:35] offset:2816
	s_mov_b64 s[4:5], 0
                                        ; implicit-def: $sgpr28
	s_waitcnt vmcnt(0) lgkmcnt(0)
	v_cmp_gt_i16_sdwa s[24:25], v6, s17 src0_sel:BYTE_0 src1_sel:DWORD
	s_and_saveexec_b64 s[26:27], s[24:25]
	s_xor_b64 s[24:25], exec, s[26:27]
	s_cbranch_execnz .LBB281_384
; %bb.187:                              ;   in Loop: Header=BB281_10 Depth=1
	s_or_saveexec_b64 s[24:25], s[24:25]
	v_mov_b32_e32 v24, s28
	s_xor_b64 exec, exec, s[24:25]
	s_cbranch_execnz .LBB281_387
.LBB281_188:                            ;   in Loop: Header=BB281_10 Depth=1
	s_or_b64 exec, exec, s[24:25]
	v_and_b32_e32 v8, 0xffff, v6
	s_and_saveexec_b64 s[24:25], s[4:5]
	s_cbranch_execz .LBB281_190
.LBB281_189:                            ;   in Loop: Header=BB281_10 Depth=1
	v_and_b32_e32 v6, 7, v8
	v_ffbh_u32_e32 v26, v6
	v_min_u32_e32 v40, 32, v26
	v_subrev_u32_e32 v26, 28, v40
	v_bfe_u32 v24, v8, 3, 4
	v_lshlrev_b64 v[26:27], v26, v[8:9]
	v_sub_u32_e32 v27, 29, v40
	v_cmp_eq_u32_e64 s[4:5], 0, v24
	v_and_b32_e32 v26, 7, v26
	s_nop 0
	v_cndmask_b32_e64 v24, v24, v27, s[4:5]
	v_cndmask_b32_e64 v6, v6, v26, s[4:5]
	v_lshlrev_b32_e32 v26, 8, v8
	v_lshl_add_u32 v24, v24, 10, v53
	v_and_or_b32 v24, v26, s34, v24
	v_lshl_or_b32 v6, v6, 7, v24
	v_cvt_f32_f16_e32 v24, v6
.LBB281_190:                            ;   in Loop: Header=BB281_10 Depth=1
	s_or_b64 exec, exec, s[24:25]
	v_lshrrev_b16_e32 v8, 8, v8
	v_cmp_lt_i16_e64 s[4:5], s17, v8
	s_mov_b64 s[24:25], 0
                                        ; implicit-def: $sgpr35
	s_and_saveexec_b64 s[26:27], s[4:5]
	s_xor_b64 s[26:27], exec, s[26:27]
	s_cbranch_execnz .LBB281_388
; %bb.191:                              ;   in Loop: Header=BB281_10 Depth=1
	s_or_saveexec_b64 s[26:27], s[26:27]
	v_mov_b32_e32 v27, s35
	s_xor_b64 exec, exec, s[26:27]
	s_cbranch_execnz .LBB281_391
.LBB281_192:                            ;   in Loop: Header=BB281_10 Depth=1
	s_or_b64 exec, exec, s[26:27]
	s_and_saveexec_b64 s[26:27], s[24:25]
	s_cbranch_execz .LBB281_194
.LBB281_193:                            ;   in Loop: Header=BB281_10 Depth=1
	v_and_b32_e32 v6, 7, v8
	v_ffbh_u32_e32 v26, v6
	v_min_u32_e32 v41, 32, v26
	v_subrev_u32_e32 v26, 28, v41
	v_bfe_u32 v40, v8, 3, 4
	v_lshlrev_b64 v[26:27], v26, v[8:9]
	v_sub_u32_e32 v27, 29, v41
	v_cmp_eq_u32_e64 s[4:5], 0, v40
	v_and_b32_e32 v26, 7, v26
	v_lshlrev_b32_e32 v8, 8, v8
	v_cndmask_b32_e64 v27, v40, v27, s[4:5]
	v_cndmask_b32_e64 v6, v6, v26, s[4:5]
	v_lshl_add_u32 v26, v27, 10, v53
	v_and_or_b32 v8, v8, s34, v26
	v_lshl_or_b32 v6, v6, 7, v8
	v_cvt_f32_f16_e32 v27, v6
.LBB281_194:                            ;   in Loop: Header=BB281_10 Depth=1
	s_or_b64 exec, exec, s[26:27]
	flat_load_ushort v6, v[34:35] offset:2824
	s_mov_b64 s[4:5], 0
                                        ; implicit-def: $sgpr28
	s_waitcnt vmcnt(0) lgkmcnt(0)
	v_cmp_gt_i16_sdwa s[24:25], v6, s17 src0_sel:BYTE_0 src1_sel:DWORD
	s_and_saveexec_b64 s[26:27], s[24:25]
	s_xor_b64 s[24:25], exec, s[26:27]
	s_cbranch_execnz .LBB281_392
; %bb.195:                              ;   in Loop: Header=BB281_10 Depth=1
	s_or_saveexec_b64 s[24:25], s[24:25]
	v_mov_b32_e32 v34, s28
	s_xor_b64 exec, exec, s[24:25]
	s_cbranch_execnz .LBB281_395
.LBB281_196:                            ;   in Loop: Header=BB281_10 Depth=1
	s_or_b64 exec, exec, s[24:25]
	v_and_b32_e32 v8, 0xffff, v6
	s_and_saveexec_b64 s[24:25], s[4:5]
	s_cbranch_execz .LBB281_198
.LBB281_197:                            ;   in Loop: Header=BB281_10 Depth=1
	v_and_b32_e32 v6, 7, v8
	v_ffbh_u32_e32 v34, v6
	v_min_u32_e32 v40, 32, v34
	v_subrev_u32_e32 v34, 28, v40
	v_bfe_u32 v26, v8, 3, 4
	v_lshlrev_b64 v[34:35], v34, v[8:9]
	v_sub_u32_e32 v35, 29, v40
	v_cmp_eq_u32_e64 s[4:5], 0, v26
	v_and_b32_e32 v34, 7, v34
	s_nop 0
	v_cndmask_b32_e64 v26, v26, v35, s[4:5]
	v_cndmask_b32_e64 v6, v6, v34, s[4:5]
	v_lshlrev_b32_e32 v34, 8, v8
	v_lshl_add_u32 v26, v26, 10, v53
	v_and_or_b32 v26, v34, s34, v26
	v_lshl_or_b32 v6, v6, 7, v26
	v_cvt_f32_f16_e32 v34, v6
.LBB281_198:                            ;   in Loop: Header=BB281_10 Depth=1
	s_or_b64 exec, exec, s[24:25]
	v_lshrrev_b16_e32 v8, 8, v8
	v_cmp_lt_i16_e64 s[4:5], s17, v8
	s_mov_b64 s[24:25], 0
                                        ; implicit-def: $sgpr35
	s_and_saveexec_b64 s[26:27], s[4:5]
	s_xor_b64 s[26:27], exec, s[26:27]
	s_cbranch_execz .LBB281_202
; %bb.199:                              ;   in Loop: Header=BB281_10 Depth=1
	v_cmp_eq_u16_e64 s[4:5], s31, v8
	s_mov_b64 s[24:25], -1
                                        ; implicit-def: $sgpr35
	s_and_saveexec_b64 s[28:29], s[4:5]
; %bb.200:                              ;   in Loop: Header=BB281_10 Depth=1
	s_mov_b32 s35, 0x7fc02000
	s_xor_b64 s[24:25], exec, -1
; %bb.201:                              ;   in Loop: Header=BB281_10 Depth=1
	s_or_b64 exec, exec, s[28:29]
	s_and_b64 s[24:25], s[24:25], exec
.LBB281_202:                            ;   in Loop: Header=BB281_10 Depth=1
	s_or_saveexec_b64 s[26:27], s[26:27]
	v_mov_b32_e32 v41, s35
	s_xor_b64 exec, exec, s[26:27]
; %bb.203:                              ;   in Loop: Header=BB281_10 Depth=1
	v_cmp_ne_u16_e64 s[4:5], 0, v8
	s_andn2_b64 s[24:25], s[24:25], exec
	s_and_b64 s[4:5], s[4:5], exec
	v_mov_b32_e32 v41, 0
	s_or_b64 s[24:25], s[24:25], s[4:5]
; %bb.204:                              ;   in Loop: Header=BB281_10 Depth=1
	s_or_b64 exec, exec, s[26:27]
	v_accvgpr_write_b32 a44, v39
	v_accvgpr_write_b32 a42, v5
	;; [unrolled: 1-line block ×3, first 2 shown]
	s_and_saveexec_b64 s[26:27], s[24:25]
	s_cbranch_execz .LBB281_206
; %bb.205:                              ;   in Loop: Header=BB281_10 Depth=1
	v_and_b32_e32 v6, 7, v8
	v_ffbh_u32_e32 v35, v6
	v_bfe_u32 v26, v8, 3, 4
	v_min_u32_e32 v35, 32, v35
	v_subrev_u32_e32 v40, 28, v35
	v_sub_u32_e32 v35, 29, v35
	v_cmp_eq_u32_e64 s[4:5], 0, v26
	v_lshlrev_b64 v[40:41], v40, v[8:9]
	v_and_b32_e32 v40, 7, v40
	v_cndmask_b32_e64 v26, v26, v35, s[4:5]
	v_lshlrev_b32_e32 v8, 8, v8
	v_lshl_add_u32 v26, v26, 10, v53
	v_cndmask_b32_e64 v6, v6, v40, s[4:5]
	v_and_or_b32 v8, v8, s34, v26
	v_lshl_or_b32 v6, v6, 7, v8
	v_cvt_f32_f16_e32 v41, v6
.LBB281_206:                            ;   in Loop: Header=BB281_10 Depth=1
	s_or_b64 exec, exec, s[26:27]
	ds_read_b32 v6, v23
	v_fma_mixlo_f16 v8, v55, v7, 0
	v_fma_mixlo_f16 v26, v55, v42, 0
	v_and_b32_e32 v8, 0xffff, v8
	v_fma_mixlo_f16 v5, v55, v54, 0
	s_waitcnt lgkmcnt(0)
	v_lshrrev_b32_e32 v35, 16, v6
	v_and_b32_e32 v6, 0xffff, v6
	;;#ASMSTART
	v_cvt_f32_f16 v6, v6;
	;;#ASMEND
	;;#ASMSTART
	v_cvt_f32_f16 v42, v35;
	;;#ASMEND
	;;#ASMSTART
	v_cvt_f32_f16 v59, v8;
	;;#ASMEND
	v_and_b32_e32 v8, 0xffff, v26
	;;#ASMSTART
	v_cvt_f32_f16 v43, v8;
	;;#ASMEND
	ds_read_b32 v26, v23 offset:4
	v_fma_mixlo_f16 v35, v55, v24, 0
	v_fma_mixlo_f16 v24, v55, v12, 0
	;; [unrolled: 1-line block ×4, first 2 shown]
	s_waitcnt lgkmcnt(0)
	v_lshrrev_b32_e32 v40, 16, v26
	v_and_b32_e32 v26, 0xffff, v26
	v_and_b32_e32 v24, 0xffff, v24
	;;#ASMSTART
	v_cvt_f32_f16 v44, v26;
	;;#ASMEND
	;;#ASMSTART
	v_cvt_f32_f16 v45, v40;
	;;#ASMEND
	;; [unrolled: 3-line block ×3, first 2 shown]
	v_and_b32_e32 v24, 0xffff, v27
	;;#ASMSTART
	v_cvt_f32_f16 v47, v24;
	;;#ASMEND
	ds_read_b32 v26, v23 offset:8
	v_fma_mixlo_f16 v40, v55, v22, 0
	v_fma_mixlo_f16 v22, v55, v17, 0
	;; [unrolled: 1-line block ×4, first 2 shown]
	v_and_b32_e32 v22, 0xffff, v22
	s_waitcnt lgkmcnt(0)
	v_lshrrev_b32_e32 v27, 16, v26
	v_and_b32_e32 v26, 0xffff, v26
	;;#ASMSTART
	v_cvt_f32_f16 v56, v26;
	;;#ASMEND
	;;#ASMSTART
	v_cvt_f32_f16 v7, v27;
	;;#ASMEND
	;; [unrolled: 3-line block ×3, first 2 shown]
	v_and_b32_e32 v22, 0xffff, v25
	;;#ASMSTART
	v_cvt_f32_f16 v61, v22;
	;;#ASMEND
	ds_read_b32 v22, v23 offset:12
	v_fma_mixlo_f16 v26, v55, v49, 0
	v_fma_mixlo_f16 v25, v55, v20, 0
	;; [unrolled: 1-line block ×4, first 2 shown]
	s_waitcnt lgkmcnt(0)
	v_lshrrev_b32_e32 v49, 16, v22
	v_and_b32_e32 v22, 0xffff, v22
	;;#ASMSTART
	v_cvt_f32_f16 v62, v22;
	;;#ASMEND
	v_and_b32_e32 v22, 0xffff, v25
	;;#ASMSTART
	v_cvt_f32_f16 v20, v49;
	;;#ASMEND
	;;#ASMSTART
	v_cvt_f32_f16 v19, v22;
	;;#ASMEND
	v_and_b32_e32 v22, 0xffff, v31
	;;#ASMSTART
	v_cvt_f32_f16 v21, v22;
	;;#ASMEND
	ds_read_b32 v25, v23 offset:16
	v_mul_f32_e32 v22, v44, v46
	v_fma_mixlo_f16 v31, v55, v32, 0
	v_fmac_f32_e32 v22, v6, v59
	v_fma_mixlo_f16 v49, v55, v33, 0
	s_waitcnt lgkmcnt(0)
	v_lshrrev_b32_e32 v6, 16, v25
	v_and_b32_e32 v25, 0xffff, v25
	;;#ASMSTART
	v_cvt_f32_f16 v39, v25;
	;;#ASMEND
	v_and_b32_e32 v25, 0xffff, v31
	;;#ASMSTART
	v_cvt_f32_f16 v6, v6;
	;;#ASMEND
	;;#ASMSTART
	v_cvt_f32_f16 v4, v25;
	;;#ASMEND
	v_and_b32_e32 v25, 0xffff, v49
	;;#ASMSTART
	v_cvt_f32_f16 v59, v25;
	;;#ASMEND
	ds_read_b32 v31, v23 offset:20
	v_fma_mixlo_f16 v49, v55, v58, 0
	v_fma_mixlo_f16 v44, v55, v57, 0
	v_mul_f32_e32 v25, v45, v47
	v_and_b32_e32 v49, 0xffff, v49
	s_waitcnt lgkmcnt(0)
	v_lshrrev_b32_e32 v45, 16, v31
	v_and_b32_e32 v31, 0xffff, v31
	;;#ASMSTART
	v_cvt_f32_f16 v57, v31;
	;;#ASMEND
	;;#ASMSTART
	v_cvt_f32_f16 v31, v45;
	;;#ASMEND
	;; [unrolled: 3-line block ×3, first 2 shown]
	v_and_b32_e32 v49, 0xffff, v44
	;;#ASMSTART
	v_cvt_f32_f16 v45, v49;
	;;#ASMEND
	ds_read_b32 v49, v23 offset:24
	v_fma_mixlo_f16 v44, v55, v36, 0
	v_fma_mixlo_f16 v46, v55, v37, 0
	v_fmac_f32_e32 v25, v42, v43
	v_and_b32_e32 v43, 0xffff, v44
	s_waitcnt lgkmcnt(0)
	v_lshrrev_b32_e32 v42, 16, v49
	v_and_b32_e32 v49, 0xffff, v49
	;;#ASMSTART
	v_cvt_f32_f16 v49, v49;
	;;#ASMEND
	;;#ASMSTART
	v_cvt_f32_f16 v42, v42;
	;;#ASMEND
	;; [unrolled: 3-line block ×3, first 2 shown]
	v_and_b32_e32 v43, 0xffff, v46
	;;#ASMSTART
	v_cvt_f32_f16 v46, v43;
	;;#ASMEND
	ds_read_b32 v43, v23 offset:28
	v_fma_mixlo_f16 v47, v55, v48, 0
	v_fma_mixlo_f16 v37, v55, v38, 0
	v_fmac_f32_e32 v22, v56, v60
	v_and_b32_e32 v47, 0xffff, v47
	s_waitcnt lgkmcnt(0)
	v_lshrrev_b32_e32 v56, 16, v43
	v_and_b32_e32 v38, 0xffff, v43
	v_and_b32_e32 v37, 0xffff, v37
	;;#ASMSTART
	v_cvt_f32_f16 v38, v38;
	;;#ASMEND
	;;#ASMSTART
	v_cvt_f32_f16 v43, v56;
	;;#ASMEND
	;;#ASMSTART
	v_cvt_f32_f16 v47, v47;
	;;#ASMEND
	;;#ASMSTART
	v_cvt_f32_f16 v56, v37;
	;;#ASMEND
	ds_read_b32 v37, v23 offset:32
	v_fma_mixlo_f16 v60, v55, v50, 0
	v_fma_mixlo_f16 v36, v55, v18, 0
	v_fmac_f32_e32 v25, v7, v61
	v_and_b32_e32 v36, 0xffff, v36
	s_waitcnt lgkmcnt(0)
	v_lshrrev_b32_e32 v18, 16, v37
	v_and_b32_e32 v7, 0xffff, v37
	v_and_b32_e32 v37, 0xffff, v60
	;;#ASMSTART
	v_cvt_f32_f16 v7, v7;
	;;#ASMEND
	;;#ASMSTART
	v_cvt_f32_f16 v18, v18;
	;;#ASMEND
	;;#ASMSTART
	v_cvt_f32_f16 v37, v37;
	;;#ASMEND
	;; [unrolled: 21-line block ×3, first 2 shown]
	;;#ASMSTART
	v_cvt_f32_f16 v16, v16;
	;;#ASMEND
	ds_read_b32 v62, v23 offset:40
	v_accvgpr_read_b32 v12, a39
	v_fma_mixlo_f16 v12, v55, v12, 0
	v_fmac_f32_e32 v25, v20, v21
	v_and_b32_e32 v5, 0xffff, v5
	s_waitcnt lgkmcnt(0)
	v_lshrrev_b32_e32 v20, 16, v62
	v_and_b32_e32 v21, 0xffff, v62
	v_and_b32_e32 v12, 0xffff, v12
	;;#ASMSTART
	v_cvt_f32_f16 v21, v21;
	;;#ASMEND
	;;#ASMSTART
	v_cvt_f32_f16 v20, v20;
	;;#ASMEND
	;; [unrolled: 3-line block ×4, first 2 shown]
	ds_read_b32 v62, v23 offset:44
	v_accvgpr_read_b32 v17, a40
	v_fma_mixlo_f16 v50, v55, v17, 0
	v_accvgpr_read_b32 v17, a41
	v_fma_mixlo_f16 v52, v55, v17, 0
	v_fmac_f32_e32 v22, v39, v4
	s_waitcnt lgkmcnt(0)
	v_lshrrev_b32_e32 v4, 16, v62
	v_and_b32_e32 v39, 0xffff, v62
	v_and_b32_e32 v50, 0xffff, v50
	;; [unrolled: 1-line block ×3, first 2 shown]
	;;#ASMSTART
	v_cvt_f32_f16 v39, v39;
	;;#ASMEND
	;;#ASMSTART
	v_cvt_f32_f16 v4, v4;
	;;#ASMEND
	;; [unrolled: 3-line block ×4, first 2 shown]
	ds_read_b32 v62, v23 offset:48
	v_accvgpr_read_b32 v17, a42
	v_accvgpr_read_b32 v32, a43
	v_fma_mixlo_f16 v17, v55, v17, 0
	v_fma_mixlo_f16 v48, v55, v32, 0
	v_fmac_f32_e32 v25, v6, v59
	s_waitcnt lgkmcnt(0)
	v_lshrrev_b32_e32 v6, 16, v62
	v_and_b32_e32 v59, 0xffff, v62
	v_and_b32_e32 v17, 0xffff, v17
	;; [unrolled: 1-line block ×3, first 2 shown]
	;;#ASMSTART
	v_cvt_f32_f16 v59, v59;
	;;#ASMEND
	;;#ASMSTART
	v_cvt_f32_f16 v6, v6;
	;;#ASMEND
	;; [unrolled: 3-line block ×4, first 2 shown]
	ds_read_b32 v62, v23 offset:52
	v_fma_mixlo_f16 v32, v55, v1, 0
	v_accvgpr_read_b32 v1, a44
	v_fma_mixlo_f16 v1, v55, v1, 0
	v_accvgpr_read_b32 v33, a45
	v_fma_mixlo_f16 v33, v55, v33, 0
	v_fmac_f32_e32 v22, v57, v58
	s_waitcnt lgkmcnt(0)
	v_lshrrev_b32_e32 v57, 16, v62
	v_and_b32_e32 v58, 0xffff, v62
	v_and_b32_e32 v1, 0xffff, v1
	;;#ASMSTART
	v_cvt_f32_f16 v58, v58;
	;;#ASMEND
	;;#ASMSTART
	v_cvt_f32_f16 v57, v57;
	;;#ASMEND
	;; [unrolled: 3-line block ×3, first 2 shown]
	v_and_b32_e32 v1, 0xffff, v33
	;;#ASMSTART
	v_cvt_f32_f16 v33, v1;
	;;#ASMEND
	ds_read_b32 v1, v23 offset:56
	v_fma_mixlo_f16 v51, v55, v0, 0
	v_fma_mixlo_f16 v0, v55, v11, 0
	;; [unrolled: 1-line block ×3, first 2 shown]
	v_and_b32_e32 v0, 0xffff, v0
	s_waitcnt lgkmcnt(0)
	v_lshrrev_b32_e32 v11, 16, v1
	v_fmac_f32_e32 v25, v31, v45
	v_and_b32_e32 v1, 0xffff, v1
	;;#ASMSTART
	v_cvt_f32_f16 v31, v1;
	;;#ASMEND
	;;#ASMSTART
	v_cvt_f32_f16 v11, v11;
	;;#ASMEND
	;;#ASMSTART
	v_cvt_f32_f16 v45, v0;
	;;#ASMEND
	v_and_b32_e32 v0, 0xffff, v10
	;;#ASMSTART
	v_cvt_f32_f16 v10, v0;
	;;#ASMEND
	ds_read_b32 v54, v23 offset:60
	v_fma_mixlo_f16 v1, v55, v34, 0
	v_fmac_f32_e32 v22, v49, v44
	v_and_b32_e32 v32, 0xffff, v32
	v_and_b32_e32 v51, 0xffff, v51
	s_waitcnt lgkmcnt(0)
	v_lshrrev_b32_e32 v34, 16, v54
	v_and_b32_e32 v49, 0xffff, v54
	;;#ASMSTART
	v_cvt_f32_f16 v49, v49;
	;;#ASMEND
	;;#ASMSTART
	v_cvt_f32_f16 v34, v34;
	;;#ASMEND
	;; [unrolled: 3-line block ×4, first 2 shown]
	ds_read_b32 v54, v23 offset:64
	v_fmac_f32_e32 v25, v42, v46
	v_fma_mixlo_f16 v3, v55, v3, 0
	v_fma_mixlo_f16 v2, v55, v2, 0
	v_fmac_f32_e32 v22, v38, v47
	v_fmac_f32_e32 v25, v43, v56
	;; [unrolled: 1-line block ×4, first 2 shown]
	s_waitcnt lgkmcnt(0)
	v_lshrrev_b32_e32 v7, 16, v54
	v_and_b32_e32 v18, 0xffff, v54
	v_and_b32_e32 v3, 0xffff, v3
	;; [unrolled: 1-line block ×3, first 2 shown]
	;;#ASMSTART
	v_cvt_f32_f16 v18, v18;
	;;#ASMEND
	;;#ASMSTART
	v_cvt_f32_f16 v7, v7;
	;;#ASMEND
	;; [unrolled: 3-line block ×4, first 2 shown]
	ds_read_b32 v37, v23 offset:68
	v_fma_mixlo_f16 v15, v55, v15, 0
	v_fma_mixlo_f16 v14, v55, v14, 0
	v_fmac_f32_e32 v22, v19, v61
	v_fmac_f32_e32 v25, v36, v16
	;; [unrolled: 1-line block ×4, first 2 shown]
	s_waitcnt lgkmcnt(0)
	v_lshrrev_b32_e32 v5, 16, v37
	v_and_b32_e32 v12, 0xffff, v37
	v_and_b32_e32 v15, 0xffff, v15
	;; [unrolled: 1-line block ×3, first 2 shown]
	;;#ASMSTART
	v_cvt_f32_f16 v12, v12;
	;;#ASMEND
	;;#ASMSTART
	v_cvt_f32_f16 v5, v5;
	;;#ASMEND
	;; [unrolled: 3-line block ×4, first 2 shown]
	ds_read_b32 v16, v23 offset:72
	v_fma_mixlo_f16 v13, v55, v13, 0
	v_fma_mixlo_f16 v28, v55, v28, 0
	v_fmac_f32_e32 v25, v4, v52
	v_fmac_f32_e32 v22, v39, v50
	;; [unrolled: 1-line block ×3, first 2 shown]
	s_waitcnt lgkmcnt(0)
	v_lshrrev_b32_e32 v4, 16, v16
	v_and_b32_e32 v6, 0xffff, v16
	v_and_b32_e32 v13, 0xffff, v13
	;; [unrolled: 1-line block ×3, first 2 shown]
	v_fmac_f32_e32 v22, v59, v17
	;;#ASMSTART
	v_cvt_f32_f16 v6, v6;
	;;#ASMEND
	;;#ASMSTART
	v_cvt_f32_f16 v4, v4;
	;;#ASMEND
	;; [unrolled: 3-line block ×4, first 2 shown]
	ds_read_b32 v17, v23 offset:76
	v_fma_mixlo_f16 v29, v55, v29, 0
	v_fma_mixlo_f16 v30, v55, v30, 0
	v_fmac_f32_e32 v25, v57, v33
	v_fmac_f32_e32 v25, v11, v10
	s_waitcnt lgkmcnt(0)
	v_lshrrev_b32_e32 v10, 16, v17
	v_and_b32_e32 v11, 0xffff, v17
	v_and_b32_e32 v17, 0xffff, v29
	;; [unrolled: 1-line block ×3, first 2 shown]
	;;#ASMSTART
	v_cvt_f32_f16 v11, v11;
	;;#ASMEND
	;;#ASMSTART
	v_cvt_f32_f16 v10, v10;
	;;#ASMEND
	;; [unrolled: 3-line block ×4, first 2 shown]
	ds_read_b32 v20, v23 offset:80
	v_fmac_f32_e32 v22, v58, v62
	v_fmac_f32_e32 v22, v31, v45
	;; [unrolled: 1-line block ×6, first 2 shown]
	s_waitcnt lgkmcnt(0)
	v_lshrrev_b32_e32 v2, 16, v20
	v_and_b32_e32 v3, 0xffff, v20
	v_and_b32_e32 v7, 0xffff, v27
	v_and_b32_e32 v18, 0xffff, v26
	;;#ASMSTART
	v_cvt_f32_f16 v3, v3;
	;;#ASMEND
	;;#ASMSTART
	v_cvt_f32_f16 v2, v2;
	;;#ASMEND
	;;#ASMSTART
	v_cvt_f32_f16 v7, v7;
	;;#ASMEND
	;;#ASMSTART
	v_cvt_f32_f16 v18, v18;
	;;#ASMEND
	ds_read_b32 v20, v23 offset:84
	v_fmac_f32_e32 v22, v12, v15
	v_fmac_f32_e32 v25, v5, v14
	v_fmac_f32_e32 v22, v6, v13
	v_fmac_f32_e32 v25, v4, v16
	s_waitcnt lgkmcnt(0)
	v_lshrrev_b32_e32 v4, 16, v20
	v_and_b32_e32 v5, 0xffff, v20
	v_and_b32_e32 v6, 0xffff, v40
	v_and_b32_e32 v12, 0xffff, v24
	;;#ASMSTART
	v_cvt_f32_f16 v5, v5;
	;;#ASMEND
	;;#ASMSTART
	v_cvt_f32_f16 v4, v4;
	;;#ASMEND
	;;#ASMSTART
	v_cvt_f32_f16 v6, v6;
	;;#ASMEND
	;;#ASMSTART
	v_cvt_f32_f16 v12, v12;
	;;#ASMEND
	ds_read_b32 v13, v23 offset:88
	v_fmac_f32_e32 v22, v11, v17
	v_fmac_f32_e32 v25, v10, v19
	v_fmac_f32_e32 v22, v3, v7
	v_fmac_f32_e32 v25, v2, v18
	;; [unrolled: 22-line block ×3, first 2 shown]
	s_waitcnt lgkmcnt(0)
	v_and_b32_e32 v3, 0xffff, v10
	v_lshrrev_b32_e32 v2, 16, v10
	;;#ASMSTART
	v_cvt_f32_f16 v3, v3;
	;;#ASMEND
	v_and_b32_e32 v1, 0xffff, v1
	v_fma_mixlo_f16 v0, v55, v41, 0
	;;#ASMSTART
	v_cvt_f32_f16 v2, v2;
	;;#ASMEND
	;;#ASMSTART
	v_cvt_f32_f16 v1, v1;
	;;#ASMEND
	v_and_b32_e32 v0, 0xffff, v0
	v_fmac_f32_e32 v22, v3, v1
	v_accvgpr_read_b32 v3, a28
	v_and_b32_e32 v1, 64, v3
	;;#ASMSTART
	v_cvt_f32_f16 v0, v0;
	;;#ASMEND
	s_nop 0
	v_fmac_f32_e32 v25, v2, v0
	v_add_u32_e32 v2, 64, v1
	v_xor_b32_e32 v1, 2, v3
	v_cmp_lt_i32_e64 s[4:5], v1, v2
	v_add_f32_e32 v0, v22, v25
	s_nop 0
	v_cndmask_b32_e64 v1, v3, v1, s[4:5]
	v_lshlrev_b32_e32 v1, 2, v1
	ds_bpermute_b32 v1, v1, v0
	s_waitcnt lgkmcnt(0)
	v_add_f32_e32 v0, v0, v1
	v_xor_b32_e32 v1, 1, v3
	v_cmp_lt_i32_e64 s[4:5], v1, v2
	s_nop 1
	v_cndmask_b32_e64 v1, v3, v1, s[4:5]
	v_lshlrev_b32_e32 v1, 2, v1
	ds_bpermute_b32 v1, v1, v0
	s_mov_b64 s[24:25], exec
	s_and_b64 s[4:5], s[24:25], vcc
	v_accvgpr_read_b32 v6, a38
	s_mov_b64 exec, s[4:5]
	s_cbranch_execz .LBB281_9
; %bb.207:                              ;   in Loop: Header=BB281_10 Depth=1
	s_waitcnt lgkmcnt(0)
	v_add_f32_e32 v0, v0, v1
	scratch_load_dword v1, off, s32 offset:120 ; 4-byte Folded Reload
	v_accvgpr_read_b32 v3, a29
	v_accvgpr_read_b32 v5, a36
	v_add_u32_e32 v3, v3, v5
	v_cvt_f32_i32_e32 v3, v3
	s_load_dword s4, s[8:9], 0x0
	v_accvgpr_read_b32 v4, a23
	s_waitcnt vmcnt(0)
	v_mul_f32_e32 v1, v1, v3
	v_cndmask_b32_e64 v1, 0, v1, s[2:3]
	v_accvgpr_read_b32 v3, a37
	v_fmac_f32_e32 v1, v0, v4
	v_accvgpr_read_b32 v0, a8
	s_waitcnt lgkmcnt(0)
	v_add_u32_e32 v3, s4, v3
	v_cmp_lt_i32_e64 s[4:5], v5, v0
	s_nop 1
	v_cndmask_b32_e64 v0, 0, v1, s[4:5]
	ds_write_b32 v3, v0
	scratch_load_dword v3, off, s32 offset:116 ; 4-byte Folded Reload
	s_waitcnt vmcnt(0)
	v_max_f32_e32 v0, v3, v3
	v_max_f32_e32 v0, v0, v1
	v_cndmask_b32_e64 v3, v3, v0, s[4:5]
	scratch_store_dword off, v3, s32 offset:116 ; 4-byte Folded Spill
	s_branch .LBB281_9
.LBB281_208:                            ;   in Loop: Header=BB281_10 Depth=1
	v_cmp_eq_u16_sdwa s[36:37], v0, s31 src0_sel:BYTE_0 src1_sel:DWORD
	s_mov_b64 s[4:5], -1
                                        ; implicit-def: $sgpr28
	s_and_saveexec_b64 s[26:27], s[36:37]
; %bb.209:                              ;   in Loop: Header=BB281_10 Depth=1
	s_mov_b32 s28, 0x7fc02000
	s_xor_b64 s[4:5], exec, -1
; %bb.210:                              ;   in Loop: Header=BB281_10 Depth=1
	s_or_b64 exec, exec, s[26:27]
	s_and_b64 s[4:5], s[4:5], exec
	s_or_saveexec_b64 s[24:25], s[24:25]
	v_mov_b32_e32 v7, s28
	s_xor_b64 exec, exec, s[24:25]
	s_cbranch_execz .LBB281_12
.LBB281_211:                            ;   in Loop: Header=BB281_10 Depth=1
	v_cmp_ne_u16_sdwa s[26:27], v0, v9 src0_sel:BYTE_0 src1_sel:DWORD
	s_andn2_b64 s[4:5], s[4:5], exec
	s_and_b64 s[26:27], s[26:27], exec
	v_mov_b32_e32 v7, 0
	s_or_b64 s[4:5], s[4:5], s[26:27]
	s_or_b64 exec, exec, s[24:25]
	v_and_b32_e32 v8, 0xffff, v0
	s_and_saveexec_b64 s[24:25], s[4:5]
	s_cbranch_execnz .LBB281_13
	s_branch .LBB281_14
.LBB281_212:                            ;   in Loop: Header=BB281_10 Depth=1
	v_cmp_eq_u16_e64 s[4:5], s31, v8
	s_mov_b64 s[24:25], -1
                                        ; implicit-def: $sgpr35
	s_and_saveexec_b64 s[28:29], s[4:5]
; %bb.213:                              ;   in Loop: Header=BB281_10 Depth=1
	s_mov_b32 s35, 0x7fc02000
	s_xor_b64 s[24:25], exec, -1
; %bb.214:                              ;   in Loop: Header=BB281_10 Depth=1
	s_or_b64 exec, exec, s[28:29]
	s_and_b64 s[24:25], s[24:25], exec
	s_or_saveexec_b64 s[26:27], s[26:27]
	v_mov_b32_e32 v42, s35
	s_xor_b64 exec, exec, s[26:27]
	s_cbranch_execz .LBB281_16
.LBB281_215:                            ;   in Loop: Header=BB281_10 Depth=1
	v_cmp_ne_u16_e64 s[4:5], 0, v8
	s_andn2_b64 s[24:25], s[24:25], exec
	s_and_b64 s[4:5], s[4:5], exec
	v_mov_b32_e32 v42, 0
	s_or_b64 s[24:25], s[24:25], s[4:5]
	s_or_b64 exec, exec, s[26:27]
	s_and_saveexec_b64 s[26:27], s[24:25]
	s_cbranch_execnz .LBB281_17
	s_branch .LBB281_18
.LBB281_216:                            ;   in Loop: Header=BB281_10 Depth=1
	v_cmp_eq_u16_sdwa s[36:37], v0, s31 src0_sel:BYTE_0 src1_sel:DWORD
	s_mov_b64 s[4:5], -1
                                        ; implicit-def: $sgpr28
	s_and_saveexec_b64 s[26:27], s[36:37]
; %bb.217:                              ;   in Loop: Header=BB281_10 Depth=1
	s_mov_b32 s28, 0x7fc02000
	s_xor_b64 s[4:5], exec, -1
; %bb.218:                              ;   in Loop: Header=BB281_10 Depth=1
	s_or_b64 exec, exec, s[26:27]
	s_and_b64 s[4:5], s[4:5], exec
	s_or_saveexec_b64 s[24:25], s[24:25]
	v_mov_b32_e32 v12, s28
	s_xor_b64 exec, exec, s[24:25]
	s_cbranch_execz .LBB281_20
.LBB281_219:                            ;   in Loop: Header=BB281_10 Depth=1
	v_cmp_ne_u16_sdwa s[26:27], v0, v9 src0_sel:BYTE_0 src1_sel:DWORD
	s_andn2_b64 s[4:5], s[4:5], exec
	s_and_b64 s[26:27], s[26:27], exec
	v_mov_b32_e32 v12, 0
	s_or_b64 s[4:5], s[4:5], s[26:27]
	s_or_b64 exec, exec, s[24:25]
	v_and_b32_e32 v8, 0xffff, v0
	s_and_saveexec_b64 s[24:25], s[4:5]
	s_cbranch_execnz .LBB281_21
	s_branch .LBB281_22
.LBB281_220:                            ;   in Loop: Header=BB281_10 Depth=1
	v_cmp_eq_u16_e64 s[4:5], s31, v8
	s_mov_b64 s[24:25], -1
                                        ; implicit-def: $sgpr35
	s_and_saveexec_b64 s[28:29], s[4:5]
; %bb.221:                              ;   in Loop: Header=BB281_10 Depth=1
	s_mov_b32 s35, 0x7fc02000
	s_xor_b64 s[24:25], exec, -1
; %bb.222:                              ;   in Loop: Header=BB281_10 Depth=1
	s_or_b64 exec, exec, s[28:29]
	s_and_b64 s[24:25], s[24:25], exec
	s_or_saveexec_b64 s[26:27], s[26:27]
	v_mov_b32_e32 v16, s35
	s_xor_b64 exec, exec, s[26:27]
	s_cbranch_execz .LBB281_24
.LBB281_223:                            ;   in Loop: Header=BB281_10 Depth=1
	v_cmp_ne_u16_e64 s[4:5], 0, v8
	s_andn2_b64 s[24:25], s[24:25], exec
	s_and_b64 s[4:5], s[4:5], exec
	v_mov_b32_e32 v16, 0
	s_or_b64 s[24:25], s[24:25], s[4:5]
	s_or_b64 exec, exec, s[26:27]
	s_and_saveexec_b64 s[26:27], s[24:25]
	s_cbranch_execnz .LBB281_25
	s_branch .LBB281_26
.LBB281_224:                            ;   in Loop: Header=BB281_10 Depth=1
	v_cmp_eq_u16_sdwa s[36:37], v0, s31 src0_sel:BYTE_0 src1_sel:DWORD
	s_mov_b64 s[4:5], -1
                                        ; implicit-def: $sgpr28
	s_and_saveexec_b64 s[26:27], s[36:37]
; %bb.225:                              ;   in Loop: Header=BB281_10 Depth=1
	s_mov_b32 s28, 0x7fc02000
	s_xor_b64 s[4:5], exec, -1
; %bb.226:                              ;   in Loop: Header=BB281_10 Depth=1
	s_or_b64 exec, exec, s[26:27]
	s_and_b64 s[4:5], s[4:5], exec
	s_or_saveexec_b64 s[24:25], s[24:25]
	v_mov_b32_e32 v17, s28
	s_xor_b64 exec, exec, s[24:25]
	s_cbranch_execz .LBB281_28
.LBB281_227:                            ;   in Loop: Header=BB281_10 Depth=1
	v_cmp_ne_u16_sdwa s[26:27], v0, v9 src0_sel:BYTE_0 src1_sel:DWORD
	s_andn2_b64 s[4:5], s[4:5], exec
	s_and_b64 s[26:27], s[26:27], exec
	v_mov_b32_e32 v17, 0
	s_or_b64 s[4:5], s[4:5], s[26:27]
	s_or_b64 exec, exec, s[24:25]
	v_and_b32_e32 v8, 0xffff, v0
	s_and_saveexec_b64 s[24:25], s[4:5]
	s_cbranch_execnz .LBB281_29
	s_branch .LBB281_30
.LBB281_228:                            ;   in Loop: Header=BB281_10 Depth=1
	v_cmp_eq_u16_e64 s[4:5], s31, v8
	s_mov_b64 s[24:25], -1
                                        ; implicit-def: $sgpr35
	s_and_saveexec_b64 s[28:29], s[4:5]
; %bb.229:                              ;   in Loop: Header=BB281_10 Depth=1
	s_mov_b32 s35, 0x7fc02000
	s_xor_b64 s[24:25], exec, -1
; %bb.230:                              ;   in Loop: Header=BB281_10 Depth=1
	s_or_b64 exec, exec, s[28:29]
	s_and_b64 s[24:25], s[24:25], exec
	s_or_saveexec_b64 s[26:27], s[26:27]
	v_mov_b32_e32 v19, s35
	s_xor_b64 exec, exec, s[26:27]
	s_cbranch_execz .LBB281_32
.LBB281_231:                            ;   in Loop: Header=BB281_10 Depth=1
	v_cmp_ne_u16_e64 s[4:5], 0, v8
	s_andn2_b64 s[24:25], s[24:25], exec
	s_and_b64 s[4:5], s[4:5], exec
	v_mov_b32_e32 v19, 0
	s_or_b64 s[24:25], s[24:25], s[4:5]
	s_or_b64 exec, exec, s[26:27]
	s_and_saveexec_b64 s[26:27], s[24:25]
	s_cbranch_execnz .LBB281_33
	s_branch .LBB281_34
.LBB281_232:                            ;   in Loop: Header=BB281_10 Depth=1
	v_cmp_eq_u16_sdwa s[36:37], v0, s31 src0_sel:BYTE_0 src1_sel:DWORD
	s_mov_b64 s[4:5], -1
                                        ; implicit-def: $sgpr28
	s_and_saveexec_b64 s[26:27], s[36:37]
; %bb.233:                              ;   in Loop: Header=BB281_10 Depth=1
	s_mov_b32 s28, 0x7fc02000
	s_xor_b64 s[4:5], exec, -1
; %bb.234:                              ;   in Loop: Header=BB281_10 Depth=1
	s_or_b64 exec, exec, s[26:27]
	s_and_b64 s[4:5], s[4:5], exec
	s_or_saveexec_b64 s[24:25], s[24:25]
	v_mov_b32_e32 v20, s28
	s_xor_b64 exec, exec, s[24:25]
	s_cbranch_execz .LBB281_36
.LBB281_235:                            ;   in Loop: Header=BB281_10 Depth=1
	v_cmp_ne_u16_sdwa s[26:27], v0, v9 src0_sel:BYTE_0 src1_sel:DWORD
	s_andn2_b64 s[4:5], s[4:5], exec
	s_and_b64 s[26:27], s[26:27], exec
	v_mov_b32_e32 v20, 0
	s_or_b64 s[4:5], s[4:5], s[26:27]
	s_or_b64 exec, exec, s[24:25]
	v_and_b32_e32 v8, 0xffff, v0
	s_and_saveexec_b64 s[24:25], s[4:5]
	s_cbranch_execnz .LBB281_37
	s_branch .LBB281_38
.LBB281_236:                            ;   in Loop: Header=BB281_10 Depth=1
	v_cmp_eq_u16_e64 s[4:5], s31, v8
	s_mov_b64 s[24:25], -1
                                        ; implicit-def: $sgpr35
	s_and_saveexec_b64 s[28:29], s[4:5]
; %bb.237:                              ;   in Loop: Header=BB281_10 Depth=1
	s_mov_b32 s35, 0x7fc02000
	s_xor_b64 s[24:25], exec, -1
; %bb.238:                              ;   in Loop: Header=BB281_10 Depth=1
	s_or_b64 exec, exec, s[28:29]
	s_and_b64 s[24:25], s[24:25], exec
	s_or_saveexec_b64 s[26:27], s[26:27]
	v_mov_b32_e32 v21, s35
	s_xor_b64 exec, exec, s[26:27]
	s_cbranch_execz .LBB281_40
.LBB281_239:                            ;   in Loop: Header=BB281_10 Depth=1
	v_cmp_ne_u16_e64 s[4:5], 0, v8
	s_andn2_b64 s[24:25], s[24:25], exec
	s_and_b64 s[4:5], s[4:5], exec
	v_mov_b32_e32 v21, 0
	s_or_b64 s[24:25], s[24:25], s[4:5]
	s_or_b64 exec, exec, s[26:27]
	s_and_saveexec_b64 s[26:27], s[24:25]
	s_cbranch_execnz .LBB281_41
	s_branch .LBB281_42
.LBB281_240:                            ;   in Loop: Header=BB281_10 Depth=1
	v_cmp_eq_u16_sdwa s[36:37], v0, s31 src0_sel:BYTE_0 src1_sel:DWORD
	s_mov_b64 s[4:5], -1
                                        ; implicit-def: $sgpr28
	s_and_saveexec_b64 s[26:27], s[36:37]
; %bb.241:                              ;   in Loop: Header=BB281_10 Depth=1
	s_mov_b32 s28, 0x7fc02000
	s_xor_b64 s[4:5], exec, -1
; %bb.242:                              ;   in Loop: Header=BB281_10 Depth=1
	s_or_b64 exec, exec, s[26:27]
	s_and_b64 s[4:5], s[4:5], exec
	s_or_saveexec_b64 s[24:25], s[24:25]
	v_mov_b32_e32 v32, s28
	s_xor_b64 exec, exec, s[24:25]
	s_cbranch_execz .LBB281_44
.LBB281_243:                            ;   in Loop: Header=BB281_10 Depth=1
	v_cmp_ne_u16_sdwa s[26:27], v0, v9 src0_sel:BYTE_0 src1_sel:DWORD
	s_andn2_b64 s[4:5], s[4:5], exec
	s_and_b64 s[26:27], s[26:27], exec
	v_mov_b32_e32 v32, 0
	s_or_b64 s[4:5], s[4:5], s[26:27]
	s_or_b64 exec, exec, s[24:25]
	v_and_b32_e32 v8, 0xffff, v0
	s_and_saveexec_b64 s[24:25], s[4:5]
	s_cbranch_execnz .LBB281_45
	s_branch .LBB281_46
.LBB281_244:                            ;   in Loop: Header=BB281_10 Depth=1
	v_cmp_eq_u16_e64 s[4:5], s31, v8
	s_mov_b64 s[24:25], -1
                                        ; implicit-def: $sgpr35
	s_and_saveexec_b64 s[28:29], s[4:5]
; %bb.245:                              ;   in Loop: Header=BB281_10 Depth=1
	s_mov_b32 s35, 0x7fc02000
	s_xor_b64 s[24:25], exec, -1
; %bb.246:                              ;   in Loop: Header=BB281_10 Depth=1
	s_or_b64 exec, exec, s[28:29]
	s_and_b64 s[24:25], s[24:25], exec
	s_or_saveexec_b64 s[26:27], s[26:27]
	v_mov_b32_e32 v33, s35
	s_xor_b64 exec, exec, s[26:27]
	s_cbranch_execz .LBB281_48
.LBB281_247:                            ;   in Loop: Header=BB281_10 Depth=1
	v_cmp_ne_u16_e64 s[4:5], 0, v8
	s_andn2_b64 s[24:25], s[24:25], exec
	s_and_b64 s[4:5], s[4:5], exec
	v_mov_b32_e32 v33, 0
	s_or_b64 s[24:25], s[24:25], s[4:5]
	s_or_b64 exec, exec, s[26:27]
	s_and_saveexec_b64 s[26:27], s[24:25]
	s_cbranch_execnz .LBB281_49
	s_branch .LBB281_50
.LBB281_248:                            ;   in Loop: Header=BB281_10 Depth=1
	v_cmp_eq_u16_sdwa s[36:37], v0, s31 src0_sel:BYTE_0 src1_sel:DWORD
	s_mov_b64 s[4:5], -1
                                        ; implicit-def: $sgpr28
	s_and_saveexec_b64 s[26:27], s[36:37]
; %bb.249:                              ;   in Loop: Header=BB281_10 Depth=1
	s_mov_b32 s28, 0x7fc02000
	s_xor_b64 s[4:5], exec, -1
; %bb.250:                              ;   in Loop: Header=BB281_10 Depth=1
	s_or_b64 exec, exec, s[26:27]
	s_and_b64 s[4:5], s[4:5], exec
	s_or_saveexec_b64 s[24:25], s[24:25]
	v_mov_b32_e32 v58, s28
	s_xor_b64 exec, exec, s[24:25]
	s_cbranch_execz .LBB281_52
.LBB281_251:                            ;   in Loop: Header=BB281_10 Depth=1
	v_cmp_ne_u16_sdwa s[26:27], v0, v9 src0_sel:BYTE_0 src1_sel:DWORD
	s_andn2_b64 s[4:5], s[4:5], exec
	s_and_b64 s[26:27], s[26:27], exec
	v_mov_b32_e32 v58, 0
	s_or_b64 s[4:5], s[4:5], s[26:27]
	s_or_b64 exec, exec, s[24:25]
	v_and_b32_e32 v8, 0xffff, v0
	s_and_saveexec_b64 s[24:25], s[4:5]
	s_cbranch_execnz .LBB281_53
	s_branch .LBB281_54
.LBB281_252:                            ;   in Loop: Header=BB281_10 Depth=1
	v_cmp_eq_u16_e64 s[4:5], s31, v8
	s_mov_b64 s[24:25], -1
                                        ; implicit-def: $sgpr35
	s_and_saveexec_b64 s[28:29], s[4:5]
; %bb.253:                              ;   in Loop: Header=BB281_10 Depth=1
	s_mov_b32 s35, 0x7fc02000
	s_xor_b64 s[24:25], exec, -1
; %bb.254:                              ;   in Loop: Header=BB281_10 Depth=1
	s_or_b64 exec, exec, s[28:29]
	s_and_b64 s[24:25], s[24:25], exec
	s_or_saveexec_b64 s[26:27], s[26:27]
	v_mov_b32_e32 v57, s35
	s_xor_b64 exec, exec, s[26:27]
	s_cbranch_execz .LBB281_56
.LBB281_255:                            ;   in Loop: Header=BB281_10 Depth=1
	v_cmp_ne_u16_e64 s[4:5], 0, v8
	s_andn2_b64 s[24:25], s[24:25], exec
	s_and_b64 s[4:5], s[4:5], exec
	v_mov_b32_e32 v57, 0
	s_or_b64 s[24:25], s[24:25], s[4:5]
	s_or_b64 exec, exec, s[26:27]
	s_and_saveexec_b64 s[26:27], s[24:25]
	s_cbranch_execnz .LBB281_57
	s_branch .LBB281_58
.LBB281_256:                            ;   in Loop: Header=BB281_10 Depth=1
	v_cmp_eq_u16_sdwa s[36:37], v0, s31 src0_sel:BYTE_0 src1_sel:DWORD
	s_mov_b64 s[4:5], -1
                                        ; implicit-def: $sgpr28
	s_and_saveexec_b64 s[26:27], s[36:37]
; %bb.257:                              ;   in Loop: Header=BB281_10 Depth=1
	s_mov_b32 s28, 0x7fc02000
	s_xor_b64 s[4:5], exec, -1
; %bb.258:                              ;   in Loop: Header=BB281_10 Depth=1
	s_or_b64 exec, exec, s[26:27]
	s_and_b64 s[4:5], s[4:5], exec
	s_or_saveexec_b64 s[24:25], s[24:25]
	v_mov_b32_e32 v36, s28
	s_xor_b64 exec, exec, s[24:25]
	s_cbranch_execz .LBB281_60
.LBB281_259:                            ;   in Loop: Header=BB281_10 Depth=1
	v_cmp_ne_u16_sdwa s[26:27], v0, v9 src0_sel:BYTE_0 src1_sel:DWORD
	s_andn2_b64 s[4:5], s[4:5], exec
	s_and_b64 s[26:27], s[26:27], exec
	v_mov_b32_e32 v36, 0
	s_or_b64 s[4:5], s[4:5], s[26:27]
	s_or_b64 exec, exec, s[24:25]
	v_and_b32_e32 v8, 0xffff, v0
	s_and_saveexec_b64 s[24:25], s[4:5]
	s_cbranch_execnz .LBB281_61
	s_branch .LBB281_62
.LBB281_260:                            ;   in Loop: Header=BB281_10 Depth=1
	v_cmp_eq_u16_e64 s[4:5], s31, v8
	s_mov_b64 s[24:25], -1
                                        ; implicit-def: $sgpr35
	s_and_saveexec_b64 s[28:29], s[4:5]
; %bb.261:                              ;   in Loop: Header=BB281_10 Depth=1
	s_mov_b32 s35, 0x7fc02000
	s_xor_b64 s[24:25], exec, -1
; %bb.262:                              ;   in Loop: Header=BB281_10 Depth=1
	s_or_b64 exec, exec, s[28:29]
	s_and_b64 s[24:25], s[24:25], exec
	s_or_saveexec_b64 s[26:27], s[26:27]
	v_mov_b32_e32 v37, s35
	s_xor_b64 exec, exec, s[26:27]
	s_cbranch_execz .LBB281_64
.LBB281_263:                            ;   in Loop: Header=BB281_10 Depth=1
	v_cmp_ne_u16_e64 s[4:5], 0, v8
	s_andn2_b64 s[24:25], s[24:25], exec
	s_and_b64 s[4:5], s[4:5], exec
	v_mov_b32_e32 v37, 0
	s_or_b64 s[24:25], s[24:25], s[4:5]
	s_or_b64 exec, exec, s[26:27]
	s_and_saveexec_b64 s[26:27], s[24:25]
	s_cbranch_execnz .LBB281_65
	s_branch .LBB281_66
.LBB281_264:                            ;   in Loop: Header=BB281_10 Depth=1
	v_cmp_eq_u16_sdwa s[36:37], v0, s31 src0_sel:BYTE_0 src1_sel:DWORD
	s_mov_b64 s[4:5], -1
                                        ; implicit-def: $sgpr28
	s_and_saveexec_b64 s[26:27], s[36:37]
; %bb.265:                              ;   in Loop: Header=BB281_10 Depth=1
	s_mov_b32 s28, 0x7fc02000
	s_xor_b64 s[4:5], exec, -1
; %bb.266:                              ;   in Loop: Header=BB281_10 Depth=1
	s_or_b64 exec, exec, s[26:27]
	s_and_b64 s[4:5], s[4:5], exec
	s_or_saveexec_b64 s[24:25], s[24:25]
	v_mov_b32_e32 v48, s28
	s_xor_b64 exec, exec, s[24:25]
	s_cbranch_execz .LBB281_68
.LBB281_267:                            ;   in Loop: Header=BB281_10 Depth=1
	v_cmp_ne_u16_sdwa s[26:27], v0, v9 src0_sel:BYTE_0 src1_sel:DWORD
	s_andn2_b64 s[4:5], s[4:5], exec
	s_and_b64 s[26:27], s[26:27], exec
	v_mov_b32_e32 v48, 0
	s_or_b64 s[4:5], s[4:5], s[26:27]
	s_or_b64 exec, exec, s[24:25]
	v_and_b32_e32 v8, 0xffff, v0
	s_and_saveexec_b64 s[24:25], s[4:5]
	s_cbranch_execnz .LBB281_69
	s_branch .LBB281_70
.LBB281_268:                            ;   in Loop: Header=BB281_10 Depth=1
	v_cmp_eq_u16_e64 s[4:5], s31, v8
	s_mov_b64 s[24:25], -1
                                        ; implicit-def: $sgpr35
	s_and_saveexec_b64 s[28:29], s[4:5]
; %bb.269:                              ;   in Loop: Header=BB281_10 Depth=1
	s_mov_b32 s35, 0x7fc02000
	s_xor_b64 s[24:25], exec, -1
; %bb.270:                              ;   in Loop: Header=BB281_10 Depth=1
	s_or_b64 exec, exec, s[28:29]
	s_and_b64 s[24:25], s[24:25], exec
	s_or_saveexec_b64 s[26:27], s[26:27]
	v_mov_b32_e32 v38, s35
	s_xor_b64 exec, exec, s[26:27]
	s_cbranch_execz .LBB281_72
.LBB281_271:                            ;   in Loop: Header=BB281_10 Depth=1
	v_cmp_ne_u16_e64 s[4:5], 0, v8
	s_andn2_b64 s[24:25], s[24:25], exec
	s_and_b64 s[4:5], s[4:5], exec
	v_mov_b32_e32 v38, 0
	s_or_b64 s[24:25], s[24:25], s[4:5]
	s_or_b64 exec, exec, s[26:27]
	s_and_saveexec_b64 s[26:27], s[24:25]
	s_cbranch_execnz .LBB281_73
	s_branch .LBB281_74
.LBB281_272:                            ;   in Loop: Header=BB281_10 Depth=1
	v_cmp_eq_u16_sdwa s[36:37], v0, s31 src0_sel:BYTE_0 src1_sel:DWORD
	s_mov_b64 s[4:5], -1
                                        ; implicit-def: $sgpr28
	s_and_saveexec_b64 s[26:27], s[36:37]
; %bb.273:                              ;   in Loop: Header=BB281_10 Depth=1
	s_mov_b32 s28, 0x7fc02000
	s_xor_b64 s[4:5], exec, -1
; %bb.274:                              ;   in Loop: Header=BB281_10 Depth=1
	s_or_b64 exec, exec, s[26:27]
	s_and_b64 s[4:5], s[4:5], exec
	s_or_saveexec_b64 s[24:25], s[24:25]
	v_mov_b32_e32 v50, s28
	s_xor_b64 exec, exec, s[24:25]
	s_cbranch_execz .LBB281_76
.LBB281_275:                            ;   in Loop: Header=BB281_10 Depth=1
	v_cmp_ne_u16_sdwa s[26:27], v0, v9 src0_sel:BYTE_0 src1_sel:DWORD
	s_andn2_b64 s[4:5], s[4:5], exec
	s_and_b64 s[26:27], s[26:27], exec
	v_mov_b32_e32 v50, 0
	s_or_b64 s[4:5], s[4:5], s[26:27]
	s_or_b64 exec, exec, s[24:25]
	v_and_b32_e32 v8, 0xffff, v0
	s_and_saveexec_b64 s[24:25], s[4:5]
	s_cbranch_execnz .LBB281_77
	s_branch .LBB281_78
.LBB281_276:                            ;   in Loop: Header=BB281_10 Depth=1
	v_cmp_eq_u16_e64 s[4:5], s31, v8
	s_mov_b64 s[24:25], -1
                                        ; implicit-def: $sgpr35
	s_and_saveexec_b64 s[28:29], s[4:5]
; %bb.277:                              ;   in Loop: Header=BB281_10 Depth=1
	s_mov_b32 s35, 0x7fc02000
	s_xor_b64 s[24:25], exec, -1
; %bb.278:                              ;   in Loop: Header=BB281_10 Depth=1
	s_or_b64 exec, exec, s[28:29]
	s_and_b64 s[24:25], s[24:25], exec
	s_or_saveexec_b64 s[26:27], s[26:27]
	v_mov_b32_e32 v18, s35
	s_xor_b64 exec, exec, s[26:27]
	s_cbranch_execz .LBB281_80
.LBB281_279:                            ;   in Loop: Header=BB281_10 Depth=1
	v_cmp_ne_u16_e64 s[4:5], 0, v8
	s_andn2_b64 s[24:25], s[24:25], exec
	s_and_b64 s[4:5], s[4:5], exec
	v_mov_b32_e32 v18, 0
	s_or_b64 s[24:25], s[24:25], s[4:5]
	s_or_b64 exec, exec, s[26:27]
	s_and_saveexec_b64 s[26:27], s[24:25]
	s_cbranch_execnz .LBB281_81
	s_branch .LBB281_82
.LBB281_280:                            ;   in Loop: Header=BB281_10 Depth=1
	v_cmp_eq_u16_sdwa s[36:37], v0, s31 src0_sel:BYTE_0 src1_sel:DWORD
	s_mov_b64 s[4:5], -1
                                        ; implicit-def: $sgpr28
	s_and_saveexec_b64 s[26:27], s[36:37]
; %bb.281:                              ;   in Loop: Header=BB281_10 Depth=1
	s_mov_b32 s28, 0x7fc02000
	s_xor_b64 s[4:5], exec, -1
; %bb.282:                              ;   in Loop: Header=BB281_10 Depth=1
	s_or_b64 exec, exec, s[26:27]
	s_and_b64 s[4:5], s[4:5], exec
	s_or_saveexec_b64 s[24:25], s[24:25]
	v_mov_b32_e32 v51, s28
	s_xor_b64 exec, exec, s[24:25]
	s_cbranch_execz .LBB281_84
.LBB281_283:                            ;   in Loop: Header=BB281_10 Depth=1
	v_cmp_ne_u16_sdwa s[26:27], v0, v9 src0_sel:BYTE_0 src1_sel:DWORD
	s_andn2_b64 s[4:5], s[4:5], exec
	s_and_b64 s[26:27], s[26:27], exec
	v_mov_b32_e32 v51, 0
	s_or_b64 s[4:5], s[4:5], s[26:27]
	s_or_b64 exec, exec, s[24:25]
	v_and_b32_e32 v8, 0xffff, v0
	s_and_saveexec_b64 s[24:25], s[4:5]
	s_cbranch_execnz .LBB281_85
	s_branch .LBB281_86
.LBB281_284:                            ;   in Loop: Header=BB281_10 Depth=1
	v_cmp_eq_u16_e64 s[4:5], s31, v8
	s_mov_b64 s[24:25], -1
                                        ; implicit-def: $sgpr35
	s_and_saveexec_b64 s[28:29], s[4:5]
; %bb.285:                              ;   in Loop: Header=BB281_10 Depth=1
	s_mov_b32 s35, 0x7fc02000
	s_xor_b64 s[24:25], exec, -1
; %bb.286:                              ;   in Loop: Header=BB281_10 Depth=1
	s_or_b64 exec, exec, s[28:29]
	s_and_b64 s[24:25], s[24:25], exec
	s_or_saveexec_b64 s[26:27], s[26:27]
	v_mov_b32_e32 v52, s35
	s_xor_b64 exec, exec, s[26:27]
	s_cbranch_execz .LBB281_88
.LBB281_287:                            ;   in Loop: Header=BB281_10 Depth=1
	v_cmp_ne_u16_e64 s[4:5], 0, v8
	s_andn2_b64 s[24:25], s[24:25], exec
	s_and_b64 s[4:5], s[4:5], exec
	v_mov_b32_e32 v52, 0
	s_or_b64 s[24:25], s[24:25], s[4:5]
	s_or_b64 exec, exec, s[26:27]
	s_and_saveexec_b64 s[26:27], s[24:25]
	s_cbranch_execnz .LBB281_89
	s_branch .LBB281_90
.LBB281_288:                            ;   in Loop: Header=BB281_10 Depth=1
	v_cmp_eq_u16_sdwa s[36:37], v0, s31 src0_sel:BYTE_0 src1_sel:DWORD
	s_mov_b64 s[4:5], -1
                                        ; implicit-def: $sgpr28
	s_and_saveexec_b64 s[26:27], s[36:37]
; %bb.289:                              ;   in Loop: Header=BB281_10 Depth=1
	s_mov_b32 s28, 0x7fc02000
	s_xor_b64 s[4:5], exec, -1
; %bb.290:                              ;   in Loop: Header=BB281_10 Depth=1
	s_or_b64 exec, exec, s[26:27]
	s_and_b64 s[4:5], s[4:5], exec
	s_or_saveexec_b64 s[24:25], s[24:25]
	v_mov_b32_e32 v54, s28
	s_xor_b64 exec, exec, s[24:25]
	s_cbranch_execz .LBB281_92
.LBB281_291:                            ;   in Loop: Header=BB281_10 Depth=1
	v_cmp_ne_u16_sdwa s[26:27], v0, v9 src0_sel:BYTE_0 src1_sel:DWORD
	s_andn2_b64 s[4:5], s[4:5], exec
	s_and_b64 s[26:27], s[26:27], exec
	v_mov_b32_e32 v54, 0
	s_or_b64 s[4:5], s[4:5], s[26:27]
	s_or_b64 exec, exec, s[24:25]
	v_and_b32_e32 v8, 0xffff, v0
	s_and_saveexec_b64 s[24:25], s[4:5]
	s_cbranch_execnz .LBB281_93
	s_branch .LBB281_94
.LBB281_292:                            ;   in Loop: Header=BB281_10 Depth=1
	v_cmp_eq_u16_e64 s[4:5], s31, v8
	s_mov_b64 s[24:25], -1
                                        ; implicit-def: $sgpr35
	s_and_saveexec_b64 s[28:29], s[4:5]
; %bb.293:                              ;   in Loop: Header=BB281_10 Depth=1
	s_mov_b32 s35, 0x7fc02000
	s_xor_b64 s[24:25], exec, -1
; %bb.294:                              ;   in Loop: Header=BB281_10 Depth=1
	s_or_b64 exec, exec, s[28:29]
	s_and_b64 s[24:25], s[24:25], exec
	s_or_saveexec_b64 s[26:27], s[26:27]
	v_mov_b32_e32 v0, s35
	s_xor_b64 exec, exec, s[26:27]
	s_cbranch_execz .LBB281_96
.LBB281_295:                            ;   in Loop: Header=BB281_10 Depth=1
	v_cmp_ne_u16_e64 s[4:5], 0, v8
	s_andn2_b64 s[24:25], s[24:25], exec
	s_and_b64 s[4:5], s[4:5], exec
	v_mov_b32_e32 v0, 0
	s_or_b64 s[24:25], s[24:25], s[4:5]
	s_or_b64 exec, exec, s[26:27]
	s_and_saveexec_b64 s[26:27], s[24:25]
	s_cbranch_execnz .LBB281_97
	s_branch .LBB281_98
.LBB281_296:                            ;   in Loop: Header=BB281_10 Depth=1
	v_cmp_eq_u16_sdwa s[36:37], v0, s31 src0_sel:BYTE_0 src1_sel:DWORD
	s_mov_b64 s[4:5], -1
                                        ; implicit-def: $sgpr28
	s_and_saveexec_b64 s[26:27], s[36:37]
; %bb.297:                              ;   in Loop: Header=BB281_10 Depth=1
	s_mov_b32 s28, 0x7fc02000
	s_xor_b64 s[4:5], exec, -1
; %bb.298:                              ;   in Loop: Header=BB281_10 Depth=1
	s_or_b64 exec, exec, s[26:27]
	s_and_b64 s[4:5], s[4:5], exec
	s_or_saveexec_b64 s[24:25], s[24:25]
	v_mov_b32_e32 v4, s28
	s_xor_b64 exec, exec, s[24:25]
	s_cbranch_execz .LBB281_100
.LBB281_299:                            ;   in Loop: Header=BB281_10 Depth=1
	v_cmp_ne_u16_sdwa s[26:27], v0, v9 src0_sel:BYTE_0 src1_sel:DWORD
	s_andn2_b64 s[4:5], s[4:5], exec
	s_and_b64 s[26:27], s[26:27], exec
	v_mov_b32_e32 v4, 0
	s_or_b64 s[4:5], s[4:5], s[26:27]
	s_or_b64 exec, exec, s[24:25]
	v_and_b32_e32 v8, 0xffff, v0
	s_and_saveexec_b64 s[24:25], s[4:5]
	s_cbranch_execnz .LBB281_101
	s_branch .LBB281_102
.LBB281_300:                            ;   in Loop: Header=BB281_10 Depth=1
	v_cmp_eq_u16_e64 s[4:5], s31, v8
	s_mov_b64 s[24:25], -1
                                        ; implicit-def: $sgpr35
	s_and_saveexec_b64 s[28:29], s[4:5]
; %bb.301:                              ;   in Loop: Header=BB281_10 Depth=1
	s_mov_b32 s35, 0x7fc02000
	s_xor_b64 s[24:25], exec, -1
; %bb.302:                              ;   in Loop: Header=BB281_10 Depth=1
	s_or_b64 exec, exec, s[28:29]
	s_and_b64 s[24:25], s[24:25], exec
	s_or_saveexec_b64 s[26:27], s[26:27]
	v_mov_b32_e32 v0, s35
	s_xor_b64 exec, exec, s[26:27]
	s_cbranch_execz .LBB281_104
.LBB281_303:                            ;   in Loop: Header=BB281_10 Depth=1
	v_cmp_ne_u16_e64 s[4:5], 0, v8
	s_andn2_b64 s[24:25], s[24:25], exec
	s_and_b64 s[4:5], s[4:5], exec
	v_mov_b32_e32 v0, 0
	s_or_b64 s[24:25], s[24:25], s[4:5]
	s_or_b64 exec, exec, s[26:27]
	s_and_saveexec_b64 s[26:27], s[24:25]
	s_cbranch_execnz .LBB281_105
	s_branch .LBB281_106
.LBB281_304:                            ;   in Loop: Header=BB281_10 Depth=1
	v_cmp_eq_u16_sdwa s[36:37], v0, s31 src0_sel:BYTE_0 src1_sel:DWORD
	s_mov_b64 s[4:5], -1
                                        ; implicit-def: $sgpr28
	s_and_saveexec_b64 s[26:27], s[36:37]
; %bb.305:                              ;   in Loop: Header=BB281_10 Depth=1
	s_mov_b32 s28, 0x7fc02000
	s_xor_b64 s[4:5], exec, -1
; %bb.306:                              ;   in Loop: Header=BB281_10 Depth=1
	s_or_b64 exec, exec, s[26:27]
	s_and_b64 s[4:5], s[4:5], exec
	s_or_saveexec_b64 s[24:25], s[24:25]
	v_mov_b32_e32 v5, s28
	s_xor_b64 exec, exec, s[24:25]
	s_cbranch_execz .LBB281_108
.LBB281_307:                            ;   in Loop: Header=BB281_10 Depth=1
	v_cmp_ne_u16_sdwa s[26:27], v0, v9 src0_sel:BYTE_0 src1_sel:DWORD
	s_andn2_b64 s[4:5], s[4:5], exec
	s_and_b64 s[26:27], s[26:27], exec
	v_mov_b32_e32 v5, 0
	s_or_b64 s[4:5], s[4:5], s[26:27]
	s_or_b64 exec, exec, s[24:25]
	v_and_b32_e32 v8, 0xffff, v0
	s_and_saveexec_b64 s[24:25], s[4:5]
	s_cbranch_execnz .LBB281_109
	s_branch .LBB281_110
.LBB281_308:                            ;   in Loop: Header=BB281_10 Depth=1
	v_cmp_eq_u16_e64 s[4:5], s31, v8
	s_mov_b64 s[24:25], -1
                                        ; implicit-def: $sgpr35
	s_and_saveexec_b64 s[28:29], s[4:5]
; %bb.309:                              ;   in Loop: Header=BB281_10 Depth=1
	s_mov_b32 s35, 0x7fc02000
	s_xor_b64 s[24:25], exec, -1
; %bb.310:                              ;   in Loop: Header=BB281_10 Depth=1
	s_or_b64 exec, exec, s[28:29]
	s_and_b64 s[24:25], s[24:25], exec
	s_or_saveexec_b64 s[26:27], s[26:27]
	v_mov_b32_e32 v0, s35
	s_xor_b64 exec, exec, s[26:27]
	s_cbranch_execz .LBB281_112
.LBB281_311:                            ;   in Loop: Header=BB281_10 Depth=1
	v_cmp_ne_u16_e64 s[4:5], 0, v8
	s_andn2_b64 s[24:25], s[24:25], exec
	s_and_b64 s[4:5], s[4:5], exec
	v_mov_b32_e32 v0, 0
	s_or_b64 s[24:25], s[24:25], s[4:5]
	s_or_b64 exec, exec, s[26:27]
	s_and_saveexec_b64 s[26:27], s[24:25]
	s_cbranch_execnz .LBB281_113
	s_branch .LBB281_114
.LBB281_312:                            ;   in Loop: Header=BB281_10 Depth=1
	v_cmp_eq_u16_sdwa s[36:37], v0, s31 src0_sel:BYTE_0 src1_sel:DWORD
	s_mov_b64 s[4:5], -1
                                        ; implicit-def: $sgpr28
	s_and_saveexec_b64 s[26:27], s[36:37]
; %bb.313:                              ;   in Loop: Header=BB281_10 Depth=1
	s_mov_b32 s28, 0x7fc02000
	s_xor_b64 s[4:5], exec, -1
; %bb.314:                              ;   in Loop: Header=BB281_10 Depth=1
	s_or_b64 exec, exec, s[26:27]
	s_and_b64 s[4:5], s[4:5], exec
	s_or_saveexec_b64 s[24:25], s[24:25]
	v_mov_b32_e32 v39, s28
	s_xor_b64 exec, exec, s[24:25]
	s_cbranch_execz .LBB281_116
.LBB281_315:                            ;   in Loop: Header=BB281_10 Depth=1
	v_cmp_ne_u16_sdwa s[26:27], v0, v9 src0_sel:BYTE_0 src1_sel:DWORD
	s_andn2_b64 s[4:5], s[4:5], exec
	s_and_b64 s[26:27], s[26:27], exec
	v_mov_b32_e32 v39, 0
	s_or_b64 s[4:5], s[4:5], s[26:27]
	s_or_b64 exec, exec, s[24:25]
	v_and_b32_e32 v8, 0xffff, v0
	s_and_saveexec_b64 s[24:25], s[4:5]
	s_cbranch_execnz .LBB281_117
	s_branch .LBB281_118
.LBB281_316:                            ;   in Loop: Header=BB281_10 Depth=1
	v_cmp_eq_u16_e64 s[4:5], s31, v8
	s_mov_b64 s[24:25], -1
                                        ; implicit-def: $sgpr35
	s_and_saveexec_b64 s[28:29], s[4:5]
; %bb.317:                              ;   in Loop: Header=BB281_10 Depth=1
	s_mov_b32 s35, 0x7fc02000
	s_xor_b64 s[24:25], exec, -1
; %bb.318:                              ;   in Loop: Header=BB281_10 Depth=1
	s_or_b64 exec, exec, s[28:29]
	s_and_b64 s[24:25], s[24:25], exec
	s_or_saveexec_b64 s[26:27], s[26:27]
	v_mov_b32_e32 v0, s35
	s_xor_b64 exec, exec, s[26:27]
	s_cbranch_execz .LBB281_120
.LBB281_319:                            ;   in Loop: Header=BB281_10 Depth=1
	v_cmp_ne_u16_e64 s[4:5], 0, v8
	s_andn2_b64 s[24:25], s[24:25], exec
	s_and_b64 s[4:5], s[4:5], exec
	v_mov_b32_e32 v0, 0
	s_or_b64 s[24:25], s[24:25], s[4:5]
	s_or_b64 exec, exec, s[26:27]
	s_and_saveexec_b64 s[26:27], s[24:25]
	s_cbranch_execnz .LBB281_121
	s_branch .LBB281_122
.LBB281_320:                            ;   in Loop: Header=BB281_10 Depth=1
	v_cmp_eq_u16_sdwa s[36:37], v0, s31 src0_sel:BYTE_0 src1_sel:DWORD
	s_mov_b64 s[4:5], -1
                                        ; implicit-def: $sgpr28
	s_and_saveexec_b64 s[26:27], s[36:37]
; %bb.321:                              ;   in Loop: Header=BB281_10 Depth=1
	s_mov_b32 s28, 0x7fc02000
	s_xor_b64 s[4:5], exec, -1
; %bb.322:                              ;   in Loop: Header=BB281_10 Depth=1
	s_or_b64 exec, exec, s[26:27]
	s_and_b64 s[4:5], s[4:5], exec
	s_or_saveexec_b64 s[24:25], s[24:25]
	v_mov_b32_e32 v11, s28
	s_xor_b64 exec, exec, s[24:25]
	s_cbranch_execz .LBB281_124
.LBB281_323:                            ;   in Loop: Header=BB281_10 Depth=1
	v_cmp_ne_u16_sdwa s[26:27], v0, v9 src0_sel:BYTE_0 src1_sel:DWORD
	s_andn2_b64 s[4:5], s[4:5], exec
	s_and_b64 s[26:27], s[26:27], exec
	v_mov_b32_e32 v11, 0
	s_or_b64 s[4:5], s[4:5], s[26:27]
	s_or_b64 exec, exec, s[24:25]
	v_and_b32_e32 v8, 0xffff, v0
	s_and_saveexec_b64 s[24:25], s[4:5]
	s_cbranch_execnz .LBB281_125
	s_branch .LBB281_126
.LBB281_324:                            ;   in Loop: Header=BB281_10 Depth=1
	v_cmp_eq_u16_e64 s[4:5], s31, v8
	s_mov_b64 s[24:25], -1
                                        ; implicit-def: $sgpr35
	s_and_saveexec_b64 s[28:29], s[4:5]
; %bb.325:                              ;   in Loop: Header=BB281_10 Depth=1
	s_mov_b32 s35, 0x7fc02000
	s_xor_b64 s[24:25], exec, -1
; %bb.326:                              ;   in Loop: Header=BB281_10 Depth=1
	s_or_b64 exec, exec, s[28:29]
	s_and_b64 s[24:25], s[24:25], exec
	s_or_saveexec_b64 s[26:27], s[26:27]
	v_mov_b32_e32 v10, s35
	s_xor_b64 exec, exec, s[26:27]
	s_cbranch_execz .LBB281_128
.LBB281_327:                            ;   in Loop: Header=BB281_10 Depth=1
	v_cmp_ne_u16_e64 s[4:5], 0, v8
	s_andn2_b64 s[24:25], s[24:25], exec
	s_and_b64 s[4:5], s[4:5], exec
	v_mov_b32_e32 v10, 0
	s_or_b64 s[24:25], s[24:25], s[4:5]
	s_or_b64 exec, exec, s[26:27]
	s_and_saveexec_b64 s[26:27], s[24:25]
	s_cbranch_execnz .LBB281_129
	s_branch .LBB281_130
.LBB281_328:                            ;   in Loop: Header=BB281_10 Depth=1
	v_cmp_eq_u16_sdwa s[36:37], v0, s31 src0_sel:BYTE_0 src1_sel:DWORD
	s_mov_b64 s[4:5], -1
                                        ; implicit-def: $sgpr28
	s_and_saveexec_b64 s[26:27], s[36:37]
; %bb.329:                              ;   in Loop: Header=BB281_10 Depth=1
	s_mov_b32 s28, 0x7fc02000
	s_xor_b64 s[4:5], exec, -1
; %bb.330:                              ;   in Loop: Header=BB281_10 Depth=1
	s_or_b64 exec, exec, s[26:27]
	s_and_b64 s[4:5], s[4:5], exec
	s_or_saveexec_b64 s[24:25], s[24:25]
	v_mov_b32_e32 v1, s28
	s_xor_b64 exec, exec, s[24:25]
	s_cbranch_execz .LBB281_132
.LBB281_331:                            ;   in Loop: Header=BB281_10 Depth=1
	v_cmp_ne_u16_sdwa s[26:27], v0, v9 src0_sel:BYTE_0 src1_sel:DWORD
	s_andn2_b64 s[4:5], s[4:5], exec
	s_and_b64 s[26:27], s[26:27], exec
	v_mov_b32_e32 v1, 0
	s_or_b64 s[4:5], s[4:5], s[26:27]
	s_or_b64 exec, exec, s[24:25]
	v_and_b32_e32 v8, 0xffff, v0
	s_and_saveexec_b64 s[24:25], s[4:5]
	s_cbranch_execnz .LBB281_133
	s_branch .LBB281_134
.LBB281_332:                            ;   in Loop: Header=BB281_10 Depth=1
	v_cmp_eq_u16_e64 s[4:5], s31, v8
	s_mov_b64 s[24:25], -1
                                        ; implicit-def: $sgpr35
	s_and_saveexec_b64 s[28:29], s[4:5]
; %bb.333:                              ;   in Loop: Header=BB281_10 Depth=1
	s_mov_b32 s35, 0x7fc02000
	s_xor_b64 s[24:25], exec, -1
; %bb.334:                              ;   in Loop: Header=BB281_10 Depth=1
	s_or_b64 exec, exec, s[28:29]
	s_and_b64 s[24:25], s[24:25], exec
	s_or_saveexec_b64 s[26:27], s[26:27]
	v_mov_b32_e32 v0, s35
	s_xor_b64 exec, exec, s[26:27]
	s_cbranch_execz .LBB281_136
.LBB281_335:                            ;   in Loop: Header=BB281_10 Depth=1
	v_cmp_ne_u16_e64 s[4:5], 0, v8
	s_andn2_b64 s[24:25], s[24:25], exec
	s_and_b64 s[4:5], s[4:5], exec
	v_mov_b32_e32 v0, 0
	s_or_b64 s[24:25], s[24:25], s[4:5]
	s_or_b64 exec, exec, s[26:27]
	s_and_saveexec_b64 s[26:27], s[24:25]
	s_cbranch_execnz .LBB281_137
	s_branch .LBB281_138
.LBB281_336:                            ;   in Loop: Header=BB281_10 Depth=1
	v_cmp_eq_u16_sdwa s[36:37], v2, s31 src0_sel:BYTE_0 src1_sel:DWORD
	s_mov_b64 s[4:5], -1
                                        ; implicit-def: $sgpr28
	s_and_saveexec_b64 s[26:27], s[36:37]
; %bb.337:                              ;   in Loop: Header=BB281_10 Depth=1
	s_mov_b32 s28, 0x7fc02000
	s_xor_b64 s[4:5], exec, -1
; %bb.338:                              ;   in Loop: Header=BB281_10 Depth=1
	s_or_b64 exec, exec, s[26:27]
	s_and_b64 s[4:5], s[4:5], exec
	s_or_saveexec_b64 s[24:25], s[24:25]
	v_mov_b32_e32 v3, s28
	s_xor_b64 exec, exec, s[24:25]
	s_cbranch_execz .LBB281_140
.LBB281_339:                            ;   in Loop: Header=BB281_10 Depth=1
	v_cmp_ne_u16_sdwa s[26:27], v2, v9 src0_sel:BYTE_0 src1_sel:DWORD
	s_andn2_b64 s[4:5], s[4:5], exec
	s_and_b64 s[26:27], s[26:27], exec
	v_mov_b32_e32 v3, 0
	s_or_b64 s[4:5], s[4:5], s[26:27]
	s_or_b64 exec, exec, s[24:25]
	v_and_b32_e32 v8, 0xffff, v2
	s_and_saveexec_b64 s[24:25], s[4:5]
	s_cbranch_execnz .LBB281_141
	s_branch .LBB281_142
.LBB281_340:                            ;   in Loop: Header=BB281_10 Depth=1
	v_cmp_eq_u16_e64 s[4:5], s31, v8
	s_mov_b64 s[24:25], -1
                                        ; implicit-def: $sgpr35
	s_and_saveexec_b64 s[28:29], s[4:5]
; %bb.341:                              ;   in Loop: Header=BB281_10 Depth=1
	s_mov_b32 s35, 0x7fc02000
	s_xor_b64 s[24:25], exec, -1
; %bb.342:                              ;   in Loop: Header=BB281_10 Depth=1
	s_or_b64 exec, exec, s[28:29]
	s_and_b64 s[24:25], s[24:25], exec
	s_or_saveexec_b64 s[26:27], s[26:27]
	v_mov_b32_e32 v2, s35
	s_xor_b64 exec, exec, s[26:27]
	s_cbranch_execz .LBB281_144
.LBB281_343:                            ;   in Loop: Header=BB281_10 Depth=1
	v_cmp_ne_u16_e64 s[4:5], 0, v8
	s_andn2_b64 s[24:25], s[24:25], exec
	s_and_b64 s[4:5], s[4:5], exec
	v_mov_b32_e32 v2, 0
	s_or_b64 s[24:25], s[24:25], s[4:5]
	s_or_b64 exec, exec, s[26:27]
	s_and_saveexec_b64 s[26:27], s[24:25]
	s_cbranch_execnz .LBB281_145
	s_branch .LBB281_146
.LBB281_344:                            ;   in Loop: Header=BB281_10 Depth=1
	v_cmp_eq_u16_sdwa s[36:37], v6, s31 src0_sel:BYTE_0 src1_sel:DWORD
	s_mov_b64 s[4:5], -1
                                        ; implicit-def: $sgpr28
	s_and_saveexec_b64 s[26:27], s[36:37]
; %bb.345:                              ;   in Loop: Header=BB281_10 Depth=1
	s_mov_b32 s28, 0x7fc02000
	s_xor_b64 s[4:5], exec, -1
; %bb.346:                              ;   in Loop: Header=BB281_10 Depth=1
	s_or_b64 exec, exec, s[26:27]
	s_and_b64 s[4:5], s[4:5], exec
	s_or_saveexec_b64 s[24:25], s[24:25]
	v_mov_b32_e32 v15, s28
	s_xor_b64 exec, exec, s[24:25]
	s_cbranch_execz .LBB281_148
.LBB281_347:                            ;   in Loop: Header=BB281_10 Depth=1
	v_cmp_ne_u16_sdwa s[26:27], v6, v9 src0_sel:BYTE_0 src1_sel:DWORD
	s_andn2_b64 s[4:5], s[4:5], exec
	s_and_b64 s[26:27], s[26:27], exec
	v_mov_b32_e32 v15, 0
	s_or_b64 s[4:5], s[4:5], s[26:27]
	s_or_b64 exec, exec, s[24:25]
	v_and_b32_e32 v8, 0xffff, v6
	s_and_saveexec_b64 s[24:25], s[4:5]
	s_cbranch_execnz .LBB281_149
	s_branch .LBB281_150
.LBB281_348:                            ;   in Loop: Header=BB281_10 Depth=1
	v_cmp_eq_u16_e64 s[4:5], s31, v8
	s_mov_b64 s[24:25], -1
                                        ; implicit-def: $sgpr35
	s_and_saveexec_b64 s[28:29], s[4:5]
; %bb.349:                              ;   in Loop: Header=BB281_10 Depth=1
	s_mov_b32 s35, 0x7fc02000
	s_xor_b64 s[24:25], exec, -1
; %bb.350:                              ;   in Loop: Header=BB281_10 Depth=1
	s_or_b64 exec, exec, s[28:29]
	s_and_b64 s[24:25], s[24:25], exec
	s_or_saveexec_b64 s[26:27], s[26:27]
	v_mov_b32_e32 v14, s35
	s_xor_b64 exec, exec, s[26:27]
	s_cbranch_execz .LBB281_152
.LBB281_351:                            ;   in Loop: Header=BB281_10 Depth=1
	v_cmp_ne_u16_e64 s[4:5], 0, v8
	s_andn2_b64 s[24:25], s[24:25], exec
	s_and_b64 s[4:5], s[4:5], exec
	v_mov_b32_e32 v14, 0
	s_or_b64 s[24:25], s[24:25], s[4:5]
	s_or_b64 exec, exec, s[26:27]
	s_and_saveexec_b64 s[26:27], s[24:25]
	s_cbranch_execnz .LBB281_153
	s_branch .LBB281_154
.LBB281_352:                            ;   in Loop: Header=BB281_10 Depth=1
	v_cmp_eq_u16_sdwa s[36:37], v6, s31 src0_sel:BYTE_0 src1_sel:DWORD
	s_mov_b64 s[4:5], -1
                                        ; implicit-def: $sgpr28
	s_and_saveexec_b64 s[26:27], s[36:37]
; %bb.353:                              ;   in Loop: Header=BB281_10 Depth=1
	s_mov_b32 s28, 0x7fc02000
	s_xor_b64 s[4:5], exec, -1
; %bb.354:                              ;   in Loop: Header=BB281_10 Depth=1
	s_or_b64 exec, exec, s[26:27]
	s_and_b64 s[4:5], s[4:5], exec
	s_or_saveexec_b64 s[24:25], s[24:25]
	v_mov_b32_e32 v13, s28
	s_xor_b64 exec, exec, s[24:25]
	s_cbranch_execz .LBB281_156
.LBB281_355:                            ;   in Loop: Header=BB281_10 Depth=1
	v_cmp_ne_u16_sdwa s[26:27], v6, v9 src0_sel:BYTE_0 src1_sel:DWORD
	s_andn2_b64 s[4:5], s[4:5], exec
	s_and_b64 s[26:27], s[26:27], exec
	v_mov_b32_e32 v13, 0
	s_or_b64 s[4:5], s[4:5], s[26:27]
	s_or_b64 exec, exec, s[24:25]
	v_and_b32_e32 v8, 0xffff, v6
	s_and_saveexec_b64 s[24:25], s[4:5]
	s_cbranch_execnz .LBB281_157
	s_branch .LBB281_158
.LBB281_356:                            ;   in Loop: Header=BB281_10 Depth=1
	v_cmp_eq_u16_e64 s[4:5], s31, v8
	s_mov_b64 s[24:25], -1
                                        ; implicit-def: $sgpr35
	s_and_saveexec_b64 s[28:29], s[4:5]
; %bb.357:                              ;   in Loop: Header=BB281_10 Depth=1
	s_mov_b32 s35, 0x7fc02000
	s_xor_b64 s[24:25], exec, -1
; %bb.358:                              ;   in Loop: Header=BB281_10 Depth=1
	s_or_b64 exec, exec, s[28:29]
	s_and_b64 s[24:25], s[24:25], exec
	s_or_saveexec_b64 s[26:27], s[26:27]
	v_mov_b32_e32 v28, s35
	s_xor_b64 exec, exec, s[26:27]
	s_cbranch_execz .LBB281_160
.LBB281_359:                            ;   in Loop: Header=BB281_10 Depth=1
	v_cmp_ne_u16_e64 s[4:5], 0, v8
	s_andn2_b64 s[24:25], s[24:25], exec
	s_and_b64 s[4:5], s[4:5], exec
	v_mov_b32_e32 v28, 0
	s_or_b64 s[24:25], s[24:25], s[4:5]
	s_or_b64 exec, exec, s[26:27]
	s_and_saveexec_b64 s[26:27], s[24:25]
	s_cbranch_execnz .LBB281_161
	s_branch .LBB281_162
.LBB281_360:                            ;   in Loop: Header=BB281_10 Depth=1
	v_cmp_eq_u16_sdwa s[36:37], v6, s31 src0_sel:BYTE_0 src1_sel:DWORD
	s_mov_b64 s[4:5], -1
                                        ; implicit-def: $sgpr28
	s_and_saveexec_b64 s[26:27], s[36:37]
; %bb.361:                              ;   in Loop: Header=BB281_10 Depth=1
	s_mov_b32 s28, 0x7fc02000
	s_xor_b64 s[4:5], exec, -1
; %bb.362:                              ;   in Loop: Header=BB281_10 Depth=1
	s_or_b64 exec, exec, s[26:27]
	s_and_b64 s[4:5], s[4:5], exec
	s_or_saveexec_b64 s[24:25], s[24:25]
	v_mov_b32_e32 v29, s28
	s_xor_b64 exec, exec, s[24:25]
	s_cbranch_execz .LBB281_164
.LBB281_363:                            ;   in Loop: Header=BB281_10 Depth=1
	v_cmp_ne_u16_sdwa s[26:27], v6, v9 src0_sel:BYTE_0 src1_sel:DWORD
	s_andn2_b64 s[4:5], s[4:5], exec
	s_and_b64 s[26:27], s[26:27], exec
	v_mov_b32_e32 v29, 0
	s_or_b64 s[4:5], s[4:5], s[26:27]
	s_or_b64 exec, exec, s[24:25]
	v_and_b32_e32 v8, 0xffff, v6
	s_and_saveexec_b64 s[24:25], s[4:5]
	s_cbranch_execnz .LBB281_165
	s_branch .LBB281_166
.LBB281_364:                            ;   in Loop: Header=BB281_10 Depth=1
	v_cmp_eq_u16_e64 s[4:5], s31, v8
	s_mov_b64 s[24:25], -1
                                        ; implicit-def: $sgpr35
	s_and_saveexec_b64 s[28:29], s[4:5]
; %bb.365:                              ;   in Loop: Header=BB281_10 Depth=1
	s_mov_b32 s35, 0x7fc02000
	s_xor_b64 s[24:25], exec, -1
; %bb.366:                              ;   in Loop: Header=BB281_10 Depth=1
	s_or_b64 exec, exec, s[28:29]
	s_and_b64 s[24:25], s[24:25], exec
	s_or_saveexec_b64 s[26:27], s[26:27]
	v_mov_b32_e32 v30, s35
	s_xor_b64 exec, exec, s[26:27]
	s_cbranch_execz .LBB281_168
.LBB281_367:                            ;   in Loop: Header=BB281_10 Depth=1
	v_cmp_ne_u16_e64 s[4:5], 0, v8
	s_andn2_b64 s[24:25], s[24:25], exec
	s_and_b64 s[4:5], s[4:5], exec
	v_mov_b32_e32 v30, 0
	s_or_b64 s[24:25], s[24:25], s[4:5]
	s_or_b64 exec, exec, s[26:27]
	s_and_saveexec_b64 s[26:27], s[24:25]
	s_cbranch_execnz .LBB281_169
	s_branch .LBB281_170
.LBB281_368:                            ;   in Loop: Header=BB281_10 Depth=1
	v_cmp_eq_u16_sdwa s[36:37], v6, s31 src0_sel:BYTE_0 src1_sel:DWORD
	s_mov_b64 s[4:5], -1
                                        ; implicit-def: $sgpr28
	s_and_saveexec_b64 s[26:27], s[36:37]
; %bb.369:                              ;   in Loop: Header=BB281_10 Depth=1
	s_mov_b32 s28, 0x7fc02000
	s_xor_b64 s[4:5], exec, -1
; %bb.370:                              ;   in Loop: Header=BB281_10 Depth=1
	s_or_b64 exec, exec, s[26:27]
	s_and_b64 s[4:5], s[4:5], exec
	s_or_saveexec_b64 s[24:25], s[24:25]
	v_mov_b32_e32 v31, s28
	s_xor_b64 exec, exec, s[24:25]
	s_cbranch_execz .LBB281_172
.LBB281_371:                            ;   in Loop: Header=BB281_10 Depth=1
	v_cmp_ne_u16_sdwa s[26:27], v6, v9 src0_sel:BYTE_0 src1_sel:DWORD
	s_andn2_b64 s[4:5], s[4:5], exec
	s_and_b64 s[26:27], s[26:27], exec
	v_mov_b32_e32 v31, 0
	s_or_b64 s[4:5], s[4:5], s[26:27]
	s_or_b64 exec, exec, s[24:25]
	v_and_b32_e32 v8, 0xffff, v6
	s_and_saveexec_b64 s[24:25], s[4:5]
	s_cbranch_execnz .LBB281_173
	s_branch .LBB281_174
.LBB281_372:                            ;   in Loop: Header=BB281_10 Depth=1
	v_cmp_eq_u16_e64 s[4:5], s31, v8
	s_mov_b64 s[24:25], -1
                                        ; implicit-def: $sgpr35
	s_and_saveexec_b64 s[28:29], s[4:5]
; %bb.373:                              ;   in Loop: Header=BB281_10 Depth=1
	s_mov_b32 s35, 0x7fc02000
	s_xor_b64 s[24:25], exec, -1
; %bb.374:                              ;   in Loop: Header=BB281_10 Depth=1
	s_or_b64 exec, exec, s[28:29]
	s_and_b64 s[24:25], s[24:25], exec
	s_or_saveexec_b64 s[26:27], s[26:27]
	v_mov_b32_e32 v49, s35
	s_xor_b64 exec, exec, s[26:27]
	s_cbranch_execz .LBB281_176
.LBB281_375:                            ;   in Loop: Header=BB281_10 Depth=1
	v_cmp_ne_u16_e64 s[4:5], 0, v8
	s_andn2_b64 s[24:25], s[24:25], exec
	s_and_b64 s[4:5], s[4:5], exec
	v_mov_b32_e32 v49, 0
	s_or_b64 s[24:25], s[24:25], s[4:5]
	s_or_b64 exec, exec, s[26:27]
	s_and_saveexec_b64 s[26:27], s[24:25]
	s_cbranch_execnz .LBB281_177
	s_branch .LBB281_178
.LBB281_376:                            ;   in Loop: Header=BB281_10 Depth=1
	v_cmp_eq_u16_sdwa s[36:37], v6, s31 src0_sel:BYTE_0 src1_sel:DWORD
	s_mov_b64 s[4:5], -1
                                        ; implicit-def: $sgpr28
	s_and_saveexec_b64 s[26:27], s[36:37]
; %bb.377:                              ;   in Loop: Header=BB281_10 Depth=1
	s_mov_b32 s28, 0x7fc02000
	s_xor_b64 s[4:5], exec, -1
; %bb.378:                              ;   in Loop: Header=BB281_10 Depth=1
	s_or_b64 exec, exec, s[26:27]
	s_and_b64 s[4:5], s[4:5], exec
	s_or_saveexec_b64 s[24:25], s[24:25]
	v_mov_b32_e32 v22, s28
	s_xor_b64 exec, exec, s[24:25]
	s_cbranch_execz .LBB281_180
.LBB281_379:                            ;   in Loop: Header=BB281_10 Depth=1
	v_cmp_ne_u16_sdwa s[26:27], v6, v9 src0_sel:BYTE_0 src1_sel:DWORD
	s_andn2_b64 s[4:5], s[4:5], exec
	s_and_b64 s[26:27], s[26:27], exec
	v_mov_b32_e32 v22, 0
	s_or_b64 s[4:5], s[4:5], s[26:27]
	s_or_b64 exec, exec, s[24:25]
	v_and_b32_e32 v8, 0xffff, v6
	s_and_saveexec_b64 s[24:25], s[4:5]
	s_cbranch_execnz .LBB281_181
	s_branch .LBB281_182
.LBB281_380:                            ;   in Loop: Header=BB281_10 Depth=1
	v_cmp_eq_u16_e64 s[4:5], s31, v8
	s_mov_b64 s[24:25], -1
                                        ; implicit-def: $sgpr35
	s_and_saveexec_b64 s[28:29], s[4:5]
; %bb.381:                              ;   in Loop: Header=BB281_10 Depth=1
	s_mov_b32 s35, 0x7fc02000
	s_xor_b64 s[24:25], exec, -1
; %bb.382:                              ;   in Loop: Header=BB281_10 Depth=1
	s_or_b64 exec, exec, s[28:29]
	s_and_b64 s[24:25], s[24:25], exec
	s_or_saveexec_b64 s[26:27], s[26:27]
	v_mov_b32_e32 v25, s35
	s_xor_b64 exec, exec, s[26:27]
	s_cbranch_execz .LBB281_184
.LBB281_383:                            ;   in Loop: Header=BB281_10 Depth=1
	v_cmp_ne_u16_e64 s[4:5], 0, v8
	s_andn2_b64 s[24:25], s[24:25], exec
	s_and_b64 s[4:5], s[4:5], exec
	v_mov_b32_e32 v25, 0
	s_or_b64 s[24:25], s[24:25], s[4:5]
	s_or_b64 exec, exec, s[26:27]
	s_and_saveexec_b64 s[26:27], s[24:25]
	s_cbranch_execnz .LBB281_185
	s_branch .LBB281_186
.LBB281_384:                            ;   in Loop: Header=BB281_10 Depth=1
	v_cmp_eq_u16_sdwa s[36:37], v6, s31 src0_sel:BYTE_0 src1_sel:DWORD
	s_mov_b64 s[4:5], -1
                                        ; implicit-def: $sgpr28
	s_and_saveexec_b64 s[26:27], s[36:37]
; %bb.385:                              ;   in Loop: Header=BB281_10 Depth=1
	s_mov_b32 s28, 0x7fc02000
	s_xor_b64 s[4:5], exec, -1
; %bb.386:                              ;   in Loop: Header=BB281_10 Depth=1
	s_or_b64 exec, exec, s[26:27]
	s_and_b64 s[4:5], s[4:5], exec
	s_or_saveexec_b64 s[24:25], s[24:25]
	v_mov_b32_e32 v24, s28
	s_xor_b64 exec, exec, s[24:25]
	s_cbranch_execz .LBB281_188
.LBB281_387:                            ;   in Loop: Header=BB281_10 Depth=1
	v_cmp_ne_u16_sdwa s[26:27], v6, v9 src0_sel:BYTE_0 src1_sel:DWORD
	s_andn2_b64 s[4:5], s[4:5], exec
	s_and_b64 s[26:27], s[26:27], exec
	v_mov_b32_e32 v24, 0
	s_or_b64 s[4:5], s[4:5], s[26:27]
	s_or_b64 exec, exec, s[24:25]
	v_and_b32_e32 v8, 0xffff, v6
	s_and_saveexec_b64 s[24:25], s[4:5]
	s_cbranch_execnz .LBB281_189
	s_branch .LBB281_190
.LBB281_388:                            ;   in Loop: Header=BB281_10 Depth=1
	v_cmp_eq_u16_e64 s[4:5], s31, v8
	s_mov_b64 s[24:25], -1
                                        ; implicit-def: $sgpr35
	s_and_saveexec_b64 s[28:29], s[4:5]
; %bb.389:                              ;   in Loop: Header=BB281_10 Depth=1
	s_mov_b32 s35, 0x7fc02000
	s_xor_b64 s[24:25], exec, -1
; %bb.390:                              ;   in Loop: Header=BB281_10 Depth=1
	s_or_b64 exec, exec, s[28:29]
	s_and_b64 s[24:25], s[24:25], exec
	s_or_saveexec_b64 s[26:27], s[26:27]
	v_mov_b32_e32 v27, s35
	s_xor_b64 exec, exec, s[26:27]
	s_cbranch_execz .LBB281_192
.LBB281_391:                            ;   in Loop: Header=BB281_10 Depth=1
	v_cmp_ne_u16_e64 s[4:5], 0, v8
	s_andn2_b64 s[24:25], s[24:25], exec
	s_and_b64 s[4:5], s[4:5], exec
	v_mov_b32_e32 v27, 0
	s_or_b64 s[24:25], s[24:25], s[4:5]
	s_or_b64 exec, exec, s[26:27]
	s_and_saveexec_b64 s[26:27], s[24:25]
	s_cbranch_execnz .LBB281_193
	s_branch .LBB281_194
.LBB281_392:                            ;   in Loop: Header=BB281_10 Depth=1
	v_cmp_eq_u16_sdwa s[36:37], v6, s31 src0_sel:BYTE_0 src1_sel:DWORD
	s_mov_b64 s[4:5], -1
                                        ; implicit-def: $sgpr28
	s_and_saveexec_b64 s[26:27], s[36:37]
; %bb.393:                              ;   in Loop: Header=BB281_10 Depth=1
	s_mov_b32 s28, 0x7fc02000
	s_xor_b64 s[4:5], exec, -1
; %bb.394:                              ;   in Loop: Header=BB281_10 Depth=1
	s_or_b64 exec, exec, s[26:27]
	s_and_b64 s[4:5], s[4:5], exec
	s_or_saveexec_b64 s[24:25], s[24:25]
	v_mov_b32_e32 v34, s28
	s_xor_b64 exec, exec, s[24:25]
	s_cbranch_execz .LBB281_196
.LBB281_395:                            ;   in Loop: Header=BB281_10 Depth=1
	v_cmp_ne_u16_sdwa s[26:27], v6, v9 src0_sel:BYTE_0 src1_sel:DWORD
	s_andn2_b64 s[4:5], s[4:5], exec
	s_and_b64 s[26:27], s[26:27], exec
	v_mov_b32_e32 v34, 0
	s_or_b64 s[4:5], s[4:5], s[26:27]
	s_or_b64 exec, exec, s[24:25]
	v_and_b32_e32 v8, 0xffff, v6
	s_and_saveexec_b64 s[24:25], s[4:5]
	s_cbranch_execnz .LBB281_197
	s_branch .LBB281_198
.LBB281_396:
	s_or_b64 exec, exec, s[22:23]
	scratch_load_dword v7, off, s32 offset:116 ; 4-byte Folded Reload
	v_accvgpr_read_b32 v15, a13
	v_accvgpr_read_b32 v25, a15
	;; [unrolled: 1-line block ×15, first 2 shown]
.LBB281_397:
	s_or_b64 exec, exec, s[6:7]
	v_accvgpr_read_b32 v6, a28
	v_xor_b32_e32 v0, 32, v6
	v_cmp_lt_i32_e32 vcc, v0, v2
	v_xor_b32_e32 v4, 16, v6
	s_waitcnt vmcnt(0)
	v_max_f32_e32 v1, v7, v7
	v_cndmask_b32_e32 v0, v6, v0, vcc
	v_lshlrev_b32_e32 v3, 2, v0
	ds_bpermute_b32 v0, v3, v7
	v_cmp_lt_i32_e32 vcc, v4, v2
	v_xor_b32_e32 v5, 8, v6
	s_waitcnt lgkmcnt(0)
	s_lshr_b32 s24, s30, 16
	v_max_f32_e32 v0, v0, v0
	v_max_f32_e32 v0, v1, v0
	v_cndmask_b32_e32 v1, v6, v4, vcc
	v_lshlrev_b32_e32 v4, 2, v1
	ds_bpermute_b32 v1, v4, v0
	v_cmp_lt_i32_e32 vcc, v5, v2
	s_waitcnt lgkmcnt(0)
	v_max_f32_e32 v1, v1, v1
	v_max_f32_e32 v0, v0, v1
	v_cndmask_b32_e32 v1, v6, v5, vcc
	v_lshlrev_b32_e32 v7, 2, v1
	ds_bpermute_b32 v1, v7, v0
	v_xor_b32_e32 v5, 4, v6
	v_cmp_lt_i32_e32 vcc, v5, v2
	s_waitcnt lgkmcnt(0)
	v_max_f32_e32 v1, v1, v1
	v_max_f32_e32 v0, v0, v1
	v_cndmask_b32_e32 v1, v6, v5, vcc
	v_lshlrev_b32_e32 v8, 2, v1
	ds_bpermute_b32 v1, v8, v0
	v_accvgpr_read_b32 v6, a2
	v_and_b32_e32 v23, 63, v6
	v_cmp_eq_u32_e32 vcc, 0, v23
	v_lshlrev_b32_e32 v5, 2, v22
	s_and_saveexec_b64 s[2:3], vcc
	s_cbranch_execz .LBB281_399
; %bb.398:
	s_waitcnt lgkmcnt(0)
	v_max_f32_e32 v1, v1, v1
	v_max_f32_e32 v0, v0, v0
	;; [unrolled: 1-line block ×3, first 2 shown]
	ds_write_b32 v5, v0 offset:384
.LBB281_399:
	s_or_b64 exec, exec, s[2:3]
	v_cmp_gt_u32_e64 s[2:3], 2, v23
	v_mov_b32_e32 v0, 0xff7fffff
	v_lshlrev_b32_e32 v6, 2, v23
	s_waitcnt lgkmcnt(0)
	s_barrier
	s_and_saveexec_b64 s[4:5], s[2:3]
	s_cbranch_execz .LBB281_401
; %bb.400:
	ds_read_b32 v0, v6 offset:384
.LBB281_401:
	s_or_b64 exec, exec, s[4:5]
	v_accvgpr_read_b32 v10, a28
	v_xor_b32_e32 v1, 1, v10
	v_cmp_lt_i32_e64 s[4:5], v1, v2
	v_accvgpr_read_b32 v9, a3
	v_subrev_u32_e32 v9, s19, v9
	v_cndmask_b32_e64 v1, v10, v1, s[4:5]
	v_lshlrev_b32_e32 v34, 2, v1
	s_waitcnt lgkmcnt(0)
	ds_bpermute_b32 v1, v34, v0
	v_max_f32_e32 v0, v0, v0
	v_lshl_add_u32 v9, v9, 4, s21
	v_accvgpr_read_b32 v12, a8
	v_min_i32_e32 v9, v9, v12
	s_waitcnt lgkmcnt(0)
	v_max_f32_e32 v1, v1, v1
	v_max_f32_e32 v0, v0, v1
	v_lshlrev_b32_e32 v1, 2, v10
	v_and_b32_e32 v10, 0xffffff00, v1
	ds_bpermute_b32 v0, v10, v0
	v_subrev_u32_e32 v1, s21, v9
	v_accvgpr_read_b32 v12, a2
	v_cmp_lt_i32_e64 s[4:5], v12, v1
	v_mov_b32_e32 v11, 0
	s_and_saveexec_b64 s[8:9], s[4:5]
	s_cbranch_execz .LBB281_405
; %bb.402:
	s_ashr_i32 s17, s16, 31
	s_lshl_b64 s[6:7], s[16:17], 2
	s_getpc_b64 s[22:23]
	s_add_u32 s22, s22, llvm.amdgcn.dynlds.offset.table@rel32@lo+4
	s_addc_u32 s23, s23, llvm.amdgcn.dynlds.offset.table@rel32@hi+12
	s_add_u32 s6, s6, s22
	s_addc_u32 s7, s7, s23
	s_load_dword s6, s[6:7], 0x0
	v_accvgpr_read_b32 v16, a2
	s_mov_b64 s[22:23], 0
	v_mov_b32_e32 v11, 0
	v_accvgpr_read_b32 v13, a2
	s_waitcnt lgkmcnt(0)
	v_lshl_add_u32 v12, v16, 2, s6
.LBB281_403:                            ; =>This Inner Loop Header: Depth=1
	ds_read_b32 v16, v12
	v_add_u32_e32 v13, 0x80, v13
	v_cmp_ge_i32_e64 s[6:7], v13, v1
	s_or_b64 s[22:23], s[6:7], s[22:23]
	s_waitcnt lgkmcnt(0)
	v_sub_f32_e32 v16, v16, v0
	v_mul_f32_e32 v16, 0x3fb8aa3b, v16
	v_exp_f32_e32 v16, v16
	ds_write_b32 v12, v16
	v_add_f32_e32 v11, v11, v16
	v_add_u32_e32 v12, 0x200, v12
	s_andn2_b64 exec, exec, s[22:23]
	s_cbranch_execnz .LBB281_403
; %bb.404:
	s_or_b64 exec, exec, s[22:23]
.LBB281_405:
	s_or_b64 exec, exec, s[8:9]
	ds_bpermute_b32 v3, v3, v11
	s_waitcnt lgkmcnt(0)
	v_add_f32_e32 v3, v11, v3
	ds_bpermute_b32 v4, v4, v3
	s_waitcnt lgkmcnt(0)
	v_add_f32_e32 v3, v3, v4
	;; [unrolled: 3-line block ×3, first 2 shown]
	ds_bpermute_b32 v4, v8, v3
	v_accvgpr_read_b32 v8, a28
	v_xor_b32_e32 v7, 2, v8
	v_cmp_lt_i32_e64 s[6:7], v7, v2
	s_waitcnt lgkmcnt(0)
	v_add_f32_e32 v3, v3, v4
	v_cndmask_b32_e64 v2, v8, v7, s[6:7]
	v_lshlrev_b32_e32 v2, 2, v2
	ds_bpermute_b32 v2, v2, v3
	s_waitcnt lgkmcnt(0)
	v_add_f32_e32 v2, v3, v2
	ds_bpermute_b32 v3, v34, v2
	s_waitcnt lgkmcnt(0)
	v_add_f32_e32 v2, v2, v3
	s_and_saveexec_b64 s[6:7], vcc
	s_cbranch_execz .LBB281_407
; %bb.406:
	ds_write_b32 v5, v2 offset:392
.LBB281_407:
	s_or_b64 exec, exec, s[6:7]
	s_waitcnt lgkmcnt(0)
	s_barrier
	s_and_saveexec_b64 s[6:7], s[2:3]
	s_cbranch_execz .LBB281_409
; %bb.408:
	ds_read_b32 v2, v6 offset:392
.LBB281_409:
	s_or_b64 exec, exec, s[6:7]
	s_waitcnt lgkmcnt(0)
	ds_bpermute_b32 v3, v34, v2
	s_waitcnt lgkmcnt(0)
	v_add_f32_e32 v2, v2, v3
	ds_bpermute_b32 v2, v10, v2
	s_and_saveexec_b64 s[2:3], s[4:5]
	s_cbranch_execz .LBB281_422
; %bb.410:
	s_waitcnt lgkmcnt(0)
	v_add_f32_e32 v3, 0x358637bd, v2
	v_div_scale_f32 v4, s[4:5], v3, v3, 1.0
	v_rcp_f32_e32 v5, v4
	v_div_scale_f32 v6, vcc, 1.0, v3, 1.0
	s_movk_i32 s4, 0x7f
	v_fma_f32 v7, -v4, v5, 1.0
	v_fmac_f32_e32 v5, v7, v5
	v_mul_f32_e32 v7, v6, v5
	v_fma_f32 v8, -v4, v7, v6
	v_fmac_f32_e32 v7, v8, v5
	v_fma_f32 v4, -v4, v7, v6
	v_div_fmas_f32 v4, v4, v5, v7
	v_accvgpr_read_b32 v6, a2
	v_div_fixup_f32 v8, v4, v3, 1.0
	v_xad_u32 v3, v6, -1, v9
	v_subrev_u32_e32 v4, s21, v3
	v_cmp_lt_u32_e32 vcc, s4, v4
	s_mov_b64 s[6:7], -1
	v_accvgpr_read_b32 v3, a2
	s_and_saveexec_b64 s[4:5], vcc
	s_cbranch_execz .LBB281_419
; %bb.411:
	v_lshrrev_b32_e32 v3, 7, v4
	v_add_u32_e32 v5, -1, v3
	v_lshrrev_b32_e32 v4, 1, v5
	v_mov_b32_e32 v9, v8
	v_add_u32_e32 v4, 1, v4
	v_cmp_lt_u32_e32 vcc, 13, v5
	v_mov_b32_e32 v7, 0
	s_and_saveexec_b64 s[6:7], vcc
	s_cbranch_execz .LBB281_415
; %bb.412:
	s_ashr_i32 s17, s16, 31
	s_lshl_b64 s[8:9], s[16:17], 2
	s_getpc_b64 s[22:23]
	s_add_u32 s22, s22, llvm.amdgcn.dynlds.offset.table@rel32@lo+4
	s_addc_u32 s23, s23, llvm.amdgcn.dynlds.offset.table@rel32@hi+12
	s_add_u32 s8, s8, s22
	s_addc_u32 s9, s9, s23
	s_load_dword s8, s[8:9], 0x0
	v_accvgpr_read_b32 v6, a2
	v_and_b32_e32 v5, -8, v4
	s_mov_b32 s17, 0
	s_waitcnt lgkmcnt(0)
	v_lshl_add_u32 v6, v6, 2, s8
	s_mov_b64 s[8:9], 0
.LBB281_413:                            ; =>This Inner Loop Header: Depth=1
	ds_read2st64_b32 v[10:11], v6 offset1:2
	ds_read2st64_b32 v[12:13], v6 offset0:4 offset1:6
	ds_read2st64_b32 v[16:17], v6 offset0:8 offset1:10
	;; [unrolled: 1-line block ×3, first 2 shown]
	v_add_u32_e32 v5, -8, v5
	s_waitcnt lgkmcnt(3)
	v_pk_mul_f32 v[10:11], v[8:9], v[10:11]
	s_waitcnt lgkmcnt(2)
	v_pk_mul_f32 v[12:13], v[8:9], v[12:13]
	ds_write2st64_b32 v6, v10, v11 offset1:2
	ds_write2st64_b32 v6, v12, v13 offset0:4 offset1:6
	ds_read2st64_b32 v[12:13], v6 offset0:16 offset1:18
	s_waitcnt lgkmcnt(4)
	v_pk_mul_f32 v[10:11], v[8:9], v[16:17]
	ds_write2st64_b32 v6, v10, v11 offset0:8 offset1:10
	s_waitcnt lgkmcnt(4)
	v_pk_mul_f32 v[10:11], v[8:9], v[18:19]
	ds_write2st64_b32 v6, v10, v11 offset0:12 offset1:14
	ds_read2st64_b32 v[10:11], v6 offset0:20 offset1:22
	s_waitcnt lgkmcnt(3)
	v_pk_mul_f32 v[12:13], v[8:9], v[12:13]
	ds_read2st64_b32 v[16:17], v6 offset0:24 offset1:26
	ds_write2st64_b32 v6, v12, v13 offset0:16 offset1:18
	ds_read2st64_b32 v[12:13], v6 offset0:28 offset1:30
	s_waitcnt lgkmcnt(3)
	v_pk_mul_f32 v[10:11], v[8:9], v[10:11]
	ds_write2st64_b32 v6, v10, v11 offset0:20 offset1:22
	s_waitcnt lgkmcnt(3)
	v_pk_mul_f32 v[10:11], v[8:9], v[16:17]
	ds_write2st64_b32 v6, v10, v11 offset0:24 offset1:26
	s_waitcnt lgkmcnt(2)
	v_pk_mul_f32 v[10:11], v[8:9], v[12:13]
	s_add_i32 s17, s17, 16
	v_cmp_eq_u32_e32 vcc, 0, v5
	ds_write2st64_b32 v6, v10, v11 offset0:28 offset1:30
	v_add_u32_e32 v6, 0x2000, v6
	s_or_b64 s[8:9], vcc, s[8:9]
	v_mov_b32_e32 v7, s17
	s_andn2_b64 exec, exec, s[8:9]
	s_cbranch_execnz .LBB281_413
; %bb.414:
	s_or_b64 exec, exec, s[8:9]
.LBB281_415:
	s_or_b64 exec, exec, s[6:7]
	v_and_b32_e32 v4, 7, v4
	v_cmp_ne_u32_e32 vcc, 0, v4
	s_and_saveexec_b64 s[6:7], vcc
	s_cbranch_execz .LBB281_418
; %bb.416:
	s_ashr_i32 s17, s16, 31
	s_lshl_b64 s[8:9], s[16:17], 2
	s_getpc_b64 s[22:23]
	s_add_u32 s22, s22, llvm.amdgcn.dynlds.offset.table@rel32@lo+4
	s_addc_u32 s23, s23, llvm.amdgcn.dynlds.offset.table@rel32@hi+12
	s_add_u32 s8, s8, s22
	s_addc_u32 s9, s9, s23
	s_load_dword s8, s[8:9], 0x0
	v_accvgpr_read_b32 v6, a2
	v_lshlrev_b32_e32 v5, 9, v7
	v_lshlrev_b32_e32 v6, 2, v6
	s_waitcnt lgkmcnt(0)
	v_add3_u32 v5, v5, v6, s8
	s_mov_b64 s[8:9], 0
.LBB281_417:                            ; =>This Inner Loop Header: Depth=1
	ds_read2st64_b32 v[6:7], v5 offset1:2
	v_add_u32_e32 v4, -1, v4
	v_cmp_eq_u32_e32 vcc, 0, v4
	s_or_b64 s[8:9], vcc, s[8:9]
	s_waitcnt lgkmcnt(0)
	v_pk_mul_f32 v[6:7], v[8:9], v[6:7]
	ds_write2st64_b32 v5, v6, v7 offset1:2
	v_add_u32_e32 v5, 0x400, v5
	s_andn2_b64 exec, exec, s[8:9]
	s_cbranch_execnz .LBB281_417
.LBB281_418:
	s_or_b64 exec, exec, s[6:7]
	v_add_u32_e32 v4, 1, v3
	v_and_b32_e32 v5, 0x3fffffe, v4
	v_accvgpr_read_b32 v6, a2
	v_cmp_ne_u32_e32 vcc, v4, v5
	v_lshl_add_u32 v3, v5, 7, v6
	s_orn2_b64 s[6:7], vcc, exec
.LBB281_419:
	s_or_b64 exec, exec, s[4:5]
	s_and_b64 exec, exec, s[6:7]
	s_cbranch_execz .LBB281_422
; %bb.420:
	s_ashr_i32 s17, s16, 31
	s_lshl_b64 s[4:5], s[16:17], 2
	s_getpc_b64 s[6:7]
	s_add_u32 s6, s6, llvm.amdgcn.dynlds.offset.table@rel32@lo+4
	s_addc_u32 s7, s7, llvm.amdgcn.dynlds.offset.table@rel32@hi+12
	s_add_u32 s4, s4, s6
	s_addc_u32 s5, s5, s7
	s_load_dword s4, s[4:5], 0x0
	s_waitcnt lgkmcnt(0)
	v_lshl_add_u32 v4, v3, 2, s4
	s_mov_b64 s[4:5], 0
.LBB281_421:                            ; =>This Inner Loop Header: Depth=1
	ds_read_b32 v5, v4
	v_add_u32_e32 v3, 0x80, v3
	v_cmp_ge_i32_e32 vcc, v3, v1
	s_or_b64 s[4:5], vcc, s[4:5]
	s_waitcnt lgkmcnt(0)
	v_mul_f32_e32 v5, v8, v5
	ds_write_b32 v4, v5
	v_add_u32_e32 v4, 0x200, v4
	s_andn2_b64 exec, exec, s[4:5]
	s_cbranch_execnz .LBB281_421
.LBB281_422:
	s_or_b64 exec, exec, s[2:3]
	v_cmp_ne_u16_e64 s[2:3], s24, 0
	s_cmp_lg_u64 s[2:3], 0
	s_addc_u32 s19, s13, 0
	v_accvgpr_read_b32 v6, a2
	s_mul_i32 s2, s19, s20
	v_cmp_eq_u32_e32 vcc, 0, v6
	s_mul_i32 s2, s2, s15
	s_waitcnt lgkmcnt(0)
	s_barrier
	s_and_saveexec_b64 s[4:5], vcc
	s_cbranch_execz .LBB281_424
; %bb.423:
	s_mul_i32 s8, s19, s12
	s_ashr_i32 s3, s2, 31
	s_ashr_i32 s9, s8, 31
	;; [unrolled: 1-line block ×3, first 2 shown]
	s_lshl_b64 s[6:7], s[2:3], 2
	s_lshl_b64 s[8:9], s[8:9], 2
	;; [unrolled: 1-line block ×3, first 2 shown]
	s_add_u32 s3, s12, s8
	s_addc_u32 s8, s13, s9
	s_add_u32 s6, s3, s6
	s_addc_u32 s7, s8, s7
	v_lshl_add_u64 v[4:5], s[6:7], 0, v[36:37]
	flat_store_dword v[4:5], v0
	v_lshl_add_u64 v[0:1], s[6:7], 0, v[26:27]
	flat_store_dword v[0:1], v2
.LBB281_424:
	s_or_b64 exec, exec, s[4:5]
	v_mov_b32_e32 v1, 0
	v_and_b32_e32 v35, 1, v6
	v_mov_b32_e32 v0, 0
	v_mov_b32_e32 v3, 0
	;; [unrolled: 1-line block ×5, first 2 shown]
	s_and_saveexec_b64 s[4:5], s[0:1]
	s_cbranch_execz .LBB281_824
; %bb.425:
	s_ashr_i32 s17, s16, 31
	v_accvgpr_read_b32 v0, a2
	s_lshl_b64 s[0:1], s[16:17], 2
	v_lshlrev_b32_e32 v2, 3, v0
	s_getpc_b64 s[6:7]
	s_add_u32 s6, s6, llvm.amdgcn.dynlds.offset.table@rel32@lo+4
	s_addc_u32 s7, s7, llvm.amdgcn.dynlds.offset.table@rel32@hi+12
	s_add_u32 s0, s0, s6
	v_lshl_add_u64 v[0:1], v[24:25], 0, v[32:33]
	v_and_b32_e32 v10, 0x1f8, v2
	v_mov_b32_e32 v11, 0
	s_addc_u32 s1, s1, s7
	v_add_u32_e32 v37, -1, v20
	v_lshl_add_u64 v[20:21], v[0:1], 0, v[10:11]
	v_accvgpr_read_b32 v0, a10
	s_load_dword s0, s[0:1], 0x0
	v_accvgpr_read_b32 v1, a11
	v_lshlrev_b64 v[0:1], 2, v[0:1]
	v_lshl_add_u64 v[0:1], v[28:29], 2, v[0:1]
	v_lshl_add_u64 v[14:15], v[14:15], 0, v[0:1]
	v_lshlrev_b32_e32 v0, 5, v35
	v_and_b32_e32 v3, 8, v2
	v_lshl_or_b32 v0, v22, 6, v0
	v_accvgpr_read_b32 v13, a8
	v_add3_u32 v7, s21, v30, v3
	s_waitcnt lgkmcnt(0)
	v_add_u32_e32 v36, s0, v0
	s_mov_b64 s[6:7], 0
	s_movk_i32 s3, 0x7f
	s_movk_i32 s15, 0x80
	s_mov_b32 s17, 0x8000
	s_movk_i32 s22, 0x380
	s_mov_b32 s23, 0x3020706
	s_mov_b32 s24, 0x1000504
	;; [unrolled: 1-line block ×3, first 2 shown]
	v_mov_b32_e32 v38, 0x1c00
	v_mov_b32_e32 v8, 0
	;; [unrolled: 1-line block ×7, first 2 shown]
	s_branch .LBB281_427
.LBB281_426:                            ;   in Loop: Header=BB281_427 Depth=1
	s_or_b64 exec, exec, s[0:1]
	v_add_f32_e32 v4, v4, v5
	v_add_f32_e32 v2, v2, v4
	;; [unrolled: 1-line block ×6, first 2 shown]
	;;#ASMSTART
	v_pk_mul_f16 v4, v54, v10;

	;;#ASMEND
	;;#ASMSTART
	v_pk_mul_f16 v5, v55, v6;

	;;#ASMEND
	;; [unrolled: 4-line block ×4, first 2 shown]
	v_add_f32_e32 v16, v42, v43
	;;#ASMSTART
	v_pk_add_f16 v4, v4, v5;

	;;#ASMEND
	v_add_f32_e32 v8, v8, v16
	;;#ASMSTART
	v_pk_add_f16 v4, v4, v6;

	;;#ASMEND
	v_accvgpr_read_b32 v6, a10
	;;#ASMSTART
	v_pk_add_f16 v4, v4, v10;

	;;#ASMEND
	v_add_u32_e32 v6, 2, v6
	v_lshrrev_b32_e32 v5, 16, v4
	v_and_b32_e32 v4, 0xffff, v4
	;;#ASMSTART
	v_cvt_f32_f16 v4, v4;
	;;#ASMEND
	;;#ASMSTART
	v_cvt_f32_f16 v5, v5;
	;;#ASMEND
	v_add_f32_e32 v16, v44, v45
	v_add_f32_e32 v4, v4, v5
	;; [unrolled: 1-line block ×3, first 2 shown]
	v_accvgpr_read_b32 v4, a3
	v_cmp_ge_i32_e32 vcc, v6, v4
	v_add_f32_e32 v9, v9, v16
	v_lshl_add_u64 v[14:15], v[14:15], 0, 8
	v_add_u32_e32 v7, 32, v7
	v_accvgpr_write_b32 a10, v6
	s_or_b64 s[6:7], vcc, s[6:7]
	v_add_u32_e32 v36, 0x80, v36
	s_andn2_b64 exec, exec, s[6:7]
	s_cbranch_execz .LBB281_823
.LBB281_427:                            ; =>This Inner Loop Header: Depth=1
	ds_read2_b64 v[24:27], v36 offset1:1
	ds_read2_b64 v[28:31], v36 offset0:2 offset1:3
	v_accvgpr_read_b32 v10, a6
                                        ; implicit-def: $sgpr20
	s_waitcnt lgkmcnt(0)
	;;#ASMSTART
	v_cvt_f16_f32 v4, v24;

	;;#ASMEND
	;;#ASMSTART
	v_cvt_f16_f32 v5, v25;

	;;#ASMEND
	;; [unrolled: 4-line block ×8, first 2 shown]
	flat_load_dword v6, v[14:15]
	v_accvgpr_read_b32 v27, a5
	v_accvgpr_read_b32 v26, a4
	flat_load_dword v24, v[26:27]
	s_waitcnt vmcnt(0) lgkmcnt(0)
	v_mad_i64_i32 v[18:19], s[0:1], v6, v10, v[20:21]
	flat_load_dwordx2 v[28:29], v[18:19]
	s_mov_b64 s[0:1], 0
	s_waitcnt vmcnt(0) lgkmcnt(0)
	v_cmp_gt_i16_sdwa s[8:9], v28, s3 src0_sel:BYTE_0 src1_sel:DWORD
	s_and_saveexec_b64 s[12:13], s[8:9]
	s_xor_b64 s[8:9], exec, s[12:13]
	s_cbranch_execnz .LBB281_631
; %bb.428:                              ;   in Loop: Header=BB281_427 Depth=1
	s_or_saveexec_b64 s[8:9], s[8:9]
	v_mov_b32_e32 v30, s20
	s_xor_b64 exec, exec, s[8:9]
	s_cbranch_execnz .LBB281_634
.LBB281_429:                            ;   in Loop: Header=BB281_427 Depth=1
	s_or_b64 exec, exec, s[8:9]
	s_and_saveexec_b64 s[8:9], s[0:1]
	s_cbranch_execz .LBB281_431
.LBB281_430:                            ;   in Loop: Header=BB281_427 Depth=1
	v_and_b32_e32 v6, 7, v28
	v_ffbh_u32_e32 v6, v6
	v_bfe_u32 v10, v28, 3, 4
	v_min_u32_e32 v6, 32, v6
	v_subrev_u32_e32 v16, 28, v6
	v_sub_u32_e32 v6, 29, v6
	v_cmp_eq_u32_e32 vcc, 0, v10
	s_nop 1
	v_cndmask_b32_e32 v6, v10, v6, vcc
	v_cndmask_b32_e32 v10, 0, v16, vcc
	v_lshlrev_b64 v[26:27], v10, v[28:29]
	v_lshlrev_b32_e32 v16, 8, v28
	v_lshl_add_u32 v6, v6, 10, v38
	v_lshlrev_b32_e32 v10, 7, v26
	v_and_or_b32 v6, v16, s17, v6
	v_and_or_b32 v6, v10, s22, v6
	v_cvt_f32_f16_e32 v30, v6
.LBB281_431:                            ;   in Loop: Header=BB281_427 Depth=1
	s_or_b64 exec, exec, s[8:9]
	v_lshrrev_b16_e32 v10, 8, v28
	v_cmp_lt_i16_e32 vcc, s3, v10
	s_mov_b64 s[0:1], 0
                                        ; implicit-def: $sgpr20
	s_and_saveexec_b64 s[8:9], vcc
	s_xor_b64 s[8:9], exec, s[8:9]
	s_cbranch_execnz .LBB281_635
; %bb.432:                              ;   in Loop: Header=BB281_427 Depth=1
	s_or_saveexec_b64 s[8:9], s[8:9]
	v_mov_b32_e32 v32, s20
	s_xor_b64 exec, exec, s[8:9]
	s_cbranch_execnz .LBB281_638
.LBB281_433:                            ;   in Loop: Header=BB281_427 Depth=1
	s_or_b64 exec, exec, s[8:9]
	s_and_saveexec_b64 s[8:9], s[0:1]
	s_cbranch_execz .LBB281_435
.LBB281_434:                            ;   in Loop: Header=BB281_427 Depth=1
	v_and_b32_e32 v6, 7, v10
	v_ffbh_u32_e32 v22, v6
	v_bfe_u32 v16, v10, 3, 4
	v_min_u32_e32 v22, 32, v22
	v_subrev_u32_e32 v26, 28, v22
	v_sub_u32_e32 v22, 29, v22
	v_cmp_eq_u32_e32 vcc, 0, v16
	v_lshlrev_b64 v[26:27], v26, v[10:11]
	v_and_b32_e32 v26, 7, v26
	v_cndmask_b32_e32 v16, v16, v22, vcc
	v_lshlrev_b32_e32 v10, 8, v10
	v_lshl_add_u32 v16, v16, 10, v38
	v_cndmask_b32_e32 v6, v6, v26, vcc
	v_and_or_b32 v10, v10, s17, v16
	v_lshl_or_b32 v6, v6, 7, v10
	v_cvt_f32_f16_e32 v32, v6
.LBB281_435:                            ;   in Loop: Header=BB281_427 Depth=1
	s_or_b64 exec, exec, s[8:9]
	v_lshrrev_b32_e32 v10, 16, v28
	v_cmp_gt_i16_sdwa s[8:9], v10, s3 src0_sel:BYTE_0 src1_sel:DWORD
	s_mov_b64 s[0:1], 0
                                        ; implicit-def: $sgpr20
	s_and_saveexec_b64 s[12:13], s[8:9]
	s_xor_b64 s[8:9], exec, s[12:13]
	s_cbranch_execnz .LBB281_639
; %bb.436:                              ;   in Loop: Header=BB281_427 Depth=1
	s_or_saveexec_b64 s[8:9], s[8:9]
	v_mov_b32_e32 v31, s20
	s_xor_b64 exec, exec, s[8:9]
	s_cbranch_execnz .LBB281_642
.LBB281_437:                            ;   in Loop: Header=BB281_427 Depth=1
	s_or_b64 exec, exec, s[8:9]
	s_and_saveexec_b64 s[8:9], s[0:1]
	s_cbranch_execz .LBB281_439
.LBB281_438:                            ;   in Loop: Header=BB281_427 Depth=1
	v_bfe_u32 v6, v28, 16, 3
	v_ffbh_u32_e32 v22, v6
	v_bfe_u32 v16, v28, 19, 4
	v_min_u32_e32 v22, 32, v22
	v_subrev_u32_e32 v26, 28, v22
	v_sub_u32_e32 v22, 29, v22
	v_cmp_eq_u32_e32 vcc, 0, v16
	v_lshlrev_b64 v[26:27], v26, v[10:11]
	v_and_b32_e32 v26, 7, v26
	v_cndmask_b32_e32 v16, v16, v22, vcc
	v_lshlrev_b32_e32 v10, 8, v10
	v_lshl_add_u32 v16, v16, 10, v38
	v_cndmask_b32_e32 v6, v6, v26, vcc
	v_and_or_b32 v10, v10, s17, v16
	v_lshl_or_b32 v6, v6, 7, v10
	v_cvt_f32_f16_e32 v31, v6
.LBB281_439:                            ;   in Loop: Header=BB281_427 Depth=1
	s_or_b64 exec, exec, s[8:9]
	v_lshrrev_b32_e32 v10, 24, v28
	v_cmp_lt_i16_e32 vcc, s3, v10
	s_mov_b64 s[0:1], 0
                                        ; implicit-def: $sgpr20
	s_and_saveexec_b64 s[8:9], vcc
	s_xor_b64 s[8:9], exec, s[8:9]
	s_cbranch_execnz .LBB281_643
; %bb.440:                              ;   in Loop: Header=BB281_427 Depth=1
	s_or_saveexec_b64 s[8:9], s[8:9]
	v_mov_b32_e32 v33, s20
	s_xor_b64 exec, exec, s[8:9]
	s_cbranch_execnz .LBB281_646
.LBB281_441:                            ;   in Loop: Header=BB281_427 Depth=1
	s_or_b64 exec, exec, s[8:9]
	s_and_saveexec_b64 s[8:9], s[0:1]
	s_cbranch_execz .LBB281_443
.LBB281_442:                            ;   in Loop: Header=BB281_427 Depth=1
	v_bfe_u32 v6, v28, 24, 3
	v_ffbh_u32_e32 v22, v6
	v_bfe_u32 v16, v28, 27, 4
	v_min_u32_e32 v22, 32, v22
	v_subrev_u32_e32 v26, 28, v22
	v_sub_u32_e32 v22, 29, v22
	v_cmp_eq_u32_e32 vcc, 0, v16
	v_lshlrev_b64 v[26:27], v26, v[10:11]
	v_and_b32_e32 v26, 7, v26
	v_cndmask_b32_e32 v16, v16, v22, vcc
	v_lshlrev_b32_e32 v10, 8, v10
	v_lshl_add_u32 v16, v16, 10, v38
	v_cndmask_b32_e32 v6, v6, v26, vcc
	v_and_or_b32 v10, v10, s17, v16
	v_lshl_or_b32 v6, v6, 7, v10
	v_cvt_f32_f16_e32 v33, v6
.LBB281_443:                            ;   in Loop: Header=BB281_427 Depth=1
	s_or_b64 exec, exec, s[8:9]
	v_cmp_gt_i16_sdwa s[8:9], v29, s3 src0_sel:BYTE_0 src1_sel:DWORD
	s_mov_b64 s[0:1], 0
                                        ; implicit-def: $sgpr20
	s_and_saveexec_b64 s[12:13], s[8:9]
	s_xor_b64 s[8:9], exec, s[12:13]
	s_cbranch_execnz .LBB281_647
; %bb.444:                              ;   in Loop: Header=BB281_427 Depth=1
	s_or_saveexec_b64 s[8:9], s[8:9]
	v_mov_b32_e32 v22, s20
	s_xor_b64 exec, exec, s[8:9]
	s_cbranch_execnz .LBB281_650
.LBB281_445:                            ;   in Loop: Header=BB281_427 Depth=1
	s_or_b64 exec, exec, s[8:9]
	v_mov_b32_e32 v10, v29
	s_and_saveexec_b64 s[8:9], s[0:1]
	s_cbranch_execz .LBB281_447
.LBB281_446:                            ;   in Loop: Header=BB281_427 Depth=1
	v_and_b32_e32 v6, 7, v29
	v_ffbh_u32_e32 v6, v6
	v_bfe_u32 v16, v29, 3, 4
	v_min_u32_e32 v6, 32, v6
	v_subrev_u32_e32 v22, 28, v6
	v_sub_u32_e32 v6, 29, v6
	v_cmp_eq_u32_e32 vcc, 0, v16
	s_nop 1
	v_cndmask_b32_e32 v6, v16, v6, vcc
	v_cndmask_b32_e32 v16, 0, v22, vcc
	v_lshlrev_b64 v[26:27], v16, v[10:11]
	v_lshlrev_b32_e32 v22, 8, v29
	v_lshl_add_u32 v6, v6, 10, v38
	v_lshlrev_b32_e32 v16, 7, v26
	v_and_or_b32 v6, v22, s17, v6
	v_and_or_b32 v6, v16, s22, v6
	v_cvt_f32_f16_e32 v22, v6
.LBB281_447:                            ;   in Loop: Header=BB281_427 Depth=1
	s_or_b64 exec, exec, s[8:9]
	v_lshrrev_b16_e32 v10, 8, v10
	v_cmp_lt_i16_e32 vcc, s3, v10
	s_mov_b64 s[0:1], 0
                                        ; implicit-def: $sgpr20
	s_and_saveexec_b64 s[8:9], vcc
	s_xor_b64 s[8:9], exec, s[8:9]
	s_cbranch_execnz .LBB281_651
; %bb.448:                              ;   in Loop: Header=BB281_427 Depth=1
	s_or_saveexec_b64 s[8:9], s[8:9]
	v_mov_b32_e32 v26, s20
	s_xor_b64 exec, exec, s[8:9]
	s_cbranch_execnz .LBB281_654
.LBB281_449:                            ;   in Loop: Header=BB281_427 Depth=1
	s_or_b64 exec, exec, s[8:9]
	s_and_saveexec_b64 s[8:9], s[0:1]
	s_cbranch_execz .LBB281_451
.LBB281_450:                            ;   in Loop: Header=BB281_427 Depth=1
	v_and_b32_e32 v6, 7, v10
	v_ffbh_u32_e32 v26, v6
	v_min_u32_e32 v28, 32, v26
	v_subrev_u32_e32 v26, 28, v28
	v_bfe_u32 v16, v10, 3, 4
	v_lshlrev_b64 v[26:27], v26, v[10:11]
	v_sub_u32_e32 v27, 29, v28
	v_cmp_eq_u32_e32 vcc, 0, v16
	v_and_b32_e32 v26, 7, v26
	v_lshlrev_b32_e32 v10, 8, v10
	v_cndmask_b32_e32 v16, v16, v27, vcc
	v_lshl_add_u32 v16, v16, 10, v38
	v_cndmask_b32_e32 v6, v6, v26, vcc
	v_and_or_b32 v10, v10, s17, v16
	v_lshl_or_b32 v6, v6, 7, v10
	v_cvt_f32_f16_e32 v26, v6
.LBB281_451:                            ;   in Loop: Header=BB281_427 Depth=1
	s_or_b64 exec, exec, s[8:9]
	v_lshrrev_b32_e32 v10, 16, v29
	v_cmp_gt_i16_sdwa s[8:9], v10, s3 src0_sel:BYTE_0 src1_sel:DWORD
	s_mov_b64 s[0:1], 0
                                        ; implicit-def: $sgpr20
	s_and_saveexec_b64 s[12:13], s[8:9]
	s_xor_b64 s[8:9], exec, s[12:13]
	s_cbranch_execnz .LBB281_655
; %bb.452:                              ;   in Loop: Header=BB281_427 Depth=1
	s_or_saveexec_b64 s[8:9], s[8:9]
	v_mov_b32_e32 v27, s20
	s_xor_b64 exec, exec, s[8:9]
	s_cbranch_execnz .LBB281_658
.LBB281_453:                            ;   in Loop: Header=BB281_427 Depth=1
	s_or_b64 exec, exec, s[8:9]
	s_and_saveexec_b64 s[8:9], s[0:1]
	s_cbranch_execz .LBB281_455
.LBB281_454:                            ;   in Loop: Header=BB281_427 Depth=1
	v_bfe_u32 v6, v29, 16, 3
	v_ffbh_u32_e32 v27, v6
	v_bfe_u32 v16, v29, 19, 4
	v_min_u32_e32 v27, 32, v27
	v_subrev_u32_e32 v28, 28, v27
	v_sub_u32_e32 v27, 29, v27
	v_cmp_eq_u32_e32 vcc, 0, v16
	v_lshlrev_b64 v[48:49], v28, v[10:11]
	v_and_b32_e32 v28, 7, v48
	v_cndmask_b32_e32 v16, v16, v27, vcc
	v_lshlrev_b32_e32 v10, 8, v10
	v_lshl_add_u32 v16, v16, 10, v38
	v_cndmask_b32_e32 v6, v6, v28, vcc
	v_and_or_b32 v10, v10, s17, v16
	v_lshl_or_b32 v6, v6, 7, v10
	v_cvt_f32_f16_e32 v27, v6
.LBB281_455:                            ;   in Loop: Header=BB281_427 Depth=1
	s_or_b64 exec, exec, s[8:9]
	v_lshrrev_b32_e32 v10, 24, v29
	v_cmp_lt_i16_e32 vcc, s3, v10
	s_mov_b64 s[0:1], 0
                                        ; implicit-def: $sgpr20
	s_and_saveexec_b64 s[8:9], vcc
	s_xor_b64 s[8:9], exec, s[8:9]
	s_cbranch_execnz .LBB281_659
; %bb.456:                              ;   in Loop: Header=BB281_427 Depth=1
	s_or_saveexec_b64 s[8:9], s[8:9]
	v_mov_b32_e32 v28, s20
	s_xor_b64 exec, exec, s[8:9]
	s_cbranch_execnz .LBB281_662
.LBB281_457:                            ;   in Loop: Header=BB281_427 Depth=1
	s_or_b64 exec, exec, s[8:9]
	s_and_saveexec_b64 s[8:9], s[0:1]
	s_cbranch_execz .LBB281_459
.LBB281_458:                            ;   in Loop: Header=BB281_427 Depth=1
	v_bfe_u32 v6, v29, 24, 3
	v_ffbh_u32_e32 v28, v6
	v_min_u32_e32 v39, 32, v28
	v_subrev_u32_e32 v28, 28, v39
	v_bfe_u32 v16, v29, 27, 4
	v_lshlrev_b64 v[28:29], v28, v[10:11]
	v_sub_u32_e32 v29, 29, v39
	v_cmp_eq_u32_e32 vcc, 0, v16
	v_and_b32_e32 v28, 7, v28
	v_lshlrev_b32_e32 v10, 8, v10
	v_cndmask_b32_e32 v16, v16, v29, vcc
	v_lshl_add_u32 v16, v16, 10, v38
	v_cndmask_b32_e32 v6, v6, v28, vcc
	v_and_or_b32 v10, v10, s17, v16
	v_lshl_or_b32 v6, v6, 7, v10
	v_cvt_f32_f16_e32 v28, v6
.LBB281_459:                            ;   in Loop: Header=BB281_427 Depth=1
	s_or_b64 exec, exec, s[8:9]
	v_pk_mul_f32 v[32:33], v[24:25], v[32:33] op_sel_hi:[0,1]
	v_pk_mul_f32 v[30:31], v[24:25], v[30:31] op_sel_hi:[0,1]
	v_cvt_f16_f32_e32 v6, v33
	v_cvt_f16_f32_e32 v10, v32
	;; [unrolled: 1-line block ×4, first 2 shown]
	v_fma_mixlo_f16 v22, v24, v22, 0
	v_pack_b32_f16 v10, v10, v6
	v_accvgpr_read_b32 v30, a10
	v_pack_b32_f16 v16, v29, v16
	v_perm_b32 v6, v16, v10, s23
	v_perm_b32 v10, v16, v10, s24
	v_fma_mixlo_f16 v16, v24, v26, 0
	v_lshlrev_b32_e32 v16, 16, v16
	v_or_b32_sdwa v22, v16, v22 dst_sel:DWORD dst_unused:UNUSED_PAD src0_sel:DWORD src1_sel:WORD_0
	v_fma_mixlo_f16 v16, v24, v28, 0
	v_fma_mixlo_f16 v26, v24, v27, 0
	v_lshlrev_b32_e32 v16, 16, v16
	v_cmp_eq_u32_e32 vcc, v37, v30
	v_or_b32_sdwa v24, v16, v26 dst_sel:DWORD dst_unused:UNUSED_PAD src0_sel:DWORD src1_sel:WORD_0
	v_add_u32_e32 v53, 1, v7
	v_or_b32_e32 v52, 3, v7
	v_or_b32_e32 v51, 2, v7
	;; [unrolled: 1-line block ×6, first 2 shown]
	s_and_saveexec_b64 s[8:9], vcc
	s_cbranch_execz .LBB281_461
; %bb.460:                              ;   in Loop: Header=BB281_427 Depth=1
	v_lshrrev_b32_e32 v16, 16, v10
	v_cmp_lt_i32_e64 s[0:1], v53, v13
	v_accvgpr_read_b32 v28, a8
	s_nop 0
	v_cndmask_b32_e64 v16, 0, v16, s[0:1]
	v_cmp_lt_i32_e64 s[0:1], v7, v28
	s_nop 1
	v_cndmask_b32_e64 v10, 0, v10, s[0:1]
	v_perm_b32 v10, v16, v10, s25
	v_lshrrev_b32_e32 v16, 16, v6
	v_cmp_lt_i32_e64 s[0:1], v52, v13
	s_nop 1
	v_cndmask_b32_e64 v16, 0, v16, s[0:1]
	v_cmp_lt_i32_e64 s[0:1], v51, v28
	s_nop 1
	v_cndmask_b32_e64 v6, 0, v6, s[0:1]
	v_perm_b32 v6, v16, v6, s25
	v_lshrrev_b32_e32 v16, 16, v22
	v_cmp_lt_i32_e64 s[0:1], v50, v13
	;; [unrolled: 8-line block ×3, first 2 shown]
	s_nop 1
	v_cndmask_b32_e64 v16, 0, v16, s[0:1]
	v_cmp_lt_i32_e64 s[0:1], v39, v28
	s_nop 1
	v_cndmask_b32_e64 v24, 0, v26, s[0:1]
	v_perm_b32 v24, v16, v24, s25
.LBB281_461:                            ;   in Loop: Header=BB281_427 Depth=1
	s_or_b64 exec, exec, s[8:9]
	v_and_b32_e32 v4, 0xffff, v4
	v_lshl_or_b32 v54, v5, 16, v4
	v_and_b32_e32 v4, 0xffff, v12
	v_lshl_or_b32 v55, v17, 16, v4
	;; [unrolled: 2-line block ×4, first 2 shown]
	;;#ASMSTART
	v_pk_mul_f16 v4, v54, v10;

	;;#ASMEND
	;;#ASMSTART
	v_pk_mul_f16 v5, v55, v6;

	;;#ASMEND
	;; [unrolled: 4-line block ×4, first 2 shown]
	s_mov_b64 s[0:1], 0
	;;#ASMSTART
	v_pk_add_f16 v4, v4, v5;

	;;#ASMEND
                                        ; implicit-def: $sgpr20
	s_nop 0
	;;#ASMSTART
	v_pk_add_f16 v4, v4, v6;

	;;#ASMEND
	s_nop 0
	;;#ASMSTART
	v_pk_add_f16 v4, v4, v10;

	;;#ASMEND
	s_nop 0
	v_lshrrev_b32_e32 v5, 16, v4
	v_and_b32_e32 v4, 0xffff, v4
	;;#ASMSTART
	v_cvt_f32_f16 v42, v4;
	;;#ASMEND
	;;#ASMSTART
	v_cvt_f32_f16 v43, v5;
	;;#ASMEND
	v_accvgpr_read_b32 v4, a4
	flat_load_dwordx2 v[28:29], v[18:19] offset:512
	v_accvgpr_read_b32 v5, a5
	flat_load_dword v24, v[4:5]
	s_waitcnt vmcnt(0) lgkmcnt(0)
	v_cmp_gt_i16_sdwa s[8:9], v28, s3 src0_sel:BYTE_0 src1_sel:DWORD
	s_and_saveexec_b64 s[12:13], s[8:9]
	s_xor_b64 s[8:9], exec, s[12:13]
	s_cbranch_execnz .LBB281_663
; %bb.462:                              ;   in Loop: Header=BB281_427 Depth=1
	s_or_saveexec_b64 s[8:9], s[8:9]
	v_mov_b32_e32 v30, s20
	s_xor_b64 exec, exec, s[8:9]
	s_cbranch_execnz .LBB281_666
.LBB281_463:                            ;   in Loop: Header=BB281_427 Depth=1
	s_or_b64 exec, exec, s[8:9]
	s_and_saveexec_b64 s[8:9], s[0:1]
	s_cbranch_execz .LBB281_465
.LBB281_464:                            ;   in Loop: Header=BB281_427 Depth=1
	v_and_b32_e32 v4, 7, v28
	v_ffbh_u32_e32 v4, v4
	v_bfe_u32 v5, v28, 3, 4
	v_min_u32_e32 v4, 32, v4
	v_subrev_u32_e32 v6, 28, v4
	v_sub_u32_e32 v4, 29, v4
	v_cmp_eq_u32_e64 s[0:1], 0, v5
	s_nop 1
	v_cndmask_b32_e64 v10, v5, v4, s[0:1]
	v_cndmask_b32_e64 v4, 0, v6, s[0:1]
	v_lshlrev_b64 v[4:5], v4, v[28:29]
	v_lshlrev_b32_e32 v5, 8, v28
	v_lshl_add_u32 v6, v10, 10, v38
	v_lshlrev_b32_e32 v4, 7, v4
	v_and_or_b32 v5, v5, s17, v6
	v_and_or_b32 v4, v4, s22, v5
	v_cvt_f32_f16_e32 v30, v4
.LBB281_465:                            ;   in Loop: Header=BB281_427 Depth=1
	s_or_b64 exec, exec, s[8:9]
	v_lshrrev_b16_e32 v10, 8, v28
	v_cmp_lt_i16_e64 s[0:1], s3, v10
	s_mov_b64 s[8:9], 0
                                        ; implicit-def: $sgpr26
	s_and_saveexec_b64 s[12:13], s[0:1]
	s_xor_b64 s[12:13], exec, s[12:13]
	s_cbranch_execnz .LBB281_667
; %bb.466:                              ;   in Loop: Header=BB281_427 Depth=1
	s_or_saveexec_b64 s[12:13], s[12:13]
	v_mov_b32_e32 v32, s26
	s_xor_b64 exec, exec, s[12:13]
	s_cbranch_execnz .LBB281_670
.LBB281_467:                            ;   in Loop: Header=BB281_427 Depth=1
	s_or_b64 exec, exec, s[12:13]
	s_and_saveexec_b64 s[12:13], s[8:9]
	s_cbranch_execz .LBB281_469
.LBB281_468:                            ;   in Loop: Header=BB281_427 Depth=1
	v_and_b32_e32 v6, 7, v10
	v_ffbh_u32_e32 v4, v6
	v_min_u32_e32 v16, 32, v4
	v_subrev_u32_e32 v4, 28, v16
	v_bfe_u32 v12, v10, 3, 4
	v_lshlrev_b64 v[4:5], v4, v[10:11]
	v_sub_u32_e32 v5, 29, v16
	v_cmp_eq_u32_e64 s[0:1], 0, v12
	v_and_b32_e32 v4, 7, v4
	s_nop 0
	v_cndmask_b32_e64 v5, v12, v5, s[0:1]
	v_cndmask_b32_e64 v4, v6, v4, s[0:1]
	v_lshlrev_b32_e32 v6, 8, v10
	v_lshl_add_u32 v5, v5, 10, v38
	v_and_or_b32 v5, v6, s17, v5
	v_lshl_or_b32 v4, v4, 7, v5
	v_cvt_f32_f16_e32 v32, v4
.LBB281_469:                            ;   in Loop: Header=BB281_427 Depth=1
	s_or_b64 exec, exec, s[12:13]
	v_lshrrev_b32_e32 v10, 16, v28
	v_cmp_gt_i16_sdwa s[8:9], v10, s3 src0_sel:BYTE_0 src1_sel:DWORD
	s_mov_b64 s[0:1], 0
                                        ; implicit-def: $sgpr20
	s_and_saveexec_b64 s[12:13], s[8:9]
	s_xor_b64 s[8:9], exec, s[12:13]
	s_cbranch_execnz .LBB281_671
; %bb.470:                              ;   in Loop: Header=BB281_427 Depth=1
	s_or_saveexec_b64 s[8:9], s[8:9]
	v_mov_b32_e32 v31, s20
	s_xor_b64 exec, exec, s[8:9]
	s_cbranch_execnz .LBB281_674
.LBB281_471:                            ;   in Loop: Header=BB281_427 Depth=1
	s_or_b64 exec, exec, s[8:9]
	s_and_saveexec_b64 s[8:9], s[0:1]
	s_cbranch_execz .LBB281_473
.LBB281_472:                            ;   in Loop: Header=BB281_427 Depth=1
	v_bfe_u32 v6, v28, 16, 3
	v_ffbh_u32_e32 v4, v6
	v_min_u32_e32 v16, 32, v4
	v_subrev_u32_e32 v4, 28, v16
	v_bfe_u32 v12, v28, 19, 4
	v_lshlrev_b64 v[4:5], v4, v[10:11]
	v_sub_u32_e32 v5, 29, v16
	v_cmp_eq_u32_e64 s[0:1], 0, v12
	v_and_b32_e32 v4, 7, v4
	s_nop 0
	v_cndmask_b32_e64 v5, v12, v5, s[0:1]
	v_cndmask_b32_e64 v4, v6, v4, s[0:1]
	v_lshlrev_b32_e32 v6, 8, v10
	v_lshl_add_u32 v5, v5, 10, v38
	v_and_or_b32 v5, v6, s17, v5
	v_lshl_or_b32 v4, v4, 7, v5
	v_cvt_f32_f16_e32 v31, v4
.LBB281_473:                            ;   in Loop: Header=BB281_427 Depth=1
	s_or_b64 exec, exec, s[8:9]
	v_lshrrev_b32_e32 v10, 24, v28
	v_cmp_lt_i16_e64 s[0:1], s3, v10
	s_mov_b64 s[8:9], 0
                                        ; implicit-def: $sgpr26
	s_and_saveexec_b64 s[12:13], s[0:1]
	s_xor_b64 s[12:13], exec, s[12:13]
	s_cbranch_execnz .LBB281_675
; %bb.474:                              ;   in Loop: Header=BB281_427 Depth=1
	s_or_saveexec_b64 s[12:13], s[12:13]
	v_mov_b32_e32 v33, s26
	s_xor_b64 exec, exec, s[12:13]
	s_cbranch_execnz .LBB281_678
.LBB281_475:                            ;   in Loop: Header=BB281_427 Depth=1
	s_or_b64 exec, exec, s[12:13]
	s_and_saveexec_b64 s[12:13], s[8:9]
	s_cbranch_execz .LBB281_477
.LBB281_476:                            ;   in Loop: Header=BB281_427 Depth=1
	v_bfe_u32 v6, v28, 24, 3
	v_ffbh_u32_e32 v4, v6
	v_min_u32_e32 v16, 32, v4
	v_subrev_u32_e32 v4, 28, v16
	v_bfe_u32 v12, v28, 27, 4
	v_lshlrev_b64 v[4:5], v4, v[10:11]
	v_sub_u32_e32 v5, 29, v16
	v_cmp_eq_u32_e64 s[0:1], 0, v12
	v_and_b32_e32 v4, 7, v4
	s_nop 0
	v_cndmask_b32_e64 v5, v12, v5, s[0:1]
	v_cndmask_b32_e64 v4, v6, v4, s[0:1]
	v_lshlrev_b32_e32 v6, 8, v10
	v_lshl_add_u32 v5, v5, 10, v38
	v_and_or_b32 v5, v6, s17, v5
	v_lshl_or_b32 v4, v4, 7, v5
	v_cvt_f32_f16_e32 v33, v4
.LBB281_477:                            ;   in Loop: Header=BB281_427 Depth=1
	s_or_b64 exec, exec, s[12:13]
	v_cmp_gt_i16_sdwa s[8:9], v29, s3 src0_sel:BYTE_0 src1_sel:DWORD
	s_mov_b64 s[0:1], 0
                                        ; implicit-def: $sgpr20
	s_and_saveexec_b64 s[12:13], s[8:9]
	s_xor_b64 s[8:9], exec, s[12:13]
	s_cbranch_execnz .LBB281_679
; %bb.478:                              ;   in Loop: Header=BB281_427 Depth=1
	s_or_saveexec_b64 s[8:9], s[8:9]
	v_mov_b32_e32 v4, s20
	s_xor_b64 exec, exec, s[8:9]
	s_cbranch_execnz .LBB281_682
.LBB281_479:                            ;   in Loop: Header=BB281_427 Depth=1
	s_or_b64 exec, exec, s[8:9]
	v_mov_b32_e32 v10, v29
	s_and_saveexec_b64 s[8:9], s[0:1]
	s_cbranch_execz .LBB281_481
.LBB281_480:                            ;   in Loop: Header=BB281_427 Depth=1
	v_and_b32_e32 v4, 7, v29
	v_ffbh_u32_e32 v4, v4
	v_bfe_u32 v5, v29, 3, 4
	v_min_u32_e32 v4, 32, v4
	v_subrev_u32_e32 v6, 28, v4
	v_sub_u32_e32 v4, 29, v4
	v_cmp_eq_u32_e64 s[0:1], 0, v5
	s_nop 1
	v_cndmask_b32_e64 v12, v5, v4, s[0:1]
	v_cndmask_b32_e64 v4, 0, v6, s[0:1]
	v_lshlrev_b64 v[4:5], v4, v[10:11]
	v_lshlrev_b32_e32 v5, 8, v29
	v_lshl_add_u32 v6, v12, 10, v38
	v_lshlrev_b32_e32 v4, 7, v4
	v_and_or_b32 v5, v5, s17, v6
	v_and_or_b32 v4, v4, s22, v5
	v_cvt_f32_f16_e32 v4, v4
.LBB281_481:                            ;   in Loop: Header=BB281_427 Depth=1
	s_or_b64 exec, exec, s[8:9]
	v_lshrrev_b16_e32 v10, 8, v10
	v_cmp_lt_i16_e64 s[0:1], s3, v10
	s_mov_b64 s[8:9], 0
                                        ; implicit-def: $sgpr26
	s_and_saveexec_b64 s[12:13], s[0:1]
	s_xor_b64 s[12:13], exec, s[12:13]
	s_cbranch_execnz .LBB281_683
; %bb.482:                              ;   in Loop: Header=BB281_427 Depth=1
	s_or_saveexec_b64 s[12:13], s[12:13]
	v_mov_b32_e32 v5, s26
	s_xor_b64 exec, exec, s[12:13]
	s_cbranch_execnz .LBB281_686
.LBB281_483:                            ;   in Loop: Header=BB281_427 Depth=1
	s_or_b64 exec, exec, s[12:13]
	s_and_saveexec_b64 s[12:13], s[8:9]
	s_cbranch_execz .LBB281_485
.LBB281_484:                            ;   in Loop: Header=BB281_427 Depth=1
	v_and_b32_e32 v5, 7, v10
	v_ffbh_u32_e32 v12, v5
	v_bfe_u32 v6, v10, 3, 4
	v_min_u32_e32 v12, 32, v12
	v_subrev_u32_e32 v16, 28, v12
	v_sub_u32_e32 v12, 29, v12
	v_cmp_eq_u32_e64 s[0:1], 0, v6
	v_lshlrev_b64 v[26:27], v16, v[10:11]
	v_and_b32_e32 v16, 7, v26
	v_cndmask_b32_e64 v6, v6, v12, s[0:1]
	v_lshlrev_b32_e32 v10, 8, v10
	v_lshl_add_u32 v6, v6, 10, v38
	v_cndmask_b32_e64 v5, v5, v16, s[0:1]
	v_and_or_b32 v6, v10, s17, v6
	v_lshl_or_b32 v5, v5, 7, v6
	v_cvt_f32_f16_e32 v5, v5
.LBB281_485:                            ;   in Loop: Header=BB281_427 Depth=1
	s_or_b64 exec, exec, s[12:13]
	v_lshrrev_b32_e32 v10, 16, v29
	v_cmp_gt_i16_sdwa s[8:9], v10, s3 src0_sel:BYTE_0 src1_sel:DWORD
	s_mov_b64 s[0:1], 0
                                        ; implicit-def: $sgpr20
	s_and_saveexec_b64 s[12:13], s[8:9]
	s_xor_b64 s[8:9], exec, s[12:13]
	s_cbranch_execnz .LBB281_687
; %bb.486:                              ;   in Loop: Header=BB281_427 Depth=1
	s_or_saveexec_b64 s[8:9], s[8:9]
	v_mov_b32_e32 v12, s20
	s_xor_b64 exec, exec, s[8:9]
	s_cbranch_execnz .LBB281_690
.LBB281_487:                            ;   in Loop: Header=BB281_427 Depth=1
	s_or_b64 exec, exec, s[8:9]
	s_and_saveexec_b64 s[8:9], s[0:1]
	s_cbranch_execz .LBB281_489
.LBB281_488:                            ;   in Loop: Header=BB281_427 Depth=1
	v_bfe_u32 v6, v29, 16, 3
	v_ffbh_u32_e32 v16, v6
	v_bfe_u32 v12, v29, 19, 4
	v_min_u32_e32 v16, 32, v16
	v_subrev_u32_e32 v17, 28, v16
	v_sub_u32_e32 v16, 29, v16
	v_cmp_eq_u32_e64 s[0:1], 0, v12
	v_lshlrev_b64 v[26:27], v17, v[10:11]
	v_and_b32_e32 v17, 7, v26
	v_cndmask_b32_e64 v12, v12, v16, s[0:1]
	v_lshlrev_b32_e32 v10, 8, v10
	v_lshl_add_u32 v12, v12, 10, v38
	v_cndmask_b32_e64 v6, v6, v17, s[0:1]
	v_and_or_b32 v10, v10, s17, v12
	v_lshl_or_b32 v6, v6, 7, v10
	v_cvt_f32_f16_e32 v12, v6
.LBB281_489:                            ;   in Loop: Header=BB281_427 Depth=1
	s_or_b64 exec, exec, s[8:9]
	v_lshrrev_b32_e32 v10, 24, v29
	v_cmp_lt_i16_e64 s[0:1], s3, v10
	s_mov_b64 s[8:9], 0
                                        ; implicit-def: $sgpr26
	s_and_saveexec_b64 s[12:13], s[0:1]
	s_xor_b64 s[12:13], exec, s[12:13]
	s_cbranch_execnz .LBB281_691
; %bb.490:                              ;   in Loop: Header=BB281_427 Depth=1
	s_or_saveexec_b64 s[12:13], s[12:13]
	v_mov_b32_e32 v17, s26
	s_xor_b64 exec, exec, s[12:13]
	s_cbranch_execnz .LBB281_694
.LBB281_491:                            ;   in Loop: Header=BB281_427 Depth=1
	s_or_b64 exec, exec, s[12:13]
	s_and_saveexec_b64 s[12:13], s[8:9]
	s_cbranch_execz .LBB281_493
.LBB281_492:                            ;   in Loop: Header=BB281_427 Depth=1
	v_bfe_u32 v6, v29, 24, 3
	v_ffbh_u32_e32 v17, v6
	v_bfe_u32 v16, v29, 27, 4
	v_min_u32_e32 v17, 32, v17
	v_subrev_u32_e32 v22, 28, v17
	v_sub_u32_e32 v17, 29, v17
	v_cmp_eq_u32_e64 s[0:1], 0, v16
	v_lshlrev_b64 v[26:27], v22, v[10:11]
	v_and_b32_e32 v22, 7, v26
	v_cndmask_b32_e64 v16, v16, v17, s[0:1]
	v_lshlrev_b32_e32 v10, 8, v10
	v_lshl_add_u32 v16, v16, 10, v38
	v_cndmask_b32_e64 v6, v6, v22, s[0:1]
	v_and_or_b32 v10, v10, s17, v16
	v_lshl_or_b32 v6, v6, 7, v10
	v_cvt_f32_f16_e32 v17, v6
.LBB281_493:                            ;   in Loop: Header=BB281_427 Depth=1
	s_or_b64 exec, exec, s[12:13]
	v_pk_mul_f32 v[26:27], v[24:25], v[32:33] op_sel_hi:[0,1]
	v_pk_mul_f32 v[28:29], v[24:25], v[30:31] op_sel_hi:[0,1]
	v_cvt_f16_f32_e32 v6, v27
	v_cvt_f16_f32_e32 v10, v26
	;; [unrolled: 1-line block ×4, first 2 shown]
	v_fma_mixlo_f16 v5, v24, v5, 0
	v_lshlrev_b32_e32 v5, 16, v5
	v_fma_mixlo_f16 v4, v24, v4, 0
	v_or_b32_sdwa v4, v5, v4 dst_sel:DWORD dst_unused:UNUSED_PAD src0_sel:DWORD src1_sel:WORD_0
	v_fma_mixlo_f16 v5, v24, v17, 0
	v_pack_b32_f16 v10, v10, v6
	v_pack_b32_f16 v16, v22, v16
	v_fma_mixlo_f16 v12, v24, v12, 0
	v_lshlrev_b32_e32 v5, 16, v5
	v_perm_b32 v6, v16, v10, s23
	v_perm_b32 v10, v16, v10, s24
	v_or_b32_sdwa v5, v5, v12 dst_sel:DWORD dst_unused:UNUSED_PAD src0_sel:DWORD src1_sel:WORD_0
	s_and_saveexec_b64 s[8:9], vcc
	s_cbranch_execz .LBB281_495
; %bb.494:                              ;   in Loop: Header=BB281_427 Depth=1
	v_lshrrev_b32_e32 v16, 16, v10
	v_cmp_lt_i32_e64 s[0:1], v53, v13
	v_accvgpr_read_b32 v22, a8
	v_lshrrev_b32_e32 v5, 16, v5
	v_cndmask_b32_e64 v16, 0, v16, s[0:1]
	v_cmp_lt_i32_e64 s[0:1], v7, v22
	s_nop 1
	v_cndmask_b32_e64 v10, 0, v10, s[0:1]
	v_perm_b32 v10, v16, v10, s25
	v_lshrrev_b32_e32 v16, 16, v6
	v_cmp_lt_i32_e64 s[0:1], v52, v13
	s_nop 1
	v_cndmask_b32_e64 v16, 0, v16, s[0:1]
	v_cmp_lt_i32_e64 s[0:1], v51, v22
	s_nop 1
	v_cndmask_b32_e64 v6, 0, v6, s[0:1]
	v_perm_b32 v6, v16, v6, s25
	v_lshrrev_b32_e32 v16, 16, v4
	v_cmp_lt_i32_e64 s[0:1], v50, v13
	s_nop 1
	v_cndmask_b32_e64 v16, 0, v16, s[0:1]
	v_cmp_lt_i32_e64 s[0:1], v49, v22
	s_nop 1
	v_cndmask_b32_e64 v4, 0, v4, s[0:1]
	v_cmp_lt_i32_e64 s[0:1], v48, v13
	v_perm_b32 v4, v16, v4, s25
	s_nop 0
	v_cndmask_b32_e64 v5, 0, v5, s[0:1]
	v_cmp_lt_i32_e64 s[0:1], v39, v22
	s_nop 1
	v_cndmask_b32_e64 v12, 0, v12, s[0:1]
	v_perm_b32 v5, v5, v12, s25
.LBB281_495:                            ;   in Loop: Header=BB281_427 Depth=1
	s_or_b64 exec, exec, s[8:9]
	;;#ASMSTART
	v_pk_mul_f16 v10, v54, v10;

	;;#ASMEND
	;;#ASMSTART
	v_pk_mul_f16 v6, v55, v6;

	;;#ASMEND
	;; [unrolled: 4-line block ×4, first 2 shown]
	s_mov_b64 s[0:1], 0
	;;#ASMSTART
	v_pk_add_f16 v6, v10, v6;

	;;#ASMEND
                                        ; implicit-def: $sgpr20
	s_nop 0
	;;#ASMSTART
	v_pk_add_f16 v4, v6, v4;

	;;#ASMEND
	s_nop 0
	;;#ASMSTART
	v_pk_add_f16 v4, v4, v5;

	;;#ASMEND
	s_nop 0
	v_lshrrev_b32_e32 v5, 16, v4
	v_and_b32_e32 v4, 0xffff, v4
	;;#ASMSTART
	v_cvt_f32_f16 v44, v4;
	;;#ASMEND
	;;#ASMSTART
	v_cvt_f32_f16 v45, v5;
	;;#ASMEND
	v_accvgpr_read_b32 v4, a4
	flat_load_dwordx2 v[28:29], v[18:19] offset:1024
	v_accvgpr_read_b32 v5, a5
	flat_load_dword v24, v[4:5]
	s_waitcnt vmcnt(0) lgkmcnt(0)
	v_cmp_gt_i16_sdwa s[8:9], v28, s3 src0_sel:BYTE_0 src1_sel:DWORD
	s_and_saveexec_b64 s[12:13], s[8:9]
	s_xor_b64 s[8:9], exec, s[12:13]
	s_cbranch_execnz .LBB281_695
; %bb.496:                              ;   in Loop: Header=BB281_427 Depth=1
	s_or_saveexec_b64 s[8:9], s[8:9]
	v_mov_b32_e32 v30, s20
	s_xor_b64 exec, exec, s[8:9]
	s_cbranch_execnz .LBB281_698
.LBB281_497:                            ;   in Loop: Header=BB281_427 Depth=1
	s_or_b64 exec, exec, s[8:9]
	s_and_saveexec_b64 s[8:9], s[0:1]
	s_cbranch_execz .LBB281_499
.LBB281_498:                            ;   in Loop: Header=BB281_427 Depth=1
	v_and_b32_e32 v4, 7, v28
	v_ffbh_u32_e32 v4, v4
	v_bfe_u32 v5, v28, 3, 4
	v_min_u32_e32 v4, 32, v4
	v_subrev_u32_e32 v6, 28, v4
	v_sub_u32_e32 v4, 29, v4
	v_cmp_eq_u32_e64 s[0:1], 0, v5
	s_nop 1
	v_cndmask_b32_e64 v10, v5, v4, s[0:1]
	v_cndmask_b32_e64 v4, 0, v6, s[0:1]
	v_lshlrev_b64 v[4:5], v4, v[28:29]
	v_lshlrev_b32_e32 v5, 8, v28
	v_lshl_add_u32 v6, v10, 10, v38
	v_lshlrev_b32_e32 v4, 7, v4
	v_and_or_b32 v5, v5, s17, v6
	v_and_or_b32 v4, v4, s22, v5
	v_cvt_f32_f16_e32 v30, v4
.LBB281_499:                            ;   in Loop: Header=BB281_427 Depth=1
	s_or_b64 exec, exec, s[8:9]
	v_lshrrev_b16_e32 v10, 8, v28
	v_cmp_lt_i16_e64 s[0:1], s3, v10
	s_mov_b64 s[8:9], 0
                                        ; implicit-def: $sgpr26
	s_and_saveexec_b64 s[12:13], s[0:1]
	s_xor_b64 s[12:13], exec, s[12:13]
	s_cbranch_execnz .LBB281_699
; %bb.500:                              ;   in Loop: Header=BB281_427 Depth=1
	s_or_saveexec_b64 s[12:13], s[12:13]
	v_mov_b32_e32 v32, s26
	s_xor_b64 exec, exec, s[12:13]
	s_cbranch_execnz .LBB281_702
.LBB281_501:                            ;   in Loop: Header=BB281_427 Depth=1
	s_or_b64 exec, exec, s[12:13]
	s_and_saveexec_b64 s[12:13], s[8:9]
	s_cbranch_execz .LBB281_503
.LBB281_502:                            ;   in Loop: Header=BB281_427 Depth=1
	v_and_b32_e32 v6, 7, v10
	v_ffbh_u32_e32 v4, v6
	v_min_u32_e32 v16, 32, v4
	v_subrev_u32_e32 v4, 28, v16
	v_bfe_u32 v12, v10, 3, 4
	v_lshlrev_b64 v[4:5], v4, v[10:11]
	v_sub_u32_e32 v5, 29, v16
	v_cmp_eq_u32_e64 s[0:1], 0, v12
	v_and_b32_e32 v4, 7, v4
	s_nop 0
	v_cndmask_b32_e64 v5, v12, v5, s[0:1]
	v_cndmask_b32_e64 v4, v6, v4, s[0:1]
	v_lshlrev_b32_e32 v6, 8, v10
	v_lshl_add_u32 v5, v5, 10, v38
	v_and_or_b32 v5, v6, s17, v5
	v_lshl_or_b32 v4, v4, 7, v5
	v_cvt_f32_f16_e32 v32, v4
.LBB281_503:                            ;   in Loop: Header=BB281_427 Depth=1
	s_or_b64 exec, exec, s[12:13]
	v_lshrrev_b32_e32 v10, 16, v28
	v_cmp_gt_i16_sdwa s[8:9], v10, s3 src0_sel:BYTE_0 src1_sel:DWORD
	s_mov_b64 s[0:1], 0
                                        ; implicit-def: $sgpr20
	s_and_saveexec_b64 s[12:13], s[8:9]
	s_xor_b64 s[8:9], exec, s[12:13]
	s_cbranch_execnz .LBB281_703
; %bb.504:                              ;   in Loop: Header=BB281_427 Depth=1
	s_or_saveexec_b64 s[8:9], s[8:9]
	v_mov_b32_e32 v31, s20
	s_xor_b64 exec, exec, s[8:9]
	s_cbranch_execnz .LBB281_706
.LBB281_505:                            ;   in Loop: Header=BB281_427 Depth=1
	s_or_b64 exec, exec, s[8:9]
	s_and_saveexec_b64 s[8:9], s[0:1]
	s_cbranch_execz .LBB281_507
.LBB281_506:                            ;   in Loop: Header=BB281_427 Depth=1
	v_bfe_u32 v6, v28, 16, 3
	v_ffbh_u32_e32 v4, v6
	v_min_u32_e32 v16, 32, v4
	v_subrev_u32_e32 v4, 28, v16
	v_bfe_u32 v12, v28, 19, 4
	v_lshlrev_b64 v[4:5], v4, v[10:11]
	v_sub_u32_e32 v5, 29, v16
	v_cmp_eq_u32_e64 s[0:1], 0, v12
	v_and_b32_e32 v4, 7, v4
	s_nop 0
	v_cndmask_b32_e64 v5, v12, v5, s[0:1]
	v_cndmask_b32_e64 v4, v6, v4, s[0:1]
	v_lshlrev_b32_e32 v6, 8, v10
	v_lshl_add_u32 v5, v5, 10, v38
	v_and_or_b32 v5, v6, s17, v5
	v_lshl_or_b32 v4, v4, 7, v5
	v_cvt_f32_f16_e32 v31, v4
.LBB281_507:                            ;   in Loop: Header=BB281_427 Depth=1
	s_or_b64 exec, exec, s[8:9]
	v_lshrrev_b32_e32 v10, 24, v28
	v_cmp_lt_i16_e64 s[0:1], s3, v10
	s_mov_b64 s[8:9], 0
                                        ; implicit-def: $sgpr26
	s_and_saveexec_b64 s[12:13], s[0:1]
	s_xor_b64 s[12:13], exec, s[12:13]
	s_cbranch_execnz .LBB281_707
; %bb.508:                              ;   in Loop: Header=BB281_427 Depth=1
	s_or_saveexec_b64 s[12:13], s[12:13]
	v_mov_b32_e32 v33, s26
	s_xor_b64 exec, exec, s[12:13]
	s_cbranch_execnz .LBB281_710
.LBB281_509:                            ;   in Loop: Header=BB281_427 Depth=1
	s_or_b64 exec, exec, s[12:13]
	s_and_saveexec_b64 s[12:13], s[8:9]
	s_cbranch_execz .LBB281_511
.LBB281_510:                            ;   in Loop: Header=BB281_427 Depth=1
	v_bfe_u32 v6, v28, 24, 3
	v_ffbh_u32_e32 v4, v6
	v_min_u32_e32 v16, 32, v4
	v_subrev_u32_e32 v4, 28, v16
	v_bfe_u32 v12, v28, 27, 4
	v_lshlrev_b64 v[4:5], v4, v[10:11]
	v_sub_u32_e32 v5, 29, v16
	v_cmp_eq_u32_e64 s[0:1], 0, v12
	v_and_b32_e32 v4, 7, v4
	s_nop 0
	v_cndmask_b32_e64 v5, v12, v5, s[0:1]
	v_cndmask_b32_e64 v4, v6, v4, s[0:1]
	v_lshlrev_b32_e32 v6, 8, v10
	v_lshl_add_u32 v5, v5, 10, v38
	v_and_or_b32 v5, v6, s17, v5
	v_lshl_or_b32 v4, v4, 7, v5
	v_cvt_f32_f16_e32 v33, v4
.LBB281_511:                            ;   in Loop: Header=BB281_427 Depth=1
	s_or_b64 exec, exec, s[12:13]
	v_cmp_gt_i16_sdwa s[8:9], v29, s3 src0_sel:BYTE_0 src1_sel:DWORD
	s_mov_b64 s[0:1], 0
                                        ; implicit-def: $sgpr20
	s_and_saveexec_b64 s[12:13], s[8:9]
	s_xor_b64 s[8:9], exec, s[12:13]
	s_cbranch_execnz .LBB281_711
; %bb.512:                              ;   in Loop: Header=BB281_427 Depth=1
	s_or_saveexec_b64 s[8:9], s[8:9]
	v_mov_b32_e32 v4, s20
	s_xor_b64 exec, exec, s[8:9]
	s_cbranch_execnz .LBB281_714
.LBB281_513:                            ;   in Loop: Header=BB281_427 Depth=1
	s_or_b64 exec, exec, s[8:9]
	v_mov_b32_e32 v10, v29
	s_and_saveexec_b64 s[8:9], s[0:1]
	s_cbranch_execz .LBB281_515
.LBB281_514:                            ;   in Loop: Header=BB281_427 Depth=1
	v_and_b32_e32 v4, 7, v29
	v_ffbh_u32_e32 v4, v4
	v_bfe_u32 v5, v29, 3, 4
	v_min_u32_e32 v4, 32, v4
	v_subrev_u32_e32 v6, 28, v4
	v_sub_u32_e32 v4, 29, v4
	v_cmp_eq_u32_e64 s[0:1], 0, v5
	s_nop 1
	v_cndmask_b32_e64 v12, v5, v4, s[0:1]
	v_cndmask_b32_e64 v4, 0, v6, s[0:1]
	v_lshlrev_b64 v[4:5], v4, v[10:11]
	v_lshlrev_b32_e32 v5, 8, v29
	v_lshl_add_u32 v6, v12, 10, v38
	v_lshlrev_b32_e32 v4, 7, v4
	v_and_or_b32 v5, v5, s17, v6
	v_and_or_b32 v4, v4, s22, v5
	v_cvt_f32_f16_e32 v4, v4
.LBB281_515:                            ;   in Loop: Header=BB281_427 Depth=1
	s_or_b64 exec, exec, s[8:9]
	v_lshrrev_b16_e32 v10, 8, v10
	v_cmp_lt_i16_e64 s[0:1], s3, v10
	s_mov_b64 s[8:9], 0
                                        ; implicit-def: $sgpr26
	s_and_saveexec_b64 s[12:13], s[0:1]
	s_xor_b64 s[12:13], exec, s[12:13]
	s_cbranch_execnz .LBB281_715
; %bb.516:                              ;   in Loop: Header=BB281_427 Depth=1
	s_or_saveexec_b64 s[12:13], s[12:13]
	v_mov_b32_e32 v5, s26
	s_xor_b64 exec, exec, s[12:13]
	s_cbranch_execnz .LBB281_718
.LBB281_517:                            ;   in Loop: Header=BB281_427 Depth=1
	s_or_b64 exec, exec, s[12:13]
	s_and_saveexec_b64 s[12:13], s[8:9]
	s_cbranch_execz .LBB281_519
.LBB281_518:                            ;   in Loop: Header=BB281_427 Depth=1
	v_and_b32_e32 v5, 7, v10
	v_ffbh_u32_e32 v12, v5
	v_bfe_u32 v6, v10, 3, 4
	v_min_u32_e32 v12, 32, v12
	v_subrev_u32_e32 v16, 28, v12
	v_sub_u32_e32 v12, 29, v12
	v_cmp_eq_u32_e64 s[0:1], 0, v6
	v_lshlrev_b64 v[26:27], v16, v[10:11]
	v_and_b32_e32 v16, 7, v26
	v_cndmask_b32_e64 v6, v6, v12, s[0:1]
	v_lshlrev_b32_e32 v10, 8, v10
	v_lshl_add_u32 v6, v6, 10, v38
	v_cndmask_b32_e64 v5, v5, v16, s[0:1]
	v_and_or_b32 v6, v10, s17, v6
	v_lshl_or_b32 v5, v5, 7, v6
	v_cvt_f32_f16_e32 v5, v5
.LBB281_519:                            ;   in Loop: Header=BB281_427 Depth=1
	s_or_b64 exec, exec, s[12:13]
	v_lshrrev_b32_e32 v10, 16, v29
	v_cmp_gt_i16_sdwa s[8:9], v10, s3 src0_sel:BYTE_0 src1_sel:DWORD
	s_mov_b64 s[0:1], 0
                                        ; implicit-def: $sgpr20
	s_and_saveexec_b64 s[12:13], s[8:9]
	s_xor_b64 s[8:9], exec, s[12:13]
	s_cbranch_execnz .LBB281_719
; %bb.520:                              ;   in Loop: Header=BB281_427 Depth=1
	s_or_saveexec_b64 s[8:9], s[8:9]
	v_mov_b32_e32 v12, s20
	s_xor_b64 exec, exec, s[8:9]
	s_cbranch_execnz .LBB281_722
.LBB281_521:                            ;   in Loop: Header=BB281_427 Depth=1
	s_or_b64 exec, exec, s[8:9]
	s_and_saveexec_b64 s[8:9], s[0:1]
	s_cbranch_execz .LBB281_523
.LBB281_522:                            ;   in Loop: Header=BB281_427 Depth=1
	v_bfe_u32 v6, v29, 16, 3
	v_ffbh_u32_e32 v16, v6
	v_bfe_u32 v12, v29, 19, 4
	v_min_u32_e32 v16, 32, v16
	v_subrev_u32_e32 v17, 28, v16
	v_sub_u32_e32 v16, 29, v16
	v_cmp_eq_u32_e64 s[0:1], 0, v12
	v_lshlrev_b64 v[26:27], v17, v[10:11]
	v_and_b32_e32 v17, 7, v26
	v_cndmask_b32_e64 v12, v12, v16, s[0:1]
	v_lshlrev_b32_e32 v10, 8, v10
	v_lshl_add_u32 v12, v12, 10, v38
	v_cndmask_b32_e64 v6, v6, v17, s[0:1]
	v_and_or_b32 v10, v10, s17, v12
	v_lshl_or_b32 v6, v6, 7, v10
	v_cvt_f32_f16_e32 v12, v6
.LBB281_523:                            ;   in Loop: Header=BB281_427 Depth=1
	s_or_b64 exec, exec, s[8:9]
	v_lshrrev_b32_e32 v10, 24, v29
	v_cmp_lt_i16_e64 s[0:1], s3, v10
	s_mov_b64 s[8:9], 0
                                        ; implicit-def: $sgpr26
	s_and_saveexec_b64 s[12:13], s[0:1]
	s_xor_b64 s[12:13], exec, s[12:13]
	s_cbranch_execnz .LBB281_723
; %bb.524:                              ;   in Loop: Header=BB281_427 Depth=1
	s_or_saveexec_b64 s[12:13], s[12:13]
	v_mov_b32_e32 v17, s26
	s_xor_b64 exec, exec, s[12:13]
	s_cbranch_execnz .LBB281_726
.LBB281_525:                            ;   in Loop: Header=BB281_427 Depth=1
	s_or_b64 exec, exec, s[12:13]
	s_and_saveexec_b64 s[12:13], s[8:9]
	s_cbranch_execz .LBB281_527
.LBB281_526:                            ;   in Loop: Header=BB281_427 Depth=1
	v_bfe_u32 v6, v29, 24, 3
	v_ffbh_u32_e32 v17, v6
	v_bfe_u32 v16, v29, 27, 4
	v_min_u32_e32 v17, 32, v17
	v_subrev_u32_e32 v22, 28, v17
	v_sub_u32_e32 v17, 29, v17
	v_cmp_eq_u32_e64 s[0:1], 0, v16
	v_lshlrev_b64 v[26:27], v22, v[10:11]
	v_and_b32_e32 v22, 7, v26
	v_cndmask_b32_e64 v16, v16, v17, s[0:1]
	v_lshlrev_b32_e32 v10, 8, v10
	v_lshl_add_u32 v16, v16, 10, v38
	v_cndmask_b32_e64 v6, v6, v22, s[0:1]
	v_and_or_b32 v10, v10, s17, v16
	v_lshl_or_b32 v6, v6, 7, v10
	v_cvt_f32_f16_e32 v17, v6
.LBB281_527:                            ;   in Loop: Header=BB281_427 Depth=1
	s_or_b64 exec, exec, s[12:13]
	v_pk_mul_f32 v[26:27], v[24:25], v[32:33] op_sel_hi:[0,1]
	v_pk_mul_f32 v[28:29], v[24:25], v[30:31] op_sel_hi:[0,1]
	v_cvt_f16_f32_e32 v6, v27
	v_cvt_f16_f32_e32 v10, v26
	;; [unrolled: 1-line block ×4, first 2 shown]
	v_fma_mixlo_f16 v5, v24, v5, 0
	v_lshlrev_b32_e32 v5, 16, v5
	v_fma_mixlo_f16 v4, v24, v4, 0
	v_or_b32_sdwa v4, v5, v4 dst_sel:DWORD dst_unused:UNUSED_PAD src0_sel:DWORD src1_sel:WORD_0
	v_fma_mixlo_f16 v5, v24, v17, 0
	v_pack_b32_f16 v10, v10, v6
	v_pack_b32_f16 v16, v22, v16
	v_fma_mixlo_f16 v12, v24, v12, 0
	v_lshlrev_b32_e32 v5, 16, v5
	v_perm_b32 v6, v16, v10, s23
	v_perm_b32 v10, v16, v10, s24
	v_or_b32_sdwa v5, v5, v12 dst_sel:DWORD dst_unused:UNUSED_PAD src0_sel:DWORD src1_sel:WORD_0
	s_and_saveexec_b64 s[8:9], vcc
	s_cbranch_execz .LBB281_529
; %bb.528:                              ;   in Loop: Header=BB281_427 Depth=1
	v_lshrrev_b32_e32 v16, 16, v10
	v_cmp_lt_i32_e64 s[0:1], v53, v13
	v_accvgpr_read_b32 v22, a8
	v_lshrrev_b32_e32 v5, 16, v5
	v_cndmask_b32_e64 v16, 0, v16, s[0:1]
	v_cmp_lt_i32_e64 s[0:1], v7, v22
	s_nop 1
	v_cndmask_b32_e64 v10, 0, v10, s[0:1]
	v_perm_b32 v10, v16, v10, s25
	v_lshrrev_b32_e32 v16, 16, v6
	v_cmp_lt_i32_e64 s[0:1], v52, v13
	s_nop 1
	v_cndmask_b32_e64 v16, 0, v16, s[0:1]
	v_cmp_lt_i32_e64 s[0:1], v51, v22
	s_nop 1
	v_cndmask_b32_e64 v6, 0, v6, s[0:1]
	v_perm_b32 v6, v16, v6, s25
	v_lshrrev_b32_e32 v16, 16, v4
	v_cmp_lt_i32_e64 s[0:1], v50, v13
	s_nop 1
	v_cndmask_b32_e64 v16, 0, v16, s[0:1]
	v_cmp_lt_i32_e64 s[0:1], v49, v22
	s_nop 1
	v_cndmask_b32_e64 v4, 0, v4, s[0:1]
	v_cmp_lt_i32_e64 s[0:1], v48, v13
	v_perm_b32 v4, v16, v4, s25
	s_nop 0
	v_cndmask_b32_e64 v5, 0, v5, s[0:1]
	v_cmp_lt_i32_e64 s[0:1], v39, v22
	s_nop 1
	v_cndmask_b32_e64 v12, 0, v12, s[0:1]
	v_perm_b32 v5, v5, v12, s25
.LBB281_529:                            ;   in Loop: Header=BB281_427 Depth=1
	s_or_b64 exec, exec, s[8:9]
	;;#ASMSTART
	v_pk_mul_f16 v10, v54, v10;

	;;#ASMEND
	;;#ASMSTART
	v_pk_mul_f16 v6, v55, v6;

	;;#ASMEND
	;; [unrolled: 4-line block ×4, first 2 shown]
	v_accvgpr_read_b32 v17, a5
	;;#ASMSTART
	v_pk_add_f16 v6, v10, v6;

	;;#ASMEND
	v_accvgpr_read_b32 v16, a4
	;;#ASMSTART
	v_pk_add_f16 v4, v6, v4;

	;;#ASMEND
	s_mov_b64 s[0:1], 0
	;;#ASMSTART
	v_pk_add_f16 v4, v4, v5;

	;;#ASMEND
                                        ; implicit-def: $sgpr20
	s_nop 0
	v_lshrrev_b32_e32 v5, 16, v4
	v_and_b32_e32 v4, 0xffff, v4
	;;#ASMSTART
	v_cvt_f32_f16 v4, v4;
	;;#ASMEND
	;;#ASMSTART
	v_cvt_f32_f16 v5, v5;
	;;#ASMEND
	flat_load_dwordx2 v[28:29], v[18:19] offset:1536
	flat_load_dword v24, v[16:17]
	s_waitcnt vmcnt(0) lgkmcnt(0)
	v_cmp_gt_i16_sdwa s[8:9], v28, s3 src0_sel:BYTE_0 src1_sel:DWORD
	s_and_saveexec_b64 s[12:13], s[8:9]
	s_xor_b64 s[8:9], exec, s[12:13]
	s_cbranch_execnz .LBB281_727
; %bb.530:                              ;   in Loop: Header=BB281_427 Depth=1
	s_or_saveexec_b64 s[8:9], s[8:9]
	v_mov_b32_e32 v30, s20
	s_xor_b64 exec, exec, s[8:9]
	s_cbranch_execnz .LBB281_730
.LBB281_531:                            ;   in Loop: Header=BB281_427 Depth=1
	s_or_b64 exec, exec, s[8:9]
	s_and_saveexec_b64 s[8:9], s[0:1]
	s_cbranch_execz .LBB281_533
.LBB281_532:                            ;   in Loop: Header=BB281_427 Depth=1
	v_and_b32_e32 v6, 7, v28
	v_ffbh_u32_e32 v6, v6
	v_bfe_u32 v10, v28, 3, 4
	v_min_u32_e32 v6, 32, v6
	v_subrev_u32_e32 v12, 28, v6
	v_sub_u32_e32 v6, 29, v6
	v_cmp_eq_u32_e64 s[0:1], 0, v10
	s_nop 1
	v_cndmask_b32_e64 v6, v10, v6, s[0:1]
	v_cndmask_b32_e64 v10, 0, v12, s[0:1]
	v_lshlrev_b64 v[26:27], v10, v[28:29]
	v_lshlrev_b32_e32 v12, 8, v28
	v_lshl_add_u32 v6, v6, 10, v38
	v_lshlrev_b32_e32 v10, 7, v26
	v_and_or_b32 v6, v12, s17, v6
	v_and_or_b32 v6, v10, s22, v6
	v_cvt_f32_f16_e32 v30, v6
.LBB281_533:                            ;   in Loop: Header=BB281_427 Depth=1
	s_or_b64 exec, exec, s[8:9]
	v_lshrrev_b16_e32 v10, 8, v28
	v_cmp_lt_i16_e64 s[0:1], s3, v10
	s_mov_b64 s[8:9], 0
                                        ; implicit-def: $sgpr26
	s_and_saveexec_b64 s[12:13], s[0:1]
	s_xor_b64 s[12:13], exec, s[12:13]
	s_cbranch_execnz .LBB281_731
; %bb.534:                              ;   in Loop: Header=BB281_427 Depth=1
	s_or_saveexec_b64 s[12:13], s[12:13]
	v_mov_b32_e32 v32, s26
	s_xor_b64 exec, exec, s[12:13]
	s_cbranch_execnz .LBB281_734
.LBB281_535:                            ;   in Loop: Header=BB281_427 Depth=1
	s_or_b64 exec, exec, s[12:13]
	s_and_saveexec_b64 s[12:13], s[8:9]
	s_cbranch_execz .LBB281_537
.LBB281_536:                            ;   in Loop: Header=BB281_427 Depth=1
	v_and_b32_e32 v6, 7, v10
	v_ffbh_u32_e32 v16, v6
	v_bfe_u32 v12, v10, 3, 4
	v_min_u32_e32 v16, 32, v16
	v_subrev_u32_e32 v17, 28, v16
	v_sub_u32_e32 v16, 29, v16
	v_cmp_eq_u32_e64 s[0:1], 0, v12
	v_lshlrev_b64 v[26:27], v17, v[10:11]
	v_and_b32_e32 v17, 7, v26
	v_cndmask_b32_e64 v12, v12, v16, s[0:1]
	v_lshlrev_b32_e32 v10, 8, v10
	v_lshl_add_u32 v12, v12, 10, v38
	v_cndmask_b32_e64 v6, v6, v17, s[0:1]
	v_and_or_b32 v10, v10, s17, v12
	v_lshl_or_b32 v6, v6, 7, v10
	v_cvt_f32_f16_e32 v32, v6
.LBB281_537:                            ;   in Loop: Header=BB281_427 Depth=1
	s_or_b64 exec, exec, s[12:13]
	v_lshrrev_b32_e32 v10, 16, v28
	v_cmp_gt_i16_sdwa s[8:9], v10, s3 src0_sel:BYTE_0 src1_sel:DWORD
	s_mov_b64 s[0:1], 0
                                        ; implicit-def: $sgpr20
	s_and_saveexec_b64 s[12:13], s[8:9]
	s_xor_b64 s[8:9], exec, s[12:13]
	s_cbranch_execnz .LBB281_735
; %bb.538:                              ;   in Loop: Header=BB281_427 Depth=1
	s_or_saveexec_b64 s[8:9], s[8:9]
	v_mov_b32_e32 v31, s20
	s_xor_b64 exec, exec, s[8:9]
	s_cbranch_execnz .LBB281_738
.LBB281_539:                            ;   in Loop: Header=BB281_427 Depth=1
	s_or_b64 exec, exec, s[8:9]
	s_and_saveexec_b64 s[8:9], s[0:1]
	s_cbranch_execz .LBB281_541
.LBB281_540:                            ;   in Loop: Header=BB281_427 Depth=1
	v_bfe_u32 v6, v28, 16, 3
	v_ffbh_u32_e32 v16, v6
	v_bfe_u32 v12, v28, 19, 4
	v_min_u32_e32 v16, 32, v16
	v_subrev_u32_e32 v17, 28, v16
	v_sub_u32_e32 v16, 29, v16
	v_cmp_eq_u32_e64 s[0:1], 0, v12
	v_lshlrev_b64 v[26:27], v17, v[10:11]
	v_and_b32_e32 v17, 7, v26
	v_cndmask_b32_e64 v12, v12, v16, s[0:1]
	v_lshlrev_b32_e32 v10, 8, v10
	v_lshl_add_u32 v12, v12, 10, v38
	v_cndmask_b32_e64 v6, v6, v17, s[0:1]
	v_and_or_b32 v10, v10, s17, v12
	v_lshl_or_b32 v6, v6, 7, v10
	v_cvt_f32_f16_e32 v31, v6
.LBB281_541:                            ;   in Loop: Header=BB281_427 Depth=1
	s_or_b64 exec, exec, s[8:9]
	v_lshrrev_b32_e32 v10, 24, v28
	v_cmp_lt_i16_e64 s[0:1], s3, v10
	s_mov_b64 s[8:9], 0
                                        ; implicit-def: $sgpr26
	s_and_saveexec_b64 s[12:13], s[0:1]
	s_xor_b64 s[12:13], exec, s[12:13]
	s_cbranch_execnz .LBB281_739
; %bb.542:                              ;   in Loop: Header=BB281_427 Depth=1
	s_or_saveexec_b64 s[12:13], s[12:13]
	v_mov_b32_e32 v33, s26
	s_xor_b64 exec, exec, s[12:13]
	s_cbranch_execnz .LBB281_742
.LBB281_543:                            ;   in Loop: Header=BB281_427 Depth=1
	s_or_b64 exec, exec, s[12:13]
	s_and_saveexec_b64 s[12:13], s[8:9]
	s_cbranch_execz .LBB281_545
.LBB281_544:                            ;   in Loop: Header=BB281_427 Depth=1
	v_bfe_u32 v6, v28, 24, 3
	v_ffbh_u32_e32 v16, v6
	v_bfe_u32 v12, v28, 27, 4
	v_min_u32_e32 v16, 32, v16
	v_subrev_u32_e32 v17, 28, v16
	v_sub_u32_e32 v16, 29, v16
	v_cmp_eq_u32_e64 s[0:1], 0, v12
	v_lshlrev_b64 v[26:27], v17, v[10:11]
	v_and_b32_e32 v17, 7, v26
	v_cndmask_b32_e64 v12, v12, v16, s[0:1]
	v_lshlrev_b32_e32 v10, 8, v10
	v_lshl_add_u32 v12, v12, 10, v38
	v_cndmask_b32_e64 v6, v6, v17, s[0:1]
	v_and_or_b32 v10, v10, s17, v12
	v_lshl_or_b32 v6, v6, 7, v10
	v_cvt_f32_f16_e32 v33, v6
.LBB281_545:                            ;   in Loop: Header=BB281_427 Depth=1
	s_or_b64 exec, exec, s[12:13]
	v_cmp_gt_i16_sdwa s[8:9], v29, s3 src0_sel:BYTE_0 src1_sel:DWORD
	s_mov_b64 s[0:1], 0
                                        ; implicit-def: $sgpr20
	s_and_saveexec_b64 s[12:13], s[8:9]
	s_xor_b64 s[8:9], exec, s[12:13]
	s_cbranch_execnz .LBB281_743
; %bb.546:                              ;   in Loop: Header=BB281_427 Depth=1
	s_or_saveexec_b64 s[8:9], s[8:9]
	v_mov_b32_e32 v12, s20
	s_xor_b64 exec, exec, s[8:9]
	s_cbranch_execnz .LBB281_746
.LBB281_547:                            ;   in Loop: Header=BB281_427 Depth=1
	s_or_b64 exec, exec, s[8:9]
	v_mov_b32_e32 v10, v29
	s_and_saveexec_b64 s[8:9], s[0:1]
	s_cbranch_execz .LBB281_549
.LBB281_548:                            ;   in Loop: Header=BB281_427 Depth=1
	v_and_b32_e32 v6, 7, v29
	v_ffbh_u32_e32 v6, v6
	v_bfe_u32 v12, v29, 3, 4
	v_min_u32_e32 v6, 32, v6
	v_subrev_u32_e32 v16, 28, v6
	v_sub_u32_e32 v6, 29, v6
	v_cmp_eq_u32_e64 s[0:1], 0, v12
	s_nop 1
	v_cndmask_b32_e64 v6, v12, v6, s[0:1]
	v_cndmask_b32_e64 v12, 0, v16, s[0:1]
	v_lshlrev_b64 v[26:27], v12, v[10:11]
	v_lshlrev_b32_e32 v16, 8, v29
	v_lshl_add_u32 v6, v6, 10, v38
	v_lshlrev_b32_e32 v12, 7, v26
	v_and_or_b32 v6, v16, s17, v6
	v_and_or_b32 v6, v12, s22, v6
	v_cvt_f32_f16_e32 v12, v6
.LBB281_549:                            ;   in Loop: Header=BB281_427 Depth=1
	s_or_b64 exec, exec, s[8:9]
	v_lshrrev_b16_e32 v10, 8, v10
	v_cmp_lt_i16_e64 s[0:1], s3, v10
	s_mov_b64 s[8:9], 0
                                        ; implicit-def: $sgpr26
	s_and_saveexec_b64 s[12:13], s[0:1]
	s_xor_b64 s[12:13], exec, s[12:13]
	s_cbranch_execnz .LBB281_747
; %bb.550:                              ;   in Loop: Header=BB281_427 Depth=1
	s_or_saveexec_b64 s[12:13], s[12:13]
	v_mov_b32_e32 v17, s26
	s_xor_b64 exec, exec, s[12:13]
	s_cbranch_execnz .LBB281_750
.LBB281_551:                            ;   in Loop: Header=BB281_427 Depth=1
	s_or_b64 exec, exec, s[12:13]
	s_and_saveexec_b64 s[12:13], s[8:9]
	s_cbranch_execz .LBB281_553
.LBB281_552:                            ;   in Loop: Header=BB281_427 Depth=1
	v_and_b32_e32 v6, 7, v10
	v_ffbh_u32_e32 v17, v6
	v_bfe_u32 v16, v10, 3, 4
	v_min_u32_e32 v17, 32, v17
	v_subrev_u32_e32 v22, 28, v17
	v_sub_u32_e32 v17, 29, v17
	v_cmp_eq_u32_e64 s[0:1], 0, v16
	v_lshlrev_b64 v[26:27], v22, v[10:11]
	v_and_b32_e32 v22, 7, v26
	v_cndmask_b32_e64 v16, v16, v17, s[0:1]
	v_lshlrev_b32_e32 v10, 8, v10
	v_lshl_add_u32 v16, v16, 10, v38
	v_cndmask_b32_e64 v6, v6, v22, s[0:1]
	v_and_or_b32 v10, v10, s17, v16
	v_lshl_or_b32 v6, v6, 7, v10
	v_cvt_f32_f16_e32 v17, v6
.LBB281_553:                            ;   in Loop: Header=BB281_427 Depth=1
	s_or_b64 exec, exec, s[12:13]
	v_lshrrev_b32_e32 v10, 16, v29
	v_cmp_gt_i16_sdwa s[8:9], v10, s3 src0_sel:BYTE_0 src1_sel:DWORD
	s_mov_b64 s[0:1], 0
                                        ; implicit-def: $sgpr20
	s_and_saveexec_b64 s[12:13], s[8:9]
	s_xor_b64 s[8:9], exec, s[12:13]
	s_cbranch_execnz .LBB281_751
; %bb.554:                              ;   in Loop: Header=BB281_427 Depth=1
	s_or_saveexec_b64 s[8:9], s[8:9]
	v_mov_b32_e32 v22, s20
	s_xor_b64 exec, exec, s[8:9]
	s_cbranch_execnz .LBB281_754
.LBB281_555:                            ;   in Loop: Header=BB281_427 Depth=1
	s_or_b64 exec, exec, s[8:9]
	s_and_saveexec_b64 s[8:9], s[0:1]
	s_cbranch_execz .LBB281_557
.LBB281_556:                            ;   in Loop: Header=BB281_427 Depth=1
	v_bfe_u32 v6, v29, 16, 3
	v_ffbh_u32_e32 v22, v6
	v_bfe_u32 v16, v29, 19, 4
	v_min_u32_e32 v22, 32, v22
	v_subrev_u32_e32 v25, 28, v22
	v_sub_u32_e32 v22, 29, v22
	v_cmp_eq_u32_e64 s[0:1], 0, v16
	v_lshlrev_b64 v[26:27], v25, v[10:11]
	v_and_b32_e32 v25, 7, v26
	v_cndmask_b32_e64 v16, v16, v22, s[0:1]
	v_lshlrev_b32_e32 v10, 8, v10
	v_lshl_add_u32 v16, v16, 10, v38
	v_cndmask_b32_e64 v6, v6, v25, s[0:1]
	v_and_or_b32 v10, v10, s17, v16
	v_lshl_or_b32 v6, v6, 7, v10
	v_cvt_f32_f16_e32 v22, v6
.LBB281_557:                            ;   in Loop: Header=BB281_427 Depth=1
	s_or_b64 exec, exec, s[8:9]
	v_lshrrev_b32_e32 v10, 24, v29
	v_cmp_lt_i16_e64 s[0:1], s3, v10
	s_mov_b64 s[8:9], 0
                                        ; implicit-def: $sgpr26
	s_and_saveexec_b64 s[12:13], s[0:1]
	s_xor_b64 s[12:13], exec, s[12:13]
	s_cbranch_execnz .LBB281_755
; %bb.558:                              ;   in Loop: Header=BB281_427 Depth=1
	s_or_saveexec_b64 s[12:13], s[12:13]
	v_mov_b32_e32 v26, s26
	s_xor_b64 exec, exec, s[12:13]
	s_cbranch_execnz .LBB281_758
.LBB281_559:                            ;   in Loop: Header=BB281_427 Depth=1
	s_or_b64 exec, exec, s[12:13]
	s_and_saveexec_b64 s[12:13], s[8:9]
	s_cbranch_execz .LBB281_561
.LBB281_560:                            ;   in Loop: Header=BB281_427 Depth=1
	v_bfe_u32 v6, v29, 24, 3
	v_ffbh_u32_e32 v25, v6
	v_bfe_u32 v16, v29, 27, 4
	v_min_u32_e32 v25, 32, v25
	v_subrev_u32_e32 v26, 28, v25
	v_sub_u32_e32 v25, 29, v25
	v_cmp_eq_u32_e64 s[0:1], 0, v16
	v_lshlrev_b64 v[26:27], v26, v[10:11]
	v_and_b32_e32 v26, 7, v26
	v_cndmask_b32_e64 v16, v16, v25, s[0:1]
	v_lshlrev_b32_e32 v10, 8, v10
	v_lshl_add_u32 v16, v16, 10, v38
	v_cndmask_b32_e64 v6, v6, v26, s[0:1]
	v_and_or_b32 v10, v10, s17, v16
	v_lshl_or_b32 v6, v6, 7, v10
	v_cvt_f32_f16_e32 v26, v6
.LBB281_561:                            ;   in Loop: Header=BB281_427 Depth=1
	s_or_b64 exec, exec, s[12:13]
	v_pk_mul_f32 v[28:29], v[24:25], v[32:33] op_sel_hi:[0,1]
	v_pk_mul_f32 v[30:31], v[24:25], v[30:31] op_sel_hi:[0,1]
	v_cvt_f16_f32_e32 v6, v29
	v_cvt_f16_f32_e32 v10, v28
	;; [unrolled: 1-line block ×4, first 2 shown]
	v_fma_mixlo_f16 v12, v24, v12, 0
	v_pack_b32_f16 v10, v10, v6
	v_pack_b32_f16 v16, v25, v16
	v_perm_b32 v6, v16, v10, s23
	v_perm_b32 v25, v16, v10, s24
	v_fma_mixlo_f16 v10, v24, v17, 0
	v_lshlrev_b32_e32 v10, 16, v10
	v_or_b32_sdwa v10, v10, v12 dst_sel:DWORD dst_unused:UNUSED_PAD src0_sel:DWORD src1_sel:WORD_0
	v_fma_mixlo_f16 v12, v24, v26, 0
	v_fma_mixlo_f16 v17, v24, v22, 0
	v_lshlrev_b32_e32 v12, 16, v12
	v_or_b32_sdwa v12, v12, v17 dst_sel:DWORD dst_unused:UNUSED_PAD src0_sel:DWORD src1_sel:WORD_0
	s_and_saveexec_b64 s[8:9], vcc
	s_cbranch_execz .LBB281_563
; %bb.562:                              ;   in Loop: Header=BB281_427 Depth=1
	v_lshrrev_b32_e32 v16, 16, v25
	v_cmp_lt_i32_e64 s[0:1], v53, v13
	v_accvgpr_read_b32 v24, a8
	v_lshrrev_b32_e32 v12, 16, v12
	v_cndmask_b32_e64 v16, 0, v16, s[0:1]
	v_cmp_lt_i32_e64 s[0:1], v7, v24
	s_nop 1
	v_cndmask_b32_e64 v22, 0, v25, s[0:1]
	v_perm_b32 v25, v16, v22, s25
	v_lshrrev_b32_e32 v16, 16, v6
	v_cmp_lt_i32_e64 s[0:1], v52, v13
	s_nop 1
	v_cndmask_b32_e64 v16, 0, v16, s[0:1]
	v_cmp_lt_i32_e64 s[0:1], v51, v24
	s_nop 1
	v_cndmask_b32_e64 v6, 0, v6, s[0:1]
	v_perm_b32 v6, v16, v6, s25
	v_lshrrev_b32_e32 v16, 16, v10
	v_cmp_lt_i32_e64 s[0:1], v50, v13
	s_nop 1
	v_cndmask_b32_e64 v16, 0, v16, s[0:1]
	v_cmp_lt_i32_e64 s[0:1], v49, v24
	s_nop 1
	v_cndmask_b32_e64 v10, 0, v10, s[0:1]
	v_cmp_lt_i32_e64 s[0:1], v48, v13
	v_perm_b32 v10, v16, v10, s25
	s_nop 0
	v_cndmask_b32_e64 v12, 0, v12, s[0:1]
	v_cmp_lt_i32_e64 s[0:1], v39, v24
	s_nop 1
	v_cndmask_b32_e64 v16, 0, v17, s[0:1]
	v_perm_b32 v12, v12, v16, s25
.LBB281_563:                            ;   in Loop: Header=BB281_427 Depth=1
	s_or_b64 exec, exec, s[8:9]
	;;#ASMSTART
	v_pk_mul_f16 v16, v54, v25;

	;;#ASMEND
	;;#ASMSTART
	v_pk_mul_f16 v6, v55, v6;

	;;#ASMEND
	;; [unrolled: 4-line block ×4, first 2 shown]
	v_accvgpr_read_b32 v25, a5
	;;#ASMSTART
	v_pk_add_f16 v6, v16, v6;

	;;#ASMEND
	v_accvgpr_read_b32 v24, a4
	;;#ASMSTART
	v_pk_add_f16 v6, v6, v10;

	;;#ASMEND
	s_mov_b64 s[0:1], 0
	;;#ASMSTART
	v_pk_add_f16 v6, v6, v12;

	;;#ASMEND
                                        ; implicit-def: $sgpr20
	s_nop 0
	v_lshrrev_b32_e32 v10, 16, v6
	v_and_b32_e32 v6, 0xffff, v6
	;;#ASMSTART
	v_cvt_f32_f16 v12, v6;
	;;#ASMEND
	;;#ASMSTART
	v_cvt_f32_f16 v17, v10;
	;;#ASMEND
	flat_load_dwordx2 v[28:29], v[18:19] offset:2048
	s_waitcnt vmcnt(0) lgkmcnt(0)
	v_cmp_gt_i16_sdwa s[8:9], v28, s3 src0_sel:BYTE_0 src1_sel:DWORD
	flat_load_dword v24, v[24:25]
	s_and_saveexec_b64 s[12:13], s[8:9]
	s_xor_b64 s[8:9], exec, s[12:13]
	s_cbranch_execnz .LBB281_759
; %bb.564:                              ;   in Loop: Header=BB281_427 Depth=1
	s_or_saveexec_b64 s[8:9], s[8:9]
	v_mov_b32_e32 v30, s20
	s_xor_b64 exec, exec, s[8:9]
	s_cbranch_execnz .LBB281_762
.LBB281_565:                            ;   in Loop: Header=BB281_427 Depth=1
	s_or_b64 exec, exec, s[8:9]
	s_and_saveexec_b64 s[8:9], s[0:1]
	s_cbranch_execz .LBB281_567
.LBB281_566:                            ;   in Loop: Header=BB281_427 Depth=1
	v_and_b32_e32 v6, 7, v28
	v_ffbh_u32_e32 v6, v6
	v_bfe_u32 v10, v28, 3, 4
	v_min_u32_e32 v6, 32, v6
	v_subrev_u32_e32 v16, 28, v6
	v_sub_u32_e32 v6, 29, v6
	v_cmp_eq_u32_e64 s[0:1], 0, v10
	s_nop 1
	v_cndmask_b32_e64 v6, v10, v6, s[0:1]
	v_cndmask_b32_e64 v10, 0, v16, s[0:1]
	v_lshlrev_b64 v[26:27], v10, v[28:29]
	v_lshlrev_b32_e32 v16, 8, v28
	v_lshl_add_u32 v6, v6, 10, v38
	v_lshlrev_b32_e32 v10, 7, v26
	v_and_or_b32 v6, v16, s17, v6
	v_and_or_b32 v6, v10, s22, v6
	v_cvt_f32_f16_e32 v30, v6
.LBB281_567:                            ;   in Loop: Header=BB281_427 Depth=1
	s_or_b64 exec, exec, s[8:9]
	v_lshrrev_b16_e32 v10, 8, v28
	v_cmp_lt_i16_e64 s[0:1], s3, v10
	s_mov_b64 s[8:9], 0
                                        ; implicit-def: $sgpr26
	s_and_saveexec_b64 s[12:13], s[0:1]
	s_xor_b64 s[12:13], exec, s[12:13]
	s_cbranch_execnz .LBB281_763
; %bb.568:                              ;   in Loop: Header=BB281_427 Depth=1
	s_or_saveexec_b64 s[12:13], s[12:13]
	v_mov_b32_e32 v32, s26
	s_xor_b64 exec, exec, s[12:13]
	s_cbranch_execnz .LBB281_766
.LBB281_569:                            ;   in Loop: Header=BB281_427 Depth=1
	s_or_b64 exec, exec, s[12:13]
	s_and_saveexec_b64 s[12:13], s[8:9]
	s_cbranch_execz .LBB281_571
.LBB281_570:                            ;   in Loop: Header=BB281_427 Depth=1
	v_and_b32_e32 v6, 7, v10
	v_ffbh_u32_e32 v22, v6
	v_bfe_u32 v16, v10, 3, 4
	v_min_u32_e32 v22, 32, v22
	v_subrev_u32_e32 v25, 28, v22
	v_sub_u32_e32 v22, 29, v22
	v_cmp_eq_u32_e64 s[0:1], 0, v16
	v_lshlrev_b64 v[26:27], v25, v[10:11]
	v_and_b32_e32 v25, 7, v26
	v_cndmask_b32_e64 v16, v16, v22, s[0:1]
	v_lshlrev_b32_e32 v10, 8, v10
	v_lshl_add_u32 v16, v16, 10, v38
	v_cndmask_b32_e64 v6, v6, v25, s[0:1]
	v_and_or_b32 v10, v10, s17, v16
	v_lshl_or_b32 v6, v6, 7, v10
	v_cvt_f32_f16_e32 v32, v6
.LBB281_571:                            ;   in Loop: Header=BB281_427 Depth=1
	s_or_b64 exec, exec, s[12:13]
	v_lshrrev_b32_e32 v10, 16, v28
	v_cmp_gt_i16_sdwa s[8:9], v10, s3 src0_sel:BYTE_0 src1_sel:DWORD
	s_mov_b64 s[0:1], 0
                                        ; implicit-def: $sgpr20
	s_and_saveexec_b64 s[12:13], s[8:9]
	s_xor_b64 s[8:9], exec, s[12:13]
	s_cbranch_execnz .LBB281_767
; %bb.572:                              ;   in Loop: Header=BB281_427 Depth=1
	s_or_saveexec_b64 s[8:9], s[8:9]
	v_mov_b32_e32 v31, s20
	s_xor_b64 exec, exec, s[8:9]
	s_cbranch_execnz .LBB281_770
.LBB281_573:                            ;   in Loop: Header=BB281_427 Depth=1
	s_or_b64 exec, exec, s[8:9]
	s_and_saveexec_b64 s[8:9], s[0:1]
	s_cbranch_execz .LBB281_575
.LBB281_574:                            ;   in Loop: Header=BB281_427 Depth=1
	v_bfe_u32 v6, v28, 16, 3
	v_ffbh_u32_e32 v22, v6
	v_bfe_u32 v16, v28, 19, 4
	v_min_u32_e32 v22, 32, v22
	v_subrev_u32_e32 v25, 28, v22
	v_sub_u32_e32 v22, 29, v22
	v_cmp_eq_u32_e64 s[0:1], 0, v16
	v_lshlrev_b64 v[26:27], v25, v[10:11]
	v_and_b32_e32 v25, 7, v26
	v_cndmask_b32_e64 v16, v16, v22, s[0:1]
	v_lshlrev_b32_e32 v10, 8, v10
	v_lshl_add_u32 v16, v16, 10, v38
	v_cndmask_b32_e64 v6, v6, v25, s[0:1]
	v_and_or_b32 v10, v10, s17, v16
	v_lshl_or_b32 v6, v6, 7, v10
	v_cvt_f32_f16_e32 v31, v6
.LBB281_575:                            ;   in Loop: Header=BB281_427 Depth=1
	s_or_b64 exec, exec, s[8:9]
	v_lshrrev_b32_e32 v10, 24, v28
	v_cmp_lt_i16_e64 s[0:1], s3, v10
	s_mov_b64 s[8:9], 0
                                        ; implicit-def: $sgpr26
	s_and_saveexec_b64 s[12:13], s[0:1]
	s_xor_b64 s[12:13], exec, s[12:13]
	s_cbranch_execnz .LBB281_771
; %bb.576:                              ;   in Loop: Header=BB281_427 Depth=1
	s_or_saveexec_b64 s[12:13], s[12:13]
	v_mov_b32_e32 v33, s26
	s_xor_b64 exec, exec, s[12:13]
	s_cbranch_execnz .LBB281_774
.LBB281_577:                            ;   in Loop: Header=BB281_427 Depth=1
	s_or_b64 exec, exec, s[12:13]
	s_and_saveexec_b64 s[12:13], s[8:9]
	s_cbranch_execz .LBB281_579
.LBB281_578:                            ;   in Loop: Header=BB281_427 Depth=1
	v_bfe_u32 v6, v28, 24, 3
	v_ffbh_u32_e32 v22, v6
	v_bfe_u32 v16, v28, 27, 4
	v_min_u32_e32 v22, 32, v22
	v_subrev_u32_e32 v25, 28, v22
	v_sub_u32_e32 v22, 29, v22
	v_cmp_eq_u32_e64 s[0:1], 0, v16
	v_lshlrev_b64 v[26:27], v25, v[10:11]
	v_and_b32_e32 v25, 7, v26
	v_cndmask_b32_e64 v16, v16, v22, s[0:1]
	v_lshlrev_b32_e32 v10, 8, v10
	v_lshl_add_u32 v16, v16, 10, v38
	v_cndmask_b32_e64 v6, v6, v25, s[0:1]
	v_and_or_b32 v10, v10, s17, v16
	v_lshl_or_b32 v6, v6, 7, v10
	v_cvt_f32_f16_e32 v33, v6
.LBB281_579:                            ;   in Loop: Header=BB281_427 Depth=1
	s_or_b64 exec, exec, s[12:13]
	v_cmp_gt_i16_sdwa s[8:9], v29, s3 src0_sel:BYTE_0 src1_sel:DWORD
	s_mov_b64 s[0:1], 0
                                        ; implicit-def: $sgpr20
	s_and_saveexec_b64 s[12:13], s[8:9]
	s_xor_b64 s[8:9], exec, s[12:13]
	s_cbranch_execnz .LBB281_775
; %bb.580:                              ;   in Loop: Header=BB281_427 Depth=1
	s_or_saveexec_b64 s[8:9], s[8:9]
	v_mov_b32_e32 v22, s20
	s_xor_b64 exec, exec, s[8:9]
	s_cbranch_execnz .LBB281_778
.LBB281_581:                            ;   in Loop: Header=BB281_427 Depth=1
	s_or_b64 exec, exec, s[8:9]
	v_mov_b32_e32 v10, v29
	s_and_saveexec_b64 s[8:9], s[0:1]
	s_cbranch_execz .LBB281_583
.LBB281_582:                            ;   in Loop: Header=BB281_427 Depth=1
	v_and_b32_e32 v6, 7, v29
	v_ffbh_u32_e32 v6, v6
	v_bfe_u32 v16, v29, 3, 4
	v_min_u32_e32 v6, 32, v6
	v_subrev_u32_e32 v22, 28, v6
	v_sub_u32_e32 v6, 29, v6
	v_cmp_eq_u32_e64 s[0:1], 0, v16
	s_nop 1
	v_cndmask_b32_e64 v6, v16, v6, s[0:1]
	v_cndmask_b32_e64 v16, 0, v22, s[0:1]
	v_lshlrev_b64 v[26:27], v16, v[10:11]
	v_lshlrev_b32_e32 v22, 8, v29
	v_lshl_add_u32 v6, v6, 10, v38
	v_lshlrev_b32_e32 v16, 7, v26
	v_and_or_b32 v6, v22, s17, v6
	v_and_or_b32 v6, v16, s22, v6
	v_cvt_f32_f16_e32 v22, v6
.LBB281_583:                            ;   in Loop: Header=BB281_427 Depth=1
	s_or_b64 exec, exec, s[8:9]
	v_lshrrev_b16_e32 v10, 8, v10
	v_cmp_lt_i16_e64 s[0:1], s3, v10
	s_mov_b64 s[8:9], 0
                                        ; implicit-def: $sgpr26
	s_and_saveexec_b64 s[12:13], s[0:1]
	s_xor_b64 s[12:13], exec, s[12:13]
	s_cbranch_execnz .LBB281_779
; %bb.584:                              ;   in Loop: Header=BB281_427 Depth=1
	s_or_saveexec_b64 s[12:13], s[12:13]
	v_mov_b32_e32 v25, s26
	s_xor_b64 exec, exec, s[12:13]
	s_cbranch_execnz .LBB281_782
.LBB281_585:                            ;   in Loop: Header=BB281_427 Depth=1
	s_or_b64 exec, exec, s[12:13]
	s_and_saveexec_b64 s[12:13], s[8:9]
	s_cbranch_execz .LBB281_587
.LBB281_586:                            ;   in Loop: Header=BB281_427 Depth=1
	v_and_b32_e32 v6, 7, v10
	v_ffbh_u32_e32 v25, v6
	v_bfe_u32 v16, v10, 3, 4
	v_min_u32_e32 v25, 32, v25
	v_subrev_u32_e32 v26, 28, v25
	v_sub_u32_e32 v25, 29, v25
	v_cmp_eq_u32_e64 s[0:1], 0, v16
	v_lshlrev_b64 v[26:27], v26, v[10:11]
	v_and_b32_e32 v26, 7, v26
	v_cndmask_b32_e64 v16, v16, v25, s[0:1]
	v_lshlrev_b32_e32 v10, 8, v10
	v_lshl_add_u32 v16, v16, 10, v38
	v_cndmask_b32_e64 v6, v6, v26, s[0:1]
	v_and_or_b32 v10, v10, s17, v16
	v_lshl_or_b32 v6, v6, 7, v10
	v_cvt_f32_f16_e32 v25, v6
.LBB281_587:                            ;   in Loop: Header=BB281_427 Depth=1
	s_or_b64 exec, exec, s[12:13]
	v_lshrrev_b32_e32 v10, 16, v29
	v_cmp_gt_i16_sdwa s[8:9], v10, s3 src0_sel:BYTE_0 src1_sel:DWORD
	s_mov_b64 s[0:1], 0
                                        ; implicit-def: $sgpr20
	s_and_saveexec_b64 s[12:13], s[8:9]
	s_xor_b64 s[8:9], exec, s[12:13]
	s_cbranch_execnz .LBB281_783
; %bb.588:                              ;   in Loop: Header=BB281_427 Depth=1
	s_or_saveexec_b64 s[8:9], s[8:9]
	v_mov_b32_e32 v26, s20
	s_xor_b64 exec, exec, s[8:9]
	s_cbranch_execnz .LBB281_786
.LBB281_589:                            ;   in Loop: Header=BB281_427 Depth=1
	s_or_b64 exec, exec, s[8:9]
	s_and_saveexec_b64 s[8:9], s[0:1]
	s_cbranch_execz .LBB281_591
.LBB281_590:                            ;   in Loop: Header=BB281_427 Depth=1
	v_bfe_u32 v6, v29, 16, 3
	v_ffbh_u32_e32 v26, v6
	v_min_u32_e32 v28, 32, v26
	v_subrev_u32_e32 v26, 28, v28
	v_bfe_u32 v16, v29, 19, 4
	v_lshlrev_b64 v[26:27], v26, v[10:11]
	v_sub_u32_e32 v27, 29, v28
	v_cmp_eq_u32_e64 s[0:1], 0, v16
	v_and_b32_e32 v26, 7, v26
	v_lshlrev_b32_e32 v10, 8, v10
	v_cndmask_b32_e64 v16, v16, v27, s[0:1]
	v_lshl_add_u32 v16, v16, 10, v38
	v_cndmask_b32_e64 v6, v6, v26, s[0:1]
	v_and_or_b32 v10, v10, s17, v16
	v_lshl_or_b32 v6, v6, 7, v10
	v_cvt_f32_f16_e32 v26, v6
.LBB281_591:                            ;   in Loop: Header=BB281_427 Depth=1
	s_or_b64 exec, exec, s[8:9]
	v_lshrrev_b32_e32 v10, 24, v29
	v_cmp_lt_i16_e64 s[0:1], s3, v10
	s_mov_b64 s[8:9], 0
                                        ; implicit-def: $sgpr26
	s_and_saveexec_b64 s[12:13], s[0:1]
	s_xor_b64 s[12:13], exec, s[12:13]
	s_cbranch_execnz .LBB281_787
; %bb.592:                              ;   in Loop: Header=BB281_427 Depth=1
	s_or_saveexec_b64 s[12:13], s[12:13]
	v_mov_b32_e32 v28, s26
	s_xor_b64 exec, exec, s[12:13]
	s_cbranch_execnz .LBB281_790
.LBB281_593:                            ;   in Loop: Header=BB281_427 Depth=1
	s_or_b64 exec, exec, s[12:13]
	s_and_saveexec_b64 s[12:13], s[8:9]
	s_cbranch_execz .LBB281_595
.LBB281_594:                            ;   in Loop: Header=BB281_427 Depth=1
	v_bfe_u32 v6, v29, 24, 3
	v_ffbh_u32_e32 v27, v6
	v_bfe_u32 v16, v29, 27, 4
	v_min_u32_e32 v27, 32, v27
	v_subrev_u32_e32 v28, 28, v27
	v_sub_u32_e32 v27, 29, v27
	v_cmp_eq_u32_e64 s[0:1], 0, v16
	v_lshlrev_b64 v[28:29], v28, v[10:11]
	v_and_b32_e32 v28, 7, v28
	v_cndmask_b32_e64 v16, v16, v27, s[0:1]
	v_lshlrev_b32_e32 v10, 8, v10
	v_lshl_add_u32 v16, v16, 10, v38
	v_cndmask_b32_e64 v6, v6, v28, s[0:1]
	v_and_or_b32 v10, v10, s17, v16
	v_lshl_or_b32 v6, v6, 7, v10
	v_cvt_f32_f16_e32 v28, v6
.LBB281_595:                            ;   in Loop: Header=BB281_427 Depth=1
	s_or_b64 exec, exec, s[12:13]
	s_waitcnt vmcnt(0) lgkmcnt(0)
	v_pk_mul_f32 v[32:33], v[24:25], v[32:33] op_sel_hi:[0,1]
	v_pk_mul_f32 v[30:31], v[24:25], v[30:31] op_sel_hi:[0,1]
	v_cvt_f16_f32_e32 v6, v33
	v_cvt_f16_f32_e32 v10, v32
	;; [unrolled: 1-line block ×4, first 2 shown]
	v_pack_b32_f16 v10, v10, v6
	v_pack_b32_f16 v16, v27, v16
	v_perm_b32 v6, v16, v10, s23
	v_perm_b32 v27, v16, v10, s24
	v_fma_mixlo_f16 v10, v24, v25, 0
	v_lshlrev_b32_e32 v10, 16, v10
	v_fma_mixlo_f16 v16, v24, v22, 0
	v_or_b32_sdwa v10, v10, v16 dst_sel:DWORD dst_unused:UNUSED_PAD src0_sel:DWORD src1_sel:WORD_0
	v_fma_mixlo_f16 v16, v24, v28, 0
	v_fma_mixlo_f16 v25, v24, v26, 0
	v_lshlrev_b32_e32 v16, 16, v16
	v_or_b32_sdwa v22, v16, v25 dst_sel:DWORD dst_unused:UNUSED_PAD src0_sel:DWORD src1_sel:WORD_0
	s_and_saveexec_b64 s[8:9], vcc
	s_cbranch_execz .LBB281_597
; %bb.596:                              ;   in Loop: Header=BB281_427 Depth=1
	v_lshrrev_b32_e32 v16, 16, v27
	v_cmp_lt_i32_e64 s[0:1], v53, v13
	v_accvgpr_read_b32 v26, a8
	s_nop 0
	v_cndmask_b32_e64 v16, 0, v16, s[0:1]
	v_cmp_lt_i32_e64 s[0:1], v7, v26
	s_nop 1
	v_cndmask_b32_e64 v24, 0, v27, s[0:1]
	v_perm_b32 v27, v16, v24, s25
	v_lshrrev_b32_e32 v16, 16, v6
	v_cmp_lt_i32_e64 s[0:1], v52, v13
	s_nop 1
	v_cndmask_b32_e64 v16, 0, v16, s[0:1]
	v_cmp_lt_i32_e64 s[0:1], v51, v26
	s_nop 1
	v_cndmask_b32_e64 v6, 0, v6, s[0:1]
	v_perm_b32 v6, v16, v6, s25
	v_lshrrev_b32_e32 v16, 16, v10
	v_cmp_lt_i32_e64 s[0:1], v50, v13
	;; [unrolled: 8-line block ×3, first 2 shown]
	s_nop 1
	v_cndmask_b32_e64 v16, 0, v16, s[0:1]
	v_cmp_lt_i32_e64 s[0:1], v39, v26
	s_nop 1
	v_cndmask_b32_e64 v22, 0, v25, s[0:1]
	v_perm_b32 v22, v16, v22, s25
.LBB281_597:                            ;   in Loop: Header=BB281_427 Depth=1
	s_or_b64 exec, exec, s[8:9]
	;;#ASMSTART
	v_pk_mul_f16 v16, v54, v27;

	;;#ASMEND
	;;#ASMSTART
	v_pk_mul_f16 v6, v55, v6;

	;;#ASMEND
	;; [unrolled: 4-line block ×4, first 2 shown]
	s_mov_b64 s[0:1], 0
	;;#ASMSTART
	v_pk_add_f16 v6, v16, v6;

	;;#ASMEND
                                        ; implicit-def: $sgpr20
	s_nop 0
	;;#ASMSTART
	v_pk_add_f16 v6, v6, v10;

	;;#ASMEND
	s_nop 0
	;;#ASMSTART
	v_pk_add_f16 v6, v6, v22;

	;;#ASMEND
	s_nop 0
	v_lshrrev_b32_e32 v10, 16, v6
	v_and_b32_e32 v6, 0xffff, v6
	;;#ASMSTART
	v_cvt_f32_f16 v32, v6;
	;;#ASMEND
	;;#ASMSTART
	v_cvt_f32_f16 v33, v10;
	;;#ASMEND
	flat_load_dwordx2 v[24:25], v[18:19] offset:2560
	v_accvgpr_read_b32 v19, a5
	v_accvgpr_read_b32 v18, a4
	flat_load_dword v18, v[18:19]
	s_waitcnt vmcnt(0) lgkmcnt(0)
	v_cmp_gt_i16_sdwa s[8:9], v24, s3 src0_sel:BYTE_0 src1_sel:DWORD
	s_and_saveexec_b64 s[12:13], s[8:9]
	s_xor_b64 s[8:9], exec, s[12:13]
	s_cbranch_execnz .LBB281_791
; %bb.598:                              ;   in Loop: Header=BB281_427 Depth=1
	s_or_saveexec_b64 s[8:9], s[8:9]
	v_mov_b32_e32 v28, s20
	s_xor_b64 exec, exec, s[8:9]
	s_cbranch_execnz .LBB281_794
.LBB281_599:                            ;   in Loop: Header=BB281_427 Depth=1
	s_or_b64 exec, exec, s[8:9]
	s_and_saveexec_b64 s[8:9], s[0:1]
	s_cbranch_execz .LBB281_601
.LBB281_600:                            ;   in Loop: Header=BB281_427 Depth=1
	v_and_b32_e32 v6, 7, v24
	v_ffbh_u32_e32 v6, v6
	v_bfe_u32 v10, v24, 3, 4
	v_min_u32_e32 v6, 32, v6
	v_subrev_u32_e32 v16, 28, v6
	v_sub_u32_e32 v6, 29, v6
	v_cmp_eq_u32_e64 s[0:1], 0, v10
	s_nop 1
	v_cndmask_b32_e64 v6, v10, v6, s[0:1]
	v_cndmask_b32_e64 v10, 0, v16, s[0:1]
	v_lshlrev_b64 v[26:27], v10, v[24:25]
	v_lshlrev_b32_e32 v16, 8, v24
	v_lshl_add_u32 v6, v6, 10, v38
	v_lshlrev_b32_e32 v10, 7, v26
	v_and_or_b32 v6, v16, s17, v6
	v_and_or_b32 v6, v10, s22, v6
	v_cvt_f32_f16_e32 v28, v6
.LBB281_601:                            ;   in Loop: Header=BB281_427 Depth=1
	s_or_b64 exec, exec, s[8:9]
	v_lshrrev_b16_e32 v10, 8, v24
	v_cmp_lt_i16_e64 s[0:1], s3, v10
	s_mov_b64 s[8:9], 0
                                        ; implicit-def: $sgpr26
	s_and_saveexec_b64 s[12:13], s[0:1]
	s_xor_b64 s[12:13], exec, s[12:13]
	s_cbranch_execnz .LBB281_795
; %bb.602:                              ;   in Loop: Header=BB281_427 Depth=1
	s_or_saveexec_b64 s[12:13], s[12:13]
	v_mov_b32_e32 v30, s26
	s_xor_b64 exec, exec, s[12:13]
	s_cbranch_execnz .LBB281_798
.LBB281_603:                            ;   in Loop: Header=BB281_427 Depth=1
	s_or_b64 exec, exec, s[12:13]
	s_and_saveexec_b64 s[12:13], s[8:9]
	s_cbranch_execz .LBB281_605
.LBB281_604:                            ;   in Loop: Header=BB281_427 Depth=1
	v_and_b32_e32 v6, 7, v10
	v_ffbh_u32_e32 v19, v6
	v_bfe_u32 v16, v10, 3, 4
	v_min_u32_e32 v19, 32, v19
	v_subrev_u32_e32 v22, 28, v19
	v_sub_u32_e32 v19, 29, v19
	v_cmp_eq_u32_e64 s[0:1], 0, v16
	v_lshlrev_b64 v[26:27], v22, v[10:11]
	v_and_b32_e32 v22, 7, v26
	v_cndmask_b32_e64 v16, v16, v19, s[0:1]
	v_lshlrev_b32_e32 v10, 8, v10
	v_lshl_add_u32 v16, v16, 10, v38
	v_cndmask_b32_e64 v6, v6, v22, s[0:1]
	v_and_or_b32 v10, v10, s17, v16
	v_lshl_or_b32 v6, v6, 7, v10
	v_cvt_f32_f16_e32 v30, v6
.LBB281_605:                            ;   in Loop: Header=BB281_427 Depth=1
	s_or_b64 exec, exec, s[12:13]
	v_lshrrev_b32_e32 v10, 16, v24
	v_cmp_gt_i16_sdwa s[8:9], v10, s3 src0_sel:BYTE_0 src1_sel:DWORD
	s_mov_b64 s[0:1], 0
                                        ; implicit-def: $sgpr20
	s_and_saveexec_b64 s[12:13], s[8:9]
	s_xor_b64 s[8:9], exec, s[12:13]
	s_cbranch_execnz .LBB281_799
; %bb.606:                              ;   in Loop: Header=BB281_427 Depth=1
	s_or_saveexec_b64 s[8:9], s[8:9]
	v_mov_b32_e32 v29, s20
	s_xor_b64 exec, exec, s[8:9]
	s_cbranch_execnz .LBB281_802
.LBB281_607:                            ;   in Loop: Header=BB281_427 Depth=1
	s_or_b64 exec, exec, s[8:9]
	s_and_saveexec_b64 s[8:9], s[0:1]
	s_cbranch_execz .LBB281_609
.LBB281_608:                            ;   in Loop: Header=BB281_427 Depth=1
	v_bfe_u32 v6, v24, 16, 3
	v_ffbh_u32_e32 v19, v6
	v_bfe_u32 v16, v24, 19, 4
	v_min_u32_e32 v19, 32, v19
	v_subrev_u32_e32 v22, 28, v19
	v_sub_u32_e32 v19, 29, v19
	v_cmp_eq_u32_e64 s[0:1], 0, v16
	v_lshlrev_b64 v[26:27], v22, v[10:11]
	v_and_b32_e32 v22, 7, v26
	v_cndmask_b32_e64 v16, v16, v19, s[0:1]
	v_lshlrev_b32_e32 v10, 8, v10
	v_lshl_add_u32 v16, v16, 10, v38
	v_cndmask_b32_e64 v6, v6, v22, s[0:1]
	v_and_or_b32 v10, v10, s17, v16
	v_lshl_or_b32 v6, v6, 7, v10
	v_cvt_f32_f16_e32 v29, v6
.LBB281_609:                            ;   in Loop: Header=BB281_427 Depth=1
	s_or_b64 exec, exec, s[8:9]
	v_lshrrev_b32_e32 v10, 24, v24
	v_cmp_lt_i16_e64 s[0:1], s3, v10
	s_mov_b64 s[8:9], 0
                                        ; implicit-def: $sgpr26
	s_and_saveexec_b64 s[12:13], s[0:1]
	s_xor_b64 s[12:13], exec, s[12:13]
	s_cbranch_execnz .LBB281_803
; %bb.610:                              ;   in Loop: Header=BB281_427 Depth=1
	s_or_saveexec_b64 s[12:13], s[12:13]
	v_mov_b32_e32 v31, s26
	s_xor_b64 exec, exec, s[12:13]
	s_cbranch_execnz .LBB281_806
.LBB281_611:                            ;   in Loop: Header=BB281_427 Depth=1
	s_or_b64 exec, exec, s[12:13]
	s_and_saveexec_b64 s[12:13], s[8:9]
	s_cbranch_execz .LBB281_613
.LBB281_612:                            ;   in Loop: Header=BB281_427 Depth=1
	v_bfe_u32 v6, v24, 24, 3
	v_ffbh_u32_e32 v19, v6
	v_bfe_u32 v16, v24, 27, 4
	v_min_u32_e32 v19, 32, v19
	v_subrev_u32_e32 v22, 28, v19
	v_sub_u32_e32 v19, 29, v19
	v_cmp_eq_u32_e64 s[0:1], 0, v16
	v_lshlrev_b64 v[26:27], v22, v[10:11]
	v_and_b32_e32 v22, 7, v26
	v_cndmask_b32_e64 v16, v16, v19, s[0:1]
	v_lshlrev_b32_e32 v10, 8, v10
	v_lshl_add_u32 v16, v16, 10, v38
	v_cndmask_b32_e64 v6, v6, v22, s[0:1]
	v_and_or_b32 v10, v10, s17, v16
	v_lshl_or_b32 v6, v6, 7, v10
	v_cvt_f32_f16_e32 v31, v6
.LBB281_613:                            ;   in Loop: Header=BB281_427 Depth=1
	s_or_b64 exec, exec, s[12:13]
	v_cmp_gt_i16_sdwa s[8:9], v25, s3 src0_sel:BYTE_0 src1_sel:DWORD
	s_mov_b64 s[0:1], 0
                                        ; implicit-def: $sgpr20
	s_and_saveexec_b64 s[12:13], s[8:9]
	s_xor_b64 s[8:9], exec, s[12:13]
	s_cbranch_execnz .LBB281_807
; %bb.614:                              ;   in Loop: Header=BB281_427 Depth=1
	s_or_saveexec_b64 s[8:9], s[8:9]
	v_mov_b32_e32 v19, s20
	s_xor_b64 exec, exec, s[8:9]
	s_cbranch_execnz .LBB281_810
.LBB281_615:                            ;   in Loop: Header=BB281_427 Depth=1
	s_or_b64 exec, exec, s[8:9]
	v_mov_b32_e32 v10, v25
	s_and_saveexec_b64 s[8:9], s[0:1]
	s_cbranch_execz .LBB281_617
.LBB281_616:                            ;   in Loop: Header=BB281_427 Depth=1
	v_and_b32_e32 v6, 7, v25
	v_ffbh_u32_e32 v6, v6
	v_bfe_u32 v16, v25, 3, 4
	v_min_u32_e32 v6, 32, v6
	v_subrev_u32_e32 v19, 28, v6
	v_sub_u32_e32 v6, 29, v6
	v_cmp_eq_u32_e64 s[0:1], 0, v16
	s_nop 1
	v_cndmask_b32_e64 v6, v16, v6, s[0:1]
	v_cndmask_b32_e64 v16, 0, v19, s[0:1]
	v_lshlrev_b64 v[26:27], v16, v[10:11]
	v_lshlrev_b32_e32 v19, 8, v25
	v_lshl_add_u32 v6, v6, 10, v38
	v_lshlrev_b32_e32 v16, 7, v26
	v_and_or_b32 v6, v19, s17, v6
	v_and_or_b32 v6, v16, s22, v6
	v_cvt_f32_f16_e32 v19, v6
.LBB281_617:                            ;   in Loop: Header=BB281_427 Depth=1
	s_or_b64 exec, exec, s[8:9]
	v_lshrrev_b16_e32 v10, 8, v10
	v_cmp_lt_i16_e64 s[0:1], s3, v10
	s_mov_b64 s[8:9], 0
                                        ; implicit-def: $sgpr26
	s_and_saveexec_b64 s[12:13], s[0:1]
	s_xor_b64 s[12:13], exec, s[12:13]
	s_cbranch_execnz .LBB281_811
; %bb.618:                              ;   in Loop: Header=BB281_427 Depth=1
	s_or_saveexec_b64 s[12:13], s[12:13]
	v_mov_b32_e32 v22, s26
	s_xor_b64 exec, exec, s[12:13]
	s_cbranch_execnz .LBB281_814
.LBB281_619:                            ;   in Loop: Header=BB281_427 Depth=1
	s_or_b64 exec, exec, s[12:13]
	s_and_saveexec_b64 s[12:13], s[8:9]
	s_cbranch_execz .LBB281_621
.LBB281_620:                            ;   in Loop: Header=BB281_427 Depth=1
	v_and_b32_e32 v6, 7, v10
	v_ffbh_u32_e32 v22, v6
	v_bfe_u32 v16, v10, 3, 4
	v_min_u32_e32 v22, 32, v22
	v_subrev_u32_e32 v24, 28, v22
	v_sub_u32_e32 v22, 29, v22
	v_cmp_eq_u32_e64 s[0:1], 0, v16
	v_lshlrev_b64 v[26:27], v24, v[10:11]
	v_and_b32_e32 v24, 7, v26
	v_cndmask_b32_e64 v16, v16, v22, s[0:1]
	v_lshlrev_b32_e32 v10, 8, v10
	v_lshl_add_u32 v16, v16, 10, v38
	v_cndmask_b32_e64 v6, v6, v24, s[0:1]
	v_and_or_b32 v10, v10, s17, v16
	v_lshl_or_b32 v6, v6, 7, v10
	v_cvt_f32_f16_e32 v22, v6
.LBB281_621:                            ;   in Loop: Header=BB281_427 Depth=1
	s_or_b64 exec, exec, s[12:13]
	v_lshrrev_b32_e32 v10, 16, v25
	v_cmp_gt_i16_sdwa s[8:9], v10, s3 src0_sel:BYTE_0 src1_sel:DWORD
	s_mov_b64 s[0:1], 0
                                        ; implicit-def: $sgpr20
	s_and_saveexec_b64 s[12:13], s[8:9]
	s_xor_b64 s[8:9], exec, s[12:13]
	s_cbranch_execnz .LBB281_815
; %bb.622:                              ;   in Loop: Header=BB281_427 Depth=1
	s_or_saveexec_b64 s[8:9], s[8:9]
	v_mov_b32_e32 v24, s20
	s_xor_b64 exec, exec, s[8:9]
	s_cbranch_execnz .LBB281_818
.LBB281_623:                            ;   in Loop: Header=BB281_427 Depth=1
	s_or_b64 exec, exec, s[8:9]
	s_and_saveexec_b64 s[8:9], s[0:1]
	s_cbranch_execz .LBB281_625
.LBB281_624:                            ;   in Loop: Header=BB281_427 Depth=1
	v_bfe_u32 v6, v25, 16, 3
	v_ffbh_u32_e32 v24, v6
	v_bfe_u32 v16, v25, 19, 4
	v_min_u32_e32 v24, 32, v24
	v_subrev_u32_e32 v26, 28, v24
	v_sub_u32_e32 v24, 29, v24
	v_cmp_eq_u32_e64 s[0:1], 0, v16
	v_lshlrev_b64 v[26:27], v26, v[10:11]
	v_and_b32_e32 v26, 7, v26
	v_cndmask_b32_e64 v16, v16, v24, s[0:1]
	v_lshlrev_b32_e32 v10, 8, v10
	v_lshl_add_u32 v16, v16, 10, v38
	v_cndmask_b32_e64 v6, v6, v26, s[0:1]
	v_and_or_b32 v10, v10, s17, v16
	v_lshl_or_b32 v6, v6, 7, v10
	v_cvt_f32_f16_e32 v24, v6
.LBB281_625:                            ;   in Loop: Header=BB281_427 Depth=1
	s_or_b64 exec, exec, s[8:9]
	v_lshrrev_b32_e32 v10, 24, v25
	v_cmp_lt_i16_e64 s[0:1], s3, v10
	s_mov_b64 s[8:9], 0
                                        ; implicit-def: $sgpr26
	s_and_saveexec_b64 s[12:13], s[0:1]
	s_xor_b64 s[12:13], exec, s[12:13]
	s_cbranch_execnz .LBB281_819
; %bb.626:                              ;   in Loop: Header=BB281_427 Depth=1
	s_or_saveexec_b64 s[12:13], s[12:13]
	v_mov_b32_e32 v26, s26
	s_xor_b64 exec, exec, s[12:13]
	s_cbranch_execnz .LBB281_822
.LBB281_627:                            ;   in Loop: Header=BB281_427 Depth=1
	s_or_b64 exec, exec, s[12:13]
	s_and_saveexec_b64 s[12:13], s[8:9]
	s_cbranch_execz .LBB281_629
.LBB281_628:                            ;   in Loop: Header=BB281_427 Depth=1
	v_bfe_u32 v6, v25, 24, 3
	v_bfe_u32 v16, v25, 27, 4
	v_ffbh_u32_e32 v25, v6
	v_min_u32_e32 v25, 32, v25
	v_subrev_u32_e32 v26, 28, v25
	v_sub_u32_e32 v25, 29, v25
	v_cmp_eq_u32_e64 s[0:1], 0, v16
	v_lshlrev_b64 v[26:27], v26, v[10:11]
	v_and_b32_e32 v26, 7, v26
	v_cndmask_b32_e64 v16, v16, v25, s[0:1]
	v_lshlrev_b32_e32 v10, 8, v10
	v_lshl_add_u32 v16, v16, 10, v38
	v_cndmask_b32_e64 v6, v6, v26, s[0:1]
	v_and_or_b32 v10, v10, s17, v16
	v_lshl_or_b32 v6, v6, 7, v10
	v_cvt_f32_f16_e32 v26, v6
.LBB281_629:                            ;   in Loop: Header=BB281_427 Depth=1
	s_or_b64 exec, exec, s[12:13]
	v_pk_mul_f32 v[30:31], v[18:19], v[30:31] op_sel_hi:[0,1]
	v_pk_mul_f32 v[28:29], v[18:19], v[28:29] op_sel_hi:[0,1]
	v_cvt_f16_f32_e32 v6, v31
	v_cvt_f16_f32_e32 v10, v30
	;; [unrolled: 1-line block ×4, first 2 shown]
	v_fma_mixlo_f16 v19, v18, v19, 0
	v_pack_b32_f16 v10, v10, v6
	v_pack_b32_f16 v16, v25, v16
	v_perm_b32 v6, v16, v10, s23
	v_perm_b32 v10, v16, v10, s24
	v_fma_mixlo_f16 v16, v18, v22, 0
	v_lshlrev_b32_e32 v16, 16, v16
	v_or_b32_sdwa v19, v16, v19 dst_sel:DWORD dst_unused:UNUSED_PAD src0_sel:DWORD src1_sel:WORD_0
	v_fma_mixlo_f16 v16, v18, v26, 0
	v_fma_mixlo_f16 v22, v18, v24, 0
	v_lshlrev_b32_e32 v16, 16, v16
	v_or_b32_sdwa v18, v16, v22 dst_sel:DWORD dst_unused:UNUSED_PAD src0_sel:DWORD src1_sel:WORD_0
	s_and_saveexec_b64 s[0:1], vcc
	s_cbranch_execz .LBB281_426
; %bb.630:                              ;   in Loop: Header=BB281_427 Depth=1
	v_lshrrev_b32_e32 v16, 16, v10
	v_cmp_lt_i32_e32 vcc, v53, v13
	v_accvgpr_read_b32 v24, a8
	s_nop 0
	v_cndmask_b32_e32 v16, 0, v16, vcc
	v_cmp_lt_i32_e32 vcc, v7, v24
	s_nop 1
	v_cndmask_b32_e32 v10, 0, v10, vcc
	v_perm_b32 v10, v16, v10, s25
	v_lshrrev_b32_e32 v16, 16, v6
	v_cmp_lt_i32_e32 vcc, v52, v13
	s_nop 1
	v_cndmask_b32_e32 v16, 0, v16, vcc
	v_cmp_lt_i32_e32 vcc, v51, v24
	s_nop 1
	v_cndmask_b32_e32 v6, 0, v6, vcc
	v_perm_b32 v6, v16, v6, s25
	v_lshrrev_b32_e32 v16, 16, v19
	v_cmp_lt_i32_e32 vcc, v50, v13
	;; [unrolled: 8-line block ×3, first 2 shown]
	s_nop 1
	v_cndmask_b32_e32 v16, 0, v16, vcc
	v_cmp_lt_i32_e32 vcc, v39, v24
	s_nop 1
	v_cndmask_b32_e32 v18, 0, v22, vcc
	v_perm_b32 v18, v16, v18, s25
	s_branch .LBB281_426
.LBB281_631:                            ;   in Loop: Header=BB281_427 Depth=1
	v_cmp_eq_u16_sdwa s[26:27], v28, s15 src0_sel:BYTE_0 src1_sel:DWORD
	s_mov_b64 s[0:1], -1
                                        ; implicit-def: $sgpr20
	s_and_saveexec_b64 s[12:13], s[26:27]
; %bb.632:                              ;   in Loop: Header=BB281_427 Depth=1
	s_mov_b32 s20, 0x7fc02000
	s_xor_b64 s[0:1], exec, -1
; %bb.633:                              ;   in Loop: Header=BB281_427 Depth=1
	s_or_b64 exec, exec, s[12:13]
	s_and_b64 s[0:1], s[0:1], exec
	s_or_saveexec_b64 s[8:9], s[8:9]
	v_mov_b32_e32 v30, s20
	s_xor_b64 exec, exec, s[8:9]
	s_cbranch_execz .LBB281_429
.LBB281_634:                            ;   in Loop: Header=BB281_427 Depth=1
	v_cmp_ne_u16_sdwa s[12:13], v28, v11 src0_sel:BYTE_0 src1_sel:DWORD
	s_andn2_b64 s[0:1], s[0:1], exec
	s_and_b64 s[12:13], s[12:13], exec
	v_mov_b32_e32 v30, 0
	s_or_b64 s[0:1], s[0:1], s[12:13]
	s_or_b64 exec, exec, s[8:9]
	s_and_saveexec_b64 s[8:9], s[0:1]
	s_cbranch_execnz .LBB281_430
	s_branch .LBB281_431
.LBB281_635:                            ;   in Loop: Header=BB281_427 Depth=1
	v_cmp_eq_u16_e32 vcc, s15, v10
	s_mov_b64 s[0:1], -1
                                        ; implicit-def: $sgpr20
	s_and_saveexec_b64 s[12:13], vcc
; %bb.636:                              ;   in Loop: Header=BB281_427 Depth=1
	s_mov_b32 s20, 0x7fc02000
	s_xor_b64 s[0:1], exec, -1
; %bb.637:                              ;   in Loop: Header=BB281_427 Depth=1
	s_or_b64 exec, exec, s[12:13]
	s_and_b64 s[0:1], s[0:1], exec
	s_or_saveexec_b64 s[8:9], s[8:9]
	v_mov_b32_e32 v32, s20
	s_xor_b64 exec, exec, s[8:9]
	s_cbranch_execz .LBB281_433
.LBB281_638:                            ;   in Loop: Header=BB281_427 Depth=1
	v_cmp_ne_u16_e32 vcc, 0, v10
	s_andn2_b64 s[0:1], s[0:1], exec
	s_and_b64 s[12:13], vcc, exec
	v_mov_b32_e32 v32, 0
	s_or_b64 s[0:1], s[0:1], s[12:13]
	s_or_b64 exec, exec, s[8:9]
	s_and_saveexec_b64 s[8:9], s[0:1]
	s_cbranch_execnz .LBB281_434
	s_branch .LBB281_435
.LBB281_639:                            ;   in Loop: Header=BB281_427 Depth=1
	v_cmp_eq_u16_sdwa s[26:27], v10, s15 src0_sel:BYTE_0 src1_sel:DWORD
	s_mov_b64 s[0:1], -1
                                        ; implicit-def: $sgpr20
	s_and_saveexec_b64 s[12:13], s[26:27]
; %bb.640:                              ;   in Loop: Header=BB281_427 Depth=1
	s_mov_b32 s20, 0x7fc02000
	s_xor_b64 s[0:1], exec, -1
; %bb.641:                              ;   in Loop: Header=BB281_427 Depth=1
	s_or_b64 exec, exec, s[12:13]
	s_and_b64 s[0:1], s[0:1], exec
	s_or_saveexec_b64 s[8:9], s[8:9]
	v_mov_b32_e32 v31, s20
	s_xor_b64 exec, exec, s[8:9]
	s_cbranch_execz .LBB281_437
.LBB281_642:                            ;   in Loop: Header=BB281_427 Depth=1
	v_cmp_ne_u16_sdwa s[12:13], v10, v11 src0_sel:BYTE_0 src1_sel:DWORD
	s_andn2_b64 s[0:1], s[0:1], exec
	s_and_b64 s[12:13], s[12:13], exec
	v_mov_b32_e32 v31, 0
	s_or_b64 s[0:1], s[0:1], s[12:13]
	s_or_b64 exec, exec, s[8:9]
	s_and_saveexec_b64 s[8:9], s[0:1]
	s_cbranch_execnz .LBB281_438
	s_branch .LBB281_439
.LBB281_643:                            ;   in Loop: Header=BB281_427 Depth=1
	v_cmp_eq_u16_e32 vcc, s15, v10
	s_mov_b64 s[0:1], -1
                                        ; implicit-def: $sgpr20
	s_and_saveexec_b64 s[12:13], vcc
; %bb.644:                              ;   in Loop: Header=BB281_427 Depth=1
	s_mov_b32 s20, 0x7fc02000
	s_xor_b64 s[0:1], exec, -1
; %bb.645:                              ;   in Loop: Header=BB281_427 Depth=1
	s_or_b64 exec, exec, s[12:13]
	s_and_b64 s[0:1], s[0:1], exec
	s_or_saveexec_b64 s[8:9], s[8:9]
	v_mov_b32_e32 v33, s20
	s_xor_b64 exec, exec, s[8:9]
	s_cbranch_execz .LBB281_441
.LBB281_646:                            ;   in Loop: Header=BB281_427 Depth=1
	v_cmp_ne_u16_e32 vcc, 0, v10
	s_andn2_b64 s[0:1], s[0:1], exec
	s_and_b64 s[12:13], vcc, exec
	v_mov_b32_e32 v33, 0
	s_or_b64 s[0:1], s[0:1], s[12:13]
	s_or_b64 exec, exec, s[8:9]
	s_and_saveexec_b64 s[8:9], s[0:1]
	s_cbranch_execnz .LBB281_442
	s_branch .LBB281_443
.LBB281_647:                            ;   in Loop: Header=BB281_427 Depth=1
	v_cmp_eq_u16_sdwa s[26:27], v29, s15 src0_sel:BYTE_0 src1_sel:DWORD
	s_mov_b64 s[0:1], -1
                                        ; implicit-def: $sgpr20
	s_and_saveexec_b64 s[12:13], s[26:27]
; %bb.648:                              ;   in Loop: Header=BB281_427 Depth=1
	s_mov_b32 s20, 0x7fc02000
	s_xor_b64 s[0:1], exec, -1
; %bb.649:                              ;   in Loop: Header=BB281_427 Depth=1
	s_or_b64 exec, exec, s[12:13]
	s_and_b64 s[0:1], s[0:1], exec
	s_or_saveexec_b64 s[8:9], s[8:9]
	v_mov_b32_e32 v22, s20
	s_xor_b64 exec, exec, s[8:9]
	s_cbranch_execz .LBB281_445
.LBB281_650:                            ;   in Loop: Header=BB281_427 Depth=1
	v_cmp_ne_u16_sdwa s[12:13], v29, v11 src0_sel:BYTE_0 src1_sel:DWORD
	s_andn2_b64 s[0:1], s[0:1], exec
	s_and_b64 s[12:13], s[12:13], exec
	v_mov_b32_e32 v22, 0
	s_or_b64 s[0:1], s[0:1], s[12:13]
	s_or_b64 exec, exec, s[8:9]
	v_mov_b32_e32 v10, v29
	s_and_saveexec_b64 s[8:9], s[0:1]
	s_cbranch_execnz .LBB281_446
	s_branch .LBB281_447
.LBB281_651:                            ;   in Loop: Header=BB281_427 Depth=1
	v_cmp_eq_u16_e32 vcc, s15, v10
	s_mov_b64 s[0:1], -1
                                        ; implicit-def: $sgpr20
	s_and_saveexec_b64 s[12:13], vcc
; %bb.652:                              ;   in Loop: Header=BB281_427 Depth=1
	s_mov_b32 s20, 0x7fc02000
	s_xor_b64 s[0:1], exec, -1
; %bb.653:                              ;   in Loop: Header=BB281_427 Depth=1
	s_or_b64 exec, exec, s[12:13]
	s_and_b64 s[0:1], s[0:1], exec
	s_or_saveexec_b64 s[8:9], s[8:9]
	v_mov_b32_e32 v26, s20
	s_xor_b64 exec, exec, s[8:9]
	s_cbranch_execz .LBB281_449
.LBB281_654:                            ;   in Loop: Header=BB281_427 Depth=1
	v_cmp_ne_u16_e32 vcc, 0, v10
	s_andn2_b64 s[0:1], s[0:1], exec
	s_and_b64 s[12:13], vcc, exec
	v_mov_b32_e32 v26, 0
	s_or_b64 s[0:1], s[0:1], s[12:13]
	s_or_b64 exec, exec, s[8:9]
	s_and_saveexec_b64 s[8:9], s[0:1]
	s_cbranch_execnz .LBB281_450
	s_branch .LBB281_451
.LBB281_655:                            ;   in Loop: Header=BB281_427 Depth=1
	v_cmp_eq_u16_sdwa s[26:27], v10, s15 src0_sel:BYTE_0 src1_sel:DWORD
	s_mov_b64 s[0:1], -1
                                        ; implicit-def: $sgpr20
	s_and_saveexec_b64 s[12:13], s[26:27]
; %bb.656:                              ;   in Loop: Header=BB281_427 Depth=1
	s_mov_b32 s20, 0x7fc02000
	s_xor_b64 s[0:1], exec, -1
; %bb.657:                              ;   in Loop: Header=BB281_427 Depth=1
	s_or_b64 exec, exec, s[12:13]
	s_and_b64 s[0:1], s[0:1], exec
	s_or_saveexec_b64 s[8:9], s[8:9]
	v_mov_b32_e32 v27, s20
	s_xor_b64 exec, exec, s[8:9]
	s_cbranch_execz .LBB281_453
.LBB281_658:                            ;   in Loop: Header=BB281_427 Depth=1
	v_cmp_ne_u16_sdwa s[12:13], v10, v11 src0_sel:BYTE_0 src1_sel:DWORD
	s_andn2_b64 s[0:1], s[0:1], exec
	s_and_b64 s[12:13], s[12:13], exec
	v_mov_b32_e32 v27, 0
	s_or_b64 s[0:1], s[0:1], s[12:13]
	s_or_b64 exec, exec, s[8:9]
	s_and_saveexec_b64 s[8:9], s[0:1]
	s_cbranch_execnz .LBB281_454
	s_branch .LBB281_455
.LBB281_659:                            ;   in Loop: Header=BB281_427 Depth=1
	v_cmp_eq_u16_e32 vcc, s15, v10
	s_mov_b64 s[0:1], -1
                                        ; implicit-def: $sgpr20
	s_and_saveexec_b64 s[12:13], vcc
; %bb.660:                              ;   in Loop: Header=BB281_427 Depth=1
	s_mov_b32 s20, 0x7fc02000
	s_xor_b64 s[0:1], exec, -1
; %bb.661:                              ;   in Loop: Header=BB281_427 Depth=1
	s_or_b64 exec, exec, s[12:13]
	s_and_b64 s[0:1], s[0:1], exec
	s_or_saveexec_b64 s[8:9], s[8:9]
	v_mov_b32_e32 v28, s20
	s_xor_b64 exec, exec, s[8:9]
	s_cbranch_execz .LBB281_457
.LBB281_662:                            ;   in Loop: Header=BB281_427 Depth=1
	v_cmp_ne_u16_e32 vcc, 0, v10
	s_andn2_b64 s[0:1], s[0:1], exec
	s_and_b64 s[12:13], vcc, exec
	v_mov_b32_e32 v28, 0
	s_or_b64 s[0:1], s[0:1], s[12:13]
	s_or_b64 exec, exec, s[8:9]
	s_and_saveexec_b64 s[8:9], s[0:1]
	s_cbranch_execnz .LBB281_458
	s_branch .LBB281_459
.LBB281_663:                            ;   in Loop: Header=BB281_427 Depth=1
	v_cmp_eq_u16_sdwa s[26:27], v28, s15 src0_sel:BYTE_0 src1_sel:DWORD
	s_mov_b64 s[0:1], -1
                                        ; implicit-def: $sgpr20
	s_and_saveexec_b64 s[12:13], s[26:27]
; %bb.664:                              ;   in Loop: Header=BB281_427 Depth=1
	s_mov_b32 s20, 0x7fc02000
	s_xor_b64 s[0:1], exec, -1
; %bb.665:                              ;   in Loop: Header=BB281_427 Depth=1
	s_or_b64 exec, exec, s[12:13]
	s_and_b64 s[0:1], s[0:1], exec
	s_or_saveexec_b64 s[8:9], s[8:9]
	v_mov_b32_e32 v30, s20
	s_xor_b64 exec, exec, s[8:9]
	s_cbranch_execz .LBB281_463
.LBB281_666:                            ;   in Loop: Header=BB281_427 Depth=1
	v_cmp_ne_u16_sdwa s[12:13], v28, v11 src0_sel:BYTE_0 src1_sel:DWORD
	s_andn2_b64 s[0:1], s[0:1], exec
	s_and_b64 s[12:13], s[12:13], exec
	v_mov_b32_e32 v30, 0
	s_or_b64 s[0:1], s[0:1], s[12:13]
	s_or_b64 exec, exec, s[8:9]
	s_and_saveexec_b64 s[8:9], s[0:1]
	s_cbranch_execnz .LBB281_464
	s_branch .LBB281_465
.LBB281_667:                            ;   in Loop: Header=BB281_427 Depth=1
	v_cmp_eq_u16_e64 s[0:1], s15, v10
	s_mov_b64 s[8:9], -1
                                        ; implicit-def: $sgpr26
	s_and_saveexec_b64 s[20:21], s[0:1]
; %bb.668:                              ;   in Loop: Header=BB281_427 Depth=1
	s_mov_b32 s26, 0x7fc02000
	s_xor_b64 s[8:9], exec, -1
; %bb.669:                              ;   in Loop: Header=BB281_427 Depth=1
	s_or_b64 exec, exec, s[20:21]
	s_and_b64 s[8:9], s[8:9], exec
	s_or_saveexec_b64 s[12:13], s[12:13]
	v_mov_b32_e32 v32, s26
	s_xor_b64 exec, exec, s[12:13]
	s_cbranch_execz .LBB281_467
.LBB281_670:                            ;   in Loop: Header=BB281_427 Depth=1
	v_cmp_ne_u16_e64 s[0:1], 0, v10
	s_andn2_b64 s[8:9], s[8:9], exec
	s_and_b64 s[0:1], s[0:1], exec
	v_mov_b32_e32 v32, 0
	s_or_b64 s[8:9], s[8:9], s[0:1]
	s_or_b64 exec, exec, s[12:13]
	s_and_saveexec_b64 s[12:13], s[8:9]
	s_cbranch_execnz .LBB281_468
	s_branch .LBB281_469
.LBB281_671:                            ;   in Loop: Header=BB281_427 Depth=1
	v_cmp_eq_u16_sdwa s[26:27], v10, s15 src0_sel:BYTE_0 src1_sel:DWORD
	s_mov_b64 s[0:1], -1
                                        ; implicit-def: $sgpr20
	s_and_saveexec_b64 s[12:13], s[26:27]
; %bb.672:                              ;   in Loop: Header=BB281_427 Depth=1
	s_mov_b32 s20, 0x7fc02000
	s_xor_b64 s[0:1], exec, -1
; %bb.673:                              ;   in Loop: Header=BB281_427 Depth=1
	s_or_b64 exec, exec, s[12:13]
	s_and_b64 s[0:1], s[0:1], exec
	s_or_saveexec_b64 s[8:9], s[8:9]
	v_mov_b32_e32 v31, s20
	s_xor_b64 exec, exec, s[8:9]
	s_cbranch_execz .LBB281_471
.LBB281_674:                            ;   in Loop: Header=BB281_427 Depth=1
	v_cmp_ne_u16_sdwa s[12:13], v10, v11 src0_sel:BYTE_0 src1_sel:DWORD
	s_andn2_b64 s[0:1], s[0:1], exec
	s_and_b64 s[12:13], s[12:13], exec
	v_mov_b32_e32 v31, 0
	s_or_b64 s[0:1], s[0:1], s[12:13]
	s_or_b64 exec, exec, s[8:9]
	s_and_saveexec_b64 s[8:9], s[0:1]
	s_cbranch_execnz .LBB281_472
	s_branch .LBB281_473
.LBB281_675:                            ;   in Loop: Header=BB281_427 Depth=1
	v_cmp_eq_u16_e64 s[0:1], s15, v10
	s_mov_b64 s[8:9], -1
                                        ; implicit-def: $sgpr26
	s_and_saveexec_b64 s[20:21], s[0:1]
; %bb.676:                              ;   in Loop: Header=BB281_427 Depth=1
	s_mov_b32 s26, 0x7fc02000
	s_xor_b64 s[8:9], exec, -1
; %bb.677:                              ;   in Loop: Header=BB281_427 Depth=1
	s_or_b64 exec, exec, s[20:21]
	s_and_b64 s[8:9], s[8:9], exec
	s_or_saveexec_b64 s[12:13], s[12:13]
	v_mov_b32_e32 v33, s26
	s_xor_b64 exec, exec, s[12:13]
	s_cbranch_execz .LBB281_475
.LBB281_678:                            ;   in Loop: Header=BB281_427 Depth=1
	v_cmp_ne_u16_e64 s[0:1], 0, v10
	s_andn2_b64 s[8:9], s[8:9], exec
	s_and_b64 s[0:1], s[0:1], exec
	v_mov_b32_e32 v33, 0
	s_or_b64 s[8:9], s[8:9], s[0:1]
	s_or_b64 exec, exec, s[12:13]
	s_and_saveexec_b64 s[12:13], s[8:9]
	s_cbranch_execnz .LBB281_476
	s_branch .LBB281_477
.LBB281_679:                            ;   in Loop: Header=BB281_427 Depth=1
	v_cmp_eq_u16_sdwa s[26:27], v29, s15 src0_sel:BYTE_0 src1_sel:DWORD
	s_mov_b64 s[0:1], -1
                                        ; implicit-def: $sgpr20
	s_and_saveexec_b64 s[12:13], s[26:27]
; %bb.680:                              ;   in Loop: Header=BB281_427 Depth=1
	s_mov_b32 s20, 0x7fc02000
	s_xor_b64 s[0:1], exec, -1
; %bb.681:                              ;   in Loop: Header=BB281_427 Depth=1
	s_or_b64 exec, exec, s[12:13]
	s_and_b64 s[0:1], s[0:1], exec
	s_or_saveexec_b64 s[8:9], s[8:9]
	v_mov_b32_e32 v4, s20
	s_xor_b64 exec, exec, s[8:9]
	s_cbranch_execz .LBB281_479
.LBB281_682:                            ;   in Loop: Header=BB281_427 Depth=1
	v_cmp_ne_u16_sdwa s[12:13], v29, v11 src0_sel:BYTE_0 src1_sel:DWORD
	s_andn2_b64 s[0:1], s[0:1], exec
	s_and_b64 s[12:13], s[12:13], exec
	v_mov_b32_e32 v4, 0
	s_or_b64 s[0:1], s[0:1], s[12:13]
	s_or_b64 exec, exec, s[8:9]
	v_mov_b32_e32 v10, v29
	s_and_saveexec_b64 s[8:9], s[0:1]
	s_cbranch_execnz .LBB281_480
	s_branch .LBB281_481
.LBB281_683:                            ;   in Loop: Header=BB281_427 Depth=1
	v_cmp_eq_u16_e64 s[0:1], s15, v10
	s_mov_b64 s[8:9], -1
                                        ; implicit-def: $sgpr26
	s_and_saveexec_b64 s[20:21], s[0:1]
; %bb.684:                              ;   in Loop: Header=BB281_427 Depth=1
	s_mov_b32 s26, 0x7fc02000
	s_xor_b64 s[8:9], exec, -1
; %bb.685:                              ;   in Loop: Header=BB281_427 Depth=1
	s_or_b64 exec, exec, s[20:21]
	s_and_b64 s[8:9], s[8:9], exec
	s_or_saveexec_b64 s[12:13], s[12:13]
	v_mov_b32_e32 v5, s26
	s_xor_b64 exec, exec, s[12:13]
	s_cbranch_execz .LBB281_483
.LBB281_686:                            ;   in Loop: Header=BB281_427 Depth=1
	v_cmp_ne_u16_e64 s[0:1], 0, v10
	s_andn2_b64 s[8:9], s[8:9], exec
	s_and_b64 s[0:1], s[0:1], exec
	v_mov_b32_e32 v5, 0
	s_or_b64 s[8:9], s[8:9], s[0:1]
	s_or_b64 exec, exec, s[12:13]
	s_and_saveexec_b64 s[12:13], s[8:9]
	s_cbranch_execnz .LBB281_484
	s_branch .LBB281_485
.LBB281_687:                            ;   in Loop: Header=BB281_427 Depth=1
	v_cmp_eq_u16_sdwa s[26:27], v10, s15 src0_sel:BYTE_0 src1_sel:DWORD
	s_mov_b64 s[0:1], -1
                                        ; implicit-def: $sgpr20
	s_and_saveexec_b64 s[12:13], s[26:27]
; %bb.688:                              ;   in Loop: Header=BB281_427 Depth=1
	s_mov_b32 s20, 0x7fc02000
	s_xor_b64 s[0:1], exec, -1
; %bb.689:                              ;   in Loop: Header=BB281_427 Depth=1
	s_or_b64 exec, exec, s[12:13]
	s_and_b64 s[0:1], s[0:1], exec
	s_or_saveexec_b64 s[8:9], s[8:9]
	v_mov_b32_e32 v12, s20
	s_xor_b64 exec, exec, s[8:9]
	s_cbranch_execz .LBB281_487
.LBB281_690:                            ;   in Loop: Header=BB281_427 Depth=1
	v_cmp_ne_u16_sdwa s[12:13], v10, v11 src0_sel:BYTE_0 src1_sel:DWORD
	s_andn2_b64 s[0:1], s[0:1], exec
	s_and_b64 s[12:13], s[12:13], exec
	v_mov_b32_e32 v12, 0
	s_or_b64 s[0:1], s[0:1], s[12:13]
	s_or_b64 exec, exec, s[8:9]
	s_and_saveexec_b64 s[8:9], s[0:1]
	s_cbranch_execnz .LBB281_488
	s_branch .LBB281_489
.LBB281_691:                            ;   in Loop: Header=BB281_427 Depth=1
	v_cmp_eq_u16_e64 s[0:1], s15, v10
	s_mov_b64 s[8:9], -1
                                        ; implicit-def: $sgpr26
	s_and_saveexec_b64 s[20:21], s[0:1]
; %bb.692:                              ;   in Loop: Header=BB281_427 Depth=1
	s_mov_b32 s26, 0x7fc02000
	s_xor_b64 s[8:9], exec, -1
; %bb.693:                              ;   in Loop: Header=BB281_427 Depth=1
	s_or_b64 exec, exec, s[20:21]
	s_and_b64 s[8:9], s[8:9], exec
	s_or_saveexec_b64 s[12:13], s[12:13]
	v_mov_b32_e32 v17, s26
	s_xor_b64 exec, exec, s[12:13]
	s_cbranch_execz .LBB281_491
.LBB281_694:                            ;   in Loop: Header=BB281_427 Depth=1
	v_cmp_ne_u16_e64 s[0:1], 0, v10
	s_andn2_b64 s[8:9], s[8:9], exec
	s_and_b64 s[0:1], s[0:1], exec
	v_mov_b32_e32 v17, 0
	s_or_b64 s[8:9], s[8:9], s[0:1]
	s_or_b64 exec, exec, s[12:13]
	s_and_saveexec_b64 s[12:13], s[8:9]
	s_cbranch_execnz .LBB281_492
	s_branch .LBB281_493
.LBB281_695:                            ;   in Loop: Header=BB281_427 Depth=1
	v_cmp_eq_u16_sdwa s[26:27], v28, s15 src0_sel:BYTE_0 src1_sel:DWORD
	s_mov_b64 s[0:1], -1
                                        ; implicit-def: $sgpr20
	s_and_saveexec_b64 s[12:13], s[26:27]
; %bb.696:                              ;   in Loop: Header=BB281_427 Depth=1
	s_mov_b32 s20, 0x7fc02000
	s_xor_b64 s[0:1], exec, -1
; %bb.697:                              ;   in Loop: Header=BB281_427 Depth=1
	s_or_b64 exec, exec, s[12:13]
	s_and_b64 s[0:1], s[0:1], exec
	s_or_saveexec_b64 s[8:9], s[8:9]
	v_mov_b32_e32 v30, s20
	s_xor_b64 exec, exec, s[8:9]
	s_cbranch_execz .LBB281_497
.LBB281_698:                            ;   in Loop: Header=BB281_427 Depth=1
	v_cmp_ne_u16_sdwa s[12:13], v28, v11 src0_sel:BYTE_0 src1_sel:DWORD
	s_andn2_b64 s[0:1], s[0:1], exec
	s_and_b64 s[12:13], s[12:13], exec
	v_mov_b32_e32 v30, 0
	s_or_b64 s[0:1], s[0:1], s[12:13]
	s_or_b64 exec, exec, s[8:9]
	s_and_saveexec_b64 s[8:9], s[0:1]
	s_cbranch_execnz .LBB281_498
	s_branch .LBB281_499
.LBB281_699:                            ;   in Loop: Header=BB281_427 Depth=1
	v_cmp_eq_u16_e64 s[0:1], s15, v10
	s_mov_b64 s[8:9], -1
                                        ; implicit-def: $sgpr26
	s_and_saveexec_b64 s[20:21], s[0:1]
; %bb.700:                              ;   in Loop: Header=BB281_427 Depth=1
	s_mov_b32 s26, 0x7fc02000
	s_xor_b64 s[8:9], exec, -1
; %bb.701:                              ;   in Loop: Header=BB281_427 Depth=1
	s_or_b64 exec, exec, s[20:21]
	s_and_b64 s[8:9], s[8:9], exec
	s_or_saveexec_b64 s[12:13], s[12:13]
	v_mov_b32_e32 v32, s26
	s_xor_b64 exec, exec, s[12:13]
	s_cbranch_execz .LBB281_501
.LBB281_702:                            ;   in Loop: Header=BB281_427 Depth=1
	v_cmp_ne_u16_e64 s[0:1], 0, v10
	s_andn2_b64 s[8:9], s[8:9], exec
	s_and_b64 s[0:1], s[0:1], exec
	v_mov_b32_e32 v32, 0
	s_or_b64 s[8:9], s[8:9], s[0:1]
	s_or_b64 exec, exec, s[12:13]
	s_and_saveexec_b64 s[12:13], s[8:9]
	s_cbranch_execnz .LBB281_502
	s_branch .LBB281_503
.LBB281_703:                            ;   in Loop: Header=BB281_427 Depth=1
	v_cmp_eq_u16_sdwa s[26:27], v10, s15 src0_sel:BYTE_0 src1_sel:DWORD
	s_mov_b64 s[0:1], -1
                                        ; implicit-def: $sgpr20
	s_and_saveexec_b64 s[12:13], s[26:27]
; %bb.704:                              ;   in Loop: Header=BB281_427 Depth=1
	s_mov_b32 s20, 0x7fc02000
	s_xor_b64 s[0:1], exec, -1
; %bb.705:                              ;   in Loop: Header=BB281_427 Depth=1
	s_or_b64 exec, exec, s[12:13]
	s_and_b64 s[0:1], s[0:1], exec
	s_or_saveexec_b64 s[8:9], s[8:9]
	v_mov_b32_e32 v31, s20
	s_xor_b64 exec, exec, s[8:9]
	s_cbranch_execz .LBB281_505
.LBB281_706:                            ;   in Loop: Header=BB281_427 Depth=1
	v_cmp_ne_u16_sdwa s[12:13], v10, v11 src0_sel:BYTE_0 src1_sel:DWORD
	s_andn2_b64 s[0:1], s[0:1], exec
	s_and_b64 s[12:13], s[12:13], exec
	v_mov_b32_e32 v31, 0
	s_or_b64 s[0:1], s[0:1], s[12:13]
	s_or_b64 exec, exec, s[8:9]
	s_and_saveexec_b64 s[8:9], s[0:1]
	s_cbranch_execnz .LBB281_506
	s_branch .LBB281_507
.LBB281_707:                            ;   in Loop: Header=BB281_427 Depth=1
	v_cmp_eq_u16_e64 s[0:1], s15, v10
	s_mov_b64 s[8:9], -1
                                        ; implicit-def: $sgpr26
	s_and_saveexec_b64 s[20:21], s[0:1]
; %bb.708:                              ;   in Loop: Header=BB281_427 Depth=1
	s_mov_b32 s26, 0x7fc02000
	s_xor_b64 s[8:9], exec, -1
; %bb.709:                              ;   in Loop: Header=BB281_427 Depth=1
	s_or_b64 exec, exec, s[20:21]
	s_and_b64 s[8:9], s[8:9], exec
	s_or_saveexec_b64 s[12:13], s[12:13]
	v_mov_b32_e32 v33, s26
	s_xor_b64 exec, exec, s[12:13]
	s_cbranch_execz .LBB281_509
.LBB281_710:                            ;   in Loop: Header=BB281_427 Depth=1
	v_cmp_ne_u16_e64 s[0:1], 0, v10
	s_andn2_b64 s[8:9], s[8:9], exec
	s_and_b64 s[0:1], s[0:1], exec
	v_mov_b32_e32 v33, 0
	s_or_b64 s[8:9], s[8:9], s[0:1]
	s_or_b64 exec, exec, s[12:13]
	s_and_saveexec_b64 s[12:13], s[8:9]
	s_cbranch_execnz .LBB281_510
	s_branch .LBB281_511
.LBB281_711:                            ;   in Loop: Header=BB281_427 Depth=1
	v_cmp_eq_u16_sdwa s[26:27], v29, s15 src0_sel:BYTE_0 src1_sel:DWORD
	s_mov_b64 s[0:1], -1
                                        ; implicit-def: $sgpr20
	s_and_saveexec_b64 s[12:13], s[26:27]
; %bb.712:                              ;   in Loop: Header=BB281_427 Depth=1
	s_mov_b32 s20, 0x7fc02000
	s_xor_b64 s[0:1], exec, -1
; %bb.713:                              ;   in Loop: Header=BB281_427 Depth=1
	s_or_b64 exec, exec, s[12:13]
	s_and_b64 s[0:1], s[0:1], exec
	s_or_saveexec_b64 s[8:9], s[8:9]
	v_mov_b32_e32 v4, s20
	s_xor_b64 exec, exec, s[8:9]
	s_cbranch_execz .LBB281_513
.LBB281_714:                            ;   in Loop: Header=BB281_427 Depth=1
	v_cmp_ne_u16_sdwa s[12:13], v29, v11 src0_sel:BYTE_0 src1_sel:DWORD
	s_andn2_b64 s[0:1], s[0:1], exec
	s_and_b64 s[12:13], s[12:13], exec
	v_mov_b32_e32 v4, 0
	s_or_b64 s[0:1], s[0:1], s[12:13]
	s_or_b64 exec, exec, s[8:9]
	v_mov_b32_e32 v10, v29
	s_and_saveexec_b64 s[8:9], s[0:1]
	s_cbranch_execnz .LBB281_514
	s_branch .LBB281_515
.LBB281_715:                            ;   in Loop: Header=BB281_427 Depth=1
	v_cmp_eq_u16_e64 s[0:1], s15, v10
	s_mov_b64 s[8:9], -1
                                        ; implicit-def: $sgpr26
	s_and_saveexec_b64 s[20:21], s[0:1]
; %bb.716:                              ;   in Loop: Header=BB281_427 Depth=1
	s_mov_b32 s26, 0x7fc02000
	s_xor_b64 s[8:9], exec, -1
; %bb.717:                              ;   in Loop: Header=BB281_427 Depth=1
	s_or_b64 exec, exec, s[20:21]
	s_and_b64 s[8:9], s[8:9], exec
	s_or_saveexec_b64 s[12:13], s[12:13]
	v_mov_b32_e32 v5, s26
	s_xor_b64 exec, exec, s[12:13]
	s_cbranch_execz .LBB281_517
.LBB281_718:                            ;   in Loop: Header=BB281_427 Depth=1
	v_cmp_ne_u16_e64 s[0:1], 0, v10
	s_andn2_b64 s[8:9], s[8:9], exec
	s_and_b64 s[0:1], s[0:1], exec
	v_mov_b32_e32 v5, 0
	s_or_b64 s[8:9], s[8:9], s[0:1]
	s_or_b64 exec, exec, s[12:13]
	s_and_saveexec_b64 s[12:13], s[8:9]
	s_cbranch_execnz .LBB281_518
	s_branch .LBB281_519
.LBB281_719:                            ;   in Loop: Header=BB281_427 Depth=1
	v_cmp_eq_u16_sdwa s[26:27], v10, s15 src0_sel:BYTE_0 src1_sel:DWORD
	s_mov_b64 s[0:1], -1
                                        ; implicit-def: $sgpr20
	s_and_saveexec_b64 s[12:13], s[26:27]
; %bb.720:                              ;   in Loop: Header=BB281_427 Depth=1
	s_mov_b32 s20, 0x7fc02000
	s_xor_b64 s[0:1], exec, -1
; %bb.721:                              ;   in Loop: Header=BB281_427 Depth=1
	s_or_b64 exec, exec, s[12:13]
	s_and_b64 s[0:1], s[0:1], exec
	s_or_saveexec_b64 s[8:9], s[8:9]
	v_mov_b32_e32 v12, s20
	s_xor_b64 exec, exec, s[8:9]
	s_cbranch_execz .LBB281_521
.LBB281_722:                            ;   in Loop: Header=BB281_427 Depth=1
	v_cmp_ne_u16_sdwa s[12:13], v10, v11 src0_sel:BYTE_0 src1_sel:DWORD
	s_andn2_b64 s[0:1], s[0:1], exec
	s_and_b64 s[12:13], s[12:13], exec
	v_mov_b32_e32 v12, 0
	s_or_b64 s[0:1], s[0:1], s[12:13]
	s_or_b64 exec, exec, s[8:9]
	s_and_saveexec_b64 s[8:9], s[0:1]
	s_cbranch_execnz .LBB281_522
	s_branch .LBB281_523
.LBB281_723:                            ;   in Loop: Header=BB281_427 Depth=1
	v_cmp_eq_u16_e64 s[0:1], s15, v10
	s_mov_b64 s[8:9], -1
                                        ; implicit-def: $sgpr26
	s_and_saveexec_b64 s[20:21], s[0:1]
; %bb.724:                              ;   in Loop: Header=BB281_427 Depth=1
	s_mov_b32 s26, 0x7fc02000
	s_xor_b64 s[8:9], exec, -1
; %bb.725:                              ;   in Loop: Header=BB281_427 Depth=1
	s_or_b64 exec, exec, s[20:21]
	s_and_b64 s[8:9], s[8:9], exec
	s_or_saveexec_b64 s[12:13], s[12:13]
	v_mov_b32_e32 v17, s26
	s_xor_b64 exec, exec, s[12:13]
	s_cbranch_execz .LBB281_525
.LBB281_726:                            ;   in Loop: Header=BB281_427 Depth=1
	v_cmp_ne_u16_e64 s[0:1], 0, v10
	s_andn2_b64 s[8:9], s[8:9], exec
	s_and_b64 s[0:1], s[0:1], exec
	v_mov_b32_e32 v17, 0
	s_or_b64 s[8:9], s[8:9], s[0:1]
	s_or_b64 exec, exec, s[12:13]
	s_and_saveexec_b64 s[12:13], s[8:9]
	s_cbranch_execnz .LBB281_526
	s_branch .LBB281_527
.LBB281_727:                            ;   in Loop: Header=BB281_427 Depth=1
	v_cmp_eq_u16_sdwa s[26:27], v28, s15 src0_sel:BYTE_0 src1_sel:DWORD
	s_mov_b64 s[0:1], -1
                                        ; implicit-def: $sgpr20
	s_and_saveexec_b64 s[12:13], s[26:27]
; %bb.728:                              ;   in Loop: Header=BB281_427 Depth=1
	s_mov_b32 s20, 0x7fc02000
	s_xor_b64 s[0:1], exec, -1
; %bb.729:                              ;   in Loop: Header=BB281_427 Depth=1
	s_or_b64 exec, exec, s[12:13]
	s_and_b64 s[0:1], s[0:1], exec
	s_or_saveexec_b64 s[8:9], s[8:9]
	v_mov_b32_e32 v30, s20
	s_xor_b64 exec, exec, s[8:9]
	s_cbranch_execz .LBB281_531
.LBB281_730:                            ;   in Loop: Header=BB281_427 Depth=1
	v_cmp_ne_u16_sdwa s[12:13], v28, v11 src0_sel:BYTE_0 src1_sel:DWORD
	s_andn2_b64 s[0:1], s[0:1], exec
	s_and_b64 s[12:13], s[12:13], exec
	v_mov_b32_e32 v30, 0
	s_or_b64 s[0:1], s[0:1], s[12:13]
	s_or_b64 exec, exec, s[8:9]
	s_and_saveexec_b64 s[8:9], s[0:1]
	s_cbranch_execnz .LBB281_532
	s_branch .LBB281_533
.LBB281_731:                            ;   in Loop: Header=BB281_427 Depth=1
	v_cmp_eq_u16_e64 s[0:1], s15, v10
	s_mov_b64 s[8:9], -1
                                        ; implicit-def: $sgpr26
	s_and_saveexec_b64 s[20:21], s[0:1]
; %bb.732:                              ;   in Loop: Header=BB281_427 Depth=1
	s_mov_b32 s26, 0x7fc02000
	s_xor_b64 s[8:9], exec, -1
; %bb.733:                              ;   in Loop: Header=BB281_427 Depth=1
	s_or_b64 exec, exec, s[20:21]
	s_and_b64 s[8:9], s[8:9], exec
	s_or_saveexec_b64 s[12:13], s[12:13]
	v_mov_b32_e32 v32, s26
	s_xor_b64 exec, exec, s[12:13]
	s_cbranch_execz .LBB281_535
.LBB281_734:                            ;   in Loop: Header=BB281_427 Depth=1
	v_cmp_ne_u16_e64 s[0:1], 0, v10
	s_andn2_b64 s[8:9], s[8:9], exec
	s_and_b64 s[0:1], s[0:1], exec
	v_mov_b32_e32 v32, 0
	s_or_b64 s[8:9], s[8:9], s[0:1]
	s_or_b64 exec, exec, s[12:13]
	s_and_saveexec_b64 s[12:13], s[8:9]
	s_cbranch_execnz .LBB281_536
	s_branch .LBB281_537
.LBB281_735:                            ;   in Loop: Header=BB281_427 Depth=1
	v_cmp_eq_u16_sdwa s[26:27], v10, s15 src0_sel:BYTE_0 src1_sel:DWORD
	s_mov_b64 s[0:1], -1
                                        ; implicit-def: $sgpr20
	s_and_saveexec_b64 s[12:13], s[26:27]
; %bb.736:                              ;   in Loop: Header=BB281_427 Depth=1
	s_mov_b32 s20, 0x7fc02000
	s_xor_b64 s[0:1], exec, -1
; %bb.737:                              ;   in Loop: Header=BB281_427 Depth=1
	s_or_b64 exec, exec, s[12:13]
	s_and_b64 s[0:1], s[0:1], exec
	s_or_saveexec_b64 s[8:9], s[8:9]
	v_mov_b32_e32 v31, s20
	s_xor_b64 exec, exec, s[8:9]
	s_cbranch_execz .LBB281_539
.LBB281_738:                            ;   in Loop: Header=BB281_427 Depth=1
	v_cmp_ne_u16_sdwa s[12:13], v10, v11 src0_sel:BYTE_0 src1_sel:DWORD
	s_andn2_b64 s[0:1], s[0:1], exec
	s_and_b64 s[12:13], s[12:13], exec
	v_mov_b32_e32 v31, 0
	s_or_b64 s[0:1], s[0:1], s[12:13]
	s_or_b64 exec, exec, s[8:9]
	s_and_saveexec_b64 s[8:9], s[0:1]
	s_cbranch_execnz .LBB281_540
	s_branch .LBB281_541
.LBB281_739:                            ;   in Loop: Header=BB281_427 Depth=1
	v_cmp_eq_u16_e64 s[0:1], s15, v10
	s_mov_b64 s[8:9], -1
                                        ; implicit-def: $sgpr26
	s_and_saveexec_b64 s[20:21], s[0:1]
; %bb.740:                              ;   in Loop: Header=BB281_427 Depth=1
	s_mov_b32 s26, 0x7fc02000
	s_xor_b64 s[8:9], exec, -1
; %bb.741:                              ;   in Loop: Header=BB281_427 Depth=1
	s_or_b64 exec, exec, s[20:21]
	s_and_b64 s[8:9], s[8:9], exec
	s_or_saveexec_b64 s[12:13], s[12:13]
	v_mov_b32_e32 v33, s26
	s_xor_b64 exec, exec, s[12:13]
	s_cbranch_execz .LBB281_543
.LBB281_742:                            ;   in Loop: Header=BB281_427 Depth=1
	v_cmp_ne_u16_e64 s[0:1], 0, v10
	s_andn2_b64 s[8:9], s[8:9], exec
	s_and_b64 s[0:1], s[0:1], exec
	v_mov_b32_e32 v33, 0
	s_or_b64 s[8:9], s[8:9], s[0:1]
	s_or_b64 exec, exec, s[12:13]
	s_and_saveexec_b64 s[12:13], s[8:9]
	s_cbranch_execnz .LBB281_544
	s_branch .LBB281_545
.LBB281_743:                            ;   in Loop: Header=BB281_427 Depth=1
	v_cmp_eq_u16_sdwa s[26:27], v29, s15 src0_sel:BYTE_0 src1_sel:DWORD
	s_mov_b64 s[0:1], -1
                                        ; implicit-def: $sgpr20
	s_and_saveexec_b64 s[12:13], s[26:27]
; %bb.744:                              ;   in Loop: Header=BB281_427 Depth=1
	s_mov_b32 s20, 0x7fc02000
	s_xor_b64 s[0:1], exec, -1
; %bb.745:                              ;   in Loop: Header=BB281_427 Depth=1
	s_or_b64 exec, exec, s[12:13]
	s_and_b64 s[0:1], s[0:1], exec
	s_or_saveexec_b64 s[8:9], s[8:9]
	v_mov_b32_e32 v12, s20
	s_xor_b64 exec, exec, s[8:9]
	s_cbranch_execz .LBB281_547
.LBB281_746:                            ;   in Loop: Header=BB281_427 Depth=1
	v_cmp_ne_u16_sdwa s[12:13], v29, v11 src0_sel:BYTE_0 src1_sel:DWORD
	s_andn2_b64 s[0:1], s[0:1], exec
	s_and_b64 s[12:13], s[12:13], exec
	v_mov_b32_e32 v12, 0
	s_or_b64 s[0:1], s[0:1], s[12:13]
	s_or_b64 exec, exec, s[8:9]
	v_mov_b32_e32 v10, v29
	s_and_saveexec_b64 s[8:9], s[0:1]
	s_cbranch_execnz .LBB281_548
	s_branch .LBB281_549
.LBB281_747:                            ;   in Loop: Header=BB281_427 Depth=1
	v_cmp_eq_u16_e64 s[0:1], s15, v10
	s_mov_b64 s[8:9], -1
                                        ; implicit-def: $sgpr26
	s_and_saveexec_b64 s[20:21], s[0:1]
; %bb.748:                              ;   in Loop: Header=BB281_427 Depth=1
	s_mov_b32 s26, 0x7fc02000
	s_xor_b64 s[8:9], exec, -1
; %bb.749:                              ;   in Loop: Header=BB281_427 Depth=1
	s_or_b64 exec, exec, s[20:21]
	s_and_b64 s[8:9], s[8:9], exec
	s_or_saveexec_b64 s[12:13], s[12:13]
	v_mov_b32_e32 v17, s26
	s_xor_b64 exec, exec, s[12:13]
	s_cbranch_execz .LBB281_551
.LBB281_750:                            ;   in Loop: Header=BB281_427 Depth=1
	v_cmp_ne_u16_e64 s[0:1], 0, v10
	s_andn2_b64 s[8:9], s[8:9], exec
	s_and_b64 s[0:1], s[0:1], exec
	v_mov_b32_e32 v17, 0
	s_or_b64 s[8:9], s[8:9], s[0:1]
	s_or_b64 exec, exec, s[12:13]
	s_and_saveexec_b64 s[12:13], s[8:9]
	s_cbranch_execnz .LBB281_552
	s_branch .LBB281_553
.LBB281_751:                            ;   in Loop: Header=BB281_427 Depth=1
	v_cmp_eq_u16_sdwa s[26:27], v10, s15 src0_sel:BYTE_0 src1_sel:DWORD
	s_mov_b64 s[0:1], -1
                                        ; implicit-def: $sgpr20
	s_and_saveexec_b64 s[12:13], s[26:27]
; %bb.752:                              ;   in Loop: Header=BB281_427 Depth=1
	s_mov_b32 s20, 0x7fc02000
	s_xor_b64 s[0:1], exec, -1
; %bb.753:                              ;   in Loop: Header=BB281_427 Depth=1
	s_or_b64 exec, exec, s[12:13]
	s_and_b64 s[0:1], s[0:1], exec
	s_or_saveexec_b64 s[8:9], s[8:9]
	v_mov_b32_e32 v22, s20
	s_xor_b64 exec, exec, s[8:9]
	s_cbranch_execz .LBB281_555
.LBB281_754:                            ;   in Loop: Header=BB281_427 Depth=1
	v_cmp_ne_u16_sdwa s[12:13], v10, v11 src0_sel:BYTE_0 src1_sel:DWORD
	s_andn2_b64 s[0:1], s[0:1], exec
	s_and_b64 s[12:13], s[12:13], exec
	v_mov_b32_e32 v22, 0
	s_or_b64 s[0:1], s[0:1], s[12:13]
	s_or_b64 exec, exec, s[8:9]
	s_and_saveexec_b64 s[8:9], s[0:1]
	s_cbranch_execnz .LBB281_556
	s_branch .LBB281_557
.LBB281_755:                            ;   in Loop: Header=BB281_427 Depth=1
	v_cmp_eq_u16_e64 s[0:1], s15, v10
	s_mov_b64 s[8:9], -1
                                        ; implicit-def: $sgpr26
	s_and_saveexec_b64 s[20:21], s[0:1]
; %bb.756:                              ;   in Loop: Header=BB281_427 Depth=1
	s_mov_b32 s26, 0x7fc02000
	s_xor_b64 s[8:9], exec, -1
; %bb.757:                              ;   in Loop: Header=BB281_427 Depth=1
	s_or_b64 exec, exec, s[20:21]
	s_and_b64 s[8:9], s[8:9], exec
	s_or_saveexec_b64 s[12:13], s[12:13]
	v_mov_b32_e32 v26, s26
	s_xor_b64 exec, exec, s[12:13]
	s_cbranch_execz .LBB281_559
.LBB281_758:                            ;   in Loop: Header=BB281_427 Depth=1
	v_cmp_ne_u16_e64 s[0:1], 0, v10
	s_andn2_b64 s[8:9], s[8:9], exec
	s_and_b64 s[0:1], s[0:1], exec
	v_mov_b32_e32 v26, 0
	s_or_b64 s[8:9], s[8:9], s[0:1]
	s_or_b64 exec, exec, s[12:13]
	s_and_saveexec_b64 s[12:13], s[8:9]
	s_cbranch_execnz .LBB281_560
	s_branch .LBB281_561
.LBB281_759:                            ;   in Loop: Header=BB281_427 Depth=1
	v_cmp_eq_u16_sdwa s[26:27], v28, s15 src0_sel:BYTE_0 src1_sel:DWORD
	s_mov_b64 s[0:1], -1
                                        ; implicit-def: $sgpr20
	s_and_saveexec_b64 s[12:13], s[26:27]
; %bb.760:                              ;   in Loop: Header=BB281_427 Depth=1
	s_mov_b32 s20, 0x7fc02000
	s_xor_b64 s[0:1], exec, -1
; %bb.761:                              ;   in Loop: Header=BB281_427 Depth=1
	s_or_b64 exec, exec, s[12:13]
	s_and_b64 s[0:1], s[0:1], exec
	s_or_saveexec_b64 s[8:9], s[8:9]
	v_mov_b32_e32 v30, s20
	s_xor_b64 exec, exec, s[8:9]
	s_cbranch_execz .LBB281_565
.LBB281_762:                            ;   in Loop: Header=BB281_427 Depth=1
	v_cmp_ne_u16_sdwa s[12:13], v28, v11 src0_sel:BYTE_0 src1_sel:DWORD
	s_andn2_b64 s[0:1], s[0:1], exec
	s_and_b64 s[12:13], s[12:13], exec
	v_mov_b32_e32 v30, 0
	s_or_b64 s[0:1], s[0:1], s[12:13]
	s_or_b64 exec, exec, s[8:9]
	s_and_saveexec_b64 s[8:9], s[0:1]
	s_cbranch_execnz .LBB281_566
	s_branch .LBB281_567
.LBB281_763:                            ;   in Loop: Header=BB281_427 Depth=1
	v_cmp_eq_u16_e64 s[0:1], s15, v10
	s_mov_b64 s[8:9], -1
                                        ; implicit-def: $sgpr26
	s_and_saveexec_b64 s[20:21], s[0:1]
; %bb.764:                              ;   in Loop: Header=BB281_427 Depth=1
	s_mov_b32 s26, 0x7fc02000
	s_xor_b64 s[8:9], exec, -1
; %bb.765:                              ;   in Loop: Header=BB281_427 Depth=1
	s_or_b64 exec, exec, s[20:21]
	s_and_b64 s[8:9], s[8:9], exec
	s_or_saveexec_b64 s[12:13], s[12:13]
	v_mov_b32_e32 v32, s26
	s_xor_b64 exec, exec, s[12:13]
	s_cbranch_execz .LBB281_569
.LBB281_766:                            ;   in Loop: Header=BB281_427 Depth=1
	v_cmp_ne_u16_e64 s[0:1], 0, v10
	s_andn2_b64 s[8:9], s[8:9], exec
	s_and_b64 s[0:1], s[0:1], exec
	v_mov_b32_e32 v32, 0
	s_or_b64 s[8:9], s[8:9], s[0:1]
	s_or_b64 exec, exec, s[12:13]
	s_and_saveexec_b64 s[12:13], s[8:9]
	s_cbranch_execnz .LBB281_570
	s_branch .LBB281_571
.LBB281_767:                            ;   in Loop: Header=BB281_427 Depth=1
	v_cmp_eq_u16_sdwa s[26:27], v10, s15 src0_sel:BYTE_0 src1_sel:DWORD
	s_mov_b64 s[0:1], -1
                                        ; implicit-def: $sgpr20
	s_and_saveexec_b64 s[12:13], s[26:27]
; %bb.768:                              ;   in Loop: Header=BB281_427 Depth=1
	s_mov_b32 s20, 0x7fc02000
	s_xor_b64 s[0:1], exec, -1
; %bb.769:                              ;   in Loop: Header=BB281_427 Depth=1
	s_or_b64 exec, exec, s[12:13]
	s_and_b64 s[0:1], s[0:1], exec
	s_or_saveexec_b64 s[8:9], s[8:9]
	v_mov_b32_e32 v31, s20
	s_xor_b64 exec, exec, s[8:9]
	s_cbranch_execz .LBB281_573
.LBB281_770:                            ;   in Loop: Header=BB281_427 Depth=1
	v_cmp_ne_u16_sdwa s[12:13], v10, v11 src0_sel:BYTE_0 src1_sel:DWORD
	s_andn2_b64 s[0:1], s[0:1], exec
	s_and_b64 s[12:13], s[12:13], exec
	v_mov_b32_e32 v31, 0
	s_or_b64 s[0:1], s[0:1], s[12:13]
	s_or_b64 exec, exec, s[8:9]
	s_and_saveexec_b64 s[8:9], s[0:1]
	s_cbranch_execnz .LBB281_574
	s_branch .LBB281_575
.LBB281_771:                            ;   in Loop: Header=BB281_427 Depth=1
	v_cmp_eq_u16_e64 s[0:1], s15, v10
	s_mov_b64 s[8:9], -1
                                        ; implicit-def: $sgpr26
	s_and_saveexec_b64 s[20:21], s[0:1]
; %bb.772:                              ;   in Loop: Header=BB281_427 Depth=1
	s_mov_b32 s26, 0x7fc02000
	s_xor_b64 s[8:9], exec, -1
; %bb.773:                              ;   in Loop: Header=BB281_427 Depth=1
	s_or_b64 exec, exec, s[20:21]
	s_and_b64 s[8:9], s[8:9], exec
	s_or_saveexec_b64 s[12:13], s[12:13]
	v_mov_b32_e32 v33, s26
	s_xor_b64 exec, exec, s[12:13]
	s_cbranch_execz .LBB281_577
.LBB281_774:                            ;   in Loop: Header=BB281_427 Depth=1
	v_cmp_ne_u16_e64 s[0:1], 0, v10
	s_andn2_b64 s[8:9], s[8:9], exec
	s_and_b64 s[0:1], s[0:1], exec
	v_mov_b32_e32 v33, 0
	s_or_b64 s[8:9], s[8:9], s[0:1]
	s_or_b64 exec, exec, s[12:13]
	s_and_saveexec_b64 s[12:13], s[8:9]
	s_cbranch_execnz .LBB281_578
	s_branch .LBB281_579
.LBB281_775:                            ;   in Loop: Header=BB281_427 Depth=1
	v_cmp_eq_u16_sdwa s[26:27], v29, s15 src0_sel:BYTE_0 src1_sel:DWORD
	s_mov_b64 s[0:1], -1
                                        ; implicit-def: $sgpr20
	s_and_saveexec_b64 s[12:13], s[26:27]
; %bb.776:                              ;   in Loop: Header=BB281_427 Depth=1
	s_mov_b32 s20, 0x7fc02000
	s_xor_b64 s[0:1], exec, -1
; %bb.777:                              ;   in Loop: Header=BB281_427 Depth=1
	s_or_b64 exec, exec, s[12:13]
	s_and_b64 s[0:1], s[0:1], exec
	s_or_saveexec_b64 s[8:9], s[8:9]
	v_mov_b32_e32 v22, s20
	s_xor_b64 exec, exec, s[8:9]
	s_cbranch_execz .LBB281_581
.LBB281_778:                            ;   in Loop: Header=BB281_427 Depth=1
	v_cmp_ne_u16_sdwa s[12:13], v29, v11 src0_sel:BYTE_0 src1_sel:DWORD
	s_andn2_b64 s[0:1], s[0:1], exec
	s_and_b64 s[12:13], s[12:13], exec
	v_mov_b32_e32 v22, 0
	s_or_b64 s[0:1], s[0:1], s[12:13]
	s_or_b64 exec, exec, s[8:9]
	v_mov_b32_e32 v10, v29
	s_and_saveexec_b64 s[8:9], s[0:1]
	s_cbranch_execnz .LBB281_582
	s_branch .LBB281_583
.LBB281_779:                            ;   in Loop: Header=BB281_427 Depth=1
	v_cmp_eq_u16_e64 s[0:1], s15, v10
	s_mov_b64 s[8:9], -1
                                        ; implicit-def: $sgpr26
	s_and_saveexec_b64 s[20:21], s[0:1]
; %bb.780:                              ;   in Loop: Header=BB281_427 Depth=1
	s_mov_b32 s26, 0x7fc02000
	s_xor_b64 s[8:9], exec, -1
; %bb.781:                              ;   in Loop: Header=BB281_427 Depth=1
	s_or_b64 exec, exec, s[20:21]
	s_and_b64 s[8:9], s[8:9], exec
	s_or_saveexec_b64 s[12:13], s[12:13]
	v_mov_b32_e32 v25, s26
	s_xor_b64 exec, exec, s[12:13]
	s_cbranch_execz .LBB281_585
.LBB281_782:                            ;   in Loop: Header=BB281_427 Depth=1
	v_cmp_ne_u16_e64 s[0:1], 0, v10
	s_andn2_b64 s[8:9], s[8:9], exec
	s_and_b64 s[0:1], s[0:1], exec
	v_mov_b32_e32 v25, 0
	s_or_b64 s[8:9], s[8:9], s[0:1]
	s_or_b64 exec, exec, s[12:13]
	s_and_saveexec_b64 s[12:13], s[8:9]
	s_cbranch_execnz .LBB281_586
	s_branch .LBB281_587
.LBB281_783:                            ;   in Loop: Header=BB281_427 Depth=1
	v_cmp_eq_u16_sdwa s[26:27], v10, s15 src0_sel:BYTE_0 src1_sel:DWORD
	s_mov_b64 s[0:1], -1
                                        ; implicit-def: $sgpr20
	s_and_saveexec_b64 s[12:13], s[26:27]
; %bb.784:                              ;   in Loop: Header=BB281_427 Depth=1
	s_mov_b32 s20, 0x7fc02000
	s_xor_b64 s[0:1], exec, -1
; %bb.785:                              ;   in Loop: Header=BB281_427 Depth=1
	s_or_b64 exec, exec, s[12:13]
	s_and_b64 s[0:1], s[0:1], exec
	s_or_saveexec_b64 s[8:9], s[8:9]
	v_mov_b32_e32 v26, s20
	s_xor_b64 exec, exec, s[8:9]
	s_cbranch_execz .LBB281_589
.LBB281_786:                            ;   in Loop: Header=BB281_427 Depth=1
	v_cmp_ne_u16_sdwa s[12:13], v10, v11 src0_sel:BYTE_0 src1_sel:DWORD
	s_andn2_b64 s[0:1], s[0:1], exec
	s_and_b64 s[12:13], s[12:13], exec
	v_mov_b32_e32 v26, 0
	s_or_b64 s[0:1], s[0:1], s[12:13]
	s_or_b64 exec, exec, s[8:9]
	s_and_saveexec_b64 s[8:9], s[0:1]
	s_cbranch_execnz .LBB281_590
	s_branch .LBB281_591
.LBB281_787:                            ;   in Loop: Header=BB281_427 Depth=1
	v_cmp_eq_u16_e64 s[0:1], s15, v10
	s_mov_b64 s[8:9], -1
                                        ; implicit-def: $sgpr26
	s_and_saveexec_b64 s[20:21], s[0:1]
; %bb.788:                              ;   in Loop: Header=BB281_427 Depth=1
	s_mov_b32 s26, 0x7fc02000
	s_xor_b64 s[8:9], exec, -1
; %bb.789:                              ;   in Loop: Header=BB281_427 Depth=1
	s_or_b64 exec, exec, s[20:21]
	s_and_b64 s[8:9], s[8:9], exec
	s_or_saveexec_b64 s[12:13], s[12:13]
	v_mov_b32_e32 v28, s26
	s_xor_b64 exec, exec, s[12:13]
	s_cbranch_execz .LBB281_593
.LBB281_790:                            ;   in Loop: Header=BB281_427 Depth=1
	v_cmp_ne_u16_e64 s[0:1], 0, v10
	s_andn2_b64 s[8:9], s[8:9], exec
	s_and_b64 s[0:1], s[0:1], exec
	v_mov_b32_e32 v28, 0
	s_or_b64 s[8:9], s[8:9], s[0:1]
	s_or_b64 exec, exec, s[12:13]
	s_and_saveexec_b64 s[12:13], s[8:9]
	s_cbranch_execnz .LBB281_594
	s_branch .LBB281_595
.LBB281_791:                            ;   in Loop: Header=BB281_427 Depth=1
	v_cmp_eq_u16_sdwa s[26:27], v24, s15 src0_sel:BYTE_0 src1_sel:DWORD
	s_mov_b64 s[0:1], -1
                                        ; implicit-def: $sgpr20
	s_and_saveexec_b64 s[12:13], s[26:27]
; %bb.792:                              ;   in Loop: Header=BB281_427 Depth=1
	s_mov_b32 s20, 0x7fc02000
	s_xor_b64 s[0:1], exec, -1
; %bb.793:                              ;   in Loop: Header=BB281_427 Depth=1
	s_or_b64 exec, exec, s[12:13]
	s_and_b64 s[0:1], s[0:1], exec
	s_or_saveexec_b64 s[8:9], s[8:9]
	v_mov_b32_e32 v28, s20
	s_xor_b64 exec, exec, s[8:9]
	s_cbranch_execz .LBB281_599
.LBB281_794:                            ;   in Loop: Header=BB281_427 Depth=1
	v_cmp_ne_u16_sdwa s[12:13], v24, v11 src0_sel:BYTE_0 src1_sel:DWORD
	s_andn2_b64 s[0:1], s[0:1], exec
	s_and_b64 s[12:13], s[12:13], exec
	v_mov_b32_e32 v28, 0
	s_or_b64 s[0:1], s[0:1], s[12:13]
	s_or_b64 exec, exec, s[8:9]
	s_and_saveexec_b64 s[8:9], s[0:1]
	s_cbranch_execnz .LBB281_600
	s_branch .LBB281_601
.LBB281_795:                            ;   in Loop: Header=BB281_427 Depth=1
	v_cmp_eq_u16_e64 s[0:1], s15, v10
	s_mov_b64 s[8:9], -1
                                        ; implicit-def: $sgpr26
	s_and_saveexec_b64 s[20:21], s[0:1]
; %bb.796:                              ;   in Loop: Header=BB281_427 Depth=1
	s_mov_b32 s26, 0x7fc02000
	s_xor_b64 s[8:9], exec, -1
; %bb.797:                              ;   in Loop: Header=BB281_427 Depth=1
	s_or_b64 exec, exec, s[20:21]
	s_and_b64 s[8:9], s[8:9], exec
	s_or_saveexec_b64 s[12:13], s[12:13]
	v_mov_b32_e32 v30, s26
	s_xor_b64 exec, exec, s[12:13]
	s_cbranch_execz .LBB281_603
.LBB281_798:                            ;   in Loop: Header=BB281_427 Depth=1
	v_cmp_ne_u16_e64 s[0:1], 0, v10
	s_andn2_b64 s[8:9], s[8:9], exec
	s_and_b64 s[0:1], s[0:1], exec
	v_mov_b32_e32 v30, 0
	s_or_b64 s[8:9], s[8:9], s[0:1]
	s_or_b64 exec, exec, s[12:13]
	s_and_saveexec_b64 s[12:13], s[8:9]
	s_cbranch_execnz .LBB281_604
	s_branch .LBB281_605
.LBB281_799:                            ;   in Loop: Header=BB281_427 Depth=1
	v_cmp_eq_u16_sdwa s[26:27], v10, s15 src0_sel:BYTE_0 src1_sel:DWORD
	s_mov_b64 s[0:1], -1
                                        ; implicit-def: $sgpr20
	s_and_saveexec_b64 s[12:13], s[26:27]
; %bb.800:                              ;   in Loop: Header=BB281_427 Depth=1
	s_mov_b32 s20, 0x7fc02000
	s_xor_b64 s[0:1], exec, -1
; %bb.801:                              ;   in Loop: Header=BB281_427 Depth=1
	s_or_b64 exec, exec, s[12:13]
	s_and_b64 s[0:1], s[0:1], exec
	s_or_saveexec_b64 s[8:9], s[8:9]
	v_mov_b32_e32 v29, s20
	s_xor_b64 exec, exec, s[8:9]
	s_cbranch_execz .LBB281_607
.LBB281_802:                            ;   in Loop: Header=BB281_427 Depth=1
	v_cmp_ne_u16_sdwa s[12:13], v10, v11 src0_sel:BYTE_0 src1_sel:DWORD
	s_andn2_b64 s[0:1], s[0:1], exec
	s_and_b64 s[12:13], s[12:13], exec
	v_mov_b32_e32 v29, 0
	s_or_b64 s[0:1], s[0:1], s[12:13]
	s_or_b64 exec, exec, s[8:9]
	s_and_saveexec_b64 s[8:9], s[0:1]
	s_cbranch_execnz .LBB281_608
	s_branch .LBB281_609
.LBB281_803:                            ;   in Loop: Header=BB281_427 Depth=1
	v_cmp_eq_u16_e64 s[0:1], s15, v10
	s_mov_b64 s[8:9], -1
                                        ; implicit-def: $sgpr26
	s_and_saveexec_b64 s[20:21], s[0:1]
; %bb.804:                              ;   in Loop: Header=BB281_427 Depth=1
	s_mov_b32 s26, 0x7fc02000
	s_xor_b64 s[8:9], exec, -1
; %bb.805:                              ;   in Loop: Header=BB281_427 Depth=1
	s_or_b64 exec, exec, s[20:21]
	s_and_b64 s[8:9], s[8:9], exec
	s_or_saveexec_b64 s[12:13], s[12:13]
	v_mov_b32_e32 v31, s26
	s_xor_b64 exec, exec, s[12:13]
	s_cbranch_execz .LBB281_611
.LBB281_806:                            ;   in Loop: Header=BB281_427 Depth=1
	v_cmp_ne_u16_e64 s[0:1], 0, v10
	s_andn2_b64 s[8:9], s[8:9], exec
	s_and_b64 s[0:1], s[0:1], exec
	v_mov_b32_e32 v31, 0
	s_or_b64 s[8:9], s[8:9], s[0:1]
	s_or_b64 exec, exec, s[12:13]
	s_and_saveexec_b64 s[12:13], s[8:9]
	s_cbranch_execnz .LBB281_612
	s_branch .LBB281_613
.LBB281_807:                            ;   in Loop: Header=BB281_427 Depth=1
	v_cmp_eq_u16_sdwa s[26:27], v25, s15 src0_sel:BYTE_0 src1_sel:DWORD
	s_mov_b64 s[0:1], -1
                                        ; implicit-def: $sgpr20
	s_and_saveexec_b64 s[12:13], s[26:27]
; %bb.808:                              ;   in Loop: Header=BB281_427 Depth=1
	s_mov_b32 s20, 0x7fc02000
	s_xor_b64 s[0:1], exec, -1
; %bb.809:                              ;   in Loop: Header=BB281_427 Depth=1
	s_or_b64 exec, exec, s[12:13]
	s_and_b64 s[0:1], s[0:1], exec
	s_or_saveexec_b64 s[8:9], s[8:9]
	v_mov_b32_e32 v19, s20
	s_xor_b64 exec, exec, s[8:9]
	s_cbranch_execz .LBB281_615
.LBB281_810:                            ;   in Loop: Header=BB281_427 Depth=1
	v_cmp_ne_u16_sdwa s[12:13], v25, v11 src0_sel:BYTE_0 src1_sel:DWORD
	s_andn2_b64 s[0:1], s[0:1], exec
	s_and_b64 s[12:13], s[12:13], exec
	v_mov_b32_e32 v19, 0
	s_or_b64 s[0:1], s[0:1], s[12:13]
	s_or_b64 exec, exec, s[8:9]
	v_mov_b32_e32 v10, v25
	s_and_saveexec_b64 s[8:9], s[0:1]
	s_cbranch_execnz .LBB281_616
	s_branch .LBB281_617
.LBB281_811:                            ;   in Loop: Header=BB281_427 Depth=1
	v_cmp_eq_u16_e64 s[0:1], s15, v10
	s_mov_b64 s[8:9], -1
                                        ; implicit-def: $sgpr26
	s_and_saveexec_b64 s[20:21], s[0:1]
; %bb.812:                              ;   in Loop: Header=BB281_427 Depth=1
	s_mov_b32 s26, 0x7fc02000
	s_xor_b64 s[8:9], exec, -1
; %bb.813:                              ;   in Loop: Header=BB281_427 Depth=1
	s_or_b64 exec, exec, s[20:21]
	s_and_b64 s[8:9], s[8:9], exec
	s_or_saveexec_b64 s[12:13], s[12:13]
	v_mov_b32_e32 v22, s26
	s_xor_b64 exec, exec, s[12:13]
	s_cbranch_execz .LBB281_619
.LBB281_814:                            ;   in Loop: Header=BB281_427 Depth=1
	v_cmp_ne_u16_e64 s[0:1], 0, v10
	s_andn2_b64 s[8:9], s[8:9], exec
	s_and_b64 s[0:1], s[0:1], exec
	v_mov_b32_e32 v22, 0
	s_or_b64 s[8:9], s[8:9], s[0:1]
	s_or_b64 exec, exec, s[12:13]
	s_and_saveexec_b64 s[12:13], s[8:9]
	s_cbranch_execnz .LBB281_620
	s_branch .LBB281_621
.LBB281_815:                            ;   in Loop: Header=BB281_427 Depth=1
	v_cmp_eq_u16_sdwa s[26:27], v10, s15 src0_sel:BYTE_0 src1_sel:DWORD
	s_mov_b64 s[0:1], -1
                                        ; implicit-def: $sgpr20
	s_and_saveexec_b64 s[12:13], s[26:27]
; %bb.816:                              ;   in Loop: Header=BB281_427 Depth=1
	s_mov_b32 s20, 0x7fc02000
	s_xor_b64 s[0:1], exec, -1
; %bb.817:                              ;   in Loop: Header=BB281_427 Depth=1
	s_or_b64 exec, exec, s[12:13]
	s_and_b64 s[0:1], s[0:1], exec
	s_or_saveexec_b64 s[8:9], s[8:9]
	v_mov_b32_e32 v24, s20
	s_xor_b64 exec, exec, s[8:9]
	s_cbranch_execz .LBB281_623
.LBB281_818:                            ;   in Loop: Header=BB281_427 Depth=1
	v_cmp_ne_u16_sdwa s[12:13], v10, v11 src0_sel:BYTE_0 src1_sel:DWORD
	s_andn2_b64 s[0:1], s[0:1], exec
	s_and_b64 s[12:13], s[12:13], exec
	v_mov_b32_e32 v24, 0
	s_or_b64 s[0:1], s[0:1], s[12:13]
	s_or_b64 exec, exec, s[8:9]
	s_and_saveexec_b64 s[8:9], s[0:1]
	s_cbranch_execnz .LBB281_624
	s_branch .LBB281_625
.LBB281_819:                            ;   in Loop: Header=BB281_427 Depth=1
	v_cmp_eq_u16_e64 s[0:1], s15, v10
	s_mov_b64 s[8:9], -1
                                        ; implicit-def: $sgpr26
	s_and_saveexec_b64 s[20:21], s[0:1]
; %bb.820:                              ;   in Loop: Header=BB281_427 Depth=1
	s_mov_b32 s26, 0x7fc02000
	s_xor_b64 s[8:9], exec, -1
; %bb.821:                              ;   in Loop: Header=BB281_427 Depth=1
	s_or_b64 exec, exec, s[20:21]
	s_and_b64 s[8:9], s[8:9], exec
	s_or_saveexec_b64 s[12:13], s[12:13]
	v_mov_b32_e32 v26, s26
	s_xor_b64 exec, exec, s[12:13]
	s_cbranch_execz .LBB281_627
.LBB281_822:                            ;   in Loop: Header=BB281_427 Depth=1
	v_cmp_ne_u16_e64 s[0:1], 0, v10
	s_andn2_b64 s[8:9], s[8:9], exec
	s_and_b64 s[0:1], s[0:1], exec
	v_mov_b32_e32 v26, 0
	s_or_b64 s[8:9], s[8:9], s[0:1]
	s_or_b64 exec, exec, s[12:13]
	s_and_saveexec_b64 s[12:13], s[8:9]
	s_cbranch_execnz .LBB281_628
	s_branch .LBB281_629
.LBB281_823:
	s_or_b64 exec, exec, s[6:7]
.LBB281_824:
	s_or_b64 exec, exec, s[4:5]
	ds_bpermute_b32 v4, v34, v8
	ds_bpermute_b32 v5, v34, v9
	;; [unrolled: 1-line block ×6, first 2 shown]
	s_waitcnt lgkmcnt(0)
	v_pk_add_f32 v[6:7], v[8:9], v[4:5]
	v_accvgpr_read_b32 v8, a2
	v_and_b32_e32 v4, 0x3c1, v8
	v_pk_add_f32 v[2:3], v[2:3], v[10:11]
	v_pk_add_f32 v[0:1], v[0:1], v[12:13]
	v_cmp_eq_u32_e32 vcc, 64, v4
	s_barrier
	s_and_saveexec_b64 s[0:1], vcc
	s_cbranch_execz .LBB281_826
; %bb.825:
	s_ashr_i32 s17, s16, 31
	s_lshl_b64 s[4:5], s[16:17], 2
	s_getpc_b64 s[6:7]
	s_add_u32 s6, s6, llvm.amdgcn.dynlds.offset.table@rel32@lo+4
	s_addc_u32 s7, s7, llvm.amdgcn.dynlds.offset.table@rel32@hi+12
	s_add_u32 s4, s4, s6
	s_addc_u32 s5, s5, s7
	s_load_dword s3, s[4:5], 0x0
	s_waitcnt lgkmcnt(0)
	v_lshl_add_u32 v5, v23, 1, s3
	ds_write2_b32 v5, v6, v7 offset1:32
	ds_write2_b32 v5, v2, v3 offset0:64 offset1:96
	ds_write2_b32 v5, v0, v1 offset0:128 offset1:160
.LBB281_826:
	s_or_b64 exec, exec, s[0:1]
	v_cmp_gt_u32_e32 vcc, 64, v8
	s_waitcnt lgkmcnt(0)
	s_barrier
	s_and_saveexec_b64 s[0:1], vcc
	s_cbranch_execz .LBB281_835
; %bb.827:
	v_cmp_eq_u32_e32 vcc, 0, v35
	v_lshrrev_b32_e32 v5, 1, v8
	s_and_saveexec_b64 s[4:5], vcc
	s_cbranch_execnz .LBB281_838
; %bb.828:
	s_or_b64 exec, exec, s[4:5]
	s_and_saveexec_b64 s[4:5], vcc
	s_cbranch_execnz .LBB281_839
.LBB281_829:
	s_or_b64 exec, exec, s[4:5]
	s_and_saveexec_b64 s[4:5], vcc
	s_cbranch_execnz .LBB281_840
.LBB281_830:
	s_or_b64 exec, exec, s[4:5]
	s_and_saveexec_b64 s[4:5], vcc
	s_cbranch_execnz .LBB281_841
.LBB281_831:
	s_or_b64 exec, exec, s[4:5]
	s_and_saveexec_b64 s[4:5], vcc
	s_cbranch_execnz .LBB281_842
.LBB281_832:
	s_or_b64 exec, exec, s[4:5]
	s_and_saveexec_b64 s[4:5], vcc
	s_cbranch_execz .LBB281_834
.LBB281_833:
	s_ashr_i32 s17, s16, 31
	s_lshl_b64 s[6:7], s[16:17], 2
	s_getpc_b64 s[8:9]
	s_add_u32 s8, s8, llvm.amdgcn.dynlds.offset.table@rel32@lo+4
	s_addc_u32 s9, s9, llvm.amdgcn.dynlds.offset.table@rel32@hi+12
	s_add_u32 s6, s6, s8
	s_addc_u32 s7, s7, s9
	s_load_dword s3, s[6:7], 0x0
	s_waitcnt lgkmcnt(0)
	v_lshl_add_u32 v5, v5, 2, s3
	ds_read_b32 v5, v5 offset:640
	s_waitcnt lgkmcnt(0)
	v_add_f32_e32 v1, v1, v5
.LBB281_834:
	s_or_b64 exec, exec, s[4:5]
.LBB281_835:
	s_or_b64 exec, exec, s[0:1]
	v_cmp_eq_u32_e32 vcc, 0, v4
	s_barrier
	s_and_b64 exec, exec, vcc
	s_cbranch_execz .LBB281_837
; %bb.836:
	s_mul_i32 s0, s2, 0xc0
	s_mul_i32 s2, s18, s19
	;; [unrolled: 1-line block ×3, first 2 shown]
	s_ashr_i32 s1, s0, 31
	s_ashr_i32 s3, s2, 31
	;; [unrolled: 1-line block ×3, first 2 shown]
	s_lshl_b64 s[0:1], s[0:1], 1
	s_lshl_b64 s[2:3], s[2:3], 1
	;; [unrolled: 1-line block ×3, first 2 shown]
	s_add_u32 s2, s4, s2
	s_addc_u32 s3, s5, s3
	s_add_u32 s0, s2, s0
	v_accvgpr_read_b32 v5, a1
	s_addc_u32 s1, s3, s1
	v_accvgpr_read_b32 v4, a0
	v_lshl_add_u64 v[4:5], s[0:1], 0, v[4:5]
	v_mov_b32_e32 v9, 0
	v_lshl_add_u64 v[4:5], v[4:5], 0, v[8:9]
	;;#ASMSTART
	v_cvt_f16_f32 v6, v6;

	;;#ASMEND
	flat_store_short v[4:5], v6
	;;#ASMSTART
	v_cvt_f16_f32 v6, v7;

	;;#ASMEND
	flat_store_short v[4:5], v6 offset:64
	;;#ASMSTART
	v_cvt_f16_f32 v2, v2;

	;;#ASMEND
	flat_store_short v[4:5], v2 offset:128
	;; [unrolled: 5-line block ×5, first 2 shown]
.LBB281_837:
	s_or_b64 exec, exec, s[10:11]
	scratch_load_dword a45, off, s32        ; 4-byte Folded Reload
	scratch_load_dword a44, off, s32 offset:4 ; 4-byte Folded Reload
	scratch_load_dword a43, off, s32 offset:8 ; 4-byte Folded Reload
	;; [unrolled: 1-line block ×28, first 2 shown]
	v_readlane_b32 s30, v63, 4
	v_readlane_b32 s31, v63, 5
	;; [unrolled: 1-line block ×6, first 2 shown]
	s_or_saveexec_b64 s[0:1], -1
	scratch_load_dword v63, off, s32 offset:124 ; 4-byte Folded Reload
	s_mov_b64 exec, s[0:1]
	s_waitcnt vmcnt(0) lgkmcnt(0)
	s_setpc_b64 s[30:31]
.LBB281_838:
	s_ashr_i32 s17, s16, 31
	s_lshl_b64 s[6:7], s[16:17], 2
	s_getpc_b64 s[8:9]
	s_add_u32 s8, s8, llvm.amdgcn.dynlds.offset.table@rel32@lo+4
	s_addc_u32 s9, s9, llvm.amdgcn.dynlds.offset.table@rel32@hi+12
	s_add_u32 s6, s6, s8
	s_addc_u32 s7, s7, s9
	s_load_dword s3, s[6:7], 0x0
	s_waitcnt lgkmcnt(0)
	v_lshl_add_u32 v8, v5, 2, s3
	ds_read_b32 v8, v8
	s_waitcnt lgkmcnt(0)
	v_add_f32_e32 v6, v6, v8
	v_accvgpr_read_b32 v8, a2
	s_or_b64 exec, exec, s[4:5]
	s_and_saveexec_b64 s[4:5], vcc
	s_cbranch_execz .LBB281_829
.LBB281_839:
	s_ashr_i32 s17, s16, 31
	s_lshl_b64 s[6:7], s[16:17], 2
	s_getpc_b64 s[8:9]
	s_add_u32 s8, s8, llvm.amdgcn.dynlds.offset.table@rel32@lo+4
	s_addc_u32 s9, s9, llvm.amdgcn.dynlds.offset.table@rel32@hi+12
	s_add_u32 s6, s6, s8
	s_addc_u32 s7, s7, s9
	s_load_dword s3, s[6:7], 0x0
	s_waitcnt lgkmcnt(0)
	v_lshl_add_u32 v8, v5, 2, s3
	ds_read_b32 v8, v8 offset:128
	s_waitcnt lgkmcnt(0)
	v_add_f32_e32 v7, v7, v8
	v_accvgpr_read_b32 v8, a2
	s_or_b64 exec, exec, s[4:5]
	s_and_saveexec_b64 s[4:5], vcc
	s_cbranch_execz .LBB281_830
.LBB281_840:
	s_ashr_i32 s17, s16, 31
	s_lshl_b64 s[6:7], s[16:17], 2
	s_getpc_b64 s[8:9]
	s_add_u32 s8, s8, llvm.amdgcn.dynlds.offset.table@rel32@lo+4
	s_addc_u32 s9, s9, llvm.amdgcn.dynlds.offset.table@rel32@hi+12
	s_add_u32 s6, s6, s8
	s_addc_u32 s7, s7, s9
	s_load_dword s3, s[6:7], 0x0
	s_waitcnt lgkmcnt(0)
	v_lshl_add_u32 v8, v5, 2, s3
	ds_read_b32 v8, v8 offset:256
	s_waitcnt lgkmcnt(0)
	v_add_f32_e32 v2, v2, v8
	v_accvgpr_read_b32 v8, a2
	s_or_b64 exec, exec, s[4:5]
	s_and_saveexec_b64 s[4:5], vcc
	s_cbranch_execz .LBB281_831
.LBB281_841:
	s_ashr_i32 s17, s16, 31
	s_lshl_b64 s[6:7], s[16:17], 2
	s_getpc_b64 s[8:9]
	s_add_u32 s8, s8, llvm.amdgcn.dynlds.offset.table@rel32@lo+4
	s_addc_u32 s9, s9, llvm.amdgcn.dynlds.offset.table@rel32@hi+12
	s_add_u32 s6, s6, s8
	s_addc_u32 s7, s7, s9
	s_load_dword s3, s[6:7], 0x0
	s_waitcnt lgkmcnt(0)
	v_lshl_add_u32 v8, v5, 2, s3
	ds_read_b32 v8, v8 offset:384
	s_waitcnt lgkmcnt(0)
	v_add_f32_e32 v3, v3, v8
	v_accvgpr_read_b32 v8, a2
	s_or_b64 exec, exec, s[4:5]
	s_and_saveexec_b64 s[4:5], vcc
	s_cbranch_execz .LBB281_832
.LBB281_842:
	s_ashr_i32 s17, s16, 31
	s_lshl_b64 s[6:7], s[16:17], 2
	s_getpc_b64 s[8:9]
	s_add_u32 s8, s8, llvm.amdgcn.dynlds.offset.table@rel32@lo+4
	s_addc_u32 s9, s9, llvm.amdgcn.dynlds.offset.table@rel32@hi+12
	s_add_u32 s6, s6, s8
	s_addc_u32 s7, s7, s9
	s_load_dword s3, s[6:7], 0x0
	s_waitcnt lgkmcnt(0)
	v_lshl_add_u32 v8, v5, 2, s3
	ds_read_b32 v8, v8 offset:512
	s_waitcnt lgkmcnt(0)
	v_add_f32_e32 v0, v0, v8
	v_accvgpr_read_b32 v8, a2
	s_or_b64 exec, exec, s[4:5]
	s_and_saveexec_b64 s[4:5], vcc
	s_cbranch_execnz .LBB281_833
	s_branch .LBB281_834
.Lfunc_end281:
	.size	_ZN4vllm22paged_attention_kernelIthLi192ELi16ELi128ELNS_18Fp8KVCacheDataTypeE1ELb0ELi512EEEvPfS2_PT_PKS3_PKT0_S9_ifPKiSB_iPKfiiiSD_SD_iiiii, .Lfunc_end281-_ZN4vllm22paged_attention_kernelIthLi192ELi16ELi128ELNS_18Fp8KVCacheDataTypeE1ELb0ELi512EEEvPfS2_PT_PKS3_PKT0_S9_ifPKiSB_iPKfiiiSD_SD_iiiii
                                        ; -- End function
	.section	.AMDGPU.csdata,"",@progbits
; Function info:
; codeLenInByte = 35716
; NumSgprs: 44
; NumVgprs: 64
; NumAgprs: 46
; TotalNumVgprs: 110
; ScratchSize: 132
; MemoryBound: 0
	.section	.text._ZN4vllm25paged_attention_v2_kernelIthLi192ELi16ELi128ELNS_18Fp8KVCacheDataTypeE1ELb0ELi512EEEvPfS2_PT_PKS3_PKT0_S9_ifPKiSB_iPKfiiiSD_SD_iiiii,"axG",@progbits,_ZN4vllm25paged_attention_v2_kernelIthLi192ELi16ELi128ELNS_18Fp8KVCacheDataTypeE1ELb0ELi512EEEvPfS2_PT_PKS3_PKT0_S9_ifPKiSB_iPKfiiiSD_SD_iiiii,comdat
	.protected	_ZN4vllm25paged_attention_v2_kernelIthLi192ELi16ELi128ELNS_18Fp8KVCacheDataTypeE1ELb0ELi512EEEvPfS2_PT_PKS3_PKT0_S9_ifPKiSB_iPKfiiiSD_SD_iiiii ; -- Begin function _ZN4vllm25paged_attention_v2_kernelIthLi192ELi16ELi128ELNS_18Fp8KVCacheDataTypeE1ELb0ELi512EEEvPfS2_PT_PKS3_PKT0_S9_ifPKiSB_iPKfiiiSD_SD_iiiii
	.globl	_ZN4vllm25paged_attention_v2_kernelIthLi192ELi16ELi128ELNS_18Fp8KVCacheDataTypeE1ELb0ELi512EEEvPfS2_PT_PKS3_PKT0_S9_ifPKiSB_iPKfiiiSD_SD_iiiii
	.p2align	8
	.type	_ZN4vllm25paged_attention_v2_kernelIthLi192ELi16ELi128ELNS_18Fp8KVCacheDataTypeE1ELb0ELi512EEEvPfS2_PT_PKS3_PKT0_S9_ifPKiSB_iPKfiiiSD_SD_iiiii,@function
_ZN4vllm25paged_attention_v2_kernelIthLi192ELi16ELi128ELNS_18Fp8KVCacheDataTypeE1ELb0ELi512EEEvPfS2_PT_PKS3_PKT0_S9_ifPKiSB_iPKfiiiSD_SD_iiiii: ; @_ZN4vllm25paged_attention_v2_kernelIthLi192ELi16ELi128ELNS_18Fp8KVCacheDataTypeE1ELb0ELi512EEEvPfS2_PT_PKS3_PKT0_S9_ifPKiSB_iPKfiiiSD_SD_iiiii
; %bb.0:
	s_load_dwordx8 s[24:31], s[0:1], 0x0
	s_load_dwordx8 s[16:23], s[0:1], 0x20
	s_load_dwordx2 s[6:7], s[0:1], 0x40
	s_load_dwordx2 s[10:11], s[0:1], 0x50
	s_load_dword s5, s[0:1], 0x48
	s_load_dwordx8 s[36:43], s[0:1], 0x58
	s_add_u32 s8, s0, 0x90
	s_addc_u32 s9, s1, 0
	s_mov_b32 s12, s2
	s_mov_b32 s13, s3
	s_mov_b32 s14, s4
	s_mov_b32 s15, 20
	v_mov_b32_e32 v31, v0
	s_waitcnt lgkmcnt(0)
	v_mov_b32_e32 v0, s24
	v_mov_b32_e32 v1, s25
	;; [unrolled: 1-line block ×28, first 2 shown]
	s_mov_b32 s32, 0
	s_getpc_b64 s[0:1]
	s_add_u32 s0, s0, _ZN4vllm22paged_attention_kernelIthLi192ELi16ELi128ELNS_18Fp8KVCacheDataTypeE1ELb0ELi512EEEvPfS2_PT_PKS3_PKT0_S9_ifPKiSB_iPKfiiiSD_SD_iiiii@rel32@lo+4
	s_addc_u32 s1, s1, _ZN4vllm22paged_attention_kernelIthLi192ELi16ELi128ELNS_18Fp8KVCacheDataTypeE1ELb0ELi512EEEvPfS2_PT_PKS3_PKT0_S9_ifPKiSB_iPKfiiiSD_SD_iiiii@rel32@hi+12
	s_swappc_b64 s[30:31], s[0:1]
	s_endpgm
	.section	.rodata,"a",@progbits
	.p2align	6, 0x0
	.amdhsa_kernel _ZN4vllm25paged_attention_v2_kernelIthLi192ELi16ELi128ELNS_18Fp8KVCacheDataTypeE1ELb0ELi512EEEvPfS2_PT_PKS3_PKT0_S9_ifPKiSB_iPKfiiiSD_SD_iiiii
		.amdhsa_group_segment_fixed_size 400
		.amdhsa_private_segment_fixed_size 132
		.amdhsa_kernarg_size 400
		.amdhsa_user_sgpr_count 2
		.amdhsa_user_sgpr_dispatch_ptr 0
		.amdhsa_user_sgpr_queue_ptr 0
		.amdhsa_user_sgpr_kernarg_segment_ptr 1
		.amdhsa_user_sgpr_dispatch_id 0
		.amdhsa_user_sgpr_kernarg_preload_length 0
		.amdhsa_user_sgpr_kernarg_preload_offset 0
		.amdhsa_user_sgpr_private_segment_size 0
		.amdhsa_uses_dynamic_stack 0
		.amdhsa_enable_private_segment 1
		.amdhsa_system_sgpr_workgroup_id_x 1
		.amdhsa_system_sgpr_workgroup_id_y 1
		.amdhsa_system_sgpr_workgroup_id_z 1
		.amdhsa_system_sgpr_workgroup_info 0
		.amdhsa_system_vgpr_workitem_id 0
		.amdhsa_next_free_vgpr 110
		.amdhsa_next_free_sgpr 44
		.amdhsa_accum_offset 64
		.amdhsa_reserve_vcc 1
		.amdhsa_float_round_mode_32 0
		.amdhsa_float_round_mode_16_64 0
		.amdhsa_float_denorm_mode_32 3
		.amdhsa_float_denorm_mode_16_64 3
		.amdhsa_dx10_clamp 1
		.amdhsa_ieee_mode 1
		.amdhsa_fp16_overflow 0
		.amdhsa_tg_split 0
		.amdhsa_exception_fp_ieee_invalid_op 0
		.amdhsa_exception_fp_denorm_src 0
		.amdhsa_exception_fp_ieee_div_zero 0
		.amdhsa_exception_fp_ieee_overflow 0
		.amdhsa_exception_fp_ieee_underflow 0
		.amdhsa_exception_fp_ieee_inexact 0
		.amdhsa_exception_int_div_zero 0
	.end_amdhsa_kernel
	.section	.text._ZN4vllm25paged_attention_v2_kernelIthLi192ELi16ELi128ELNS_18Fp8KVCacheDataTypeE1ELb0ELi512EEEvPfS2_PT_PKS3_PKT0_S9_ifPKiSB_iPKfiiiSD_SD_iiiii,"axG",@progbits,_ZN4vllm25paged_attention_v2_kernelIthLi192ELi16ELi128ELNS_18Fp8KVCacheDataTypeE1ELb0ELi512EEEvPfS2_PT_PKS3_PKT0_S9_ifPKiSB_iPKfiiiSD_SD_iiiii,comdat
.Lfunc_end282:
	.size	_ZN4vllm25paged_attention_v2_kernelIthLi192ELi16ELi128ELNS_18Fp8KVCacheDataTypeE1ELb0ELi512EEEvPfS2_PT_PKS3_PKT0_S9_ifPKiSB_iPKfiiiSD_SD_iiiii, .Lfunc_end282-_ZN4vllm25paged_attention_v2_kernelIthLi192ELi16ELi128ELNS_18Fp8KVCacheDataTypeE1ELb0ELi512EEEvPfS2_PT_PKS3_PKT0_S9_ifPKiSB_iPKfiiiSD_SD_iiiii
                                        ; -- End function
	.section	.AMDGPU.csdata,"",@progbits
; Kernel info:
; codeLenInByte = 228
; NumSgprs: 50
; NumVgprs: 64
; NumAgprs: 46
; TotalNumVgprs: 110
; ScratchSize: 132
; MemoryBound: 0
; FloatMode: 240
; IeeeMode: 1
; LDSByteSize: 400 bytes/workgroup (compile time only)
; SGPRBlocks: 6
; VGPRBlocks: 13
; NumSGPRsForWavesPerEU: 50
; NumVGPRsForWavesPerEU: 110
; AccumOffset: 64
; Occupancy: 4
; WaveLimiterHint : 1
; COMPUTE_PGM_RSRC2:SCRATCH_EN: 1
; COMPUTE_PGM_RSRC2:USER_SGPR: 2
; COMPUTE_PGM_RSRC2:TRAP_HANDLER: 0
; COMPUTE_PGM_RSRC2:TGID_X_EN: 1
; COMPUTE_PGM_RSRC2:TGID_Y_EN: 1
; COMPUTE_PGM_RSRC2:TGID_Z_EN: 1
; COMPUTE_PGM_RSRC2:TIDIG_COMP_CNT: 0
; COMPUTE_PGM_RSRC3_GFX90A:ACCUM_OFFSET: 15
; COMPUTE_PGM_RSRC3_GFX90A:TG_SPLIT: 0
	.text
	.p2align	2                               ; -- Begin function _ZN4vllm22paged_attention_kernelIthLi256ELi16ELi128ELNS_18Fp8KVCacheDataTypeE1ELb0ELi512EEEvPfS2_PT_PKS3_PKT0_S9_ifPKiSB_iPKfiiiSD_SD_iiiii
	.type	_ZN4vllm22paged_attention_kernelIthLi256ELi16ELi128ELNS_18Fp8KVCacheDataTypeE1ELb0ELi512EEEvPfS2_PT_PKS3_PKT0_S9_ifPKiSB_iPKfiiiSD_SD_iiiii,@function
_ZN4vllm22paged_attention_kernelIthLi256ELi16ELi128ELNS_18Fp8KVCacheDataTypeE1ELb0ELi512EEEvPfS2_PT_PKS3_PKT0_S9_ifPKiSB_iPKfiiiSD_SD_iiiii: ; @_ZN4vllm22paged_attention_kernelIthLi256ELi16ELi128ELNS_18Fp8KVCacheDataTypeE1ELb0ELi512EEEvPfS2_PT_PKS3_PKT0_S9_ifPKiSB_iPKfiiiSD_SD_iiiii
; %bb.0:
	s_waitcnt vmcnt(0) expcnt(0) lgkmcnt(0)
	s_or_saveexec_b64 s[0:1], -1
	scratch_store_dword off, v63, s32 offset:160 ; 4-byte Folded Spill
	s_mov_b64 exec, s[0:1]
	scratch_store_dword off, v40, s32 offset:144 ; 4-byte Folded Spill
	scratch_store_dword off, v41, s32 offset:140 ; 4-byte Folded Spill
	;; [unrolled: 1-line block ×36, first 2 shown]
	scratch_store_dword off, a53, s32       ; 4-byte Folded Spill
	v_writelane_b32 v63, s34, 0
	v_writelane_b32 v63, s35, 1
	;; [unrolled: 1-line block ×5, first 2 shown]
	s_nop 1
	v_writelane_b32 v63, s31, 5
	s_mov_b32 s20, s13
	v_accvgpr_write_b32 a27, v25
	s_ashr_i32 s21, s13, 31
	v_accvgpr_write_b32 a26, v24
	v_mov_b32_e32 v25, v1
	v_mov_b32_e32 v24, v0
	v_lshl_add_u64 v[0:1], s[20:21], 2, v[16:17]
	flat_load_dword v0, v[0:1]
	v_accvgpr_write_b32 a4, v26
	v_accvgpr_write_b32 a0, v4
	s_lshl_b32 s21, s14, 9
	v_accvgpr_write_b32 a5, v27
	v_accvgpr_write_b32 a6, v22
	v_mov_b32_e32 v29, v20
	v_mov_b32_e32 v28, v19
	v_accvgpr_write_b32 a23, v13
	v_mov_b32_e32 v27, v11
	v_mov_b32_e32 v26, v10
	;; [unrolled: 3-line block ×3, first 2 shown]
	s_waitcnt vmcnt(0) lgkmcnt(0)
	v_accvgpr_write_b32 a8, v0
	v_cmp_lt_i32_e32 vcc, s21, v0
	s_and_saveexec_b64 s[10:11], vcc
	s_cbranch_execz .LBB283_1099
; %bb.1:
	v_sub_u32_e32 v0, 0, v12
	v_max_i32_e32 v0, v12, v0
	v_cvt_f32_u32_e32 v1, v0
	s_load_dword s0, s[8:9], 0x10
	s_load_dword s2, s[8:9], 0x0
	v_sub_u32_e32 v3, 0, v0
	s_mov_b32 s16, s15
	v_rcp_iflag_f32_e32 v1, v1
	s_waitcnt lgkmcnt(0)
	s_lshr_b32 s0, s0, 16
	s_cmp_lg_u32 s0, 0
	s_cselect_b64 s[0:1], -1, 0
	v_mul_f32_e32 v1, 0x4f7ffffe, v1
	v_cvt_u32_f32_e32 v1, v1
	s_cmp_lg_u64 s[0:1], 0
	s_addc_u32 s15, s2, 0
	s_abs_i32 s0, s15
	v_mul_lo_u32 v3, v3, v1
	v_mul_hi_u32 v3, v1, v3
	v_add_u32_e32 v1, v1, v3
	v_mul_hi_u32 v1, s0, v1
	v_mul_lo_u32 v3, v1, v0
	v_sub_u32_e32 v3, s0, v3
	v_add_u32_e32 v4, 1, v1
	v_cmp_ge_u32_e32 vcc, v3, v0
	v_xor_b32_e32 v2, s15, v12
	v_ashrrev_i32_e32 v2, 31, v2
	v_cndmask_b32_e32 v1, v1, v4, vcc
	v_sub_u32_e32 v4, v3, v0
	v_cndmask_b32_e32 v3, v3, v4, vcc
	v_add_u32_e32 v4, 1, v1
	v_cmp_ge_u32_e32 vcc, v3, v0
	s_abs_i32 s2, s12
	s_nop 0
	v_cndmask_b32_e32 v0, v1, v4, vcc
	v_xor_b32_e32 v0, v0, v2
	v_sub_u32_e32 v0, v0, v2
	v_sub_u32_e32 v1, 0, v0
	v_max_i32_e32 v1, v0, v1
	v_cvt_f32_u32_e32 v2, v1
	v_sub_u32_e32 v3, 0, v1
	v_cmp_ne_u64_e32 vcc, 0, v[28:29]
	v_rcp_iflag_f32_e32 v2, v2
	s_nop 0
	v_mul_f32_e32 v2, 0x4f7ffffe, v2
	v_cvt_u32_f32_e32 v2, v2
	v_mul_lo_u32 v3, v3, v2
	v_mul_hi_u32 v3, v2, v3
	v_add_u32_e32 v2, v2, v3
	v_mad_u64_u32 v[32:33], s[0:1], s2, v2, 0
	v_mov_b32_e32 v2, 0
	scratch_store_dword off, v2, s32 offset:156 ; 4-byte Folded Spill
	s_and_saveexec_b64 s[0:1], vcc
	s_cbranch_execz .LBB283_3
; %bb.2:
	s_ashr_i32 s13, s12, 31
	v_lshl_add_u64 v[2:3], s[12:13], 2, v[28:29]
	flat_load_dword v2, v[2:3]
	s_waitcnt vmcnt(0) lgkmcnt(0)
	scratch_store_dword off, v2, s32 offset:156 ; 4-byte Folded Spill
.LBB283_3:
	s_or_b64 exec, exec, s[0:1]
	v_and_b32_e32 v10, 0x3ff, v31
	s_movk_i32 s0, 0x80
	s_ashr_i32 s3, s12, 31
	v_ashrrev_i32_e32 v2, 31, v0
	v_and_b32_e32 v0, 3, v10
	s_lshl_b32 s18, s12, 8
	v_cmp_gt_u32_e32 vcc, s0, v10
	s_and_saveexec_b64 s[0:1], vcc
	s_cbranch_execz .LBB283_5
; %bb.4:
	v_mul_lo_u32 v4, s20, v21
	v_ashrrev_i32_e32 v5, 31, v4
	v_lshl_add_u64 v[4:5], v[4:5], 1, v[6:7]
	s_ashr_i32 s19, s18, 31
	v_lshl_add_u64 v[4:5], s[18:19], 1, v[4:5]
	v_lshlrev_b32_e32 v6, 2, v10
	v_mov_b32_e32 v7, 0
	v_lshl_add_u64 v[4:5], v[4:5], 0, v[6:7]
	flat_load_dword v3, v[4:5]
	v_and_b32_e32 v4, 0x3fc, v10
	v_lshl_add_u32 v4, v0, 7, v4
	s_waitcnt vmcnt(0) lgkmcnt(0)
	ds_write_b32 v4, v3
.LBB283_5:
	s_or_b64 exec, exec, s[0:1]
	v_accvgpr_read_b32 v4, a8
	v_add_u32_e32 v3, 15, v4
	v_ashrrev_i32_e32 v4, 31, v3
	v_lshrrev_b32_e32 v4, 28, v4
	v_add_u32_e32 v3, v3, v4
	v_ashrrev_i32_e32 v20, 4, v3
	v_mul_lo_u32 v3, v33, v1
	v_sub_u32_e32 v3, s2, v3
	v_add_u32_e32 v4, 1, v33
	v_cmp_ge_u32_e32 vcc, v3, v1
	v_sub_u32_e32 v5, v3, v1
	s_lshl_b32 s19, s14, 5
	v_cndmask_b32_e32 v4, v33, v4, vcc
	v_cndmask_b32_e32 v3, v3, v5, vcc
	v_add_u32_e32 v5, 1, v4
	v_cmp_ge_u32_e32 vcc, v3, v1
	v_xor_b32_e32 v2, s3, v2
	s_add_i32 s0, s19, 32
	v_cndmask_b32_e32 v1, v4, v5, vcc
	v_lshrrev_b32_e32 v22, 6, v10
	v_xor_b32_e32 v1, v1, v2
	v_min_i32_e32 v6, s0, v20
	v_sub_u32_e32 v3, v1, v2
	v_mul_lo_u32 v28, s20, v18
	v_or_b32_e32 v2, s19, v22
	v_accvgpr_write_b32 a2, v10
	v_ashrrev_i32_e32 v29, 31, v28
	v_cmp_lt_i32_e64 s[0:1], v2, v6
	v_accvgpr_write_b32 a3, v6
	v_mov_b32_e32 v4, v2
	v_cmp_ge_i32_e32 vcc, v2, v6
	v_mbcnt_lo_u32_b32 v1, -1, 0
	s_waitcnt lgkmcnt(0)
	s_barrier
	s_waitcnt lgkmcnt(0)
                                        ; implicit-def: $sgpr4
                                        ; implicit-def: $agpr28
                                        ; implicit-def: $vgpr2
	s_and_saveexec_b64 s[2:3], vcc
	s_xor_b64 s[2:3], exec, s[2:3]
; %bb.6:
	v_mbcnt_hi_u32_b32 v0, -1, v1
	v_accvgpr_write_b32 a28, v0
	v_and_b32_e32 v0, 64, v0
	v_add_u32_e32 v2, 64, v0
	s_mov_b32 s4, 0xff7fffff
                                        ; implicit-def: $vgpr0
                                        ; kill: killed $vgpr0
                                        ; implicit-def: $agpr23
                                        ; implicit-def: $agpr26
                                        ; implicit-def: $vgpr8
                                        ; implicit-def: $vgpr0
                                        ; implicit-def: $vgpr1
; %bb.7:
	s_or_saveexec_b64 s[6:7], s[2:3]
	s_load_dword s30, s[8:9], 0x14
	s_load_dword s13, s[8:9], 0x8
	v_ashrrev_i32_e32 v5, 31, v4
	v_mul_lo_u32 v32, v3, v23
	v_accvgpr_write_b32 a11, v5
	v_mov_b32_e32 v7, s4
	v_accvgpr_write_b32 a10, v4
	v_ashrrev_i32_e32 v33, 31, v32
	v_lshlrev_b32_e32 v30, 4, v22
	s_xor_b64 exec, exec, s[6:7]
	s_cbranch_execz .LBB283_525
; %bb.8:
	v_accvgpr_read_b32 v2, a2
	v_bfe_u32 v4, v2, 2, 4
	v_lshl_add_u64 v[2:3], v[8:9], 0, v[32:33]
	v_lshlrev_b32_e32 v8, 4, v4
	v_mov_b32_e32 v9, 0
	v_lshl_add_u64 v[2:3], v[2:3], 0, v[8:9]
	v_accvgpr_write_b32 a31, v3
	v_accvgpr_write_b32 a30, v2
	v_lshlrev_b32_e32 v2, 1, v0
	v_lshlrev_b32_e32 v23, 7, v0
	v_cmp_eq_u32_e32 vcc, 0, v0
	scratch_load_dword v0, off, s32 offset:156 ; 4-byte Folded Reload
	v_mov_b32_e32 v3, v9
	v_accvgpr_read_b32 v6, a10
	v_accvgpr_write_b32 a33, v3
	v_accvgpr_read_b32 v7, a11
	v_accvgpr_write_b32 a32, v2
	s_ashr_i32 s17, s16, 31
	v_lshlrev_b64 v[2:3], 2, v[6:7]
	s_lshl_b64 s[4:5], s[16:17], 2
	v_lshl_add_u64 v[2:3], v[28:29], 2, v[2:3]
	s_getpc_b64 s[8:9]
	s_add_u32 s8, s8, llvm.amdgcn.dynlds.offset.table@rel32@lo+4
	s_addc_u32 s9, s9, llvm.amdgcn.dynlds.offset.table@rel32@hi+12
	v_lshl_add_u64 v[2:3], v[14:15], 0, v[2:3]
	v_accvgpr_write_b32 a18, v34
	v_accvgpr_write_b32 a16, v24
	;; [unrolled: 1-line block ×4, first 2 shown]
	s_add_u32 s8, s4, s8
	v_accvgpr_write_b32 a20, v28
	v_accvgpr_write_b32 a12, v14
	;; [unrolled: 1-line block ×8, first 2 shown]
	s_addc_u32 s9, s5, s9
	v_accvgpr_write_b32 a21, v29
	v_accvgpr_write_b32 a13, v15
	v_accvgpr_write_b32 a34, v2
	v_accvgpr_write_b32 a22, v30
	v_accvgpr_write_b32 a7, v22
	s_mov_b64 s[22:23], 0
	s_movk_i32 s17, 0x7f
	s_movk_i32 s31, 0x80
	s_mov_b32 s34, 0x8000
	v_mov_b32_e32 v53, 0x1c00
	s_waitcnt vmcnt(0)
	v_cmp_neq_f32_e64 s[2:3], 0, v0
	v_accvgpr_read_b32 v0, a8
	v_sub_u32_e32 v0, 1, v0
	v_accvgpr_write_b32 a29, v0
	v_add3_u32 v0, s21, v30, v4
	v_accvgpr_write_b32 a36, v0
	v_lshlrev_b32_e32 v0, 2, v4
	v_lshl_or_b32 v0, v22, 6, v0
	v_accvgpr_write_b32 a37, v0
	v_mov_b32_e32 v0, 0xff7fffff
	scratch_store_dword off, v0, s32 offset:152 ; 4-byte Folded Spill
	v_mbcnt_hi_u32_b32 v0, -1, v1
	v_accvgpr_write_b32 a28, v0
	s_branch .LBB283_10
.LBB283_9:                              ;   in Loop: Header=BB283_10 Depth=1
	s_or_b64 exec, exec, s[24:25]
	s_waitcnt lgkmcnt(0)
	v_accvgpr_read_b32 v0, a34
	v_accvgpr_read_b32 v1, a35
	v_lshl_add_u64 v[0:1], v[0:1], 0, 8
	v_accvgpr_write_b32 a35, v1
	v_accvgpr_write_b32 a34, v0
	v_accvgpr_read_b32 v0, a36
	v_add_u32_e32 v0, 32, v0
	v_add_u32_e32 v6, 2, v6
	v_accvgpr_write_b32 a36, v0
	v_accvgpr_read_b32 v0, a3
	v_cmp_ge_i32_e64 s[4:5], v6, v0
	v_accvgpr_read_b32 v0, a37
	v_add_u32_e32 v0, 0x80, v0
	s_or_b64 s[22:23], s[4:5], s[22:23]
	v_accvgpr_write_b32 a37, v0
	s_andn2_b64 exec, exec, s[22:23]
	s_cbranch_execz .LBB283_524
.LBB283_10:                             ; =>This Inner Loop Header: Depth=1
	v_accvgpr_read_b32 v0, a34
	v_accvgpr_read_b32 v1, a35
	flat_load_dword v0, v[0:1]
	v_accvgpr_read_b32 v4, a30
	v_accvgpr_read_b32 v2, a6
	;; [unrolled: 1-line block ×3, first 2 shown]
	v_accvgpr_write_b32 a38, v6
                                        ; implicit-def: $sgpr28
	s_waitcnt vmcnt(0) lgkmcnt(0)
	v_mad_i64_i32 v[0:1], s[4:5], v0, v2, v[4:5]
	v_accvgpr_read_b32 v2, a32
	v_accvgpr_read_b32 v3, a33
	v_lshl_add_u64 v[34:35], v[0:1], 0, v[2:3]
	v_accvgpr_read_b32 v2, a26
	flat_load_ushort v0, v[34:35]
	v_accvgpr_read_b32 v3, a27
	flat_load_dword v55, v[2:3]
	s_mov_b64 s[4:5], 0
	s_waitcnt vmcnt(0) lgkmcnt(0)
	v_cmp_gt_i16_sdwa s[24:25], v0, s17 src0_sel:BYTE_0 src1_sel:DWORD
	s_and_saveexec_b64 s[26:27], s[24:25]
	s_xor_b64 s[24:25], exec, s[26:27]
	s_cbranch_execz .LBB283_14
; %bb.11:                               ;   in Loop: Header=BB283_10 Depth=1
	v_cmp_eq_u16_sdwa s[36:37], v0, s31 src0_sel:BYTE_0 src1_sel:DWORD
	s_mov_b64 s[4:5], -1
                                        ; implicit-def: $sgpr28
	s_and_saveexec_b64 s[26:27], s[36:37]
; %bb.12:                               ;   in Loop: Header=BB283_10 Depth=1
	s_mov_b32 s28, 0x7fc02000
	s_xor_b64 s[4:5], exec, -1
; %bb.13:                               ;   in Loop: Header=BB283_10 Depth=1
	s_or_b64 exec, exec, s[26:27]
	s_and_b64 s[4:5], s[4:5], exec
.LBB283_14:                             ;   in Loop: Header=BB283_10 Depth=1
	s_or_saveexec_b64 s[24:25], s[24:25]
	v_mov_b32_e32 v1, s28
	scratch_store_dword off, v1, s32 offset:148 ; 4-byte Folded Spill
	s_xor_b64 exec, exec, s[24:25]
	s_cbranch_execz .LBB283_16
; %bb.15:                               ;   in Loop: Header=BB283_10 Depth=1
	v_cmp_ne_u16_sdwa s[26:27], v0, v9 src0_sel:BYTE_0 src1_sel:DWORD
	s_andn2_b64 s[4:5], s[4:5], exec
	s_and_b64 s[26:27], s[26:27], exec
	v_mov_b32_e32 v1, 0
	s_or_b64 s[4:5], s[4:5], s[26:27]
	scratch_store_dword off, v1, s32 offset:148 ; 4-byte Folded Spill
.LBB283_16:                             ;   in Loop: Header=BB283_10 Depth=1
	s_or_b64 exec, exec, s[24:25]
	v_and_b32_e32 v8, 0xffff, v0
	s_and_saveexec_b64 s[24:25], s[4:5]
	s_cbranch_execz .LBB283_18
; %bb.17:                               ;   in Loop: Header=BB283_10 Depth=1
	v_and_b32_e32 v2, 7, v8
	v_ffbh_u32_e32 v0, v2
	v_min_u32_e32 v4, 32, v0
	v_subrev_u32_e32 v0, 28, v4
	v_bfe_u32 v3, v8, 3, 4
	v_lshlrev_b64 v[0:1], v0, v[8:9]
	v_sub_u32_e32 v1, 29, v4
	v_cmp_eq_u32_e64 s[4:5], 0, v3
	v_and_b32_e32 v0, 7, v0
	s_nop 0
	v_cndmask_b32_e64 v1, v3, v1, s[4:5]
	v_cndmask_b32_e64 v0, v2, v0, s[4:5]
	v_lshlrev_b32_e32 v2, 8, v8
	v_lshl_add_u32 v1, v1, 10, v53
	v_and_or_b32 v1, v2, s34, v1
	v_lshl_or_b32 v0, v0, 7, v1
	v_cvt_f32_f16_e32 v0, v0
	scratch_store_dword off, v0, s32 offset:148 ; 4-byte Folded Spill
.LBB283_18:                             ;   in Loop: Header=BB283_10 Depth=1
	s_or_b64 exec, exec, s[24:25]
	v_lshrrev_b16_e32 v8, 8, v8
	v_cmp_lt_i16_e64 s[4:5], s17, v8
	s_mov_b64 s[24:25], 0
                                        ; implicit-def: $sgpr35
	s_and_saveexec_b64 s[26:27], s[4:5]
	s_xor_b64 s[26:27], exec, s[26:27]
	s_cbranch_execnz .LBB283_276
; %bb.19:                               ;   in Loop: Header=BB283_10 Depth=1
	s_or_saveexec_b64 s[26:27], s[26:27]
	v_mov_b32_e32 v0, s35
	s_xor_b64 exec, exec, s[26:27]
	s_cbranch_execnz .LBB283_279
.LBB283_20:                             ;   in Loop: Header=BB283_10 Depth=1
	s_or_b64 exec, exec, s[26:27]
	s_and_saveexec_b64 s[26:27], s[24:25]
	s_cbranch_execz .LBB283_22
.LBB283_21:                             ;   in Loop: Header=BB283_10 Depth=1
	v_and_b32_e32 v2, 7, v8
	v_ffbh_u32_e32 v0, v2
	v_min_u32_e32 v4, 32, v0
	v_subrev_u32_e32 v0, 28, v4
	v_bfe_u32 v3, v8, 3, 4
	v_lshlrev_b64 v[0:1], v0, v[8:9]
	v_sub_u32_e32 v1, 29, v4
	v_cmp_eq_u32_e64 s[4:5], 0, v3
	v_and_b32_e32 v0, 7, v0
	s_nop 0
	v_cndmask_b32_e64 v1, v3, v1, s[4:5]
	v_cndmask_b32_e64 v0, v2, v0, s[4:5]
	v_lshlrev_b32_e32 v2, 8, v8
	v_lshl_add_u32 v1, v1, 10, v53
	v_and_or_b32 v1, v2, s34, v1
	v_lshl_or_b32 v0, v0, 7, v1
	v_cvt_f32_f16_e32 v0, v0
.LBB283_22:                             ;   in Loop: Header=BB283_10 Depth=1
	s_or_b64 exec, exec, s[26:27]
	v_accvgpr_write_b32 a42, v0
	flat_load_ushort v0, v[34:35] offset:8
	s_mov_b64 s[4:5], 0
                                        ; implicit-def: $sgpr28
	s_waitcnt vmcnt(0) lgkmcnt(0)
	v_cmp_gt_i16_sdwa s[24:25], v0, s17 src0_sel:BYTE_0 src1_sel:DWORD
	s_and_saveexec_b64 s[26:27], s[24:25]
	s_xor_b64 s[24:25], exec, s[26:27]
	s_cbranch_execnz .LBB283_280
; %bb.23:                               ;   in Loop: Header=BB283_10 Depth=1
	s_or_saveexec_b64 s[24:25], s[24:25]
	v_mov_b32_e32 v18, s28
	s_xor_b64 exec, exec, s[24:25]
	s_cbranch_execnz .LBB283_283
.LBB283_24:                             ;   in Loop: Header=BB283_10 Depth=1
	s_or_b64 exec, exec, s[24:25]
	v_and_b32_e32 v8, 0xffff, v0
	s_and_saveexec_b64 s[24:25], s[4:5]
	s_cbranch_execz .LBB283_26
.LBB283_25:                             ;   in Loop: Header=BB283_10 Depth=1
	v_and_b32_e32 v2, 7, v8
	v_ffbh_u32_e32 v0, v2
	v_min_u32_e32 v4, 32, v0
	v_subrev_u32_e32 v0, 28, v4
	v_bfe_u32 v3, v8, 3, 4
	v_lshlrev_b64 v[0:1], v0, v[8:9]
	v_sub_u32_e32 v1, 29, v4
	v_cmp_eq_u32_e64 s[4:5], 0, v3
	v_and_b32_e32 v0, 7, v0
	s_nop 0
	v_cndmask_b32_e64 v1, v3, v1, s[4:5]
	v_cndmask_b32_e64 v0, v2, v0, s[4:5]
	v_lshlrev_b32_e32 v2, 8, v8
	v_lshl_add_u32 v1, v1, 10, v53
	v_and_or_b32 v1, v2, s34, v1
	v_lshl_or_b32 v0, v0, 7, v1
	v_cvt_f32_f16_e32 v18, v0
.LBB283_26:                             ;   in Loop: Header=BB283_10 Depth=1
	s_or_b64 exec, exec, s[24:25]
	v_lshrrev_b16_e32 v8, 8, v8
	v_cmp_lt_i16_e64 s[4:5], s17, v8
	s_mov_b64 s[24:25], 0
                                        ; implicit-def: $sgpr35
	s_and_saveexec_b64 s[26:27], s[4:5]
	s_xor_b64 s[26:27], exec, s[26:27]
	s_cbranch_execnz .LBB283_284
; %bb.27:                               ;   in Loop: Header=BB283_10 Depth=1
	s_or_saveexec_b64 s[26:27], s[26:27]
	v_mov_b32_e32 v0, s35
	s_xor_b64 exec, exec, s[26:27]
	s_cbranch_execnz .LBB283_287
.LBB283_28:                             ;   in Loop: Header=BB283_10 Depth=1
	s_or_b64 exec, exec, s[26:27]
	s_and_saveexec_b64 s[26:27], s[24:25]
	s_cbranch_execz .LBB283_30
.LBB283_29:                             ;   in Loop: Header=BB283_10 Depth=1
	v_and_b32_e32 v2, 7, v8
	v_ffbh_u32_e32 v0, v2
	v_min_u32_e32 v4, 32, v0
	v_subrev_u32_e32 v0, 28, v4
	v_bfe_u32 v3, v8, 3, 4
	v_lshlrev_b64 v[0:1], v0, v[8:9]
	v_sub_u32_e32 v1, 29, v4
	v_cmp_eq_u32_e64 s[4:5], 0, v3
	v_and_b32_e32 v0, 7, v0
	s_nop 0
	v_cndmask_b32_e64 v1, v3, v1, s[4:5]
	v_cndmask_b32_e64 v0, v2, v0, s[4:5]
	v_lshlrev_b32_e32 v2, 8, v8
	v_lshl_add_u32 v1, v1, 10, v53
	v_and_or_b32 v1, v2, s34, v1
	v_lshl_or_b32 v0, v0, 7, v1
	v_cvt_f32_f16_e32 v0, v0
.LBB283_30:                             ;   in Loop: Header=BB283_10 Depth=1
	s_or_b64 exec, exec, s[26:27]
	v_accvgpr_write_b32 a47, v0
	flat_load_ushort v0, v[34:35] offset:256
	s_mov_b64 s[4:5], 0
                                        ; implicit-def: $sgpr28
	s_waitcnt vmcnt(0) lgkmcnt(0)
	v_cmp_gt_i16_sdwa s[24:25], v0, s17 src0_sel:BYTE_0 src1_sel:DWORD
	s_and_saveexec_b64 s[26:27], s[24:25]
	s_xor_b64 s[24:25], exec, s[26:27]
	s_cbranch_execnz .LBB283_288
; %bb.31:                               ;   in Loop: Header=BB283_10 Depth=1
	s_or_saveexec_b64 s[24:25], s[24:25]
	v_mov_b32_e32 v20, s28
	s_xor_b64 exec, exec, s[24:25]
	s_cbranch_execnz .LBB283_291
.LBB283_32:                             ;   in Loop: Header=BB283_10 Depth=1
	s_or_b64 exec, exec, s[24:25]
	v_and_b32_e32 v8, 0xffff, v0
	s_and_saveexec_b64 s[24:25], s[4:5]
	s_cbranch_execz .LBB283_34
.LBB283_33:                             ;   in Loop: Header=BB283_10 Depth=1
	v_and_b32_e32 v2, 7, v8
	v_ffbh_u32_e32 v0, v2
	v_min_u32_e32 v4, 32, v0
	v_subrev_u32_e32 v0, 28, v4
	v_bfe_u32 v3, v8, 3, 4
	v_lshlrev_b64 v[0:1], v0, v[8:9]
	v_sub_u32_e32 v1, 29, v4
	v_cmp_eq_u32_e64 s[4:5], 0, v3
	v_and_b32_e32 v0, 7, v0
	s_nop 0
	v_cndmask_b32_e64 v1, v3, v1, s[4:5]
	v_cndmask_b32_e64 v0, v2, v0, s[4:5]
	v_lshlrev_b32_e32 v2, 8, v8
	v_lshl_add_u32 v1, v1, 10, v53
	v_and_or_b32 v1, v2, s34, v1
	v_lshl_or_b32 v0, v0, 7, v1
	v_cvt_f32_f16_e32 v20, v0
.LBB283_34:                             ;   in Loop: Header=BB283_10 Depth=1
	s_or_b64 exec, exec, s[24:25]
	v_lshrrev_b16_e32 v8, 8, v8
	v_cmp_lt_i16_e64 s[4:5], s17, v8
	s_mov_b64 s[24:25], 0
                                        ; implicit-def: $sgpr35
	s_and_saveexec_b64 s[26:27], s[4:5]
	s_xor_b64 s[26:27], exec, s[26:27]
	s_cbranch_execnz .LBB283_292
; %bb.35:                               ;   in Loop: Header=BB283_10 Depth=1
	s_or_saveexec_b64 s[26:27], s[26:27]
	v_mov_b32_e32 v21, s35
	s_xor_b64 exec, exec, s[26:27]
	s_cbranch_execnz .LBB283_295
.LBB283_36:                             ;   in Loop: Header=BB283_10 Depth=1
	s_or_b64 exec, exec, s[26:27]
	s_and_saveexec_b64 s[26:27], s[24:25]
	s_cbranch_execz .LBB283_38
.LBB283_37:                             ;   in Loop: Header=BB283_10 Depth=1
	v_and_b32_e32 v2, 7, v8
	v_ffbh_u32_e32 v0, v2
	v_min_u32_e32 v4, 32, v0
	v_subrev_u32_e32 v0, 28, v4
	v_bfe_u32 v3, v8, 3, 4
	v_lshlrev_b64 v[0:1], v0, v[8:9]
	v_sub_u32_e32 v1, 29, v4
	v_cmp_eq_u32_e64 s[4:5], 0, v3
	v_and_b32_e32 v0, 7, v0
	s_nop 0
	v_cndmask_b32_e64 v1, v3, v1, s[4:5]
	v_cndmask_b32_e64 v0, v2, v0, s[4:5]
	v_lshlrev_b32_e32 v2, 8, v8
	v_lshl_add_u32 v1, v1, 10, v53
	v_and_or_b32 v1, v2, s34, v1
	v_lshl_or_b32 v0, v0, 7, v1
	v_cvt_f32_f16_e32 v21, v0
.LBB283_38:                             ;   in Loop: Header=BB283_10 Depth=1
	s_or_b64 exec, exec, s[26:27]
	flat_load_ushort v0, v[34:35] offset:264
	s_mov_b64 s[4:5], 0
                                        ; implicit-def: $sgpr28
	s_waitcnt vmcnt(0) lgkmcnt(0)
	v_cmp_gt_i16_sdwa s[24:25], v0, s17 src0_sel:BYTE_0 src1_sel:DWORD
	s_and_saveexec_b64 s[26:27], s[24:25]
	s_xor_b64 s[24:25], exec, s[26:27]
	s_cbranch_execnz .LBB283_296
; %bb.39:                               ;   in Loop: Header=BB283_10 Depth=1
	s_or_saveexec_b64 s[24:25], s[24:25]
	v_mov_b32_e32 v17, s28
	s_xor_b64 exec, exec, s[24:25]
	s_cbranch_execnz .LBB283_299
.LBB283_40:                             ;   in Loop: Header=BB283_10 Depth=1
	s_or_b64 exec, exec, s[24:25]
	v_and_b32_e32 v8, 0xffff, v0
	s_and_saveexec_b64 s[24:25], s[4:5]
	s_cbranch_execz .LBB283_42
.LBB283_41:                             ;   in Loop: Header=BB283_10 Depth=1
	v_and_b32_e32 v2, 7, v8
	v_ffbh_u32_e32 v0, v2
	v_min_u32_e32 v4, 32, v0
	v_subrev_u32_e32 v0, 28, v4
	v_bfe_u32 v3, v8, 3, 4
	v_lshlrev_b64 v[0:1], v0, v[8:9]
	v_sub_u32_e32 v1, 29, v4
	v_cmp_eq_u32_e64 s[4:5], 0, v3
	v_and_b32_e32 v0, 7, v0
	s_nop 0
	v_cndmask_b32_e64 v1, v3, v1, s[4:5]
	v_cndmask_b32_e64 v0, v2, v0, s[4:5]
	v_lshlrev_b32_e32 v2, 8, v8
	v_lshl_add_u32 v1, v1, 10, v53
	v_and_or_b32 v1, v2, s34, v1
	v_lshl_or_b32 v0, v0, 7, v1
	v_cvt_f32_f16_e32 v17, v0
.LBB283_42:                             ;   in Loop: Header=BB283_10 Depth=1
	s_or_b64 exec, exec, s[24:25]
	v_lshrrev_b16_e32 v8, 8, v8
	v_cmp_lt_i16_e64 s[4:5], s17, v8
	s_mov_b64 s[24:25], 0
                                        ; implicit-def: $sgpr35
	s_and_saveexec_b64 s[26:27], s[4:5]
	s_xor_b64 s[26:27], exec, s[26:27]
	s_cbranch_execnz .LBB283_300
; %bb.43:                               ;   in Loop: Header=BB283_10 Depth=1
	s_or_saveexec_b64 s[26:27], s[26:27]
	v_mov_b32_e32 v0, s35
	s_xor_b64 exec, exec, s[26:27]
	s_cbranch_execnz .LBB283_303
.LBB283_44:                             ;   in Loop: Header=BB283_10 Depth=1
	s_or_b64 exec, exec, s[26:27]
	s_and_saveexec_b64 s[26:27], s[24:25]
	s_cbranch_execz .LBB283_46
.LBB283_45:                             ;   in Loop: Header=BB283_10 Depth=1
	v_and_b32_e32 v2, 7, v8
	v_ffbh_u32_e32 v0, v2
	v_min_u32_e32 v4, 32, v0
	v_subrev_u32_e32 v0, 28, v4
	v_bfe_u32 v3, v8, 3, 4
	v_lshlrev_b64 v[0:1], v0, v[8:9]
	v_sub_u32_e32 v1, 29, v4
	v_cmp_eq_u32_e64 s[4:5], 0, v3
	v_and_b32_e32 v0, 7, v0
	s_nop 0
	v_cndmask_b32_e64 v1, v3, v1, s[4:5]
	v_cndmask_b32_e64 v0, v2, v0, s[4:5]
	v_lshlrev_b32_e32 v2, 8, v8
	v_lshl_add_u32 v1, v1, 10, v53
	v_and_or_b32 v1, v2, s34, v1
	v_lshl_or_b32 v0, v0, 7, v1
	v_cvt_f32_f16_e32 v0, v0
.LBB283_46:                             ;   in Loop: Header=BB283_10 Depth=1
	s_or_b64 exec, exec, s[26:27]
	v_accvgpr_write_b32 a44, v0
	flat_load_ushort v0, v[34:35] offset:512
	s_mov_b64 s[4:5], 0
                                        ; implicit-def: $sgpr28
	s_waitcnt vmcnt(0) lgkmcnt(0)
	v_cmp_gt_i16_sdwa s[24:25], v0, s17 src0_sel:BYTE_0 src1_sel:DWORD
	s_and_saveexec_b64 s[26:27], s[24:25]
	s_xor_b64 s[24:25], exec, s[26:27]
	s_cbranch_execnz .LBB283_304
; %bb.47:                               ;   in Loop: Header=BB283_10 Depth=1
	s_or_saveexec_b64 s[24:25], s[24:25]
	v_mov_b32_e32 v36, s28
	s_xor_b64 exec, exec, s[24:25]
	s_cbranch_execnz .LBB283_307
.LBB283_48:                             ;   in Loop: Header=BB283_10 Depth=1
	s_or_b64 exec, exec, s[24:25]
	v_and_b32_e32 v8, 0xffff, v0
	s_and_saveexec_b64 s[24:25], s[4:5]
	s_cbranch_execz .LBB283_50
.LBB283_49:                             ;   in Loop: Header=BB283_10 Depth=1
	v_and_b32_e32 v2, 7, v8
	v_ffbh_u32_e32 v0, v2
	v_min_u32_e32 v4, 32, v0
	v_subrev_u32_e32 v0, 28, v4
	v_bfe_u32 v3, v8, 3, 4
	v_lshlrev_b64 v[0:1], v0, v[8:9]
	v_sub_u32_e32 v1, 29, v4
	v_cmp_eq_u32_e64 s[4:5], 0, v3
	v_and_b32_e32 v0, 7, v0
	s_nop 0
	v_cndmask_b32_e64 v1, v3, v1, s[4:5]
	v_cndmask_b32_e64 v0, v2, v0, s[4:5]
	v_lshlrev_b32_e32 v2, 8, v8
	v_lshl_add_u32 v1, v1, 10, v53
	v_and_or_b32 v1, v2, s34, v1
	v_lshl_or_b32 v0, v0, 7, v1
	v_cvt_f32_f16_e32 v36, v0
.LBB283_50:                             ;   in Loop: Header=BB283_10 Depth=1
	s_or_b64 exec, exec, s[24:25]
	v_lshrrev_b16_e32 v8, 8, v8
	v_cmp_lt_i16_e64 s[4:5], s17, v8
	s_mov_b64 s[24:25], 0
                                        ; implicit-def: $sgpr35
	s_and_saveexec_b64 s[26:27], s[4:5]
	s_xor_b64 s[26:27], exec, s[26:27]
	s_cbranch_execnz .LBB283_308
; %bb.51:                               ;   in Loop: Header=BB283_10 Depth=1
	s_or_saveexec_b64 s[26:27], s[26:27]
	v_mov_b32_e32 v37, s35
	s_xor_b64 exec, exec, s[26:27]
	s_cbranch_execnz .LBB283_311
.LBB283_52:                             ;   in Loop: Header=BB283_10 Depth=1
	s_or_b64 exec, exec, s[26:27]
	s_and_saveexec_b64 s[26:27], s[24:25]
	s_cbranch_execz .LBB283_54
.LBB283_53:                             ;   in Loop: Header=BB283_10 Depth=1
	v_and_b32_e32 v2, 7, v8
	v_ffbh_u32_e32 v0, v2
	v_min_u32_e32 v4, 32, v0
	v_subrev_u32_e32 v0, 28, v4
	v_bfe_u32 v3, v8, 3, 4
	v_lshlrev_b64 v[0:1], v0, v[8:9]
	v_sub_u32_e32 v1, 29, v4
	v_cmp_eq_u32_e64 s[4:5], 0, v3
	v_and_b32_e32 v0, 7, v0
	s_nop 0
	v_cndmask_b32_e64 v1, v3, v1, s[4:5]
	v_cndmask_b32_e64 v0, v2, v0, s[4:5]
	v_lshlrev_b32_e32 v2, 8, v8
	v_lshl_add_u32 v1, v1, 10, v53
	v_and_or_b32 v1, v2, s34, v1
	v_lshl_or_b32 v0, v0, 7, v1
	v_cvt_f32_f16_e32 v37, v0
.LBB283_54:                             ;   in Loop: Header=BB283_10 Depth=1
	s_or_b64 exec, exec, s[26:27]
	flat_load_ushort v0, v[34:35] offset:520
	s_mov_b64 s[4:5], 0
                                        ; implicit-def: $sgpr28
	s_waitcnt vmcnt(0) lgkmcnt(0)
	v_cmp_gt_i16_sdwa s[24:25], v0, s17 src0_sel:BYTE_0 src1_sel:DWORD
	s_and_saveexec_b64 s[26:27], s[24:25]
	s_xor_b64 s[24:25], exec, s[26:27]
	s_cbranch_execnz .LBB283_312
; %bb.55:                               ;   in Loop: Header=BB283_10 Depth=1
	s_or_saveexec_b64 s[24:25], s[24:25]
	v_mov_b32_e32 v19, s28
	s_xor_b64 exec, exec, s[24:25]
	s_cbranch_execnz .LBB283_315
.LBB283_56:                             ;   in Loop: Header=BB283_10 Depth=1
	s_or_b64 exec, exec, s[24:25]
	v_and_b32_e32 v8, 0xffff, v0
	s_and_saveexec_b64 s[24:25], s[4:5]
	s_cbranch_execz .LBB283_58
.LBB283_57:                             ;   in Loop: Header=BB283_10 Depth=1
	v_and_b32_e32 v2, 7, v8
	v_ffbh_u32_e32 v0, v2
	v_min_u32_e32 v4, 32, v0
	v_subrev_u32_e32 v0, 28, v4
	v_bfe_u32 v3, v8, 3, 4
	v_lshlrev_b64 v[0:1], v0, v[8:9]
	v_sub_u32_e32 v1, 29, v4
	v_cmp_eq_u32_e64 s[4:5], 0, v3
	v_and_b32_e32 v0, 7, v0
	s_nop 0
	v_cndmask_b32_e64 v1, v3, v1, s[4:5]
	v_cndmask_b32_e64 v0, v2, v0, s[4:5]
	v_lshlrev_b32_e32 v2, 8, v8
	v_lshl_add_u32 v1, v1, 10, v53
	v_and_or_b32 v1, v2, s34, v1
	v_lshl_or_b32 v0, v0, 7, v1
	v_cvt_f32_f16_e32 v19, v0
.LBB283_58:                             ;   in Loop: Header=BB283_10 Depth=1
	s_or_b64 exec, exec, s[24:25]
	v_lshrrev_b16_e32 v8, 8, v8
	v_cmp_lt_i16_e64 s[4:5], s17, v8
	s_mov_b64 s[24:25], 0
                                        ; implicit-def: $sgpr35
	s_and_saveexec_b64 s[26:27], s[4:5]
	s_xor_b64 s[26:27], exec, s[26:27]
	s_cbranch_execnz .LBB283_316
; %bb.59:                               ;   in Loop: Header=BB283_10 Depth=1
	s_or_saveexec_b64 s[26:27], s[26:27]
	v_mov_b32_e32 v52, s35
	s_xor_b64 exec, exec, s[26:27]
	s_cbranch_execnz .LBB283_319
.LBB283_60:                             ;   in Loop: Header=BB283_10 Depth=1
	s_or_b64 exec, exec, s[26:27]
	s_and_saveexec_b64 s[26:27], s[24:25]
	s_cbranch_execz .LBB283_62
.LBB283_61:                             ;   in Loop: Header=BB283_10 Depth=1
	v_and_b32_e32 v2, 7, v8
	v_ffbh_u32_e32 v0, v2
	v_min_u32_e32 v4, 32, v0
	v_subrev_u32_e32 v0, 28, v4
	v_bfe_u32 v3, v8, 3, 4
	v_lshlrev_b64 v[0:1], v0, v[8:9]
	v_sub_u32_e32 v1, 29, v4
	v_cmp_eq_u32_e64 s[4:5], 0, v3
	v_and_b32_e32 v0, 7, v0
	s_nop 0
	v_cndmask_b32_e64 v1, v3, v1, s[4:5]
	v_cndmask_b32_e64 v0, v2, v0, s[4:5]
	v_lshlrev_b32_e32 v2, 8, v8
	v_lshl_add_u32 v1, v1, 10, v53
	v_and_or_b32 v1, v2, s34, v1
	v_lshl_or_b32 v0, v0, 7, v1
	v_cvt_f32_f16_e32 v52, v0
.LBB283_62:                             ;   in Loop: Header=BB283_10 Depth=1
	s_or_b64 exec, exec, s[26:27]
	flat_load_ushort v0, v[34:35] offset:768
	s_mov_b64 s[4:5], 0
                                        ; implicit-def: $sgpr28
	s_waitcnt vmcnt(0) lgkmcnt(0)
	v_cmp_gt_i16_sdwa s[24:25], v0, s17 src0_sel:BYTE_0 src1_sel:DWORD
	s_and_saveexec_b64 s[26:27], s[24:25]
	s_xor_b64 s[24:25], exec, s[26:27]
	s_cbranch_execnz .LBB283_320
; %bb.63:                               ;   in Loop: Header=BB283_10 Depth=1
	s_or_saveexec_b64 s[24:25], s[24:25]
	v_mov_b32_e32 v54, s28
	s_xor_b64 exec, exec, s[24:25]
	s_cbranch_execnz .LBB283_323
.LBB283_64:                             ;   in Loop: Header=BB283_10 Depth=1
	s_or_b64 exec, exec, s[24:25]
	v_and_b32_e32 v8, 0xffff, v0
	s_and_saveexec_b64 s[24:25], s[4:5]
	s_cbranch_execz .LBB283_66
.LBB283_65:                             ;   in Loop: Header=BB283_10 Depth=1
	v_and_b32_e32 v2, 7, v8
	v_ffbh_u32_e32 v0, v2
	v_min_u32_e32 v4, 32, v0
	v_subrev_u32_e32 v0, 28, v4
	v_bfe_u32 v3, v8, 3, 4
	v_lshlrev_b64 v[0:1], v0, v[8:9]
	v_sub_u32_e32 v1, 29, v4
	v_cmp_eq_u32_e64 s[4:5], 0, v3
	v_and_b32_e32 v0, 7, v0
	s_nop 0
	v_cndmask_b32_e64 v1, v3, v1, s[4:5]
	v_cndmask_b32_e64 v0, v2, v0, s[4:5]
	v_lshlrev_b32_e32 v2, 8, v8
	v_lshl_add_u32 v1, v1, 10, v53
	v_and_or_b32 v1, v2, s34, v1
	v_lshl_or_b32 v0, v0, 7, v1
	v_cvt_f32_f16_e32 v54, v0
.LBB283_66:                             ;   in Loop: Header=BB283_10 Depth=1
	s_or_b64 exec, exec, s[24:25]
	v_lshrrev_b16_e32 v8, 8, v8
	v_cmp_lt_i16_e64 s[4:5], s17, v8
	s_mov_b64 s[24:25], 0
                                        ; implicit-def: $sgpr35
	s_and_saveexec_b64 s[26:27], s[4:5]
	s_xor_b64 s[26:27], exec, s[26:27]
	s_cbranch_execnz .LBB283_324
; %bb.67:                               ;   in Loop: Header=BB283_10 Depth=1
	s_or_saveexec_b64 s[26:27], s[26:27]
	v_mov_b32_e32 v5, s35
	s_xor_b64 exec, exec, s[26:27]
	s_cbranch_execnz .LBB283_327
.LBB283_68:                             ;   in Loop: Header=BB283_10 Depth=1
	s_or_b64 exec, exec, s[26:27]
	s_and_saveexec_b64 s[26:27], s[24:25]
	s_cbranch_execz .LBB283_70
.LBB283_69:                             ;   in Loop: Header=BB283_10 Depth=1
	v_and_b32_e32 v2, 7, v8
	v_ffbh_u32_e32 v0, v2
	v_min_u32_e32 v4, 32, v0
	v_subrev_u32_e32 v0, 28, v4
	v_bfe_u32 v3, v8, 3, 4
	v_lshlrev_b64 v[0:1], v0, v[8:9]
	v_sub_u32_e32 v1, 29, v4
	v_cmp_eq_u32_e64 s[4:5], 0, v3
	v_and_b32_e32 v0, 7, v0
	s_nop 0
	v_cndmask_b32_e64 v1, v3, v1, s[4:5]
	v_cndmask_b32_e64 v0, v2, v0, s[4:5]
	v_lshlrev_b32_e32 v2, 8, v8
	v_lshl_add_u32 v1, v1, 10, v53
	v_and_or_b32 v1, v2, s34, v1
	v_lshl_or_b32 v0, v0, 7, v1
	v_cvt_f32_f16_e32 v5, v0
.LBB283_70:                             ;   in Loop: Header=BB283_10 Depth=1
	s_or_b64 exec, exec, s[26:27]
	flat_load_ushort v0, v[34:35] offset:776
	s_mov_b64 s[4:5], 0
                                        ; implicit-def: $sgpr28
	s_waitcnt vmcnt(0) lgkmcnt(0)
	v_cmp_gt_i16_sdwa s[24:25], v0, s17 src0_sel:BYTE_0 src1_sel:DWORD
	s_and_saveexec_b64 s[26:27], s[24:25]
	s_xor_b64 s[24:25], exec, s[26:27]
	s_cbranch_execnz .LBB283_328
; %bb.71:                               ;   in Loop: Header=BB283_10 Depth=1
	s_or_saveexec_b64 s[24:25], s[24:25]
	v_mov_b32_e32 v15, s28
	s_xor_b64 exec, exec, s[24:25]
	s_cbranch_execnz .LBB283_331
.LBB283_72:                             ;   in Loop: Header=BB283_10 Depth=1
	s_or_b64 exec, exec, s[24:25]
	v_and_b32_e32 v8, 0xffff, v0
	s_and_saveexec_b64 s[24:25], s[4:5]
	s_cbranch_execz .LBB283_74
.LBB283_73:                             ;   in Loop: Header=BB283_10 Depth=1
	v_and_b32_e32 v2, 7, v8
	v_ffbh_u32_e32 v0, v2
	v_min_u32_e32 v4, 32, v0
	v_subrev_u32_e32 v0, 28, v4
	v_bfe_u32 v3, v8, 3, 4
	v_lshlrev_b64 v[0:1], v0, v[8:9]
	v_sub_u32_e32 v1, 29, v4
	v_cmp_eq_u32_e64 s[4:5], 0, v3
	v_and_b32_e32 v0, 7, v0
	s_nop 0
	v_cndmask_b32_e64 v1, v3, v1, s[4:5]
	v_cndmask_b32_e64 v0, v2, v0, s[4:5]
	v_lshlrev_b32_e32 v2, 8, v8
	v_lshl_add_u32 v1, v1, 10, v53
	v_and_or_b32 v1, v2, s34, v1
	v_lshl_or_b32 v0, v0, 7, v1
	v_cvt_f32_f16_e32 v15, v0
.LBB283_74:                             ;   in Loop: Header=BB283_10 Depth=1
	s_or_b64 exec, exec, s[24:25]
	v_lshrrev_b16_e32 v8, 8, v8
	v_cmp_lt_i16_e64 s[4:5], s17, v8
	s_mov_b64 s[24:25], 0
                                        ; implicit-def: $sgpr35
	s_and_saveexec_b64 s[26:27], s[4:5]
	s_xor_b64 s[26:27], exec, s[26:27]
	s_cbranch_execnz .LBB283_332
; %bb.75:                               ;   in Loop: Header=BB283_10 Depth=1
	s_or_saveexec_b64 s[26:27], s[26:27]
	v_mov_b32_e32 v0, s35
	s_xor_b64 exec, exec, s[26:27]
	s_cbranch_execnz .LBB283_335
.LBB283_76:                             ;   in Loop: Header=BB283_10 Depth=1
	s_or_b64 exec, exec, s[26:27]
	s_and_saveexec_b64 s[26:27], s[24:25]
	s_cbranch_execz .LBB283_78
.LBB283_77:                             ;   in Loop: Header=BB283_10 Depth=1
	v_and_b32_e32 v2, 7, v8
	v_ffbh_u32_e32 v0, v2
	v_min_u32_e32 v4, 32, v0
	v_subrev_u32_e32 v0, 28, v4
	v_bfe_u32 v3, v8, 3, 4
	v_lshlrev_b64 v[0:1], v0, v[8:9]
	v_sub_u32_e32 v1, 29, v4
	v_cmp_eq_u32_e64 s[4:5], 0, v3
	v_and_b32_e32 v0, 7, v0
	s_nop 0
	v_cndmask_b32_e64 v1, v3, v1, s[4:5]
	v_cndmask_b32_e64 v0, v2, v0, s[4:5]
	v_lshlrev_b32_e32 v2, 8, v8
	v_lshl_add_u32 v1, v1, 10, v53
	v_and_or_b32 v1, v2, s34, v1
	v_lshl_or_b32 v0, v0, 7, v1
	v_cvt_f32_f16_e32 v0, v0
.LBB283_78:                             ;   in Loop: Header=BB283_10 Depth=1
	s_or_b64 exec, exec, s[26:27]
	v_accvgpr_write_b32 a39, v0
	flat_load_ushort v0, v[34:35] offset:1024
	s_mov_b64 s[4:5], 0
                                        ; implicit-def: $sgpr28
	s_waitcnt vmcnt(0) lgkmcnt(0)
	v_cmp_gt_i16_sdwa s[24:25], v0, s17 src0_sel:BYTE_0 src1_sel:DWORD
	s_and_saveexec_b64 s[26:27], s[24:25]
	s_xor_b64 s[24:25], exec, s[26:27]
	s_cbranch_execnz .LBB283_336
; %bb.79:                               ;   in Loop: Header=BB283_10 Depth=1
	s_or_saveexec_b64 s[24:25], s[24:25]
	v_mov_b32_e32 v62, s28
	s_xor_b64 exec, exec, s[24:25]
	s_cbranch_execnz .LBB283_339
.LBB283_80:                             ;   in Loop: Header=BB283_10 Depth=1
	s_or_b64 exec, exec, s[24:25]
	v_and_b32_e32 v8, 0xffff, v0
	s_and_saveexec_b64 s[24:25], s[4:5]
	s_cbranch_execz .LBB283_82
.LBB283_81:                             ;   in Loop: Header=BB283_10 Depth=1
	v_and_b32_e32 v2, 7, v8
	v_ffbh_u32_e32 v0, v2
	v_min_u32_e32 v4, 32, v0
	v_subrev_u32_e32 v0, 28, v4
	v_bfe_u32 v3, v8, 3, 4
	v_lshlrev_b64 v[0:1], v0, v[8:9]
	v_sub_u32_e32 v1, 29, v4
	v_cmp_eq_u32_e64 s[4:5], 0, v3
	v_and_b32_e32 v0, 7, v0
	s_nop 0
	v_cndmask_b32_e64 v1, v3, v1, s[4:5]
	v_cndmask_b32_e64 v0, v2, v0, s[4:5]
	v_lshlrev_b32_e32 v2, 8, v8
	v_lshl_add_u32 v1, v1, 10, v53
	v_and_or_b32 v1, v2, s34, v1
	v_lshl_or_b32 v0, v0, 7, v1
	v_cvt_f32_f16_e32 v62, v0
.LBB283_82:                             ;   in Loop: Header=BB283_10 Depth=1
	s_or_b64 exec, exec, s[24:25]
	v_lshrrev_b16_e32 v8, 8, v8
	v_cmp_lt_i16_e64 s[4:5], s17, v8
	s_mov_b64 s[24:25], 0
                                        ; implicit-def: $sgpr35
	s_and_saveexec_b64 s[26:27], s[4:5]
	s_xor_b64 s[26:27], exec, s[26:27]
	s_cbranch_execnz .LBB283_340
; %bb.83:                               ;   in Loop: Header=BB283_10 Depth=1
	s_or_saveexec_b64 s[26:27], s[26:27]
	v_mov_b32_e32 v0, s35
	s_xor_b64 exec, exec, s[26:27]
	s_cbranch_execnz .LBB283_343
.LBB283_84:                             ;   in Loop: Header=BB283_10 Depth=1
	s_or_b64 exec, exec, s[26:27]
	s_and_saveexec_b64 s[26:27], s[24:25]
	s_cbranch_execz .LBB283_86
.LBB283_85:                             ;   in Loop: Header=BB283_10 Depth=1
	v_and_b32_e32 v2, 7, v8
	v_ffbh_u32_e32 v0, v2
	v_min_u32_e32 v4, 32, v0
	v_subrev_u32_e32 v0, 28, v4
	v_bfe_u32 v3, v8, 3, 4
	v_lshlrev_b64 v[0:1], v0, v[8:9]
	v_sub_u32_e32 v1, 29, v4
	v_cmp_eq_u32_e64 s[4:5], 0, v3
	v_and_b32_e32 v0, 7, v0
	s_nop 0
	v_cndmask_b32_e64 v1, v3, v1, s[4:5]
	v_cndmask_b32_e64 v0, v2, v0, s[4:5]
	v_lshlrev_b32_e32 v2, 8, v8
	v_lshl_add_u32 v1, v1, 10, v53
	v_and_or_b32 v1, v2, s34, v1
	v_lshl_or_b32 v0, v0, 7, v1
	v_cvt_f32_f16_e32 v0, v0
.LBB283_86:                             ;   in Loop: Header=BB283_10 Depth=1
	s_or_b64 exec, exec, s[26:27]
	v_accvgpr_write_b32 a40, v0
	flat_load_ushort v0, v[34:35] offset:1032
	s_mov_b64 s[4:5], 0
                                        ; implicit-def: $sgpr28
	s_waitcnt vmcnt(0) lgkmcnt(0)
	v_cmp_gt_i16_sdwa s[24:25], v0, s17 src0_sel:BYTE_0 src1_sel:DWORD
	s_and_saveexec_b64 s[26:27], s[24:25]
	s_xor_b64 s[24:25], exec, s[26:27]
	s_cbranch_execnz .LBB283_344
; %bb.87:                               ;   in Loop: Header=BB283_10 Depth=1
	s_or_saveexec_b64 s[24:25], s[24:25]
	v_mov_b32_e32 v16, s28
	s_xor_b64 exec, exec, s[24:25]
	s_cbranch_execnz .LBB283_347
.LBB283_88:                             ;   in Loop: Header=BB283_10 Depth=1
	s_or_b64 exec, exec, s[24:25]
	v_and_b32_e32 v8, 0xffff, v0
	s_and_saveexec_b64 s[24:25], s[4:5]
	s_cbranch_execz .LBB283_90
.LBB283_89:                             ;   in Loop: Header=BB283_10 Depth=1
	v_and_b32_e32 v2, 7, v8
	v_ffbh_u32_e32 v0, v2
	v_min_u32_e32 v4, 32, v0
	v_subrev_u32_e32 v0, 28, v4
	v_bfe_u32 v3, v8, 3, 4
	v_lshlrev_b64 v[0:1], v0, v[8:9]
	v_sub_u32_e32 v1, 29, v4
	v_cmp_eq_u32_e64 s[4:5], 0, v3
	v_and_b32_e32 v0, 7, v0
	s_nop 0
	v_cndmask_b32_e64 v1, v3, v1, s[4:5]
	v_cndmask_b32_e64 v0, v2, v0, s[4:5]
	v_lshlrev_b32_e32 v2, 8, v8
	v_lshl_add_u32 v1, v1, 10, v53
	v_and_or_b32 v1, v2, s34, v1
	v_lshl_or_b32 v0, v0, 7, v1
	v_cvt_f32_f16_e32 v16, v0
.LBB283_90:                             ;   in Loop: Header=BB283_10 Depth=1
	s_or_b64 exec, exec, s[24:25]
	v_lshrrev_b16_e32 v8, 8, v8
	v_cmp_lt_i16_e64 s[4:5], s17, v8
	s_mov_b64 s[24:25], 0
                                        ; implicit-def: $sgpr35
	s_and_saveexec_b64 s[26:27], s[4:5]
	s_xor_b64 s[26:27], exec, s[26:27]
	s_cbranch_execnz .LBB283_348
; %bb.91:                               ;   in Loop: Header=BB283_10 Depth=1
	s_or_saveexec_b64 s[26:27], s[26:27]
	v_mov_b32_e32 v0, s35
	s_xor_b64 exec, exec, s[26:27]
	s_cbranch_execnz .LBB283_351
.LBB283_92:                             ;   in Loop: Header=BB283_10 Depth=1
	s_or_b64 exec, exec, s[26:27]
	s_and_saveexec_b64 s[26:27], s[24:25]
	s_cbranch_execz .LBB283_94
.LBB283_93:                             ;   in Loop: Header=BB283_10 Depth=1
	v_and_b32_e32 v2, 7, v8
	v_ffbh_u32_e32 v0, v2
	v_min_u32_e32 v4, 32, v0
	v_subrev_u32_e32 v0, 28, v4
	v_bfe_u32 v3, v8, 3, 4
	v_lshlrev_b64 v[0:1], v0, v[8:9]
	v_sub_u32_e32 v1, 29, v4
	v_cmp_eq_u32_e64 s[4:5], 0, v3
	v_and_b32_e32 v0, 7, v0
	s_nop 0
	v_cndmask_b32_e64 v1, v3, v1, s[4:5]
	v_cndmask_b32_e64 v0, v2, v0, s[4:5]
	v_lshlrev_b32_e32 v2, 8, v8
	v_lshl_add_u32 v1, v1, 10, v53
	v_and_or_b32 v1, v2, s34, v1
	v_lshl_or_b32 v0, v0, 7, v1
	v_cvt_f32_f16_e32 v0, v0
.LBB283_94:                             ;   in Loop: Header=BB283_10 Depth=1
	s_or_b64 exec, exec, s[26:27]
	v_accvgpr_write_b32 a41, v0
	flat_load_ushort v0, v[34:35] offset:1280
	s_mov_b64 s[4:5], 0
                                        ; implicit-def: $sgpr28
	s_waitcnt vmcnt(0) lgkmcnt(0)
	v_cmp_gt_i16_sdwa s[24:25], v0, s17 src0_sel:BYTE_0 src1_sel:DWORD
	s_and_saveexec_b64 s[26:27], s[24:25]
	s_xor_b64 s[24:25], exec, s[26:27]
	s_cbranch_execnz .LBB283_352
; %bb.95:                               ;   in Loop: Header=BB283_10 Depth=1
	s_or_saveexec_b64 s[24:25], s[24:25]
	v_mov_b32_e32 v32, s28
	s_xor_b64 exec, exec, s[24:25]
	s_cbranch_execnz .LBB283_355
.LBB283_96:                             ;   in Loop: Header=BB283_10 Depth=1
	s_or_b64 exec, exec, s[24:25]
	v_and_b32_e32 v8, 0xffff, v0
	s_and_saveexec_b64 s[24:25], s[4:5]
	s_cbranch_execz .LBB283_98
.LBB283_97:                             ;   in Loop: Header=BB283_10 Depth=1
	v_and_b32_e32 v2, 7, v8
	v_ffbh_u32_e32 v0, v2
	v_min_u32_e32 v4, 32, v0
	v_subrev_u32_e32 v0, 28, v4
	v_bfe_u32 v3, v8, 3, 4
	v_lshlrev_b64 v[0:1], v0, v[8:9]
	v_sub_u32_e32 v1, 29, v4
	v_cmp_eq_u32_e64 s[4:5], 0, v3
	v_and_b32_e32 v0, 7, v0
	s_nop 0
	v_cndmask_b32_e64 v1, v3, v1, s[4:5]
	v_cndmask_b32_e64 v0, v2, v0, s[4:5]
	v_lshlrev_b32_e32 v2, 8, v8
	v_lshl_add_u32 v1, v1, 10, v53
	v_and_or_b32 v1, v2, s34, v1
	v_lshl_or_b32 v0, v0, 7, v1
	v_cvt_f32_f16_e32 v32, v0
.LBB283_98:                             ;   in Loop: Header=BB283_10 Depth=1
	s_or_b64 exec, exec, s[24:25]
	v_lshrrev_b16_e32 v8, 8, v8
	v_cmp_lt_i16_e64 s[4:5], s17, v8
	s_mov_b64 s[24:25], 0
                                        ; implicit-def: $sgpr35
	s_and_saveexec_b64 s[26:27], s[4:5]
	s_xor_b64 s[26:27], exec, s[26:27]
	s_cbranch_execnz .LBB283_356
; %bb.99:                               ;   in Loop: Header=BB283_10 Depth=1
	s_or_saveexec_b64 s[26:27], s[26:27]
	v_mov_b32_e32 v0, s35
	s_xor_b64 exec, exec, s[26:27]
	s_cbranch_execnz .LBB283_359
.LBB283_100:                            ;   in Loop: Header=BB283_10 Depth=1
	s_or_b64 exec, exec, s[26:27]
	s_and_saveexec_b64 s[26:27], s[24:25]
	s_cbranch_execz .LBB283_102
.LBB283_101:                            ;   in Loop: Header=BB283_10 Depth=1
	v_and_b32_e32 v2, 7, v8
	v_ffbh_u32_e32 v0, v2
	v_min_u32_e32 v4, 32, v0
	v_subrev_u32_e32 v0, 28, v4
	v_bfe_u32 v3, v8, 3, 4
	v_lshlrev_b64 v[0:1], v0, v[8:9]
	v_sub_u32_e32 v1, 29, v4
	v_cmp_eq_u32_e64 s[4:5], 0, v3
	v_and_b32_e32 v0, 7, v0
	s_nop 0
	v_cndmask_b32_e64 v1, v3, v1, s[4:5]
	v_cndmask_b32_e64 v0, v2, v0, s[4:5]
	v_lshlrev_b32_e32 v2, 8, v8
	v_lshl_add_u32 v1, v1, 10, v53
	v_and_or_b32 v1, v2, s34, v1
	v_lshl_or_b32 v0, v0, 7, v1
	v_cvt_f32_f16_e32 v0, v0
.LBB283_102:                            ;   in Loop: Header=BB283_10 Depth=1
	s_or_b64 exec, exec, s[26:27]
	v_accvgpr_write_b32 a43, v0
	flat_load_ushort v0, v[34:35] offset:1288
	s_mov_b64 s[4:5], 0
                                        ; implicit-def: $sgpr28
	s_waitcnt vmcnt(0) lgkmcnt(0)
	v_cmp_gt_i16_sdwa s[24:25], v0, s17 src0_sel:BYTE_0 src1_sel:DWORD
	s_and_saveexec_b64 s[26:27], s[24:25]
	s_xor_b64 s[24:25], exec, s[26:27]
	s_cbranch_execnz .LBB283_360
; %bb.103:                              ;   in Loop: Header=BB283_10 Depth=1
	s_or_saveexec_b64 s[24:25], s[24:25]
	v_mov_b32_e32 v33, s28
	s_xor_b64 exec, exec, s[24:25]
	s_cbranch_execnz .LBB283_363
.LBB283_104:                            ;   in Loop: Header=BB283_10 Depth=1
	s_or_b64 exec, exec, s[24:25]
	v_and_b32_e32 v8, 0xffff, v0
	s_and_saveexec_b64 s[24:25], s[4:5]
	s_cbranch_execz .LBB283_106
.LBB283_105:                            ;   in Loop: Header=BB283_10 Depth=1
	v_and_b32_e32 v2, 7, v8
	v_ffbh_u32_e32 v0, v2
	v_min_u32_e32 v4, 32, v0
	v_subrev_u32_e32 v0, 28, v4
	v_bfe_u32 v3, v8, 3, 4
	v_lshlrev_b64 v[0:1], v0, v[8:9]
	v_sub_u32_e32 v1, 29, v4
	v_cmp_eq_u32_e64 s[4:5], 0, v3
	v_and_b32_e32 v0, 7, v0
	s_nop 0
	v_cndmask_b32_e64 v1, v3, v1, s[4:5]
	v_cndmask_b32_e64 v0, v2, v0, s[4:5]
	v_lshlrev_b32_e32 v2, 8, v8
	v_lshl_add_u32 v1, v1, 10, v53
	v_and_or_b32 v1, v2, s34, v1
	v_lshl_or_b32 v0, v0, 7, v1
	v_cvt_f32_f16_e32 v33, v0
.LBB283_106:                            ;   in Loop: Header=BB283_10 Depth=1
	s_or_b64 exec, exec, s[24:25]
	v_lshrrev_b16_e32 v8, 8, v8
	v_cmp_lt_i16_e64 s[4:5], s17, v8
	s_mov_b64 s[24:25], 0
                                        ; implicit-def: $sgpr35
	s_and_saveexec_b64 s[26:27], s[4:5]
	s_xor_b64 s[26:27], exec, s[26:27]
	s_cbranch_execnz .LBB283_364
; %bb.107:                              ;   in Loop: Header=BB283_10 Depth=1
	s_or_saveexec_b64 s[26:27], s[26:27]
	v_mov_b32_e32 v0, s35
	s_xor_b64 exec, exec, s[26:27]
	s_cbranch_execnz .LBB283_367
.LBB283_108:                            ;   in Loop: Header=BB283_10 Depth=1
	s_or_b64 exec, exec, s[26:27]
	s_and_saveexec_b64 s[26:27], s[24:25]
	s_cbranch_execz .LBB283_110
.LBB283_109:                            ;   in Loop: Header=BB283_10 Depth=1
	v_and_b32_e32 v2, 7, v8
	v_ffbh_u32_e32 v0, v2
	v_mov_b32_e32 v4, v5
	v_min_u32_e32 v5, 32, v0
	v_subrev_u32_e32 v0, 28, v5
	v_bfe_u32 v3, v8, 3, 4
	v_lshlrev_b64 v[0:1], v0, v[8:9]
	v_sub_u32_e32 v1, 29, v5
	v_cmp_eq_u32_e64 s[4:5], 0, v3
	v_and_b32_e32 v0, 7, v0
	v_mov_b32_e32 v5, v4
	v_cndmask_b32_e64 v1, v3, v1, s[4:5]
	v_cndmask_b32_e64 v0, v2, v0, s[4:5]
	v_lshlrev_b32_e32 v2, 8, v8
	v_lshl_add_u32 v1, v1, 10, v53
	v_and_or_b32 v1, v2, s34, v1
	v_lshl_or_b32 v0, v0, 7, v1
	v_cvt_f32_f16_e32 v0, v0
.LBB283_110:                            ;   in Loop: Header=BB283_10 Depth=1
	s_or_b64 exec, exec, s[26:27]
	v_accvgpr_write_b32 a45, v0
	flat_load_ushort v0, v[34:35] offset:1536
	s_mov_b64 s[4:5], 0
                                        ; implicit-def: $sgpr28
	s_waitcnt vmcnt(0) lgkmcnt(0)
	v_cmp_gt_i16_sdwa s[24:25], v0, s17 src0_sel:BYTE_0 src1_sel:DWORD
	s_and_saveexec_b64 s[26:27], s[24:25]
	s_xor_b64 s[24:25], exec, s[26:27]
	s_cbranch_execnz .LBB283_368
; %bb.111:                              ;   in Loop: Header=BB283_10 Depth=1
	s_or_saveexec_b64 s[24:25], s[24:25]
	v_mov_b32_e32 v4, s28
	s_xor_b64 exec, exec, s[24:25]
	s_cbranch_execnz .LBB283_371
.LBB283_112:                            ;   in Loop: Header=BB283_10 Depth=1
	s_or_b64 exec, exec, s[24:25]
	v_and_b32_e32 v8, 0xffff, v0
	s_and_saveexec_b64 s[24:25], s[4:5]
	s_cbranch_execz .LBB283_114
.LBB283_113:                            ;   in Loop: Header=BB283_10 Depth=1
	v_and_b32_e32 v2, 7, v8
	v_ffbh_u32_e32 v0, v2
	v_min_u32_e32 v6, 32, v0
	v_subrev_u32_e32 v0, 28, v6
	v_bfe_u32 v3, v8, 3, 4
	v_lshlrev_b64 v[0:1], v0, v[8:9]
	v_sub_u32_e32 v1, 29, v6
	v_cmp_eq_u32_e64 s[4:5], 0, v3
	v_and_b32_e32 v0, 7, v0
	s_nop 0
	v_cndmask_b32_e64 v1, v3, v1, s[4:5]
	v_cndmask_b32_e64 v0, v2, v0, s[4:5]
	v_lshlrev_b32_e32 v2, 8, v8
	v_lshl_add_u32 v1, v1, 10, v53
	v_and_or_b32 v1, v2, s34, v1
	v_lshl_or_b32 v0, v0, 7, v1
	v_cvt_f32_f16_e32 v4, v0
.LBB283_114:                            ;   in Loop: Header=BB283_10 Depth=1
	s_or_b64 exec, exec, s[24:25]
	v_lshrrev_b16_e32 v8, 8, v8
	v_cmp_lt_i16_e64 s[4:5], s17, v8
	s_mov_b64 s[24:25], 0
                                        ; implicit-def: $sgpr35
	s_and_saveexec_b64 s[26:27], s[4:5]
	s_xor_b64 s[26:27], exec, s[26:27]
	s_cbranch_execnz .LBB283_372
; %bb.115:                              ;   in Loop: Header=BB283_10 Depth=1
	s_or_saveexec_b64 s[26:27], s[26:27]
	v_mov_b32_e32 v50, s35
	s_xor_b64 exec, exec, s[26:27]
	s_cbranch_execnz .LBB283_375
.LBB283_116:                            ;   in Loop: Header=BB283_10 Depth=1
	s_or_b64 exec, exec, s[26:27]
	s_and_saveexec_b64 s[26:27], s[24:25]
	s_cbranch_execz .LBB283_118
.LBB283_117:                            ;   in Loop: Header=BB283_10 Depth=1
	v_and_b32_e32 v2, 7, v8
	v_ffbh_u32_e32 v0, v2
	v_min_u32_e32 v6, 32, v0
	v_subrev_u32_e32 v0, 28, v6
	v_bfe_u32 v3, v8, 3, 4
	v_lshlrev_b64 v[0:1], v0, v[8:9]
	v_sub_u32_e32 v1, 29, v6
	v_cmp_eq_u32_e64 s[4:5], 0, v3
	v_and_b32_e32 v0, 7, v0
	s_nop 0
	v_cndmask_b32_e64 v1, v3, v1, s[4:5]
	v_cndmask_b32_e64 v0, v2, v0, s[4:5]
	v_lshlrev_b32_e32 v2, 8, v8
	v_lshl_add_u32 v1, v1, 10, v53
	v_and_or_b32 v1, v2, s34, v1
	v_lshl_or_b32 v0, v0, 7, v1
	v_cvt_f32_f16_e32 v50, v0
.LBB283_118:                            ;   in Loop: Header=BB283_10 Depth=1
	s_or_b64 exec, exec, s[26:27]
	flat_load_ushort v0, v[34:35] offset:1544
	s_mov_b64 s[4:5], 0
                                        ; implicit-def: $sgpr28
	s_waitcnt vmcnt(0) lgkmcnt(0)
	v_cmp_gt_i16_sdwa s[24:25], v0, s17 src0_sel:BYTE_0 src1_sel:DWORD
	s_and_saveexec_b64 s[26:27], s[24:25]
	s_xor_b64 s[24:25], exec, s[26:27]
	s_cbranch_execnz .LBB283_376
; %bb.119:                              ;   in Loop: Header=BB283_10 Depth=1
	s_or_saveexec_b64 s[24:25], s[24:25]
	v_mov_b32_e32 v51, s28
	s_xor_b64 exec, exec, s[24:25]
	s_cbranch_execnz .LBB283_379
.LBB283_120:                            ;   in Loop: Header=BB283_10 Depth=1
	s_or_b64 exec, exec, s[24:25]
	v_and_b32_e32 v8, 0xffff, v0
	s_and_saveexec_b64 s[24:25], s[4:5]
	s_cbranch_execz .LBB283_122
.LBB283_121:                            ;   in Loop: Header=BB283_10 Depth=1
	v_and_b32_e32 v2, 7, v8
	v_ffbh_u32_e32 v0, v2
	v_min_u32_e32 v6, 32, v0
	v_subrev_u32_e32 v0, 28, v6
	v_bfe_u32 v3, v8, 3, 4
	v_lshlrev_b64 v[0:1], v0, v[8:9]
	v_sub_u32_e32 v1, 29, v6
	v_cmp_eq_u32_e64 s[4:5], 0, v3
	v_and_b32_e32 v0, 7, v0
	s_nop 0
	v_cndmask_b32_e64 v1, v3, v1, s[4:5]
	v_cndmask_b32_e64 v0, v2, v0, s[4:5]
	v_lshlrev_b32_e32 v2, 8, v8
	v_lshl_add_u32 v1, v1, 10, v53
	v_and_or_b32 v1, v2, s34, v1
	v_lshl_or_b32 v0, v0, 7, v1
	v_cvt_f32_f16_e32 v51, v0
.LBB283_122:                            ;   in Loop: Header=BB283_10 Depth=1
	s_or_b64 exec, exec, s[24:25]
	v_lshrrev_b16_e32 v8, 8, v8
	v_cmp_lt_i16_e64 s[4:5], s17, v8
	s_mov_b64 s[24:25], 0
                                        ; implicit-def: $sgpr35
	s_and_saveexec_b64 s[26:27], s[4:5]
	s_xor_b64 s[26:27], exec, s[26:27]
	s_cbranch_execnz .LBB283_380
; %bb.123:                              ;   in Loop: Header=BB283_10 Depth=1
	s_or_saveexec_b64 s[26:27], s[26:27]
	v_mov_b32_e32 v12, s35
	s_xor_b64 exec, exec, s[26:27]
	s_cbranch_execnz .LBB283_383
.LBB283_124:                            ;   in Loop: Header=BB283_10 Depth=1
	s_or_b64 exec, exec, s[26:27]
	s_and_saveexec_b64 s[26:27], s[24:25]
	s_cbranch_execz .LBB283_126
.LBB283_125:                            ;   in Loop: Header=BB283_10 Depth=1
	v_and_b32_e32 v2, 7, v8
	v_ffbh_u32_e32 v0, v2
	v_min_u32_e32 v6, 32, v0
	v_subrev_u32_e32 v0, 28, v6
	v_bfe_u32 v3, v8, 3, 4
	v_lshlrev_b64 v[0:1], v0, v[8:9]
	v_sub_u32_e32 v1, 29, v6
	v_cmp_eq_u32_e64 s[4:5], 0, v3
	v_and_b32_e32 v0, 7, v0
	s_nop 0
	v_cndmask_b32_e64 v1, v3, v1, s[4:5]
	v_cndmask_b32_e64 v0, v2, v0, s[4:5]
	v_lshlrev_b32_e32 v2, 8, v8
	v_lshl_add_u32 v1, v1, 10, v53
	v_and_or_b32 v1, v2, s34, v1
	v_lshl_or_b32 v0, v0, 7, v1
	v_cvt_f32_f16_e32 v12, v0
.LBB283_126:                            ;   in Loop: Header=BB283_10 Depth=1
	s_or_b64 exec, exec, s[26:27]
	flat_load_ushort v0, v[34:35] offset:1792
	s_mov_b64 s[4:5], 0
                                        ; implicit-def: $sgpr28
	s_waitcnt vmcnt(0) lgkmcnt(0)
	v_cmp_gt_i16_sdwa s[24:25], v0, s17 src0_sel:BYTE_0 src1_sel:DWORD
	s_and_saveexec_b64 s[26:27], s[24:25]
	s_xor_b64 s[24:25], exec, s[26:27]
	s_cbranch_execnz .LBB283_384
; %bb.127:                              ;   in Loop: Header=BB283_10 Depth=1
	s_or_saveexec_b64 s[24:25], s[24:25]
	v_mov_b32_e32 v11, s28
	s_xor_b64 exec, exec, s[24:25]
	s_cbranch_execnz .LBB283_387
.LBB283_128:                            ;   in Loop: Header=BB283_10 Depth=1
	s_or_b64 exec, exec, s[24:25]
	v_and_b32_e32 v8, 0xffff, v0
	s_and_saveexec_b64 s[24:25], s[4:5]
	s_cbranch_execz .LBB283_130
.LBB283_129:                            ;   in Loop: Header=BB283_10 Depth=1
	v_and_b32_e32 v2, 7, v8
	v_ffbh_u32_e32 v0, v2
	v_min_u32_e32 v6, 32, v0
	v_subrev_u32_e32 v0, 28, v6
	v_bfe_u32 v3, v8, 3, 4
	v_lshlrev_b64 v[0:1], v0, v[8:9]
	v_sub_u32_e32 v1, 29, v6
	v_cmp_eq_u32_e64 s[4:5], 0, v3
	v_and_b32_e32 v0, 7, v0
	s_nop 0
	v_cndmask_b32_e64 v1, v3, v1, s[4:5]
	v_cndmask_b32_e64 v0, v2, v0, s[4:5]
	v_lshlrev_b32_e32 v2, 8, v8
	v_lshl_add_u32 v1, v1, 10, v53
	v_and_or_b32 v1, v2, s34, v1
	v_lshl_or_b32 v0, v0, 7, v1
	v_cvt_f32_f16_e32 v11, v0
.LBB283_130:                            ;   in Loop: Header=BB283_10 Depth=1
	s_or_b64 exec, exec, s[24:25]
	v_lshrrev_b16_e32 v8, 8, v8
	v_cmp_lt_i16_e64 s[4:5], s17, v8
	s_mov_b64 s[24:25], 0
                                        ; implicit-def: $sgpr35
	s_and_saveexec_b64 s[26:27], s[4:5]
	s_xor_b64 s[26:27], exec, s[26:27]
	s_cbranch_execnz .LBB283_388
; %bb.131:                              ;   in Loop: Header=BB283_10 Depth=1
	s_or_saveexec_b64 s[26:27], s[26:27]
	v_mov_b32_e32 v10, s35
	s_xor_b64 exec, exec, s[26:27]
	s_cbranch_execnz .LBB283_391
.LBB283_132:                            ;   in Loop: Header=BB283_10 Depth=1
	s_or_b64 exec, exec, s[26:27]
	s_and_saveexec_b64 s[26:27], s[24:25]
	s_cbranch_execz .LBB283_134
.LBB283_133:                            ;   in Loop: Header=BB283_10 Depth=1
	v_and_b32_e32 v2, 7, v8
	v_ffbh_u32_e32 v0, v2
	v_min_u32_e32 v6, 32, v0
	v_subrev_u32_e32 v0, 28, v6
	v_bfe_u32 v3, v8, 3, 4
	v_lshlrev_b64 v[0:1], v0, v[8:9]
	v_sub_u32_e32 v1, 29, v6
	v_cmp_eq_u32_e64 s[4:5], 0, v3
	v_and_b32_e32 v0, 7, v0
	s_nop 0
	v_cndmask_b32_e64 v1, v3, v1, s[4:5]
	v_cndmask_b32_e64 v0, v2, v0, s[4:5]
	v_lshlrev_b32_e32 v2, 8, v8
	v_lshl_add_u32 v1, v1, 10, v53
	v_and_or_b32 v1, v2, s34, v1
	v_lshl_or_b32 v0, v0, 7, v1
	v_cvt_f32_f16_e32 v10, v0
.LBB283_134:                            ;   in Loop: Header=BB283_10 Depth=1
	s_or_b64 exec, exec, s[26:27]
	flat_load_ushort v0, v[34:35] offset:1800
	s_mov_b64 s[4:5], 0
                                        ; implicit-def: $sgpr28
	s_waitcnt vmcnt(0) lgkmcnt(0)
	v_cmp_gt_i16_sdwa s[24:25], v0, s17 src0_sel:BYTE_0 src1_sel:DWORD
	s_and_saveexec_b64 s[26:27], s[24:25]
	s_xor_b64 s[24:25], exec, s[26:27]
	s_cbranch_execnz .LBB283_392
; %bb.135:                              ;   in Loop: Header=BB283_10 Depth=1
	s_or_saveexec_b64 s[24:25], s[24:25]
	v_mov_b32_e32 v1, s28
	s_xor_b64 exec, exec, s[24:25]
	s_cbranch_execnz .LBB283_395
.LBB283_136:                            ;   in Loop: Header=BB283_10 Depth=1
	s_or_b64 exec, exec, s[24:25]
	v_and_b32_e32 v8, 0xffff, v0
	s_and_saveexec_b64 s[24:25], s[4:5]
	s_cbranch_execz .LBB283_138
.LBB283_137:                            ;   in Loop: Header=BB283_10 Depth=1
	v_and_b32_e32 v2, 7, v8
	v_ffbh_u32_e32 v0, v2
	v_min_u32_e32 v6, 32, v0
	v_subrev_u32_e32 v0, 28, v6
	v_bfe_u32 v3, v8, 3, 4
	v_lshlrev_b64 v[0:1], v0, v[8:9]
	v_sub_u32_e32 v1, 29, v6
	v_cmp_eq_u32_e64 s[4:5], 0, v3
	v_and_b32_e32 v0, 7, v0
	s_nop 0
	v_cndmask_b32_e64 v1, v3, v1, s[4:5]
	v_cndmask_b32_e64 v0, v2, v0, s[4:5]
	v_lshlrev_b32_e32 v2, 8, v8
	v_lshl_add_u32 v1, v1, 10, v53
	v_and_or_b32 v1, v2, s34, v1
	v_lshl_or_b32 v0, v0, 7, v1
	v_cvt_f32_f16_e32 v1, v0
.LBB283_138:                            ;   in Loop: Header=BB283_10 Depth=1
	s_or_b64 exec, exec, s[24:25]
	v_lshrrev_b16_e32 v8, 8, v8
	v_cmp_lt_i16_e64 s[4:5], s17, v8
	s_mov_b64 s[24:25], 0
                                        ; implicit-def: $sgpr35
	s_and_saveexec_b64 s[26:27], s[4:5]
	s_xor_b64 s[26:27], exec, s[26:27]
	s_cbranch_execnz .LBB283_396
; %bb.139:                              ;   in Loop: Header=BB283_10 Depth=1
	s_or_saveexec_b64 s[26:27], s[26:27]
	v_mov_b32_e32 v0, s35
	s_xor_b64 exec, exec, s[26:27]
	s_cbranch_execnz .LBB283_399
.LBB283_140:                            ;   in Loop: Header=BB283_10 Depth=1
	s_or_b64 exec, exec, s[26:27]
	v_accvgpr_write_b32 a48, v1
	s_and_saveexec_b64 s[26:27], s[24:25]
	s_cbranch_execz .LBB283_142
.LBB283_141:                            ;   in Loop: Header=BB283_10 Depth=1
	v_and_b32_e32 v0, 7, v8
	v_ffbh_u32_e32 v2, v0
	v_min_u32_e32 v7, 32, v2
	v_subrev_u32_e32 v2, 28, v7
	v_bfe_u32 v6, v8, 3, 4
	v_lshlrev_b64 v[2:3], v2, v[8:9]
	v_sub_u32_e32 v3, 29, v7
	v_cmp_eq_u32_e64 s[4:5], 0, v6
	v_and_b32_e32 v2, 7, v2
	s_nop 0
	v_cndmask_b32_e64 v3, v6, v3, s[4:5]
	v_cndmask_b32_e64 v0, v0, v2, s[4:5]
	v_lshlrev_b32_e32 v2, 8, v8
	v_lshl_add_u32 v3, v3, 10, v53
	v_and_or_b32 v2, v2, s34, v3
	v_lshl_or_b32 v0, v0, 7, v2
	v_cvt_f32_f16_e32 v0, v0
.LBB283_142:                            ;   in Loop: Header=BB283_10 Depth=1
	s_or_b64 exec, exec, s[26:27]
	flat_load_ushort v2, v[34:35] offset:2048
	s_mov_b64 s[4:5], 0
                                        ; implicit-def: $sgpr28
	s_waitcnt vmcnt(0) lgkmcnt(0)
	v_cmp_gt_i16_sdwa s[24:25], v2, s17 src0_sel:BYTE_0 src1_sel:DWORD
	s_and_saveexec_b64 s[26:27], s[24:25]
	s_xor_b64 s[24:25], exec, s[26:27]
	s_cbranch_execnz .LBB283_400
; %bb.143:                              ;   in Loop: Header=BB283_10 Depth=1
	s_or_saveexec_b64 s[24:25], s[24:25]
	v_mov_b32_e32 v3, s28
	s_xor_b64 exec, exec, s[24:25]
	s_cbranch_execnz .LBB283_403
.LBB283_144:                            ;   in Loop: Header=BB283_10 Depth=1
	s_or_b64 exec, exec, s[24:25]
	v_and_b32_e32 v8, 0xffff, v2
	s_and_saveexec_b64 s[24:25], s[4:5]
	s_cbranch_execz .LBB283_146
.LBB283_145:                            ;   in Loop: Header=BB283_10 Depth=1
	v_and_b32_e32 v6, 7, v8
	v_ffbh_u32_e32 v2, v6
	v_min_u32_e32 v13, 32, v2
	v_subrev_u32_e32 v2, 28, v13
	v_bfe_u32 v7, v8, 3, 4
	v_lshlrev_b64 v[2:3], v2, v[8:9]
	v_sub_u32_e32 v3, 29, v13
	v_cmp_eq_u32_e64 s[4:5], 0, v7
	v_and_b32_e32 v2, 7, v2
	s_nop 0
	v_cndmask_b32_e64 v3, v7, v3, s[4:5]
	v_cndmask_b32_e64 v2, v6, v2, s[4:5]
	v_lshlrev_b32_e32 v6, 8, v8
	v_lshl_add_u32 v3, v3, 10, v53
	v_and_or_b32 v3, v6, s34, v3
	v_lshl_or_b32 v2, v2, 7, v3
	v_cvt_f32_f16_e32 v3, v2
.LBB283_146:                            ;   in Loop: Header=BB283_10 Depth=1
	s_or_b64 exec, exec, s[24:25]
	v_lshrrev_b16_e32 v8, 8, v8
	v_cmp_lt_i16_e64 s[4:5], s17, v8
	s_mov_b64 s[24:25], 0
                                        ; implicit-def: $sgpr35
	s_and_saveexec_b64 s[26:27], s[4:5]
	s_xor_b64 s[26:27], exec, s[26:27]
	s_cbranch_execnz .LBB283_404
; %bb.147:                              ;   in Loop: Header=BB283_10 Depth=1
	s_or_saveexec_b64 s[26:27], s[26:27]
	v_mov_b32_e32 v1, s35
	s_xor_b64 exec, exec, s[26:27]
	s_cbranch_execnz .LBB283_407
.LBB283_148:                            ;   in Loop: Header=BB283_10 Depth=1
	s_or_b64 exec, exec, s[26:27]
	s_and_saveexec_b64 s[26:27], s[24:25]
	s_cbranch_execz .LBB283_150
.LBB283_149:                            ;   in Loop: Header=BB283_10 Depth=1
	v_and_b32_e32 v2, 7, v8
	v_ffbh_u32_e32 v6, v2
	v_min_u32_e32 v14, 32, v6
	v_subrev_u32_e32 v6, 28, v14
	v_bfe_u32 v13, v8, 3, 4
	v_lshlrev_b64 v[6:7], v6, v[8:9]
	v_sub_u32_e32 v7, 29, v14
	v_cmp_eq_u32_e64 s[4:5], 0, v13
	v_and_b32_e32 v6, 7, v6
	s_nop 0
	v_cndmask_b32_e64 v7, v13, v7, s[4:5]
	v_cndmask_b32_e64 v2, v2, v6, s[4:5]
	v_lshlrev_b32_e32 v6, 8, v8
	v_lshl_add_u32 v7, v7, 10, v53
	v_and_or_b32 v6, v6, s34, v7
	v_lshl_or_b32 v2, v2, 7, v6
	v_cvt_f32_f16_e32 v1, v2
.LBB283_150:                            ;   in Loop: Header=BB283_10 Depth=1
	s_or_b64 exec, exec, s[26:27]
	flat_load_ushort v6, v[34:35] offset:2056
	v_accvgpr_write_b32 a50, v1
	s_mov_b64 s[4:5], 0
                                        ; implicit-def: $sgpr28
	s_waitcnt vmcnt(0) lgkmcnt(0)
	v_cmp_gt_i16_sdwa s[24:25], v6, s17 src0_sel:BYTE_0 src1_sel:DWORD
	s_and_saveexec_b64 s[26:27], s[24:25]
	s_xor_b64 s[24:25], exec, s[26:27]
	s_cbranch_execnz .LBB283_408
; %bb.151:                              ;   in Loop: Header=BB283_10 Depth=1
	s_or_saveexec_b64 s[24:25], s[24:25]
	v_mov_b32_e32 v1, s28
	s_xor_b64 exec, exec, s[24:25]
	s_cbranch_execnz .LBB283_411
.LBB283_152:                            ;   in Loop: Header=BB283_10 Depth=1
	s_or_b64 exec, exec, s[24:25]
	v_and_b32_e32 v8, 0xffff, v6
	s_and_saveexec_b64 s[24:25], s[4:5]
	s_cbranch_execz .LBB283_154
.LBB283_153:                            ;   in Loop: Header=BB283_10 Depth=1
	v_and_b32_e32 v13, 7, v8
	v_ffbh_u32_e32 v6, v13
	v_mov_b32_e32 v1, v15
	v_min_u32_e32 v15, 32, v6
	v_subrev_u32_e32 v6, 28, v15
	v_bfe_u32 v14, v8, 3, 4
	v_lshlrev_b64 v[6:7], v6, v[8:9]
	v_sub_u32_e32 v7, 29, v15
	v_cmp_eq_u32_e64 s[4:5], 0, v14
	v_and_b32_e32 v6, 7, v6
	v_mov_b32_e32 v15, v1
	v_cndmask_b32_e64 v7, v14, v7, s[4:5]
	v_cndmask_b32_e64 v6, v13, v6, s[4:5]
	v_lshlrev_b32_e32 v13, 8, v8
	v_lshl_add_u32 v7, v7, 10, v53
	v_and_or_b32 v7, v13, s34, v7
	v_lshl_or_b32 v6, v6, 7, v7
	v_cvt_f32_f16_e32 v1, v6
.LBB283_154:                            ;   in Loop: Header=BB283_10 Depth=1
	s_or_b64 exec, exec, s[24:25]
	v_lshrrev_b16_e32 v8, 8, v8
	v_cmp_lt_i16_e64 s[4:5], s17, v8
	s_mov_b64 s[24:25], 0
                                        ; implicit-def: $sgpr35
	s_and_saveexec_b64 s[26:27], s[4:5]
	s_xor_b64 s[26:27], exec, s[26:27]
	s_cbranch_execnz .LBB283_412
; %bb.155:                              ;   in Loop: Header=BB283_10 Depth=1
	s_or_saveexec_b64 s[26:27], s[26:27]
	v_mov_b32_e32 v2, s35
	s_xor_b64 exec, exec, s[26:27]
	s_cbranch_execnz .LBB283_415
.LBB283_156:                            ;   in Loop: Header=BB283_10 Depth=1
	s_or_b64 exec, exec, s[26:27]
	s_and_saveexec_b64 s[26:27], s[24:25]
	s_cbranch_execz .LBB283_158
.LBB283_157:                            ;   in Loop: Header=BB283_10 Depth=1
	v_and_b32_e32 v13, 7, v8
	v_ffbh_u32_e32 v6, v13
	v_min_u32_e32 v22, 32, v6
	v_subrev_u32_e32 v6, 28, v22
	v_bfe_u32 v14, v8, 3, 4
	v_lshlrev_b64 v[6:7], v6, v[8:9]
	v_sub_u32_e32 v7, 29, v22
	v_cmp_eq_u32_e64 s[4:5], 0, v14
	v_and_b32_e32 v6, 7, v6
	v_lshlrev_b32_e32 v8, 8, v8
	v_cndmask_b32_e64 v7, v14, v7, s[4:5]
	v_lshl_add_u32 v7, v7, 10, v53
	v_cndmask_b32_e64 v6, v13, v6, s[4:5]
	v_and_or_b32 v7, v8, s34, v7
	v_lshl_or_b32 v6, v6, 7, v7
	v_cvt_f32_f16_e32 v2, v6
.LBB283_158:                            ;   in Loop: Header=BB283_10 Depth=1
	s_or_b64 exec, exec, s[26:27]
	flat_load_ushort v6, v[34:35] offset:2304
	v_accvgpr_write_b32 a52, v2
	s_mov_b64 s[4:5], 0
                                        ; implicit-def: $sgpr28
	s_waitcnt vmcnt(0) lgkmcnt(0)
	v_cmp_gt_i16_sdwa s[24:25], v6, s17 src0_sel:BYTE_0 src1_sel:DWORD
	s_and_saveexec_b64 s[26:27], s[24:25]
	s_xor_b64 s[24:25], exec, s[26:27]
	s_cbranch_execnz .LBB283_416
; %bb.159:                              ;   in Loop: Header=BB283_10 Depth=1
	s_or_saveexec_b64 s[24:25], s[24:25]
	v_mov_b32_e32 v2, s28
	s_xor_b64 exec, exec, s[24:25]
	s_cbranch_execnz .LBB283_419
.LBB283_160:                            ;   in Loop: Header=BB283_10 Depth=1
	s_or_b64 exec, exec, s[24:25]
	v_and_b32_e32 v8, 0xffff, v6
	s_and_saveexec_b64 s[24:25], s[4:5]
	s_cbranch_execz .LBB283_162
.LBB283_161:                            ;   in Loop: Header=BB283_10 Depth=1
	v_and_b32_e32 v13, 7, v8
	v_ffbh_u32_e32 v6, v13
	v_min_u32_e32 v24, 32, v6
	v_subrev_u32_e32 v6, 28, v24
	v_bfe_u32 v22, v8, 3, 4
	v_lshlrev_b64 v[6:7], v6, v[8:9]
	v_sub_u32_e32 v7, 29, v24
	v_cmp_eq_u32_e64 s[4:5], 0, v22
	v_and_b32_e32 v6, 7, v6
	s_nop 0
	v_cndmask_b32_e64 v7, v22, v7, s[4:5]
	v_cndmask_b32_e64 v6, v13, v6, s[4:5]
	v_lshlrev_b32_e32 v13, 8, v8
	v_lshl_add_u32 v7, v7, 10, v53
	v_and_or_b32 v7, v13, s34, v7
	v_lshl_or_b32 v6, v6, 7, v7
	v_cvt_f32_f16_e32 v2, v6
.LBB283_162:                            ;   in Loop: Header=BB283_10 Depth=1
	s_or_b64 exec, exec, s[24:25]
	v_lshrrev_b16_e32 v8, 8, v8
	v_cmp_lt_i16_e64 s[4:5], s17, v8
	s_mov_b64 s[24:25], 0
                                        ; implicit-def: $sgpr35
	s_and_saveexec_b64 s[26:27], s[4:5]
	s_xor_b64 s[26:27], exec, s[26:27]
	s_cbranch_execnz .LBB283_420
; %bb.163:                              ;   in Loop: Header=BB283_10 Depth=1
	s_or_saveexec_b64 s[26:27], s[26:27]
	v_mov_b32_e32 v28, s35
	s_xor_b64 exec, exec, s[26:27]
	s_cbranch_execnz .LBB283_423
.LBB283_164:                            ;   in Loop: Header=BB283_10 Depth=1
	s_or_b64 exec, exec, s[26:27]
	s_and_saveexec_b64 s[26:27], s[24:25]
	s_cbranch_execz .LBB283_166
.LBB283_165:                            ;   in Loop: Header=BB283_10 Depth=1
	v_and_b32_e32 v22, 7, v8
	v_ffbh_u32_e32 v6, v22
	v_min_u32_e32 v25, 32, v6
	v_subrev_u32_e32 v6, 28, v25
	v_bfe_u32 v24, v8, 3, 4
	v_lshlrev_b64 v[6:7], v6, v[8:9]
	v_sub_u32_e32 v7, 29, v25
	v_cmp_eq_u32_e64 s[4:5], 0, v24
	v_and_b32_e32 v6, 7, v6
	v_lshlrev_b32_e32 v8, 8, v8
	v_cndmask_b32_e64 v7, v24, v7, s[4:5]
	v_lshl_add_u32 v7, v7, 10, v53
	v_cndmask_b32_e64 v6, v22, v6, s[4:5]
	v_and_or_b32 v7, v8, s34, v7
	v_lshl_or_b32 v6, v6, 7, v7
	v_cvt_f32_f16_e32 v28, v6
.LBB283_166:                            ;   in Loop: Header=BB283_10 Depth=1
	s_or_b64 exec, exec, s[26:27]
	flat_load_ushort v6, v[34:35] offset:2312
	s_mov_b64 s[4:5], 0
                                        ; implicit-def: $sgpr28
	s_waitcnt vmcnt(0) lgkmcnt(0)
	v_cmp_gt_i16_sdwa s[24:25], v6, s17 src0_sel:BYTE_0 src1_sel:DWORD
	s_and_saveexec_b64 s[26:27], s[24:25]
	s_xor_b64 s[24:25], exec, s[26:27]
	s_cbranch_execnz .LBB283_424
; %bb.167:                              ;   in Loop: Header=BB283_10 Depth=1
	s_or_saveexec_b64 s[24:25], s[24:25]
	v_mov_b32_e32 v29, s28
	s_xor_b64 exec, exec, s[24:25]
	s_cbranch_execnz .LBB283_427
.LBB283_168:                            ;   in Loop: Header=BB283_10 Depth=1
	s_or_b64 exec, exec, s[24:25]
	v_and_b32_e32 v8, 0xffff, v6
	s_and_saveexec_b64 s[24:25], s[4:5]
	s_cbranch_execz .LBB283_170
.LBB283_169:                            ;   in Loop: Header=BB283_10 Depth=1
	v_and_b32_e32 v22, 7, v8
	v_ffbh_u32_e32 v6, v22
	v_min_u32_e32 v25, 32, v6
	v_subrev_u32_e32 v6, 28, v25
	v_bfe_u32 v24, v8, 3, 4
	v_lshlrev_b64 v[6:7], v6, v[8:9]
	v_sub_u32_e32 v7, 29, v25
	v_cmp_eq_u32_e64 s[4:5], 0, v24
	v_and_b32_e32 v6, 7, v6
	s_nop 0
	v_cndmask_b32_e64 v7, v24, v7, s[4:5]
	v_cndmask_b32_e64 v6, v22, v6, s[4:5]
	v_lshlrev_b32_e32 v22, 8, v8
	v_lshl_add_u32 v7, v7, 10, v53
	v_and_or_b32 v7, v22, s34, v7
	v_lshl_or_b32 v6, v6, 7, v7
	v_cvt_f32_f16_e32 v29, v6
.LBB283_170:                            ;   in Loop: Header=BB283_10 Depth=1
	s_or_b64 exec, exec, s[24:25]
	v_lshrrev_b16_e32 v8, 8, v8
	v_cmp_lt_i16_e64 s[4:5], s17, v8
	s_mov_b64 s[24:25], 0
                                        ; implicit-def: $sgpr35
	s_and_saveexec_b64 s[26:27], s[4:5]
	s_xor_b64 s[26:27], exec, s[26:27]
	s_cbranch_execnz .LBB283_428
; %bb.171:                              ;   in Loop: Header=BB283_10 Depth=1
	s_or_saveexec_b64 s[26:27], s[26:27]
	v_mov_b32_e32 v30, s35
	s_xor_b64 exec, exec, s[26:27]
	s_cbranch_execnz .LBB283_431
.LBB283_172:                            ;   in Loop: Header=BB283_10 Depth=1
	s_or_b64 exec, exec, s[26:27]
	s_and_saveexec_b64 s[26:27], s[24:25]
	s_cbranch_execz .LBB283_174
.LBB283_173:                            ;   in Loop: Header=BB283_10 Depth=1
	v_and_b32_e32 v22, 7, v8
	v_ffbh_u32_e32 v6, v22
	v_min_u32_e32 v25, 32, v6
	v_subrev_u32_e32 v6, 28, v25
	v_bfe_u32 v24, v8, 3, 4
	v_lshlrev_b64 v[6:7], v6, v[8:9]
	v_sub_u32_e32 v7, 29, v25
	v_cmp_eq_u32_e64 s[4:5], 0, v24
	v_and_b32_e32 v6, 7, v6
	v_lshlrev_b32_e32 v8, 8, v8
	v_cndmask_b32_e64 v7, v24, v7, s[4:5]
	v_lshl_add_u32 v7, v7, 10, v53
	v_cndmask_b32_e64 v6, v22, v6, s[4:5]
	v_and_or_b32 v7, v8, s34, v7
	v_lshl_or_b32 v6, v6, 7, v7
	v_cvt_f32_f16_e32 v30, v6
.LBB283_174:                            ;   in Loop: Header=BB283_10 Depth=1
	s_or_b64 exec, exec, s[26:27]
	flat_load_ushort v6, v[34:35] offset:2560
	s_mov_b64 s[4:5], 0
                                        ; implicit-def: $sgpr28
	s_waitcnt vmcnt(0) lgkmcnt(0)
	v_cmp_gt_i16_sdwa s[24:25], v6, s17 src0_sel:BYTE_0 src1_sel:DWORD
	s_and_saveexec_b64 s[26:27], s[24:25]
	s_xor_b64 s[24:25], exec, s[26:27]
	s_cbranch_execnz .LBB283_432
; %bb.175:                              ;   in Loop: Header=BB283_10 Depth=1
	s_or_saveexec_b64 s[24:25], s[24:25]
	v_mov_b32_e32 v31, s28
	s_xor_b64 exec, exec, s[24:25]
	s_cbranch_execnz .LBB283_435
.LBB283_176:                            ;   in Loop: Header=BB283_10 Depth=1
	s_or_b64 exec, exec, s[24:25]
	v_and_b32_e32 v8, 0xffff, v6
	s_and_saveexec_b64 s[24:25], s[4:5]
	s_cbranch_execz .LBB283_178
.LBB283_177:                            ;   in Loop: Header=BB283_10 Depth=1
	v_and_b32_e32 v22, 7, v8
	v_ffbh_u32_e32 v6, v22
	v_min_u32_e32 v25, 32, v6
	v_subrev_u32_e32 v6, 28, v25
	v_bfe_u32 v24, v8, 3, 4
	v_lshlrev_b64 v[6:7], v6, v[8:9]
	v_sub_u32_e32 v7, 29, v25
	v_cmp_eq_u32_e64 s[4:5], 0, v24
	v_and_b32_e32 v6, 7, v6
	s_nop 0
	v_cndmask_b32_e64 v7, v24, v7, s[4:5]
	v_cndmask_b32_e64 v6, v22, v6, s[4:5]
	v_lshlrev_b32_e32 v22, 8, v8
	v_lshl_add_u32 v7, v7, 10, v53
	v_and_or_b32 v7, v22, s34, v7
	v_lshl_or_b32 v6, v6, 7, v7
	v_cvt_f32_f16_e32 v31, v6
.LBB283_178:                            ;   in Loop: Header=BB283_10 Depth=1
	s_or_b64 exec, exec, s[24:25]
	v_lshrrev_b16_e32 v8, 8, v8
	v_cmp_lt_i16_e64 s[4:5], s17, v8
	s_mov_b64 s[24:25], 0
                                        ; implicit-def: $sgpr35
	s_and_saveexec_b64 s[26:27], s[4:5]
	s_xor_b64 s[26:27], exec, s[26:27]
	s_cbranch_execnz .LBB283_436
; %bb.179:                              ;   in Loop: Header=BB283_10 Depth=1
	s_or_saveexec_b64 s[26:27], s[26:27]
	v_mov_b32_e32 v49, s35
	s_xor_b64 exec, exec, s[26:27]
	s_cbranch_execnz .LBB283_439
.LBB283_180:                            ;   in Loop: Header=BB283_10 Depth=1
	s_or_b64 exec, exec, s[26:27]
	s_and_saveexec_b64 s[26:27], s[24:25]
	s_cbranch_execz .LBB283_182
.LBB283_181:                            ;   in Loop: Header=BB283_10 Depth=1
	v_and_b32_e32 v22, 7, v8
	v_ffbh_u32_e32 v6, v22
	v_min_u32_e32 v25, 32, v6
	v_subrev_u32_e32 v6, 28, v25
	v_bfe_u32 v24, v8, 3, 4
	v_lshlrev_b64 v[6:7], v6, v[8:9]
	v_sub_u32_e32 v7, 29, v25
	v_cmp_eq_u32_e64 s[4:5], 0, v24
	v_and_b32_e32 v6, 7, v6
	v_lshlrev_b32_e32 v8, 8, v8
	v_cndmask_b32_e64 v7, v24, v7, s[4:5]
	v_lshl_add_u32 v7, v7, 10, v53
	v_cndmask_b32_e64 v6, v22, v6, s[4:5]
	v_and_or_b32 v7, v8, s34, v7
	v_lshl_or_b32 v6, v6, 7, v7
	v_cvt_f32_f16_e32 v49, v6
.LBB283_182:                            ;   in Loop: Header=BB283_10 Depth=1
	s_or_b64 exec, exec, s[26:27]
	flat_load_ushort v6, v[34:35] offset:2568
	s_mov_b64 s[4:5], 0
                                        ; implicit-def: $sgpr28
	s_waitcnt vmcnt(0) lgkmcnt(0)
	v_cmp_gt_i16_sdwa s[24:25], v6, s17 src0_sel:BYTE_0 src1_sel:DWORD
	s_and_saveexec_b64 s[26:27], s[24:25]
	s_xor_b64 s[24:25], exec, s[26:27]
	s_cbranch_execnz .LBB283_440
; %bb.183:                              ;   in Loop: Header=BB283_10 Depth=1
	s_or_saveexec_b64 s[24:25], s[24:25]
	v_mov_b32_e32 v22, s28
	s_xor_b64 exec, exec, s[24:25]
	s_cbranch_execnz .LBB283_443
.LBB283_184:                            ;   in Loop: Header=BB283_10 Depth=1
	s_or_b64 exec, exec, s[24:25]
	v_and_b32_e32 v8, 0xffff, v6
	s_and_saveexec_b64 s[24:25], s[4:5]
	s_cbranch_execz .LBB283_186
.LBB283_185:                            ;   in Loop: Header=BB283_10 Depth=1
	v_and_b32_e32 v22, 7, v8
	v_ffbh_u32_e32 v6, v22
	v_min_u32_e32 v25, 32, v6
	v_subrev_u32_e32 v6, 28, v25
	v_bfe_u32 v24, v8, 3, 4
	v_lshlrev_b64 v[6:7], v6, v[8:9]
	v_sub_u32_e32 v7, 29, v25
	v_cmp_eq_u32_e64 s[4:5], 0, v24
	v_and_b32_e32 v6, 7, v6
	s_nop 0
	v_cndmask_b32_e64 v7, v24, v7, s[4:5]
	v_cndmask_b32_e64 v6, v22, v6, s[4:5]
	v_lshlrev_b32_e32 v22, 8, v8
	v_lshl_add_u32 v7, v7, 10, v53
	v_and_or_b32 v7, v22, s34, v7
	v_lshl_or_b32 v6, v6, 7, v7
	v_cvt_f32_f16_e32 v22, v6
.LBB283_186:                            ;   in Loop: Header=BB283_10 Depth=1
	s_or_b64 exec, exec, s[24:25]
	v_lshrrev_b16_e32 v8, 8, v8
	v_cmp_lt_i16_e64 s[4:5], s17, v8
	s_mov_b64 s[24:25], 0
                                        ; implicit-def: $sgpr35
	s_and_saveexec_b64 s[26:27], s[4:5]
	s_xor_b64 s[26:27], exec, s[26:27]
	s_cbranch_execnz .LBB283_444
; %bb.187:                              ;   in Loop: Header=BB283_10 Depth=1
	s_or_saveexec_b64 s[26:27], s[26:27]
	v_mov_b32_e32 v25, s35
	s_xor_b64 exec, exec, s[26:27]
	s_cbranch_execnz .LBB283_447
.LBB283_188:                            ;   in Loop: Header=BB283_10 Depth=1
	s_or_b64 exec, exec, s[26:27]
	s_and_saveexec_b64 s[26:27], s[24:25]
	s_cbranch_execz .LBB283_190
.LBB283_189:                            ;   in Loop: Header=BB283_10 Depth=1
	v_and_b32_e32 v24, 7, v8
	v_ffbh_u32_e32 v6, v24
	v_min_u32_e32 v26, 32, v6
	v_subrev_u32_e32 v6, 28, v26
	v_bfe_u32 v25, v8, 3, 4
	v_lshlrev_b64 v[6:7], v6, v[8:9]
	v_sub_u32_e32 v7, 29, v26
	v_cmp_eq_u32_e64 s[4:5], 0, v25
	v_and_b32_e32 v6, 7, v6
	v_lshlrev_b32_e32 v8, 8, v8
	v_cndmask_b32_e64 v7, v25, v7, s[4:5]
	v_lshl_add_u32 v7, v7, 10, v53
	v_cndmask_b32_e64 v6, v24, v6, s[4:5]
	v_and_or_b32 v7, v8, s34, v7
	v_lshl_or_b32 v6, v6, 7, v7
	v_cvt_f32_f16_e32 v25, v6
.LBB283_190:                            ;   in Loop: Header=BB283_10 Depth=1
	s_or_b64 exec, exec, s[26:27]
	flat_load_ushort v6, v[34:35] offset:2816
	s_mov_b64 s[4:5], 0
                                        ; implicit-def: $sgpr28
	s_waitcnt vmcnt(0) lgkmcnt(0)
	v_cmp_gt_i16_sdwa s[24:25], v6, s17 src0_sel:BYTE_0 src1_sel:DWORD
	s_and_saveexec_b64 s[26:27], s[24:25]
	s_xor_b64 s[24:25], exec, s[26:27]
	s_cbranch_execnz .LBB283_448
; %bb.191:                              ;   in Loop: Header=BB283_10 Depth=1
	s_or_saveexec_b64 s[24:25], s[24:25]
	v_mov_b32_e32 v24, s28
	s_xor_b64 exec, exec, s[24:25]
	s_cbranch_execnz .LBB283_451
.LBB283_192:                            ;   in Loop: Header=BB283_10 Depth=1
	s_or_b64 exec, exec, s[24:25]
	v_and_b32_e32 v8, 0xffff, v6
	s_and_saveexec_b64 s[24:25], s[4:5]
	s_cbranch_execz .LBB283_194
.LBB283_193:                            ;   in Loop: Header=BB283_10 Depth=1
	v_and_b32_e32 v24, 7, v8
	v_ffbh_u32_e32 v6, v24
	v_min_u32_e32 v27, 32, v6
	v_subrev_u32_e32 v6, 28, v27
	v_bfe_u32 v26, v8, 3, 4
	v_lshlrev_b64 v[6:7], v6, v[8:9]
	v_sub_u32_e32 v7, 29, v27
	v_cmp_eq_u32_e64 s[4:5], 0, v26
	v_and_b32_e32 v6, 7, v6
	s_nop 0
	v_cndmask_b32_e64 v7, v26, v7, s[4:5]
	v_cndmask_b32_e64 v6, v24, v6, s[4:5]
	v_lshlrev_b32_e32 v24, 8, v8
	v_lshl_add_u32 v7, v7, 10, v53
	v_and_or_b32 v7, v24, s34, v7
	v_lshl_or_b32 v6, v6, 7, v7
	v_cvt_f32_f16_e32 v24, v6
.LBB283_194:                            ;   in Loop: Header=BB283_10 Depth=1
	s_or_b64 exec, exec, s[24:25]
	v_lshrrev_b16_e32 v8, 8, v8
	v_cmp_lt_i16_e64 s[4:5], s17, v8
	s_mov_b64 s[24:25], 0
                                        ; implicit-def: $sgpr35
	s_and_saveexec_b64 s[26:27], s[4:5]
	s_xor_b64 s[26:27], exec, s[26:27]
	s_cbranch_execnz .LBB283_452
; %bb.195:                              ;   in Loop: Header=BB283_10 Depth=1
	s_or_saveexec_b64 s[26:27], s[26:27]
	v_mov_b32_e32 v40, s35
	s_xor_b64 exec, exec, s[26:27]
	s_cbranch_execnz .LBB283_455
.LBB283_196:                            ;   in Loop: Header=BB283_10 Depth=1
	s_or_b64 exec, exec, s[26:27]
	s_and_saveexec_b64 s[26:27], s[24:25]
	s_cbranch_execz .LBB283_198
.LBB283_197:                            ;   in Loop: Header=BB283_10 Depth=1
	v_and_b32_e32 v26, 7, v8
	v_ffbh_u32_e32 v6, v26
	v_min_u32_e32 v38, 32, v6
	v_subrev_u32_e32 v6, 28, v38
	v_bfe_u32 v27, v8, 3, 4
	v_lshlrev_b64 v[6:7], v6, v[8:9]
	v_sub_u32_e32 v7, 29, v38
	v_cmp_eq_u32_e64 s[4:5], 0, v27
	v_and_b32_e32 v6, 7, v6
	v_lshlrev_b32_e32 v8, 8, v8
	v_cndmask_b32_e64 v7, v27, v7, s[4:5]
	v_lshl_add_u32 v7, v7, 10, v53
	v_cndmask_b32_e64 v6, v26, v6, s[4:5]
	v_and_or_b32 v7, v8, s34, v7
	v_lshl_or_b32 v6, v6, 7, v7
	v_cvt_f32_f16_e32 v40, v6
.LBB283_198:                            ;   in Loop: Header=BB283_10 Depth=1
	s_or_b64 exec, exec, s[26:27]
	flat_load_ushort v6, v[34:35] offset:2824
	s_mov_b64 s[4:5], 0
                                        ; implicit-def: $sgpr28
	s_waitcnt vmcnt(0) lgkmcnt(0)
	v_cmp_gt_i16_sdwa s[24:25], v6, s17 src0_sel:BYTE_0 src1_sel:DWORD
	s_and_saveexec_b64 s[26:27], s[24:25]
	s_xor_b64 s[24:25], exec, s[26:27]
	s_cbranch_execnz .LBB283_456
; %bb.199:                              ;   in Loop: Header=BB283_10 Depth=1
	s_or_saveexec_b64 s[24:25], s[24:25]
	v_mov_b32_e32 v41, s28
	s_xor_b64 exec, exec, s[24:25]
	s_cbranch_execnz .LBB283_459
.LBB283_200:                            ;   in Loop: Header=BB283_10 Depth=1
	s_or_b64 exec, exec, s[24:25]
	v_and_b32_e32 v8, 0xffff, v6
	s_and_saveexec_b64 s[24:25], s[4:5]
	s_cbranch_execz .LBB283_202
.LBB283_201:                            ;   in Loop: Header=BB283_10 Depth=1
	v_and_b32_e32 v26, 7, v8
	v_ffbh_u32_e32 v6, v26
	v_min_u32_e32 v38, 32, v6
	v_subrev_u32_e32 v6, 28, v38
	v_bfe_u32 v27, v8, 3, 4
	v_lshlrev_b64 v[6:7], v6, v[8:9]
	v_sub_u32_e32 v7, 29, v38
	v_cmp_eq_u32_e64 s[4:5], 0, v27
	v_and_b32_e32 v6, 7, v6
	s_nop 0
	v_cndmask_b32_e64 v7, v27, v7, s[4:5]
	v_cndmask_b32_e64 v6, v26, v6, s[4:5]
	v_lshlrev_b32_e32 v26, 8, v8
	v_lshl_add_u32 v7, v7, 10, v53
	v_and_or_b32 v7, v26, s34, v7
	v_lshl_or_b32 v6, v6, 7, v7
	v_cvt_f32_f16_e32 v41, v6
.LBB283_202:                            ;   in Loop: Header=BB283_10 Depth=1
	s_or_b64 exec, exec, s[24:25]
	v_lshrrev_b16_e32 v8, 8, v8
	v_cmp_lt_i16_e64 s[4:5], s17, v8
	s_mov_b64 s[24:25], 0
                                        ; implicit-def: $sgpr35
	s_and_saveexec_b64 s[26:27], s[4:5]
	s_xor_b64 s[26:27], exec, s[26:27]
	s_cbranch_execnz .LBB283_460
; %bb.203:                              ;   in Loop: Header=BB283_10 Depth=1
	s_or_saveexec_b64 s[26:27], s[26:27]
	v_mov_b32_e32 v42, s35
	s_xor_b64 exec, exec, s[26:27]
	s_cbranch_execnz .LBB283_463
.LBB283_204:                            ;   in Loop: Header=BB283_10 Depth=1
	s_or_b64 exec, exec, s[26:27]
	s_and_saveexec_b64 s[26:27], s[24:25]
	s_cbranch_execz .LBB283_206
.LBB283_205:                            ;   in Loop: Header=BB283_10 Depth=1
	v_and_b32_e32 v26, 7, v8
	v_ffbh_u32_e32 v6, v26
	v_min_u32_e32 v38, 32, v6
	v_subrev_u32_e32 v6, 28, v38
	v_bfe_u32 v27, v8, 3, 4
	v_lshlrev_b64 v[6:7], v6, v[8:9]
	v_sub_u32_e32 v7, 29, v38
	v_cmp_eq_u32_e64 s[4:5], 0, v27
	v_and_b32_e32 v6, 7, v6
	v_lshlrev_b32_e32 v8, 8, v8
	v_cndmask_b32_e64 v7, v27, v7, s[4:5]
	v_lshl_add_u32 v7, v7, 10, v53
	v_cndmask_b32_e64 v6, v26, v6, s[4:5]
	v_and_or_b32 v7, v8, s34, v7
	v_lshl_or_b32 v6, v6, 7, v7
	v_cvt_f32_f16_e32 v42, v6
.LBB283_206:                            ;   in Loop: Header=BB283_10 Depth=1
	s_or_b64 exec, exec, s[26:27]
	flat_load_ushort v6, v[34:35] offset:3072
	s_mov_b64 s[4:5], 0
                                        ; implicit-def: $sgpr28
	s_waitcnt vmcnt(0) lgkmcnt(0)
	v_cmp_gt_i16_sdwa s[24:25], v6, s17 src0_sel:BYTE_0 src1_sel:DWORD
	s_and_saveexec_b64 s[26:27], s[24:25]
	s_xor_b64 s[24:25], exec, s[26:27]
	s_cbranch_execnz .LBB283_464
; %bb.207:                              ;   in Loop: Header=BB283_10 Depth=1
	s_or_saveexec_b64 s[24:25], s[24:25]
	v_mov_b32_e32 v43, s28
	s_xor_b64 exec, exec, s[24:25]
	s_cbranch_execnz .LBB283_467
.LBB283_208:                            ;   in Loop: Header=BB283_10 Depth=1
	s_or_b64 exec, exec, s[24:25]
	v_and_b32_e32 v8, 0xffff, v6
	s_and_saveexec_b64 s[24:25], s[4:5]
	s_cbranch_execz .LBB283_210
.LBB283_209:                            ;   in Loop: Header=BB283_10 Depth=1
	v_and_b32_e32 v26, 7, v8
	v_ffbh_u32_e32 v6, v26
	v_min_u32_e32 v38, 32, v6
	v_subrev_u32_e32 v6, 28, v38
	v_bfe_u32 v27, v8, 3, 4
	v_lshlrev_b64 v[6:7], v6, v[8:9]
	v_sub_u32_e32 v7, 29, v38
	v_cmp_eq_u32_e64 s[4:5], 0, v27
	v_and_b32_e32 v6, 7, v6
	s_nop 0
	v_cndmask_b32_e64 v7, v27, v7, s[4:5]
	v_cndmask_b32_e64 v6, v26, v6, s[4:5]
	v_lshlrev_b32_e32 v26, 8, v8
	v_lshl_add_u32 v7, v7, 10, v53
	v_and_or_b32 v7, v26, s34, v7
	v_lshl_or_b32 v6, v6, 7, v7
	v_cvt_f32_f16_e32 v43, v6
.LBB283_210:                            ;   in Loop: Header=BB283_10 Depth=1
	s_or_b64 exec, exec, s[24:25]
	v_lshrrev_b16_e32 v8, 8, v8
	v_cmp_lt_i16_e64 s[4:5], s17, v8
	s_mov_b64 s[24:25], 0
                                        ; implicit-def: $sgpr35
	s_and_saveexec_b64 s[26:27], s[4:5]
	s_xor_b64 s[26:27], exec, s[26:27]
	s_cbranch_execnz .LBB283_468
; %bb.211:                              ;   in Loop: Header=BB283_10 Depth=1
	s_or_saveexec_b64 s[26:27], s[26:27]
	v_mov_b32_e32 v44, s35
	s_xor_b64 exec, exec, s[26:27]
	s_cbranch_execnz .LBB283_471
.LBB283_212:                            ;   in Loop: Header=BB283_10 Depth=1
	s_or_b64 exec, exec, s[26:27]
	s_and_saveexec_b64 s[26:27], s[24:25]
	s_cbranch_execz .LBB283_214
.LBB283_213:                            ;   in Loop: Header=BB283_10 Depth=1
	v_and_b32_e32 v26, 7, v8
	v_ffbh_u32_e32 v6, v26
	v_min_u32_e32 v38, 32, v6
	v_subrev_u32_e32 v6, 28, v38
	v_bfe_u32 v27, v8, 3, 4
	v_lshlrev_b64 v[6:7], v6, v[8:9]
	v_sub_u32_e32 v7, 29, v38
	v_cmp_eq_u32_e64 s[4:5], 0, v27
	v_and_b32_e32 v6, 7, v6
	v_lshlrev_b32_e32 v8, 8, v8
	v_cndmask_b32_e64 v7, v27, v7, s[4:5]
	v_lshl_add_u32 v7, v7, 10, v53
	v_cndmask_b32_e64 v6, v26, v6, s[4:5]
	v_and_or_b32 v7, v8, s34, v7
	v_lshl_or_b32 v6, v6, 7, v7
	v_cvt_f32_f16_e32 v44, v6
.LBB283_214:                            ;   in Loop: Header=BB283_10 Depth=1
	s_or_b64 exec, exec, s[26:27]
	flat_load_ushort v6, v[34:35] offset:3080
	s_mov_b64 s[4:5], 0
                                        ; implicit-def: $sgpr28
	s_waitcnt vmcnt(0) lgkmcnt(0)
	v_cmp_gt_i16_sdwa s[24:25], v6, s17 src0_sel:BYTE_0 src1_sel:DWORD
	s_and_saveexec_b64 s[26:27], s[24:25]
	s_xor_b64 s[24:25], exec, s[26:27]
	s_cbranch_execnz .LBB283_472
; %bb.215:                              ;   in Loop: Header=BB283_10 Depth=1
	s_or_saveexec_b64 s[24:25], s[24:25]
	v_mov_b32_e32 v45, s28
	s_xor_b64 exec, exec, s[24:25]
	s_cbranch_execnz .LBB283_475
.LBB283_216:                            ;   in Loop: Header=BB283_10 Depth=1
	s_or_b64 exec, exec, s[24:25]
	v_and_b32_e32 v8, 0xffff, v6
	s_and_saveexec_b64 s[24:25], s[4:5]
	s_cbranch_execz .LBB283_218
.LBB283_217:                            ;   in Loop: Header=BB283_10 Depth=1
	v_and_b32_e32 v26, 7, v8
	v_ffbh_u32_e32 v6, v26
	v_min_u32_e32 v38, 32, v6
	v_subrev_u32_e32 v6, 28, v38
	v_bfe_u32 v27, v8, 3, 4
	v_lshlrev_b64 v[6:7], v6, v[8:9]
	v_sub_u32_e32 v7, 29, v38
	v_cmp_eq_u32_e64 s[4:5], 0, v27
	v_and_b32_e32 v6, 7, v6
	s_nop 0
	v_cndmask_b32_e64 v7, v27, v7, s[4:5]
	v_cndmask_b32_e64 v6, v26, v6, s[4:5]
	v_lshlrev_b32_e32 v26, 8, v8
	v_lshl_add_u32 v7, v7, 10, v53
	v_and_or_b32 v7, v26, s34, v7
	v_lshl_or_b32 v6, v6, 7, v7
	v_cvt_f32_f16_e32 v45, v6
.LBB283_218:                            ;   in Loop: Header=BB283_10 Depth=1
	s_or_b64 exec, exec, s[24:25]
	v_lshrrev_b16_e32 v8, 8, v8
	v_cmp_lt_i16_e64 s[4:5], s17, v8
	s_mov_b64 s[24:25], 0
                                        ; implicit-def: $sgpr35
	s_and_saveexec_b64 s[26:27], s[4:5]
	s_xor_b64 s[26:27], exec, s[26:27]
	s_cbranch_execnz .LBB283_476
; %bb.219:                              ;   in Loop: Header=BB283_10 Depth=1
	s_or_saveexec_b64 s[26:27], s[26:27]
	v_mov_b32_e32 v46, s35
	s_xor_b64 exec, exec, s[26:27]
	s_cbranch_execnz .LBB283_479
.LBB283_220:                            ;   in Loop: Header=BB283_10 Depth=1
	s_or_b64 exec, exec, s[26:27]
	s_and_saveexec_b64 s[26:27], s[24:25]
	s_cbranch_execz .LBB283_222
.LBB283_221:                            ;   in Loop: Header=BB283_10 Depth=1
	v_and_b32_e32 v26, 7, v8
	v_ffbh_u32_e32 v6, v26
	v_min_u32_e32 v38, 32, v6
	v_subrev_u32_e32 v6, 28, v38
	v_bfe_u32 v27, v8, 3, 4
	v_lshlrev_b64 v[6:7], v6, v[8:9]
	v_sub_u32_e32 v7, 29, v38
	v_cmp_eq_u32_e64 s[4:5], 0, v27
	v_and_b32_e32 v6, 7, v6
	v_lshlrev_b32_e32 v8, 8, v8
	v_cndmask_b32_e64 v7, v27, v7, s[4:5]
	v_lshl_add_u32 v7, v7, 10, v53
	v_cndmask_b32_e64 v6, v26, v6, s[4:5]
	v_and_or_b32 v7, v8, s34, v7
	v_lshl_or_b32 v6, v6, 7, v7
	v_cvt_f32_f16_e32 v46, v6
.LBB283_222:                            ;   in Loop: Header=BB283_10 Depth=1
	s_or_b64 exec, exec, s[26:27]
	flat_load_ushort v6, v[34:35] offset:3328
	s_mov_b64 s[4:5], 0
                                        ; implicit-def: $sgpr28
	s_waitcnt vmcnt(0) lgkmcnt(0)
	v_cmp_gt_i16_sdwa s[24:25], v6, s17 src0_sel:BYTE_0 src1_sel:DWORD
	s_and_saveexec_b64 s[26:27], s[24:25]
	s_xor_b64 s[24:25], exec, s[26:27]
	s_cbranch_execnz .LBB283_480
; %bb.223:                              ;   in Loop: Header=BB283_10 Depth=1
	s_or_saveexec_b64 s[24:25], s[24:25]
	v_mov_b32_e32 v47, s28
	s_xor_b64 exec, exec, s[24:25]
	s_cbranch_execnz .LBB283_483
.LBB283_224:                            ;   in Loop: Header=BB283_10 Depth=1
	s_or_b64 exec, exec, s[24:25]
	v_and_b32_e32 v8, 0xffff, v6
	s_and_saveexec_b64 s[24:25], s[4:5]
	s_cbranch_execz .LBB283_226
.LBB283_225:                            ;   in Loop: Header=BB283_10 Depth=1
	v_and_b32_e32 v26, 7, v8
	v_ffbh_u32_e32 v6, v26
	v_min_u32_e32 v38, 32, v6
	v_subrev_u32_e32 v6, 28, v38
	v_bfe_u32 v27, v8, 3, 4
	v_lshlrev_b64 v[6:7], v6, v[8:9]
	v_sub_u32_e32 v7, 29, v38
	v_cmp_eq_u32_e64 s[4:5], 0, v27
	v_and_b32_e32 v6, 7, v6
	s_nop 0
	v_cndmask_b32_e64 v7, v27, v7, s[4:5]
	v_cndmask_b32_e64 v6, v26, v6, s[4:5]
	v_lshlrev_b32_e32 v26, 8, v8
	v_lshl_add_u32 v7, v7, 10, v53
	v_and_or_b32 v7, v26, s34, v7
	v_lshl_or_b32 v6, v6, 7, v7
	v_cvt_f32_f16_e32 v47, v6
.LBB283_226:                            ;   in Loop: Header=BB283_10 Depth=1
	s_or_b64 exec, exec, s[24:25]
	v_lshrrev_b16_e32 v8, 8, v8
	v_cmp_lt_i16_e64 s[4:5], s17, v8
	s_mov_b64 s[24:25], 0
                                        ; implicit-def: $sgpr35
	s_and_saveexec_b64 s[26:27], s[4:5]
	s_xor_b64 s[26:27], exec, s[26:27]
	s_cbranch_execnz .LBB283_484
; %bb.227:                              ;   in Loop: Header=BB283_10 Depth=1
	s_or_saveexec_b64 s[26:27], s[26:27]
	v_mov_b32_e32 v56, s35
	s_xor_b64 exec, exec, s[26:27]
	s_cbranch_execnz .LBB283_487
.LBB283_228:                            ;   in Loop: Header=BB283_10 Depth=1
	s_or_b64 exec, exec, s[26:27]
	s_and_saveexec_b64 s[26:27], s[24:25]
	s_cbranch_execz .LBB283_230
.LBB283_229:                            ;   in Loop: Header=BB283_10 Depth=1
	v_and_b32_e32 v26, 7, v8
	v_ffbh_u32_e32 v6, v26
	v_min_u32_e32 v38, 32, v6
	v_subrev_u32_e32 v6, 28, v38
	v_bfe_u32 v27, v8, 3, 4
	v_lshlrev_b64 v[6:7], v6, v[8:9]
	v_sub_u32_e32 v7, 29, v38
	v_cmp_eq_u32_e64 s[4:5], 0, v27
	v_and_b32_e32 v6, 7, v6
	v_lshlrev_b32_e32 v8, 8, v8
	v_cndmask_b32_e64 v7, v27, v7, s[4:5]
	v_lshl_add_u32 v7, v7, 10, v53
	v_cndmask_b32_e64 v6, v26, v6, s[4:5]
	v_and_or_b32 v7, v8, s34, v7
	v_lshl_or_b32 v6, v6, 7, v7
	v_cvt_f32_f16_e32 v56, v6
.LBB283_230:                            ;   in Loop: Header=BB283_10 Depth=1
	s_or_b64 exec, exec, s[26:27]
	flat_load_ushort v6, v[34:35] offset:3336
	s_mov_b64 s[4:5], 0
                                        ; implicit-def: $sgpr28
	s_waitcnt vmcnt(0) lgkmcnt(0)
	v_cmp_gt_i16_sdwa s[24:25], v6, s17 src0_sel:BYTE_0 src1_sel:DWORD
	s_and_saveexec_b64 s[26:27], s[24:25]
	s_xor_b64 s[24:25], exec, s[26:27]
	s_cbranch_execnz .LBB283_488
; %bb.231:                              ;   in Loop: Header=BB283_10 Depth=1
	s_or_saveexec_b64 s[24:25], s[24:25]
	v_mov_b32_e32 v57, s28
	s_xor_b64 exec, exec, s[24:25]
	s_cbranch_execnz .LBB283_491
.LBB283_232:                            ;   in Loop: Header=BB283_10 Depth=1
	s_or_b64 exec, exec, s[24:25]
	v_and_b32_e32 v8, 0xffff, v6
	s_and_saveexec_b64 s[24:25], s[4:5]
	s_cbranch_execz .LBB283_234
.LBB283_233:                            ;   in Loop: Header=BB283_10 Depth=1
	v_and_b32_e32 v26, 7, v8
	v_ffbh_u32_e32 v6, v26
	v_min_u32_e32 v38, 32, v6
	v_subrev_u32_e32 v6, 28, v38
	v_bfe_u32 v27, v8, 3, 4
	v_lshlrev_b64 v[6:7], v6, v[8:9]
	v_sub_u32_e32 v7, 29, v38
	v_cmp_eq_u32_e64 s[4:5], 0, v27
	v_and_b32_e32 v6, 7, v6
	s_nop 0
	v_cndmask_b32_e64 v7, v27, v7, s[4:5]
	v_cndmask_b32_e64 v6, v26, v6, s[4:5]
	v_lshlrev_b32_e32 v26, 8, v8
	v_lshl_add_u32 v7, v7, 10, v53
	v_and_or_b32 v7, v26, s34, v7
	v_lshl_or_b32 v6, v6, 7, v7
	v_cvt_f32_f16_e32 v57, v6
.LBB283_234:                            ;   in Loop: Header=BB283_10 Depth=1
	s_or_b64 exec, exec, s[24:25]
	v_lshrrev_b16_e32 v8, 8, v8
	v_cmp_lt_i16_e64 s[4:5], s17, v8
	s_mov_b64 s[24:25], 0
                                        ; implicit-def: $sgpr35
	s_and_saveexec_b64 s[26:27], s[4:5]
	s_xor_b64 s[26:27], exec, s[26:27]
	s_cbranch_execnz .LBB283_492
; %bb.235:                              ;   in Loop: Header=BB283_10 Depth=1
	s_or_saveexec_b64 s[26:27], s[26:27]
	v_mov_b32_e32 v58, s35
	s_xor_b64 exec, exec, s[26:27]
	s_cbranch_execnz .LBB283_495
.LBB283_236:                            ;   in Loop: Header=BB283_10 Depth=1
	s_or_b64 exec, exec, s[26:27]
	s_and_saveexec_b64 s[26:27], s[24:25]
	s_cbranch_execz .LBB283_238
.LBB283_237:                            ;   in Loop: Header=BB283_10 Depth=1
	v_and_b32_e32 v26, 7, v8
	v_ffbh_u32_e32 v6, v26
	v_min_u32_e32 v38, 32, v6
	v_subrev_u32_e32 v6, 28, v38
	v_bfe_u32 v27, v8, 3, 4
	v_lshlrev_b64 v[6:7], v6, v[8:9]
	v_sub_u32_e32 v7, 29, v38
	v_cmp_eq_u32_e64 s[4:5], 0, v27
	v_and_b32_e32 v6, 7, v6
	v_lshlrev_b32_e32 v8, 8, v8
	v_cndmask_b32_e64 v7, v27, v7, s[4:5]
	v_lshl_add_u32 v7, v7, 10, v53
	v_cndmask_b32_e64 v6, v26, v6, s[4:5]
	v_and_or_b32 v7, v8, s34, v7
	v_lshl_or_b32 v6, v6, 7, v7
	v_cvt_f32_f16_e32 v58, v6
.LBB283_238:                            ;   in Loop: Header=BB283_10 Depth=1
	s_or_b64 exec, exec, s[26:27]
	flat_load_ushort v7, v[34:35] offset:3584
	s_mov_b64 s[4:5], 0
                                        ; implicit-def: $sgpr28
	s_waitcnt vmcnt(0) lgkmcnt(0)
	v_cmp_gt_i16_sdwa s[24:25], v7, s17 src0_sel:BYTE_0 src1_sel:DWORD
	s_and_saveexec_b64 s[26:27], s[24:25]
	s_xor_b64 s[24:25], exec, s[26:27]
	s_cbranch_execnz .LBB283_496
; %bb.239:                              ;   in Loop: Header=BB283_10 Depth=1
	s_or_saveexec_b64 s[24:25], s[24:25]
	v_mov_b32_e32 v6, s28
	s_xor_b64 exec, exec, s[24:25]
	s_cbranch_execnz .LBB283_499
.LBB283_240:                            ;   in Loop: Header=BB283_10 Depth=1
	s_or_b64 exec, exec, s[24:25]
	v_and_b32_e32 v8, 0xffff, v7
	s_and_saveexec_b64 s[24:25], s[4:5]
	s_cbranch_execz .LBB283_242
.LBB283_241:                            ;   in Loop: Header=BB283_10 Depth=1
	v_and_b32_e32 v26, 7, v8
	v_ffbh_u32_e32 v6, v26
	v_min_u32_e32 v38, 32, v6
	v_subrev_u32_e32 v6, 28, v38
	v_bfe_u32 v27, v8, 3, 4
	v_lshlrev_b64 v[6:7], v6, v[8:9]
	v_sub_u32_e32 v7, 29, v38
	v_cmp_eq_u32_e64 s[4:5], 0, v27
	v_and_b32_e32 v6, 7, v6
	s_nop 0
	v_cndmask_b32_e64 v7, v27, v7, s[4:5]
	v_cndmask_b32_e64 v6, v26, v6, s[4:5]
	v_lshlrev_b32_e32 v26, 8, v8
	v_lshl_add_u32 v7, v7, 10, v53
	v_and_or_b32 v7, v26, s34, v7
	v_lshl_or_b32 v6, v6, 7, v7
	v_cvt_f32_f16_e32 v6, v6
.LBB283_242:                            ;   in Loop: Header=BB283_10 Depth=1
	s_or_b64 exec, exec, s[24:25]
	v_lshrrev_b16_e32 v8, 8, v8
	v_cmp_lt_i16_e64 s[4:5], s17, v8
	s_mov_b64 s[24:25], 0
                                        ; implicit-def: $sgpr35
	s_and_saveexec_b64 s[26:27], s[4:5]
	s_xor_b64 s[26:27], exec, s[26:27]
	s_cbranch_execnz .LBB283_500
; %bb.243:                              ;   in Loop: Header=BB283_10 Depth=1
	s_or_saveexec_b64 s[26:27], s[26:27]
	v_mov_b32_e32 v7, s35
	s_xor_b64 exec, exec, s[26:27]
	s_cbranch_execnz .LBB283_503
.LBB283_244:                            ;   in Loop: Header=BB283_10 Depth=1
	s_or_b64 exec, exec, s[26:27]
	s_and_saveexec_b64 s[26:27], s[24:25]
	s_cbranch_execz .LBB283_246
.LBB283_245:                            ;   in Loop: Header=BB283_10 Depth=1
	v_and_b32_e32 v7, 7, v8
	v_ffbh_u32_e32 v26, v7
	v_min_u32_e32 v39, 32, v26
	v_subrev_u32_e32 v26, 28, v39
	v_bfe_u32 v38, v8, 3, 4
	v_lshlrev_b64 v[26:27], v26, v[8:9]
	v_sub_u32_e32 v27, 29, v39
	v_cmp_eq_u32_e64 s[4:5], 0, v38
	v_and_b32_e32 v26, 7, v26
	v_lshlrev_b32_e32 v8, 8, v8
	v_cndmask_b32_e64 v27, v38, v27, s[4:5]
	v_cndmask_b32_e64 v7, v7, v26, s[4:5]
	v_lshl_add_u32 v26, v27, 10, v53
	v_and_or_b32 v8, v8, s34, v26
	v_lshl_or_b32 v7, v7, 7, v8
	v_cvt_f32_f16_e32 v7, v7
.LBB283_246:                            ;   in Loop: Header=BB283_10 Depth=1
	s_or_b64 exec, exec, s[26:27]
	flat_load_ushort v8, v[34:35] offset:3592
	s_mov_b64 s[4:5], 0
                                        ; implicit-def: $sgpr28
	s_waitcnt vmcnt(0) lgkmcnt(0)
	v_cmp_gt_i16_sdwa s[24:25], v8, s17 src0_sel:BYTE_0 src1_sel:DWORD
	s_and_saveexec_b64 s[26:27], s[24:25]
	s_xor_b64 s[24:25], exec, s[26:27]
	s_cbranch_execnz .LBB283_504
; %bb.247:                              ;   in Loop: Header=BB283_10 Depth=1
	s_or_saveexec_b64 s[24:25], s[24:25]
	v_mov_b32_e32 v26, s28
	s_xor_b64 exec, exec, s[24:25]
	s_cbranch_execnz .LBB283_507
.LBB283_248:                            ;   in Loop: Header=BB283_10 Depth=1
	s_or_b64 exec, exec, s[24:25]
	v_and_b32_e32 v8, 0xffff, v8
	s_and_saveexec_b64 s[24:25], s[4:5]
	s_cbranch_execz .LBB283_250
.LBB283_249:                            ;   in Loop: Header=BB283_10 Depth=1
	v_and_b32_e32 v38, 7, v8
	v_ffbh_u32_e32 v26, v38
	v_min_u32_e32 v59, 32, v26
	v_subrev_u32_e32 v26, 28, v59
	v_bfe_u32 v39, v8, 3, 4
	v_lshlrev_b64 v[26:27], v26, v[8:9]
	v_sub_u32_e32 v27, 29, v59
	v_cmp_eq_u32_e64 s[4:5], 0, v39
	v_and_b32_e32 v26, 7, v26
	s_nop 0
	v_cndmask_b32_e64 v27, v39, v27, s[4:5]
	v_cndmask_b32_e64 v26, v38, v26, s[4:5]
	v_lshlrev_b32_e32 v38, 8, v8
	v_lshl_add_u32 v27, v27, 10, v53
	v_and_or_b32 v27, v38, s34, v27
	v_lshl_or_b32 v26, v26, 7, v27
	v_cvt_f32_f16_e32 v26, v26
.LBB283_250:                            ;   in Loop: Header=BB283_10 Depth=1
	s_or_b64 exec, exec, s[24:25]
	v_lshrrev_b16_e32 v8, 8, v8
	v_cmp_lt_i16_e64 s[4:5], s17, v8
	s_mov_b64 s[24:25], 0
                                        ; implicit-def: $sgpr35
	s_and_saveexec_b64 s[26:27], s[4:5]
	s_xor_b64 s[26:27], exec, s[26:27]
	s_cbranch_execnz .LBB283_508
; %bb.251:                              ;   in Loop: Header=BB283_10 Depth=1
	s_or_saveexec_b64 s[26:27], s[26:27]
	v_mov_b32_e32 v27, s35
	s_xor_b64 exec, exec, s[26:27]
	s_cbranch_execnz .LBB283_511
.LBB283_252:                            ;   in Loop: Header=BB283_10 Depth=1
	s_or_b64 exec, exec, s[26:27]
	s_and_saveexec_b64 s[26:27], s[24:25]
	s_cbranch_execz .LBB283_254
.LBB283_253:                            ;   in Loop: Header=BB283_10 Depth=1
	v_and_b32_e32 v27, 7, v8
	v_ffbh_u32_e32 v39, v27
	v_bfe_u32 v38, v8, 3, 4
	v_min_u32_e32 v39, 32, v39
	v_subrev_u32_e32 v59, 28, v39
	v_sub_u32_e32 v39, 29, v39
	v_cmp_eq_u32_e64 s[4:5], 0, v38
	v_lshlrev_b64 v[60:61], v59, v[8:9]
	v_and_b32_e32 v59, 7, v60
	v_cndmask_b32_e64 v38, v38, v39, s[4:5]
	v_lshlrev_b32_e32 v8, 8, v8
	v_lshl_add_u32 v38, v38, 10, v53
	v_cndmask_b32_e64 v27, v27, v59, s[4:5]
	v_and_or_b32 v8, v8, s34, v38
	v_lshl_or_b32 v8, v27, 7, v8
	v_cvt_f32_f16_e32 v27, v8
.LBB283_254:                            ;   in Loop: Header=BB283_10 Depth=1
	s_or_b64 exec, exec, s[26:27]
	flat_load_ushort v8, v[34:35] offset:3840
	s_mov_b64 s[4:5], 0
                                        ; implicit-def: $sgpr28
	s_waitcnt vmcnt(0) lgkmcnt(0)
	v_cmp_gt_i16_sdwa s[24:25], v8, s17 src0_sel:BYTE_0 src1_sel:DWORD
	s_and_saveexec_b64 s[26:27], s[24:25]
	s_xor_b64 s[24:25], exec, s[26:27]
	s_cbranch_execnz .LBB283_512
; %bb.255:                              ;   in Loop: Header=BB283_10 Depth=1
	s_or_saveexec_b64 s[24:25], s[24:25]
	v_mov_b32_e32 v59, s28
	s_xor_b64 exec, exec, s[24:25]
	s_cbranch_execnz .LBB283_515
.LBB283_256:                            ;   in Loop: Header=BB283_10 Depth=1
	s_or_b64 exec, exec, s[24:25]
	v_and_b32_e32 v8, 0xffff, v8
	s_and_saveexec_b64 s[24:25], s[4:5]
	s_cbranch_execz .LBB283_258
.LBB283_257:                            ;   in Loop: Header=BB283_10 Depth=1
	v_and_b32_e32 v38, 7, v8
	v_ffbh_u32_e32 v59, v38
	v_bfe_u32 v39, v8, 3, 4
	v_min_u32_e32 v59, 32, v59
	v_subrev_u32_e32 v60, 28, v59
	v_sub_u32_e32 v59, 29, v59
	v_cmp_eq_u32_e64 s[4:5], 0, v39
	v_lshlrev_b64 v[60:61], v60, v[8:9]
	v_and_b32_e32 v60, 7, v60
	v_cndmask_b32_e64 v39, v39, v59, s[4:5]
	v_lshlrev_b32_e32 v59, 8, v8
	v_lshl_add_u32 v39, v39, 10, v53
	v_cndmask_b32_e64 v38, v38, v60, s[4:5]
	v_and_or_b32 v39, v59, s34, v39
	v_lshl_or_b32 v38, v38, 7, v39
	v_cvt_f32_f16_e32 v59, v38
.LBB283_258:                            ;   in Loop: Header=BB283_10 Depth=1
	s_or_b64 exec, exec, s[24:25]
	v_lshrrev_b16_e32 v8, 8, v8
	v_cmp_lt_i16_e64 s[4:5], s17, v8
	s_mov_b64 s[24:25], 0
                                        ; implicit-def: $sgpr35
	s_and_saveexec_b64 s[26:27], s[4:5]
	s_xor_b64 s[26:27], exec, s[26:27]
	s_cbranch_execnz .LBB283_516
; %bb.259:                              ;   in Loop: Header=BB283_10 Depth=1
	s_or_saveexec_b64 s[26:27], s[26:27]
	v_mov_b32_e32 v61, s35
	s_xor_b64 exec, exec, s[26:27]
	s_cbranch_execnz .LBB283_519
.LBB283_260:                            ;   in Loop: Header=BB283_10 Depth=1
	s_or_b64 exec, exec, s[26:27]
	s_and_saveexec_b64 s[26:27], s[24:25]
	s_cbranch_execz .LBB283_262
.LBB283_261:                            ;   in Loop: Header=BB283_10 Depth=1
	v_and_b32_e32 v38, 7, v8
	v_ffbh_u32_e32 v60, v38
	v_bfe_u32 v39, v8, 3, 4
	v_min_u32_e32 v48, 32, v60
	v_subrev_u32_e32 v60, 28, v48
	v_sub_u32_e32 v48, 29, v48
	v_cmp_eq_u32_e64 s[4:5], 0, v39
	v_lshlrev_b64 v[60:61], v60, v[8:9]
	v_and_b32_e32 v60, 7, v60
	v_cndmask_b32_e64 v39, v39, v48, s[4:5]
	v_lshlrev_b32_e32 v8, 8, v8
	v_lshl_add_u32 v39, v39, 10, v53
	v_cndmask_b32_e64 v38, v38, v60, s[4:5]
	v_and_or_b32 v8, v8, s34, v39
	v_lshl_or_b32 v8, v38, 7, v8
	v_cvt_f32_f16_e32 v61, v8
.LBB283_262:                            ;   in Loop: Header=BB283_10 Depth=1
	s_or_b64 exec, exec, s[26:27]
	flat_load_ushort v8, v[34:35] offset:3848
	s_mov_b64 s[4:5], 0
                                        ; implicit-def: $sgpr28
	s_waitcnt vmcnt(0) lgkmcnt(0)
	v_cmp_gt_i16_sdwa s[24:25], v8, s17 src0_sel:BYTE_0 src1_sel:DWORD
	s_and_saveexec_b64 s[26:27], s[24:25]
	s_xor_b64 s[24:25], exec, s[26:27]
	s_cbranch_execnz .LBB283_520
; %bb.263:                              ;   in Loop: Header=BB283_10 Depth=1
	s_or_saveexec_b64 s[24:25], s[24:25]
	v_mov_b32_e32 v34, s28
	s_xor_b64 exec, exec, s[24:25]
	s_cbranch_execnz .LBB283_523
.LBB283_264:                            ;   in Loop: Header=BB283_10 Depth=1
	s_or_b64 exec, exec, s[24:25]
	v_and_b32_e32 v8, 0xffff, v8
	s_and_saveexec_b64 s[24:25], s[4:5]
	s_cbranch_execz .LBB283_266
.LBB283_265:                            ;   in Loop: Header=BB283_10 Depth=1
	v_and_b32_e32 v38, 7, v8
	v_ffbh_u32_e32 v34, v38
	v_min_u32_e32 v48, 32, v34
	v_subrev_u32_e32 v34, 28, v48
	v_bfe_u32 v39, v8, 3, 4
	v_lshlrev_b64 v[34:35], v34, v[8:9]
	v_sub_u32_e32 v35, 29, v48
	v_cmp_eq_u32_e64 s[4:5], 0, v39
	v_and_b32_e32 v34, 7, v34
	s_nop 0
	v_cndmask_b32_e64 v35, v39, v35, s[4:5]
	v_cndmask_b32_e64 v34, v38, v34, s[4:5]
	v_lshlrev_b32_e32 v38, 8, v8
	v_lshl_add_u32 v35, v35, 10, v53
	v_and_or_b32 v35, v38, s34, v35
	v_lshl_or_b32 v34, v34, 7, v35
	v_cvt_f32_f16_e32 v34, v34
.LBB283_266:                            ;   in Loop: Header=BB283_10 Depth=1
	s_or_b64 exec, exec, s[24:25]
	v_lshrrev_b16_e32 v8, 8, v8
	v_cmp_lt_i16_e64 s[4:5], s17, v8
	s_mov_b64 s[24:25], 0
                                        ; implicit-def: $sgpr35
	s_and_saveexec_b64 s[26:27], s[4:5]
	s_xor_b64 s[26:27], exec, s[26:27]
	s_cbranch_execz .LBB283_270
; %bb.267:                              ;   in Loop: Header=BB283_10 Depth=1
	v_cmp_eq_u16_e64 s[4:5], s31, v8
	s_mov_b64 s[24:25], -1
                                        ; implicit-def: $sgpr35
	s_and_saveexec_b64 s[28:29], s[4:5]
; %bb.268:                              ;   in Loop: Header=BB283_10 Depth=1
	s_mov_b32 s35, 0x7fc02000
	s_xor_b64 s[24:25], exec, -1
; %bb.269:                              ;   in Loop: Header=BB283_10 Depth=1
	s_or_b64 exec, exec, s[28:29]
	s_and_b64 s[24:25], s[24:25], exec
.LBB283_270:                            ;   in Loop: Header=BB283_10 Depth=1
	s_or_saveexec_b64 s[26:27], s[26:27]
	v_mov_b32_e32 v60, s35
	s_xor_b64 exec, exec, s[26:27]
; %bb.271:                              ;   in Loop: Header=BB283_10 Depth=1
	v_cmp_ne_u16_e64 s[4:5], 0, v8
	s_andn2_b64 s[24:25], s[24:25], exec
	s_and_b64 s[4:5], s[4:5], exec
	v_mov_b32_e32 v60, 0
	s_or_b64 s[24:25], s[24:25], s[4:5]
; %bb.272:                              ;   in Loop: Header=BB283_10 Depth=1
	s_or_b64 exec, exec, s[26:27]
	v_accvgpr_write_b32 a53, v2
	v_accvgpr_write_b32 a51, v1
	;; [unrolled: 1-line block ×4, first 2 shown]
	v_mov_b32_e32 v2, v62
	s_and_saveexec_b64 s[26:27], s[24:25]
	s_cbranch_execz .LBB283_274
; %bb.273:                              ;   in Loop: Header=BB283_10 Depth=1
	v_and_b32_e32 v35, 7, v8
	v_ffbh_u32_e32 v38, v35
	v_min_u32_e32 v60, 32, v38
	v_subrev_u32_e32 v38, 28, v60
	v_bfe_u32 v48, v8, 3, 4
	v_lshlrev_b64 v[38:39], v38, v[8:9]
	v_sub_u32_e32 v39, 29, v60
	v_cmp_eq_u32_e64 s[4:5], 0, v48
	v_and_b32_e32 v38, 7, v38
	v_lshlrev_b32_e32 v8, 8, v8
	v_cndmask_b32_e64 v39, v48, v39, s[4:5]
	v_cndmask_b32_e64 v35, v35, v38, s[4:5]
	v_lshl_add_u32 v38, v39, 10, v53
	v_and_or_b32 v8, v8, s34, v38
	v_lshl_or_b32 v8, v35, 7, v8
	v_cvt_f32_f16_e32 v60, v8
.LBB283_274:                            ;   in Loop: Header=BB283_10 Depth=1
	s_or_b64 exec, exec, s[26:27]
	scratch_load_dword v1, off, s32 offset:148 ; 4-byte Folded Reload
	ds_read_b32 v39, v23
	v_fma_mixlo_f16 v8, v55, v18, 0
	v_and_b32_e32 v8, 0xffff, v8
	v_accvgpr_read_b32 v13, a45
	v_fma_mixlo_f16 v10, v55, v10, 0
	s_waitcnt lgkmcnt(0)
	v_lshrrev_b32_e32 v48, 16, v39
	v_and_b32_e32 v39, 0xffff, v39
	;;#ASMSTART
	v_cvt_f32_f16 v39, v39;
	;;#ASMEND
	;;#ASMSTART
	v_cvt_f32_f16 v48, v48;
	;;#ASMEND
	v_and_b32_e32 v10, 0xffff, v10
	v_fma_mixlo_f16 v0, v55, v0, 0
	v_and_b32_e32 v0, 0xffff, v0
	v_fma_mixlo_f16 v28, v55, v28, 0
	v_fma_mixlo_f16 v29, v55, v29, 0
	v_fma_mixlo_f16 v30, v55, v30, 0
	v_fma_mixlo_f16 v31, v55, v31, 0
	v_fma_mixlo_f16 v49, v55, v49, 0
	v_fma_mixlo_f16 v22, v55, v22, 0
	v_fma_mixlo_f16 v25, v55, v25, 0
	v_fma_mixlo_f16 v24, v55, v24, 0
	v_fma_mixlo_f16 v40, v55, v40, 0
	v_fma_mixlo_f16 v41, v55, v41, 0
	v_fma_mixlo_f16 v42, v55, v42, 0
	v_fma_mixlo_f16 v43, v55, v43, 0
	v_fma_mixlo_f16 v44, v55, v44, 0
	v_fma_mixlo_f16 v6, v55, v6, 0
	v_and_b32_e32 v6, 0xffff, v6
	v_fma_mixlo_f16 v59, v55, v59, 0
	s_waitcnt vmcnt(0)
	v_fma_mixlo_f16 v35, v55, v1, 0
	v_accvgpr_read_b32 v1, a42
	v_fma_mixlo_f16 v38, v55, v1, 0
	v_and_b32_e32 v35, 0xffff, v35
	v_and_b32_e32 v38, 0xffff, v38
	;;#ASMSTART
	v_cvt_f32_f16 v35, v35;
	;;#ASMEND
	;;#ASMSTART
	v_cvt_f32_f16 v38, v38;
	;;#ASMEND
	ds_read_b32 v62, v23 offset:4
	v_accvgpr_read_b32 v1, a47
	s_waitcnt lgkmcnt(0)
	v_lshrrev_b32_e32 v18, 16, v62
	v_and_b32_e32 v62, 0xffff, v62
	;;#ASMSTART
	v_cvt_f32_f16 v62, v62;
	;;#ASMEND
	;;#ASMSTART
	v_cvt_f32_f16 v18, v18;
	;;#ASMEND
	;; [unrolled: 3-line block ×3, first 2 shown]
	s_nop 0
	v_mul_f32_e32 v8, v62, v8
	v_fmac_f32_e32 v8, v39, v35
	v_fma_mixlo_f16 v35, v55, v1, 0
	v_and_b32_e32 v35, 0xffff, v35
	;;#ASMSTART
	v_cvt_f32_f16 v35, v35;
	;;#ASMEND
	v_accvgpr_read_b32 v1, a44
	v_mul_f32_e32 v35, v18, v35
	v_fmac_f32_e32 v35, v48, v38
	ds_read_b32 v38, v23 offset:8
	v_fma_mixlo_f16 v18, v55, v20, 0
	v_and_b32_e32 v18, 0xffff, v18
	v_fma_mixlo_f16 v48, v55, v54, 0
	v_fma_mixlo_f16 v62, v55, v5, 0
	s_waitcnt lgkmcnt(0)
	v_lshrrev_b32_e32 v39, 16, v38
	v_and_b32_e32 v38, 0xffff, v38
	;;#ASMSTART
	v_cvt_f32_f16 v38, v38;
	;;#ASMEND
	;;#ASMSTART
	v_cvt_f32_f16 v39, v39;
	;;#ASMEND
	;; [unrolled: 3-line block ×3, first 2 shown]
	s_nop 0
	v_fmac_f32_e32 v8, v38, v18
	v_fma_mixlo_f16 v18, v55, v21, 0
	v_and_b32_e32 v18, 0xffff, v18
	;;#ASMSTART
	v_cvt_f32_f16 v18, v18;
	;;#ASMEND
	ds_read_b32 v38, v23 offset:12
	v_fmac_f32_e32 v35, v39, v18
	v_fma_mixlo_f16 v18, v55, v17, 0
	v_and_b32_e32 v18, 0xffff, v18
	s_waitcnt lgkmcnt(0)
	v_lshrrev_b32_e32 v39, 16, v38
	v_and_b32_e32 v38, 0xffff, v38
	;;#ASMSTART
	v_cvt_f32_f16 v38, v38;
	;;#ASMEND
	;;#ASMSTART
	v_cvt_f32_f16 v39, v39;
	;;#ASMEND
	;; [unrolled: 3-line block ×3, first 2 shown]
	s_nop 0
	v_fmac_f32_e32 v8, v38, v18
	v_fma_mixlo_f16 v18, v55, v1, 0
	v_and_b32_e32 v18, 0xffff, v18
	;;#ASMSTART
	v_cvt_f32_f16 v18, v18;
	;;#ASMEND
	ds_read_b32 v38, v23 offset:16
	v_fmac_f32_e32 v35, v39, v18
	v_fma_mixlo_f16 v18, v55, v36, 0
	v_and_b32_e32 v18, 0xffff, v18
	v_accvgpr_read_b32 v1, a39
	s_waitcnt lgkmcnt(0)
	v_lshrrev_b32_e32 v39, 16, v38
	v_and_b32_e32 v38, 0xffff, v38
	;;#ASMSTART
	v_cvt_f32_f16 v38, v38;
	;;#ASMEND
	;;#ASMSTART
	v_cvt_f32_f16 v39, v39;
	;;#ASMEND
	;; [unrolled: 3-line block ×3, first 2 shown]
	v_fma_mixlo_f16 v36, v55, v1, 0
	v_fmac_f32_e32 v8, v38, v18
	v_fma_mixlo_f16 v18, v55, v37, 0
	v_and_b32_e32 v18, 0xffff, v18
	;;#ASMSTART
	v_cvt_f32_f16 v18, v18;
	;;#ASMEND
	v_fma_mixlo_f16 v38, v55, v19, 0
	v_fmac_f32_e32 v35, v39, v18
	ds_read_b32 v18, v23 offset:20
	v_and_b32_e32 v38, 0xffff, v38
	v_fma_mixlo_f16 v19, v55, v15, 0
	v_and_b32_e32 v19, 0xffff, v19
	v_and_b32_e32 v36, 0xffff, v36
	s_waitcnt lgkmcnt(0)
	v_lshrrev_b32_e32 v39, 16, v18
	v_and_b32_e32 v18, 0xffff, v18
	;;#ASMSTART
	v_cvt_f32_f16 v18, v18;
	;;#ASMEND
	;;#ASMSTART
	v_cvt_f32_f16 v39, v39;
	;;#ASMEND
	;; [unrolled: 3-line block ×3, first 2 shown]
	v_accvgpr_read_b32 v1, a40
	v_fmac_f32_e32 v8, v18, v38
	v_fma_mixlo_f16 v18, v55, v52, 0
	v_and_b32_e32 v18, 0xffff, v18
	;;#ASMSTART
	v_cvt_f32_f16 v18, v18;
	;;#ASMEND
	ds_read_b32 v38, v23 offset:24
	v_fmac_f32_e32 v35, v39, v18
	v_and_b32_e32 v39, 0xffff, v48
	v_and_b32_e32 v48, 0xffff, v62
	v_fma_mixlo_f16 v21, v55, v1, 0
	s_waitcnt lgkmcnt(0)
	v_lshrrev_b32_e32 v18, 16, v38
	v_and_b32_e32 v38, 0xffff, v38
	;;#ASMSTART
	v_cvt_f32_f16 v38, v38;
	;;#ASMEND
	;;#ASMSTART
	v_cvt_f32_f16 v18, v18;
	;;#ASMEND
	;; [unrolled: 3-line block ×4, first 2 shown]
	ds_read_b32 v62, v23 offset:28
	v_fmac_f32_e32 v8, v38, v39
	v_fmac_f32_e32 v35, v18, v48
	v_accvgpr_read_b32 v1, a41
	v_fma_mixlo_f16 v5, v55, v1, 0
	s_waitcnt lgkmcnt(0)
	v_lshrrev_b32_e32 v38, 16, v62
	v_and_b32_e32 v39, 0xffff, v62
	;;#ASMSTART
	v_cvt_f32_f16 v62, v39;
	;;#ASMEND
	;;#ASMSTART
	v_cvt_f32_f16 v38, v38;
	;;#ASMEND
	;;#ASMSTART
	v_cvt_f32_f16 v19, v19;
	;;#ASMEND
	;;#ASMSTART
	v_cvt_f32_f16 v36, v36;
	;;#ASMEND
	ds_read_b32 v20, v23 offset:32
	v_fma_mixlo_f16 v39, v55, v61, 0
	v_fma_mixlo_f16 v61, v55, v2, 0
	v_fmac_f32_e32 v8, v62, v19
	v_accvgpr_read_b32 v1, a43
	s_waitcnt lgkmcnt(0)
	v_lshrrev_b32_e32 v18, 16, v20
	v_and_b32_e32 v20, 0xffff, v20
	;;#ASMSTART
	v_cvt_f32_f16 v20, v20;
	;;#ASMEND
	;;#ASMSTART
	v_cvt_f32_f16 v48, v18;
	;;#ASMEND
	v_and_b32_e32 v18, 0xffff, v61
	;;#ASMSTART
	v_cvt_f32_f16 v61, v18;
	;;#ASMEND
	v_and_b32_e32 v18, 0xffff, v21
	;;#ASMSTART
	v_cvt_f32_f16 v21, v18;
	;;#ASMEND
	ds_read_b32 v4, v23 offset:36
	v_fma_mixlo_f16 v18, v55, v26, 0
	v_fma_mixlo_f16 v26, v55, v16, 0
	v_fmac_f32_e32 v35, v38, v36
	v_fmac_f32_e32 v8, v20, v61
	s_waitcnt lgkmcnt(0)
	v_lshrrev_b32_e32 v19, 16, v4
	v_and_b32_e32 v4, 0xffff, v4
	;;#ASMSTART
	v_cvt_f32_f16 v62, v4;
	;;#ASMEND
	v_and_b32_e32 v4, 0xffff, v26
	;;#ASMSTART
	v_cvt_f32_f16 v17, v19;
	;;#ASMEND
	;;#ASMSTART
	v_cvt_f32_f16 v26, v4;
	;;#ASMEND
	v_and_b32_e32 v4, 0xffff, v5
	;;#ASMSTART
	v_cvt_f32_f16 v37, v4;
	;;#ASMEND
	ds_read_b32 v4, v23 offset:40
	v_fma_mixlo_f16 v5, v55, v32, 0
	v_fma_mixlo_f16 v19, v55, v27, 0
	;; [unrolled: 1-line block ×3, first 2 shown]
	v_fmac_f32_e32 v35, v48, v21
	s_waitcnt lgkmcnt(0)
	v_lshrrev_b32_e32 v36, 16, v4
	v_and_b32_e32 v4, 0xffff, v4
	;;#ASMSTART
	v_cvt_f32_f16 v1, v4;
	;;#ASMEND
	v_and_b32_e32 v4, 0xffff, v5
	;;#ASMSTART
	v_cvt_f32_f16 v3, v36;
	;;#ASMEND
	;;#ASMSTART
	v_cvt_f32_f16 v36, v4;
	;;#ASMEND
	v_and_b32_e32 v4, 0xffff, v27
	;;#ASMSTART
	v_cvt_f32_f16 v2, v4;
	;;#ASMEND
	ds_read_b32 v4, v23 offset:44
	v_fma_mixlo_f16 v5, v55, v33, 0
	v_fma_mixlo_f16 v27, v55, v13, 0
	v_fmac_f32_e32 v8, v62, v26
	v_fmac_f32_e32 v35, v17, v37
	s_waitcnt lgkmcnt(0)
	v_lshrrev_b32_e32 v20, 16, v4
	v_and_b32_e32 v4, 0xffff, v4
	;;#ASMSTART
	v_cvt_f32_f16 v15, v4;
	;;#ASMEND
	v_and_b32_e32 v4, 0xffff, v5
	;;#ASMSTART
	v_cvt_f32_f16 v52, v20;
	;;#ASMEND
	;;#ASMSTART
	v_cvt_f32_f16 v14, v4;
	;;#ASMEND
	v_and_b32_e32 v4, 0xffff, v27
	;;#ASMSTART
	v_cvt_f32_f16 v13, v4;
	;;#ASMEND
	ds_read_b32 v5, v23 offset:48
	v_fma_mixlo_f16 v4, v55, v7, 0
	v_accvgpr_read_b32 v7, a46
	v_fma_mixlo_f16 v7, v55, v7, 0
	v_fma_mixlo_f16 v20, v55, v50, 0
	s_waitcnt lgkmcnt(0)
	v_lshrrev_b32_e32 v21, 16, v5
	v_and_b32_e32 v5, 0xffff, v5
	;;#ASMSTART
	v_cvt_f32_f16 v32, v5;
	;;#ASMEND
	v_and_b32_e32 v5, 0xffff, v7
	;;#ASMSTART
	v_cvt_f32_f16 v50, v21;
	;;#ASMEND
	;;#ASMSTART
	v_cvt_f32_f16 v33, v5;
	;;#ASMEND
	v_and_b32_e32 v5, 0xffff, v20
	;;#ASMSTART
	v_cvt_f32_f16 v61, v5;
	;;#ASMEND
	ds_read_b32 v7, v23 offset:52
	v_fma_mixlo_f16 v20, v55, v51, 0
	v_fma_mixlo_f16 v21, v55, v12, 0
	;; [unrolled: 1-line block ×3, first 2 shown]
	v_accvgpr_read_b32 v16, a48
	s_waitcnt lgkmcnt(0)
	v_lshrrev_b32_e32 v12, 16, v7
	v_and_b32_e32 v7, 0xffff, v7
	;;#ASMSTART
	v_cvt_f32_f16 v38, v7;
	;;#ASMEND
	v_and_b32_e32 v7, 0xffff, v20
	;;#ASMSTART
	v_cvt_f32_f16 v12, v12;
	;;#ASMEND
	;;#ASMSTART
	v_cvt_f32_f16 v57, v7;
	;;#ASMEND
	v_and_b32_e32 v7, 0xffff, v21
	;;#ASMSTART
	v_cvt_f32_f16 v26, v7;
	;;#ASMEND
	ds_read_b32 v20, v23 offset:56
	v_fma_mixlo_f16 v21, v55, v11, 0
	v_fma_mixlo_f16 v37, v55, v16, 0
	v_fmac_f32_e32 v8, v1, v36
	v_accvgpr_read_b32 v16, a49
	s_waitcnt lgkmcnt(0)
	v_lshrrev_b32_e32 v17, 16, v20
	v_and_b32_e32 v11, 0xffff, v20
	v_and_b32_e32 v20, 0xffff, v21
	;;#ASMSTART
	v_cvt_f32_f16 v11, v11;
	;;#ASMEND
	;;#ASMSTART
	v_cvt_f32_f16 v17, v17;
	;;#ASMEND
	;; [unrolled: 3-line block ×4, first 2 shown]
	ds_read_b32 v20, v23 offset:60
	v_fma_mixlo_f16 v7, v55, v58, 0
	v_fma_mixlo_f16 v58, v55, v16, 0
	v_accvgpr_read_b32 v16, a50
	v_fmac_f32_e32 v35, v3, v2
	s_waitcnt lgkmcnt(0)
	v_lshrrev_b32_e32 v36, 16, v20
	v_and_b32_e32 v1, 0xffff, v20
	;;#ASMSTART
	v_cvt_f32_f16 v1, v1;
	;;#ASMEND
	;;#ASMSTART
	v_cvt_f32_f16 v20, v36;
	;;#ASMEND
	v_and_b32_e32 v36, 0xffff, v37
	;;#ASMSTART
	v_cvt_f32_f16 v36, v36;
	;;#ASMEND
	;;#ASMSTART
	v_cvt_f32_f16 v37, v0;
	;;#ASMEND
	ds_read_b32 v48, v23 offset:64
	v_fma_mixlo_f16 v10, v55, v47, 0
	v_fma_mixlo_f16 v0, v55, v56, 0
	;; [unrolled: 1-line block ×3, first 2 shown]
	v_accvgpr_read_b32 v16, a51
	s_waitcnt lgkmcnt(0)
	v_lshrrev_b32_e32 v2, 16, v48
	v_and_b32_e32 v3, 0xffff, v48
	;;#ASMSTART
	v_cvt_f32_f16 v47, v3;
	;;#ASMEND
	;;#ASMSTART
	v_cvt_f32_f16 v56, v2;
	;;#ASMEND
	v_and_b32_e32 v2, 0xffff, v58
	;;#ASMSTART
	v_cvt_f32_f16 v58, v2;
	;;#ASMEND
	v_and_b32_e32 v2, 0xffff, v62
	;;#ASMSTART
	v_cvt_f32_f16 v62, v2;
	;;#ASMEND
	ds_read_b32 v2, v23 offset:68
	v_fma_mixlo_f16 v48, v55, v16, 0
	v_accvgpr_read_b32 v16, a52
	v_fmac_f32_e32 v8, v15, v14
	v_fma_mixlo_f16 v3, v55, v45, 0
	s_waitcnt lgkmcnt(0)
	v_lshrrev_b32_e32 v15, 16, v2
	v_and_b32_e32 v2, 0xffff, v2
	v_fma_mixlo_f16 v45, v55, v16, 0
	;;#ASMSTART
	v_cvt_f32_f16 v14, v2;
	;;#ASMEND
	v_and_b32_e32 v2, 0xffff, v48
	;;#ASMSTART
	v_cvt_f32_f16 v15, v15;
	;;#ASMEND
	;;#ASMSTART
	v_cvt_f32_f16 v48, v2;
	;;#ASMEND
	v_and_b32_e32 v2, 0xffff, v45
	;;#ASMSTART
	v_cvt_f32_f16 v51, v2;
	;;#ASMEND
	ds_read_b32 v2, v23 offset:72
	v_accvgpr_read_b32 v16, a53
	v_fma_mixlo_f16 v45, v55, v46, 0
	v_fma_mixlo_f16 v46, v55, v16, 0
	v_fmac_f32_e32 v35, v52, v13
	s_waitcnt lgkmcnt(0)
	v_lshrrev_b32_e32 v13, 16, v2
	v_and_b32_e32 v2, 0xffff, v2
	;;#ASMSTART
	v_cvt_f32_f16 v52, v2;
	;;#ASMEND
	v_and_b32_e32 v2, 0xffff, v46
	;;#ASMSTART
	v_cvt_f32_f16 v13, v13;
	;;#ASMEND
	;;#ASMSTART
	v_cvt_f32_f16 v46, v2;
	;;#ASMEND
	v_and_b32_e32 v2, 0xffff, v28
	;;#ASMSTART
	v_cvt_f32_f16 v28, v2;
	;;#ASMEND
	ds_read_b32 v2, v23 offset:76
	v_fmac_f32_e32 v8, v32, v33
	v_fmac_f32_e32 v35, v50, v61
	v_fmac_f32_e32 v8, v38, v57
	v_fmac_f32_e32 v35, v12, v26
	s_waitcnt lgkmcnt(0)
	v_lshrrev_b32_e32 v32, 16, v2
	v_and_b32_e32 v2, 0xffff, v2
	;;#ASMSTART
	v_cvt_f32_f16 v33, v2;
	;;#ASMEND
	v_and_b32_e32 v2, 0xffff, v29
	;;#ASMSTART
	v_cvt_f32_f16 v32, v32;
	;;#ASMEND
	;;#ASMSTART
	v_cvt_f32_f16 v29, v2;
	;;#ASMEND
	v_and_b32_e32 v2, 0xffff, v30
	;;#ASMSTART
	v_cvt_f32_f16 v30, v2;
	;;#ASMEND
	ds_read_b32 v2, v23 offset:80
	v_fmac_f32_e32 v8, v11, v21
	v_fmac_f32_e32 v35, v17, v27
	v_and_b32_e32 v17, 0xffff, v41
	v_and_b32_e32 v21, 0xffff, v42
	s_waitcnt lgkmcnt(0)
	v_lshrrev_b32_e32 v50, 16, v2
	v_and_b32_e32 v2, 0xffff, v2
	;;#ASMSTART
	v_cvt_f32_f16 v61, v2;
	;;#ASMEND
	v_and_b32_e32 v2, 0xffff, v31
	;;#ASMSTART
	v_cvt_f32_f16 v50, v50;
	;;#ASMEND
	;;#ASMSTART
	v_cvt_f32_f16 v31, v2;
	;;#ASMEND
	v_and_b32_e32 v2, 0xffff, v49
	;;#ASMSTART
	v_cvt_f32_f16 v49, v2;
	;;#ASMEND
	ds_read_b32 v2, v23 offset:84
	v_fmac_f32_e32 v8, v1, v36
	v_fmac_f32_e32 v35, v20, v37
	;; [unrolled: 1-line block ×4, first 2 shown]
	s_waitcnt lgkmcnt(0)
	v_lshrrev_b32_e32 v38, 16, v2
	v_and_b32_e32 v2, 0xffff, v2
	;;#ASMSTART
	v_cvt_f32_f16 v57, v2;
	;;#ASMEND
	v_and_b32_e32 v2, 0xffff, v22
	;;#ASMSTART
	v_cvt_f32_f16 v38, v38;
	;;#ASMEND
	;;#ASMSTART
	v_cvt_f32_f16 v22, v2;
	;;#ASMEND
	v_and_b32_e32 v2, 0xffff, v25
	;;#ASMSTART
	v_cvt_f32_f16 v25, v2;
	;;#ASMEND
	ds_read_b32 v2, v23 offset:88
	v_fmac_f32_e32 v35, v15, v51
	v_fmac_f32_e32 v8, v14, v48
	;; [unrolled: 1-line block ×3, first 2 shown]
	v_and_b32_e32 v3, 0xffff, v3
	s_waitcnt lgkmcnt(0)
	v_lshrrev_b32_e32 v12, 16, v2
	v_and_b32_e32 v2, 0xffff, v2
	;;#ASMSTART
	v_cvt_f32_f16 v26, v2;
	;;#ASMEND
	v_and_b32_e32 v2, 0xffff, v24
	;;#ASMSTART
	v_cvt_f32_f16 v54, v12;
	;;#ASMEND
	;;#ASMSTART
	v_cvt_f32_f16 v24, v2;
	;;#ASMEND
	v_and_b32_e32 v2, 0xffff, v40
	;;#ASMSTART
	v_cvt_f32_f16 v40, v2;
	;;#ASMEND
	ds_read_b32 v16, v23 offset:92
	v_fma_mixlo_f16 v12, v55, v34, 0
	v_and_b32_e32 v34, 0xffff, v44
	v_and_b32_e32 v15, 0xffff, v45
	v_fmac_f32_e32 v8, v52, v46
	s_waitcnt lgkmcnt(0)
	v_lshrrev_b32_e32 v11, 16, v16
	v_and_b32_e32 v16, 0xffff, v16
	;;#ASMSTART
	v_cvt_f32_f16 v16, v16;
	;;#ASMEND
	;;#ASMSTART
	v_cvt_f32_f16 v11, v11;
	;;#ASMEND
	;; [unrolled: 3-line block ×4, first 2 shown]
	ds_read_b32 v27, v23 offset:96
	v_fmac_f32_e32 v8, v33, v29
	v_and_b32_e32 v10, 0xffff, v10
	v_and_b32_e32 v0, 0xffff, v0
	v_fmac_f32_e32 v35, v32, v30
	s_waitcnt lgkmcnt(0)
	v_lshrrev_b32_e32 v1, 16, v27
	v_and_b32_e32 v20, 0xffff, v27
	v_and_b32_e32 v27, 0xffff, v43
	;;#ASMSTART
	v_cvt_f32_f16 v20, v20;
	;;#ASMEND
	;;#ASMSTART
	v_cvt_f32_f16 v1, v1;
	;;#ASMEND
	;; [unrolled: 3-line block ×4, first 2 shown]
	ds_read_b32 v36, v23 offset:100
	v_fmac_f32_e32 v8, v61, v31
	v_fmac_f32_e32 v8, v57, v22
	;; [unrolled: 1-line block ×4, first 2 shown]
	s_waitcnt lgkmcnt(0)
	v_lshrrev_b32_e32 v13, 16, v36
	v_and_b32_e32 v14, 0xffff, v36
	;;#ASMSTART
	v_cvt_f32_f16 v14, v14;
	;;#ASMEND
	;;#ASMSTART
	v_cvt_f32_f16 v13, v13;
	;;#ASMEND
	;; [unrolled: 3-line block ×4, first 2 shown]
	ds_read_b32 v28, v23 offset:104
	v_and_b32_e32 v5, 0xffff, v5
	v_and_b32_e32 v7, 0xffff, v7
	v_fmac_f32_e32 v35, v38, v25
	v_fmac_f32_e32 v35, v54, v40
	s_waitcnt lgkmcnt(0)
	v_lshrrev_b32_e32 v29, 16, v28
	v_and_b32_e32 v28, 0xffff, v28
	;;#ASMSTART
	v_cvt_f32_f16 v28, v28;
	;;#ASMEND
	;;#ASMSTART
	v_cvt_f32_f16 v29, v29;
	;;#ASMEND
	;; [unrolled: 3-line block ×4, first 2 shown]
	ds_read_b32 v30, v23 offset:108
	v_fmac_f32_e32 v35, v11, v21
	v_fmac_f32_e32 v35, v1, v34
	v_and_b32_e32 v4, 0xffff, v4
	v_fmac_f32_e32 v8, v16, v17
	s_waitcnt lgkmcnt(0)
	v_lshrrev_b32_e32 v22, 16, v30
	v_and_b32_e32 v24, 0xffff, v30
	;;#ASMSTART
	v_cvt_f32_f16 v24, v24;
	;;#ASMEND
	;;#ASMSTART
	v_cvt_f32_f16 v22, v22;
	;;#ASMEND
	;; [unrolled: 3-line block ×4, first 2 shown]
	ds_read_b32 v25, v23 offset:112
	v_fmac_f32_e32 v8, v20, v27
	v_fmac_f32_e32 v8, v14, v3
	v_fmac_f32_e32 v35, v13, v15
	v_fmac_f32_e32 v8, v28, v10
	s_waitcnt lgkmcnt(0)
	v_lshrrev_b32_e32 v1, 16, v25
	v_and_b32_e32 v11, 0xffff, v25
	;;#ASMSTART
	v_cvt_f32_f16 v11, v11;
	;;#ASMEND
	;;#ASMSTART
	v_cvt_f32_f16 v1, v1;
	;;#ASMEND
	;; [unrolled: 3-line block ×4, first 2 shown]
	ds_read_b32 v16, v23 offset:116
	v_fmac_f32_e32 v35, v29, v0
	v_and_b32_e32 v10, 0xffff, v18
	v_and_b32_e32 v13, 0xffff, v19
	v_fmac_f32_e32 v8, v24, v5
	s_waitcnt lgkmcnt(0)
	v_lshrrev_b32_e32 v0, 16, v16
	v_and_b32_e32 v3, 0xffff, v16
	;;#ASMSTART
	v_cvt_f32_f16 v3, v3;
	;;#ASMEND
	;;#ASMSTART
	v_cvt_f32_f16 v0, v0;
	;;#ASMEND
	;;#ASMSTART
	v_cvt_f32_f16 v10, v10;
	;;#ASMEND
	;;#ASMSTART
	v_cvt_f32_f16 v13, v13;
	;;#ASMEND
	ds_read_b32 v14, v23 offset:120
	v_fmac_f32_e32 v35, v22, v7
	v_fmac_f32_e32 v8, v11, v6
	;; [unrolled: 1-line block ×3, first 2 shown]
	v_and_b32_e32 v5, 0xffff, v59
	s_waitcnt lgkmcnt(0)
	v_lshrrev_b32_e32 v1, 16, v14
	v_and_b32_e32 v4, 0xffff, v14
	v_and_b32_e32 v6, 0xffff, v39
	;;#ASMSTART
	v_cvt_f32_f16 v4, v4;
	;;#ASMEND
	;;#ASMSTART
	v_cvt_f32_f16 v1, v1;
	;;#ASMEND
	;; [unrolled: 3-line block ×4, first 2 shown]
	ds_read_b32 v7, v23 offset:124
	v_fmac_f32_e32 v35, v0, v13
	v_fmac_f32_e32 v8, v3, v10
	;; [unrolled: 1-line block ×3, first 2 shown]
	v_and_b32_e32 v3, 0xffff, v12
	s_waitcnt lgkmcnt(0)
	v_lshrrev_b32_e32 v0, 16, v7
	v_and_b32_e32 v1, 0xffff, v7
	v_fma_mixlo_f16 v2, v55, v60, 0
	v_fmac_f32_e32 v8, v4, v5
	;;#ASMSTART
	v_cvt_f32_f16 v1, v1;
	;;#ASMEND
	;;#ASMSTART
	v_cvt_f32_f16 v0, v0;
	;;#ASMEND
	;; [unrolled: 3-line block ×3, first 2 shown]
	v_and_b32_e32 v2, 0xffff, v2
	v_fmac_f32_e32 v8, v1, v3
	v_accvgpr_read_b32 v3, a28
	;;#ASMSTART
	v_cvt_f32_f16 v2, v2;
	;;#ASMEND
	v_and_b32_e32 v1, 64, v3
	v_fmac_f32_e32 v35, v0, v2
	v_add_u32_e32 v2, 64, v1
	v_xor_b32_e32 v1, 2, v3
	v_cmp_lt_i32_e64 s[4:5], v1, v2
	v_add_f32_e32 v0, v8, v35
	s_nop 0
	v_cndmask_b32_e64 v1, v3, v1, s[4:5]
	v_lshlrev_b32_e32 v1, 2, v1
	ds_bpermute_b32 v1, v1, v0
	s_waitcnt lgkmcnt(0)
	v_add_f32_e32 v0, v0, v1
	v_xor_b32_e32 v1, 1, v3
	v_cmp_lt_i32_e64 s[4:5], v1, v2
	s_nop 1
	v_cndmask_b32_e64 v1, v3, v1, s[4:5]
	v_lshlrev_b32_e32 v1, 2, v1
	ds_bpermute_b32 v1, v1, v0
	s_mov_b64 s[24:25], exec
	s_and_b64 s[4:5], s[24:25], vcc
	v_accvgpr_read_b32 v6, a38
	s_mov_b64 exec, s[4:5]
	s_cbranch_execz .LBB283_9
; %bb.275:                              ;   in Loop: Header=BB283_10 Depth=1
	s_waitcnt lgkmcnt(0)
	v_add_f32_e32 v0, v0, v1
	scratch_load_dword v1, off, s32 offset:156 ; 4-byte Folded Reload
	v_accvgpr_read_b32 v3, a29
	v_accvgpr_read_b32 v5, a36
	v_add_u32_e32 v3, v3, v5
	v_cvt_f32_i32_e32 v3, v3
	s_load_dword s4, s[8:9], 0x0
	v_accvgpr_read_b32 v4, a23
	s_waitcnt vmcnt(0)
	v_mul_f32_e32 v1, v1, v3
	v_cndmask_b32_e64 v1, 0, v1, s[2:3]
	v_accvgpr_read_b32 v3, a37
	v_fmac_f32_e32 v1, v0, v4
	v_accvgpr_read_b32 v0, a8
	s_waitcnt lgkmcnt(0)
	v_add_u32_e32 v3, s4, v3
	v_cmp_lt_i32_e64 s[4:5], v5, v0
	s_nop 1
	v_cndmask_b32_e64 v0, 0, v1, s[4:5]
	ds_write_b32 v3, v0
	scratch_load_dword v3, off, s32 offset:152 ; 4-byte Folded Reload
	s_waitcnt vmcnt(0)
	v_max_f32_e32 v0, v3, v3
	v_max_f32_e32 v0, v0, v1
	v_cndmask_b32_e64 v3, v3, v0, s[4:5]
	scratch_store_dword off, v3, s32 offset:152 ; 4-byte Folded Spill
	s_branch .LBB283_9
.LBB283_276:                            ;   in Loop: Header=BB283_10 Depth=1
	v_cmp_eq_u16_e64 s[4:5], s31, v8
	s_mov_b64 s[24:25], -1
                                        ; implicit-def: $sgpr35
	s_and_saveexec_b64 s[28:29], s[4:5]
; %bb.277:                              ;   in Loop: Header=BB283_10 Depth=1
	s_mov_b32 s35, 0x7fc02000
	s_xor_b64 s[24:25], exec, -1
; %bb.278:                              ;   in Loop: Header=BB283_10 Depth=1
	s_or_b64 exec, exec, s[28:29]
	s_and_b64 s[24:25], s[24:25], exec
	s_or_saveexec_b64 s[26:27], s[26:27]
	v_mov_b32_e32 v0, s35
	s_xor_b64 exec, exec, s[26:27]
	s_cbranch_execz .LBB283_20
.LBB283_279:                            ;   in Loop: Header=BB283_10 Depth=1
	v_cmp_ne_u16_e64 s[4:5], 0, v8
	s_andn2_b64 s[24:25], s[24:25], exec
	s_and_b64 s[4:5], s[4:5], exec
	v_mov_b32_e32 v0, 0
	s_or_b64 s[24:25], s[24:25], s[4:5]
	s_or_b64 exec, exec, s[26:27]
	s_and_saveexec_b64 s[26:27], s[24:25]
	s_cbranch_execnz .LBB283_21
	s_branch .LBB283_22
.LBB283_280:                            ;   in Loop: Header=BB283_10 Depth=1
	v_cmp_eq_u16_sdwa s[36:37], v0, s31 src0_sel:BYTE_0 src1_sel:DWORD
	s_mov_b64 s[4:5], -1
                                        ; implicit-def: $sgpr28
	s_and_saveexec_b64 s[26:27], s[36:37]
; %bb.281:                              ;   in Loop: Header=BB283_10 Depth=1
	s_mov_b32 s28, 0x7fc02000
	s_xor_b64 s[4:5], exec, -1
; %bb.282:                              ;   in Loop: Header=BB283_10 Depth=1
	s_or_b64 exec, exec, s[26:27]
	s_and_b64 s[4:5], s[4:5], exec
	s_or_saveexec_b64 s[24:25], s[24:25]
	v_mov_b32_e32 v18, s28
	s_xor_b64 exec, exec, s[24:25]
	s_cbranch_execz .LBB283_24
.LBB283_283:                            ;   in Loop: Header=BB283_10 Depth=1
	v_cmp_ne_u16_sdwa s[26:27], v0, v9 src0_sel:BYTE_0 src1_sel:DWORD
	s_andn2_b64 s[4:5], s[4:5], exec
	s_and_b64 s[26:27], s[26:27], exec
	v_mov_b32_e32 v18, 0
	s_or_b64 s[4:5], s[4:5], s[26:27]
	s_or_b64 exec, exec, s[24:25]
	v_and_b32_e32 v8, 0xffff, v0
	s_and_saveexec_b64 s[24:25], s[4:5]
	s_cbranch_execnz .LBB283_25
	s_branch .LBB283_26
.LBB283_284:                            ;   in Loop: Header=BB283_10 Depth=1
	v_cmp_eq_u16_e64 s[4:5], s31, v8
	s_mov_b64 s[24:25], -1
                                        ; implicit-def: $sgpr35
	s_and_saveexec_b64 s[28:29], s[4:5]
; %bb.285:                              ;   in Loop: Header=BB283_10 Depth=1
	s_mov_b32 s35, 0x7fc02000
	s_xor_b64 s[24:25], exec, -1
; %bb.286:                              ;   in Loop: Header=BB283_10 Depth=1
	s_or_b64 exec, exec, s[28:29]
	s_and_b64 s[24:25], s[24:25], exec
	s_or_saveexec_b64 s[26:27], s[26:27]
	v_mov_b32_e32 v0, s35
	s_xor_b64 exec, exec, s[26:27]
	s_cbranch_execz .LBB283_28
.LBB283_287:                            ;   in Loop: Header=BB283_10 Depth=1
	v_cmp_ne_u16_e64 s[4:5], 0, v8
	s_andn2_b64 s[24:25], s[24:25], exec
	s_and_b64 s[4:5], s[4:5], exec
	v_mov_b32_e32 v0, 0
	s_or_b64 s[24:25], s[24:25], s[4:5]
	s_or_b64 exec, exec, s[26:27]
	s_and_saveexec_b64 s[26:27], s[24:25]
	s_cbranch_execnz .LBB283_29
	s_branch .LBB283_30
.LBB283_288:                            ;   in Loop: Header=BB283_10 Depth=1
	v_cmp_eq_u16_sdwa s[36:37], v0, s31 src0_sel:BYTE_0 src1_sel:DWORD
	s_mov_b64 s[4:5], -1
                                        ; implicit-def: $sgpr28
	s_and_saveexec_b64 s[26:27], s[36:37]
; %bb.289:                              ;   in Loop: Header=BB283_10 Depth=1
	s_mov_b32 s28, 0x7fc02000
	s_xor_b64 s[4:5], exec, -1
; %bb.290:                              ;   in Loop: Header=BB283_10 Depth=1
	s_or_b64 exec, exec, s[26:27]
	s_and_b64 s[4:5], s[4:5], exec
	s_or_saveexec_b64 s[24:25], s[24:25]
	v_mov_b32_e32 v20, s28
	s_xor_b64 exec, exec, s[24:25]
	s_cbranch_execz .LBB283_32
.LBB283_291:                            ;   in Loop: Header=BB283_10 Depth=1
	v_cmp_ne_u16_sdwa s[26:27], v0, v9 src0_sel:BYTE_0 src1_sel:DWORD
	s_andn2_b64 s[4:5], s[4:5], exec
	s_and_b64 s[26:27], s[26:27], exec
	v_mov_b32_e32 v20, 0
	s_or_b64 s[4:5], s[4:5], s[26:27]
	s_or_b64 exec, exec, s[24:25]
	v_and_b32_e32 v8, 0xffff, v0
	s_and_saveexec_b64 s[24:25], s[4:5]
	s_cbranch_execnz .LBB283_33
	s_branch .LBB283_34
.LBB283_292:                            ;   in Loop: Header=BB283_10 Depth=1
	v_cmp_eq_u16_e64 s[4:5], s31, v8
	s_mov_b64 s[24:25], -1
                                        ; implicit-def: $sgpr35
	s_and_saveexec_b64 s[28:29], s[4:5]
; %bb.293:                              ;   in Loop: Header=BB283_10 Depth=1
	s_mov_b32 s35, 0x7fc02000
	s_xor_b64 s[24:25], exec, -1
; %bb.294:                              ;   in Loop: Header=BB283_10 Depth=1
	s_or_b64 exec, exec, s[28:29]
	s_and_b64 s[24:25], s[24:25], exec
	s_or_saveexec_b64 s[26:27], s[26:27]
	v_mov_b32_e32 v21, s35
	s_xor_b64 exec, exec, s[26:27]
	s_cbranch_execz .LBB283_36
.LBB283_295:                            ;   in Loop: Header=BB283_10 Depth=1
	v_cmp_ne_u16_e64 s[4:5], 0, v8
	s_andn2_b64 s[24:25], s[24:25], exec
	s_and_b64 s[4:5], s[4:5], exec
	v_mov_b32_e32 v21, 0
	s_or_b64 s[24:25], s[24:25], s[4:5]
	s_or_b64 exec, exec, s[26:27]
	s_and_saveexec_b64 s[26:27], s[24:25]
	s_cbranch_execnz .LBB283_37
	s_branch .LBB283_38
.LBB283_296:                            ;   in Loop: Header=BB283_10 Depth=1
	v_cmp_eq_u16_sdwa s[36:37], v0, s31 src0_sel:BYTE_0 src1_sel:DWORD
	s_mov_b64 s[4:5], -1
                                        ; implicit-def: $sgpr28
	s_and_saveexec_b64 s[26:27], s[36:37]
; %bb.297:                              ;   in Loop: Header=BB283_10 Depth=1
	s_mov_b32 s28, 0x7fc02000
	s_xor_b64 s[4:5], exec, -1
; %bb.298:                              ;   in Loop: Header=BB283_10 Depth=1
	s_or_b64 exec, exec, s[26:27]
	s_and_b64 s[4:5], s[4:5], exec
	s_or_saveexec_b64 s[24:25], s[24:25]
	v_mov_b32_e32 v17, s28
	s_xor_b64 exec, exec, s[24:25]
	s_cbranch_execz .LBB283_40
.LBB283_299:                            ;   in Loop: Header=BB283_10 Depth=1
	v_cmp_ne_u16_sdwa s[26:27], v0, v9 src0_sel:BYTE_0 src1_sel:DWORD
	s_andn2_b64 s[4:5], s[4:5], exec
	s_and_b64 s[26:27], s[26:27], exec
	v_mov_b32_e32 v17, 0
	s_or_b64 s[4:5], s[4:5], s[26:27]
	s_or_b64 exec, exec, s[24:25]
	v_and_b32_e32 v8, 0xffff, v0
	s_and_saveexec_b64 s[24:25], s[4:5]
	s_cbranch_execnz .LBB283_41
	s_branch .LBB283_42
.LBB283_300:                            ;   in Loop: Header=BB283_10 Depth=1
	v_cmp_eq_u16_e64 s[4:5], s31, v8
	s_mov_b64 s[24:25], -1
                                        ; implicit-def: $sgpr35
	s_and_saveexec_b64 s[28:29], s[4:5]
; %bb.301:                              ;   in Loop: Header=BB283_10 Depth=1
	s_mov_b32 s35, 0x7fc02000
	s_xor_b64 s[24:25], exec, -1
; %bb.302:                              ;   in Loop: Header=BB283_10 Depth=1
	s_or_b64 exec, exec, s[28:29]
	s_and_b64 s[24:25], s[24:25], exec
	s_or_saveexec_b64 s[26:27], s[26:27]
	v_mov_b32_e32 v0, s35
	s_xor_b64 exec, exec, s[26:27]
	s_cbranch_execz .LBB283_44
.LBB283_303:                            ;   in Loop: Header=BB283_10 Depth=1
	v_cmp_ne_u16_e64 s[4:5], 0, v8
	s_andn2_b64 s[24:25], s[24:25], exec
	s_and_b64 s[4:5], s[4:5], exec
	v_mov_b32_e32 v0, 0
	s_or_b64 s[24:25], s[24:25], s[4:5]
	s_or_b64 exec, exec, s[26:27]
	s_and_saveexec_b64 s[26:27], s[24:25]
	s_cbranch_execnz .LBB283_45
	s_branch .LBB283_46
.LBB283_304:                            ;   in Loop: Header=BB283_10 Depth=1
	v_cmp_eq_u16_sdwa s[36:37], v0, s31 src0_sel:BYTE_0 src1_sel:DWORD
	s_mov_b64 s[4:5], -1
                                        ; implicit-def: $sgpr28
	s_and_saveexec_b64 s[26:27], s[36:37]
; %bb.305:                              ;   in Loop: Header=BB283_10 Depth=1
	s_mov_b32 s28, 0x7fc02000
	s_xor_b64 s[4:5], exec, -1
; %bb.306:                              ;   in Loop: Header=BB283_10 Depth=1
	s_or_b64 exec, exec, s[26:27]
	s_and_b64 s[4:5], s[4:5], exec
	s_or_saveexec_b64 s[24:25], s[24:25]
	v_mov_b32_e32 v36, s28
	s_xor_b64 exec, exec, s[24:25]
	s_cbranch_execz .LBB283_48
.LBB283_307:                            ;   in Loop: Header=BB283_10 Depth=1
	v_cmp_ne_u16_sdwa s[26:27], v0, v9 src0_sel:BYTE_0 src1_sel:DWORD
	s_andn2_b64 s[4:5], s[4:5], exec
	s_and_b64 s[26:27], s[26:27], exec
	v_mov_b32_e32 v36, 0
	s_or_b64 s[4:5], s[4:5], s[26:27]
	s_or_b64 exec, exec, s[24:25]
	v_and_b32_e32 v8, 0xffff, v0
	s_and_saveexec_b64 s[24:25], s[4:5]
	s_cbranch_execnz .LBB283_49
	s_branch .LBB283_50
.LBB283_308:                            ;   in Loop: Header=BB283_10 Depth=1
	v_cmp_eq_u16_e64 s[4:5], s31, v8
	s_mov_b64 s[24:25], -1
                                        ; implicit-def: $sgpr35
	s_and_saveexec_b64 s[28:29], s[4:5]
; %bb.309:                              ;   in Loop: Header=BB283_10 Depth=1
	s_mov_b32 s35, 0x7fc02000
	s_xor_b64 s[24:25], exec, -1
; %bb.310:                              ;   in Loop: Header=BB283_10 Depth=1
	s_or_b64 exec, exec, s[28:29]
	s_and_b64 s[24:25], s[24:25], exec
	s_or_saveexec_b64 s[26:27], s[26:27]
	v_mov_b32_e32 v37, s35
	s_xor_b64 exec, exec, s[26:27]
	s_cbranch_execz .LBB283_52
.LBB283_311:                            ;   in Loop: Header=BB283_10 Depth=1
	v_cmp_ne_u16_e64 s[4:5], 0, v8
	s_andn2_b64 s[24:25], s[24:25], exec
	s_and_b64 s[4:5], s[4:5], exec
	v_mov_b32_e32 v37, 0
	s_or_b64 s[24:25], s[24:25], s[4:5]
	s_or_b64 exec, exec, s[26:27]
	s_and_saveexec_b64 s[26:27], s[24:25]
	s_cbranch_execnz .LBB283_53
	s_branch .LBB283_54
.LBB283_312:                            ;   in Loop: Header=BB283_10 Depth=1
	v_cmp_eq_u16_sdwa s[36:37], v0, s31 src0_sel:BYTE_0 src1_sel:DWORD
	s_mov_b64 s[4:5], -1
                                        ; implicit-def: $sgpr28
	s_and_saveexec_b64 s[26:27], s[36:37]
; %bb.313:                              ;   in Loop: Header=BB283_10 Depth=1
	s_mov_b32 s28, 0x7fc02000
	s_xor_b64 s[4:5], exec, -1
; %bb.314:                              ;   in Loop: Header=BB283_10 Depth=1
	s_or_b64 exec, exec, s[26:27]
	s_and_b64 s[4:5], s[4:5], exec
	s_or_saveexec_b64 s[24:25], s[24:25]
	v_mov_b32_e32 v19, s28
	s_xor_b64 exec, exec, s[24:25]
	s_cbranch_execz .LBB283_56
.LBB283_315:                            ;   in Loop: Header=BB283_10 Depth=1
	v_cmp_ne_u16_sdwa s[26:27], v0, v9 src0_sel:BYTE_0 src1_sel:DWORD
	s_andn2_b64 s[4:5], s[4:5], exec
	s_and_b64 s[26:27], s[26:27], exec
	v_mov_b32_e32 v19, 0
	s_or_b64 s[4:5], s[4:5], s[26:27]
	s_or_b64 exec, exec, s[24:25]
	v_and_b32_e32 v8, 0xffff, v0
	s_and_saveexec_b64 s[24:25], s[4:5]
	s_cbranch_execnz .LBB283_57
	s_branch .LBB283_58
.LBB283_316:                            ;   in Loop: Header=BB283_10 Depth=1
	v_cmp_eq_u16_e64 s[4:5], s31, v8
	s_mov_b64 s[24:25], -1
                                        ; implicit-def: $sgpr35
	s_and_saveexec_b64 s[28:29], s[4:5]
; %bb.317:                              ;   in Loop: Header=BB283_10 Depth=1
	s_mov_b32 s35, 0x7fc02000
	s_xor_b64 s[24:25], exec, -1
; %bb.318:                              ;   in Loop: Header=BB283_10 Depth=1
	s_or_b64 exec, exec, s[28:29]
	s_and_b64 s[24:25], s[24:25], exec
	s_or_saveexec_b64 s[26:27], s[26:27]
	v_mov_b32_e32 v52, s35
	s_xor_b64 exec, exec, s[26:27]
	s_cbranch_execz .LBB283_60
.LBB283_319:                            ;   in Loop: Header=BB283_10 Depth=1
	v_cmp_ne_u16_e64 s[4:5], 0, v8
	s_andn2_b64 s[24:25], s[24:25], exec
	s_and_b64 s[4:5], s[4:5], exec
	v_mov_b32_e32 v52, 0
	s_or_b64 s[24:25], s[24:25], s[4:5]
	s_or_b64 exec, exec, s[26:27]
	s_and_saveexec_b64 s[26:27], s[24:25]
	s_cbranch_execnz .LBB283_61
	s_branch .LBB283_62
.LBB283_320:                            ;   in Loop: Header=BB283_10 Depth=1
	v_cmp_eq_u16_sdwa s[36:37], v0, s31 src0_sel:BYTE_0 src1_sel:DWORD
	s_mov_b64 s[4:5], -1
                                        ; implicit-def: $sgpr28
	s_and_saveexec_b64 s[26:27], s[36:37]
; %bb.321:                              ;   in Loop: Header=BB283_10 Depth=1
	s_mov_b32 s28, 0x7fc02000
	s_xor_b64 s[4:5], exec, -1
; %bb.322:                              ;   in Loop: Header=BB283_10 Depth=1
	s_or_b64 exec, exec, s[26:27]
	s_and_b64 s[4:5], s[4:5], exec
	s_or_saveexec_b64 s[24:25], s[24:25]
	v_mov_b32_e32 v54, s28
	s_xor_b64 exec, exec, s[24:25]
	s_cbranch_execz .LBB283_64
.LBB283_323:                            ;   in Loop: Header=BB283_10 Depth=1
	v_cmp_ne_u16_sdwa s[26:27], v0, v9 src0_sel:BYTE_0 src1_sel:DWORD
	s_andn2_b64 s[4:5], s[4:5], exec
	s_and_b64 s[26:27], s[26:27], exec
	v_mov_b32_e32 v54, 0
	s_or_b64 s[4:5], s[4:5], s[26:27]
	s_or_b64 exec, exec, s[24:25]
	v_and_b32_e32 v8, 0xffff, v0
	s_and_saveexec_b64 s[24:25], s[4:5]
	s_cbranch_execnz .LBB283_65
	s_branch .LBB283_66
.LBB283_324:                            ;   in Loop: Header=BB283_10 Depth=1
	v_cmp_eq_u16_e64 s[4:5], s31, v8
	s_mov_b64 s[24:25], -1
                                        ; implicit-def: $sgpr35
	s_and_saveexec_b64 s[28:29], s[4:5]
; %bb.325:                              ;   in Loop: Header=BB283_10 Depth=1
	s_mov_b32 s35, 0x7fc02000
	s_xor_b64 s[24:25], exec, -1
; %bb.326:                              ;   in Loop: Header=BB283_10 Depth=1
	s_or_b64 exec, exec, s[28:29]
	s_and_b64 s[24:25], s[24:25], exec
	s_or_saveexec_b64 s[26:27], s[26:27]
	v_mov_b32_e32 v5, s35
	s_xor_b64 exec, exec, s[26:27]
	s_cbranch_execz .LBB283_68
.LBB283_327:                            ;   in Loop: Header=BB283_10 Depth=1
	v_cmp_ne_u16_e64 s[4:5], 0, v8
	s_andn2_b64 s[24:25], s[24:25], exec
	s_and_b64 s[4:5], s[4:5], exec
	v_mov_b32_e32 v5, 0
	s_or_b64 s[24:25], s[24:25], s[4:5]
	s_or_b64 exec, exec, s[26:27]
	s_and_saveexec_b64 s[26:27], s[24:25]
	s_cbranch_execnz .LBB283_69
	s_branch .LBB283_70
.LBB283_328:                            ;   in Loop: Header=BB283_10 Depth=1
	v_cmp_eq_u16_sdwa s[36:37], v0, s31 src0_sel:BYTE_0 src1_sel:DWORD
	s_mov_b64 s[4:5], -1
                                        ; implicit-def: $sgpr28
	s_and_saveexec_b64 s[26:27], s[36:37]
; %bb.329:                              ;   in Loop: Header=BB283_10 Depth=1
	s_mov_b32 s28, 0x7fc02000
	s_xor_b64 s[4:5], exec, -1
; %bb.330:                              ;   in Loop: Header=BB283_10 Depth=1
	s_or_b64 exec, exec, s[26:27]
	s_and_b64 s[4:5], s[4:5], exec
	s_or_saveexec_b64 s[24:25], s[24:25]
	v_mov_b32_e32 v15, s28
	s_xor_b64 exec, exec, s[24:25]
	s_cbranch_execz .LBB283_72
.LBB283_331:                            ;   in Loop: Header=BB283_10 Depth=1
	v_cmp_ne_u16_sdwa s[26:27], v0, v9 src0_sel:BYTE_0 src1_sel:DWORD
	s_andn2_b64 s[4:5], s[4:5], exec
	s_and_b64 s[26:27], s[26:27], exec
	v_mov_b32_e32 v15, 0
	s_or_b64 s[4:5], s[4:5], s[26:27]
	s_or_b64 exec, exec, s[24:25]
	v_and_b32_e32 v8, 0xffff, v0
	s_and_saveexec_b64 s[24:25], s[4:5]
	s_cbranch_execnz .LBB283_73
	s_branch .LBB283_74
.LBB283_332:                            ;   in Loop: Header=BB283_10 Depth=1
	v_cmp_eq_u16_e64 s[4:5], s31, v8
	s_mov_b64 s[24:25], -1
                                        ; implicit-def: $sgpr35
	s_and_saveexec_b64 s[28:29], s[4:5]
; %bb.333:                              ;   in Loop: Header=BB283_10 Depth=1
	s_mov_b32 s35, 0x7fc02000
	s_xor_b64 s[24:25], exec, -1
; %bb.334:                              ;   in Loop: Header=BB283_10 Depth=1
	s_or_b64 exec, exec, s[28:29]
	s_and_b64 s[24:25], s[24:25], exec
	s_or_saveexec_b64 s[26:27], s[26:27]
	v_mov_b32_e32 v0, s35
	s_xor_b64 exec, exec, s[26:27]
	s_cbranch_execz .LBB283_76
.LBB283_335:                            ;   in Loop: Header=BB283_10 Depth=1
	v_cmp_ne_u16_e64 s[4:5], 0, v8
	s_andn2_b64 s[24:25], s[24:25], exec
	s_and_b64 s[4:5], s[4:5], exec
	v_mov_b32_e32 v0, 0
	s_or_b64 s[24:25], s[24:25], s[4:5]
	s_or_b64 exec, exec, s[26:27]
	s_and_saveexec_b64 s[26:27], s[24:25]
	s_cbranch_execnz .LBB283_77
	s_branch .LBB283_78
.LBB283_336:                            ;   in Loop: Header=BB283_10 Depth=1
	v_cmp_eq_u16_sdwa s[36:37], v0, s31 src0_sel:BYTE_0 src1_sel:DWORD
	s_mov_b64 s[4:5], -1
                                        ; implicit-def: $sgpr28
	s_and_saveexec_b64 s[26:27], s[36:37]
; %bb.337:                              ;   in Loop: Header=BB283_10 Depth=1
	s_mov_b32 s28, 0x7fc02000
	s_xor_b64 s[4:5], exec, -1
; %bb.338:                              ;   in Loop: Header=BB283_10 Depth=1
	s_or_b64 exec, exec, s[26:27]
	s_and_b64 s[4:5], s[4:5], exec
	s_or_saveexec_b64 s[24:25], s[24:25]
	v_mov_b32_e32 v62, s28
	s_xor_b64 exec, exec, s[24:25]
	s_cbranch_execz .LBB283_80
.LBB283_339:                            ;   in Loop: Header=BB283_10 Depth=1
	v_cmp_ne_u16_sdwa s[26:27], v0, v9 src0_sel:BYTE_0 src1_sel:DWORD
	s_andn2_b64 s[4:5], s[4:5], exec
	s_and_b64 s[26:27], s[26:27], exec
	v_mov_b32_e32 v62, 0
	s_or_b64 s[4:5], s[4:5], s[26:27]
	s_or_b64 exec, exec, s[24:25]
	v_and_b32_e32 v8, 0xffff, v0
	s_and_saveexec_b64 s[24:25], s[4:5]
	s_cbranch_execnz .LBB283_81
	s_branch .LBB283_82
.LBB283_340:                            ;   in Loop: Header=BB283_10 Depth=1
	v_cmp_eq_u16_e64 s[4:5], s31, v8
	s_mov_b64 s[24:25], -1
                                        ; implicit-def: $sgpr35
	s_and_saveexec_b64 s[28:29], s[4:5]
; %bb.341:                              ;   in Loop: Header=BB283_10 Depth=1
	s_mov_b32 s35, 0x7fc02000
	s_xor_b64 s[24:25], exec, -1
; %bb.342:                              ;   in Loop: Header=BB283_10 Depth=1
	s_or_b64 exec, exec, s[28:29]
	s_and_b64 s[24:25], s[24:25], exec
	s_or_saveexec_b64 s[26:27], s[26:27]
	v_mov_b32_e32 v0, s35
	s_xor_b64 exec, exec, s[26:27]
	s_cbranch_execz .LBB283_84
.LBB283_343:                            ;   in Loop: Header=BB283_10 Depth=1
	v_cmp_ne_u16_e64 s[4:5], 0, v8
	s_andn2_b64 s[24:25], s[24:25], exec
	s_and_b64 s[4:5], s[4:5], exec
	v_mov_b32_e32 v0, 0
	s_or_b64 s[24:25], s[24:25], s[4:5]
	s_or_b64 exec, exec, s[26:27]
	s_and_saveexec_b64 s[26:27], s[24:25]
	s_cbranch_execnz .LBB283_85
	s_branch .LBB283_86
.LBB283_344:                            ;   in Loop: Header=BB283_10 Depth=1
	v_cmp_eq_u16_sdwa s[36:37], v0, s31 src0_sel:BYTE_0 src1_sel:DWORD
	s_mov_b64 s[4:5], -1
                                        ; implicit-def: $sgpr28
	s_and_saveexec_b64 s[26:27], s[36:37]
; %bb.345:                              ;   in Loop: Header=BB283_10 Depth=1
	s_mov_b32 s28, 0x7fc02000
	s_xor_b64 s[4:5], exec, -1
; %bb.346:                              ;   in Loop: Header=BB283_10 Depth=1
	s_or_b64 exec, exec, s[26:27]
	s_and_b64 s[4:5], s[4:5], exec
	s_or_saveexec_b64 s[24:25], s[24:25]
	v_mov_b32_e32 v16, s28
	s_xor_b64 exec, exec, s[24:25]
	s_cbranch_execz .LBB283_88
.LBB283_347:                            ;   in Loop: Header=BB283_10 Depth=1
	v_cmp_ne_u16_sdwa s[26:27], v0, v9 src0_sel:BYTE_0 src1_sel:DWORD
	s_andn2_b64 s[4:5], s[4:5], exec
	s_and_b64 s[26:27], s[26:27], exec
	v_mov_b32_e32 v16, 0
	s_or_b64 s[4:5], s[4:5], s[26:27]
	s_or_b64 exec, exec, s[24:25]
	v_and_b32_e32 v8, 0xffff, v0
	s_and_saveexec_b64 s[24:25], s[4:5]
	s_cbranch_execnz .LBB283_89
	s_branch .LBB283_90
.LBB283_348:                            ;   in Loop: Header=BB283_10 Depth=1
	v_cmp_eq_u16_e64 s[4:5], s31, v8
	s_mov_b64 s[24:25], -1
                                        ; implicit-def: $sgpr35
	s_and_saveexec_b64 s[28:29], s[4:5]
; %bb.349:                              ;   in Loop: Header=BB283_10 Depth=1
	s_mov_b32 s35, 0x7fc02000
	s_xor_b64 s[24:25], exec, -1
; %bb.350:                              ;   in Loop: Header=BB283_10 Depth=1
	s_or_b64 exec, exec, s[28:29]
	s_and_b64 s[24:25], s[24:25], exec
	s_or_saveexec_b64 s[26:27], s[26:27]
	v_mov_b32_e32 v0, s35
	s_xor_b64 exec, exec, s[26:27]
	s_cbranch_execz .LBB283_92
.LBB283_351:                            ;   in Loop: Header=BB283_10 Depth=1
	v_cmp_ne_u16_e64 s[4:5], 0, v8
	s_andn2_b64 s[24:25], s[24:25], exec
	s_and_b64 s[4:5], s[4:5], exec
	v_mov_b32_e32 v0, 0
	s_or_b64 s[24:25], s[24:25], s[4:5]
	s_or_b64 exec, exec, s[26:27]
	s_and_saveexec_b64 s[26:27], s[24:25]
	s_cbranch_execnz .LBB283_93
	s_branch .LBB283_94
.LBB283_352:                            ;   in Loop: Header=BB283_10 Depth=1
	v_cmp_eq_u16_sdwa s[36:37], v0, s31 src0_sel:BYTE_0 src1_sel:DWORD
	s_mov_b64 s[4:5], -1
                                        ; implicit-def: $sgpr28
	s_and_saveexec_b64 s[26:27], s[36:37]
; %bb.353:                              ;   in Loop: Header=BB283_10 Depth=1
	s_mov_b32 s28, 0x7fc02000
	s_xor_b64 s[4:5], exec, -1
; %bb.354:                              ;   in Loop: Header=BB283_10 Depth=1
	s_or_b64 exec, exec, s[26:27]
	s_and_b64 s[4:5], s[4:5], exec
	s_or_saveexec_b64 s[24:25], s[24:25]
	v_mov_b32_e32 v32, s28
	s_xor_b64 exec, exec, s[24:25]
	s_cbranch_execz .LBB283_96
.LBB283_355:                            ;   in Loop: Header=BB283_10 Depth=1
	v_cmp_ne_u16_sdwa s[26:27], v0, v9 src0_sel:BYTE_0 src1_sel:DWORD
	s_andn2_b64 s[4:5], s[4:5], exec
	s_and_b64 s[26:27], s[26:27], exec
	v_mov_b32_e32 v32, 0
	s_or_b64 s[4:5], s[4:5], s[26:27]
	s_or_b64 exec, exec, s[24:25]
	v_and_b32_e32 v8, 0xffff, v0
	s_and_saveexec_b64 s[24:25], s[4:5]
	s_cbranch_execnz .LBB283_97
	s_branch .LBB283_98
.LBB283_356:                            ;   in Loop: Header=BB283_10 Depth=1
	v_cmp_eq_u16_e64 s[4:5], s31, v8
	s_mov_b64 s[24:25], -1
                                        ; implicit-def: $sgpr35
	s_and_saveexec_b64 s[28:29], s[4:5]
; %bb.357:                              ;   in Loop: Header=BB283_10 Depth=1
	s_mov_b32 s35, 0x7fc02000
	s_xor_b64 s[24:25], exec, -1
; %bb.358:                              ;   in Loop: Header=BB283_10 Depth=1
	s_or_b64 exec, exec, s[28:29]
	s_and_b64 s[24:25], s[24:25], exec
	s_or_saveexec_b64 s[26:27], s[26:27]
	v_mov_b32_e32 v0, s35
	s_xor_b64 exec, exec, s[26:27]
	s_cbranch_execz .LBB283_100
.LBB283_359:                            ;   in Loop: Header=BB283_10 Depth=1
	v_cmp_ne_u16_e64 s[4:5], 0, v8
	s_andn2_b64 s[24:25], s[24:25], exec
	s_and_b64 s[4:5], s[4:5], exec
	v_mov_b32_e32 v0, 0
	s_or_b64 s[24:25], s[24:25], s[4:5]
	s_or_b64 exec, exec, s[26:27]
	s_and_saveexec_b64 s[26:27], s[24:25]
	s_cbranch_execnz .LBB283_101
	s_branch .LBB283_102
.LBB283_360:                            ;   in Loop: Header=BB283_10 Depth=1
	v_cmp_eq_u16_sdwa s[36:37], v0, s31 src0_sel:BYTE_0 src1_sel:DWORD
	s_mov_b64 s[4:5], -1
                                        ; implicit-def: $sgpr28
	s_and_saveexec_b64 s[26:27], s[36:37]
; %bb.361:                              ;   in Loop: Header=BB283_10 Depth=1
	s_mov_b32 s28, 0x7fc02000
	s_xor_b64 s[4:5], exec, -1
; %bb.362:                              ;   in Loop: Header=BB283_10 Depth=1
	s_or_b64 exec, exec, s[26:27]
	s_and_b64 s[4:5], s[4:5], exec
	s_or_saveexec_b64 s[24:25], s[24:25]
	v_mov_b32_e32 v33, s28
	s_xor_b64 exec, exec, s[24:25]
	s_cbranch_execz .LBB283_104
.LBB283_363:                            ;   in Loop: Header=BB283_10 Depth=1
	v_cmp_ne_u16_sdwa s[26:27], v0, v9 src0_sel:BYTE_0 src1_sel:DWORD
	s_andn2_b64 s[4:5], s[4:5], exec
	s_and_b64 s[26:27], s[26:27], exec
	v_mov_b32_e32 v33, 0
	s_or_b64 s[4:5], s[4:5], s[26:27]
	s_or_b64 exec, exec, s[24:25]
	v_and_b32_e32 v8, 0xffff, v0
	s_and_saveexec_b64 s[24:25], s[4:5]
	s_cbranch_execnz .LBB283_105
	s_branch .LBB283_106
.LBB283_364:                            ;   in Loop: Header=BB283_10 Depth=1
	v_cmp_eq_u16_e64 s[4:5], s31, v8
	s_mov_b64 s[24:25], -1
                                        ; implicit-def: $sgpr35
	s_and_saveexec_b64 s[28:29], s[4:5]
; %bb.365:                              ;   in Loop: Header=BB283_10 Depth=1
	s_mov_b32 s35, 0x7fc02000
	s_xor_b64 s[24:25], exec, -1
; %bb.366:                              ;   in Loop: Header=BB283_10 Depth=1
	s_or_b64 exec, exec, s[28:29]
	s_and_b64 s[24:25], s[24:25], exec
	s_or_saveexec_b64 s[26:27], s[26:27]
	v_mov_b32_e32 v0, s35
	s_xor_b64 exec, exec, s[26:27]
	s_cbranch_execz .LBB283_108
.LBB283_367:                            ;   in Loop: Header=BB283_10 Depth=1
	v_cmp_ne_u16_e64 s[4:5], 0, v8
	s_andn2_b64 s[24:25], s[24:25], exec
	s_and_b64 s[4:5], s[4:5], exec
	v_mov_b32_e32 v0, 0
	s_or_b64 s[24:25], s[24:25], s[4:5]
	s_or_b64 exec, exec, s[26:27]
	s_and_saveexec_b64 s[26:27], s[24:25]
	s_cbranch_execnz .LBB283_109
	s_branch .LBB283_110
.LBB283_368:                            ;   in Loop: Header=BB283_10 Depth=1
	v_cmp_eq_u16_sdwa s[36:37], v0, s31 src0_sel:BYTE_0 src1_sel:DWORD
	s_mov_b64 s[4:5], -1
                                        ; implicit-def: $sgpr28
	s_and_saveexec_b64 s[26:27], s[36:37]
; %bb.369:                              ;   in Loop: Header=BB283_10 Depth=1
	s_mov_b32 s28, 0x7fc02000
	s_xor_b64 s[4:5], exec, -1
; %bb.370:                              ;   in Loop: Header=BB283_10 Depth=1
	s_or_b64 exec, exec, s[26:27]
	s_and_b64 s[4:5], s[4:5], exec
	s_or_saveexec_b64 s[24:25], s[24:25]
	v_mov_b32_e32 v4, s28
	s_xor_b64 exec, exec, s[24:25]
	s_cbranch_execz .LBB283_112
.LBB283_371:                            ;   in Loop: Header=BB283_10 Depth=1
	v_cmp_ne_u16_sdwa s[26:27], v0, v9 src0_sel:BYTE_0 src1_sel:DWORD
	s_andn2_b64 s[4:5], s[4:5], exec
	s_and_b64 s[26:27], s[26:27], exec
	v_mov_b32_e32 v4, 0
	s_or_b64 s[4:5], s[4:5], s[26:27]
	s_or_b64 exec, exec, s[24:25]
	v_and_b32_e32 v8, 0xffff, v0
	s_and_saveexec_b64 s[24:25], s[4:5]
	s_cbranch_execnz .LBB283_113
	s_branch .LBB283_114
.LBB283_372:                            ;   in Loop: Header=BB283_10 Depth=1
	v_cmp_eq_u16_e64 s[4:5], s31, v8
	s_mov_b64 s[24:25], -1
                                        ; implicit-def: $sgpr35
	s_and_saveexec_b64 s[28:29], s[4:5]
; %bb.373:                              ;   in Loop: Header=BB283_10 Depth=1
	s_mov_b32 s35, 0x7fc02000
	s_xor_b64 s[24:25], exec, -1
; %bb.374:                              ;   in Loop: Header=BB283_10 Depth=1
	s_or_b64 exec, exec, s[28:29]
	s_and_b64 s[24:25], s[24:25], exec
	s_or_saveexec_b64 s[26:27], s[26:27]
	v_mov_b32_e32 v50, s35
	s_xor_b64 exec, exec, s[26:27]
	s_cbranch_execz .LBB283_116
.LBB283_375:                            ;   in Loop: Header=BB283_10 Depth=1
	v_cmp_ne_u16_e64 s[4:5], 0, v8
	s_andn2_b64 s[24:25], s[24:25], exec
	s_and_b64 s[4:5], s[4:5], exec
	v_mov_b32_e32 v50, 0
	s_or_b64 s[24:25], s[24:25], s[4:5]
	s_or_b64 exec, exec, s[26:27]
	s_and_saveexec_b64 s[26:27], s[24:25]
	s_cbranch_execnz .LBB283_117
	s_branch .LBB283_118
.LBB283_376:                            ;   in Loop: Header=BB283_10 Depth=1
	v_cmp_eq_u16_sdwa s[36:37], v0, s31 src0_sel:BYTE_0 src1_sel:DWORD
	s_mov_b64 s[4:5], -1
                                        ; implicit-def: $sgpr28
	s_and_saveexec_b64 s[26:27], s[36:37]
; %bb.377:                              ;   in Loop: Header=BB283_10 Depth=1
	s_mov_b32 s28, 0x7fc02000
	s_xor_b64 s[4:5], exec, -1
; %bb.378:                              ;   in Loop: Header=BB283_10 Depth=1
	s_or_b64 exec, exec, s[26:27]
	s_and_b64 s[4:5], s[4:5], exec
	s_or_saveexec_b64 s[24:25], s[24:25]
	v_mov_b32_e32 v51, s28
	s_xor_b64 exec, exec, s[24:25]
	s_cbranch_execz .LBB283_120
.LBB283_379:                            ;   in Loop: Header=BB283_10 Depth=1
	v_cmp_ne_u16_sdwa s[26:27], v0, v9 src0_sel:BYTE_0 src1_sel:DWORD
	s_andn2_b64 s[4:5], s[4:5], exec
	s_and_b64 s[26:27], s[26:27], exec
	v_mov_b32_e32 v51, 0
	s_or_b64 s[4:5], s[4:5], s[26:27]
	s_or_b64 exec, exec, s[24:25]
	v_and_b32_e32 v8, 0xffff, v0
	s_and_saveexec_b64 s[24:25], s[4:5]
	s_cbranch_execnz .LBB283_121
	s_branch .LBB283_122
.LBB283_380:                            ;   in Loop: Header=BB283_10 Depth=1
	v_cmp_eq_u16_e64 s[4:5], s31, v8
	s_mov_b64 s[24:25], -1
                                        ; implicit-def: $sgpr35
	s_and_saveexec_b64 s[28:29], s[4:5]
; %bb.381:                              ;   in Loop: Header=BB283_10 Depth=1
	s_mov_b32 s35, 0x7fc02000
	s_xor_b64 s[24:25], exec, -1
; %bb.382:                              ;   in Loop: Header=BB283_10 Depth=1
	s_or_b64 exec, exec, s[28:29]
	s_and_b64 s[24:25], s[24:25], exec
	s_or_saveexec_b64 s[26:27], s[26:27]
	v_mov_b32_e32 v12, s35
	s_xor_b64 exec, exec, s[26:27]
	s_cbranch_execz .LBB283_124
.LBB283_383:                            ;   in Loop: Header=BB283_10 Depth=1
	v_cmp_ne_u16_e64 s[4:5], 0, v8
	s_andn2_b64 s[24:25], s[24:25], exec
	s_and_b64 s[4:5], s[4:5], exec
	v_mov_b32_e32 v12, 0
	s_or_b64 s[24:25], s[24:25], s[4:5]
	s_or_b64 exec, exec, s[26:27]
	s_and_saveexec_b64 s[26:27], s[24:25]
	s_cbranch_execnz .LBB283_125
	s_branch .LBB283_126
.LBB283_384:                            ;   in Loop: Header=BB283_10 Depth=1
	v_cmp_eq_u16_sdwa s[36:37], v0, s31 src0_sel:BYTE_0 src1_sel:DWORD
	s_mov_b64 s[4:5], -1
                                        ; implicit-def: $sgpr28
	s_and_saveexec_b64 s[26:27], s[36:37]
; %bb.385:                              ;   in Loop: Header=BB283_10 Depth=1
	s_mov_b32 s28, 0x7fc02000
	s_xor_b64 s[4:5], exec, -1
; %bb.386:                              ;   in Loop: Header=BB283_10 Depth=1
	s_or_b64 exec, exec, s[26:27]
	s_and_b64 s[4:5], s[4:5], exec
	s_or_saveexec_b64 s[24:25], s[24:25]
	v_mov_b32_e32 v11, s28
	s_xor_b64 exec, exec, s[24:25]
	s_cbranch_execz .LBB283_128
.LBB283_387:                            ;   in Loop: Header=BB283_10 Depth=1
	v_cmp_ne_u16_sdwa s[26:27], v0, v9 src0_sel:BYTE_0 src1_sel:DWORD
	s_andn2_b64 s[4:5], s[4:5], exec
	s_and_b64 s[26:27], s[26:27], exec
	v_mov_b32_e32 v11, 0
	s_or_b64 s[4:5], s[4:5], s[26:27]
	s_or_b64 exec, exec, s[24:25]
	v_and_b32_e32 v8, 0xffff, v0
	s_and_saveexec_b64 s[24:25], s[4:5]
	s_cbranch_execnz .LBB283_129
	s_branch .LBB283_130
.LBB283_388:                            ;   in Loop: Header=BB283_10 Depth=1
	v_cmp_eq_u16_e64 s[4:5], s31, v8
	s_mov_b64 s[24:25], -1
                                        ; implicit-def: $sgpr35
	s_and_saveexec_b64 s[28:29], s[4:5]
; %bb.389:                              ;   in Loop: Header=BB283_10 Depth=1
	s_mov_b32 s35, 0x7fc02000
	s_xor_b64 s[24:25], exec, -1
; %bb.390:                              ;   in Loop: Header=BB283_10 Depth=1
	s_or_b64 exec, exec, s[28:29]
	s_and_b64 s[24:25], s[24:25], exec
	s_or_saveexec_b64 s[26:27], s[26:27]
	v_mov_b32_e32 v10, s35
	s_xor_b64 exec, exec, s[26:27]
	s_cbranch_execz .LBB283_132
.LBB283_391:                            ;   in Loop: Header=BB283_10 Depth=1
	v_cmp_ne_u16_e64 s[4:5], 0, v8
	s_andn2_b64 s[24:25], s[24:25], exec
	s_and_b64 s[4:5], s[4:5], exec
	v_mov_b32_e32 v10, 0
	s_or_b64 s[24:25], s[24:25], s[4:5]
	s_or_b64 exec, exec, s[26:27]
	s_and_saveexec_b64 s[26:27], s[24:25]
	s_cbranch_execnz .LBB283_133
	s_branch .LBB283_134
.LBB283_392:                            ;   in Loop: Header=BB283_10 Depth=1
	v_cmp_eq_u16_sdwa s[36:37], v0, s31 src0_sel:BYTE_0 src1_sel:DWORD
	s_mov_b64 s[4:5], -1
                                        ; implicit-def: $sgpr28
	s_and_saveexec_b64 s[26:27], s[36:37]
; %bb.393:                              ;   in Loop: Header=BB283_10 Depth=1
	s_mov_b32 s28, 0x7fc02000
	s_xor_b64 s[4:5], exec, -1
; %bb.394:                              ;   in Loop: Header=BB283_10 Depth=1
	s_or_b64 exec, exec, s[26:27]
	s_and_b64 s[4:5], s[4:5], exec
	s_or_saveexec_b64 s[24:25], s[24:25]
	v_mov_b32_e32 v1, s28
	s_xor_b64 exec, exec, s[24:25]
	s_cbranch_execz .LBB283_136
.LBB283_395:                            ;   in Loop: Header=BB283_10 Depth=1
	v_cmp_ne_u16_sdwa s[26:27], v0, v9 src0_sel:BYTE_0 src1_sel:DWORD
	s_andn2_b64 s[4:5], s[4:5], exec
	s_and_b64 s[26:27], s[26:27], exec
	v_mov_b32_e32 v1, 0
	s_or_b64 s[4:5], s[4:5], s[26:27]
	s_or_b64 exec, exec, s[24:25]
	v_and_b32_e32 v8, 0xffff, v0
	s_and_saveexec_b64 s[24:25], s[4:5]
	s_cbranch_execnz .LBB283_137
	s_branch .LBB283_138
.LBB283_396:                            ;   in Loop: Header=BB283_10 Depth=1
	v_cmp_eq_u16_e64 s[4:5], s31, v8
	s_mov_b64 s[24:25], -1
                                        ; implicit-def: $sgpr35
	s_and_saveexec_b64 s[28:29], s[4:5]
; %bb.397:                              ;   in Loop: Header=BB283_10 Depth=1
	s_mov_b32 s35, 0x7fc02000
	s_xor_b64 s[24:25], exec, -1
; %bb.398:                              ;   in Loop: Header=BB283_10 Depth=1
	s_or_b64 exec, exec, s[28:29]
	s_and_b64 s[24:25], s[24:25], exec
	s_or_saveexec_b64 s[26:27], s[26:27]
	v_mov_b32_e32 v0, s35
	s_xor_b64 exec, exec, s[26:27]
	s_cbranch_execz .LBB283_140
.LBB283_399:                            ;   in Loop: Header=BB283_10 Depth=1
	v_cmp_ne_u16_e64 s[4:5], 0, v8
	s_andn2_b64 s[24:25], s[24:25], exec
	s_and_b64 s[4:5], s[4:5], exec
	v_mov_b32_e32 v0, 0
	s_or_b64 s[24:25], s[24:25], s[4:5]
	s_or_b64 exec, exec, s[26:27]
	v_accvgpr_write_b32 a48, v1
	s_and_saveexec_b64 s[26:27], s[24:25]
	s_cbranch_execnz .LBB283_141
	s_branch .LBB283_142
.LBB283_400:                            ;   in Loop: Header=BB283_10 Depth=1
	v_cmp_eq_u16_sdwa s[36:37], v2, s31 src0_sel:BYTE_0 src1_sel:DWORD
	s_mov_b64 s[4:5], -1
                                        ; implicit-def: $sgpr28
	s_and_saveexec_b64 s[26:27], s[36:37]
; %bb.401:                              ;   in Loop: Header=BB283_10 Depth=1
	s_mov_b32 s28, 0x7fc02000
	s_xor_b64 s[4:5], exec, -1
; %bb.402:                              ;   in Loop: Header=BB283_10 Depth=1
	s_or_b64 exec, exec, s[26:27]
	s_and_b64 s[4:5], s[4:5], exec
	s_or_saveexec_b64 s[24:25], s[24:25]
	v_mov_b32_e32 v3, s28
	s_xor_b64 exec, exec, s[24:25]
	s_cbranch_execz .LBB283_144
.LBB283_403:                            ;   in Loop: Header=BB283_10 Depth=1
	v_cmp_ne_u16_sdwa s[26:27], v2, v9 src0_sel:BYTE_0 src1_sel:DWORD
	s_andn2_b64 s[4:5], s[4:5], exec
	s_and_b64 s[26:27], s[26:27], exec
	v_mov_b32_e32 v3, 0
	s_or_b64 s[4:5], s[4:5], s[26:27]
	s_or_b64 exec, exec, s[24:25]
	v_and_b32_e32 v8, 0xffff, v2
	s_and_saveexec_b64 s[24:25], s[4:5]
	s_cbranch_execnz .LBB283_145
	s_branch .LBB283_146
.LBB283_404:                            ;   in Loop: Header=BB283_10 Depth=1
	v_cmp_eq_u16_e64 s[4:5], s31, v8
	s_mov_b64 s[24:25], -1
                                        ; implicit-def: $sgpr35
	s_and_saveexec_b64 s[28:29], s[4:5]
; %bb.405:                              ;   in Loop: Header=BB283_10 Depth=1
	s_mov_b32 s35, 0x7fc02000
	s_xor_b64 s[24:25], exec, -1
; %bb.406:                              ;   in Loop: Header=BB283_10 Depth=1
	s_or_b64 exec, exec, s[28:29]
	s_and_b64 s[24:25], s[24:25], exec
	s_or_saveexec_b64 s[26:27], s[26:27]
	v_mov_b32_e32 v1, s35
	s_xor_b64 exec, exec, s[26:27]
	s_cbranch_execz .LBB283_148
.LBB283_407:                            ;   in Loop: Header=BB283_10 Depth=1
	v_cmp_ne_u16_e64 s[4:5], 0, v8
	s_andn2_b64 s[24:25], s[24:25], exec
	s_and_b64 s[4:5], s[4:5], exec
	v_mov_b32_e32 v1, 0
	s_or_b64 s[24:25], s[24:25], s[4:5]
	s_or_b64 exec, exec, s[26:27]
	s_and_saveexec_b64 s[26:27], s[24:25]
	s_cbranch_execnz .LBB283_149
	s_branch .LBB283_150
.LBB283_408:                            ;   in Loop: Header=BB283_10 Depth=1
	v_cmp_eq_u16_sdwa s[36:37], v6, s31 src0_sel:BYTE_0 src1_sel:DWORD
	s_mov_b64 s[4:5], -1
                                        ; implicit-def: $sgpr28
	s_and_saveexec_b64 s[26:27], s[36:37]
; %bb.409:                              ;   in Loop: Header=BB283_10 Depth=1
	s_mov_b32 s28, 0x7fc02000
	s_xor_b64 s[4:5], exec, -1
; %bb.410:                              ;   in Loop: Header=BB283_10 Depth=1
	s_or_b64 exec, exec, s[26:27]
	s_and_b64 s[4:5], s[4:5], exec
	s_or_saveexec_b64 s[24:25], s[24:25]
	v_mov_b32_e32 v1, s28
	s_xor_b64 exec, exec, s[24:25]
	s_cbranch_execz .LBB283_152
.LBB283_411:                            ;   in Loop: Header=BB283_10 Depth=1
	v_cmp_ne_u16_sdwa s[26:27], v6, v9 src0_sel:BYTE_0 src1_sel:DWORD
	s_andn2_b64 s[4:5], s[4:5], exec
	s_and_b64 s[26:27], s[26:27], exec
	v_mov_b32_e32 v1, 0
	s_or_b64 s[4:5], s[4:5], s[26:27]
	s_or_b64 exec, exec, s[24:25]
	v_and_b32_e32 v8, 0xffff, v6
	s_and_saveexec_b64 s[24:25], s[4:5]
	s_cbranch_execnz .LBB283_153
	s_branch .LBB283_154
.LBB283_412:                            ;   in Loop: Header=BB283_10 Depth=1
	v_cmp_eq_u16_e64 s[4:5], s31, v8
	s_mov_b64 s[24:25], -1
                                        ; implicit-def: $sgpr35
	s_and_saveexec_b64 s[28:29], s[4:5]
; %bb.413:                              ;   in Loop: Header=BB283_10 Depth=1
	s_mov_b32 s35, 0x7fc02000
	s_xor_b64 s[24:25], exec, -1
; %bb.414:                              ;   in Loop: Header=BB283_10 Depth=1
	s_or_b64 exec, exec, s[28:29]
	s_and_b64 s[24:25], s[24:25], exec
	s_or_saveexec_b64 s[26:27], s[26:27]
	v_mov_b32_e32 v2, s35
	s_xor_b64 exec, exec, s[26:27]
	s_cbranch_execz .LBB283_156
.LBB283_415:                            ;   in Loop: Header=BB283_10 Depth=1
	v_cmp_ne_u16_e64 s[4:5], 0, v8
	s_andn2_b64 s[24:25], s[24:25], exec
	s_and_b64 s[4:5], s[4:5], exec
	v_mov_b32_e32 v2, 0
	s_or_b64 s[24:25], s[24:25], s[4:5]
	s_or_b64 exec, exec, s[26:27]
	s_and_saveexec_b64 s[26:27], s[24:25]
	s_cbranch_execnz .LBB283_157
	s_branch .LBB283_158
.LBB283_416:                            ;   in Loop: Header=BB283_10 Depth=1
	v_cmp_eq_u16_sdwa s[36:37], v6, s31 src0_sel:BYTE_0 src1_sel:DWORD
	s_mov_b64 s[4:5], -1
                                        ; implicit-def: $sgpr28
	s_and_saveexec_b64 s[26:27], s[36:37]
; %bb.417:                              ;   in Loop: Header=BB283_10 Depth=1
	s_mov_b32 s28, 0x7fc02000
	s_xor_b64 s[4:5], exec, -1
; %bb.418:                              ;   in Loop: Header=BB283_10 Depth=1
	s_or_b64 exec, exec, s[26:27]
	s_and_b64 s[4:5], s[4:5], exec
	s_or_saveexec_b64 s[24:25], s[24:25]
	v_mov_b32_e32 v2, s28
	s_xor_b64 exec, exec, s[24:25]
	s_cbranch_execz .LBB283_160
.LBB283_419:                            ;   in Loop: Header=BB283_10 Depth=1
	v_cmp_ne_u16_sdwa s[26:27], v6, v9 src0_sel:BYTE_0 src1_sel:DWORD
	s_andn2_b64 s[4:5], s[4:5], exec
	s_and_b64 s[26:27], s[26:27], exec
	v_mov_b32_e32 v2, 0
	s_or_b64 s[4:5], s[4:5], s[26:27]
	s_or_b64 exec, exec, s[24:25]
	v_and_b32_e32 v8, 0xffff, v6
	s_and_saveexec_b64 s[24:25], s[4:5]
	s_cbranch_execnz .LBB283_161
	s_branch .LBB283_162
.LBB283_420:                            ;   in Loop: Header=BB283_10 Depth=1
	v_cmp_eq_u16_e64 s[4:5], s31, v8
	s_mov_b64 s[24:25], -1
                                        ; implicit-def: $sgpr35
	s_and_saveexec_b64 s[28:29], s[4:5]
; %bb.421:                              ;   in Loop: Header=BB283_10 Depth=1
	s_mov_b32 s35, 0x7fc02000
	s_xor_b64 s[24:25], exec, -1
; %bb.422:                              ;   in Loop: Header=BB283_10 Depth=1
	s_or_b64 exec, exec, s[28:29]
	s_and_b64 s[24:25], s[24:25], exec
	s_or_saveexec_b64 s[26:27], s[26:27]
	v_mov_b32_e32 v28, s35
	s_xor_b64 exec, exec, s[26:27]
	s_cbranch_execz .LBB283_164
.LBB283_423:                            ;   in Loop: Header=BB283_10 Depth=1
	v_cmp_ne_u16_e64 s[4:5], 0, v8
	s_andn2_b64 s[24:25], s[24:25], exec
	s_and_b64 s[4:5], s[4:5], exec
	v_mov_b32_e32 v28, 0
	s_or_b64 s[24:25], s[24:25], s[4:5]
	s_or_b64 exec, exec, s[26:27]
	s_and_saveexec_b64 s[26:27], s[24:25]
	s_cbranch_execnz .LBB283_165
	s_branch .LBB283_166
.LBB283_424:                            ;   in Loop: Header=BB283_10 Depth=1
	v_cmp_eq_u16_sdwa s[36:37], v6, s31 src0_sel:BYTE_0 src1_sel:DWORD
	s_mov_b64 s[4:5], -1
                                        ; implicit-def: $sgpr28
	s_and_saveexec_b64 s[26:27], s[36:37]
; %bb.425:                              ;   in Loop: Header=BB283_10 Depth=1
	s_mov_b32 s28, 0x7fc02000
	s_xor_b64 s[4:5], exec, -1
; %bb.426:                              ;   in Loop: Header=BB283_10 Depth=1
	s_or_b64 exec, exec, s[26:27]
	s_and_b64 s[4:5], s[4:5], exec
	s_or_saveexec_b64 s[24:25], s[24:25]
	v_mov_b32_e32 v29, s28
	s_xor_b64 exec, exec, s[24:25]
	s_cbranch_execz .LBB283_168
.LBB283_427:                            ;   in Loop: Header=BB283_10 Depth=1
	v_cmp_ne_u16_sdwa s[26:27], v6, v9 src0_sel:BYTE_0 src1_sel:DWORD
	s_andn2_b64 s[4:5], s[4:5], exec
	s_and_b64 s[26:27], s[26:27], exec
	v_mov_b32_e32 v29, 0
	s_or_b64 s[4:5], s[4:5], s[26:27]
	s_or_b64 exec, exec, s[24:25]
	v_and_b32_e32 v8, 0xffff, v6
	s_and_saveexec_b64 s[24:25], s[4:5]
	s_cbranch_execnz .LBB283_169
	s_branch .LBB283_170
.LBB283_428:                            ;   in Loop: Header=BB283_10 Depth=1
	v_cmp_eq_u16_e64 s[4:5], s31, v8
	s_mov_b64 s[24:25], -1
                                        ; implicit-def: $sgpr35
	s_and_saveexec_b64 s[28:29], s[4:5]
; %bb.429:                              ;   in Loop: Header=BB283_10 Depth=1
	s_mov_b32 s35, 0x7fc02000
	s_xor_b64 s[24:25], exec, -1
; %bb.430:                              ;   in Loop: Header=BB283_10 Depth=1
	s_or_b64 exec, exec, s[28:29]
	s_and_b64 s[24:25], s[24:25], exec
	s_or_saveexec_b64 s[26:27], s[26:27]
	v_mov_b32_e32 v30, s35
	s_xor_b64 exec, exec, s[26:27]
	s_cbranch_execz .LBB283_172
.LBB283_431:                            ;   in Loop: Header=BB283_10 Depth=1
	v_cmp_ne_u16_e64 s[4:5], 0, v8
	s_andn2_b64 s[24:25], s[24:25], exec
	s_and_b64 s[4:5], s[4:5], exec
	v_mov_b32_e32 v30, 0
	s_or_b64 s[24:25], s[24:25], s[4:5]
	s_or_b64 exec, exec, s[26:27]
	s_and_saveexec_b64 s[26:27], s[24:25]
	s_cbranch_execnz .LBB283_173
	s_branch .LBB283_174
.LBB283_432:                            ;   in Loop: Header=BB283_10 Depth=1
	v_cmp_eq_u16_sdwa s[36:37], v6, s31 src0_sel:BYTE_0 src1_sel:DWORD
	s_mov_b64 s[4:5], -1
                                        ; implicit-def: $sgpr28
	s_and_saveexec_b64 s[26:27], s[36:37]
; %bb.433:                              ;   in Loop: Header=BB283_10 Depth=1
	s_mov_b32 s28, 0x7fc02000
	s_xor_b64 s[4:5], exec, -1
; %bb.434:                              ;   in Loop: Header=BB283_10 Depth=1
	s_or_b64 exec, exec, s[26:27]
	s_and_b64 s[4:5], s[4:5], exec
	s_or_saveexec_b64 s[24:25], s[24:25]
	v_mov_b32_e32 v31, s28
	s_xor_b64 exec, exec, s[24:25]
	s_cbranch_execz .LBB283_176
.LBB283_435:                            ;   in Loop: Header=BB283_10 Depth=1
	v_cmp_ne_u16_sdwa s[26:27], v6, v9 src0_sel:BYTE_0 src1_sel:DWORD
	s_andn2_b64 s[4:5], s[4:5], exec
	s_and_b64 s[26:27], s[26:27], exec
	v_mov_b32_e32 v31, 0
	s_or_b64 s[4:5], s[4:5], s[26:27]
	s_or_b64 exec, exec, s[24:25]
	v_and_b32_e32 v8, 0xffff, v6
	s_and_saveexec_b64 s[24:25], s[4:5]
	s_cbranch_execnz .LBB283_177
	s_branch .LBB283_178
.LBB283_436:                            ;   in Loop: Header=BB283_10 Depth=1
	v_cmp_eq_u16_e64 s[4:5], s31, v8
	s_mov_b64 s[24:25], -1
                                        ; implicit-def: $sgpr35
	s_and_saveexec_b64 s[28:29], s[4:5]
; %bb.437:                              ;   in Loop: Header=BB283_10 Depth=1
	s_mov_b32 s35, 0x7fc02000
	s_xor_b64 s[24:25], exec, -1
; %bb.438:                              ;   in Loop: Header=BB283_10 Depth=1
	s_or_b64 exec, exec, s[28:29]
	s_and_b64 s[24:25], s[24:25], exec
	s_or_saveexec_b64 s[26:27], s[26:27]
	v_mov_b32_e32 v49, s35
	s_xor_b64 exec, exec, s[26:27]
	s_cbranch_execz .LBB283_180
.LBB283_439:                            ;   in Loop: Header=BB283_10 Depth=1
	v_cmp_ne_u16_e64 s[4:5], 0, v8
	s_andn2_b64 s[24:25], s[24:25], exec
	s_and_b64 s[4:5], s[4:5], exec
	v_mov_b32_e32 v49, 0
	s_or_b64 s[24:25], s[24:25], s[4:5]
	s_or_b64 exec, exec, s[26:27]
	s_and_saveexec_b64 s[26:27], s[24:25]
	s_cbranch_execnz .LBB283_181
	s_branch .LBB283_182
.LBB283_440:                            ;   in Loop: Header=BB283_10 Depth=1
	v_cmp_eq_u16_sdwa s[36:37], v6, s31 src0_sel:BYTE_0 src1_sel:DWORD
	s_mov_b64 s[4:5], -1
                                        ; implicit-def: $sgpr28
	s_and_saveexec_b64 s[26:27], s[36:37]
; %bb.441:                              ;   in Loop: Header=BB283_10 Depth=1
	s_mov_b32 s28, 0x7fc02000
	s_xor_b64 s[4:5], exec, -1
; %bb.442:                              ;   in Loop: Header=BB283_10 Depth=1
	s_or_b64 exec, exec, s[26:27]
	s_and_b64 s[4:5], s[4:5], exec
	s_or_saveexec_b64 s[24:25], s[24:25]
	v_mov_b32_e32 v22, s28
	s_xor_b64 exec, exec, s[24:25]
	s_cbranch_execz .LBB283_184
.LBB283_443:                            ;   in Loop: Header=BB283_10 Depth=1
	v_cmp_ne_u16_sdwa s[26:27], v6, v9 src0_sel:BYTE_0 src1_sel:DWORD
	s_andn2_b64 s[4:5], s[4:5], exec
	s_and_b64 s[26:27], s[26:27], exec
	v_mov_b32_e32 v22, 0
	s_or_b64 s[4:5], s[4:5], s[26:27]
	s_or_b64 exec, exec, s[24:25]
	v_and_b32_e32 v8, 0xffff, v6
	s_and_saveexec_b64 s[24:25], s[4:5]
	s_cbranch_execnz .LBB283_185
	s_branch .LBB283_186
.LBB283_444:                            ;   in Loop: Header=BB283_10 Depth=1
	v_cmp_eq_u16_e64 s[4:5], s31, v8
	s_mov_b64 s[24:25], -1
                                        ; implicit-def: $sgpr35
	s_and_saveexec_b64 s[28:29], s[4:5]
; %bb.445:                              ;   in Loop: Header=BB283_10 Depth=1
	s_mov_b32 s35, 0x7fc02000
	s_xor_b64 s[24:25], exec, -1
; %bb.446:                              ;   in Loop: Header=BB283_10 Depth=1
	s_or_b64 exec, exec, s[28:29]
	s_and_b64 s[24:25], s[24:25], exec
	s_or_saveexec_b64 s[26:27], s[26:27]
	v_mov_b32_e32 v25, s35
	s_xor_b64 exec, exec, s[26:27]
	s_cbranch_execz .LBB283_188
.LBB283_447:                            ;   in Loop: Header=BB283_10 Depth=1
	v_cmp_ne_u16_e64 s[4:5], 0, v8
	s_andn2_b64 s[24:25], s[24:25], exec
	s_and_b64 s[4:5], s[4:5], exec
	v_mov_b32_e32 v25, 0
	s_or_b64 s[24:25], s[24:25], s[4:5]
	s_or_b64 exec, exec, s[26:27]
	s_and_saveexec_b64 s[26:27], s[24:25]
	s_cbranch_execnz .LBB283_189
	s_branch .LBB283_190
.LBB283_448:                            ;   in Loop: Header=BB283_10 Depth=1
	v_cmp_eq_u16_sdwa s[36:37], v6, s31 src0_sel:BYTE_0 src1_sel:DWORD
	s_mov_b64 s[4:5], -1
                                        ; implicit-def: $sgpr28
	s_and_saveexec_b64 s[26:27], s[36:37]
; %bb.449:                              ;   in Loop: Header=BB283_10 Depth=1
	s_mov_b32 s28, 0x7fc02000
	s_xor_b64 s[4:5], exec, -1
; %bb.450:                              ;   in Loop: Header=BB283_10 Depth=1
	s_or_b64 exec, exec, s[26:27]
	s_and_b64 s[4:5], s[4:5], exec
	s_or_saveexec_b64 s[24:25], s[24:25]
	v_mov_b32_e32 v24, s28
	s_xor_b64 exec, exec, s[24:25]
	s_cbranch_execz .LBB283_192
.LBB283_451:                            ;   in Loop: Header=BB283_10 Depth=1
	v_cmp_ne_u16_sdwa s[26:27], v6, v9 src0_sel:BYTE_0 src1_sel:DWORD
	s_andn2_b64 s[4:5], s[4:5], exec
	s_and_b64 s[26:27], s[26:27], exec
	v_mov_b32_e32 v24, 0
	s_or_b64 s[4:5], s[4:5], s[26:27]
	s_or_b64 exec, exec, s[24:25]
	v_and_b32_e32 v8, 0xffff, v6
	s_and_saveexec_b64 s[24:25], s[4:5]
	s_cbranch_execnz .LBB283_193
	s_branch .LBB283_194
.LBB283_452:                            ;   in Loop: Header=BB283_10 Depth=1
	v_cmp_eq_u16_e64 s[4:5], s31, v8
	s_mov_b64 s[24:25], -1
                                        ; implicit-def: $sgpr35
	s_and_saveexec_b64 s[28:29], s[4:5]
; %bb.453:                              ;   in Loop: Header=BB283_10 Depth=1
	s_mov_b32 s35, 0x7fc02000
	s_xor_b64 s[24:25], exec, -1
; %bb.454:                              ;   in Loop: Header=BB283_10 Depth=1
	s_or_b64 exec, exec, s[28:29]
	s_and_b64 s[24:25], s[24:25], exec
	s_or_saveexec_b64 s[26:27], s[26:27]
	v_mov_b32_e32 v40, s35
	s_xor_b64 exec, exec, s[26:27]
	s_cbranch_execz .LBB283_196
.LBB283_455:                            ;   in Loop: Header=BB283_10 Depth=1
	v_cmp_ne_u16_e64 s[4:5], 0, v8
	s_andn2_b64 s[24:25], s[24:25], exec
	s_and_b64 s[4:5], s[4:5], exec
	v_mov_b32_e32 v40, 0
	s_or_b64 s[24:25], s[24:25], s[4:5]
	s_or_b64 exec, exec, s[26:27]
	s_and_saveexec_b64 s[26:27], s[24:25]
	s_cbranch_execnz .LBB283_197
	s_branch .LBB283_198
.LBB283_456:                            ;   in Loop: Header=BB283_10 Depth=1
	v_cmp_eq_u16_sdwa s[36:37], v6, s31 src0_sel:BYTE_0 src1_sel:DWORD
	s_mov_b64 s[4:5], -1
                                        ; implicit-def: $sgpr28
	s_and_saveexec_b64 s[26:27], s[36:37]
; %bb.457:                              ;   in Loop: Header=BB283_10 Depth=1
	s_mov_b32 s28, 0x7fc02000
	s_xor_b64 s[4:5], exec, -1
; %bb.458:                              ;   in Loop: Header=BB283_10 Depth=1
	s_or_b64 exec, exec, s[26:27]
	s_and_b64 s[4:5], s[4:5], exec
	s_or_saveexec_b64 s[24:25], s[24:25]
	v_mov_b32_e32 v41, s28
	s_xor_b64 exec, exec, s[24:25]
	s_cbranch_execz .LBB283_200
.LBB283_459:                            ;   in Loop: Header=BB283_10 Depth=1
	v_cmp_ne_u16_sdwa s[26:27], v6, v9 src0_sel:BYTE_0 src1_sel:DWORD
	s_andn2_b64 s[4:5], s[4:5], exec
	s_and_b64 s[26:27], s[26:27], exec
	v_mov_b32_e32 v41, 0
	s_or_b64 s[4:5], s[4:5], s[26:27]
	s_or_b64 exec, exec, s[24:25]
	v_and_b32_e32 v8, 0xffff, v6
	s_and_saveexec_b64 s[24:25], s[4:5]
	s_cbranch_execnz .LBB283_201
	s_branch .LBB283_202
.LBB283_460:                            ;   in Loop: Header=BB283_10 Depth=1
	v_cmp_eq_u16_e64 s[4:5], s31, v8
	s_mov_b64 s[24:25], -1
                                        ; implicit-def: $sgpr35
	s_and_saveexec_b64 s[28:29], s[4:5]
; %bb.461:                              ;   in Loop: Header=BB283_10 Depth=1
	s_mov_b32 s35, 0x7fc02000
	s_xor_b64 s[24:25], exec, -1
; %bb.462:                              ;   in Loop: Header=BB283_10 Depth=1
	s_or_b64 exec, exec, s[28:29]
	s_and_b64 s[24:25], s[24:25], exec
	s_or_saveexec_b64 s[26:27], s[26:27]
	v_mov_b32_e32 v42, s35
	s_xor_b64 exec, exec, s[26:27]
	s_cbranch_execz .LBB283_204
.LBB283_463:                            ;   in Loop: Header=BB283_10 Depth=1
	v_cmp_ne_u16_e64 s[4:5], 0, v8
	s_andn2_b64 s[24:25], s[24:25], exec
	s_and_b64 s[4:5], s[4:5], exec
	v_mov_b32_e32 v42, 0
	s_or_b64 s[24:25], s[24:25], s[4:5]
	s_or_b64 exec, exec, s[26:27]
	s_and_saveexec_b64 s[26:27], s[24:25]
	s_cbranch_execnz .LBB283_205
	s_branch .LBB283_206
.LBB283_464:                            ;   in Loop: Header=BB283_10 Depth=1
	v_cmp_eq_u16_sdwa s[36:37], v6, s31 src0_sel:BYTE_0 src1_sel:DWORD
	s_mov_b64 s[4:5], -1
                                        ; implicit-def: $sgpr28
	s_and_saveexec_b64 s[26:27], s[36:37]
; %bb.465:                              ;   in Loop: Header=BB283_10 Depth=1
	s_mov_b32 s28, 0x7fc02000
	s_xor_b64 s[4:5], exec, -1
; %bb.466:                              ;   in Loop: Header=BB283_10 Depth=1
	s_or_b64 exec, exec, s[26:27]
	s_and_b64 s[4:5], s[4:5], exec
	s_or_saveexec_b64 s[24:25], s[24:25]
	v_mov_b32_e32 v43, s28
	s_xor_b64 exec, exec, s[24:25]
	s_cbranch_execz .LBB283_208
.LBB283_467:                            ;   in Loop: Header=BB283_10 Depth=1
	v_cmp_ne_u16_sdwa s[26:27], v6, v9 src0_sel:BYTE_0 src1_sel:DWORD
	s_andn2_b64 s[4:5], s[4:5], exec
	s_and_b64 s[26:27], s[26:27], exec
	v_mov_b32_e32 v43, 0
	s_or_b64 s[4:5], s[4:5], s[26:27]
	s_or_b64 exec, exec, s[24:25]
	v_and_b32_e32 v8, 0xffff, v6
	s_and_saveexec_b64 s[24:25], s[4:5]
	s_cbranch_execnz .LBB283_209
	s_branch .LBB283_210
.LBB283_468:                            ;   in Loop: Header=BB283_10 Depth=1
	v_cmp_eq_u16_e64 s[4:5], s31, v8
	s_mov_b64 s[24:25], -1
                                        ; implicit-def: $sgpr35
	s_and_saveexec_b64 s[28:29], s[4:5]
; %bb.469:                              ;   in Loop: Header=BB283_10 Depth=1
	s_mov_b32 s35, 0x7fc02000
	s_xor_b64 s[24:25], exec, -1
; %bb.470:                              ;   in Loop: Header=BB283_10 Depth=1
	s_or_b64 exec, exec, s[28:29]
	s_and_b64 s[24:25], s[24:25], exec
	s_or_saveexec_b64 s[26:27], s[26:27]
	v_mov_b32_e32 v44, s35
	s_xor_b64 exec, exec, s[26:27]
	s_cbranch_execz .LBB283_212
.LBB283_471:                            ;   in Loop: Header=BB283_10 Depth=1
	v_cmp_ne_u16_e64 s[4:5], 0, v8
	s_andn2_b64 s[24:25], s[24:25], exec
	s_and_b64 s[4:5], s[4:5], exec
	v_mov_b32_e32 v44, 0
	s_or_b64 s[24:25], s[24:25], s[4:5]
	s_or_b64 exec, exec, s[26:27]
	s_and_saveexec_b64 s[26:27], s[24:25]
	s_cbranch_execnz .LBB283_213
	s_branch .LBB283_214
.LBB283_472:                            ;   in Loop: Header=BB283_10 Depth=1
	v_cmp_eq_u16_sdwa s[36:37], v6, s31 src0_sel:BYTE_0 src1_sel:DWORD
	s_mov_b64 s[4:5], -1
                                        ; implicit-def: $sgpr28
	s_and_saveexec_b64 s[26:27], s[36:37]
; %bb.473:                              ;   in Loop: Header=BB283_10 Depth=1
	s_mov_b32 s28, 0x7fc02000
	s_xor_b64 s[4:5], exec, -1
; %bb.474:                              ;   in Loop: Header=BB283_10 Depth=1
	s_or_b64 exec, exec, s[26:27]
	s_and_b64 s[4:5], s[4:5], exec
	s_or_saveexec_b64 s[24:25], s[24:25]
	v_mov_b32_e32 v45, s28
	s_xor_b64 exec, exec, s[24:25]
	s_cbranch_execz .LBB283_216
.LBB283_475:                            ;   in Loop: Header=BB283_10 Depth=1
	v_cmp_ne_u16_sdwa s[26:27], v6, v9 src0_sel:BYTE_0 src1_sel:DWORD
	s_andn2_b64 s[4:5], s[4:5], exec
	s_and_b64 s[26:27], s[26:27], exec
	v_mov_b32_e32 v45, 0
	s_or_b64 s[4:5], s[4:5], s[26:27]
	s_or_b64 exec, exec, s[24:25]
	v_and_b32_e32 v8, 0xffff, v6
	s_and_saveexec_b64 s[24:25], s[4:5]
	s_cbranch_execnz .LBB283_217
	s_branch .LBB283_218
.LBB283_476:                            ;   in Loop: Header=BB283_10 Depth=1
	v_cmp_eq_u16_e64 s[4:5], s31, v8
	s_mov_b64 s[24:25], -1
                                        ; implicit-def: $sgpr35
	s_and_saveexec_b64 s[28:29], s[4:5]
; %bb.477:                              ;   in Loop: Header=BB283_10 Depth=1
	s_mov_b32 s35, 0x7fc02000
	s_xor_b64 s[24:25], exec, -1
; %bb.478:                              ;   in Loop: Header=BB283_10 Depth=1
	s_or_b64 exec, exec, s[28:29]
	s_and_b64 s[24:25], s[24:25], exec
	s_or_saveexec_b64 s[26:27], s[26:27]
	v_mov_b32_e32 v46, s35
	s_xor_b64 exec, exec, s[26:27]
	s_cbranch_execz .LBB283_220
.LBB283_479:                            ;   in Loop: Header=BB283_10 Depth=1
	v_cmp_ne_u16_e64 s[4:5], 0, v8
	s_andn2_b64 s[24:25], s[24:25], exec
	s_and_b64 s[4:5], s[4:5], exec
	v_mov_b32_e32 v46, 0
	s_or_b64 s[24:25], s[24:25], s[4:5]
	s_or_b64 exec, exec, s[26:27]
	s_and_saveexec_b64 s[26:27], s[24:25]
	s_cbranch_execnz .LBB283_221
	s_branch .LBB283_222
.LBB283_480:                            ;   in Loop: Header=BB283_10 Depth=1
	v_cmp_eq_u16_sdwa s[36:37], v6, s31 src0_sel:BYTE_0 src1_sel:DWORD
	s_mov_b64 s[4:5], -1
                                        ; implicit-def: $sgpr28
	s_and_saveexec_b64 s[26:27], s[36:37]
; %bb.481:                              ;   in Loop: Header=BB283_10 Depth=1
	s_mov_b32 s28, 0x7fc02000
	s_xor_b64 s[4:5], exec, -1
; %bb.482:                              ;   in Loop: Header=BB283_10 Depth=1
	s_or_b64 exec, exec, s[26:27]
	s_and_b64 s[4:5], s[4:5], exec
	s_or_saveexec_b64 s[24:25], s[24:25]
	v_mov_b32_e32 v47, s28
	s_xor_b64 exec, exec, s[24:25]
	s_cbranch_execz .LBB283_224
.LBB283_483:                            ;   in Loop: Header=BB283_10 Depth=1
	v_cmp_ne_u16_sdwa s[26:27], v6, v9 src0_sel:BYTE_0 src1_sel:DWORD
	s_andn2_b64 s[4:5], s[4:5], exec
	s_and_b64 s[26:27], s[26:27], exec
	v_mov_b32_e32 v47, 0
	s_or_b64 s[4:5], s[4:5], s[26:27]
	s_or_b64 exec, exec, s[24:25]
	v_and_b32_e32 v8, 0xffff, v6
	s_and_saveexec_b64 s[24:25], s[4:5]
	s_cbranch_execnz .LBB283_225
	s_branch .LBB283_226
.LBB283_484:                            ;   in Loop: Header=BB283_10 Depth=1
	v_cmp_eq_u16_e64 s[4:5], s31, v8
	s_mov_b64 s[24:25], -1
                                        ; implicit-def: $sgpr35
	s_and_saveexec_b64 s[28:29], s[4:5]
; %bb.485:                              ;   in Loop: Header=BB283_10 Depth=1
	s_mov_b32 s35, 0x7fc02000
	s_xor_b64 s[24:25], exec, -1
; %bb.486:                              ;   in Loop: Header=BB283_10 Depth=1
	s_or_b64 exec, exec, s[28:29]
	s_and_b64 s[24:25], s[24:25], exec
	s_or_saveexec_b64 s[26:27], s[26:27]
	v_mov_b32_e32 v56, s35
	s_xor_b64 exec, exec, s[26:27]
	s_cbranch_execz .LBB283_228
.LBB283_487:                            ;   in Loop: Header=BB283_10 Depth=1
	v_cmp_ne_u16_e64 s[4:5], 0, v8
	s_andn2_b64 s[24:25], s[24:25], exec
	s_and_b64 s[4:5], s[4:5], exec
	v_mov_b32_e32 v56, 0
	s_or_b64 s[24:25], s[24:25], s[4:5]
	s_or_b64 exec, exec, s[26:27]
	s_and_saveexec_b64 s[26:27], s[24:25]
	s_cbranch_execnz .LBB283_229
	s_branch .LBB283_230
.LBB283_488:                            ;   in Loop: Header=BB283_10 Depth=1
	v_cmp_eq_u16_sdwa s[36:37], v6, s31 src0_sel:BYTE_0 src1_sel:DWORD
	s_mov_b64 s[4:5], -1
                                        ; implicit-def: $sgpr28
	s_and_saveexec_b64 s[26:27], s[36:37]
; %bb.489:                              ;   in Loop: Header=BB283_10 Depth=1
	s_mov_b32 s28, 0x7fc02000
	s_xor_b64 s[4:5], exec, -1
; %bb.490:                              ;   in Loop: Header=BB283_10 Depth=1
	s_or_b64 exec, exec, s[26:27]
	s_and_b64 s[4:5], s[4:5], exec
	s_or_saveexec_b64 s[24:25], s[24:25]
	v_mov_b32_e32 v57, s28
	s_xor_b64 exec, exec, s[24:25]
	s_cbranch_execz .LBB283_232
.LBB283_491:                            ;   in Loop: Header=BB283_10 Depth=1
	v_cmp_ne_u16_sdwa s[26:27], v6, v9 src0_sel:BYTE_0 src1_sel:DWORD
	s_andn2_b64 s[4:5], s[4:5], exec
	s_and_b64 s[26:27], s[26:27], exec
	v_mov_b32_e32 v57, 0
	s_or_b64 s[4:5], s[4:5], s[26:27]
	s_or_b64 exec, exec, s[24:25]
	v_and_b32_e32 v8, 0xffff, v6
	s_and_saveexec_b64 s[24:25], s[4:5]
	s_cbranch_execnz .LBB283_233
	s_branch .LBB283_234
.LBB283_492:                            ;   in Loop: Header=BB283_10 Depth=1
	v_cmp_eq_u16_e64 s[4:5], s31, v8
	s_mov_b64 s[24:25], -1
                                        ; implicit-def: $sgpr35
	s_and_saveexec_b64 s[28:29], s[4:5]
; %bb.493:                              ;   in Loop: Header=BB283_10 Depth=1
	s_mov_b32 s35, 0x7fc02000
	s_xor_b64 s[24:25], exec, -1
; %bb.494:                              ;   in Loop: Header=BB283_10 Depth=1
	s_or_b64 exec, exec, s[28:29]
	s_and_b64 s[24:25], s[24:25], exec
	s_or_saveexec_b64 s[26:27], s[26:27]
	v_mov_b32_e32 v58, s35
	s_xor_b64 exec, exec, s[26:27]
	s_cbranch_execz .LBB283_236
.LBB283_495:                            ;   in Loop: Header=BB283_10 Depth=1
	v_cmp_ne_u16_e64 s[4:5], 0, v8
	s_andn2_b64 s[24:25], s[24:25], exec
	s_and_b64 s[4:5], s[4:5], exec
	v_mov_b32_e32 v58, 0
	s_or_b64 s[24:25], s[24:25], s[4:5]
	s_or_b64 exec, exec, s[26:27]
	s_and_saveexec_b64 s[26:27], s[24:25]
	s_cbranch_execnz .LBB283_237
	s_branch .LBB283_238
.LBB283_496:                            ;   in Loop: Header=BB283_10 Depth=1
	v_cmp_eq_u16_sdwa s[36:37], v7, s31 src0_sel:BYTE_0 src1_sel:DWORD
	s_mov_b64 s[4:5], -1
                                        ; implicit-def: $sgpr28
	s_and_saveexec_b64 s[26:27], s[36:37]
; %bb.497:                              ;   in Loop: Header=BB283_10 Depth=1
	s_mov_b32 s28, 0x7fc02000
	s_xor_b64 s[4:5], exec, -1
; %bb.498:                              ;   in Loop: Header=BB283_10 Depth=1
	s_or_b64 exec, exec, s[26:27]
	s_and_b64 s[4:5], s[4:5], exec
	s_or_saveexec_b64 s[24:25], s[24:25]
	v_mov_b32_e32 v6, s28
	s_xor_b64 exec, exec, s[24:25]
	s_cbranch_execz .LBB283_240
.LBB283_499:                            ;   in Loop: Header=BB283_10 Depth=1
	v_cmp_ne_u16_sdwa s[26:27], v7, v9 src0_sel:BYTE_0 src1_sel:DWORD
	s_andn2_b64 s[4:5], s[4:5], exec
	s_and_b64 s[26:27], s[26:27], exec
	v_mov_b32_e32 v6, 0
	s_or_b64 s[4:5], s[4:5], s[26:27]
	s_or_b64 exec, exec, s[24:25]
	v_and_b32_e32 v8, 0xffff, v7
	s_and_saveexec_b64 s[24:25], s[4:5]
	s_cbranch_execnz .LBB283_241
	s_branch .LBB283_242
.LBB283_500:                            ;   in Loop: Header=BB283_10 Depth=1
	v_cmp_eq_u16_e64 s[4:5], s31, v8
	s_mov_b64 s[24:25], -1
                                        ; implicit-def: $sgpr35
	s_and_saveexec_b64 s[28:29], s[4:5]
; %bb.501:                              ;   in Loop: Header=BB283_10 Depth=1
	s_mov_b32 s35, 0x7fc02000
	s_xor_b64 s[24:25], exec, -1
; %bb.502:                              ;   in Loop: Header=BB283_10 Depth=1
	s_or_b64 exec, exec, s[28:29]
	s_and_b64 s[24:25], s[24:25], exec
	s_or_saveexec_b64 s[26:27], s[26:27]
	v_mov_b32_e32 v7, s35
	s_xor_b64 exec, exec, s[26:27]
	s_cbranch_execz .LBB283_244
.LBB283_503:                            ;   in Loop: Header=BB283_10 Depth=1
	v_cmp_ne_u16_e64 s[4:5], 0, v8
	s_andn2_b64 s[24:25], s[24:25], exec
	s_and_b64 s[4:5], s[4:5], exec
	v_mov_b32_e32 v7, 0
	s_or_b64 s[24:25], s[24:25], s[4:5]
	s_or_b64 exec, exec, s[26:27]
	s_and_saveexec_b64 s[26:27], s[24:25]
	s_cbranch_execnz .LBB283_245
	s_branch .LBB283_246
.LBB283_504:                            ;   in Loop: Header=BB283_10 Depth=1
	v_cmp_eq_u16_sdwa s[36:37], v8, s31 src0_sel:BYTE_0 src1_sel:DWORD
	s_mov_b64 s[4:5], -1
                                        ; implicit-def: $sgpr28
	s_and_saveexec_b64 s[26:27], s[36:37]
; %bb.505:                              ;   in Loop: Header=BB283_10 Depth=1
	s_mov_b32 s28, 0x7fc02000
	s_xor_b64 s[4:5], exec, -1
; %bb.506:                              ;   in Loop: Header=BB283_10 Depth=1
	s_or_b64 exec, exec, s[26:27]
	s_and_b64 s[4:5], s[4:5], exec
	s_or_saveexec_b64 s[24:25], s[24:25]
	v_mov_b32_e32 v26, s28
	s_xor_b64 exec, exec, s[24:25]
	s_cbranch_execz .LBB283_248
.LBB283_507:                            ;   in Loop: Header=BB283_10 Depth=1
	v_cmp_ne_u16_sdwa s[26:27], v8, v9 src0_sel:BYTE_0 src1_sel:DWORD
	s_andn2_b64 s[4:5], s[4:5], exec
	s_and_b64 s[26:27], s[26:27], exec
	v_mov_b32_e32 v26, 0
	s_or_b64 s[4:5], s[4:5], s[26:27]
	s_or_b64 exec, exec, s[24:25]
	v_and_b32_e32 v8, 0xffff, v8
	s_and_saveexec_b64 s[24:25], s[4:5]
	s_cbranch_execnz .LBB283_249
	s_branch .LBB283_250
.LBB283_508:                            ;   in Loop: Header=BB283_10 Depth=1
	v_cmp_eq_u16_e64 s[4:5], s31, v8
	s_mov_b64 s[24:25], -1
                                        ; implicit-def: $sgpr35
	s_and_saveexec_b64 s[28:29], s[4:5]
; %bb.509:                              ;   in Loop: Header=BB283_10 Depth=1
	s_mov_b32 s35, 0x7fc02000
	s_xor_b64 s[24:25], exec, -1
; %bb.510:                              ;   in Loop: Header=BB283_10 Depth=1
	s_or_b64 exec, exec, s[28:29]
	s_and_b64 s[24:25], s[24:25], exec
	s_or_saveexec_b64 s[26:27], s[26:27]
	v_mov_b32_e32 v27, s35
	s_xor_b64 exec, exec, s[26:27]
	s_cbranch_execz .LBB283_252
.LBB283_511:                            ;   in Loop: Header=BB283_10 Depth=1
	v_cmp_ne_u16_e64 s[4:5], 0, v8
	s_andn2_b64 s[24:25], s[24:25], exec
	s_and_b64 s[4:5], s[4:5], exec
	v_mov_b32_e32 v27, 0
	s_or_b64 s[24:25], s[24:25], s[4:5]
	s_or_b64 exec, exec, s[26:27]
	s_and_saveexec_b64 s[26:27], s[24:25]
	s_cbranch_execnz .LBB283_253
	s_branch .LBB283_254
.LBB283_512:                            ;   in Loop: Header=BB283_10 Depth=1
	v_cmp_eq_u16_sdwa s[36:37], v8, s31 src0_sel:BYTE_0 src1_sel:DWORD
	s_mov_b64 s[4:5], -1
                                        ; implicit-def: $sgpr28
	s_and_saveexec_b64 s[26:27], s[36:37]
; %bb.513:                              ;   in Loop: Header=BB283_10 Depth=1
	s_mov_b32 s28, 0x7fc02000
	s_xor_b64 s[4:5], exec, -1
; %bb.514:                              ;   in Loop: Header=BB283_10 Depth=1
	s_or_b64 exec, exec, s[26:27]
	s_and_b64 s[4:5], s[4:5], exec
	s_or_saveexec_b64 s[24:25], s[24:25]
	v_mov_b32_e32 v59, s28
	s_xor_b64 exec, exec, s[24:25]
	s_cbranch_execz .LBB283_256
.LBB283_515:                            ;   in Loop: Header=BB283_10 Depth=1
	v_cmp_ne_u16_sdwa s[26:27], v8, v9 src0_sel:BYTE_0 src1_sel:DWORD
	s_andn2_b64 s[4:5], s[4:5], exec
	s_and_b64 s[26:27], s[26:27], exec
	v_mov_b32_e32 v59, 0
	s_or_b64 s[4:5], s[4:5], s[26:27]
	s_or_b64 exec, exec, s[24:25]
	v_and_b32_e32 v8, 0xffff, v8
	s_and_saveexec_b64 s[24:25], s[4:5]
	s_cbranch_execnz .LBB283_257
	s_branch .LBB283_258
.LBB283_516:                            ;   in Loop: Header=BB283_10 Depth=1
	v_cmp_eq_u16_e64 s[4:5], s31, v8
	s_mov_b64 s[24:25], -1
                                        ; implicit-def: $sgpr35
	s_and_saveexec_b64 s[28:29], s[4:5]
; %bb.517:                              ;   in Loop: Header=BB283_10 Depth=1
	s_mov_b32 s35, 0x7fc02000
	s_xor_b64 s[24:25], exec, -1
; %bb.518:                              ;   in Loop: Header=BB283_10 Depth=1
	s_or_b64 exec, exec, s[28:29]
	s_and_b64 s[24:25], s[24:25], exec
	s_or_saveexec_b64 s[26:27], s[26:27]
	v_mov_b32_e32 v61, s35
	s_xor_b64 exec, exec, s[26:27]
	s_cbranch_execz .LBB283_260
.LBB283_519:                            ;   in Loop: Header=BB283_10 Depth=1
	v_cmp_ne_u16_e64 s[4:5], 0, v8
	s_andn2_b64 s[24:25], s[24:25], exec
	s_and_b64 s[4:5], s[4:5], exec
	v_mov_b32_e32 v61, 0
	s_or_b64 s[24:25], s[24:25], s[4:5]
	s_or_b64 exec, exec, s[26:27]
	s_and_saveexec_b64 s[26:27], s[24:25]
	s_cbranch_execnz .LBB283_261
	s_branch .LBB283_262
.LBB283_520:                            ;   in Loop: Header=BB283_10 Depth=1
	v_cmp_eq_u16_sdwa s[36:37], v8, s31 src0_sel:BYTE_0 src1_sel:DWORD
	s_mov_b64 s[4:5], -1
                                        ; implicit-def: $sgpr28
	s_and_saveexec_b64 s[26:27], s[36:37]
; %bb.521:                              ;   in Loop: Header=BB283_10 Depth=1
	s_mov_b32 s28, 0x7fc02000
	s_xor_b64 s[4:5], exec, -1
; %bb.522:                              ;   in Loop: Header=BB283_10 Depth=1
	s_or_b64 exec, exec, s[26:27]
	s_and_b64 s[4:5], s[4:5], exec
	s_or_saveexec_b64 s[24:25], s[24:25]
	v_mov_b32_e32 v34, s28
	s_xor_b64 exec, exec, s[24:25]
	s_cbranch_execz .LBB283_264
.LBB283_523:                            ;   in Loop: Header=BB283_10 Depth=1
	v_cmp_ne_u16_sdwa s[26:27], v8, v9 src0_sel:BYTE_0 src1_sel:DWORD
	s_andn2_b64 s[4:5], s[4:5], exec
	s_and_b64 s[26:27], s[26:27], exec
	v_mov_b32_e32 v34, 0
	s_or_b64 s[4:5], s[4:5], s[26:27]
	s_or_b64 exec, exec, s[24:25]
	v_and_b32_e32 v8, 0xffff, v8
	s_and_saveexec_b64 s[24:25], s[4:5]
	s_cbranch_execnz .LBB283_265
	s_branch .LBB283_266
.LBB283_524:
	s_or_b64 exec, exec, s[22:23]
	scratch_load_dword v7, off, s32 offset:152 ; 4-byte Folded Reload
	v_accvgpr_read_b32 v15, a13
	v_accvgpr_read_b32 v27, a15
	;; [unrolled: 1-line block ×15, first 2 shown]
.LBB283_525:
	s_or_b64 exec, exec, s[6:7]
	v_accvgpr_read_b32 v6, a28
	v_xor_b32_e32 v0, 32, v6
	v_cmp_lt_i32_e32 vcc, v0, v2
	v_xor_b32_e32 v4, 16, v6
	s_waitcnt vmcnt(0)
	v_max_f32_e32 v1, v7, v7
	v_cndmask_b32_e32 v0, v6, v0, vcc
	v_lshlrev_b32_e32 v3, 2, v0
	ds_bpermute_b32 v0, v3, v7
	v_cmp_lt_i32_e32 vcc, v4, v2
	v_xor_b32_e32 v5, 8, v6
	s_waitcnt lgkmcnt(0)
	s_lshr_b32 s24, s30, 16
	v_max_f32_e32 v0, v0, v0
	v_max_f32_e32 v0, v1, v0
	v_cndmask_b32_e32 v1, v6, v4, vcc
	v_lshlrev_b32_e32 v4, 2, v1
	ds_bpermute_b32 v1, v4, v0
	v_cmp_lt_i32_e32 vcc, v5, v2
	s_waitcnt lgkmcnt(0)
	v_max_f32_e32 v1, v1, v1
	v_max_f32_e32 v0, v0, v1
	v_cndmask_b32_e32 v1, v6, v5, vcc
	v_lshlrev_b32_e32 v7, 2, v1
	ds_bpermute_b32 v1, v7, v0
	v_xor_b32_e32 v5, 4, v6
	v_cmp_lt_i32_e32 vcc, v5, v2
	s_waitcnt lgkmcnt(0)
	v_max_f32_e32 v1, v1, v1
	v_max_f32_e32 v0, v0, v1
	v_cndmask_b32_e32 v1, v6, v5, vcc
	v_lshlrev_b32_e32 v8, 2, v1
	ds_bpermute_b32 v1, v8, v0
	v_accvgpr_read_b32 v6, a2
	v_and_b32_e32 v23, 63, v6
	v_cmp_eq_u32_e32 vcc, 0, v23
	v_lshlrev_b32_e32 v5, 2, v22
	s_and_saveexec_b64 s[2:3], vcc
	s_cbranch_execz .LBB283_527
; %bb.526:
	s_waitcnt lgkmcnt(0)
	v_max_f32_e32 v1, v1, v1
	v_max_f32_e32 v0, v0, v0
	;; [unrolled: 1-line block ×3, first 2 shown]
	ds_write_b32 v5, v0 offset:512
.LBB283_527:
	s_or_b64 exec, exec, s[2:3]
	v_cmp_gt_u32_e64 s[2:3], 2, v23
	v_mov_b32_e32 v0, 0xff7fffff
	v_lshlrev_b32_e32 v6, 2, v23
	s_waitcnt lgkmcnt(0)
	s_barrier
	s_and_saveexec_b64 s[4:5], s[2:3]
	s_cbranch_execz .LBB283_529
; %bb.528:
	ds_read_b32 v0, v6 offset:512
.LBB283_529:
	s_or_b64 exec, exec, s[4:5]
	v_accvgpr_read_b32 v10, a28
	v_xor_b32_e32 v1, 1, v10
	v_cmp_lt_i32_e64 s[4:5], v1, v2
	v_accvgpr_read_b32 v9, a3
	v_subrev_u32_e32 v9, s19, v9
	v_cndmask_b32_e64 v1, v10, v1, s[4:5]
	v_lshlrev_b32_e32 v37, 2, v1
	s_waitcnt lgkmcnt(0)
	ds_bpermute_b32 v1, v37, v0
	v_max_f32_e32 v0, v0, v0
	v_lshl_add_u32 v9, v9, 4, s21
	v_accvgpr_read_b32 v12, a8
	v_min_i32_e32 v9, v9, v12
	s_waitcnt lgkmcnt(0)
	v_max_f32_e32 v1, v1, v1
	v_max_f32_e32 v0, v0, v1
	v_lshlrev_b32_e32 v1, 2, v10
	v_and_b32_e32 v10, 0xffffff00, v1
	ds_bpermute_b32 v0, v10, v0
	v_subrev_u32_e32 v1, s21, v9
	v_accvgpr_read_b32 v12, a2
	v_cmp_lt_i32_e64 s[4:5], v12, v1
	v_mov_b32_e32 v11, 0
	s_and_saveexec_b64 s[8:9], s[4:5]
	s_cbranch_execz .LBB283_533
; %bb.530:
	s_ashr_i32 s17, s16, 31
	s_lshl_b64 s[6:7], s[16:17], 2
	s_getpc_b64 s[22:23]
	s_add_u32 s22, s22, llvm.amdgcn.dynlds.offset.table@rel32@lo+4
	s_addc_u32 s23, s23, llvm.amdgcn.dynlds.offset.table@rel32@hi+12
	s_add_u32 s6, s6, s22
	s_addc_u32 s7, s7, s23
	s_load_dword s6, s[6:7], 0x0
	v_accvgpr_read_b32 v16, a2
	s_mov_b64 s[22:23], 0
	v_mov_b32_e32 v11, 0
	v_accvgpr_read_b32 v13, a2
	s_waitcnt lgkmcnt(0)
	v_lshl_add_u32 v12, v16, 2, s6
.LBB283_531:                            ; =>This Inner Loop Header: Depth=1
	ds_read_b32 v16, v12
	v_add_u32_e32 v13, 0x80, v13
	v_cmp_ge_i32_e64 s[6:7], v13, v1
	s_or_b64 s[22:23], s[6:7], s[22:23]
	s_waitcnt lgkmcnt(0)
	v_sub_f32_e32 v16, v16, v0
	v_mul_f32_e32 v16, 0x3fb8aa3b, v16
	v_exp_f32_e32 v16, v16
	ds_write_b32 v12, v16
	v_add_f32_e32 v11, v11, v16
	v_add_u32_e32 v12, 0x200, v12
	s_andn2_b64 exec, exec, s[22:23]
	s_cbranch_execnz .LBB283_531
; %bb.532:
	s_or_b64 exec, exec, s[22:23]
.LBB283_533:
	s_or_b64 exec, exec, s[8:9]
	ds_bpermute_b32 v3, v3, v11
	s_waitcnt lgkmcnt(0)
	v_add_f32_e32 v3, v11, v3
	ds_bpermute_b32 v4, v4, v3
	s_waitcnt lgkmcnt(0)
	v_add_f32_e32 v3, v3, v4
	;; [unrolled: 3-line block ×3, first 2 shown]
	ds_bpermute_b32 v4, v8, v3
	v_accvgpr_read_b32 v8, a28
	v_xor_b32_e32 v7, 2, v8
	v_cmp_lt_i32_e64 s[6:7], v7, v2
	s_waitcnt lgkmcnt(0)
	v_add_f32_e32 v3, v3, v4
	v_cndmask_b32_e64 v2, v8, v7, s[6:7]
	v_lshlrev_b32_e32 v2, 2, v2
	ds_bpermute_b32 v2, v2, v3
	s_waitcnt lgkmcnt(0)
	v_add_f32_e32 v2, v3, v2
	ds_bpermute_b32 v3, v37, v2
	s_waitcnt lgkmcnt(0)
	v_add_f32_e32 v2, v2, v3
	s_and_saveexec_b64 s[6:7], vcc
	s_cbranch_execz .LBB283_535
; %bb.534:
	ds_write_b32 v5, v2 offset:520
.LBB283_535:
	s_or_b64 exec, exec, s[6:7]
	s_waitcnt lgkmcnt(0)
	s_barrier
	s_and_saveexec_b64 s[6:7], s[2:3]
	s_cbranch_execz .LBB283_537
; %bb.536:
	ds_read_b32 v2, v6 offset:520
.LBB283_537:
	s_or_b64 exec, exec, s[6:7]
	s_waitcnt lgkmcnt(0)
	ds_bpermute_b32 v3, v37, v2
	s_waitcnt lgkmcnt(0)
	v_add_f32_e32 v2, v2, v3
	ds_bpermute_b32 v2, v10, v2
	s_and_saveexec_b64 s[2:3], s[4:5]
	s_cbranch_execz .LBB283_550
; %bb.538:
	s_waitcnt lgkmcnt(0)
	v_add_f32_e32 v3, 0x358637bd, v2
	v_div_scale_f32 v4, s[4:5], v3, v3, 1.0
	v_rcp_f32_e32 v5, v4
	v_div_scale_f32 v6, vcc, 1.0, v3, 1.0
	s_movk_i32 s4, 0x7f
	v_fma_f32 v7, -v4, v5, 1.0
	v_fmac_f32_e32 v5, v7, v5
	v_mul_f32_e32 v7, v6, v5
	v_fma_f32 v8, -v4, v7, v6
	v_fmac_f32_e32 v7, v8, v5
	v_fma_f32 v4, -v4, v7, v6
	v_div_fmas_f32 v4, v4, v5, v7
	v_accvgpr_read_b32 v6, a2
	v_div_fixup_f32 v8, v4, v3, 1.0
	v_xad_u32 v3, v6, -1, v9
	v_subrev_u32_e32 v4, s21, v3
	v_cmp_lt_u32_e32 vcc, s4, v4
	s_mov_b64 s[6:7], -1
	v_accvgpr_read_b32 v3, a2
	s_and_saveexec_b64 s[4:5], vcc
	s_cbranch_execz .LBB283_547
; %bb.539:
	v_lshrrev_b32_e32 v3, 7, v4
	v_add_u32_e32 v5, -1, v3
	v_lshrrev_b32_e32 v4, 1, v5
	v_mov_b32_e32 v9, v8
	v_add_u32_e32 v4, 1, v4
	v_cmp_lt_u32_e32 vcc, 13, v5
	v_mov_b32_e32 v7, 0
	s_and_saveexec_b64 s[6:7], vcc
	s_cbranch_execz .LBB283_543
; %bb.540:
	s_ashr_i32 s17, s16, 31
	s_lshl_b64 s[8:9], s[16:17], 2
	s_getpc_b64 s[22:23]
	s_add_u32 s22, s22, llvm.amdgcn.dynlds.offset.table@rel32@lo+4
	s_addc_u32 s23, s23, llvm.amdgcn.dynlds.offset.table@rel32@hi+12
	s_add_u32 s8, s8, s22
	s_addc_u32 s9, s9, s23
	s_load_dword s8, s[8:9], 0x0
	v_accvgpr_read_b32 v6, a2
	v_and_b32_e32 v5, -8, v4
	s_mov_b32 s17, 0
	s_waitcnt lgkmcnt(0)
	v_lshl_add_u32 v6, v6, 2, s8
	s_mov_b64 s[8:9], 0
.LBB283_541:                            ; =>This Inner Loop Header: Depth=1
	ds_read2st64_b32 v[10:11], v6 offset1:2
	ds_read2st64_b32 v[12:13], v6 offset0:4 offset1:6
	ds_read2st64_b32 v[16:17], v6 offset0:8 offset1:10
	;; [unrolled: 1-line block ×3, first 2 shown]
	v_add_u32_e32 v5, -8, v5
	s_waitcnt lgkmcnt(3)
	v_pk_mul_f32 v[10:11], v[8:9], v[10:11]
	s_waitcnt lgkmcnt(2)
	v_pk_mul_f32 v[12:13], v[8:9], v[12:13]
	ds_write2st64_b32 v6, v10, v11 offset1:2
	ds_write2st64_b32 v6, v12, v13 offset0:4 offset1:6
	ds_read2st64_b32 v[12:13], v6 offset0:16 offset1:18
	s_waitcnt lgkmcnt(4)
	v_pk_mul_f32 v[10:11], v[8:9], v[16:17]
	ds_write2st64_b32 v6, v10, v11 offset0:8 offset1:10
	s_waitcnt lgkmcnt(4)
	v_pk_mul_f32 v[10:11], v[8:9], v[18:19]
	ds_write2st64_b32 v6, v10, v11 offset0:12 offset1:14
	ds_read2st64_b32 v[10:11], v6 offset0:20 offset1:22
	s_waitcnt lgkmcnt(3)
	v_pk_mul_f32 v[12:13], v[8:9], v[12:13]
	ds_read2st64_b32 v[16:17], v6 offset0:24 offset1:26
	ds_write2st64_b32 v6, v12, v13 offset0:16 offset1:18
	ds_read2st64_b32 v[12:13], v6 offset0:28 offset1:30
	s_waitcnt lgkmcnt(3)
	v_pk_mul_f32 v[10:11], v[8:9], v[10:11]
	ds_write2st64_b32 v6, v10, v11 offset0:20 offset1:22
	s_waitcnt lgkmcnt(3)
	v_pk_mul_f32 v[10:11], v[8:9], v[16:17]
	ds_write2st64_b32 v6, v10, v11 offset0:24 offset1:26
	s_waitcnt lgkmcnt(2)
	v_pk_mul_f32 v[10:11], v[8:9], v[12:13]
	s_add_i32 s17, s17, 16
	v_cmp_eq_u32_e32 vcc, 0, v5
	ds_write2st64_b32 v6, v10, v11 offset0:28 offset1:30
	v_add_u32_e32 v6, 0x2000, v6
	s_or_b64 s[8:9], vcc, s[8:9]
	v_mov_b32_e32 v7, s17
	s_andn2_b64 exec, exec, s[8:9]
	s_cbranch_execnz .LBB283_541
; %bb.542:
	s_or_b64 exec, exec, s[8:9]
.LBB283_543:
	s_or_b64 exec, exec, s[6:7]
	v_and_b32_e32 v4, 7, v4
	v_cmp_ne_u32_e32 vcc, 0, v4
	s_and_saveexec_b64 s[6:7], vcc
	s_cbranch_execz .LBB283_546
; %bb.544:
	s_ashr_i32 s17, s16, 31
	s_lshl_b64 s[8:9], s[16:17], 2
	s_getpc_b64 s[22:23]
	s_add_u32 s22, s22, llvm.amdgcn.dynlds.offset.table@rel32@lo+4
	s_addc_u32 s23, s23, llvm.amdgcn.dynlds.offset.table@rel32@hi+12
	s_add_u32 s8, s8, s22
	s_addc_u32 s9, s9, s23
	s_load_dword s8, s[8:9], 0x0
	v_accvgpr_read_b32 v6, a2
	v_lshlrev_b32_e32 v5, 9, v7
	v_lshlrev_b32_e32 v6, 2, v6
	s_waitcnt lgkmcnt(0)
	v_add3_u32 v5, v5, v6, s8
	s_mov_b64 s[8:9], 0
.LBB283_545:                            ; =>This Inner Loop Header: Depth=1
	ds_read2st64_b32 v[6:7], v5 offset1:2
	v_add_u32_e32 v4, -1, v4
	v_cmp_eq_u32_e32 vcc, 0, v4
	s_or_b64 s[8:9], vcc, s[8:9]
	s_waitcnt lgkmcnt(0)
	v_pk_mul_f32 v[6:7], v[8:9], v[6:7]
	ds_write2st64_b32 v5, v6, v7 offset1:2
	v_add_u32_e32 v5, 0x400, v5
	s_andn2_b64 exec, exec, s[8:9]
	s_cbranch_execnz .LBB283_545
.LBB283_546:
	s_or_b64 exec, exec, s[6:7]
	v_add_u32_e32 v4, 1, v3
	v_and_b32_e32 v5, 0x3fffffe, v4
	v_accvgpr_read_b32 v6, a2
	v_cmp_ne_u32_e32 vcc, v4, v5
	v_lshl_add_u32 v3, v5, 7, v6
	s_orn2_b64 s[6:7], vcc, exec
.LBB283_547:
	s_or_b64 exec, exec, s[4:5]
	s_and_b64 exec, exec, s[6:7]
	s_cbranch_execz .LBB283_550
; %bb.548:
	s_ashr_i32 s17, s16, 31
	s_lshl_b64 s[4:5], s[16:17], 2
	s_getpc_b64 s[6:7]
	s_add_u32 s6, s6, llvm.amdgcn.dynlds.offset.table@rel32@lo+4
	s_addc_u32 s7, s7, llvm.amdgcn.dynlds.offset.table@rel32@hi+12
	s_add_u32 s4, s4, s6
	s_addc_u32 s5, s5, s7
	s_load_dword s4, s[4:5], 0x0
	s_waitcnt lgkmcnt(0)
	v_lshl_add_u32 v4, v3, 2, s4
	s_mov_b64 s[4:5], 0
.LBB283_549:                            ; =>This Inner Loop Header: Depth=1
	ds_read_b32 v5, v4
	v_add_u32_e32 v3, 0x80, v3
	v_cmp_ge_i32_e32 vcc, v3, v1
	s_or_b64 s[4:5], vcc, s[4:5]
	s_waitcnt lgkmcnt(0)
	v_mul_f32_e32 v5, v8, v5
	ds_write_b32 v4, v5
	v_add_u32_e32 v4, 0x200, v4
	s_andn2_b64 exec, exec, s[4:5]
	s_cbranch_execnz .LBB283_549
.LBB283_550:
	s_or_b64 exec, exec, s[2:3]
	v_cmp_ne_u16_e64 s[2:3], s24, 0
	s_cmp_lg_u64 s[2:3], 0
	s_addc_u32 s19, s13, 0
	v_accvgpr_read_b32 v6, a2
	s_mul_i32 s2, s19, s20
	v_cmp_eq_u32_e32 vcc, 0, v6
	s_mul_i32 s2, s2, s15
	s_waitcnt lgkmcnt(0)
	s_barrier
	s_and_saveexec_b64 s[4:5], vcc
	s_cbranch_execz .LBB283_552
; %bb.551:
	s_mul_i32 s8, s19, s12
	s_ashr_i32 s3, s2, 31
	s_ashr_i32 s9, s8, 31
	;; [unrolled: 1-line block ×3, first 2 shown]
	s_lshl_b64 s[6:7], s[2:3], 2
	s_lshl_b64 s[8:9], s[8:9], 2
	;; [unrolled: 1-line block ×3, first 2 shown]
	s_add_u32 s3, s12, s8
	s_addc_u32 s8, s13, s9
	s_add_u32 s6, s3, s6
	s_addc_u32 s7, s8, s7
	v_lshl_add_u64 v[4:5], s[6:7], 0, v[34:35]
	flat_store_dword v[4:5], v0
	v_lshl_add_u64 v[0:1], s[6:7], 0, v[24:25]
	flat_store_dword v[0:1], v2
.LBB283_552:
	s_or_b64 exec, exec, s[4:5]
	v_mov_b32_e32 v1, 0
	v_and_b32_e32 v48, 1, v6
	v_mov_b32_e32 v0, 0
	v_mov_b32_e32 v3, 0
	;; [unrolled: 1-line block ×7, first 2 shown]
	s_and_saveexec_b64 s[4:5], s[0:1]
	s_cbranch_execz .LBB283_1084
; %bb.553:
	s_ashr_i32 s17, s16, 31
	v_accvgpr_read_b32 v0, a2
	s_lshl_b64 s[0:1], s[16:17], 2
	v_lshlrev_b32_e32 v2, 3, v0
	s_getpc_b64 s[6:7]
	s_add_u32 s6, s6, llvm.amdgcn.dynlds.offset.table@rel32@lo+4
	s_addc_u32 s7, s7, llvm.amdgcn.dynlds.offset.table@rel32@hi+12
	s_add_u32 s0, s0, s6
	v_lshl_add_u64 v[0:1], v[26:27], 0, v[32:33]
	v_and_b32_e32 v10, 0x1f8, v2
	v_mov_b32_e32 v11, 0
	s_addc_u32 s1, s1, s7
	v_add_u32_e32 v38, -1, v20
	v_lshl_add_u64 v[20:21], v[0:1], 0, v[10:11]
	v_accvgpr_read_b32 v0, a10
	s_load_dword s0, s[0:1], 0x0
	v_accvgpr_read_b32 v1, a11
	v_lshlrev_b64 v[0:1], 2, v[0:1]
	v_lshl_add_u64 v[0:1], v[28:29], 2, v[0:1]
	v_lshl_add_u64 v[14:15], v[14:15], 0, v[0:1]
	v_lshlrev_b32_e32 v0, 5, v48
	v_and_b32_e32 v3, 8, v2
	v_lshl_or_b32 v0, v22, 6, v0
	v_accvgpr_read_b32 v13, a8
	v_add3_u32 v7, s21, v30, v3
	s_waitcnt lgkmcnt(0)
	v_add_u32_e32 v36, s0, v0
	s_mov_b64 s[6:7], 0
	s_movk_i32 s3, 0x7f
	s_movk_i32 s15, 0x80
	s_mov_b32 s17, 0x8000
	s_movk_i32 s22, 0x380
	s_mov_b32 s23, 0x3020706
	s_mov_b32 s24, 0x1000504
	;; [unrolled: 1-line block ×3, first 2 shown]
	v_mov_b32_e32 v39, 0x1c00
	v_mov_b32_e32 v24, 0
	v_mov_b32_e32 v25, 0
	v_mov_b32_e32 v8, 0
	v_mov_b32_e32 v9, 0
	v_mov_b32_e32 v2, 0
	v_mov_b32_e32 v3, 0
	v_mov_b32_e32 v0, 0
	v_mov_b32_e32 v1, 0
	s_branch .LBB283_555
.LBB283_554:                            ;   in Loop: Header=BB283_555 Depth=1
	s_or_b64 exec, exec, s[0:1]
	v_add_f32_e32 v4, v4, v5
	v_add_f32_e32 v8, v8, v4
	;; [unrolled: 1-line block ×10, first 2 shown]
	;;#ASMSTART
	v_pk_mul_f16 v4, v55, v29;

	;;#ASMEND
	;;#ASMSTART
	v_pk_mul_f16 v5, v40, v10;

	;;#ASMEND
	;; [unrolled: 4-line block ×4, first 2 shown]
	v_add_f32_e32 v16, v44, v45
	;;#ASMSTART
	v_pk_add_f16 v4, v4, v5;

	;;#ASMEND
	v_add_f32_e32 v24, v24, v16
	;;#ASMSTART
	v_pk_add_f16 v4, v4, v6;

	;;#ASMEND
	v_accvgpr_read_b32 v6, a10
	;;#ASMSTART
	v_pk_add_f16 v4, v4, v10;

	;;#ASMEND
	v_add_u32_e32 v6, 2, v6
	v_lshrrev_b32_e32 v5, 16, v4
	v_and_b32_e32 v4, 0xffff, v4
	;;#ASMSTART
	v_cvt_f32_f16 v4, v4;
	;;#ASMEND
	;;#ASMSTART
	v_cvt_f32_f16 v5, v5;
	;;#ASMEND
	v_add_f32_e32 v16, v46, v47
	v_add_f32_e32 v4, v4, v5
	;; [unrolled: 1-line block ×3, first 2 shown]
	v_accvgpr_read_b32 v4, a3
	v_cmp_ge_i32_e32 vcc, v6, v4
	v_add_f32_e32 v25, v25, v16
	v_lshl_add_u64 v[14:15], v[14:15], 0, 8
	v_add_u32_e32 v7, 32, v7
	v_accvgpr_write_b32 a10, v6
	s_or_b64 s[6:7], vcc, s[6:7]
	v_add_u32_e32 v36, 0x80, v36
	s_andn2_b64 exec, exec, s[6:7]
	s_cbranch_execz .LBB283_1083
.LBB283_555:                            ; =>This Inner Loop Header: Depth=1
	ds_read2_b64 v[26:29], v36 offset1:1
	ds_read2_b64 v[30:33], v36 offset0:2 offset1:3
	v_accvgpr_read_b32 v16, a6
                                        ; implicit-def: $sgpr20
	s_waitcnt lgkmcnt(0)
	;;#ASMSTART
	v_cvt_f16_f32 v4, v26;

	;;#ASMEND
	;;#ASMSTART
	v_cvt_f16_f32 v5, v27;

	;;#ASMEND
	;; [unrolled: 4-line block ×8, first 2 shown]
	flat_load_dword v10, v[14:15]
	v_accvgpr_read_b32 v33, a5
	v_accvgpr_read_b32 v32, a4
	flat_load_dword v28, v[32:33]
	s_waitcnt vmcnt(0) lgkmcnt(0)
	v_mad_i64_i32 v[18:19], s[0:1], v10, v16, v[20:21]
	flat_load_dwordx2 v[30:31], v[18:19]
	s_mov_b64 s[0:1], 0
	s_waitcnt vmcnt(0) lgkmcnt(0)
	v_cmp_gt_i16_sdwa s[8:9], v30, s3 src0_sel:BYTE_0 src1_sel:DWORD
	s_and_saveexec_b64 s[12:13], s[8:9]
	s_xor_b64 s[8:9], exec, s[12:13]
	s_cbranch_execnz .LBB283_827
; %bb.556:                              ;   in Loop: Header=BB283_555 Depth=1
	s_or_saveexec_b64 s[8:9], s[8:9]
	v_mov_b32_e32 v32, s20
	s_xor_b64 exec, exec, s[8:9]
	s_cbranch_execnz .LBB283_830
.LBB283_557:                            ;   in Loop: Header=BB283_555 Depth=1
	s_or_b64 exec, exec, s[8:9]
	s_and_saveexec_b64 s[8:9], s[0:1]
	s_cbranch_execz .LBB283_559
.LBB283_558:                            ;   in Loop: Header=BB283_555 Depth=1
	v_and_b32_e32 v10, 7, v30
	v_ffbh_u32_e32 v10, v10
	v_bfe_u32 v16, v30, 3, 4
	v_min_u32_e32 v10, 32, v10
	v_subrev_u32_e32 v26, 28, v10
	v_sub_u32_e32 v10, 29, v10
	v_cmp_eq_u32_e32 vcc, 0, v16
	s_nop 1
	v_cndmask_b32_e32 v10, v16, v10, vcc
	v_cndmask_b32_e32 v16, 0, v26, vcc
	v_lshlrev_b64 v[32:33], v16, v[30:31]
	v_lshlrev_b32_e32 v26, 8, v30
	v_lshl_add_u32 v10, v10, 10, v39
	v_lshlrev_b32_e32 v16, 7, v32
	v_and_or_b32 v10, v26, s17, v10
	v_and_or_b32 v10, v16, s22, v10
	v_cvt_f32_f16_e32 v32, v10
.LBB283_559:                            ;   in Loop: Header=BB283_555 Depth=1
	s_or_b64 exec, exec, s[8:9]
	v_lshrrev_b16_e32 v10, 8, v30
	v_cmp_lt_i16_e32 vcc, s3, v10
	s_mov_b64 s[0:1], 0
                                        ; implicit-def: $sgpr20
	s_and_saveexec_b64 s[8:9], vcc
	s_xor_b64 s[8:9], exec, s[8:9]
	s_cbranch_execnz .LBB283_831
; %bb.560:                              ;   in Loop: Header=BB283_555 Depth=1
	s_or_saveexec_b64 s[8:9], s[8:9]
	v_mov_b32_e32 v34, s20
	s_xor_b64 exec, exec, s[8:9]
	s_cbranch_execnz .LBB283_834
.LBB283_561:                            ;   in Loop: Header=BB283_555 Depth=1
	s_or_b64 exec, exec, s[8:9]
	s_and_saveexec_b64 s[8:9], s[0:1]
	s_cbranch_execz .LBB283_563
.LBB283_562:                            ;   in Loop: Header=BB283_555 Depth=1
	v_and_b32_e32 v16, 7, v10
	v_ffbh_u32_e32 v33, v16
	v_bfe_u32 v26, v10, 3, 4
	v_min_u32_e32 v33, 32, v33
	v_subrev_u32_e32 v34, 28, v33
	v_sub_u32_e32 v33, 29, v33
	v_cmp_eq_u32_e32 vcc, 0, v26
	v_lshlrev_b64 v[34:35], v34, v[10:11]
	v_and_b32_e32 v34, 7, v34
	v_cndmask_b32_e32 v26, v26, v33, vcc
	v_lshlrev_b32_e32 v10, 8, v10
	v_lshl_add_u32 v26, v26, 10, v39
	v_cndmask_b32_e32 v16, v16, v34, vcc
	v_and_or_b32 v10, v10, s17, v26
	v_lshl_or_b32 v10, v16, 7, v10
	v_cvt_f32_f16_e32 v34, v10
.LBB283_563:                            ;   in Loop: Header=BB283_555 Depth=1
	s_or_b64 exec, exec, s[8:9]
	v_lshrrev_b32_e32 v10, 16, v30
	v_cmp_gt_i16_sdwa s[8:9], v10, s3 src0_sel:BYTE_0 src1_sel:DWORD
	s_mov_b64 s[0:1], 0
                                        ; implicit-def: $sgpr20
	s_and_saveexec_b64 s[12:13], s[8:9]
	s_xor_b64 s[8:9], exec, s[12:13]
	s_cbranch_execnz .LBB283_835
; %bb.564:                              ;   in Loop: Header=BB283_555 Depth=1
	s_or_saveexec_b64 s[8:9], s[8:9]
	v_mov_b32_e32 v33, s20
	s_xor_b64 exec, exec, s[8:9]
	s_cbranch_execnz .LBB283_838
.LBB283_565:                            ;   in Loop: Header=BB283_555 Depth=1
	s_or_b64 exec, exec, s[8:9]
	s_and_saveexec_b64 s[8:9], s[0:1]
	s_cbranch_execz .LBB283_567
.LBB283_566:                            ;   in Loop: Header=BB283_555 Depth=1
	v_bfe_u32 v16, v30, 16, 3
	v_ffbh_u32_e32 v33, v16
	v_bfe_u32 v26, v30, 19, 4
	v_min_u32_e32 v33, 32, v33
	v_subrev_u32_e32 v35, 28, v33
	v_sub_u32_e32 v33, 29, v33
	v_cmp_eq_u32_e32 vcc, 0, v26
	v_lshlrev_b64 v[50:51], v35, v[10:11]
	v_and_b32_e32 v35, 7, v50
	v_cndmask_b32_e32 v26, v26, v33, vcc
	v_lshlrev_b32_e32 v10, 8, v10
	v_lshl_add_u32 v26, v26, 10, v39
	v_cndmask_b32_e32 v16, v16, v35, vcc
	v_and_or_b32 v10, v10, s17, v26
	v_lshl_or_b32 v10, v16, 7, v10
	v_cvt_f32_f16_e32 v33, v10
.LBB283_567:                            ;   in Loop: Header=BB283_555 Depth=1
	s_or_b64 exec, exec, s[8:9]
	v_lshrrev_b32_e32 v10, 24, v30
	v_cmp_lt_i16_e32 vcc, s3, v10
	s_mov_b64 s[0:1], 0
                                        ; implicit-def: $sgpr20
	s_and_saveexec_b64 s[8:9], vcc
	s_xor_b64 s[8:9], exec, s[8:9]
	s_cbranch_execnz .LBB283_839
; %bb.568:                              ;   in Loop: Header=BB283_555 Depth=1
	s_or_saveexec_b64 s[8:9], s[8:9]
	v_mov_b32_e32 v35, s20
	s_xor_b64 exec, exec, s[8:9]
	s_cbranch_execnz .LBB283_842
.LBB283_569:                            ;   in Loop: Header=BB283_555 Depth=1
	s_or_b64 exec, exec, s[8:9]
	s_and_saveexec_b64 s[8:9], s[0:1]
	s_cbranch_execz .LBB283_571
.LBB283_570:                            ;   in Loop: Header=BB283_555 Depth=1
	v_bfe_u32 v16, v30, 24, 3
	v_bfe_u32 v26, v30, 27, 4
	v_ffbh_u32_e32 v30, v16
	v_min_u32_e32 v30, 32, v30
	v_subrev_u32_e32 v35, 28, v30
	v_sub_u32_e32 v30, 29, v30
	v_cmp_eq_u32_e32 vcc, 0, v26
	v_lshlrev_b64 v[50:51], v35, v[10:11]
	v_and_b32_e32 v35, 7, v50
	v_cndmask_b32_e32 v26, v26, v30, vcc
	v_lshlrev_b32_e32 v10, 8, v10
	v_lshl_add_u32 v26, v26, 10, v39
	v_cndmask_b32_e32 v16, v16, v35, vcc
	v_and_or_b32 v10, v10, s17, v26
	v_lshl_or_b32 v10, v16, 7, v10
	v_cvt_f32_f16_e32 v35, v10
.LBB283_571:                            ;   in Loop: Header=BB283_555 Depth=1
	s_or_b64 exec, exec, s[8:9]
	v_cmp_gt_i16_sdwa s[8:9], v31, s3 src0_sel:BYTE_0 src1_sel:DWORD
	s_mov_b64 s[0:1], 0
                                        ; implicit-def: $sgpr20
	s_and_saveexec_b64 s[12:13], s[8:9]
	s_xor_b64 s[8:9], exec, s[12:13]
	s_cbranch_execnz .LBB283_843
; %bb.572:                              ;   in Loop: Header=BB283_555 Depth=1
	s_or_saveexec_b64 s[8:9], s[8:9]
	v_mov_b32_e32 v26, s20
	s_xor_b64 exec, exec, s[8:9]
	s_cbranch_execnz .LBB283_846
.LBB283_573:                            ;   in Loop: Header=BB283_555 Depth=1
	s_or_b64 exec, exec, s[8:9]
	v_mov_b32_e32 v10, v31
	s_and_saveexec_b64 s[8:9], s[0:1]
	s_cbranch_execz .LBB283_575
.LBB283_574:                            ;   in Loop: Header=BB283_555 Depth=1
	v_and_b32_e32 v16, 7, v31
	v_ffbh_u32_e32 v16, v16
	v_bfe_u32 v26, v31, 3, 4
	v_min_u32_e32 v16, 32, v16
	v_subrev_u32_e32 v30, 28, v16
	v_sub_u32_e32 v16, 29, v16
	v_cmp_eq_u32_e32 vcc, 0, v26
	s_nop 1
	v_cndmask_b32_e32 v16, v26, v16, vcc
	v_cndmask_b32_e32 v26, 0, v30, vcc
	v_lshlrev_b64 v[50:51], v26, v[10:11]
	v_lshlrev_b32_e32 v30, 8, v31
	v_lshl_add_u32 v16, v16, 10, v39
	v_lshlrev_b32_e32 v26, 7, v50
	v_and_or_b32 v16, v30, s17, v16
	v_and_or_b32 v16, v26, s22, v16
	v_cvt_f32_f16_e32 v26, v16
.LBB283_575:                            ;   in Loop: Header=BB283_555 Depth=1
	s_or_b64 exec, exec, s[8:9]
	v_lshrrev_b16_e32 v10, 8, v10
	v_cmp_lt_i16_e32 vcc, s3, v10
	s_mov_b64 s[0:1], 0
                                        ; implicit-def: $sgpr20
	s_and_saveexec_b64 s[8:9], vcc
	s_xor_b64 s[8:9], exec, s[8:9]
	s_cbranch_execnz .LBB283_847
; %bb.576:                              ;   in Loop: Header=BB283_555 Depth=1
	s_or_saveexec_b64 s[8:9], s[8:9]
	v_mov_b32_e32 v30, s20
	s_xor_b64 exec, exec, s[8:9]
	s_cbranch_execnz .LBB283_850
.LBB283_577:                            ;   in Loop: Header=BB283_555 Depth=1
	s_or_b64 exec, exec, s[8:9]
	s_and_saveexec_b64 s[8:9], s[0:1]
	s_cbranch_execz .LBB283_579
.LBB283_578:                            ;   in Loop: Header=BB283_555 Depth=1
	v_and_b32_e32 v16, 7, v10
	v_ffbh_u32_e32 v49, v16
	v_bfe_u32 v30, v10, 3, 4
	v_min_u32_e32 v49, 32, v49
	v_subrev_u32_e32 v50, 28, v49
	v_sub_u32_e32 v49, 29, v49
	v_cmp_eq_u32_e32 vcc, 0, v30
	v_lshlrev_b64 v[50:51], v50, v[10:11]
	v_and_b32_e32 v50, 7, v50
	v_cndmask_b32_e32 v30, v30, v49, vcc
	v_lshlrev_b32_e32 v10, 8, v10
	v_lshl_add_u32 v30, v30, 10, v39
	v_cndmask_b32_e32 v16, v16, v50, vcc
	v_and_or_b32 v10, v10, s17, v30
	v_lshl_or_b32 v10, v16, 7, v10
	v_cvt_f32_f16_e32 v30, v10
.LBB283_579:                            ;   in Loop: Header=BB283_555 Depth=1
	s_or_b64 exec, exec, s[8:9]
	v_lshrrev_b32_e32 v10, 16, v31
	v_cmp_gt_i16_sdwa s[8:9], v10, s3 src0_sel:BYTE_0 src1_sel:DWORD
	s_mov_b64 s[0:1], 0
                                        ; implicit-def: $sgpr20
	s_and_saveexec_b64 s[12:13], s[8:9]
	s_xor_b64 s[8:9], exec, s[12:13]
	s_cbranch_execnz .LBB283_851
; %bb.580:                              ;   in Loop: Header=BB283_555 Depth=1
	s_or_saveexec_b64 s[8:9], s[8:9]
	v_mov_b32_e32 v49, s20
	s_xor_b64 exec, exec, s[8:9]
	s_cbranch_execnz .LBB283_854
.LBB283_581:                            ;   in Loop: Header=BB283_555 Depth=1
	s_or_b64 exec, exec, s[8:9]
	s_and_saveexec_b64 s[8:9], s[0:1]
	s_cbranch_execz .LBB283_583
.LBB283_582:                            ;   in Loop: Header=BB283_555 Depth=1
	v_bfe_u32 v16, v31, 16, 3
	v_ffbh_u32_e32 v50, v16
	v_min_u32_e32 v52, 32, v50
	v_subrev_u32_e32 v50, 28, v52
	v_bfe_u32 v49, v31, 19, 4
	v_lshlrev_b64 v[50:51], v50, v[10:11]
	v_sub_u32_e32 v51, 29, v52
	v_cmp_eq_u32_e32 vcc, 0, v49
	v_and_b32_e32 v50, 7, v50
	v_lshlrev_b32_e32 v10, 8, v10
	v_cndmask_b32_e32 v49, v49, v51, vcc
	v_lshl_add_u32 v49, v49, 10, v39
	v_cndmask_b32_e32 v16, v16, v50, vcc
	v_and_or_b32 v10, v10, s17, v49
	v_lshl_or_b32 v10, v16, 7, v10
	v_cvt_f32_f16_e32 v49, v10
.LBB283_583:                            ;   in Loop: Header=BB283_555 Depth=1
	s_or_b64 exec, exec, s[8:9]
	v_lshrrev_b32_e32 v10, 24, v31
	v_cmp_lt_i16_e32 vcc, s3, v10
	s_mov_b64 s[0:1], 0
                                        ; implicit-def: $sgpr20
	s_and_saveexec_b64 s[8:9], vcc
	s_xor_b64 s[8:9], exec, s[8:9]
	s_cbranch_execnz .LBB283_855
; %bb.584:                              ;   in Loop: Header=BB283_555 Depth=1
	s_or_saveexec_b64 s[8:9], s[8:9]
	v_mov_b32_e32 v50, s20
	s_xor_b64 exec, exec, s[8:9]
	s_cbranch_execnz .LBB283_858
.LBB283_585:                            ;   in Loop: Header=BB283_555 Depth=1
	s_or_b64 exec, exec, s[8:9]
	s_and_saveexec_b64 s[8:9], s[0:1]
	s_cbranch_execz .LBB283_587
.LBB283_586:                            ;   in Loop: Header=BB283_555 Depth=1
	v_bfe_u32 v16, v31, 24, 3
	v_ffbh_u32_e32 v50, v16
	v_min_u32_e32 v52, 32, v50
	v_subrev_u32_e32 v50, 28, v52
	v_bfe_u32 v31, v31, 27, 4
	v_lshlrev_b64 v[50:51], v50, v[10:11]
	v_sub_u32_e32 v51, 29, v52
	v_cmp_eq_u32_e32 vcc, 0, v31
	v_and_b32_e32 v50, 7, v50
	v_lshlrev_b32_e32 v10, 8, v10
	v_cndmask_b32_e32 v31, v31, v51, vcc
	v_lshl_add_u32 v31, v31, 10, v39
	v_cndmask_b32_e32 v16, v16, v50, vcc
	v_and_or_b32 v10, v10, s17, v31
	v_lshl_or_b32 v10, v16, 7, v10
	v_cvt_f32_f16_e32 v50, v10
.LBB283_587:                            ;   in Loop: Header=BB283_555 Depth=1
	s_or_b64 exec, exec, s[8:9]
	v_pk_mul_f32 v[34:35], v[28:29], v[34:35] op_sel_hi:[0,1]
	v_pk_mul_f32 v[32:33], v[28:29], v[32:33] op_sel_hi:[0,1]
	v_cvt_f16_f32_e32 v10, v35
	v_cvt_f16_f32_e32 v16, v34
	;; [unrolled: 1-line block ×4, first 2 shown]
	v_fma_mixlo_f16 v26, v28, v26, 0
	v_pack_b32_f16 v16, v16, v10
	v_accvgpr_read_b32 v34, a10
	v_pack_b32_f16 v31, v32, v31
	v_perm_b32 v10, v31, v16, s23
	v_perm_b32 v31, v31, v16, s24
	v_fma_mixlo_f16 v16, v28, v30, 0
	v_lshlrev_b32_e32 v16, 16, v16
	v_or_b32_sdwa v26, v16, v26 dst_sel:DWORD dst_unused:UNUSED_PAD src0_sel:DWORD src1_sel:WORD_0
	v_fma_mixlo_f16 v16, v28, v50, 0
	v_fma_mixlo_f16 v30, v28, v49, 0
	v_lshlrev_b32_e32 v16, 16, v16
	v_cmp_eq_u32_e32 vcc, v38, v34
	v_or_b32_sdwa v28, v16, v30 dst_sel:DWORD dst_unused:UNUSED_PAD src0_sel:DWORD src1_sel:WORD_0
	v_add_u32_e32 v43, 1, v7
	v_or_b32_e32 v54, 3, v7
	v_or_b32_e32 v53, 2, v7
	;; [unrolled: 1-line block ×6, first 2 shown]
	s_and_saveexec_b64 s[8:9], vcc
	s_cbranch_execz .LBB283_589
; %bb.588:                              ;   in Loop: Header=BB283_555 Depth=1
	v_lshrrev_b32_e32 v16, 16, v31
	v_cmp_lt_i32_e64 s[0:1], v43, v13
	v_accvgpr_read_b32 v32, a8
	s_nop 0
	v_cndmask_b32_e64 v16, 0, v16, s[0:1]
	v_cmp_lt_i32_e64 s[0:1], v7, v32
	s_nop 1
	v_cndmask_b32_e64 v31, 0, v31, s[0:1]
	v_perm_b32 v31, v16, v31, s25
	v_lshrrev_b32_e32 v16, 16, v10
	v_cmp_lt_i32_e64 s[0:1], v54, v13
	s_nop 1
	v_cndmask_b32_e64 v16, 0, v16, s[0:1]
	v_cmp_lt_i32_e64 s[0:1], v53, v32
	s_nop 1
	v_cndmask_b32_e64 v10, 0, v10, s[0:1]
	v_perm_b32 v10, v16, v10, s25
	v_lshrrev_b32_e32 v16, 16, v26
	v_cmp_lt_i32_e64 s[0:1], v52, v13
	;; [unrolled: 8-line block ×3, first 2 shown]
	s_nop 1
	v_cndmask_b32_e64 v16, 0, v16, s[0:1]
	v_cmp_lt_i32_e64 s[0:1], v49, v32
	s_nop 1
	v_cndmask_b32_e64 v28, 0, v30, s[0:1]
	v_perm_b32 v28, v16, v28, s25
.LBB283_589:                            ;   in Loop: Header=BB283_555 Depth=1
	s_or_b64 exec, exec, s[8:9]
	v_and_b32_e32 v4, 0xffff, v4
	v_lshl_or_b32 v55, v5, 16, v4
	v_and_b32_e32 v4, 0xffff, v6
	v_lshl_or_b32 v40, v12, 16, v4
	;; [unrolled: 2-line block ×4, first 2 shown]
	;;#ASMSTART
	v_pk_mul_f16 v4, v55, v31;

	;;#ASMEND
	;;#ASMSTART
	v_pk_mul_f16 v5, v40, v10;

	;;#ASMEND
	;; [unrolled: 4-line block ×4, first 2 shown]
	s_mov_b64 s[0:1], 0
	;;#ASMSTART
	v_pk_add_f16 v4, v4, v5;

	;;#ASMEND
                                        ; implicit-def: $sgpr20
	s_nop 0
	;;#ASMSTART
	v_pk_add_f16 v4, v4, v6;

	;;#ASMEND
	s_nop 0
	;;#ASMSTART
	v_pk_add_f16 v4, v4, v10;

	;;#ASMEND
	s_nop 0
	v_lshrrev_b32_e32 v5, 16, v4
	v_and_b32_e32 v4, 0xffff, v4
	;;#ASMSTART
	v_cvt_f32_f16 v44, v4;
	;;#ASMEND
	;;#ASMSTART
	v_cvt_f32_f16 v45, v5;
	;;#ASMEND
	v_accvgpr_read_b32 v4, a4
	flat_load_dwordx2 v[30:31], v[18:19] offset:512
	v_accvgpr_read_b32 v5, a5
	flat_load_dword v28, v[4:5]
	s_waitcnt vmcnt(0) lgkmcnt(0)
	v_cmp_gt_i16_sdwa s[8:9], v30, s3 src0_sel:BYTE_0 src1_sel:DWORD
	s_and_saveexec_b64 s[12:13], s[8:9]
	s_xor_b64 s[8:9], exec, s[12:13]
	s_cbranch_execnz .LBB283_859
; %bb.590:                              ;   in Loop: Header=BB283_555 Depth=1
	s_or_saveexec_b64 s[8:9], s[8:9]
	v_mov_b32_e32 v32, s20
	s_xor_b64 exec, exec, s[8:9]
	s_cbranch_execnz .LBB283_862
.LBB283_591:                            ;   in Loop: Header=BB283_555 Depth=1
	s_or_b64 exec, exec, s[8:9]
	s_and_saveexec_b64 s[8:9], s[0:1]
	s_cbranch_execz .LBB283_593
.LBB283_592:                            ;   in Loop: Header=BB283_555 Depth=1
	v_and_b32_e32 v4, 7, v30
	v_ffbh_u32_e32 v4, v4
	v_bfe_u32 v5, v30, 3, 4
	v_min_u32_e32 v4, 32, v4
	v_subrev_u32_e32 v6, 28, v4
	v_sub_u32_e32 v4, 29, v4
	v_cmp_eq_u32_e64 s[0:1], 0, v5
	s_nop 1
	v_cndmask_b32_e64 v10, v5, v4, s[0:1]
	v_cndmask_b32_e64 v4, 0, v6, s[0:1]
	v_lshlrev_b64 v[4:5], v4, v[30:31]
	v_lshlrev_b32_e32 v5, 8, v30
	v_lshl_add_u32 v6, v10, 10, v39
	v_lshlrev_b32_e32 v4, 7, v4
	v_and_or_b32 v5, v5, s17, v6
	v_and_or_b32 v4, v4, s22, v5
	v_cvt_f32_f16_e32 v32, v4
.LBB283_593:                            ;   in Loop: Header=BB283_555 Depth=1
	s_or_b64 exec, exec, s[8:9]
	v_lshrrev_b16_e32 v10, 8, v30
	v_cmp_lt_i16_e64 s[0:1], s3, v10
	s_mov_b64 s[8:9], 0
                                        ; implicit-def: $sgpr26
	s_and_saveexec_b64 s[12:13], s[0:1]
	s_xor_b64 s[12:13], exec, s[12:13]
	s_cbranch_execnz .LBB283_863
; %bb.594:                              ;   in Loop: Header=BB283_555 Depth=1
	s_or_saveexec_b64 s[12:13], s[12:13]
	v_mov_b32_e32 v34, s26
	s_xor_b64 exec, exec, s[12:13]
	s_cbranch_execnz .LBB283_866
.LBB283_595:                            ;   in Loop: Header=BB283_555 Depth=1
	s_or_b64 exec, exec, s[12:13]
	s_and_saveexec_b64 s[12:13], s[8:9]
	s_cbranch_execz .LBB283_597
.LBB283_596:                            ;   in Loop: Header=BB283_555 Depth=1
	v_and_b32_e32 v6, 7, v10
	v_ffbh_u32_e32 v4, v6
	v_min_u32_e32 v16, 32, v4
	v_subrev_u32_e32 v4, 28, v16
	v_bfe_u32 v12, v10, 3, 4
	v_lshlrev_b64 v[4:5], v4, v[10:11]
	v_sub_u32_e32 v5, 29, v16
	v_cmp_eq_u32_e64 s[0:1], 0, v12
	v_and_b32_e32 v4, 7, v4
	s_nop 0
	v_cndmask_b32_e64 v5, v12, v5, s[0:1]
	v_cndmask_b32_e64 v4, v6, v4, s[0:1]
	v_lshlrev_b32_e32 v6, 8, v10
	v_lshl_add_u32 v5, v5, 10, v39
	v_and_or_b32 v5, v6, s17, v5
	v_lshl_or_b32 v4, v4, 7, v5
	v_cvt_f32_f16_e32 v34, v4
.LBB283_597:                            ;   in Loop: Header=BB283_555 Depth=1
	s_or_b64 exec, exec, s[12:13]
	v_lshrrev_b32_e32 v10, 16, v30
	v_cmp_gt_i16_sdwa s[8:9], v10, s3 src0_sel:BYTE_0 src1_sel:DWORD
	s_mov_b64 s[0:1], 0
                                        ; implicit-def: $sgpr20
	s_and_saveexec_b64 s[12:13], s[8:9]
	s_xor_b64 s[8:9], exec, s[12:13]
	s_cbranch_execnz .LBB283_867
; %bb.598:                              ;   in Loop: Header=BB283_555 Depth=1
	s_or_saveexec_b64 s[8:9], s[8:9]
	v_mov_b32_e32 v33, s20
	s_xor_b64 exec, exec, s[8:9]
	s_cbranch_execnz .LBB283_870
.LBB283_599:                            ;   in Loop: Header=BB283_555 Depth=1
	s_or_b64 exec, exec, s[8:9]
	s_and_saveexec_b64 s[8:9], s[0:1]
	s_cbranch_execz .LBB283_601
.LBB283_600:                            ;   in Loop: Header=BB283_555 Depth=1
	v_bfe_u32 v6, v30, 16, 3
	v_ffbh_u32_e32 v4, v6
	v_min_u32_e32 v16, 32, v4
	v_subrev_u32_e32 v4, 28, v16
	v_bfe_u32 v12, v30, 19, 4
	v_lshlrev_b64 v[4:5], v4, v[10:11]
	v_sub_u32_e32 v5, 29, v16
	v_cmp_eq_u32_e64 s[0:1], 0, v12
	v_and_b32_e32 v4, 7, v4
	s_nop 0
	v_cndmask_b32_e64 v5, v12, v5, s[0:1]
	v_cndmask_b32_e64 v4, v6, v4, s[0:1]
	v_lshlrev_b32_e32 v6, 8, v10
	v_lshl_add_u32 v5, v5, 10, v39
	v_and_or_b32 v5, v6, s17, v5
	v_lshl_or_b32 v4, v4, 7, v5
	v_cvt_f32_f16_e32 v33, v4
.LBB283_601:                            ;   in Loop: Header=BB283_555 Depth=1
	s_or_b64 exec, exec, s[8:9]
	v_lshrrev_b32_e32 v10, 24, v30
	v_cmp_lt_i16_e64 s[0:1], s3, v10
	s_mov_b64 s[8:9], 0
                                        ; implicit-def: $sgpr26
	s_and_saveexec_b64 s[12:13], s[0:1]
	s_xor_b64 s[12:13], exec, s[12:13]
	s_cbranch_execnz .LBB283_871
; %bb.602:                              ;   in Loop: Header=BB283_555 Depth=1
	s_or_saveexec_b64 s[12:13], s[12:13]
	v_mov_b32_e32 v35, s26
	s_xor_b64 exec, exec, s[12:13]
	s_cbranch_execnz .LBB283_874
.LBB283_603:                            ;   in Loop: Header=BB283_555 Depth=1
	s_or_b64 exec, exec, s[12:13]
	s_and_saveexec_b64 s[12:13], s[8:9]
	s_cbranch_execz .LBB283_605
.LBB283_604:                            ;   in Loop: Header=BB283_555 Depth=1
	v_bfe_u32 v6, v30, 24, 3
	v_ffbh_u32_e32 v4, v6
	v_min_u32_e32 v16, 32, v4
	v_subrev_u32_e32 v4, 28, v16
	v_bfe_u32 v12, v30, 27, 4
	v_lshlrev_b64 v[4:5], v4, v[10:11]
	v_sub_u32_e32 v5, 29, v16
	v_cmp_eq_u32_e64 s[0:1], 0, v12
	v_and_b32_e32 v4, 7, v4
	s_nop 0
	v_cndmask_b32_e64 v5, v12, v5, s[0:1]
	v_cndmask_b32_e64 v4, v6, v4, s[0:1]
	v_lshlrev_b32_e32 v6, 8, v10
	v_lshl_add_u32 v5, v5, 10, v39
	v_and_or_b32 v5, v6, s17, v5
	v_lshl_or_b32 v4, v4, 7, v5
	v_cvt_f32_f16_e32 v35, v4
.LBB283_605:                            ;   in Loop: Header=BB283_555 Depth=1
	s_or_b64 exec, exec, s[12:13]
	v_cmp_gt_i16_sdwa s[8:9], v31, s3 src0_sel:BYTE_0 src1_sel:DWORD
	s_mov_b64 s[0:1], 0
                                        ; implicit-def: $sgpr20
	s_and_saveexec_b64 s[12:13], s[8:9]
	s_xor_b64 s[8:9], exec, s[12:13]
	s_cbranch_execnz .LBB283_875
; %bb.606:                              ;   in Loop: Header=BB283_555 Depth=1
	s_or_saveexec_b64 s[8:9], s[8:9]
	v_mov_b32_e32 v4, s20
	s_xor_b64 exec, exec, s[8:9]
	s_cbranch_execnz .LBB283_878
.LBB283_607:                            ;   in Loop: Header=BB283_555 Depth=1
	s_or_b64 exec, exec, s[8:9]
	v_mov_b32_e32 v10, v31
	s_and_saveexec_b64 s[8:9], s[0:1]
	s_cbranch_execz .LBB283_609
.LBB283_608:                            ;   in Loop: Header=BB283_555 Depth=1
	v_and_b32_e32 v4, 7, v31
	v_ffbh_u32_e32 v4, v4
	v_bfe_u32 v5, v31, 3, 4
	v_min_u32_e32 v4, 32, v4
	v_subrev_u32_e32 v6, 28, v4
	v_sub_u32_e32 v4, 29, v4
	v_cmp_eq_u32_e64 s[0:1], 0, v5
	s_nop 1
	v_cndmask_b32_e64 v12, v5, v4, s[0:1]
	v_cndmask_b32_e64 v4, 0, v6, s[0:1]
	v_lshlrev_b64 v[4:5], v4, v[10:11]
	v_lshlrev_b32_e32 v5, 8, v31
	v_lshl_add_u32 v6, v12, 10, v39
	v_lshlrev_b32_e32 v4, 7, v4
	v_and_or_b32 v5, v5, s17, v6
	v_and_or_b32 v4, v4, s22, v5
	v_cvt_f32_f16_e32 v4, v4
.LBB283_609:                            ;   in Loop: Header=BB283_555 Depth=1
	s_or_b64 exec, exec, s[8:9]
	v_lshrrev_b16_e32 v10, 8, v10
	v_cmp_lt_i16_e64 s[0:1], s3, v10
	s_mov_b64 s[8:9], 0
                                        ; implicit-def: $sgpr26
	s_and_saveexec_b64 s[12:13], s[0:1]
	s_xor_b64 s[12:13], exec, s[12:13]
	s_cbranch_execnz .LBB283_879
; %bb.610:                              ;   in Loop: Header=BB283_555 Depth=1
	s_or_saveexec_b64 s[12:13], s[12:13]
	v_mov_b32_e32 v5, s26
	s_xor_b64 exec, exec, s[12:13]
	s_cbranch_execnz .LBB283_882
.LBB283_611:                            ;   in Loop: Header=BB283_555 Depth=1
	s_or_b64 exec, exec, s[12:13]
	s_and_saveexec_b64 s[12:13], s[8:9]
	s_cbranch_execz .LBB283_613
.LBB283_612:                            ;   in Loop: Header=BB283_555 Depth=1
	v_and_b32_e32 v5, 7, v10
	v_ffbh_u32_e32 v12, v5
	v_bfe_u32 v6, v10, 3, 4
	v_min_u32_e32 v12, 32, v12
	v_subrev_u32_e32 v16, 28, v12
	v_sub_u32_e32 v12, 29, v12
	v_cmp_eq_u32_e64 s[0:1], 0, v6
	v_lshlrev_b64 v[26:27], v16, v[10:11]
	v_and_b32_e32 v16, 7, v26
	v_cndmask_b32_e64 v6, v6, v12, s[0:1]
	v_lshlrev_b32_e32 v10, 8, v10
	v_lshl_add_u32 v6, v6, 10, v39
	v_cndmask_b32_e64 v5, v5, v16, s[0:1]
	v_and_or_b32 v6, v10, s17, v6
	v_lshl_or_b32 v5, v5, 7, v6
	v_cvt_f32_f16_e32 v5, v5
.LBB283_613:                            ;   in Loop: Header=BB283_555 Depth=1
	s_or_b64 exec, exec, s[12:13]
	v_lshrrev_b32_e32 v10, 16, v31
	v_cmp_gt_i16_sdwa s[8:9], v10, s3 src0_sel:BYTE_0 src1_sel:DWORD
	s_mov_b64 s[0:1], 0
                                        ; implicit-def: $sgpr20
	s_and_saveexec_b64 s[12:13], s[8:9]
	s_xor_b64 s[8:9], exec, s[12:13]
	s_cbranch_execnz .LBB283_883
; %bb.614:                              ;   in Loop: Header=BB283_555 Depth=1
	s_or_saveexec_b64 s[8:9], s[8:9]
	v_mov_b32_e32 v6, s20
	s_xor_b64 exec, exec, s[8:9]
	s_cbranch_execnz .LBB283_886
.LBB283_615:                            ;   in Loop: Header=BB283_555 Depth=1
	s_or_b64 exec, exec, s[8:9]
	s_and_saveexec_b64 s[8:9], s[0:1]
	s_cbranch_execz .LBB283_617
.LBB283_616:                            ;   in Loop: Header=BB283_555 Depth=1
	v_bfe_u32 v6, v31, 16, 3
	v_ffbh_u32_e32 v16, v6
	v_bfe_u32 v12, v31, 19, 4
	v_min_u32_e32 v16, 32, v16
	v_subrev_u32_e32 v17, 28, v16
	v_sub_u32_e32 v16, 29, v16
	v_cmp_eq_u32_e64 s[0:1], 0, v12
	v_lshlrev_b64 v[26:27], v17, v[10:11]
	v_and_b32_e32 v17, 7, v26
	v_cndmask_b32_e64 v12, v12, v16, s[0:1]
	v_lshlrev_b32_e32 v10, 8, v10
	v_lshl_add_u32 v12, v12, 10, v39
	v_cndmask_b32_e64 v6, v6, v17, s[0:1]
	v_and_or_b32 v10, v10, s17, v12
	v_lshl_or_b32 v6, v6, 7, v10
	v_cvt_f32_f16_e32 v6, v6
.LBB283_617:                            ;   in Loop: Header=BB283_555 Depth=1
	s_or_b64 exec, exec, s[8:9]
	v_lshrrev_b32_e32 v10, 24, v31
	v_cmp_lt_i16_e64 s[0:1], s3, v10
	s_mov_b64 s[8:9], 0
                                        ; implicit-def: $sgpr26
	s_and_saveexec_b64 s[12:13], s[0:1]
	s_xor_b64 s[12:13], exec, s[12:13]
	s_cbranch_execnz .LBB283_887
; %bb.618:                              ;   in Loop: Header=BB283_555 Depth=1
	s_or_saveexec_b64 s[12:13], s[12:13]
	v_mov_b32_e32 v17, s26
	s_xor_b64 exec, exec, s[12:13]
	s_cbranch_execnz .LBB283_890
.LBB283_619:                            ;   in Loop: Header=BB283_555 Depth=1
	s_or_b64 exec, exec, s[12:13]
	s_and_saveexec_b64 s[12:13], s[8:9]
	s_cbranch_execz .LBB283_621
.LBB283_620:                            ;   in Loop: Header=BB283_555 Depth=1
	v_bfe_u32 v12, v31, 24, 3
	v_ffbh_u32_e32 v17, v12
	v_bfe_u32 v16, v31, 27, 4
	v_min_u32_e32 v17, 32, v17
	v_subrev_u32_e32 v22, 28, v17
	v_sub_u32_e32 v17, 29, v17
	v_cmp_eq_u32_e64 s[0:1], 0, v16
	v_lshlrev_b64 v[26:27], v22, v[10:11]
	v_and_b32_e32 v22, 7, v26
	v_cndmask_b32_e64 v16, v16, v17, s[0:1]
	v_lshlrev_b32_e32 v10, 8, v10
	v_lshl_add_u32 v16, v16, 10, v39
	v_cndmask_b32_e64 v12, v12, v22, s[0:1]
	v_and_or_b32 v10, v10, s17, v16
	v_lshl_or_b32 v10, v12, 7, v10
	v_cvt_f32_f16_e32 v17, v10
.LBB283_621:                            ;   in Loop: Header=BB283_555 Depth=1
	s_or_b64 exec, exec, s[12:13]
	v_pk_mul_f32 v[26:27], v[28:29], v[34:35] op_sel_hi:[0,1]
	v_pk_mul_f32 v[30:31], v[28:29], v[32:33] op_sel_hi:[0,1]
	v_cvt_f16_f32_e32 v10, v27
	v_cvt_f16_f32_e32 v12, v26
	;; [unrolled: 1-line block ×4, first 2 shown]
	v_fma_mixlo_f16 v5, v28, v5, 0
	v_lshlrev_b32_e32 v5, 16, v5
	v_fma_mixlo_f16 v4, v28, v4, 0
	v_or_b32_sdwa v4, v5, v4 dst_sel:DWORD dst_unused:UNUSED_PAD src0_sel:DWORD src1_sel:WORD_0
	v_fma_mixlo_f16 v5, v28, v17, 0
	v_pack_b32_f16 v12, v12, v10
	v_pack_b32_f16 v16, v22, v16
	v_fma_mixlo_f16 v6, v28, v6, 0
	v_lshlrev_b32_e32 v5, 16, v5
	v_perm_b32 v10, v16, v12, s23
	v_perm_b32 v12, v16, v12, s24
	v_or_b32_sdwa v5, v5, v6 dst_sel:DWORD dst_unused:UNUSED_PAD src0_sel:DWORD src1_sel:WORD_0
	s_and_saveexec_b64 s[8:9], vcc
	s_cbranch_execz .LBB283_623
; %bb.622:                              ;   in Loop: Header=BB283_555 Depth=1
	v_lshrrev_b32_e32 v16, 16, v12
	v_cmp_lt_i32_e64 s[0:1], v43, v13
	v_accvgpr_read_b32 v22, a8
	v_lshrrev_b32_e32 v5, 16, v5
	v_cndmask_b32_e64 v16, 0, v16, s[0:1]
	v_cmp_lt_i32_e64 s[0:1], v7, v22
	s_nop 1
	v_cndmask_b32_e64 v12, 0, v12, s[0:1]
	v_perm_b32 v12, v16, v12, s25
	v_lshrrev_b32_e32 v16, 16, v10
	v_cmp_lt_i32_e64 s[0:1], v54, v13
	s_nop 1
	v_cndmask_b32_e64 v16, 0, v16, s[0:1]
	v_cmp_lt_i32_e64 s[0:1], v53, v22
	s_nop 1
	v_cndmask_b32_e64 v10, 0, v10, s[0:1]
	v_perm_b32 v10, v16, v10, s25
	v_lshrrev_b32_e32 v16, 16, v4
	v_cmp_lt_i32_e64 s[0:1], v52, v13
	s_nop 1
	v_cndmask_b32_e64 v16, 0, v16, s[0:1]
	v_cmp_lt_i32_e64 s[0:1], v51, v22
	s_nop 1
	v_cndmask_b32_e64 v4, 0, v4, s[0:1]
	v_cmp_lt_i32_e64 s[0:1], v50, v13
	v_perm_b32 v4, v16, v4, s25
	s_nop 0
	v_cndmask_b32_e64 v5, 0, v5, s[0:1]
	v_cmp_lt_i32_e64 s[0:1], v49, v22
	s_nop 1
	v_cndmask_b32_e64 v6, 0, v6, s[0:1]
	v_perm_b32 v5, v5, v6, s25
.LBB283_623:                            ;   in Loop: Header=BB283_555 Depth=1
	s_or_b64 exec, exec, s[8:9]
	;;#ASMSTART
	v_pk_mul_f16 v6, v55, v12;

	;;#ASMEND
	;;#ASMSTART
	v_pk_mul_f16 v10, v40, v10;

	;;#ASMEND
	;; [unrolled: 4-line block ×4, first 2 shown]
	s_mov_b64 s[0:1], 0
	;;#ASMSTART
	v_pk_add_f16 v6, v6, v10;

	;;#ASMEND
                                        ; implicit-def: $sgpr20
	s_nop 0
	;;#ASMSTART
	v_pk_add_f16 v4, v6, v4;

	;;#ASMEND
	s_nop 0
	;;#ASMSTART
	v_pk_add_f16 v4, v4, v5;

	;;#ASMEND
	s_nop 0
	v_lshrrev_b32_e32 v5, 16, v4
	v_and_b32_e32 v4, 0xffff, v4
	;;#ASMSTART
	v_cvt_f32_f16 v46, v4;
	;;#ASMEND
	;;#ASMSTART
	v_cvt_f32_f16 v47, v5;
	;;#ASMEND
	v_accvgpr_read_b32 v4, a4
	flat_load_dwordx2 v[30:31], v[18:19] offset:1024
	v_accvgpr_read_b32 v5, a5
	flat_load_dword v28, v[4:5]
	s_waitcnt vmcnt(0) lgkmcnt(0)
	v_cmp_gt_i16_sdwa s[8:9], v30, s3 src0_sel:BYTE_0 src1_sel:DWORD
	s_and_saveexec_b64 s[12:13], s[8:9]
	s_xor_b64 s[8:9], exec, s[12:13]
	s_cbranch_execnz .LBB283_891
; %bb.624:                              ;   in Loop: Header=BB283_555 Depth=1
	s_or_saveexec_b64 s[8:9], s[8:9]
	v_mov_b32_e32 v32, s20
	s_xor_b64 exec, exec, s[8:9]
	s_cbranch_execnz .LBB283_894
.LBB283_625:                            ;   in Loop: Header=BB283_555 Depth=1
	s_or_b64 exec, exec, s[8:9]
	s_and_saveexec_b64 s[8:9], s[0:1]
	s_cbranch_execz .LBB283_627
.LBB283_626:                            ;   in Loop: Header=BB283_555 Depth=1
	v_and_b32_e32 v4, 7, v30
	v_ffbh_u32_e32 v4, v4
	v_bfe_u32 v5, v30, 3, 4
	v_min_u32_e32 v4, 32, v4
	v_subrev_u32_e32 v6, 28, v4
	v_sub_u32_e32 v4, 29, v4
	v_cmp_eq_u32_e64 s[0:1], 0, v5
	s_nop 1
	v_cndmask_b32_e64 v10, v5, v4, s[0:1]
	v_cndmask_b32_e64 v4, 0, v6, s[0:1]
	v_lshlrev_b64 v[4:5], v4, v[30:31]
	v_lshlrev_b32_e32 v5, 8, v30
	v_lshl_add_u32 v6, v10, 10, v39
	v_lshlrev_b32_e32 v4, 7, v4
	v_and_or_b32 v5, v5, s17, v6
	v_and_or_b32 v4, v4, s22, v5
	v_cvt_f32_f16_e32 v32, v4
.LBB283_627:                            ;   in Loop: Header=BB283_555 Depth=1
	s_or_b64 exec, exec, s[8:9]
	v_lshrrev_b16_e32 v10, 8, v30
	v_cmp_lt_i16_e64 s[0:1], s3, v10
	s_mov_b64 s[8:9], 0
                                        ; implicit-def: $sgpr26
	s_and_saveexec_b64 s[12:13], s[0:1]
	s_xor_b64 s[12:13], exec, s[12:13]
	s_cbranch_execnz .LBB283_895
; %bb.628:                              ;   in Loop: Header=BB283_555 Depth=1
	s_or_saveexec_b64 s[12:13], s[12:13]
	v_mov_b32_e32 v34, s26
	s_xor_b64 exec, exec, s[12:13]
	s_cbranch_execnz .LBB283_898
.LBB283_629:                            ;   in Loop: Header=BB283_555 Depth=1
	s_or_b64 exec, exec, s[12:13]
	s_and_saveexec_b64 s[12:13], s[8:9]
	s_cbranch_execz .LBB283_631
.LBB283_630:                            ;   in Loop: Header=BB283_555 Depth=1
	v_and_b32_e32 v6, 7, v10
	v_ffbh_u32_e32 v4, v6
	v_min_u32_e32 v16, 32, v4
	v_subrev_u32_e32 v4, 28, v16
	v_bfe_u32 v12, v10, 3, 4
	v_lshlrev_b64 v[4:5], v4, v[10:11]
	v_sub_u32_e32 v5, 29, v16
	v_cmp_eq_u32_e64 s[0:1], 0, v12
	v_and_b32_e32 v4, 7, v4
	s_nop 0
	v_cndmask_b32_e64 v5, v12, v5, s[0:1]
	v_cndmask_b32_e64 v4, v6, v4, s[0:1]
	v_lshlrev_b32_e32 v6, 8, v10
	v_lshl_add_u32 v5, v5, 10, v39
	v_and_or_b32 v5, v6, s17, v5
	v_lshl_or_b32 v4, v4, 7, v5
	v_cvt_f32_f16_e32 v34, v4
.LBB283_631:                            ;   in Loop: Header=BB283_555 Depth=1
	s_or_b64 exec, exec, s[12:13]
	v_lshrrev_b32_e32 v10, 16, v30
	v_cmp_gt_i16_sdwa s[8:9], v10, s3 src0_sel:BYTE_0 src1_sel:DWORD
	s_mov_b64 s[0:1], 0
                                        ; implicit-def: $sgpr20
	s_and_saveexec_b64 s[12:13], s[8:9]
	s_xor_b64 s[8:9], exec, s[12:13]
	s_cbranch_execnz .LBB283_899
; %bb.632:                              ;   in Loop: Header=BB283_555 Depth=1
	s_or_saveexec_b64 s[8:9], s[8:9]
	v_mov_b32_e32 v33, s20
	s_xor_b64 exec, exec, s[8:9]
	s_cbranch_execnz .LBB283_902
.LBB283_633:                            ;   in Loop: Header=BB283_555 Depth=1
	s_or_b64 exec, exec, s[8:9]
	s_and_saveexec_b64 s[8:9], s[0:1]
	s_cbranch_execz .LBB283_635
.LBB283_634:                            ;   in Loop: Header=BB283_555 Depth=1
	v_bfe_u32 v6, v30, 16, 3
	v_ffbh_u32_e32 v4, v6
	v_min_u32_e32 v16, 32, v4
	v_subrev_u32_e32 v4, 28, v16
	v_bfe_u32 v12, v30, 19, 4
	v_lshlrev_b64 v[4:5], v4, v[10:11]
	v_sub_u32_e32 v5, 29, v16
	v_cmp_eq_u32_e64 s[0:1], 0, v12
	v_and_b32_e32 v4, 7, v4
	s_nop 0
	v_cndmask_b32_e64 v5, v12, v5, s[0:1]
	v_cndmask_b32_e64 v4, v6, v4, s[0:1]
	v_lshlrev_b32_e32 v6, 8, v10
	v_lshl_add_u32 v5, v5, 10, v39
	v_and_or_b32 v5, v6, s17, v5
	v_lshl_or_b32 v4, v4, 7, v5
	v_cvt_f32_f16_e32 v33, v4
.LBB283_635:                            ;   in Loop: Header=BB283_555 Depth=1
	s_or_b64 exec, exec, s[8:9]
	v_lshrrev_b32_e32 v10, 24, v30
	v_cmp_lt_i16_e64 s[0:1], s3, v10
	s_mov_b64 s[8:9], 0
                                        ; implicit-def: $sgpr26
	s_and_saveexec_b64 s[12:13], s[0:1]
	s_xor_b64 s[12:13], exec, s[12:13]
	s_cbranch_execnz .LBB283_903
; %bb.636:                              ;   in Loop: Header=BB283_555 Depth=1
	s_or_saveexec_b64 s[12:13], s[12:13]
	v_mov_b32_e32 v35, s26
	s_xor_b64 exec, exec, s[12:13]
	s_cbranch_execnz .LBB283_906
.LBB283_637:                            ;   in Loop: Header=BB283_555 Depth=1
	s_or_b64 exec, exec, s[12:13]
	s_and_saveexec_b64 s[12:13], s[8:9]
	s_cbranch_execz .LBB283_639
.LBB283_638:                            ;   in Loop: Header=BB283_555 Depth=1
	v_bfe_u32 v6, v30, 24, 3
	v_ffbh_u32_e32 v4, v6
	v_min_u32_e32 v16, 32, v4
	v_subrev_u32_e32 v4, 28, v16
	v_bfe_u32 v12, v30, 27, 4
	v_lshlrev_b64 v[4:5], v4, v[10:11]
	v_sub_u32_e32 v5, 29, v16
	v_cmp_eq_u32_e64 s[0:1], 0, v12
	v_and_b32_e32 v4, 7, v4
	s_nop 0
	v_cndmask_b32_e64 v5, v12, v5, s[0:1]
	v_cndmask_b32_e64 v4, v6, v4, s[0:1]
	v_lshlrev_b32_e32 v6, 8, v10
	v_lshl_add_u32 v5, v5, 10, v39
	v_and_or_b32 v5, v6, s17, v5
	v_lshl_or_b32 v4, v4, 7, v5
	v_cvt_f32_f16_e32 v35, v4
.LBB283_639:                            ;   in Loop: Header=BB283_555 Depth=1
	s_or_b64 exec, exec, s[12:13]
	v_cmp_gt_i16_sdwa s[8:9], v31, s3 src0_sel:BYTE_0 src1_sel:DWORD
	s_mov_b64 s[0:1], 0
                                        ; implicit-def: $sgpr20
	s_and_saveexec_b64 s[12:13], s[8:9]
	s_xor_b64 s[8:9], exec, s[12:13]
	s_cbranch_execnz .LBB283_907
; %bb.640:                              ;   in Loop: Header=BB283_555 Depth=1
	s_or_saveexec_b64 s[8:9], s[8:9]
	v_mov_b32_e32 v4, s20
	s_xor_b64 exec, exec, s[8:9]
	s_cbranch_execnz .LBB283_910
.LBB283_641:                            ;   in Loop: Header=BB283_555 Depth=1
	s_or_b64 exec, exec, s[8:9]
	v_mov_b32_e32 v10, v31
	s_and_saveexec_b64 s[8:9], s[0:1]
	s_cbranch_execz .LBB283_643
.LBB283_642:                            ;   in Loop: Header=BB283_555 Depth=1
	v_and_b32_e32 v4, 7, v31
	v_ffbh_u32_e32 v4, v4
	v_bfe_u32 v5, v31, 3, 4
	v_min_u32_e32 v4, 32, v4
	v_subrev_u32_e32 v6, 28, v4
	v_sub_u32_e32 v4, 29, v4
	v_cmp_eq_u32_e64 s[0:1], 0, v5
	s_nop 1
	v_cndmask_b32_e64 v12, v5, v4, s[0:1]
	v_cndmask_b32_e64 v4, 0, v6, s[0:1]
	v_lshlrev_b64 v[4:5], v4, v[10:11]
	v_lshlrev_b32_e32 v5, 8, v31
	v_lshl_add_u32 v6, v12, 10, v39
	v_lshlrev_b32_e32 v4, 7, v4
	v_and_or_b32 v5, v5, s17, v6
	v_and_or_b32 v4, v4, s22, v5
	v_cvt_f32_f16_e32 v4, v4
.LBB283_643:                            ;   in Loop: Header=BB283_555 Depth=1
	s_or_b64 exec, exec, s[8:9]
	v_lshrrev_b16_e32 v10, 8, v10
	v_cmp_lt_i16_e64 s[0:1], s3, v10
	s_mov_b64 s[8:9], 0
                                        ; implicit-def: $sgpr26
	s_and_saveexec_b64 s[12:13], s[0:1]
	s_xor_b64 s[12:13], exec, s[12:13]
	s_cbranch_execnz .LBB283_911
; %bb.644:                              ;   in Loop: Header=BB283_555 Depth=1
	s_or_saveexec_b64 s[12:13], s[12:13]
	v_mov_b32_e32 v5, s26
	s_xor_b64 exec, exec, s[12:13]
	s_cbranch_execnz .LBB283_914
.LBB283_645:                            ;   in Loop: Header=BB283_555 Depth=1
	s_or_b64 exec, exec, s[12:13]
	s_and_saveexec_b64 s[12:13], s[8:9]
	s_cbranch_execz .LBB283_647
.LBB283_646:                            ;   in Loop: Header=BB283_555 Depth=1
	v_and_b32_e32 v5, 7, v10
	v_ffbh_u32_e32 v12, v5
	v_bfe_u32 v6, v10, 3, 4
	v_min_u32_e32 v12, 32, v12
	v_subrev_u32_e32 v16, 28, v12
	v_sub_u32_e32 v12, 29, v12
	v_cmp_eq_u32_e64 s[0:1], 0, v6
	v_lshlrev_b64 v[26:27], v16, v[10:11]
	v_and_b32_e32 v16, 7, v26
	v_cndmask_b32_e64 v6, v6, v12, s[0:1]
	v_lshlrev_b32_e32 v10, 8, v10
	v_lshl_add_u32 v6, v6, 10, v39
	v_cndmask_b32_e64 v5, v5, v16, s[0:1]
	v_and_or_b32 v6, v10, s17, v6
	v_lshl_or_b32 v5, v5, 7, v6
	v_cvt_f32_f16_e32 v5, v5
.LBB283_647:                            ;   in Loop: Header=BB283_555 Depth=1
	s_or_b64 exec, exec, s[12:13]
	v_lshrrev_b32_e32 v10, 16, v31
	v_cmp_gt_i16_sdwa s[8:9], v10, s3 src0_sel:BYTE_0 src1_sel:DWORD
	s_mov_b64 s[0:1], 0
                                        ; implicit-def: $sgpr20
	s_and_saveexec_b64 s[12:13], s[8:9]
	s_xor_b64 s[8:9], exec, s[12:13]
	s_cbranch_execnz .LBB283_915
; %bb.648:                              ;   in Loop: Header=BB283_555 Depth=1
	s_or_saveexec_b64 s[8:9], s[8:9]
	v_mov_b32_e32 v6, s20
	s_xor_b64 exec, exec, s[8:9]
	s_cbranch_execnz .LBB283_918
.LBB283_649:                            ;   in Loop: Header=BB283_555 Depth=1
	s_or_b64 exec, exec, s[8:9]
	s_and_saveexec_b64 s[8:9], s[0:1]
	s_cbranch_execz .LBB283_651
.LBB283_650:                            ;   in Loop: Header=BB283_555 Depth=1
	v_bfe_u32 v6, v31, 16, 3
	v_ffbh_u32_e32 v16, v6
	v_bfe_u32 v12, v31, 19, 4
	v_min_u32_e32 v16, 32, v16
	v_subrev_u32_e32 v17, 28, v16
	v_sub_u32_e32 v16, 29, v16
	v_cmp_eq_u32_e64 s[0:1], 0, v12
	v_lshlrev_b64 v[26:27], v17, v[10:11]
	v_and_b32_e32 v17, 7, v26
	v_cndmask_b32_e64 v12, v12, v16, s[0:1]
	v_lshlrev_b32_e32 v10, 8, v10
	v_lshl_add_u32 v12, v12, 10, v39
	v_cndmask_b32_e64 v6, v6, v17, s[0:1]
	v_and_or_b32 v10, v10, s17, v12
	v_lshl_or_b32 v6, v6, 7, v10
	v_cvt_f32_f16_e32 v6, v6
.LBB283_651:                            ;   in Loop: Header=BB283_555 Depth=1
	s_or_b64 exec, exec, s[8:9]
	v_lshrrev_b32_e32 v10, 24, v31
	v_cmp_lt_i16_e64 s[0:1], s3, v10
	s_mov_b64 s[8:9], 0
                                        ; implicit-def: $sgpr26
	s_and_saveexec_b64 s[12:13], s[0:1]
	s_xor_b64 s[12:13], exec, s[12:13]
	s_cbranch_execnz .LBB283_919
; %bb.652:                              ;   in Loop: Header=BB283_555 Depth=1
	s_or_saveexec_b64 s[12:13], s[12:13]
	v_mov_b32_e32 v17, s26
	s_xor_b64 exec, exec, s[12:13]
	s_cbranch_execnz .LBB283_922
.LBB283_653:                            ;   in Loop: Header=BB283_555 Depth=1
	s_or_b64 exec, exec, s[12:13]
	s_and_saveexec_b64 s[12:13], s[8:9]
	s_cbranch_execz .LBB283_655
.LBB283_654:                            ;   in Loop: Header=BB283_555 Depth=1
	v_bfe_u32 v12, v31, 24, 3
	v_ffbh_u32_e32 v17, v12
	v_bfe_u32 v16, v31, 27, 4
	v_min_u32_e32 v17, 32, v17
	v_subrev_u32_e32 v22, 28, v17
	v_sub_u32_e32 v17, 29, v17
	v_cmp_eq_u32_e64 s[0:1], 0, v16
	v_lshlrev_b64 v[26:27], v22, v[10:11]
	v_and_b32_e32 v22, 7, v26
	v_cndmask_b32_e64 v16, v16, v17, s[0:1]
	v_lshlrev_b32_e32 v10, 8, v10
	v_lshl_add_u32 v16, v16, 10, v39
	v_cndmask_b32_e64 v12, v12, v22, s[0:1]
	v_and_or_b32 v10, v10, s17, v16
	v_lshl_or_b32 v10, v12, 7, v10
	v_cvt_f32_f16_e32 v17, v10
.LBB283_655:                            ;   in Loop: Header=BB283_555 Depth=1
	s_or_b64 exec, exec, s[12:13]
	v_pk_mul_f32 v[26:27], v[28:29], v[34:35] op_sel_hi:[0,1]
	v_pk_mul_f32 v[30:31], v[28:29], v[32:33] op_sel_hi:[0,1]
	v_cvt_f16_f32_e32 v10, v27
	v_cvt_f16_f32_e32 v12, v26
	;; [unrolled: 1-line block ×4, first 2 shown]
	v_fma_mixlo_f16 v5, v28, v5, 0
	v_lshlrev_b32_e32 v5, 16, v5
	v_fma_mixlo_f16 v4, v28, v4, 0
	v_or_b32_sdwa v4, v5, v4 dst_sel:DWORD dst_unused:UNUSED_PAD src0_sel:DWORD src1_sel:WORD_0
	v_fma_mixlo_f16 v5, v28, v17, 0
	v_pack_b32_f16 v12, v12, v10
	v_pack_b32_f16 v16, v22, v16
	v_fma_mixlo_f16 v6, v28, v6, 0
	v_lshlrev_b32_e32 v5, 16, v5
	v_perm_b32 v10, v16, v12, s23
	v_perm_b32 v12, v16, v12, s24
	v_or_b32_sdwa v5, v5, v6 dst_sel:DWORD dst_unused:UNUSED_PAD src0_sel:DWORD src1_sel:WORD_0
	s_and_saveexec_b64 s[8:9], vcc
	s_cbranch_execz .LBB283_657
; %bb.656:                              ;   in Loop: Header=BB283_555 Depth=1
	v_lshrrev_b32_e32 v16, 16, v12
	v_cmp_lt_i32_e64 s[0:1], v43, v13
	v_accvgpr_read_b32 v22, a8
	v_lshrrev_b32_e32 v5, 16, v5
	v_cndmask_b32_e64 v16, 0, v16, s[0:1]
	v_cmp_lt_i32_e64 s[0:1], v7, v22
	s_nop 1
	v_cndmask_b32_e64 v12, 0, v12, s[0:1]
	v_perm_b32 v12, v16, v12, s25
	v_lshrrev_b32_e32 v16, 16, v10
	v_cmp_lt_i32_e64 s[0:1], v54, v13
	s_nop 1
	v_cndmask_b32_e64 v16, 0, v16, s[0:1]
	v_cmp_lt_i32_e64 s[0:1], v53, v22
	s_nop 1
	v_cndmask_b32_e64 v10, 0, v10, s[0:1]
	v_perm_b32 v10, v16, v10, s25
	v_lshrrev_b32_e32 v16, 16, v4
	v_cmp_lt_i32_e64 s[0:1], v52, v13
	s_nop 1
	v_cndmask_b32_e64 v16, 0, v16, s[0:1]
	v_cmp_lt_i32_e64 s[0:1], v51, v22
	s_nop 1
	v_cndmask_b32_e64 v4, 0, v4, s[0:1]
	v_cmp_lt_i32_e64 s[0:1], v50, v13
	v_perm_b32 v4, v16, v4, s25
	s_nop 0
	v_cndmask_b32_e64 v5, 0, v5, s[0:1]
	v_cmp_lt_i32_e64 s[0:1], v49, v22
	s_nop 1
	v_cndmask_b32_e64 v6, 0, v6, s[0:1]
	v_perm_b32 v5, v5, v6, s25
.LBB283_657:                            ;   in Loop: Header=BB283_555 Depth=1
	s_or_b64 exec, exec, s[8:9]
	;;#ASMSTART
	v_pk_mul_f16 v6, v55, v12;

	;;#ASMEND
	;;#ASMSTART
	v_pk_mul_f16 v10, v40, v10;

	;;#ASMEND
	;; [unrolled: 4-line block ×4, first 2 shown]
	v_accvgpr_read_b32 v17, a5
	;;#ASMSTART
	v_pk_add_f16 v6, v6, v10;

	;;#ASMEND
	v_accvgpr_read_b32 v16, a4
	;;#ASMSTART
	v_pk_add_f16 v4, v6, v4;

	;;#ASMEND
	s_mov_b64 s[0:1], 0
	;;#ASMSTART
	v_pk_add_f16 v4, v4, v5;

	;;#ASMEND
                                        ; implicit-def: $sgpr20
	s_nop 0
	v_lshrrev_b32_e32 v5, 16, v4
	v_and_b32_e32 v4, 0xffff, v4
	;;#ASMSTART
	v_cvt_f32_f16 v4, v4;
	;;#ASMEND
	;;#ASMSTART
	v_cvt_f32_f16 v5, v5;
	;;#ASMEND
	flat_load_dwordx2 v[30:31], v[18:19] offset:1536
	flat_load_dword v28, v[16:17]
	s_waitcnt vmcnt(0) lgkmcnt(0)
	v_cmp_gt_i16_sdwa s[8:9], v30, s3 src0_sel:BYTE_0 src1_sel:DWORD
	s_and_saveexec_b64 s[12:13], s[8:9]
	s_xor_b64 s[8:9], exec, s[12:13]
	s_cbranch_execnz .LBB283_923
; %bb.658:                              ;   in Loop: Header=BB283_555 Depth=1
	s_or_saveexec_b64 s[8:9], s[8:9]
	v_mov_b32_e32 v32, s20
	s_xor_b64 exec, exec, s[8:9]
	s_cbranch_execnz .LBB283_926
.LBB283_659:                            ;   in Loop: Header=BB283_555 Depth=1
	s_or_b64 exec, exec, s[8:9]
	s_and_saveexec_b64 s[8:9], s[0:1]
	s_cbranch_execz .LBB283_661
.LBB283_660:                            ;   in Loop: Header=BB283_555 Depth=1
	v_and_b32_e32 v6, 7, v30
	v_ffbh_u32_e32 v6, v6
	v_bfe_u32 v10, v30, 3, 4
	v_min_u32_e32 v6, 32, v6
	v_subrev_u32_e32 v12, 28, v6
	v_sub_u32_e32 v6, 29, v6
	v_cmp_eq_u32_e64 s[0:1], 0, v10
	s_nop 1
	v_cndmask_b32_e64 v6, v10, v6, s[0:1]
	v_cndmask_b32_e64 v10, 0, v12, s[0:1]
	v_lshlrev_b64 v[26:27], v10, v[30:31]
	v_lshlrev_b32_e32 v12, 8, v30
	v_lshl_add_u32 v6, v6, 10, v39
	v_lshlrev_b32_e32 v10, 7, v26
	v_and_or_b32 v6, v12, s17, v6
	v_and_or_b32 v6, v10, s22, v6
	v_cvt_f32_f16_e32 v32, v6
.LBB283_661:                            ;   in Loop: Header=BB283_555 Depth=1
	s_or_b64 exec, exec, s[8:9]
	v_lshrrev_b16_e32 v10, 8, v30
	v_cmp_lt_i16_e64 s[0:1], s3, v10
	s_mov_b64 s[8:9], 0
                                        ; implicit-def: $sgpr26
	s_and_saveexec_b64 s[12:13], s[0:1]
	s_xor_b64 s[12:13], exec, s[12:13]
	s_cbranch_execnz .LBB283_927
; %bb.662:                              ;   in Loop: Header=BB283_555 Depth=1
	s_or_saveexec_b64 s[12:13], s[12:13]
	v_mov_b32_e32 v34, s26
	s_xor_b64 exec, exec, s[12:13]
	s_cbranch_execnz .LBB283_930
.LBB283_663:                            ;   in Loop: Header=BB283_555 Depth=1
	s_or_b64 exec, exec, s[12:13]
	s_and_saveexec_b64 s[12:13], s[8:9]
	s_cbranch_execz .LBB283_665
.LBB283_664:                            ;   in Loop: Header=BB283_555 Depth=1
	v_and_b32_e32 v6, 7, v10
	v_ffbh_u32_e32 v16, v6
	v_bfe_u32 v12, v10, 3, 4
	v_min_u32_e32 v16, 32, v16
	v_subrev_u32_e32 v17, 28, v16
	v_sub_u32_e32 v16, 29, v16
	v_cmp_eq_u32_e64 s[0:1], 0, v12
	v_lshlrev_b64 v[26:27], v17, v[10:11]
	v_and_b32_e32 v17, 7, v26
	v_cndmask_b32_e64 v12, v12, v16, s[0:1]
	v_lshlrev_b32_e32 v10, 8, v10
	v_lshl_add_u32 v12, v12, 10, v39
	v_cndmask_b32_e64 v6, v6, v17, s[0:1]
	v_and_or_b32 v10, v10, s17, v12
	v_lshl_or_b32 v6, v6, 7, v10
	v_cvt_f32_f16_e32 v34, v6
.LBB283_665:                            ;   in Loop: Header=BB283_555 Depth=1
	s_or_b64 exec, exec, s[12:13]
	v_lshrrev_b32_e32 v10, 16, v30
	v_cmp_gt_i16_sdwa s[8:9], v10, s3 src0_sel:BYTE_0 src1_sel:DWORD
	s_mov_b64 s[0:1], 0
                                        ; implicit-def: $sgpr20
	s_and_saveexec_b64 s[12:13], s[8:9]
	s_xor_b64 s[8:9], exec, s[12:13]
	s_cbranch_execnz .LBB283_931
; %bb.666:                              ;   in Loop: Header=BB283_555 Depth=1
	s_or_saveexec_b64 s[8:9], s[8:9]
	v_mov_b32_e32 v33, s20
	s_xor_b64 exec, exec, s[8:9]
	s_cbranch_execnz .LBB283_934
.LBB283_667:                            ;   in Loop: Header=BB283_555 Depth=1
	s_or_b64 exec, exec, s[8:9]
	s_and_saveexec_b64 s[8:9], s[0:1]
	s_cbranch_execz .LBB283_669
.LBB283_668:                            ;   in Loop: Header=BB283_555 Depth=1
	v_bfe_u32 v6, v30, 16, 3
	v_ffbh_u32_e32 v16, v6
	v_bfe_u32 v12, v30, 19, 4
	v_min_u32_e32 v16, 32, v16
	v_subrev_u32_e32 v17, 28, v16
	v_sub_u32_e32 v16, 29, v16
	v_cmp_eq_u32_e64 s[0:1], 0, v12
	v_lshlrev_b64 v[26:27], v17, v[10:11]
	v_and_b32_e32 v17, 7, v26
	v_cndmask_b32_e64 v12, v12, v16, s[0:1]
	v_lshlrev_b32_e32 v10, 8, v10
	v_lshl_add_u32 v12, v12, 10, v39
	v_cndmask_b32_e64 v6, v6, v17, s[0:1]
	v_and_or_b32 v10, v10, s17, v12
	v_lshl_or_b32 v6, v6, 7, v10
	v_cvt_f32_f16_e32 v33, v6
.LBB283_669:                            ;   in Loop: Header=BB283_555 Depth=1
	s_or_b64 exec, exec, s[8:9]
	v_lshrrev_b32_e32 v10, 24, v30
	v_cmp_lt_i16_e64 s[0:1], s3, v10
	s_mov_b64 s[8:9], 0
                                        ; implicit-def: $sgpr26
	s_and_saveexec_b64 s[12:13], s[0:1]
	s_xor_b64 s[12:13], exec, s[12:13]
	s_cbranch_execnz .LBB283_935
; %bb.670:                              ;   in Loop: Header=BB283_555 Depth=1
	s_or_saveexec_b64 s[12:13], s[12:13]
	v_mov_b32_e32 v35, s26
	s_xor_b64 exec, exec, s[12:13]
	s_cbranch_execnz .LBB283_938
.LBB283_671:                            ;   in Loop: Header=BB283_555 Depth=1
	s_or_b64 exec, exec, s[12:13]
	s_and_saveexec_b64 s[12:13], s[8:9]
	s_cbranch_execz .LBB283_673
.LBB283_672:                            ;   in Loop: Header=BB283_555 Depth=1
	v_bfe_u32 v6, v30, 24, 3
	v_ffbh_u32_e32 v16, v6
	v_bfe_u32 v12, v30, 27, 4
	v_min_u32_e32 v16, 32, v16
	v_subrev_u32_e32 v17, 28, v16
	v_sub_u32_e32 v16, 29, v16
	v_cmp_eq_u32_e64 s[0:1], 0, v12
	v_lshlrev_b64 v[26:27], v17, v[10:11]
	v_and_b32_e32 v17, 7, v26
	v_cndmask_b32_e64 v12, v12, v16, s[0:1]
	v_lshlrev_b32_e32 v10, 8, v10
	v_lshl_add_u32 v12, v12, 10, v39
	v_cndmask_b32_e64 v6, v6, v17, s[0:1]
	v_and_or_b32 v10, v10, s17, v12
	v_lshl_or_b32 v6, v6, 7, v10
	v_cvt_f32_f16_e32 v35, v6
.LBB283_673:                            ;   in Loop: Header=BB283_555 Depth=1
	s_or_b64 exec, exec, s[12:13]
	v_cmp_gt_i16_sdwa s[8:9], v31, s3 src0_sel:BYTE_0 src1_sel:DWORD
	s_mov_b64 s[0:1], 0
                                        ; implicit-def: $sgpr20
	s_and_saveexec_b64 s[12:13], s[8:9]
	s_xor_b64 s[8:9], exec, s[12:13]
	s_cbranch_execnz .LBB283_939
; %bb.674:                              ;   in Loop: Header=BB283_555 Depth=1
	s_or_saveexec_b64 s[8:9], s[8:9]
	v_mov_b32_e32 v6, s20
	s_xor_b64 exec, exec, s[8:9]
	s_cbranch_execnz .LBB283_942
.LBB283_675:                            ;   in Loop: Header=BB283_555 Depth=1
	s_or_b64 exec, exec, s[8:9]
	v_mov_b32_e32 v10, v31
	s_and_saveexec_b64 s[8:9], s[0:1]
	s_cbranch_execz .LBB283_677
.LBB283_676:                            ;   in Loop: Header=BB283_555 Depth=1
	v_and_b32_e32 v6, 7, v31
	v_ffbh_u32_e32 v6, v6
	v_bfe_u32 v12, v31, 3, 4
	v_min_u32_e32 v6, 32, v6
	v_subrev_u32_e32 v16, 28, v6
	v_sub_u32_e32 v6, 29, v6
	v_cmp_eq_u32_e64 s[0:1], 0, v12
	s_nop 1
	v_cndmask_b32_e64 v6, v12, v6, s[0:1]
	v_cndmask_b32_e64 v12, 0, v16, s[0:1]
	v_lshlrev_b64 v[26:27], v12, v[10:11]
	v_lshlrev_b32_e32 v16, 8, v31
	v_lshl_add_u32 v6, v6, 10, v39
	v_lshlrev_b32_e32 v12, 7, v26
	v_and_or_b32 v6, v16, s17, v6
	v_and_or_b32 v6, v12, s22, v6
	v_cvt_f32_f16_e32 v6, v6
.LBB283_677:                            ;   in Loop: Header=BB283_555 Depth=1
	s_or_b64 exec, exec, s[8:9]
	v_lshrrev_b16_e32 v10, 8, v10
	v_cmp_lt_i16_e64 s[0:1], s3, v10
	s_mov_b64 s[8:9], 0
                                        ; implicit-def: $sgpr26
	s_and_saveexec_b64 s[12:13], s[0:1]
	s_xor_b64 s[12:13], exec, s[12:13]
	s_cbranch_execnz .LBB283_943
; %bb.678:                              ;   in Loop: Header=BB283_555 Depth=1
	s_or_saveexec_b64 s[12:13], s[12:13]
	v_mov_b32_e32 v12, s26
	s_xor_b64 exec, exec, s[12:13]
	s_cbranch_execnz .LBB283_946
.LBB283_679:                            ;   in Loop: Header=BB283_555 Depth=1
	s_or_b64 exec, exec, s[12:13]
	s_and_saveexec_b64 s[12:13], s[8:9]
	s_cbranch_execz .LBB283_681
.LBB283_680:                            ;   in Loop: Header=BB283_555 Depth=1
	v_and_b32_e32 v12, 7, v10
	v_ffbh_u32_e32 v17, v12
	v_bfe_u32 v16, v10, 3, 4
	v_min_u32_e32 v17, 32, v17
	v_subrev_u32_e32 v22, 28, v17
	v_sub_u32_e32 v17, 29, v17
	v_cmp_eq_u32_e64 s[0:1], 0, v16
	v_lshlrev_b64 v[26:27], v22, v[10:11]
	v_and_b32_e32 v22, 7, v26
	v_cndmask_b32_e64 v16, v16, v17, s[0:1]
	v_lshlrev_b32_e32 v10, 8, v10
	v_lshl_add_u32 v16, v16, 10, v39
	v_cndmask_b32_e64 v12, v12, v22, s[0:1]
	v_and_or_b32 v10, v10, s17, v16
	v_lshl_or_b32 v10, v12, 7, v10
	v_cvt_f32_f16_e32 v12, v10
.LBB283_681:                            ;   in Loop: Header=BB283_555 Depth=1
	s_or_b64 exec, exec, s[12:13]
	v_lshrrev_b32_e32 v10, 16, v31
	v_cmp_gt_i16_sdwa s[8:9], v10, s3 src0_sel:BYTE_0 src1_sel:DWORD
	s_mov_b64 s[0:1], 0
                                        ; implicit-def: $sgpr20
	s_and_saveexec_b64 s[12:13], s[8:9]
	s_xor_b64 s[8:9], exec, s[12:13]
	s_cbranch_execnz .LBB283_947
; %bb.682:                              ;   in Loop: Header=BB283_555 Depth=1
	s_or_saveexec_b64 s[8:9], s[8:9]
	v_mov_b32_e32 v17, s20
	s_xor_b64 exec, exec, s[8:9]
	s_cbranch_execnz .LBB283_950
.LBB283_683:                            ;   in Loop: Header=BB283_555 Depth=1
	s_or_b64 exec, exec, s[8:9]
	s_and_saveexec_b64 s[8:9], s[0:1]
	s_cbranch_execz .LBB283_685
.LBB283_684:                            ;   in Loop: Header=BB283_555 Depth=1
	v_bfe_u32 v16, v31, 16, 3
	v_ffbh_u32_e32 v22, v16
	v_bfe_u32 v17, v31, 19, 4
	v_min_u32_e32 v22, 32, v22
	v_subrev_u32_e32 v26, 28, v22
	v_sub_u32_e32 v22, 29, v22
	v_cmp_eq_u32_e64 s[0:1], 0, v17
	v_lshlrev_b64 v[26:27], v26, v[10:11]
	v_and_b32_e32 v26, 7, v26
	v_cndmask_b32_e64 v17, v17, v22, s[0:1]
	v_lshlrev_b32_e32 v10, 8, v10
	v_lshl_add_u32 v17, v17, 10, v39
	v_cndmask_b32_e64 v16, v16, v26, s[0:1]
	v_and_or_b32 v10, v10, s17, v17
	v_lshl_or_b32 v10, v16, 7, v10
	v_cvt_f32_f16_e32 v17, v10
.LBB283_685:                            ;   in Loop: Header=BB283_555 Depth=1
	s_or_b64 exec, exec, s[8:9]
	v_lshrrev_b32_e32 v10, 24, v31
	v_cmp_lt_i16_e64 s[0:1], s3, v10
	s_mov_b64 s[8:9], 0
                                        ; implicit-def: $sgpr26
	s_and_saveexec_b64 s[12:13], s[0:1]
	s_xor_b64 s[12:13], exec, s[12:13]
	s_cbranch_execnz .LBB283_951
; %bb.686:                              ;   in Loop: Header=BB283_555 Depth=1
	s_or_saveexec_b64 s[12:13], s[12:13]
	v_mov_b32_e32 v26, s26
	s_xor_b64 exec, exec, s[12:13]
	s_cbranch_execnz .LBB283_954
.LBB283_687:                            ;   in Loop: Header=BB283_555 Depth=1
	s_or_b64 exec, exec, s[12:13]
	s_and_saveexec_b64 s[12:13], s[8:9]
	s_cbranch_execz .LBB283_689
.LBB283_688:                            ;   in Loop: Header=BB283_555 Depth=1
	v_bfe_u32 v16, v31, 24, 3
	v_ffbh_u32_e32 v26, v16
	v_min_u32_e32 v29, 32, v26
	v_subrev_u32_e32 v26, 28, v29
	v_bfe_u32 v22, v31, 27, 4
	v_lshlrev_b64 v[26:27], v26, v[10:11]
	v_sub_u32_e32 v27, 29, v29
	v_cmp_eq_u32_e64 s[0:1], 0, v22
	v_and_b32_e32 v26, 7, v26
	v_lshlrev_b32_e32 v10, 8, v10
	v_cndmask_b32_e64 v22, v22, v27, s[0:1]
	v_lshl_add_u32 v22, v22, 10, v39
	v_cndmask_b32_e64 v16, v16, v26, s[0:1]
	v_and_or_b32 v10, v10, s17, v22
	v_lshl_or_b32 v10, v16, 7, v10
	v_cvt_f32_f16_e32 v26, v10
.LBB283_689:                            ;   in Loop: Header=BB283_555 Depth=1
	s_or_b64 exec, exec, s[12:13]
	v_pk_mul_f32 v[30:31], v[28:29], v[34:35] op_sel_hi:[0,1]
	v_pk_mul_f32 v[32:33], v[28:29], v[32:33] op_sel_hi:[0,1]
	v_cvt_f16_f32_e32 v10, v31
	v_cvt_f16_f32_e32 v16, v30
	;; [unrolled: 1-line block ×4, first 2 shown]
	v_fma_mixlo_f16 v12, v28, v12, 0
	v_lshlrev_b32_e32 v12, 16, v12
	v_fma_mixlo_f16 v6, v28, v6, 0
	v_or_b32_sdwa v6, v12, v6 dst_sel:DWORD dst_unused:UNUSED_PAD src0_sel:DWORD src1_sel:WORD_0
	v_fma_mixlo_f16 v12, v28, v26, 0
	v_pack_b32_f16 v16, v16, v10
	v_pack_b32_f16 v22, v27, v22
	v_fma_mixlo_f16 v17, v28, v17, 0
	v_lshlrev_b32_e32 v12, 16, v12
	v_perm_b32 v10, v22, v16, s23
	v_perm_b32 v22, v22, v16, s24
	v_or_b32_sdwa v12, v12, v17 dst_sel:DWORD dst_unused:UNUSED_PAD src0_sel:DWORD src1_sel:WORD_0
	s_and_saveexec_b64 s[8:9], vcc
	s_cbranch_execz .LBB283_691
; %bb.690:                              ;   in Loop: Header=BB283_555 Depth=1
	v_lshrrev_b32_e32 v16, 16, v22
	v_cmp_lt_i32_e64 s[0:1], v43, v13
	v_accvgpr_read_b32 v26, a8
	v_lshrrev_b32_e32 v12, 16, v12
	v_cndmask_b32_e64 v16, 0, v16, s[0:1]
	v_cmp_lt_i32_e64 s[0:1], v7, v26
	s_nop 1
	v_cndmask_b32_e64 v22, 0, v22, s[0:1]
	v_perm_b32 v22, v16, v22, s25
	v_lshrrev_b32_e32 v16, 16, v10
	v_cmp_lt_i32_e64 s[0:1], v54, v13
	s_nop 1
	v_cndmask_b32_e64 v16, 0, v16, s[0:1]
	v_cmp_lt_i32_e64 s[0:1], v53, v26
	s_nop 1
	v_cndmask_b32_e64 v10, 0, v10, s[0:1]
	v_perm_b32 v10, v16, v10, s25
	v_lshrrev_b32_e32 v16, 16, v6
	v_cmp_lt_i32_e64 s[0:1], v52, v13
	s_nop 1
	v_cndmask_b32_e64 v16, 0, v16, s[0:1]
	v_cmp_lt_i32_e64 s[0:1], v51, v26
	s_nop 1
	v_cndmask_b32_e64 v6, 0, v6, s[0:1]
	v_cmp_lt_i32_e64 s[0:1], v50, v13
	v_perm_b32 v6, v16, v6, s25
	s_nop 0
	v_cndmask_b32_e64 v12, 0, v12, s[0:1]
	v_cmp_lt_i32_e64 s[0:1], v49, v26
	s_nop 1
	v_cndmask_b32_e64 v16, 0, v17, s[0:1]
	v_perm_b32 v12, v12, v16, s25
.LBB283_691:                            ;   in Loop: Header=BB283_555 Depth=1
	s_or_b64 exec, exec, s[8:9]
	;;#ASMSTART
	v_pk_mul_f16 v16, v55, v22;

	;;#ASMEND
	;;#ASMSTART
	v_pk_mul_f16 v10, v40, v10;

	;;#ASMEND
	;; [unrolled: 4-line block ×4, first 2 shown]
	v_accvgpr_read_b32 v27, a5
	;;#ASMSTART
	v_pk_add_f16 v10, v16, v10;

	;;#ASMEND
	v_accvgpr_read_b32 v26, a4
	;;#ASMSTART
	v_pk_add_f16 v6, v10, v6;

	;;#ASMEND
	s_mov_b64 s[0:1], 0
	;;#ASMSTART
	v_pk_add_f16 v6, v6, v12;

	;;#ASMEND
                                        ; implicit-def: $sgpr20
	s_nop 0
	v_lshrrev_b32_e32 v10, 16, v6
	v_and_b32_e32 v6, 0xffff, v6
	;;#ASMSTART
	v_cvt_f32_f16 v12, v6;
	;;#ASMEND
	;;#ASMSTART
	v_cvt_f32_f16 v17, v10;
	;;#ASMEND
	flat_load_dwordx2 v[30:31], v[18:19] offset:2048
	flat_load_dword v28, v[26:27]
	s_waitcnt vmcnt(0) lgkmcnt(0)
	v_cmp_gt_i16_sdwa s[8:9], v30, s3 src0_sel:BYTE_0 src1_sel:DWORD
	s_and_saveexec_b64 s[12:13], s[8:9]
	s_xor_b64 s[8:9], exec, s[12:13]
	s_cbranch_execnz .LBB283_955
; %bb.692:                              ;   in Loop: Header=BB283_555 Depth=1
	s_or_saveexec_b64 s[8:9], s[8:9]
	v_mov_b32_e32 v32, s20
	s_xor_b64 exec, exec, s[8:9]
	s_cbranch_execnz .LBB283_958
.LBB283_693:                            ;   in Loop: Header=BB283_555 Depth=1
	s_or_b64 exec, exec, s[8:9]
	s_and_saveexec_b64 s[8:9], s[0:1]
	s_cbranch_execz .LBB283_695
.LBB283_694:                            ;   in Loop: Header=BB283_555 Depth=1
	v_and_b32_e32 v6, 7, v30
	v_ffbh_u32_e32 v6, v6
	v_bfe_u32 v10, v30, 3, 4
	v_min_u32_e32 v6, 32, v6
	v_subrev_u32_e32 v16, 28, v6
	v_sub_u32_e32 v6, 29, v6
	v_cmp_eq_u32_e64 s[0:1], 0, v10
	s_nop 1
	v_cndmask_b32_e64 v6, v10, v6, s[0:1]
	v_cndmask_b32_e64 v10, 0, v16, s[0:1]
	v_lshlrev_b64 v[26:27], v10, v[30:31]
	v_lshlrev_b32_e32 v16, 8, v30
	v_lshl_add_u32 v6, v6, 10, v39
	v_lshlrev_b32_e32 v10, 7, v26
	v_and_or_b32 v6, v16, s17, v6
	v_and_or_b32 v6, v10, s22, v6
	v_cvt_f32_f16_e32 v32, v6
.LBB283_695:                            ;   in Loop: Header=BB283_555 Depth=1
	s_or_b64 exec, exec, s[8:9]
	v_lshrrev_b16_e32 v10, 8, v30
	v_cmp_lt_i16_e64 s[0:1], s3, v10
	s_mov_b64 s[8:9], 0
                                        ; implicit-def: $sgpr26
	s_and_saveexec_b64 s[12:13], s[0:1]
	s_xor_b64 s[12:13], exec, s[12:13]
	s_cbranch_execnz .LBB283_959
; %bb.696:                              ;   in Loop: Header=BB283_555 Depth=1
	s_or_saveexec_b64 s[12:13], s[12:13]
	v_mov_b32_e32 v34, s26
	s_xor_b64 exec, exec, s[12:13]
	s_cbranch_execnz .LBB283_962
.LBB283_697:                            ;   in Loop: Header=BB283_555 Depth=1
	s_or_b64 exec, exec, s[12:13]
	s_and_saveexec_b64 s[12:13], s[8:9]
	s_cbranch_execz .LBB283_699
.LBB283_698:                            ;   in Loop: Header=BB283_555 Depth=1
	v_and_b32_e32 v6, 7, v10
	v_ffbh_u32_e32 v22, v6
	v_bfe_u32 v16, v10, 3, 4
	v_min_u32_e32 v22, 32, v22
	v_subrev_u32_e32 v26, 28, v22
	v_sub_u32_e32 v22, 29, v22
	v_cmp_eq_u32_e64 s[0:1], 0, v16
	v_lshlrev_b64 v[26:27], v26, v[10:11]
	v_and_b32_e32 v26, 7, v26
	v_cndmask_b32_e64 v16, v16, v22, s[0:1]
	v_lshlrev_b32_e32 v10, 8, v10
	v_lshl_add_u32 v16, v16, 10, v39
	v_cndmask_b32_e64 v6, v6, v26, s[0:1]
	v_and_or_b32 v10, v10, s17, v16
	v_lshl_or_b32 v6, v6, 7, v10
	v_cvt_f32_f16_e32 v34, v6
.LBB283_699:                            ;   in Loop: Header=BB283_555 Depth=1
	s_or_b64 exec, exec, s[12:13]
	v_lshrrev_b32_e32 v10, 16, v30
	v_cmp_gt_i16_sdwa s[8:9], v10, s3 src0_sel:BYTE_0 src1_sel:DWORD
	s_mov_b64 s[0:1], 0
                                        ; implicit-def: $sgpr20
	s_and_saveexec_b64 s[12:13], s[8:9]
	s_xor_b64 s[8:9], exec, s[12:13]
	s_cbranch_execnz .LBB283_963
; %bb.700:                              ;   in Loop: Header=BB283_555 Depth=1
	s_or_saveexec_b64 s[8:9], s[8:9]
	v_mov_b32_e32 v33, s20
	s_xor_b64 exec, exec, s[8:9]
	s_cbranch_execnz .LBB283_966
.LBB283_701:                            ;   in Loop: Header=BB283_555 Depth=1
	s_or_b64 exec, exec, s[8:9]
	s_and_saveexec_b64 s[8:9], s[0:1]
	s_cbranch_execz .LBB283_703
.LBB283_702:                            ;   in Loop: Header=BB283_555 Depth=1
	v_bfe_u32 v6, v30, 16, 3
	v_ffbh_u32_e32 v22, v6
	v_bfe_u32 v16, v30, 19, 4
	v_min_u32_e32 v22, 32, v22
	v_subrev_u32_e32 v26, 28, v22
	v_sub_u32_e32 v22, 29, v22
	v_cmp_eq_u32_e64 s[0:1], 0, v16
	v_lshlrev_b64 v[26:27], v26, v[10:11]
	v_and_b32_e32 v26, 7, v26
	v_cndmask_b32_e64 v16, v16, v22, s[0:1]
	v_lshlrev_b32_e32 v10, 8, v10
	v_lshl_add_u32 v16, v16, 10, v39
	v_cndmask_b32_e64 v6, v6, v26, s[0:1]
	v_and_or_b32 v10, v10, s17, v16
	v_lshl_or_b32 v6, v6, 7, v10
	v_cvt_f32_f16_e32 v33, v6
.LBB283_703:                            ;   in Loop: Header=BB283_555 Depth=1
	s_or_b64 exec, exec, s[8:9]
	v_lshrrev_b32_e32 v10, 24, v30
	v_cmp_lt_i16_e64 s[0:1], s3, v10
	s_mov_b64 s[8:9], 0
                                        ; implicit-def: $sgpr26
	s_and_saveexec_b64 s[12:13], s[0:1]
	s_xor_b64 s[12:13], exec, s[12:13]
	s_cbranch_execnz .LBB283_967
; %bb.704:                              ;   in Loop: Header=BB283_555 Depth=1
	s_or_saveexec_b64 s[12:13], s[12:13]
	v_mov_b32_e32 v35, s26
	s_xor_b64 exec, exec, s[12:13]
	s_cbranch_execnz .LBB283_970
.LBB283_705:                            ;   in Loop: Header=BB283_555 Depth=1
	s_or_b64 exec, exec, s[12:13]
	s_and_saveexec_b64 s[12:13], s[8:9]
	s_cbranch_execz .LBB283_707
.LBB283_706:                            ;   in Loop: Header=BB283_555 Depth=1
	v_bfe_u32 v6, v30, 24, 3
	v_ffbh_u32_e32 v22, v6
	v_bfe_u32 v16, v30, 27, 4
	v_min_u32_e32 v22, 32, v22
	v_subrev_u32_e32 v26, 28, v22
	v_sub_u32_e32 v22, 29, v22
	v_cmp_eq_u32_e64 s[0:1], 0, v16
	v_lshlrev_b64 v[26:27], v26, v[10:11]
	v_and_b32_e32 v26, 7, v26
	v_cndmask_b32_e64 v16, v16, v22, s[0:1]
	v_lshlrev_b32_e32 v10, 8, v10
	v_lshl_add_u32 v16, v16, 10, v39
	v_cndmask_b32_e64 v6, v6, v26, s[0:1]
	v_and_or_b32 v10, v10, s17, v16
	v_lshl_or_b32 v6, v6, 7, v10
	v_cvt_f32_f16_e32 v35, v6
.LBB283_707:                            ;   in Loop: Header=BB283_555 Depth=1
	s_or_b64 exec, exec, s[12:13]
	v_cmp_gt_i16_sdwa s[8:9], v31, s3 src0_sel:BYTE_0 src1_sel:DWORD
	s_mov_b64 s[0:1], 0
                                        ; implicit-def: $sgpr20
	s_and_saveexec_b64 s[12:13], s[8:9]
	s_xor_b64 s[8:9], exec, s[12:13]
	s_cbranch_execnz .LBB283_971
; %bb.708:                              ;   in Loop: Header=BB283_555 Depth=1
	s_or_saveexec_b64 s[8:9], s[8:9]
	v_mov_b32_e32 v6, s20
	s_xor_b64 exec, exec, s[8:9]
	s_cbranch_execnz .LBB283_974
.LBB283_709:                            ;   in Loop: Header=BB283_555 Depth=1
	s_or_b64 exec, exec, s[8:9]
	v_mov_b32_e32 v10, v31
	s_and_saveexec_b64 s[8:9], s[0:1]
	s_cbranch_execz .LBB283_711
.LBB283_710:                            ;   in Loop: Header=BB283_555 Depth=1
	v_and_b32_e32 v6, 7, v31
	v_ffbh_u32_e32 v6, v6
	v_bfe_u32 v16, v31, 3, 4
	v_min_u32_e32 v6, 32, v6
	v_subrev_u32_e32 v22, 28, v6
	v_sub_u32_e32 v6, 29, v6
	v_cmp_eq_u32_e64 s[0:1], 0, v16
	s_nop 1
	v_cndmask_b32_e64 v6, v16, v6, s[0:1]
	v_cndmask_b32_e64 v16, 0, v22, s[0:1]
	v_lshlrev_b64 v[26:27], v16, v[10:11]
	v_lshlrev_b32_e32 v22, 8, v31
	v_lshl_add_u32 v6, v6, 10, v39
	v_lshlrev_b32_e32 v16, 7, v26
	v_and_or_b32 v6, v22, s17, v6
	v_and_or_b32 v6, v16, s22, v6
	v_cvt_f32_f16_e32 v6, v6
.LBB283_711:                            ;   in Loop: Header=BB283_555 Depth=1
	s_or_b64 exec, exec, s[8:9]
	v_lshrrev_b16_e32 v10, 8, v10
	v_cmp_lt_i16_e64 s[0:1], s3, v10
	s_mov_b64 s[8:9], 0
                                        ; implicit-def: $sgpr26
	s_and_saveexec_b64 s[12:13], s[0:1]
	s_xor_b64 s[12:13], exec, s[12:13]
	s_cbranch_execnz .LBB283_975
; %bb.712:                              ;   in Loop: Header=BB283_555 Depth=1
	s_or_saveexec_b64 s[12:13], s[12:13]
	v_mov_b32_e32 v22, s26
	s_xor_b64 exec, exec, s[12:13]
	s_cbranch_execnz .LBB283_978
.LBB283_713:                            ;   in Loop: Header=BB283_555 Depth=1
	s_or_b64 exec, exec, s[12:13]
	s_and_saveexec_b64 s[12:13], s[8:9]
	s_cbranch_execz .LBB283_715
.LBB283_714:                            ;   in Loop: Header=BB283_555 Depth=1
	v_and_b32_e32 v16, 7, v10
	v_ffbh_u32_e32 v26, v16
	v_min_u32_e32 v29, 32, v26
	v_subrev_u32_e32 v26, 28, v29
	v_bfe_u32 v22, v10, 3, 4
	v_lshlrev_b64 v[26:27], v26, v[10:11]
	v_sub_u32_e32 v27, 29, v29
	v_cmp_eq_u32_e64 s[0:1], 0, v22
	v_and_b32_e32 v26, 7, v26
	v_lshlrev_b32_e32 v10, 8, v10
	v_cndmask_b32_e64 v22, v22, v27, s[0:1]
	v_lshl_add_u32 v22, v22, 10, v39
	v_cndmask_b32_e64 v16, v16, v26, s[0:1]
	v_and_or_b32 v10, v10, s17, v22
	v_lshl_or_b32 v10, v16, 7, v10
	v_cvt_f32_f16_e32 v22, v10
.LBB283_715:                            ;   in Loop: Header=BB283_555 Depth=1
	s_or_b64 exec, exec, s[12:13]
	v_lshrrev_b32_e32 v10, 16, v31
	v_cmp_gt_i16_sdwa s[8:9], v10, s3 src0_sel:BYTE_0 src1_sel:DWORD
	s_mov_b64 s[0:1], 0
                                        ; implicit-def: $sgpr20
	s_and_saveexec_b64 s[12:13], s[8:9]
	s_xor_b64 s[8:9], exec, s[12:13]
	s_cbranch_execnz .LBB283_979
; %bb.716:                              ;   in Loop: Header=BB283_555 Depth=1
	s_or_saveexec_b64 s[8:9], s[8:9]
	v_mov_b32_e32 v26, s20
	s_xor_b64 exec, exec, s[8:9]
	s_cbranch_execnz .LBB283_982
.LBB283_717:                            ;   in Loop: Header=BB283_555 Depth=1
	s_or_b64 exec, exec, s[8:9]
	s_and_saveexec_b64 s[8:9], s[0:1]
	s_cbranch_execz .LBB283_719
.LBB283_718:                            ;   in Loop: Header=BB283_555 Depth=1
	v_bfe_u32 v16, v31, 16, 3
	v_ffbh_u32_e32 v26, v16
	v_min_u32_e32 v30, 32, v26
	v_subrev_u32_e32 v26, 28, v30
	v_bfe_u32 v29, v31, 19, 4
	v_lshlrev_b64 v[26:27], v26, v[10:11]
	v_sub_u32_e32 v27, 29, v30
	v_cmp_eq_u32_e64 s[0:1], 0, v29
	v_and_b32_e32 v26, 7, v26
	v_lshlrev_b32_e32 v10, 8, v10
	v_cndmask_b32_e64 v27, v29, v27, s[0:1]
	v_cndmask_b32_e64 v16, v16, v26, s[0:1]
	v_lshl_add_u32 v26, v27, 10, v39
	v_and_or_b32 v10, v10, s17, v26
	v_lshl_or_b32 v10, v16, 7, v10
	v_cvt_f32_f16_e32 v26, v10
.LBB283_719:                            ;   in Loop: Header=BB283_555 Depth=1
	s_or_b64 exec, exec, s[8:9]
	v_lshrrev_b32_e32 v10, 24, v31
	v_cmp_lt_i16_e64 s[0:1], s3, v10
	s_mov_b64 s[8:9], 0
                                        ; implicit-def: $sgpr26
	s_and_saveexec_b64 s[12:13], s[0:1]
	s_xor_b64 s[12:13], exec, s[12:13]
	s_cbranch_execnz .LBB283_983
; %bb.720:                              ;   in Loop: Header=BB283_555 Depth=1
	s_or_saveexec_b64 s[12:13], s[12:13]
	v_mov_b32_e32 v29, s26
	s_xor_b64 exec, exec, s[12:13]
	s_cbranch_execnz .LBB283_986
.LBB283_721:                            ;   in Loop: Header=BB283_555 Depth=1
	s_or_b64 exec, exec, s[12:13]
	s_and_saveexec_b64 s[12:13], s[8:9]
	s_cbranch_execz .LBB283_723
.LBB283_722:                            ;   in Loop: Header=BB283_555 Depth=1
	v_bfe_u32 v16, v31, 24, 3
	v_ffbh_u32_e32 v29, v16
	v_bfe_u32 v27, v31, 27, 4
	v_min_u32_e32 v29, 32, v29
	v_subrev_u32_e32 v30, 28, v29
	v_sub_u32_e32 v29, 29, v29
	v_cmp_eq_u32_e64 s[0:1], 0, v27
	v_lshlrev_b64 v[30:31], v30, v[10:11]
	v_and_b32_e32 v30, 7, v30
	v_cndmask_b32_e64 v27, v27, v29, s[0:1]
	v_lshlrev_b32_e32 v10, 8, v10
	v_lshl_add_u32 v27, v27, 10, v39
	v_cndmask_b32_e64 v16, v16, v30, s[0:1]
	v_and_or_b32 v10, v10, s17, v27
	v_lshl_or_b32 v10, v16, 7, v10
	v_cvt_f32_f16_e32 v29, v10
.LBB283_723:                            ;   in Loop: Header=BB283_555 Depth=1
	s_or_b64 exec, exec, s[12:13]
	v_pk_mul_f32 v[30:31], v[28:29], v[34:35] op_sel_hi:[0,1]
	v_pk_mul_f32 v[32:33], v[28:29], v[32:33] op_sel_hi:[0,1]
	v_cvt_f16_f32_e32 v10, v31
	v_cvt_f16_f32_e32 v16, v30
	;; [unrolled: 1-line block ×4, first 2 shown]
	v_fma_mixlo_f16 v6, v28, v6, 0
	v_pack_b32_f16 v16, v16, v10
	v_fma_mixlo_f16 v26, v28, v26, 0
	v_pack_b32_f16 v27, v30, v27
	v_perm_b32 v10, v27, v16, s23
	v_perm_b32 v27, v27, v16, s24
	v_fma_mixlo_f16 v16, v28, v22, 0
	v_lshlrev_b32_e32 v16, 16, v16
	v_or_b32_sdwa v6, v16, v6 dst_sel:DWORD dst_unused:UNUSED_PAD src0_sel:DWORD src1_sel:WORD_0
	v_fma_mixlo_f16 v16, v28, v29, 0
	v_lshlrev_b32_e32 v16, 16, v16
	v_or_b32_sdwa v22, v16, v26 dst_sel:DWORD dst_unused:UNUSED_PAD src0_sel:DWORD src1_sel:WORD_0
	s_and_saveexec_b64 s[8:9], vcc
	s_cbranch_execz .LBB283_725
; %bb.724:                              ;   in Loop: Header=BB283_555 Depth=1
	v_lshrrev_b32_e32 v16, 16, v27
	v_cmp_lt_i32_e64 s[0:1], v43, v13
	v_accvgpr_read_b32 v28, a8
	s_nop 0
	v_cndmask_b32_e64 v16, 0, v16, s[0:1]
	v_cmp_lt_i32_e64 s[0:1], v7, v28
	s_nop 1
	v_cndmask_b32_e64 v27, 0, v27, s[0:1]
	v_perm_b32 v27, v16, v27, s25
	v_lshrrev_b32_e32 v16, 16, v10
	v_cmp_lt_i32_e64 s[0:1], v54, v13
	s_nop 1
	v_cndmask_b32_e64 v16, 0, v16, s[0:1]
	v_cmp_lt_i32_e64 s[0:1], v53, v28
	s_nop 1
	v_cndmask_b32_e64 v10, 0, v10, s[0:1]
	v_perm_b32 v10, v16, v10, s25
	v_lshrrev_b32_e32 v16, 16, v6
	v_cmp_lt_i32_e64 s[0:1], v52, v13
	;; [unrolled: 8-line block ×3, first 2 shown]
	s_nop 1
	v_cndmask_b32_e64 v16, 0, v16, s[0:1]
	v_cmp_lt_i32_e64 s[0:1], v49, v28
	s_nop 1
	v_cndmask_b32_e64 v22, 0, v26, s[0:1]
	v_perm_b32 v22, v16, v22, s25
.LBB283_725:                            ;   in Loop: Header=BB283_555 Depth=1
	s_or_b64 exec, exec, s[8:9]
	;;#ASMSTART
	v_pk_mul_f16 v16, v55, v27;

	;;#ASMEND
	;;#ASMSTART
	v_pk_mul_f16 v10, v40, v10;

	;;#ASMEND
	;; [unrolled: 4-line block ×4, first 2 shown]
	v_accvgpr_read_b32 v27, a5
	;;#ASMSTART
	v_pk_add_f16 v10, v16, v10;

	;;#ASMEND
	v_accvgpr_read_b32 v26, a4
	;;#ASMSTART
	v_pk_add_f16 v6, v10, v6;

	;;#ASMEND
	s_mov_b64 s[0:1], 0
	;;#ASMSTART
	v_pk_add_f16 v6, v6, v22;

	;;#ASMEND
                                        ; implicit-def: $sgpr20
	s_nop 0
	v_lshrrev_b32_e32 v10, 16, v6
	v_and_b32_e32 v6, 0xffff, v6
	;;#ASMSTART
	v_cvt_f32_f16 v56, v6;
	;;#ASMEND
	;;#ASMSTART
	v_cvt_f32_f16 v57, v10;
	;;#ASMEND
	flat_load_dwordx2 v[30:31], v[18:19] offset:2560
	flat_load_dword v28, v[26:27]
	s_waitcnt vmcnt(0) lgkmcnt(0)
	v_cmp_gt_i16_sdwa s[8:9], v30, s3 src0_sel:BYTE_0 src1_sel:DWORD
	s_and_saveexec_b64 s[12:13], s[8:9]
	s_xor_b64 s[8:9], exec, s[12:13]
	s_cbranch_execnz .LBB283_987
; %bb.726:                              ;   in Loop: Header=BB283_555 Depth=1
	s_or_saveexec_b64 s[8:9], s[8:9]
	v_mov_b32_e32 v32, s20
	s_xor_b64 exec, exec, s[8:9]
	s_cbranch_execnz .LBB283_990
.LBB283_727:                            ;   in Loop: Header=BB283_555 Depth=1
	s_or_b64 exec, exec, s[8:9]
	s_and_saveexec_b64 s[8:9], s[0:1]
	s_cbranch_execz .LBB283_729
.LBB283_728:                            ;   in Loop: Header=BB283_555 Depth=1
	v_and_b32_e32 v6, 7, v30
	v_ffbh_u32_e32 v6, v6
	v_bfe_u32 v10, v30, 3, 4
	v_min_u32_e32 v6, 32, v6
	v_subrev_u32_e32 v16, 28, v6
	v_sub_u32_e32 v6, 29, v6
	v_cmp_eq_u32_e64 s[0:1], 0, v10
	s_nop 1
	v_cndmask_b32_e64 v6, v10, v6, s[0:1]
	v_cndmask_b32_e64 v10, 0, v16, s[0:1]
	v_lshlrev_b64 v[26:27], v10, v[30:31]
	v_lshlrev_b32_e32 v16, 8, v30
	v_lshl_add_u32 v6, v6, 10, v39
	v_lshlrev_b32_e32 v10, 7, v26
	v_and_or_b32 v6, v16, s17, v6
	v_and_or_b32 v6, v10, s22, v6
	v_cvt_f32_f16_e32 v32, v6
.LBB283_729:                            ;   in Loop: Header=BB283_555 Depth=1
	s_or_b64 exec, exec, s[8:9]
	v_lshrrev_b16_e32 v10, 8, v30
	v_cmp_lt_i16_e64 s[0:1], s3, v10
	s_mov_b64 s[8:9], 0
                                        ; implicit-def: $sgpr26
	s_and_saveexec_b64 s[12:13], s[0:1]
	s_xor_b64 s[12:13], exec, s[12:13]
	s_cbranch_execnz .LBB283_991
; %bb.730:                              ;   in Loop: Header=BB283_555 Depth=1
	s_or_saveexec_b64 s[12:13], s[12:13]
	v_mov_b32_e32 v34, s26
	s_xor_b64 exec, exec, s[12:13]
	s_cbranch_execnz .LBB283_994
.LBB283_731:                            ;   in Loop: Header=BB283_555 Depth=1
	s_or_b64 exec, exec, s[12:13]
	s_and_saveexec_b64 s[12:13], s[8:9]
	s_cbranch_execz .LBB283_733
.LBB283_732:                            ;   in Loop: Header=BB283_555 Depth=1
	v_and_b32_e32 v6, 7, v10
	v_ffbh_u32_e32 v22, v6
	v_bfe_u32 v16, v10, 3, 4
	v_min_u32_e32 v22, 32, v22
	v_subrev_u32_e32 v26, 28, v22
	v_sub_u32_e32 v22, 29, v22
	v_cmp_eq_u32_e64 s[0:1], 0, v16
	v_lshlrev_b64 v[26:27], v26, v[10:11]
	v_and_b32_e32 v26, 7, v26
	v_cndmask_b32_e64 v16, v16, v22, s[0:1]
	v_lshlrev_b32_e32 v10, 8, v10
	v_lshl_add_u32 v16, v16, 10, v39
	v_cndmask_b32_e64 v6, v6, v26, s[0:1]
	v_and_or_b32 v10, v10, s17, v16
	v_lshl_or_b32 v6, v6, 7, v10
	v_cvt_f32_f16_e32 v34, v6
.LBB283_733:                            ;   in Loop: Header=BB283_555 Depth=1
	s_or_b64 exec, exec, s[12:13]
	v_lshrrev_b32_e32 v10, 16, v30
	v_cmp_gt_i16_sdwa s[8:9], v10, s3 src0_sel:BYTE_0 src1_sel:DWORD
	s_mov_b64 s[0:1], 0
                                        ; implicit-def: $sgpr20
	s_and_saveexec_b64 s[12:13], s[8:9]
	s_xor_b64 s[8:9], exec, s[12:13]
	s_cbranch_execnz .LBB283_995
; %bb.734:                              ;   in Loop: Header=BB283_555 Depth=1
	s_or_saveexec_b64 s[8:9], s[8:9]
	v_mov_b32_e32 v33, s20
	s_xor_b64 exec, exec, s[8:9]
	s_cbranch_execnz .LBB283_998
.LBB283_735:                            ;   in Loop: Header=BB283_555 Depth=1
	s_or_b64 exec, exec, s[8:9]
	s_and_saveexec_b64 s[8:9], s[0:1]
	s_cbranch_execz .LBB283_737
.LBB283_736:                            ;   in Loop: Header=BB283_555 Depth=1
	v_bfe_u32 v6, v30, 16, 3
	v_ffbh_u32_e32 v22, v6
	v_bfe_u32 v16, v30, 19, 4
	v_min_u32_e32 v22, 32, v22
	v_subrev_u32_e32 v26, 28, v22
	v_sub_u32_e32 v22, 29, v22
	v_cmp_eq_u32_e64 s[0:1], 0, v16
	v_lshlrev_b64 v[26:27], v26, v[10:11]
	v_and_b32_e32 v26, 7, v26
	v_cndmask_b32_e64 v16, v16, v22, s[0:1]
	v_lshlrev_b32_e32 v10, 8, v10
	v_lshl_add_u32 v16, v16, 10, v39
	v_cndmask_b32_e64 v6, v6, v26, s[0:1]
	v_and_or_b32 v10, v10, s17, v16
	v_lshl_or_b32 v6, v6, 7, v10
	v_cvt_f32_f16_e32 v33, v6
.LBB283_737:                            ;   in Loop: Header=BB283_555 Depth=1
	s_or_b64 exec, exec, s[8:9]
	v_lshrrev_b32_e32 v10, 24, v30
	v_cmp_lt_i16_e64 s[0:1], s3, v10
	s_mov_b64 s[8:9], 0
                                        ; implicit-def: $sgpr26
	s_and_saveexec_b64 s[12:13], s[0:1]
	s_xor_b64 s[12:13], exec, s[12:13]
	s_cbranch_execnz .LBB283_999
; %bb.738:                              ;   in Loop: Header=BB283_555 Depth=1
	s_or_saveexec_b64 s[12:13], s[12:13]
	v_mov_b32_e32 v35, s26
	s_xor_b64 exec, exec, s[12:13]
	s_cbranch_execnz .LBB283_1002
.LBB283_739:                            ;   in Loop: Header=BB283_555 Depth=1
	s_or_b64 exec, exec, s[12:13]
	s_and_saveexec_b64 s[12:13], s[8:9]
	s_cbranch_execz .LBB283_741
.LBB283_740:                            ;   in Loop: Header=BB283_555 Depth=1
	v_bfe_u32 v6, v30, 24, 3
	v_ffbh_u32_e32 v22, v6
	v_bfe_u32 v16, v30, 27, 4
	v_min_u32_e32 v22, 32, v22
	v_subrev_u32_e32 v26, 28, v22
	v_sub_u32_e32 v22, 29, v22
	v_cmp_eq_u32_e64 s[0:1], 0, v16
	v_lshlrev_b64 v[26:27], v26, v[10:11]
	v_and_b32_e32 v26, 7, v26
	v_cndmask_b32_e64 v16, v16, v22, s[0:1]
	v_lshlrev_b32_e32 v10, 8, v10
	v_lshl_add_u32 v16, v16, 10, v39
	v_cndmask_b32_e64 v6, v6, v26, s[0:1]
	v_and_or_b32 v10, v10, s17, v16
	v_lshl_or_b32 v6, v6, 7, v10
	v_cvt_f32_f16_e32 v35, v6
.LBB283_741:                            ;   in Loop: Header=BB283_555 Depth=1
	s_or_b64 exec, exec, s[12:13]
	v_cmp_gt_i16_sdwa s[8:9], v31, s3 src0_sel:BYTE_0 src1_sel:DWORD
	s_mov_b64 s[0:1], 0
                                        ; implicit-def: $sgpr20
	s_and_saveexec_b64 s[12:13], s[8:9]
	s_xor_b64 s[8:9], exec, s[12:13]
	s_cbranch_execnz .LBB283_1003
; %bb.742:                              ;   in Loop: Header=BB283_555 Depth=1
	s_or_saveexec_b64 s[8:9], s[8:9]
	v_mov_b32_e32 v6, s20
	s_xor_b64 exec, exec, s[8:9]
	s_cbranch_execnz .LBB283_1006
.LBB283_743:                            ;   in Loop: Header=BB283_555 Depth=1
	s_or_b64 exec, exec, s[8:9]
	v_mov_b32_e32 v10, v31
	s_and_saveexec_b64 s[8:9], s[0:1]
	s_cbranch_execz .LBB283_745
.LBB283_744:                            ;   in Loop: Header=BB283_555 Depth=1
	v_and_b32_e32 v6, 7, v31
	v_ffbh_u32_e32 v6, v6
	v_bfe_u32 v16, v31, 3, 4
	v_min_u32_e32 v6, 32, v6
	v_subrev_u32_e32 v22, 28, v6
	v_sub_u32_e32 v6, 29, v6
	v_cmp_eq_u32_e64 s[0:1], 0, v16
	s_nop 1
	v_cndmask_b32_e64 v6, v16, v6, s[0:1]
	v_cndmask_b32_e64 v16, 0, v22, s[0:1]
	v_lshlrev_b64 v[26:27], v16, v[10:11]
	v_lshlrev_b32_e32 v22, 8, v31
	v_lshl_add_u32 v6, v6, 10, v39
	v_lshlrev_b32_e32 v16, 7, v26
	v_and_or_b32 v6, v22, s17, v6
	v_and_or_b32 v6, v16, s22, v6
	v_cvt_f32_f16_e32 v6, v6
.LBB283_745:                            ;   in Loop: Header=BB283_555 Depth=1
	s_or_b64 exec, exec, s[8:9]
	v_lshrrev_b16_e32 v10, 8, v10
	v_cmp_lt_i16_e64 s[0:1], s3, v10
	s_mov_b64 s[8:9], 0
                                        ; implicit-def: $sgpr26
	s_and_saveexec_b64 s[12:13], s[0:1]
	s_xor_b64 s[12:13], exec, s[12:13]
	s_cbranch_execnz .LBB283_1007
; %bb.746:                              ;   in Loop: Header=BB283_555 Depth=1
	s_or_saveexec_b64 s[12:13], s[12:13]
	v_mov_b32_e32 v22, s26
	s_xor_b64 exec, exec, s[12:13]
	s_cbranch_execnz .LBB283_1010
.LBB283_747:                            ;   in Loop: Header=BB283_555 Depth=1
	s_or_b64 exec, exec, s[12:13]
	s_and_saveexec_b64 s[12:13], s[8:9]
	s_cbranch_execz .LBB283_749
.LBB283_748:                            ;   in Loop: Header=BB283_555 Depth=1
	v_and_b32_e32 v16, 7, v10
	v_ffbh_u32_e32 v26, v16
	v_min_u32_e32 v29, 32, v26
	v_subrev_u32_e32 v26, 28, v29
	v_bfe_u32 v22, v10, 3, 4
	v_lshlrev_b64 v[26:27], v26, v[10:11]
	v_sub_u32_e32 v27, 29, v29
	v_cmp_eq_u32_e64 s[0:1], 0, v22
	v_and_b32_e32 v26, 7, v26
	v_lshlrev_b32_e32 v10, 8, v10
	v_cndmask_b32_e64 v22, v22, v27, s[0:1]
	v_lshl_add_u32 v22, v22, 10, v39
	v_cndmask_b32_e64 v16, v16, v26, s[0:1]
	v_and_or_b32 v10, v10, s17, v22
	v_lshl_or_b32 v10, v16, 7, v10
	v_cvt_f32_f16_e32 v22, v10
.LBB283_749:                            ;   in Loop: Header=BB283_555 Depth=1
	s_or_b64 exec, exec, s[12:13]
	v_lshrrev_b32_e32 v10, 16, v31
	v_cmp_gt_i16_sdwa s[8:9], v10, s3 src0_sel:BYTE_0 src1_sel:DWORD
	s_mov_b64 s[0:1], 0
                                        ; implicit-def: $sgpr20
	s_and_saveexec_b64 s[12:13], s[8:9]
	s_xor_b64 s[8:9], exec, s[12:13]
	s_cbranch_execnz .LBB283_1011
; %bb.750:                              ;   in Loop: Header=BB283_555 Depth=1
	s_or_saveexec_b64 s[8:9], s[8:9]
	v_mov_b32_e32 v26, s20
	s_xor_b64 exec, exec, s[8:9]
	s_cbranch_execnz .LBB283_1014
.LBB283_751:                            ;   in Loop: Header=BB283_555 Depth=1
	s_or_b64 exec, exec, s[8:9]
	s_and_saveexec_b64 s[8:9], s[0:1]
	s_cbranch_execz .LBB283_753
.LBB283_752:                            ;   in Loop: Header=BB283_555 Depth=1
	v_bfe_u32 v16, v31, 16, 3
	v_ffbh_u32_e32 v26, v16
	v_min_u32_e32 v30, 32, v26
	v_subrev_u32_e32 v26, 28, v30
	v_bfe_u32 v29, v31, 19, 4
	v_lshlrev_b64 v[26:27], v26, v[10:11]
	v_sub_u32_e32 v27, 29, v30
	v_cmp_eq_u32_e64 s[0:1], 0, v29
	v_and_b32_e32 v26, 7, v26
	v_lshlrev_b32_e32 v10, 8, v10
	v_cndmask_b32_e64 v27, v29, v27, s[0:1]
	v_cndmask_b32_e64 v16, v16, v26, s[0:1]
	v_lshl_add_u32 v26, v27, 10, v39
	v_and_or_b32 v10, v10, s17, v26
	v_lshl_or_b32 v10, v16, 7, v10
	v_cvt_f32_f16_e32 v26, v10
.LBB283_753:                            ;   in Loop: Header=BB283_555 Depth=1
	s_or_b64 exec, exec, s[8:9]
	v_lshrrev_b32_e32 v10, 24, v31
	v_cmp_lt_i16_e64 s[0:1], s3, v10
	s_mov_b64 s[8:9], 0
                                        ; implicit-def: $sgpr26
	s_and_saveexec_b64 s[12:13], s[0:1]
	s_xor_b64 s[12:13], exec, s[12:13]
	s_cbranch_execnz .LBB283_1015
; %bb.754:                              ;   in Loop: Header=BB283_555 Depth=1
	s_or_saveexec_b64 s[12:13], s[12:13]
	v_mov_b32_e32 v29, s26
	s_xor_b64 exec, exec, s[12:13]
	s_cbranch_execnz .LBB283_1018
.LBB283_755:                            ;   in Loop: Header=BB283_555 Depth=1
	s_or_b64 exec, exec, s[12:13]
	s_and_saveexec_b64 s[12:13], s[8:9]
	s_cbranch_execz .LBB283_757
.LBB283_756:                            ;   in Loop: Header=BB283_555 Depth=1
	v_bfe_u32 v16, v31, 24, 3
	v_ffbh_u32_e32 v29, v16
	v_bfe_u32 v27, v31, 27, 4
	v_min_u32_e32 v29, 32, v29
	v_subrev_u32_e32 v30, 28, v29
	v_sub_u32_e32 v29, 29, v29
	v_cmp_eq_u32_e64 s[0:1], 0, v27
	v_lshlrev_b64 v[30:31], v30, v[10:11]
	v_and_b32_e32 v30, 7, v30
	v_cndmask_b32_e64 v27, v27, v29, s[0:1]
	v_lshlrev_b32_e32 v10, 8, v10
	v_lshl_add_u32 v27, v27, 10, v39
	v_cndmask_b32_e64 v16, v16, v30, s[0:1]
	v_and_or_b32 v10, v10, s17, v27
	v_lshl_or_b32 v10, v16, 7, v10
	v_cvt_f32_f16_e32 v29, v10
.LBB283_757:                            ;   in Loop: Header=BB283_555 Depth=1
	s_or_b64 exec, exec, s[12:13]
	v_pk_mul_f32 v[30:31], v[28:29], v[34:35] op_sel_hi:[0,1]
	v_pk_mul_f32 v[32:33], v[28:29], v[32:33] op_sel_hi:[0,1]
	v_cvt_f16_f32_e32 v10, v31
	v_cvt_f16_f32_e32 v16, v30
	;; [unrolled: 1-line block ×4, first 2 shown]
	v_fma_mixlo_f16 v6, v28, v6, 0
	v_pack_b32_f16 v16, v16, v10
	v_fma_mixlo_f16 v26, v28, v26, 0
	v_pack_b32_f16 v27, v30, v27
	v_perm_b32 v10, v27, v16, s23
	v_perm_b32 v27, v27, v16, s24
	v_fma_mixlo_f16 v16, v28, v22, 0
	v_lshlrev_b32_e32 v16, 16, v16
	v_or_b32_sdwa v6, v16, v6 dst_sel:DWORD dst_unused:UNUSED_PAD src0_sel:DWORD src1_sel:WORD_0
	v_fma_mixlo_f16 v16, v28, v29, 0
	v_lshlrev_b32_e32 v16, 16, v16
	v_or_b32_sdwa v22, v16, v26 dst_sel:DWORD dst_unused:UNUSED_PAD src0_sel:DWORD src1_sel:WORD_0
	s_and_saveexec_b64 s[8:9], vcc
	s_cbranch_execz .LBB283_759
; %bb.758:                              ;   in Loop: Header=BB283_555 Depth=1
	v_lshrrev_b32_e32 v16, 16, v27
	v_cmp_lt_i32_e64 s[0:1], v43, v13
	v_accvgpr_read_b32 v28, a8
	s_nop 0
	v_cndmask_b32_e64 v16, 0, v16, s[0:1]
	v_cmp_lt_i32_e64 s[0:1], v7, v28
	s_nop 1
	v_cndmask_b32_e64 v27, 0, v27, s[0:1]
	v_perm_b32 v27, v16, v27, s25
	v_lshrrev_b32_e32 v16, 16, v10
	v_cmp_lt_i32_e64 s[0:1], v54, v13
	s_nop 1
	v_cndmask_b32_e64 v16, 0, v16, s[0:1]
	v_cmp_lt_i32_e64 s[0:1], v53, v28
	s_nop 1
	v_cndmask_b32_e64 v10, 0, v10, s[0:1]
	v_perm_b32 v10, v16, v10, s25
	v_lshrrev_b32_e32 v16, 16, v6
	v_cmp_lt_i32_e64 s[0:1], v52, v13
	;; [unrolled: 8-line block ×3, first 2 shown]
	s_nop 1
	v_cndmask_b32_e64 v16, 0, v16, s[0:1]
	v_cmp_lt_i32_e64 s[0:1], v49, v28
	s_nop 1
	v_cndmask_b32_e64 v22, 0, v26, s[0:1]
	v_perm_b32 v22, v16, v22, s25
.LBB283_759:                            ;   in Loop: Header=BB283_555 Depth=1
	s_or_b64 exec, exec, s[8:9]
	;;#ASMSTART
	v_pk_mul_f16 v16, v55, v27;

	;;#ASMEND
	;;#ASMSTART
	v_pk_mul_f16 v10, v40, v10;

	;;#ASMEND
	;; [unrolled: 4-line block ×4, first 2 shown]
	v_accvgpr_read_b32 v27, a5
	;;#ASMSTART
	v_pk_add_f16 v10, v16, v10;

	;;#ASMEND
	v_accvgpr_read_b32 v26, a4
	;;#ASMSTART
	v_pk_add_f16 v6, v10, v6;

	;;#ASMEND
	s_mov_b64 s[0:1], 0
	;;#ASMSTART
	v_pk_add_f16 v6, v6, v22;

	;;#ASMEND
                                        ; implicit-def: $sgpr20
	s_nop 0
	v_lshrrev_b32_e32 v10, 16, v6
	v_and_b32_e32 v6, 0xffff, v6
	;;#ASMSTART
	v_cvt_f32_f16 v22, v6;
	;;#ASMEND
	;;#ASMSTART
	v_cvt_f32_f16 v58, v10;
	;;#ASMEND
	flat_load_dwordx2 v[30:31], v[18:19] offset:3072
	flat_load_dword v28, v[26:27]
	s_waitcnt vmcnt(0) lgkmcnt(0)
	v_cmp_gt_i16_sdwa s[8:9], v30, s3 src0_sel:BYTE_0 src1_sel:DWORD
	s_and_saveexec_b64 s[12:13], s[8:9]
	s_xor_b64 s[8:9], exec, s[12:13]
	s_cbranch_execnz .LBB283_1019
; %bb.760:                              ;   in Loop: Header=BB283_555 Depth=1
	s_or_saveexec_b64 s[8:9], s[8:9]
	v_mov_b32_e32 v32, s20
	s_xor_b64 exec, exec, s[8:9]
	s_cbranch_execnz .LBB283_1022
.LBB283_761:                            ;   in Loop: Header=BB283_555 Depth=1
	s_or_b64 exec, exec, s[8:9]
	s_and_saveexec_b64 s[8:9], s[0:1]
	s_cbranch_execz .LBB283_763
.LBB283_762:                            ;   in Loop: Header=BB283_555 Depth=1
	v_and_b32_e32 v6, 7, v30
	v_ffbh_u32_e32 v6, v6
	v_bfe_u32 v10, v30, 3, 4
	v_min_u32_e32 v6, 32, v6
	v_subrev_u32_e32 v16, 28, v6
	v_sub_u32_e32 v6, 29, v6
	v_cmp_eq_u32_e64 s[0:1], 0, v10
	s_nop 1
	v_cndmask_b32_e64 v6, v10, v6, s[0:1]
	v_cndmask_b32_e64 v10, 0, v16, s[0:1]
	v_lshlrev_b64 v[26:27], v10, v[30:31]
	v_lshlrev_b32_e32 v16, 8, v30
	v_lshl_add_u32 v6, v6, 10, v39
	v_lshlrev_b32_e32 v10, 7, v26
	v_and_or_b32 v6, v16, s17, v6
	v_and_or_b32 v6, v10, s22, v6
	v_cvt_f32_f16_e32 v32, v6
.LBB283_763:                            ;   in Loop: Header=BB283_555 Depth=1
	s_or_b64 exec, exec, s[8:9]
	v_lshrrev_b16_e32 v10, 8, v30
	v_cmp_lt_i16_e64 s[0:1], s3, v10
	s_mov_b64 s[8:9], 0
                                        ; implicit-def: $sgpr26
	s_and_saveexec_b64 s[12:13], s[0:1]
	s_xor_b64 s[12:13], exec, s[12:13]
	s_cbranch_execnz .LBB283_1023
; %bb.764:                              ;   in Loop: Header=BB283_555 Depth=1
	s_or_saveexec_b64 s[12:13], s[12:13]
	v_mov_b32_e32 v34, s26
	s_xor_b64 exec, exec, s[12:13]
	s_cbranch_execnz .LBB283_1026
.LBB283_765:                            ;   in Loop: Header=BB283_555 Depth=1
	s_or_b64 exec, exec, s[12:13]
	s_and_saveexec_b64 s[12:13], s[8:9]
	s_cbranch_execz .LBB283_767
.LBB283_766:                            ;   in Loop: Header=BB283_555 Depth=1
	v_and_b32_e32 v6, 7, v10
	v_ffbh_u32_e32 v26, v6
	v_min_u32_e32 v29, 32, v26
	v_subrev_u32_e32 v26, 28, v29
	v_bfe_u32 v16, v10, 3, 4
	v_lshlrev_b64 v[26:27], v26, v[10:11]
	v_sub_u32_e32 v27, 29, v29
	v_cmp_eq_u32_e64 s[0:1], 0, v16
	v_and_b32_e32 v26, 7, v26
	v_lshlrev_b32_e32 v10, 8, v10
	v_cndmask_b32_e64 v16, v16, v27, s[0:1]
	v_lshl_add_u32 v16, v16, 10, v39
	v_cndmask_b32_e64 v6, v6, v26, s[0:1]
	v_and_or_b32 v10, v10, s17, v16
	v_lshl_or_b32 v6, v6, 7, v10
	v_cvt_f32_f16_e32 v34, v6
.LBB283_767:                            ;   in Loop: Header=BB283_555 Depth=1
	s_or_b64 exec, exec, s[12:13]
	v_lshrrev_b32_e32 v10, 16, v30
	v_cmp_gt_i16_sdwa s[8:9], v10, s3 src0_sel:BYTE_0 src1_sel:DWORD
	s_mov_b64 s[0:1], 0
                                        ; implicit-def: $sgpr20
	s_and_saveexec_b64 s[12:13], s[8:9]
	s_xor_b64 s[8:9], exec, s[12:13]
	s_cbranch_execnz .LBB283_1027
; %bb.768:                              ;   in Loop: Header=BB283_555 Depth=1
	s_or_saveexec_b64 s[8:9], s[8:9]
	v_mov_b32_e32 v33, s20
	s_xor_b64 exec, exec, s[8:9]
	s_cbranch_execnz .LBB283_1030
.LBB283_769:                            ;   in Loop: Header=BB283_555 Depth=1
	s_or_b64 exec, exec, s[8:9]
	s_and_saveexec_b64 s[8:9], s[0:1]
	s_cbranch_execz .LBB283_771
.LBB283_770:                            ;   in Loop: Header=BB283_555 Depth=1
	v_bfe_u32 v6, v30, 16, 3
	v_ffbh_u32_e32 v26, v6
	v_min_u32_e32 v29, 32, v26
	v_subrev_u32_e32 v26, 28, v29
	v_bfe_u32 v16, v30, 19, 4
	v_lshlrev_b64 v[26:27], v26, v[10:11]
	v_sub_u32_e32 v27, 29, v29
	v_cmp_eq_u32_e64 s[0:1], 0, v16
	v_and_b32_e32 v26, 7, v26
	v_lshlrev_b32_e32 v10, 8, v10
	v_cndmask_b32_e64 v16, v16, v27, s[0:1]
	v_lshl_add_u32 v16, v16, 10, v39
	v_cndmask_b32_e64 v6, v6, v26, s[0:1]
	v_and_or_b32 v10, v10, s17, v16
	v_lshl_or_b32 v6, v6, 7, v10
	v_cvt_f32_f16_e32 v33, v6
.LBB283_771:                            ;   in Loop: Header=BB283_555 Depth=1
	s_or_b64 exec, exec, s[8:9]
	v_lshrrev_b32_e32 v10, 24, v30
	v_cmp_lt_i16_e64 s[0:1], s3, v10
	s_mov_b64 s[8:9], 0
                                        ; implicit-def: $sgpr26
	s_and_saveexec_b64 s[12:13], s[0:1]
	s_xor_b64 s[12:13], exec, s[12:13]
	s_cbranch_execnz .LBB283_1031
; %bb.772:                              ;   in Loop: Header=BB283_555 Depth=1
	s_or_saveexec_b64 s[12:13], s[12:13]
	v_mov_b32_e32 v35, s26
	s_xor_b64 exec, exec, s[12:13]
	s_cbranch_execnz .LBB283_1034
.LBB283_773:                            ;   in Loop: Header=BB283_555 Depth=1
	s_or_b64 exec, exec, s[12:13]
	s_and_saveexec_b64 s[12:13], s[8:9]
	s_cbranch_execz .LBB283_775
.LBB283_774:                            ;   in Loop: Header=BB283_555 Depth=1
	v_bfe_u32 v6, v30, 24, 3
	v_ffbh_u32_e32 v26, v6
	v_min_u32_e32 v29, 32, v26
	v_subrev_u32_e32 v26, 28, v29
	v_bfe_u32 v16, v30, 27, 4
	v_lshlrev_b64 v[26:27], v26, v[10:11]
	v_sub_u32_e32 v27, 29, v29
	v_cmp_eq_u32_e64 s[0:1], 0, v16
	v_and_b32_e32 v26, 7, v26
	v_lshlrev_b32_e32 v10, 8, v10
	v_cndmask_b32_e64 v16, v16, v27, s[0:1]
	v_lshl_add_u32 v16, v16, 10, v39
	v_cndmask_b32_e64 v6, v6, v26, s[0:1]
	v_and_or_b32 v10, v10, s17, v16
	v_lshl_or_b32 v6, v6, 7, v10
	v_cvt_f32_f16_e32 v35, v6
.LBB283_775:                            ;   in Loop: Header=BB283_555 Depth=1
	s_or_b64 exec, exec, s[12:13]
	v_cmp_gt_i16_sdwa s[8:9], v31, s3 src0_sel:BYTE_0 src1_sel:DWORD
	s_mov_b64 s[0:1], 0
                                        ; implicit-def: $sgpr20
	s_and_saveexec_b64 s[12:13], s[8:9]
	s_xor_b64 s[8:9], exec, s[12:13]
	s_cbranch_execnz .LBB283_1035
; %bb.776:                              ;   in Loop: Header=BB283_555 Depth=1
	s_or_saveexec_b64 s[8:9], s[8:9]
	v_mov_b32_e32 v6, s20
	s_xor_b64 exec, exec, s[8:9]
	s_cbranch_execnz .LBB283_1038
.LBB283_777:                            ;   in Loop: Header=BB283_555 Depth=1
	s_or_b64 exec, exec, s[8:9]
	v_mov_b32_e32 v10, v31
	s_and_saveexec_b64 s[8:9], s[0:1]
	s_cbranch_execz .LBB283_779
.LBB283_778:                            ;   in Loop: Header=BB283_555 Depth=1
	v_and_b32_e32 v6, 7, v31
	v_ffbh_u32_e32 v6, v6
	v_bfe_u32 v16, v31, 3, 4
	v_min_u32_e32 v6, 32, v6
	v_subrev_u32_e32 v26, 28, v6
	v_sub_u32_e32 v6, 29, v6
	v_cmp_eq_u32_e64 s[0:1], 0, v16
	s_nop 1
	v_cndmask_b32_e64 v6, v16, v6, s[0:1]
	v_cndmask_b32_e64 v16, 0, v26, s[0:1]
	v_lshlrev_b64 v[26:27], v16, v[10:11]
	v_lshlrev_b32_e32 v16, 7, v26
	v_lshlrev_b32_e32 v26, 8, v31
	v_lshl_add_u32 v6, v6, 10, v39
	v_and_or_b32 v6, v26, s17, v6
	v_and_or_b32 v6, v16, s22, v6
	v_cvt_f32_f16_e32 v6, v6
.LBB283_779:                            ;   in Loop: Header=BB283_555 Depth=1
	s_or_b64 exec, exec, s[8:9]
	v_lshrrev_b16_e32 v10, 8, v10
	v_cmp_lt_i16_e64 s[0:1], s3, v10
	s_mov_b64 s[8:9], 0
                                        ; implicit-def: $sgpr26
	s_and_saveexec_b64 s[12:13], s[0:1]
	s_xor_b64 s[12:13], exec, s[12:13]
	s_cbranch_execnz .LBB283_1039
; %bb.780:                              ;   in Loop: Header=BB283_555 Depth=1
	s_or_saveexec_b64 s[12:13], s[12:13]
	v_mov_b32_e32 v26, s26
	s_xor_b64 exec, exec, s[12:13]
	s_cbranch_execnz .LBB283_1042
.LBB283_781:                            ;   in Loop: Header=BB283_555 Depth=1
	s_or_b64 exec, exec, s[12:13]
	s_and_saveexec_b64 s[12:13], s[8:9]
	s_cbranch_execz .LBB283_783
.LBB283_782:                            ;   in Loop: Header=BB283_555 Depth=1
	v_and_b32_e32 v16, 7, v10
	v_ffbh_u32_e32 v26, v16
	v_min_u32_e32 v30, 32, v26
	v_subrev_u32_e32 v26, 28, v30
	v_bfe_u32 v29, v10, 3, 4
	v_lshlrev_b64 v[26:27], v26, v[10:11]
	v_sub_u32_e32 v27, 29, v30
	v_cmp_eq_u32_e64 s[0:1], 0, v29
	v_and_b32_e32 v26, 7, v26
	v_lshlrev_b32_e32 v10, 8, v10
	v_cndmask_b32_e64 v27, v29, v27, s[0:1]
	v_cndmask_b32_e64 v16, v16, v26, s[0:1]
	v_lshl_add_u32 v26, v27, 10, v39
	v_and_or_b32 v10, v10, s17, v26
	v_lshl_or_b32 v10, v16, 7, v10
	v_cvt_f32_f16_e32 v26, v10
.LBB283_783:                            ;   in Loop: Header=BB283_555 Depth=1
	s_or_b64 exec, exec, s[12:13]
	v_lshrrev_b32_e32 v10, 16, v31
	v_cmp_gt_i16_sdwa s[8:9], v10, s3 src0_sel:BYTE_0 src1_sel:DWORD
	s_mov_b64 s[0:1], 0
                                        ; implicit-def: $sgpr20
	s_and_saveexec_b64 s[12:13], s[8:9]
	s_xor_b64 s[8:9], exec, s[12:13]
	s_cbranch_execnz .LBB283_1043
; %bb.784:                              ;   in Loop: Header=BB283_555 Depth=1
	s_or_saveexec_b64 s[8:9], s[8:9]
	v_mov_b32_e32 v27, s20
	s_xor_b64 exec, exec, s[8:9]
	s_cbranch_execnz .LBB283_1046
.LBB283_785:                            ;   in Loop: Header=BB283_555 Depth=1
	s_or_b64 exec, exec, s[8:9]
	s_and_saveexec_b64 s[8:9], s[0:1]
	s_cbranch_execz .LBB283_787
.LBB283_786:                            ;   in Loop: Header=BB283_555 Depth=1
	v_bfe_u32 v16, v31, 16, 3
	v_ffbh_u32_e32 v29, v16
	v_bfe_u32 v27, v31, 19, 4
	v_min_u32_e32 v29, 32, v29
	v_subrev_u32_e32 v30, 28, v29
	v_sub_u32_e32 v29, 29, v29
	v_cmp_eq_u32_e64 s[0:1], 0, v27
	v_lshlrev_b64 v[60:61], v30, v[10:11]
	v_and_b32_e32 v30, 7, v60
	v_cndmask_b32_e64 v27, v27, v29, s[0:1]
	v_lshlrev_b32_e32 v10, 8, v10
	v_lshl_add_u32 v27, v27, 10, v39
	v_cndmask_b32_e64 v16, v16, v30, s[0:1]
	v_and_or_b32 v10, v10, s17, v27
	v_lshl_or_b32 v10, v16, 7, v10
	v_cvt_f32_f16_e32 v27, v10
.LBB283_787:                            ;   in Loop: Header=BB283_555 Depth=1
	s_or_b64 exec, exec, s[8:9]
	v_lshrrev_b32_e32 v10, 24, v31
	v_cmp_lt_i16_e64 s[0:1], s3, v10
	s_mov_b64 s[8:9], 0
                                        ; implicit-def: $sgpr26
	s_and_saveexec_b64 s[12:13], s[0:1]
	s_xor_b64 s[12:13], exec, s[12:13]
	s_cbranch_execnz .LBB283_1047
; %bb.788:                              ;   in Loop: Header=BB283_555 Depth=1
	s_or_saveexec_b64 s[12:13], s[12:13]
	v_mov_b32_e32 v30, s26
	s_xor_b64 exec, exec, s[12:13]
	s_cbranch_execnz .LBB283_1050
.LBB283_789:                            ;   in Loop: Header=BB283_555 Depth=1
	s_or_b64 exec, exec, s[12:13]
	s_and_saveexec_b64 s[12:13], s[8:9]
	s_cbranch_execz .LBB283_791
.LBB283_790:                            ;   in Loop: Header=BB283_555 Depth=1
	v_bfe_u32 v16, v31, 24, 3
	v_ffbh_u32_e32 v30, v16
	v_min_u32_e32 v59, 32, v30
	v_subrev_u32_e32 v30, 28, v59
	v_bfe_u32 v29, v31, 27, 4
	v_lshlrev_b64 v[30:31], v30, v[10:11]
	v_sub_u32_e32 v31, 29, v59
	v_cmp_eq_u32_e64 s[0:1], 0, v29
	v_and_b32_e32 v30, 7, v30
	v_lshlrev_b32_e32 v10, 8, v10
	v_cndmask_b32_e64 v29, v29, v31, s[0:1]
	v_lshl_add_u32 v29, v29, 10, v39
	v_cndmask_b32_e64 v16, v16, v30, s[0:1]
	v_and_or_b32 v10, v10, s17, v29
	v_lshl_or_b32 v10, v16, 7, v10
	v_cvt_f32_f16_e32 v30, v10
.LBB283_791:                            ;   in Loop: Header=BB283_555 Depth=1
	s_or_b64 exec, exec, s[12:13]
	v_pk_mul_f32 v[34:35], v[28:29], v[34:35] op_sel_hi:[0,1]
	v_pk_mul_f32 v[32:33], v[28:29], v[32:33] op_sel_hi:[0,1]
	v_cvt_f16_f32_e32 v10, v35
	v_cvt_f16_f32_e32 v16, v34
	;; [unrolled: 1-line block ×4, first 2 shown]
	v_fma_mixlo_f16 v6, v28, v6, 0
	v_pack_b32_f16 v16, v16, v10
	v_fma_mixlo_f16 v27, v28, v27, 0
	v_pack_b32_f16 v29, v31, v29
	v_perm_b32 v10, v29, v16, s23
	v_perm_b32 v29, v29, v16, s24
	v_fma_mixlo_f16 v16, v28, v26, 0
	v_lshlrev_b32_e32 v16, 16, v16
	v_or_b32_sdwa v6, v16, v6 dst_sel:DWORD dst_unused:UNUSED_PAD src0_sel:DWORD src1_sel:WORD_0
	v_fma_mixlo_f16 v16, v28, v30, 0
	v_lshlrev_b32_e32 v16, 16, v16
	v_or_b32_sdwa v26, v16, v27 dst_sel:DWORD dst_unused:UNUSED_PAD src0_sel:DWORD src1_sel:WORD_0
	s_and_saveexec_b64 s[8:9], vcc
	s_cbranch_execz .LBB283_793
; %bb.792:                              ;   in Loop: Header=BB283_555 Depth=1
	v_lshrrev_b32_e32 v16, 16, v29
	v_cmp_lt_i32_e64 s[0:1], v43, v13
	v_accvgpr_read_b32 v30, a8
	s_nop 0
	v_cndmask_b32_e64 v16, 0, v16, s[0:1]
	v_cmp_lt_i32_e64 s[0:1], v7, v30
	s_nop 1
	v_cndmask_b32_e64 v28, 0, v29, s[0:1]
	v_perm_b32 v29, v16, v28, s25
	v_lshrrev_b32_e32 v16, 16, v10
	v_cmp_lt_i32_e64 s[0:1], v54, v13
	s_nop 1
	v_cndmask_b32_e64 v16, 0, v16, s[0:1]
	v_cmp_lt_i32_e64 s[0:1], v53, v30
	s_nop 1
	v_cndmask_b32_e64 v10, 0, v10, s[0:1]
	v_perm_b32 v10, v16, v10, s25
	v_lshrrev_b32_e32 v16, 16, v6
	v_cmp_lt_i32_e64 s[0:1], v52, v13
	;; [unrolled: 8-line block ×3, first 2 shown]
	s_nop 1
	v_cndmask_b32_e64 v16, 0, v16, s[0:1]
	v_cmp_lt_i32_e64 s[0:1], v49, v30
	s_nop 1
	v_cndmask_b32_e64 v26, 0, v27, s[0:1]
	v_perm_b32 v26, v16, v26, s25
.LBB283_793:                            ;   in Loop: Header=BB283_555 Depth=1
	s_or_b64 exec, exec, s[8:9]
	;;#ASMSTART
	v_pk_mul_f16 v16, v55, v29;

	;;#ASMEND
	;;#ASMSTART
	v_pk_mul_f16 v10, v40, v10;

	;;#ASMEND
	;; [unrolled: 4-line block ×4, first 2 shown]
	s_mov_b64 s[0:1], 0
	;;#ASMSTART
	v_pk_add_f16 v10, v16, v10;

	;;#ASMEND
                                        ; implicit-def: $sgpr20
	s_nop 0
	;;#ASMSTART
	v_pk_add_f16 v6, v10, v6;

	;;#ASMEND
	s_nop 0
	;;#ASMSTART
	v_pk_add_f16 v6, v6, v26;

	;;#ASMEND
	s_nop 0
	v_lshrrev_b32_e32 v10, 16, v6
	v_and_b32_e32 v6, 0xffff, v6
	;;#ASMSTART
	v_cvt_f32_f16 v6, v6;
	;;#ASMEND
	;;#ASMSTART
	v_cvt_f32_f16 v27, v10;
	;;#ASMEND
	flat_load_dwordx2 v[28:29], v[18:19] offset:3584
	v_accvgpr_read_b32 v19, a5
	v_accvgpr_read_b32 v18, a4
	flat_load_dword v18, v[18:19]
	s_waitcnt vmcnt(0) lgkmcnt(0)
	v_cmp_gt_i16_sdwa s[8:9], v28, s3 src0_sel:BYTE_0 src1_sel:DWORD
	s_and_saveexec_b64 s[12:13], s[8:9]
	s_xor_b64 s[8:9], exec, s[12:13]
	s_cbranch_execnz .LBB283_1051
; %bb.794:                              ;   in Loop: Header=BB283_555 Depth=1
	s_or_saveexec_b64 s[8:9], s[8:9]
	v_mov_b32_e32 v30, s20
	s_xor_b64 exec, exec, s[8:9]
	s_cbranch_execnz .LBB283_1054
.LBB283_795:                            ;   in Loop: Header=BB283_555 Depth=1
	s_or_b64 exec, exec, s[8:9]
	s_and_saveexec_b64 s[8:9], s[0:1]
	s_cbranch_execz .LBB283_797
.LBB283_796:                            ;   in Loop: Header=BB283_555 Depth=1
	v_and_b32_e32 v10, 7, v28
	v_ffbh_u32_e32 v10, v10
	v_bfe_u32 v16, v28, 3, 4
	v_min_u32_e32 v10, 32, v10
	v_subrev_u32_e32 v19, 28, v10
	v_sub_u32_e32 v10, 29, v10
	v_cmp_eq_u32_e64 s[0:1], 0, v16
	s_nop 1
	v_cndmask_b32_e64 v10, v16, v10, s[0:1]
	v_cndmask_b32_e64 v16, 0, v19, s[0:1]
	v_lshlrev_b64 v[30:31], v16, v[28:29]
	v_lshlrev_b32_e32 v19, 8, v28
	v_lshl_add_u32 v10, v10, 10, v39
	v_lshlrev_b32_e32 v16, 7, v30
	v_and_or_b32 v10, v19, s17, v10
	v_and_or_b32 v10, v16, s22, v10
	v_cvt_f32_f16_e32 v30, v10
.LBB283_797:                            ;   in Loop: Header=BB283_555 Depth=1
	s_or_b64 exec, exec, s[8:9]
	v_lshrrev_b16_e32 v10, 8, v28
	v_cmp_lt_i16_e64 s[0:1], s3, v10
	s_mov_b64 s[8:9], 0
                                        ; implicit-def: $sgpr26
	s_and_saveexec_b64 s[12:13], s[0:1]
	s_xor_b64 s[12:13], exec, s[12:13]
	s_cbranch_execnz .LBB283_1055
; %bb.798:                              ;   in Loop: Header=BB283_555 Depth=1
	s_or_saveexec_b64 s[12:13], s[12:13]
	v_mov_b32_e32 v32, s26
	s_xor_b64 exec, exec, s[12:13]
	s_cbranch_execnz .LBB283_1058
.LBB283_799:                            ;   in Loop: Header=BB283_555 Depth=1
	s_or_b64 exec, exec, s[12:13]
	s_and_saveexec_b64 s[12:13], s[8:9]
	s_cbranch_execz .LBB283_801
.LBB283_800:                            ;   in Loop: Header=BB283_555 Depth=1
	v_and_b32_e32 v16, 7, v10
	v_ffbh_u32_e32 v26, v16
	v_bfe_u32 v19, v10, 3, 4
	v_min_u32_e32 v26, 32, v26
	v_subrev_u32_e32 v31, 28, v26
	v_sub_u32_e32 v26, 29, v26
	v_cmp_eq_u32_e64 s[0:1], 0, v19
	v_lshlrev_b64 v[32:33], v31, v[10:11]
	v_and_b32_e32 v31, 7, v32
	v_cndmask_b32_e64 v19, v19, v26, s[0:1]
	v_lshlrev_b32_e32 v10, 8, v10
	v_lshl_add_u32 v19, v19, 10, v39
	v_cndmask_b32_e64 v16, v16, v31, s[0:1]
	v_and_or_b32 v10, v10, s17, v19
	v_lshl_or_b32 v10, v16, 7, v10
	v_cvt_f32_f16_e32 v32, v10
.LBB283_801:                            ;   in Loop: Header=BB283_555 Depth=1
	s_or_b64 exec, exec, s[12:13]
	v_lshrrev_b32_e32 v10, 16, v28
	v_cmp_gt_i16_sdwa s[8:9], v10, s3 src0_sel:BYTE_0 src1_sel:DWORD
	s_mov_b64 s[0:1], 0
                                        ; implicit-def: $sgpr20
	s_and_saveexec_b64 s[12:13], s[8:9]
	s_xor_b64 s[8:9], exec, s[12:13]
	s_cbranch_execnz .LBB283_1059
; %bb.802:                              ;   in Loop: Header=BB283_555 Depth=1
	s_or_saveexec_b64 s[8:9], s[8:9]
	v_mov_b32_e32 v31, s20
	s_xor_b64 exec, exec, s[8:9]
	s_cbranch_execnz .LBB283_1062
.LBB283_803:                            ;   in Loop: Header=BB283_555 Depth=1
	s_or_b64 exec, exec, s[8:9]
	s_and_saveexec_b64 s[8:9], s[0:1]
	s_cbranch_execz .LBB283_805
.LBB283_804:                            ;   in Loop: Header=BB283_555 Depth=1
	v_bfe_u32 v16, v28, 16, 3
	v_ffbh_u32_e32 v26, v16
	v_bfe_u32 v19, v28, 19, 4
	v_min_u32_e32 v26, 32, v26
	v_subrev_u32_e32 v31, 28, v26
	v_sub_u32_e32 v26, 29, v26
	v_cmp_eq_u32_e64 s[0:1], 0, v19
	v_lshlrev_b64 v[34:35], v31, v[10:11]
	v_and_b32_e32 v31, 7, v34
	v_cndmask_b32_e64 v19, v19, v26, s[0:1]
	v_lshlrev_b32_e32 v10, 8, v10
	v_lshl_add_u32 v19, v19, 10, v39
	v_cndmask_b32_e64 v16, v16, v31, s[0:1]
	v_and_or_b32 v10, v10, s17, v19
	v_lshl_or_b32 v10, v16, 7, v10
	v_cvt_f32_f16_e32 v31, v10
.LBB283_805:                            ;   in Loop: Header=BB283_555 Depth=1
	s_or_b64 exec, exec, s[8:9]
	v_lshrrev_b32_e32 v10, 24, v28
	v_cmp_lt_i16_e64 s[0:1], s3, v10
	s_mov_b64 s[8:9], 0
                                        ; implicit-def: $sgpr26
	s_and_saveexec_b64 s[12:13], s[0:1]
	s_xor_b64 s[12:13], exec, s[12:13]
	s_cbranch_execnz .LBB283_1063
; %bb.806:                              ;   in Loop: Header=BB283_555 Depth=1
	s_or_saveexec_b64 s[12:13], s[12:13]
	v_mov_b32_e32 v33, s26
	s_xor_b64 exec, exec, s[12:13]
	s_cbranch_execnz .LBB283_1066
.LBB283_807:                            ;   in Loop: Header=BB283_555 Depth=1
	s_or_b64 exec, exec, s[12:13]
	s_and_saveexec_b64 s[12:13], s[8:9]
	s_cbranch_execz .LBB283_809
.LBB283_808:                            ;   in Loop: Header=BB283_555 Depth=1
	v_bfe_u32 v16, v28, 24, 3
	v_ffbh_u32_e32 v26, v16
	v_bfe_u32 v19, v28, 27, 4
	v_min_u32_e32 v26, 32, v26
	v_subrev_u32_e32 v28, 28, v26
	v_sub_u32_e32 v26, 29, v26
	v_cmp_eq_u32_e64 s[0:1], 0, v19
	v_lshlrev_b64 v[34:35], v28, v[10:11]
	v_and_b32_e32 v28, 7, v34
	v_cndmask_b32_e64 v19, v19, v26, s[0:1]
	v_lshlrev_b32_e32 v10, 8, v10
	v_lshl_add_u32 v19, v19, 10, v39
	v_cndmask_b32_e64 v16, v16, v28, s[0:1]
	v_and_or_b32 v10, v10, s17, v19
	v_lshl_or_b32 v10, v16, 7, v10
	v_cvt_f32_f16_e32 v33, v10
.LBB283_809:                            ;   in Loop: Header=BB283_555 Depth=1
	s_or_b64 exec, exec, s[12:13]
	v_cmp_gt_i16_sdwa s[8:9], v29, s3 src0_sel:BYTE_0 src1_sel:DWORD
	s_mov_b64 s[0:1], 0
                                        ; implicit-def: $sgpr20
	s_and_saveexec_b64 s[12:13], s[8:9]
	s_xor_b64 s[8:9], exec, s[12:13]
	s_cbranch_execnz .LBB283_1067
; %bb.810:                              ;   in Loop: Header=BB283_555 Depth=1
	s_or_saveexec_b64 s[8:9], s[8:9]
	v_mov_b32_e32 v19, s20
	s_xor_b64 exec, exec, s[8:9]
	s_cbranch_execnz .LBB283_1070
.LBB283_811:                            ;   in Loop: Header=BB283_555 Depth=1
	s_or_b64 exec, exec, s[8:9]
	v_mov_b32_e32 v10, v29
	s_and_saveexec_b64 s[8:9], s[0:1]
	s_cbranch_execz .LBB283_813
.LBB283_812:                            ;   in Loop: Header=BB283_555 Depth=1
	v_and_b32_e32 v16, 7, v29
	v_ffbh_u32_e32 v16, v16
	v_bfe_u32 v19, v29, 3, 4
	v_min_u32_e32 v16, 32, v16
	v_subrev_u32_e32 v26, 28, v16
	v_sub_u32_e32 v16, 29, v16
	v_cmp_eq_u32_e64 s[0:1], 0, v19
	s_nop 1
	v_cndmask_b32_e64 v16, v19, v16, s[0:1]
	v_cndmask_b32_e64 v19, 0, v26, s[0:1]
	v_lshlrev_b64 v[34:35], v19, v[10:11]
	v_lshlrev_b32_e32 v26, 8, v29
	v_lshl_add_u32 v16, v16, 10, v39
	v_lshlrev_b32_e32 v19, 7, v34
	v_and_or_b32 v16, v26, s17, v16
	v_and_or_b32 v16, v19, s22, v16
	v_cvt_f32_f16_e32 v19, v16
.LBB283_813:                            ;   in Loop: Header=BB283_555 Depth=1
	s_or_b64 exec, exec, s[8:9]
	v_lshrrev_b16_e32 v10, 8, v10
	v_cmp_lt_i16_e64 s[0:1], s3, v10
	s_mov_b64 s[8:9], 0
                                        ; implicit-def: $sgpr26
	s_and_saveexec_b64 s[12:13], s[0:1]
	s_xor_b64 s[12:13], exec, s[12:13]
	s_cbranch_execnz .LBB283_1071
; %bb.814:                              ;   in Loop: Header=BB283_555 Depth=1
	s_or_saveexec_b64 s[12:13], s[12:13]
	v_mov_b32_e32 v26, s26
	s_xor_b64 exec, exec, s[12:13]
	s_cbranch_execnz .LBB283_1074
.LBB283_815:                            ;   in Loop: Header=BB283_555 Depth=1
	s_or_b64 exec, exec, s[12:13]
	s_and_saveexec_b64 s[12:13], s[8:9]
	s_cbranch_execz .LBB283_817
.LBB283_816:                            ;   in Loop: Header=BB283_555 Depth=1
	v_and_b32_e32 v16, 7, v10
	v_ffbh_u32_e32 v28, v16
	v_bfe_u32 v26, v10, 3, 4
	v_min_u32_e32 v28, 32, v28
	v_subrev_u32_e32 v34, 28, v28
	v_sub_u32_e32 v28, 29, v28
	v_cmp_eq_u32_e64 s[0:1], 0, v26
	v_lshlrev_b64 v[34:35], v34, v[10:11]
	v_and_b32_e32 v34, 7, v34
	v_cndmask_b32_e64 v26, v26, v28, s[0:1]
	v_lshlrev_b32_e32 v10, 8, v10
	v_lshl_add_u32 v26, v26, 10, v39
	v_cndmask_b32_e64 v16, v16, v34, s[0:1]
	v_and_or_b32 v10, v10, s17, v26
	v_lshl_or_b32 v10, v16, 7, v10
	v_cvt_f32_f16_e32 v26, v10
.LBB283_817:                            ;   in Loop: Header=BB283_555 Depth=1
	s_or_b64 exec, exec, s[12:13]
	v_lshrrev_b32_e32 v10, 16, v29
	v_cmp_gt_i16_sdwa s[8:9], v10, s3 src0_sel:BYTE_0 src1_sel:DWORD
	s_mov_b64 s[0:1], 0
                                        ; implicit-def: $sgpr20
	s_and_saveexec_b64 s[12:13], s[8:9]
	s_xor_b64 s[8:9], exec, s[12:13]
	s_cbranch_execnz .LBB283_1075
; %bb.818:                              ;   in Loop: Header=BB283_555 Depth=1
	s_or_saveexec_b64 s[8:9], s[8:9]
	v_mov_b32_e32 v28, s20
	s_xor_b64 exec, exec, s[8:9]
	s_cbranch_execnz .LBB283_1078
.LBB283_819:                            ;   in Loop: Header=BB283_555 Depth=1
	s_or_b64 exec, exec, s[8:9]
	s_and_saveexec_b64 s[8:9], s[0:1]
	s_cbranch_execz .LBB283_821
.LBB283_820:                            ;   in Loop: Header=BB283_555 Depth=1
	v_bfe_u32 v16, v29, 16, 3
	v_ffbh_u32_e32 v34, v16
	v_min_u32_e32 v59, 32, v34
	v_subrev_u32_e32 v34, 28, v59
	v_bfe_u32 v28, v29, 19, 4
	v_lshlrev_b64 v[34:35], v34, v[10:11]
	v_sub_u32_e32 v35, 29, v59
	v_cmp_eq_u32_e64 s[0:1], 0, v28
	v_and_b32_e32 v34, 7, v34
	v_lshlrev_b32_e32 v10, 8, v10
	v_cndmask_b32_e64 v28, v28, v35, s[0:1]
	v_lshl_add_u32 v28, v28, 10, v39
	v_cndmask_b32_e64 v16, v16, v34, s[0:1]
	v_and_or_b32 v10, v10, s17, v28
	v_lshl_or_b32 v10, v16, 7, v10
	v_cvt_f32_f16_e32 v28, v10
.LBB283_821:                            ;   in Loop: Header=BB283_555 Depth=1
	s_or_b64 exec, exec, s[8:9]
	v_lshrrev_b32_e32 v10, 24, v29
	v_cmp_lt_i16_e64 s[0:1], s3, v10
	s_mov_b64 s[8:9], 0
                                        ; implicit-def: $sgpr26
	s_and_saveexec_b64 s[12:13], s[0:1]
	s_xor_b64 s[12:13], exec, s[12:13]
	s_cbranch_execnz .LBB283_1079
; %bb.822:                              ;   in Loop: Header=BB283_555 Depth=1
	s_or_saveexec_b64 s[12:13], s[12:13]
	v_mov_b32_e32 v34, s26
	s_xor_b64 exec, exec, s[12:13]
	s_cbranch_execnz .LBB283_1082
.LBB283_823:                            ;   in Loop: Header=BB283_555 Depth=1
	s_or_b64 exec, exec, s[12:13]
	s_and_saveexec_b64 s[12:13], s[8:9]
	s_cbranch_execz .LBB283_825
.LBB283_824:                            ;   in Loop: Header=BB283_555 Depth=1
	v_bfe_u32 v16, v29, 24, 3
	v_ffbh_u32_e32 v34, v16
	v_min_u32_e32 v59, 32, v34
	v_subrev_u32_e32 v34, 28, v59
	v_bfe_u32 v29, v29, 27, 4
	v_lshlrev_b64 v[34:35], v34, v[10:11]
	v_sub_u32_e32 v35, 29, v59
	v_cmp_eq_u32_e64 s[0:1], 0, v29
	v_and_b32_e32 v34, 7, v34
	v_lshlrev_b32_e32 v10, 8, v10
	v_cndmask_b32_e64 v29, v29, v35, s[0:1]
	v_lshl_add_u32 v29, v29, 10, v39
	v_cndmask_b32_e64 v16, v16, v34, s[0:1]
	v_and_or_b32 v10, v10, s17, v29
	v_lshl_or_b32 v10, v16, 7, v10
	v_cvt_f32_f16_e32 v34, v10
.LBB283_825:                            ;   in Loop: Header=BB283_555 Depth=1
	s_or_b64 exec, exec, s[12:13]
	v_pk_mul_f32 v[32:33], v[18:19], v[32:33] op_sel_hi:[0,1]
	v_pk_mul_f32 v[30:31], v[18:19], v[30:31] op_sel_hi:[0,1]
	v_cvt_f16_f32_e32 v10, v33
	v_cvt_f16_f32_e32 v16, v32
	;; [unrolled: 1-line block ×4, first 2 shown]
	v_fma_mixlo_f16 v19, v18, v19, 0
	v_pack_b32_f16 v16, v16, v10
	v_pack_b32_f16 v29, v30, v29
	v_perm_b32 v10, v29, v16, s23
	v_perm_b32 v29, v29, v16, s24
	v_fma_mixlo_f16 v16, v18, v26, 0
	v_lshlrev_b32_e32 v16, 16, v16
	v_or_b32_sdwa v19, v16, v19 dst_sel:DWORD dst_unused:UNUSED_PAD src0_sel:DWORD src1_sel:WORD_0
	v_fma_mixlo_f16 v16, v18, v34, 0
	v_fma_mixlo_f16 v26, v18, v28, 0
	v_lshlrev_b32_e32 v16, 16, v16
	v_or_b32_sdwa v18, v16, v26 dst_sel:DWORD dst_unused:UNUSED_PAD src0_sel:DWORD src1_sel:WORD_0
	s_and_saveexec_b64 s[0:1], vcc
	s_cbranch_execz .LBB283_554
; %bb.826:                              ;   in Loop: Header=BB283_555 Depth=1
	v_lshrrev_b32_e32 v16, 16, v29
	v_cmp_lt_i32_e32 vcc, v43, v13
	v_accvgpr_read_b32 v30, a8
	s_nop 0
	v_cndmask_b32_e32 v16, 0, v16, vcc
	v_cmp_lt_i32_e32 vcc, v7, v30
	s_nop 1
	v_cndmask_b32_e32 v28, 0, v29, vcc
	v_perm_b32 v29, v16, v28, s25
	v_lshrrev_b32_e32 v16, 16, v10
	v_cmp_lt_i32_e32 vcc, v54, v13
	s_nop 1
	v_cndmask_b32_e32 v16, 0, v16, vcc
	v_cmp_lt_i32_e32 vcc, v53, v30
	s_nop 1
	v_cndmask_b32_e32 v10, 0, v10, vcc
	v_perm_b32 v10, v16, v10, s25
	v_lshrrev_b32_e32 v16, 16, v19
	v_cmp_lt_i32_e32 vcc, v52, v13
	;; [unrolled: 8-line block ×3, first 2 shown]
	s_nop 1
	v_cndmask_b32_e32 v16, 0, v16, vcc
	v_cmp_lt_i32_e32 vcc, v49, v30
	s_nop 1
	v_cndmask_b32_e32 v18, 0, v26, vcc
	v_perm_b32 v18, v16, v18, s25
	s_branch .LBB283_554
.LBB283_827:                            ;   in Loop: Header=BB283_555 Depth=1
	v_cmp_eq_u16_sdwa s[26:27], v30, s15 src0_sel:BYTE_0 src1_sel:DWORD
	s_mov_b64 s[0:1], -1
                                        ; implicit-def: $sgpr20
	s_and_saveexec_b64 s[12:13], s[26:27]
; %bb.828:                              ;   in Loop: Header=BB283_555 Depth=1
	s_mov_b32 s20, 0x7fc02000
	s_xor_b64 s[0:1], exec, -1
; %bb.829:                              ;   in Loop: Header=BB283_555 Depth=1
	s_or_b64 exec, exec, s[12:13]
	s_and_b64 s[0:1], s[0:1], exec
	s_or_saveexec_b64 s[8:9], s[8:9]
	v_mov_b32_e32 v32, s20
	s_xor_b64 exec, exec, s[8:9]
	s_cbranch_execz .LBB283_557
.LBB283_830:                            ;   in Loop: Header=BB283_555 Depth=1
	v_cmp_ne_u16_sdwa s[12:13], v30, v11 src0_sel:BYTE_0 src1_sel:DWORD
	s_andn2_b64 s[0:1], s[0:1], exec
	s_and_b64 s[12:13], s[12:13], exec
	v_mov_b32_e32 v32, 0
	s_or_b64 s[0:1], s[0:1], s[12:13]
	s_or_b64 exec, exec, s[8:9]
	s_and_saveexec_b64 s[8:9], s[0:1]
	s_cbranch_execnz .LBB283_558
	s_branch .LBB283_559
.LBB283_831:                            ;   in Loop: Header=BB283_555 Depth=1
	v_cmp_eq_u16_e32 vcc, s15, v10
	s_mov_b64 s[0:1], -1
                                        ; implicit-def: $sgpr20
	s_and_saveexec_b64 s[12:13], vcc
; %bb.832:                              ;   in Loop: Header=BB283_555 Depth=1
	s_mov_b32 s20, 0x7fc02000
	s_xor_b64 s[0:1], exec, -1
; %bb.833:                              ;   in Loop: Header=BB283_555 Depth=1
	s_or_b64 exec, exec, s[12:13]
	s_and_b64 s[0:1], s[0:1], exec
	s_or_saveexec_b64 s[8:9], s[8:9]
	v_mov_b32_e32 v34, s20
	s_xor_b64 exec, exec, s[8:9]
	s_cbranch_execz .LBB283_561
.LBB283_834:                            ;   in Loop: Header=BB283_555 Depth=1
	v_cmp_ne_u16_e32 vcc, 0, v10
	s_andn2_b64 s[0:1], s[0:1], exec
	s_and_b64 s[12:13], vcc, exec
	v_mov_b32_e32 v34, 0
	s_or_b64 s[0:1], s[0:1], s[12:13]
	s_or_b64 exec, exec, s[8:9]
	s_and_saveexec_b64 s[8:9], s[0:1]
	s_cbranch_execnz .LBB283_562
	s_branch .LBB283_563
.LBB283_835:                            ;   in Loop: Header=BB283_555 Depth=1
	v_cmp_eq_u16_sdwa s[26:27], v10, s15 src0_sel:BYTE_0 src1_sel:DWORD
	s_mov_b64 s[0:1], -1
                                        ; implicit-def: $sgpr20
	s_and_saveexec_b64 s[12:13], s[26:27]
; %bb.836:                              ;   in Loop: Header=BB283_555 Depth=1
	s_mov_b32 s20, 0x7fc02000
	s_xor_b64 s[0:1], exec, -1
; %bb.837:                              ;   in Loop: Header=BB283_555 Depth=1
	s_or_b64 exec, exec, s[12:13]
	s_and_b64 s[0:1], s[0:1], exec
	s_or_saveexec_b64 s[8:9], s[8:9]
	v_mov_b32_e32 v33, s20
	s_xor_b64 exec, exec, s[8:9]
	s_cbranch_execz .LBB283_565
.LBB283_838:                            ;   in Loop: Header=BB283_555 Depth=1
	v_cmp_ne_u16_sdwa s[12:13], v10, v11 src0_sel:BYTE_0 src1_sel:DWORD
	s_andn2_b64 s[0:1], s[0:1], exec
	s_and_b64 s[12:13], s[12:13], exec
	v_mov_b32_e32 v33, 0
	s_or_b64 s[0:1], s[0:1], s[12:13]
	s_or_b64 exec, exec, s[8:9]
	s_and_saveexec_b64 s[8:9], s[0:1]
	s_cbranch_execnz .LBB283_566
	s_branch .LBB283_567
.LBB283_839:                            ;   in Loop: Header=BB283_555 Depth=1
	v_cmp_eq_u16_e32 vcc, s15, v10
	s_mov_b64 s[0:1], -1
                                        ; implicit-def: $sgpr20
	s_and_saveexec_b64 s[12:13], vcc
; %bb.840:                              ;   in Loop: Header=BB283_555 Depth=1
	s_mov_b32 s20, 0x7fc02000
	s_xor_b64 s[0:1], exec, -1
; %bb.841:                              ;   in Loop: Header=BB283_555 Depth=1
	s_or_b64 exec, exec, s[12:13]
	s_and_b64 s[0:1], s[0:1], exec
	s_or_saveexec_b64 s[8:9], s[8:9]
	v_mov_b32_e32 v35, s20
	s_xor_b64 exec, exec, s[8:9]
	s_cbranch_execz .LBB283_569
.LBB283_842:                            ;   in Loop: Header=BB283_555 Depth=1
	v_cmp_ne_u16_e32 vcc, 0, v10
	s_andn2_b64 s[0:1], s[0:1], exec
	s_and_b64 s[12:13], vcc, exec
	v_mov_b32_e32 v35, 0
	s_or_b64 s[0:1], s[0:1], s[12:13]
	s_or_b64 exec, exec, s[8:9]
	s_and_saveexec_b64 s[8:9], s[0:1]
	s_cbranch_execnz .LBB283_570
	s_branch .LBB283_571
.LBB283_843:                            ;   in Loop: Header=BB283_555 Depth=1
	v_cmp_eq_u16_sdwa s[26:27], v31, s15 src0_sel:BYTE_0 src1_sel:DWORD
	s_mov_b64 s[0:1], -1
                                        ; implicit-def: $sgpr20
	s_and_saveexec_b64 s[12:13], s[26:27]
; %bb.844:                              ;   in Loop: Header=BB283_555 Depth=1
	s_mov_b32 s20, 0x7fc02000
	s_xor_b64 s[0:1], exec, -1
; %bb.845:                              ;   in Loop: Header=BB283_555 Depth=1
	s_or_b64 exec, exec, s[12:13]
	s_and_b64 s[0:1], s[0:1], exec
	s_or_saveexec_b64 s[8:9], s[8:9]
	v_mov_b32_e32 v26, s20
	s_xor_b64 exec, exec, s[8:9]
	s_cbranch_execz .LBB283_573
.LBB283_846:                            ;   in Loop: Header=BB283_555 Depth=1
	v_cmp_ne_u16_sdwa s[12:13], v31, v11 src0_sel:BYTE_0 src1_sel:DWORD
	s_andn2_b64 s[0:1], s[0:1], exec
	s_and_b64 s[12:13], s[12:13], exec
	v_mov_b32_e32 v26, 0
	s_or_b64 s[0:1], s[0:1], s[12:13]
	s_or_b64 exec, exec, s[8:9]
	v_mov_b32_e32 v10, v31
	s_and_saveexec_b64 s[8:9], s[0:1]
	s_cbranch_execnz .LBB283_574
	s_branch .LBB283_575
.LBB283_847:                            ;   in Loop: Header=BB283_555 Depth=1
	v_cmp_eq_u16_e32 vcc, s15, v10
	s_mov_b64 s[0:1], -1
                                        ; implicit-def: $sgpr20
	s_and_saveexec_b64 s[12:13], vcc
; %bb.848:                              ;   in Loop: Header=BB283_555 Depth=1
	s_mov_b32 s20, 0x7fc02000
	s_xor_b64 s[0:1], exec, -1
; %bb.849:                              ;   in Loop: Header=BB283_555 Depth=1
	s_or_b64 exec, exec, s[12:13]
	s_and_b64 s[0:1], s[0:1], exec
	s_or_saveexec_b64 s[8:9], s[8:9]
	v_mov_b32_e32 v30, s20
	s_xor_b64 exec, exec, s[8:9]
	s_cbranch_execz .LBB283_577
.LBB283_850:                            ;   in Loop: Header=BB283_555 Depth=1
	v_cmp_ne_u16_e32 vcc, 0, v10
	s_andn2_b64 s[0:1], s[0:1], exec
	s_and_b64 s[12:13], vcc, exec
	v_mov_b32_e32 v30, 0
	s_or_b64 s[0:1], s[0:1], s[12:13]
	s_or_b64 exec, exec, s[8:9]
	s_and_saveexec_b64 s[8:9], s[0:1]
	s_cbranch_execnz .LBB283_578
	s_branch .LBB283_579
.LBB283_851:                            ;   in Loop: Header=BB283_555 Depth=1
	v_cmp_eq_u16_sdwa s[26:27], v10, s15 src0_sel:BYTE_0 src1_sel:DWORD
	s_mov_b64 s[0:1], -1
                                        ; implicit-def: $sgpr20
	s_and_saveexec_b64 s[12:13], s[26:27]
; %bb.852:                              ;   in Loop: Header=BB283_555 Depth=1
	s_mov_b32 s20, 0x7fc02000
	s_xor_b64 s[0:1], exec, -1
; %bb.853:                              ;   in Loop: Header=BB283_555 Depth=1
	s_or_b64 exec, exec, s[12:13]
	s_and_b64 s[0:1], s[0:1], exec
	s_or_saveexec_b64 s[8:9], s[8:9]
	v_mov_b32_e32 v49, s20
	s_xor_b64 exec, exec, s[8:9]
	s_cbranch_execz .LBB283_581
.LBB283_854:                            ;   in Loop: Header=BB283_555 Depth=1
	v_cmp_ne_u16_sdwa s[12:13], v10, v11 src0_sel:BYTE_0 src1_sel:DWORD
	s_andn2_b64 s[0:1], s[0:1], exec
	s_and_b64 s[12:13], s[12:13], exec
	v_mov_b32_e32 v49, 0
	s_or_b64 s[0:1], s[0:1], s[12:13]
	s_or_b64 exec, exec, s[8:9]
	s_and_saveexec_b64 s[8:9], s[0:1]
	s_cbranch_execnz .LBB283_582
	s_branch .LBB283_583
.LBB283_855:                            ;   in Loop: Header=BB283_555 Depth=1
	v_cmp_eq_u16_e32 vcc, s15, v10
	s_mov_b64 s[0:1], -1
                                        ; implicit-def: $sgpr20
	s_and_saveexec_b64 s[12:13], vcc
; %bb.856:                              ;   in Loop: Header=BB283_555 Depth=1
	s_mov_b32 s20, 0x7fc02000
	s_xor_b64 s[0:1], exec, -1
; %bb.857:                              ;   in Loop: Header=BB283_555 Depth=1
	s_or_b64 exec, exec, s[12:13]
	s_and_b64 s[0:1], s[0:1], exec
	s_or_saveexec_b64 s[8:9], s[8:9]
	v_mov_b32_e32 v50, s20
	s_xor_b64 exec, exec, s[8:9]
	s_cbranch_execz .LBB283_585
.LBB283_858:                            ;   in Loop: Header=BB283_555 Depth=1
	v_cmp_ne_u16_e32 vcc, 0, v10
	s_andn2_b64 s[0:1], s[0:1], exec
	s_and_b64 s[12:13], vcc, exec
	v_mov_b32_e32 v50, 0
	s_or_b64 s[0:1], s[0:1], s[12:13]
	s_or_b64 exec, exec, s[8:9]
	s_and_saveexec_b64 s[8:9], s[0:1]
	s_cbranch_execnz .LBB283_586
	s_branch .LBB283_587
.LBB283_859:                            ;   in Loop: Header=BB283_555 Depth=1
	v_cmp_eq_u16_sdwa s[26:27], v30, s15 src0_sel:BYTE_0 src1_sel:DWORD
	s_mov_b64 s[0:1], -1
                                        ; implicit-def: $sgpr20
	s_and_saveexec_b64 s[12:13], s[26:27]
; %bb.860:                              ;   in Loop: Header=BB283_555 Depth=1
	s_mov_b32 s20, 0x7fc02000
	s_xor_b64 s[0:1], exec, -1
; %bb.861:                              ;   in Loop: Header=BB283_555 Depth=1
	s_or_b64 exec, exec, s[12:13]
	s_and_b64 s[0:1], s[0:1], exec
	s_or_saveexec_b64 s[8:9], s[8:9]
	v_mov_b32_e32 v32, s20
	s_xor_b64 exec, exec, s[8:9]
	s_cbranch_execz .LBB283_591
.LBB283_862:                            ;   in Loop: Header=BB283_555 Depth=1
	v_cmp_ne_u16_sdwa s[12:13], v30, v11 src0_sel:BYTE_0 src1_sel:DWORD
	s_andn2_b64 s[0:1], s[0:1], exec
	s_and_b64 s[12:13], s[12:13], exec
	v_mov_b32_e32 v32, 0
	s_or_b64 s[0:1], s[0:1], s[12:13]
	s_or_b64 exec, exec, s[8:9]
	s_and_saveexec_b64 s[8:9], s[0:1]
	s_cbranch_execnz .LBB283_592
	s_branch .LBB283_593
.LBB283_863:                            ;   in Loop: Header=BB283_555 Depth=1
	v_cmp_eq_u16_e64 s[0:1], s15, v10
	s_mov_b64 s[8:9], -1
                                        ; implicit-def: $sgpr26
	s_and_saveexec_b64 s[20:21], s[0:1]
; %bb.864:                              ;   in Loop: Header=BB283_555 Depth=1
	s_mov_b32 s26, 0x7fc02000
	s_xor_b64 s[8:9], exec, -1
; %bb.865:                              ;   in Loop: Header=BB283_555 Depth=1
	s_or_b64 exec, exec, s[20:21]
	s_and_b64 s[8:9], s[8:9], exec
	s_or_saveexec_b64 s[12:13], s[12:13]
	v_mov_b32_e32 v34, s26
	s_xor_b64 exec, exec, s[12:13]
	s_cbranch_execz .LBB283_595
.LBB283_866:                            ;   in Loop: Header=BB283_555 Depth=1
	v_cmp_ne_u16_e64 s[0:1], 0, v10
	s_andn2_b64 s[8:9], s[8:9], exec
	s_and_b64 s[0:1], s[0:1], exec
	v_mov_b32_e32 v34, 0
	s_or_b64 s[8:9], s[8:9], s[0:1]
	s_or_b64 exec, exec, s[12:13]
	s_and_saveexec_b64 s[12:13], s[8:9]
	s_cbranch_execnz .LBB283_596
	s_branch .LBB283_597
.LBB283_867:                            ;   in Loop: Header=BB283_555 Depth=1
	v_cmp_eq_u16_sdwa s[26:27], v10, s15 src0_sel:BYTE_0 src1_sel:DWORD
	s_mov_b64 s[0:1], -1
                                        ; implicit-def: $sgpr20
	s_and_saveexec_b64 s[12:13], s[26:27]
; %bb.868:                              ;   in Loop: Header=BB283_555 Depth=1
	s_mov_b32 s20, 0x7fc02000
	s_xor_b64 s[0:1], exec, -1
; %bb.869:                              ;   in Loop: Header=BB283_555 Depth=1
	s_or_b64 exec, exec, s[12:13]
	s_and_b64 s[0:1], s[0:1], exec
	s_or_saveexec_b64 s[8:9], s[8:9]
	v_mov_b32_e32 v33, s20
	s_xor_b64 exec, exec, s[8:9]
	s_cbranch_execz .LBB283_599
.LBB283_870:                            ;   in Loop: Header=BB283_555 Depth=1
	v_cmp_ne_u16_sdwa s[12:13], v10, v11 src0_sel:BYTE_0 src1_sel:DWORD
	s_andn2_b64 s[0:1], s[0:1], exec
	s_and_b64 s[12:13], s[12:13], exec
	v_mov_b32_e32 v33, 0
	s_or_b64 s[0:1], s[0:1], s[12:13]
	s_or_b64 exec, exec, s[8:9]
	s_and_saveexec_b64 s[8:9], s[0:1]
	s_cbranch_execnz .LBB283_600
	s_branch .LBB283_601
.LBB283_871:                            ;   in Loop: Header=BB283_555 Depth=1
	v_cmp_eq_u16_e64 s[0:1], s15, v10
	s_mov_b64 s[8:9], -1
                                        ; implicit-def: $sgpr26
	s_and_saveexec_b64 s[20:21], s[0:1]
; %bb.872:                              ;   in Loop: Header=BB283_555 Depth=1
	s_mov_b32 s26, 0x7fc02000
	s_xor_b64 s[8:9], exec, -1
; %bb.873:                              ;   in Loop: Header=BB283_555 Depth=1
	s_or_b64 exec, exec, s[20:21]
	s_and_b64 s[8:9], s[8:9], exec
	s_or_saveexec_b64 s[12:13], s[12:13]
	v_mov_b32_e32 v35, s26
	s_xor_b64 exec, exec, s[12:13]
	s_cbranch_execz .LBB283_603
.LBB283_874:                            ;   in Loop: Header=BB283_555 Depth=1
	v_cmp_ne_u16_e64 s[0:1], 0, v10
	s_andn2_b64 s[8:9], s[8:9], exec
	s_and_b64 s[0:1], s[0:1], exec
	v_mov_b32_e32 v35, 0
	s_or_b64 s[8:9], s[8:9], s[0:1]
	s_or_b64 exec, exec, s[12:13]
	s_and_saveexec_b64 s[12:13], s[8:9]
	s_cbranch_execnz .LBB283_604
	s_branch .LBB283_605
.LBB283_875:                            ;   in Loop: Header=BB283_555 Depth=1
	v_cmp_eq_u16_sdwa s[26:27], v31, s15 src0_sel:BYTE_0 src1_sel:DWORD
	s_mov_b64 s[0:1], -1
                                        ; implicit-def: $sgpr20
	s_and_saveexec_b64 s[12:13], s[26:27]
; %bb.876:                              ;   in Loop: Header=BB283_555 Depth=1
	s_mov_b32 s20, 0x7fc02000
	s_xor_b64 s[0:1], exec, -1
; %bb.877:                              ;   in Loop: Header=BB283_555 Depth=1
	s_or_b64 exec, exec, s[12:13]
	s_and_b64 s[0:1], s[0:1], exec
	s_or_saveexec_b64 s[8:9], s[8:9]
	v_mov_b32_e32 v4, s20
	s_xor_b64 exec, exec, s[8:9]
	s_cbranch_execz .LBB283_607
.LBB283_878:                            ;   in Loop: Header=BB283_555 Depth=1
	v_cmp_ne_u16_sdwa s[12:13], v31, v11 src0_sel:BYTE_0 src1_sel:DWORD
	s_andn2_b64 s[0:1], s[0:1], exec
	s_and_b64 s[12:13], s[12:13], exec
	v_mov_b32_e32 v4, 0
	s_or_b64 s[0:1], s[0:1], s[12:13]
	s_or_b64 exec, exec, s[8:9]
	v_mov_b32_e32 v10, v31
	s_and_saveexec_b64 s[8:9], s[0:1]
	s_cbranch_execnz .LBB283_608
	s_branch .LBB283_609
.LBB283_879:                            ;   in Loop: Header=BB283_555 Depth=1
	v_cmp_eq_u16_e64 s[0:1], s15, v10
	s_mov_b64 s[8:9], -1
                                        ; implicit-def: $sgpr26
	s_and_saveexec_b64 s[20:21], s[0:1]
; %bb.880:                              ;   in Loop: Header=BB283_555 Depth=1
	s_mov_b32 s26, 0x7fc02000
	s_xor_b64 s[8:9], exec, -1
; %bb.881:                              ;   in Loop: Header=BB283_555 Depth=1
	s_or_b64 exec, exec, s[20:21]
	s_and_b64 s[8:9], s[8:9], exec
	s_or_saveexec_b64 s[12:13], s[12:13]
	v_mov_b32_e32 v5, s26
	s_xor_b64 exec, exec, s[12:13]
	s_cbranch_execz .LBB283_611
.LBB283_882:                            ;   in Loop: Header=BB283_555 Depth=1
	v_cmp_ne_u16_e64 s[0:1], 0, v10
	s_andn2_b64 s[8:9], s[8:9], exec
	s_and_b64 s[0:1], s[0:1], exec
	v_mov_b32_e32 v5, 0
	s_or_b64 s[8:9], s[8:9], s[0:1]
	s_or_b64 exec, exec, s[12:13]
	s_and_saveexec_b64 s[12:13], s[8:9]
	s_cbranch_execnz .LBB283_612
	s_branch .LBB283_613
.LBB283_883:                            ;   in Loop: Header=BB283_555 Depth=1
	v_cmp_eq_u16_sdwa s[26:27], v10, s15 src0_sel:BYTE_0 src1_sel:DWORD
	s_mov_b64 s[0:1], -1
                                        ; implicit-def: $sgpr20
	s_and_saveexec_b64 s[12:13], s[26:27]
; %bb.884:                              ;   in Loop: Header=BB283_555 Depth=1
	s_mov_b32 s20, 0x7fc02000
	s_xor_b64 s[0:1], exec, -1
; %bb.885:                              ;   in Loop: Header=BB283_555 Depth=1
	s_or_b64 exec, exec, s[12:13]
	s_and_b64 s[0:1], s[0:1], exec
	s_or_saveexec_b64 s[8:9], s[8:9]
	v_mov_b32_e32 v6, s20
	s_xor_b64 exec, exec, s[8:9]
	s_cbranch_execz .LBB283_615
.LBB283_886:                            ;   in Loop: Header=BB283_555 Depth=1
	v_cmp_ne_u16_sdwa s[12:13], v10, v11 src0_sel:BYTE_0 src1_sel:DWORD
	s_andn2_b64 s[0:1], s[0:1], exec
	s_and_b64 s[12:13], s[12:13], exec
	v_mov_b32_e32 v6, 0
	s_or_b64 s[0:1], s[0:1], s[12:13]
	s_or_b64 exec, exec, s[8:9]
	s_and_saveexec_b64 s[8:9], s[0:1]
	s_cbranch_execnz .LBB283_616
	s_branch .LBB283_617
.LBB283_887:                            ;   in Loop: Header=BB283_555 Depth=1
	v_cmp_eq_u16_e64 s[0:1], s15, v10
	s_mov_b64 s[8:9], -1
                                        ; implicit-def: $sgpr26
	s_and_saveexec_b64 s[20:21], s[0:1]
; %bb.888:                              ;   in Loop: Header=BB283_555 Depth=1
	s_mov_b32 s26, 0x7fc02000
	s_xor_b64 s[8:9], exec, -1
; %bb.889:                              ;   in Loop: Header=BB283_555 Depth=1
	s_or_b64 exec, exec, s[20:21]
	s_and_b64 s[8:9], s[8:9], exec
	s_or_saveexec_b64 s[12:13], s[12:13]
	v_mov_b32_e32 v17, s26
	s_xor_b64 exec, exec, s[12:13]
	s_cbranch_execz .LBB283_619
.LBB283_890:                            ;   in Loop: Header=BB283_555 Depth=1
	v_cmp_ne_u16_e64 s[0:1], 0, v10
	s_andn2_b64 s[8:9], s[8:9], exec
	s_and_b64 s[0:1], s[0:1], exec
	v_mov_b32_e32 v17, 0
	s_or_b64 s[8:9], s[8:9], s[0:1]
	s_or_b64 exec, exec, s[12:13]
	s_and_saveexec_b64 s[12:13], s[8:9]
	s_cbranch_execnz .LBB283_620
	s_branch .LBB283_621
.LBB283_891:                            ;   in Loop: Header=BB283_555 Depth=1
	v_cmp_eq_u16_sdwa s[26:27], v30, s15 src0_sel:BYTE_0 src1_sel:DWORD
	s_mov_b64 s[0:1], -1
                                        ; implicit-def: $sgpr20
	s_and_saveexec_b64 s[12:13], s[26:27]
; %bb.892:                              ;   in Loop: Header=BB283_555 Depth=1
	s_mov_b32 s20, 0x7fc02000
	s_xor_b64 s[0:1], exec, -1
; %bb.893:                              ;   in Loop: Header=BB283_555 Depth=1
	s_or_b64 exec, exec, s[12:13]
	s_and_b64 s[0:1], s[0:1], exec
	s_or_saveexec_b64 s[8:9], s[8:9]
	v_mov_b32_e32 v32, s20
	s_xor_b64 exec, exec, s[8:9]
	s_cbranch_execz .LBB283_625
.LBB283_894:                            ;   in Loop: Header=BB283_555 Depth=1
	v_cmp_ne_u16_sdwa s[12:13], v30, v11 src0_sel:BYTE_0 src1_sel:DWORD
	s_andn2_b64 s[0:1], s[0:1], exec
	s_and_b64 s[12:13], s[12:13], exec
	v_mov_b32_e32 v32, 0
	s_or_b64 s[0:1], s[0:1], s[12:13]
	s_or_b64 exec, exec, s[8:9]
	s_and_saveexec_b64 s[8:9], s[0:1]
	s_cbranch_execnz .LBB283_626
	s_branch .LBB283_627
.LBB283_895:                            ;   in Loop: Header=BB283_555 Depth=1
	v_cmp_eq_u16_e64 s[0:1], s15, v10
	s_mov_b64 s[8:9], -1
                                        ; implicit-def: $sgpr26
	s_and_saveexec_b64 s[20:21], s[0:1]
; %bb.896:                              ;   in Loop: Header=BB283_555 Depth=1
	s_mov_b32 s26, 0x7fc02000
	s_xor_b64 s[8:9], exec, -1
; %bb.897:                              ;   in Loop: Header=BB283_555 Depth=1
	s_or_b64 exec, exec, s[20:21]
	s_and_b64 s[8:9], s[8:9], exec
	s_or_saveexec_b64 s[12:13], s[12:13]
	v_mov_b32_e32 v34, s26
	s_xor_b64 exec, exec, s[12:13]
	s_cbranch_execz .LBB283_629
.LBB283_898:                            ;   in Loop: Header=BB283_555 Depth=1
	v_cmp_ne_u16_e64 s[0:1], 0, v10
	s_andn2_b64 s[8:9], s[8:9], exec
	s_and_b64 s[0:1], s[0:1], exec
	v_mov_b32_e32 v34, 0
	s_or_b64 s[8:9], s[8:9], s[0:1]
	s_or_b64 exec, exec, s[12:13]
	s_and_saveexec_b64 s[12:13], s[8:9]
	s_cbranch_execnz .LBB283_630
	s_branch .LBB283_631
.LBB283_899:                            ;   in Loop: Header=BB283_555 Depth=1
	v_cmp_eq_u16_sdwa s[26:27], v10, s15 src0_sel:BYTE_0 src1_sel:DWORD
	s_mov_b64 s[0:1], -1
                                        ; implicit-def: $sgpr20
	s_and_saveexec_b64 s[12:13], s[26:27]
; %bb.900:                              ;   in Loop: Header=BB283_555 Depth=1
	s_mov_b32 s20, 0x7fc02000
	s_xor_b64 s[0:1], exec, -1
; %bb.901:                              ;   in Loop: Header=BB283_555 Depth=1
	s_or_b64 exec, exec, s[12:13]
	s_and_b64 s[0:1], s[0:1], exec
	s_or_saveexec_b64 s[8:9], s[8:9]
	v_mov_b32_e32 v33, s20
	s_xor_b64 exec, exec, s[8:9]
	s_cbranch_execz .LBB283_633
.LBB283_902:                            ;   in Loop: Header=BB283_555 Depth=1
	v_cmp_ne_u16_sdwa s[12:13], v10, v11 src0_sel:BYTE_0 src1_sel:DWORD
	s_andn2_b64 s[0:1], s[0:1], exec
	s_and_b64 s[12:13], s[12:13], exec
	v_mov_b32_e32 v33, 0
	s_or_b64 s[0:1], s[0:1], s[12:13]
	s_or_b64 exec, exec, s[8:9]
	s_and_saveexec_b64 s[8:9], s[0:1]
	s_cbranch_execnz .LBB283_634
	s_branch .LBB283_635
.LBB283_903:                            ;   in Loop: Header=BB283_555 Depth=1
	v_cmp_eq_u16_e64 s[0:1], s15, v10
	s_mov_b64 s[8:9], -1
                                        ; implicit-def: $sgpr26
	s_and_saveexec_b64 s[20:21], s[0:1]
; %bb.904:                              ;   in Loop: Header=BB283_555 Depth=1
	s_mov_b32 s26, 0x7fc02000
	s_xor_b64 s[8:9], exec, -1
; %bb.905:                              ;   in Loop: Header=BB283_555 Depth=1
	s_or_b64 exec, exec, s[20:21]
	s_and_b64 s[8:9], s[8:9], exec
	s_or_saveexec_b64 s[12:13], s[12:13]
	v_mov_b32_e32 v35, s26
	s_xor_b64 exec, exec, s[12:13]
	s_cbranch_execz .LBB283_637
.LBB283_906:                            ;   in Loop: Header=BB283_555 Depth=1
	v_cmp_ne_u16_e64 s[0:1], 0, v10
	s_andn2_b64 s[8:9], s[8:9], exec
	s_and_b64 s[0:1], s[0:1], exec
	v_mov_b32_e32 v35, 0
	s_or_b64 s[8:9], s[8:9], s[0:1]
	s_or_b64 exec, exec, s[12:13]
	s_and_saveexec_b64 s[12:13], s[8:9]
	s_cbranch_execnz .LBB283_638
	s_branch .LBB283_639
.LBB283_907:                            ;   in Loop: Header=BB283_555 Depth=1
	v_cmp_eq_u16_sdwa s[26:27], v31, s15 src0_sel:BYTE_0 src1_sel:DWORD
	s_mov_b64 s[0:1], -1
                                        ; implicit-def: $sgpr20
	s_and_saveexec_b64 s[12:13], s[26:27]
; %bb.908:                              ;   in Loop: Header=BB283_555 Depth=1
	s_mov_b32 s20, 0x7fc02000
	s_xor_b64 s[0:1], exec, -1
; %bb.909:                              ;   in Loop: Header=BB283_555 Depth=1
	s_or_b64 exec, exec, s[12:13]
	s_and_b64 s[0:1], s[0:1], exec
	s_or_saveexec_b64 s[8:9], s[8:9]
	v_mov_b32_e32 v4, s20
	s_xor_b64 exec, exec, s[8:9]
	s_cbranch_execz .LBB283_641
.LBB283_910:                            ;   in Loop: Header=BB283_555 Depth=1
	v_cmp_ne_u16_sdwa s[12:13], v31, v11 src0_sel:BYTE_0 src1_sel:DWORD
	s_andn2_b64 s[0:1], s[0:1], exec
	s_and_b64 s[12:13], s[12:13], exec
	v_mov_b32_e32 v4, 0
	s_or_b64 s[0:1], s[0:1], s[12:13]
	s_or_b64 exec, exec, s[8:9]
	v_mov_b32_e32 v10, v31
	s_and_saveexec_b64 s[8:9], s[0:1]
	s_cbranch_execnz .LBB283_642
	s_branch .LBB283_643
.LBB283_911:                            ;   in Loop: Header=BB283_555 Depth=1
	v_cmp_eq_u16_e64 s[0:1], s15, v10
	s_mov_b64 s[8:9], -1
                                        ; implicit-def: $sgpr26
	s_and_saveexec_b64 s[20:21], s[0:1]
; %bb.912:                              ;   in Loop: Header=BB283_555 Depth=1
	s_mov_b32 s26, 0x7fc02000
	s_xor_b64 s[8:9], exec, -1
; %bb.913:                              ;   in Loop: Header=BB283_555 Depth=1
	s_or_b64 exec, exec, s[20:21]
	s_and_b64 s[8:9], s[8:9], exec
	s_or_saveexec_b64 s[12:13], s[12:13]
	v_mov_b32_e32 v5, s26
	s_xor_b64 exec, exec, s[12:13]
	s_cbranch_execz .LBB283_645
.LBB283_914:                            ;   in Loop: Header=BB283_555 Depth=1
	v_cmp_ne_u16_e64 s[0:1], 0, v10
	s_andn2_b64 s[8:9], s[8:9], exec
	s_and_b64 s[0:1], s[0:1], exec
	v_mov_b32_e32 v5, 0
	s_or_b64 s[8:9], s[8:9], s[0:1]
	s_or_b64 exec, exec, s[12:13]
	s_and_saveexec_b64 s[12:13], s[8:9]
	s_cbranch_execnz .LBB283_646
	s_branch .LBB283_647
.LBB283_915:                            ;   in Loop: Header=BB283_555 Depth=1
	v_cmp_eq_u16_sdwa s[26:27], v10, s15 src0_sel:BYTE_0 src1_sel:DWORD
	s_mov_b64 s[0:1], -1
                                        ; implicit-def: $sgpr20
	s_and_saveexec_b64 s[12:13], s[26:27]
; %bb.916:                              ;   in Loop: Header=BB283_555 Depth=1
	s_mov_b32 s20, 0x7fc02000
	s_xor_b64 s[0:1], exec, -1
; %bb.917:                              ;   in Loop: Header=BB283_555 Depth=1
	s_or_b64 exec, exec, s[12:13]
	s_and_b64 s[0:1], s[0:1], exec
	s_or_saveexec_b64 s[8:9], s[8:9]
	v_mov_b32_e32 v6, s20
	s_xor_b64 exec, exec, s[8:9]
	s_cbranch_execz .LBB283_649
.LBB283_918:                            ;   in Loop: Header=BB283_555 Depth=1
	v_cmp_ne_u16_sdwa s[12:13], v10, v11 src0_sel:BYTE_0 src1_sel:DWORD
	s_andn2_b64 s[0:1], s[0:1], exec
	s_and_b64 s[12:13], s[12:13], exec
	v_mov_b32_e32 v6, 0
	s_or_b64 s[0:1], s[0:1], s[12:13]
	s_or_b64 exec, exec, s[8:9]
	s_and_saveexec_b64 s[8:9], s[0:1]
	s_cbranch_execnz .LBB283_650
	s_branch .LBB283_651
.LBB283_919:                            ;   in Loop: Header=BB283_555 Depth=1
	v_cmp_eq_u16_e64 s[0:1], s15, v10
	s_mov_b64 s[8:9], -1
                                        ; implicit-def: $sgpr26
	s_and_saveexec_b64 s[20:21], s[0:1]
; %bb.920:                              ;   in Loop: Header=BB283_555 Depth=1
	s_mov_b32 s26, 0x7fc02000
	s_xor_b64 s[8:9], exec, -1
; %bb.921:                              ;   in Loop: Header=BB283_555 Depth=1
	s_or_b64 exec, exec, s[20:21]
	s_and_b64 s[8:9], s[8:9], exec
	s_or_saveexec_b64 s[12:13], s[12:13]
	v_mov_b32_e32 v17, s26
	s_xor_b64 exec, exec, s[12:13]
	s_cbranch_execz .LBB283_653
.LBB283_922:                            ;   in Loop: Header=BB283_555 Depth=1
	v_cmp_ne_u16_e64 s[0:1], 0, v10
	s_andn2_b64 s[8:9], s[8:9], exec
	s_and_b64 s[0:1], s[0:1], exec
	v_mov_b32_e32 v17, 0
	s_or_b64 s[8:9], s[8:9], s[0:1]
	s_or_b64 exec, exec, s[12:13]
	s_and_saveexec_b64 s[12:13], s[8:9]
	s_cbranch_execnz .LBB283_654
	s_branch .LBB283_655
.LBB283_923:                            ;   in Loop: Header=BB283_555 Depth=1
	v_cmp_eq_u16_sdwa s[26:27], v30, s15 src0_sel:BYTE_0 src1_sel:DWORD
	s_mov_b64 s[0:1], -1
                                        ; implicit-def: $sgpr20
	s_and_saveexec_b64 s[12:13], s[26:27]
; %bb.924:                              ;   in Loop: Header=BB283_555 Depth=1
	s_mov_b32 s20, 0x7fc02000
	s_xor_b64 s[0:1], exec, -1
; %bb.925:                              ;   in Loop: Header=BB283_555 Depth=1
	s_or_b64 exec, exec, s[12:13]
	s_and_b64 s[0:1], s[0:1], exec
	s_or_saveexec_b64 s[8:9], s[8:9]
	v_mov_b32_e32 v32, s20
	s_xor_b64 exec, exec, s[8:9]
	s_cbranch_execz .LBB283_659
.LBB283_926:                            ;   in Loop: Header=BB283_555 Depth=1
	v_cmp_ne_u16_sdwa s[12:13], v30, v11 src0_sel:BYTE_0 src1_sel:DWORD
	s_andn2_b64 s[0:1], s[0:1], exec
	s_and_b64 s[12:13], s[12:13], exec
	v_mov_b32_e32 v32, 0
	s_or_b64 s[0:1], s[0:1], s[12:13]
	s_or_b64 exec, exec, s[8:9]
	s_and_saveexec_b64 s[8:9], s[0:1]
	s_cbranch_execnz .LBB283_660
	s_branch .LBB283_661
.LBB283_927:                            ;   in Loop: Header=BB283_555 Depth=1
	v_cmp_eq_u16_e64 s[0:1], s15, v10
	s_mov_b64 s[8:9], -1
                                        ; implicit-def: $sgpr26
	s_and_saveexec_b64 s[20:21], s[0:1]
; %bb.928:                              ;   in Loop: Header=BB283_555 Depth=1
	s_mov_b32 s26, 0x7fc02000
	s_xor_b64 s[8:9], exec, -1
; %bb.929:                              ;   in Loop: Header=BB283_555 Depth=1
	s_or_b64 exec, exec, s[20:21]
	s_and_b64 s[8:9], s[8:9], exec
	s_or_saveexec_b64 s[12:13], s[12:13]
	v_mov_b32_e32 v34, s26
	s_xor_b64 exec, exec, s[12:13]
	s_cbranch_execz .LBB283_663
.LBB283_930:                            ;   in Loop: Header=BB283_555 Depth=1
	v_cmp_ne_u16_e64 s[0:1], 0, v10
	s_andn2_b64 s[8:9], s[8:9], exec
	s_and_b64 s[0:1], s[0:1], exec
	v_mov_b32_e32 v34, 0
	s_or_b64 s[8:9], s[8:9], s[0:1]
	s_or_b64 exec, exec, s[12:13]
	s_and_saveexec_b64 s[12:13], s[8:9]
	s_cbranch_execnz .LBB283_664
	s_branch .LBB283_665
.LBB283_931:                            ;   in Loop: Header=BB283_555 Depth=1
	v_cmp_eq_u16_sdwa s[26:27], v10, s15 src0_sel:BYTE_0 src1_sel:DWORD
	s_mov_b64 s[0:1], -1
                                        ; implicit-def: $sgpr20
	s_and_saveexec_b64 s[12:13], s[26:27]
; %bb.932:                              ;   in Loop: Header=BB283_555 Depth=1
	s_mov_b32 s20, 0x7fc02000
	s_xor_b64 s[0:1], exec, -1
; %bb.933:                              ;   in Loop: Header=BB283_555 Depth=1
	s_or_b64 exec, exec, s[12:13]
	s_and_b64 s[0:1], s[0:1], exec
	s_or_saveexec_b64 s[8:9], s[8:9]
	v_mov_b32_e32 v33, s20
	s_xor_b64 exec, exec, s[8:9]
	s_cbranch_execz .LBB283_667
.LBB283_934:                            ;   in Loop: Header=BB283_555 Depth=1
	v_cmp_ne_u16_sdwa s[12:13], v10, v11 src0_sel:BYTE_0 src1_sel:DWORD
	s_andn2_b64 s[0:1], s[0:1], exec
	s_and_b64 s[12:13], s[12:13], exec
	v_mov_b32_e32 v33, 0
	s_or_b64 s[0:1], s[0:1], s[12:13]
	s_or_b64 exec, exec, s[8:9]
	s_and_saveexec_b64 s[8:9], s[0:1]
	s_cbranch_execnz .LBB283_668
	s_branch .LBB283_669
.LBB283_935:                            ;   in Loop: Header=BB283_555 Depth=1
	v_cmp_eq_u16_e64 s[0:1], s15, v10
	s_mov_b64 s[8:9], -1
                                        ; implicit-def: $sgpr26
	s_and_saveexec_b64 s[20:21], s[0:1]
; %bb.936:                              ;   in Loop: Header=BB283_555 Depth=1
	s_mov_b32 s26, 0x7fc02000
	s_xor_b64 s[8:9], exec, -1
; %bb.937:                              ;   in Loop: Header=BB283_555 Depth=1
	s_or_b64 exec, exec, s[20:21]
	s_and_b64 s[8:9], s[8:9], exec
	s_or_saveexec_b64 s[12:13], s[12:13]
	v_mov_b32_e32 v35, s26
	s_xor_b64 exec, exec, s[12:13]
	s_cbranch_execz .LBB283_671
.LBB283_938:                            ;   in Loop: Header=BB283_555 Depth=1
	v_cmp_ne_u16_e64 s[0:1], 0, v10
	s_andn2_b64 s[8:9], s[8:9], exec
	s_and_b64 s[0:1], s[0:1], exec
	v_mov_b32_e32 v35, 0
	s_or_b64 s[8:9], s[8:9], s[0:1]
	s_or_b64 exec, exec, s[12:13]
	s_and_saveexec_b64 s[12:13], s[8:9]
	s_cbranch_execnz .LBB283_672
	s_branch .LBB283_673
.LBB283_939:                            ;   in Loop: Header=BB283_555 Depth=1
	v_cmp_eq_u16_sdwa s[26:27], v31, s15 src0_sel:BYTE_0 src1_sel:DWORD
	s_mov_b64 s[0:1], -1
                                        ; implicit-def: $sgpr20
	s_and_saveexec_b64 s[12:13], s[26:27]
; %bb.940:                              ;   in Loop: Header=BB283_555 Depth=1
	s_mov_b32 s20, 0x7fc02000
	s_xor_b64 s[0:1], exec, -1
; %bb.941:                              ;   in Loop: Header=BB283_555 Depth=1
	s_or_b64 exec, exec, s[12:13]
	s_and_b64 s[0:1], s[0:1], exec
	s_or_saveexec_b64 s[8:9], s[8:9]
	v_mov_b32_e32 v6, s20
	s_xor_b64 exec, exec, s[8:9]
	s_cbranch_execz .LBB283_675
.LBB283_942:                            ;   in Loop: Header=BB283_555 Depth=1
	v_cmp_ne_u16_sdwa s[12:13], v31, v11 src0_sel:BYTE_0 src1_sel:DWORD
	s_andn2_b64 s[0:1], s[0:1], exec
	s_and_b64 s[12:13], s[12:13], exec
	v_mov_b32_e32 v6, 0
	s_or_b64 s[0:1], s[0:1], s[12:13]
	s_or_b64 exec, exec, s[8:9]
	v_mov_b32_e32 v10, v31
	s_and_saveexec_b64 s[8:9], s[0:1]
	s_cbranch_execnz .LBB283_676
	s_branch .LBB283_677
.LBB283_943:                            ;   in Loop: Header=BB283_555 Depth=1
	v_cmp_eq_u16_e64 s[0:1], s15, v10
	s_mov_b64 s[8:9], -1
                                        ; implicit-def: $sgpr26
	s_and_saveexec_b64 s[20:21], s[0:1]
; %bb.944:                              ;   in Loop: Header=BB283_555 Depth=1
	s_mov_b32 s26, 0x7fc02000
	s_xor_b64 s[8:9], exec, -1
; %bb.945:                              ;   in Loop: Header=BB283_555 Depth=1
	s_or_b64 exec, exec, s[20:21]
	s_and_b64 s[8:9], s[8:9], exec
	s_or_saveexec_b64 s[12:13], s[12:13]
	v_mov_b32_e32 v12, s26
	s_xor_b64 exec, exec, s[12:13]
	s_cbranch_execz .LBB283_679
.LBB283_946:                            ;   in Loop: Header=BB283_555 Depth=1
	v_cmp_ne_u16_e64 s[0:1], 0, v10
	s_andn2_b64 s[8:9], s[8:9], exec
	s_and_b64 s[0:1], s[0:1], exec
	v_mov_b32_e32 v12, 0
	s_or_b64 s[8:9], s[8:9], s[0:1]
	s_or_b64 exec, exec, s[12:13]
	s_and_saveexec_b64 s[12:13], s[8:9]
	s_cbranch_execnz .LBB283_680
	s_branch .LBB283_681
.LBB283_947:                            ;   in Loop: Header=BB283_555 Depth=1
	v_cmp_eq_u16_sdwa s[26:27], v10, s15 src0_sel:BYTE_0 src1_sel:DWORD
	s_mov_b64 s[0:1], -1
                                        ; implicit-def: $sgpr20
	s_and_saveexec_b64 s[12:13], s[26:27]
; %bb.948:                              ;   in Loop: Header=BB283_555 Depth=1
	s_mov_b32 s20, 0x7fc02000
	s_xor_b64 s[0:1], exec, -1
; %bb.949:                              ;   in Loop: Header=BB283_555 Depth=1
	s_or_b64 exec, exec, s[12:13]
	s_and_b64 s[0:1], s[0:1], exec
	s_or_saveexec_b64 s[8:9], s[8:9]
	v_mov_b32_e32 v17, s20
	s_xor_b64 exec, exec, s[8:9]
	s_cbranch_execz .LBB283_683
.LBB283_950:                            ;   in Loop: Header=BB283_555 Depth=1
	v_cmp_ne_u16_sdwa s[12:13], v10, v11 src0_sel:BYTE_0 src1_sel:DWORD
	s_andn2_b64 s[0:1], s[0:1], exec
	s_and_b64 s[12:13], s[12:13], exec
	v_mov_b32_e32 v17, 0
	s_or_b64 s[0:1], s[0:1], s[12:13]
	s_or_b64 exec, exec, s[8:9]
	s_and_saveexec_b64 s[8:9], s[0:1]
	s_cbranch_execnz .LBB283_684
	s_branch .LBB283_685
.LBB283_951:                            ;   in Loop: Header=BB283_555 Depth=1
	v_cmp_eq_u16_e64 s[0:1], s15, v10
	s_mov_b64 s[8:9], -1
                                        ; implicit-def: $sgpr26
	s_and_saveexec_b64 s[20:21], s[0:1]
; %bb.952:                              ;   in Loop: Header=BB283_555 Depth=1
	s_mov_b32 s26, 0x7fc02000
	s_xor_b64 s[8:9], exec, -1
; %bb.953:                              ;   in Loop: Header=BB283_555 Depth=1
	s_or_b64 exec, exec, s[20:21]
	s_and_b64 s[8:9], s[8:9], exec
	s_or_saveexec_b64 s[12:13], s[12:13]
	v_mov_b32_e32 v26, s26
	s_xor_b64 exec, exec, s[12:13]
	s_cbranch_execz .LBB283_687
.LBB283_954:                            ;   in Loop: Header=BB283_555 Depth=1
	v_cmp_ne_u16_e64 s[0:1], 0, v10
	s_andn2_b64 s[8:9], s[8:9], exec
	s_and_b64 s[0:1], s[0:1], exec
	v_mov_b32_e32 v26, 0
	s_or_b64 s[8:9], s[8:9], s[0:1]
	s_or_b64 exec, exec, s[12:13]
	s_and_saveexec_b64 s[12:13], s[8:9]
	s_cbranch_execnz .LBB283_688
	s_branch .LBB283_689
.LBB283_955:                            ;   in Loop: Header=BB283_555 Depth=1
	v_cmp_eq_u16_sdwa s[26:27], v30, s15 src0_sel:BYTE_0 src1_sel:DWORD
	s_mov_b64 s[0:1], -1
                                        ; implicit-def: $sgpr20
	s_and_saveexec_b64 s[12:13], s[26:27]
; %bb.956:                              ;   in Loop: Header=BB283_555 Depth=1
	s_mov_b32 s20, 0x7fc02000
	s_xor_b64 s[0:1], exec, -1
; %bb.957:                              ;   in Loop: Header=BB283_555 Depth=1
	s_or_b64 exec, exec, s[12:13]
	s_and_b64 s[0:1], s[0:1], exec
	s_or_saveexec_b64 s[8:9], s[8:9]
	v_mov_b32_e32 v32, s20
	s_xor_b64 exec, exec, s[8:9]
	s_cbranch_execz .LBB283_693
.LBB283_958:                            ;   in Loop: Header=BB283_555 Depth=1
	v_cmp_ne_u16_sdwa s[12:13], v30, v11 src0_sel:BYTE_0 src1_sel:DWORD
	s_andn2_b64 s[0:1], s[0:1], exec
	s_and_b64 s[12:13], s[12:13], exec
	v_mov_b32_e32 v32, 0
	s_or_b64 s[0:1], s[0:1], s[12:13]
	s_or_b64 exec, exec, s[8:9]
	s_and_saveexec_b64 s[8:9], s[0:1]
	s_cbranch_execnz .LBB283_694
	s_branch .LBB283_695
.LBB283_959:                            ;   in Loop: Header=BB283_555 Depth=1
	v_cmp_eq_u16_e64 s[0:1], s15, v10
	s_mov_b64 s[8:9], -1
                                        ; implicit-def: $sgpr26
	s_and_saveexec_b64 s[20:21], s[0:1]
; %bb.960:                              ;   in Loop: Header=BB283_555 Depth=1
	s_mov_b32 s26, 0x7fc02000
	s_xor_b64 s[8:9], exec, -1
; %bb.961:                              ;   in Loop: Header=BB283_555 Depth=1
	s_or_b64 exec, exec, s[20:21]
	s_and_b64 s[8:9], s[8:9], exec
	s_or_saveexec_b64 s[12:13], s[12:13]
	v_mov_b32_e32 v34, s26
	s_xor_b64 exec, exec, s[12:13]
	s_cbranch_execz .LBB283_697
.LBB283_962:                            ;   in Loop: Header=BB283_555 Depth=1
	v_cmp_ne_u16_e64 s[0:1], 0, v10
	s_andn2_b64 s[8:9], s[8:9], exec
	s_and_b64 s[0:1], s[0:1], exec
	v_mov_b32_e32 v34, 0
	s_or_b64 s[8:9], s[8:9], s[0:1]
	s_or_b64 exec, exec, s[12:13]
	s_and_saveexec_b64 s[12:13], s[8:9]
	s_cbranch_execnz .LBB283_698
	s_branch .LBB283_699
.LBB283_963:                            ;   in Loop: Header=BB283_555 Depth=1
	v_cmp_eq_u16_sdwa s[26:27], v10, s15 src0_sel:BYTE_0 src1_sel:DWORD
	s_mov_b64 s[0:1], -1
                                        ; implicit-def: $sgpr20
	s_and_saveexec_b64 s[12:13], s[26:27]
; %bb.964:                              ;   in Loop: Header=BB283_555 Depth=1
	s_mov_b32 s20, 0x7fc02000
	s_xor_b64 s[0:1], exec, -1
; %bb.965:                              ;   in Loop: Header=BB283_555 Depth=1
	s_or_b64 exec, exec, s[12:13]
	s_and_b64 s[0:1], s[0:1], exec
	s_or_saveexec_b64 s[8:9], s[8:9]
	v_mov_b32_e32 v33, s20
	s_xor_b64 exec, exec, s[8:9]
	s_cbranch_execz .LBB283_701
.LBB283_966:                            ;   in Loop: Header=BB283_555 Depth=1
	v_cmp_ne_u16_sdwa s[12:13], v10, v11 src0_sel:BYTE_0 src1_sel:DWORD
	s_andn2_b64 s[0:1], s[0:1], exec
	s_and_b64 s[12:13], s[12:13], exec
	v_mov_b32_e32 v33, 0
	s_or_b64 s[0:1], s[0:1], s[12:13]
	s_or_b64 exec, exec, s[8:9]
	s_and_saveexec_b64 s[8:9], s[0:1]
	s_cbranch_execnz .LBB283_702
	s_branch .LBB283_703
.LBB283_967:                            ;   in Loop: Header=BB283_555 Depth=1
	v_cmp_eq_u16_e64 s[0:1], s15, v10
	s_mov_b64 s[8:9], -1
                                        ; implicit-def: $sgpr26
	s_and_saveexec_b64 s[20:21], s[0:1]
; %bb.968:                              ;   in Loop: Header=BB283_555 Depth=1
	s_mov_b32 s26, 0x7fc02000
	s_xor_b64 s[8:9], exec, -1
; %bb.969:                              ;   in Loop: Header=BB283_555 Depth=1
	s_or_b64 exec, exec, s[20:21]
	s_and_b64 s[8:9], s[8:9], exec
	s_or_saveexec_b64 s[12:13], s[12:13]
	v_mov_b32_e32 v35, s26
	s_xor_b64 exec, exec, s[12:13]
	s_cbranch_execz .LBB283_705
.LBB283_970:                            ;   in Loop: Header=BB283_555 Depth=1
	v_cmp_ne_u16_e64 s[0:1], 0, v10
	s_andn2_b64 s[8:9], s[8:9], exec
	s_and_b64 s[0:1], s[0:1], exec
	v_mov_b32_e32 v35, 0
	s_or_b64 s[8:9], s[8:9], s[0:1]
	s_or_b64 exec, exec, s[12:13]
	s_and_saveexec_b64 s[12:13], s[8:9]
	s_cbranch_execnz .LBB283_706
	s_branch .LBB283_707
.LBB283_971:                            ;   in Loop: Header=BB283_555 Depth=1
	v_cmp_eq_u16_sdwa s[26:27], v31, s15 src0_sel:BYTE_0 src1_sel:DWORD
	s_mov_b64 s[0:1], -1
                                        ; implicit-def: $sgpr20
	s_and_saveexec_b64 s[12:13], s[26:27]
; %bb.972:                              ;   in Loop: Header=BB283_555 Depth=1
	s_mov_b32 s20, 0x7fc02000
	s_xor_b64 s[0:1], exec, -1
; %bb.973:                              ;   in Loop: Header=BB283_555 Depth=1
	s_or_b64 exec, exec, s[12:13]
	s_and_b64 s[0:1], s[0:1], exec
	s_or_saveexec_b64 s[8:9], s[8:9]
	v_mov_b32_e32 v6, s20
	s_xor_b64 exec, exec, s[8:9]
	s_cbranch_execz .LBB283_709
.LBB283_974:                            ;   in Loop: Header=BB283_555 Depth=1
	v_cmp_ne_u16_sdwa s[12:13], v31, v11 src0_sel:BYTE_0 src1_sel:DWORD
	s_andn2_b64 s[0:1], s[0:1], exec
	s_and_b64 s[12:13], s[12:13], exec
	v_mov_b32_e32 v6, 0
	s_or_b64 s[0:1], s[0:1], s[12:13]
	s_or_b64 exec, exec, s[8:9]
	v_mov_b32_e32 v10, v31
	s_and_saveexec_b64 s[8:9], s[0:1]
	s_cbranch_execnz .LBB283_710
	s_branch .LBB283_711
.LBB283_975:                            ;   in Loop: Header=BB283_555 Depth=1
	v_cmp_eq_u16_e64 s[0:1], s15, v10
	s_mov_b64 s[8:9], -1
                                        ; implicit-def: $sgpr26
	s_and_saveexec_b64 s[20:21], s[0:1]
; %bb.976:                              ;   in Loop: Header=BB283_555 Depth=1
	s_mov_b32 s26, 0x7fc02000
	s_xor_b64 s[8:9], exec, -1
; %bb.977:                              ;   in Loop: Header=BB283_555 Depth=1
	s_or_b64 exec, exec, s[20:21]
	s_and_b64 s[8:9], s[8:9], exec
	s_or_saveexec_b64 s[12:13], s[12:13]
	v_mov_b32_e32 v22, s26
	s_xor_b64 exec, exec, s[12:13]
	s_cbranch_execz .LBB283_713
.LBB283_978:                            ;   in Loop: Header=BB283_555 Depth=1
	v_cmp_ne_u16_e64 s[0:1], 0, v10
	s_andn2_b64 s[8:9], s[8:9], exec
	s_and_b64 s[0:1], s[0:1], exec
	v_mov_b32_e32 v22, 0
	s_or_b64 s[8:9], s[8:9], s[0:1]
	s_or_b64 exec, exec, s[12:13]
	s_and_saveexec_b64 s[12:13], s[8:9]
	s_cbranch_execnz .LBB283_714
	s_branch .LBB283_715
.LBB283_979:                            ;   in Loop: Header=BB283_555 Depth=1
	v_cmp_eq_u16_sdwa s[26:27], v10, s15 src0_sel:BYTE_0 src1_sel:DWORD
	s_mov_b64 s[0:1], -1
                                        ; implicit-def: $sgpr20
	s_and_saveexec_b64 s[12:13], s[26:27]
; %bb.980:                              ;   in Loop: Header=BB283_555 Depth=1
	s_mov_b32 s20, 0x7fc02000
	s_xor_b64 s[0:1], exec, -1
; %bb.981:                              ;   in Loop: Header=BB283_555 Depth=1
	s_or_b64 exec, exec, s[12:13]
	s_and_b64 s[0:1], s[0:1], exec
	s_or_saveexec_b64 s[8:9], s[8:9]
	v_mov_b32_e32 v26, s20
	s_xor_b64 exec, exec, s[8:9]
	s_cbranch_execz .LBB283_717
.LBB283_982:                            ;   in Loop: Header=BB283_555 Depth=1
	v_cmp_ne_u16_sdwa s[12:13], v10, v11 src0_sel:BYTE_0 src1_sel:DWORD
	s_andn2_b64 s[0:1], s[0:1], exec
	s_and_b64 s[12:13], s[12:13], exec
	v_mov_b32_e32 v26, 0
	s_or_b64 s[0:1], s[0:1], s[12:13]
	s_or_b64 exec, exec, s[8:9]
	s_and_saveexec_b64 s[8:9], s[0:1]
	s_cbranch_execnz .LBB283_718
	s_branch .LBB283_719
.LBB283_983:                            ;   in Loop: Header=BB283_555 Depth=1
	v_cmp_eq_u16_e64 s[0:1], s15, v10
	s_mov_b64 s[8:9], -1
                                        ; implicit-def: $sgpr26
	s_and_saveexec_b64 s[20:21], s[0:1]
; %bb.984:                              ;   in Loop: Header=BB283_555 Depth=1
	s_mov_b32 s26, 0x7fc02000
	s_xor_b64 s[8:9], exec, -1
; %bb.985:                              ;   in Loop: Header=BB283_555 Depth=1
	s_or_b64 exec, exec, s[20:21]
	s_and_b64 s[8:9], s[8:9], exec
	s_or_saveexec_b64 s[12:13], s[12:13]
	v_mov_b32_e32 v29, s26
	s_xor_b64 exec, exec, s[12:13]
	s_cbranch_execz .LBB283_721
.LBB283_986:                            ;   in Loop: Header=BB283_555 Depth=1
	v_cmp_ne_u16_e64 s[0:1], 0, v10
	s_andn2_b64 s[8:9], s[8:9], exec
	s_and_b64 s[0:1], s[0:1], exec
	v_mov_b32_e32 v29, 0
	s_or_b64 s[8:9], s[8:9], s[0:1]
	s_or_b64 exec, exec, s[12:13]
	s_and_saveexec_b64 s[12:13], s[8:9]
	s_cbranch_execnz .LBB283_722
	s_branch .LBB283_723
.LBB283_987:                            ;   in Loop: Header=BB283_555 Depth=1
	v_cmp_eq_u16_sdwa s[26:27], v30, s15 src0_sel:BYTE_0 src1_sel:DWORD
	s_mov_b64 s[0:1], -1
                                        ; implicit-def: $sgpr20
	s_and_saveexec_b64 s[12:13], s[26:27]
; %bb.988:                              ;   in Loop: Header=BB283_555 Depth=1
	s_mov_b32 s20, 0x7fc02000
	s_xor_b64 s[0:1], exec, -1
; %bb.989:                              ;   in Loop: Header=BB283_555 Depth=1
	s_or_b64 exec, exec, s[12:13]
	s_and_b64 s[0:1], s[0:1], exec
	s_or_saveexec_b64 s[8:9], s[8:9]
	v_mov_b32_e32 v32, s20
	s_xor_b64 exec, exec, s[8:9]
	s_cbranch_execz .LBB283_727
.LBB283_990:                            ;   in Loop: Header=BB283_555 Depth=1
	v_cmp_ne_u16_sdwa s[12:13], v30, v11 src0_sel:BYTE_0 src1_sel:DWORD
	s_andn2_b64 s[0:1], s[0:1], exec
	s_and_b64 s[12:13], s[12:13], exec
	v_mov_b32_e32 v32, 0
	s_or_b64 s[0:1], s[0:1], s[12:13]
	s_or_b64 exec, exec, s[8:9]
	s_and_saveexec_b64 s[8:9], s[0:1]
	s_cbranch_execnz .LBB283_728
	s_branch .LBB283_729
.LBB283_991:                            ;   in Loop: Header=BB283_555 Depth=1
	v_cmp_eq_u16_e64 s[0:1], s15, v10
	s_mov_b64 s[8:9], -1
                                        ; implicit-def: $sgpr26
	s_and_saveexec_b64 s[20:21], s[0:1]
; %bb.992:                              ;   in Loop: Header=BB283_555 Depth=1
	s_mov_b32 s26, 0x7fc02000
	s_xor_b64 s[8:9], exec, -1
; %bb.993:                              ;   in Loop: Header=BB283_555 Depth=1
	s_or_b64 exec, exec, s[20:21]
	s_and_b64 s[8:9], s[8:9], exec
	s_or_saveexec_b64 s[12:13], s[12:13]
	v_mov_b32_e32 v34, s26
	s_xor_b64 exec, exec, s[12:13]
	s_cbranch_execz .LBB283_731
.LBB283_994:                            ;   in Loop: Header=BB283_555 Depth=1
	v_cmp_ne_u16_e64 s[0:1], 0, v10
	s_andn2_b64 s[8:9], s[8:9], exec
	s_and_b64 s[0:1], s[0:1], exec
	v_mov_b32_e32 v34, 0
	s_or_b64 s[8:9], s[8:9], s[0:1]
	s_or_b64 exec, exec, s[12:13]
	s_and_saveexec_b64 s[12:13], s[8:9]
	s_cbranch_execnz .LBB283_732
	s_branch .LBB283_733
.LBB283_995:                            ;   in Loop: Header=BB283_555 Depth=1
	v_cmp_eq_u16_sdwa s[26:27], v10, s15 src0_sel:BYTE_0 src1_sel:DWORD
	s_mov_b64 s[0:1], -1
                                        ; implicit-def: $sgpr20
	s_and_saveexec_b64 s[12:13], s[26:27]
; %bb.996:                              ;   in Loop: Header=BB283_555 Depth=1
	s_mov_b32 s20, 0x7fc02000
	s_xor_b64 s[0:1], exec, -1
; %bb.997:                              ;   in Loop: Header=BB283_555 Depth=1
	s_or_b64 exec, exec, s[12:13]
	s_and_b64 s[0:1], s[0:1], exec
	s_or_saveexec_b64 s[8:9], s[8:9]
	v_mov_b32_e32 v33, s20
	s_xor_b64 exec, exec, s[8:9]
	s_cbranch_execz .LBB283_735
.LBB283_998:                            ;   in Loop: Header=BB283_555 Depth=1
	v_cmp_ne_u16_sdwa s[12:13], v10, v11 src0_sel:BYTE_0 src1_sel:DWORD
	s_andn2_b64 s[0:1], s[0:1], exec
	s_and_b64 s[12:13], s[12:13], exec
	v_mov_b32_e32 v33, 0
	s_or_b64 s[0:1], s[0:1], s[12:13]
	s_or_b64 exec, exec, s[8:9]
	s_and_saveexec_b64 s[8:9], s[0:1]
	s_cbranch_execnz .LBB283_736
	s_branch .LBB283_737
.LBB283_999:                            ;   in Loop: Header=BB283_555 Depth=1
	v_cmp_eq_u16_e64 s[0:1], s15, v10
	s_mov_b64 s[8:9], -1
                                        ; implicit-def: $sgpr26
	s_and_saveexec_b64 s[20:21], s[0:1]
; %bb.1000:                             ;   in Loop: Header=BB283_555 Depth=1
	s_mov_b32 s26, 0x7fc02000
	s_xor_b64 s[8:9], exec, -1
; %bb.1001:                             ;   in Loop: Header=BB283_555 Depth=1
	s_or_b64 exec, exec, s[20:21]
	s_and_b64 s[8:9], s[8:9], exec
	s_or_saveexec_b64 s[12:13], s[12:13]
	v_mov_b32_e32 v35, s26
	s_xor_b64 exec, exec, s[12:13]
	s_cbranch_execz .LBB283_739
.LBB283_1002:                           ;   in Loop: Header=BB283_555 Depth=1
	v_cmp_ne_u16_e64 s[0:1], 0, v10
	s_andn2_b64 s[8:9], s[8:9], exec
	s_and_b64 s[0:1], s[0:1], exec
	v_mov_b32_e32 v35, 0
	s_or_b64 s[8:9], s[8:9], s[0:1]
	s_or_b64 exec, exec, s[12:13]
	s_and_saveexec_b64 s[12:13], s[8:9]
	s_cbranch_execnz .LBB283_740
	s_branch .LBB283_741
.LBB283_1003:                           ;   in Loop: Header=BB283_555 Depth=1
	v_cmp_eq_u16_sdwa s[26:27], v31, s15 src0_sel:BYTE_0 src1_sel:DWORD
	s_mov_b64 s[0:1], -1
                                        ; implicit-def: $sgpr20
	s_and_saveexec_b64 s[12:13], s[26:27]
; %bb.1004:                             ;   in Loop: Header=BB283_555 Depth=1
	s_mov_b32 s20, 0x7fc02000
	s_xor_b64 s[0:1], exec, -1
; %bb.1005:                             ;   in Loop: Header=BB283_555 Depth=1
	s_or_b64 exec, exec, s[12:13]
	s_and_b64 s[0:1], s[0:1], exec
	s_or_saveexec_b64 s[8:9], s[8:9]
	v_mov_b32_e32 v6, s20
	s_xor_b64 exec, exec, s[8:9]
	s_cbranch_execz .LBB283_743
.LBB283_1006:                           ;   in Loop: Header=BB283_555 Depth=1
	v_cmp_ne_u16_sdwa s[12:13], v31, v11 src0_sel:BYTE_0 src1_sel:DWORD
	s_andn2_b64 s[0:1], s[0:1], exec
	s_and_b64 s[12:13], s[12:13], exec
	v_mov_b32_e32 v6, 0
	s_or_b64 s[0:1], s[0:1], s[12:13]
	s_or_b64 exec, exec, s[8:9]
	v_mov_b32_e32 v10, v31
	s_and_saveexec_b64 s[8:9], s[0:1]
	s_cbranch_execnz .LBB283_744
	s_branch .LBB283_745
.LBB283_1007:                           ;   in Loop: Header=BB283_555 Depth=1
	v_cmp_eq_u16_e64 s[0:1], s15, v10
	s_mov_b64 s[8:9], -1
                                        ; implicit-def: $sgpr26
	s_and_saveexec_b64 s[20:21], s[0:1]
; %bb.1008:                             ;   in Loop: Header=BB283_555 Depth=1
	s_mov_b32 s26, 0x7fc02000
	s_xor_b64 s[8:9], exec, -1
; %bb.1009:                             ;   in Loop: Header=BB283_555 Depth=1
	s_or_b64 exec, exec, s[20:21]
	s_and_b64 s[8:9], s[8:9], exec
	s_or_saveexec_b64 s[12:13], s[12:13]
	v_mov_b32_e32 v22, s26
	s_xor_b64 exec, exec, s[12:13]
	s_cbranch_execz .LBB283_747
.LBB283_1010:                           ;   in Loop: Header=BB283_555 Depth=1
	v_cmp_ne_u16_e64 s[0:1], 0, v10
	s_andn2_b64 s[8:9], s[8:9], exec
	s_and_b64 s[0:1], s[0:1], exec
	v_mov_b32_e32 v22, 0
	s_or_b64 s[8:9], s[8:9], s[0:1]
	s_or_b64 exec, exec, s[12:13]
	s_and_saveexec_b64 s[12:13], s[8:9]
	s_cbranch_execnz .LBB283_748
	s_branch .LBB283_749
.LBB283_1011:                           ;   in Loop: Header=BB283_555 Depth=1
	v_cmp_eq_u16_sdwa s[26:27], v10, s15 src0_sel:BYTE_0 src1_sel:DWORD
	s_mov_b64 s[0:1], -1
                                        ; implicit-def: $sgpr20
	s_and_saveexec_b64 s[12:13], s[26:27]
; %bb.1012:                             ;   in Loop: Header=BB283_555 Depth=1
	s_mov_b32 s20, 0x7fc02000
	s_xor_b64 s[0:1], exec, -1
; %bb.1013:                             ;   in Loop: Header=BB283_555 Depth=1
	s_or_b64 exec, exec, s[12:13]
	s_and_b64 s[0:1], s[0:1], exec
	s_or_saveexec_b64 s[8:9], s[8:9]
	v_mov_b32_e32 v26, s20
	s_xor_b64 exec, exec, s[8:9]
	s_cbranch_execz .LBB283_751
.LBB283_1014:                           ;   in Loop: Header=BB283_555 Depth=1
	v_cmp_ne_u16_sdwa s[12:13], v10, v11 src0_sel:BYTE_0 src1_sel:DWORD
	s_andn2_b64 s[0:1], s[0:1], exec
	s_and_b64 s[12:13], s[12:13], exec
	v_mov_b32_e32 v26, 0
	s_or_b64 s[0:1], s[0:1], s[12:13]
	s_or_b64 exec, exec, s[8:9]
	s_and_saveexec_b64 s[8:9], s[0:1]
	s_cbranch_execnz .LBB283_752
	s_branch .LBB283_753
.LBB283_1015:                           ;   in Loop: Header=BB283_555 Depth=1
	v_cmp_eq_u16_e64 s[0:1], s15, v10
	s_mov_b64 s[8:9], -1
                                        ; implicit-def: $sgpr26
	s_and_saveexec_b64 s[20:21], s[0:1]
; %bb.1016:                             ;   in Loop: Header=BB283_555 Depth=1
	s_mov_b32 s26, 0x7fc02000
	s_xor_b64 s[8:9], exec, -1
; %bb.1017:                             ;   in Loop: Header=BB283_555 Depth=1
	s_or_b64 exec, exec, s[20:21]
	s_and_b64 s[8:9], s[8:9], exec
	s_or_saveexec_b64 s[12:13], s[12:13]
	v_mov_b32_e32 v29, s26
	s_xor_b64 exec, exec, s[12:13]
	s_cbranch_execz .LBB283_755
.LBB283_1018:                           ;   in Loop: Header=BB283_555 Depth=1
	v_cmp_ne_u16_e64 s[0:1], 0, v10
	s_andn2_b64 s[8:9], s[8:9], exec
	s_and_b64 s[0:1], s[0:1], exec
	v_mov_b32_e32 v29, 0
	s_or_b64 s[8:9], s[8:9], s[0:1]
	s_or_b64 exec, exec, s[12:13]
	s_and_saveexec_b64 s[12:13], s[8:9]
	s_cbranch_execnz .LBB283_756
	s_branch .LBB283_757
.LBB283_1019:                           ;   in Loop: Header=BB283_555 Depth=1
	v_cmp_eq_u16_sdwa s[26:27], v30, s15 src0_sel:BYTE_0 src1_sel:DWORD
	s_mov_b64 s[0:1], -1
                                        ; implicit-def: $sgpr20
	s_and_saveexec_b64 s[12:13], s[26:27]
; %bb.1020:                             ;   in Loop: Header=BB283_555 Depth=1
	s_mov_b32 s20, 0x7fc02000
	s_xor_b64 s[0:1], exec, -1
; %bb.1021:                             ;   in Loop: Header=BB283_555 Depth=1
	s_or_b64 exec, exec, s[12:13]
	s_and_b64 s[0:1], s[0:1], exec
	s_or_saveexec_b64 s[8:9], s[8:9]
	v_mov_b32_e32 v32, s20
	s_xor_b64 exec, exec, s[8:9]
	s_cbranch_execz .LBB283_761
.LBB283_1022:                           ;   in Loop: Header=BB283_555 Depth=1
	v_cmp_ne_u16_sdwa s[12:13], v30, v11 src0_sel:BYTE_0 src1_sel:DWORD
	s_andn2_b64 s[0:1], s[0:1], exec
	s_and_b64 s[12:13], s[12:13], exec
	v_mov_b32_e32 v32, 0
	s_or_b64 s[0:1], s[0:1], s[12:13]
	s_or_b64 exec, exec, s[8:9]
	s_and_saveexec_b64 s[8:9], s[0:1]
	s_cbranch_execnz .LBB283_762
	s_branch .LBB283_763
.LBB283_1023:                           ;   in Loop: Header=BB283_555 Depth=1
	v_cmp_eq_u16_e64 s[0:1], s15, v10
	s_mov_b64 s[8:9], -1
                                        ; implicit-def: $sgpr26
	s_and_saveexec_b64 s[20:21], s[0:1]
; %bb.1024:                             ;   in Loop: Header=BB283_555 Depth=1
	s_mov_b32 s26, 0x7fc02000
	s_xor_b64 s[8:9], exec, -1
; %bb.1025:                             ;   in Loop: Header=BB283_555 Depth=1
	s_or_b64 exec, exec, s[20:21]
	s_and_b64 s[8:9], s[8:9], exec
	s_or_saveexec_b64 s[12:13], s[12:13]
	v_mov_b32_e32 v34, s26
	s_xor_b64 exec, exec, s[12:13]
	s_cbranch_execz .LBB283_765
.LBB283_1026:                           ;   in Loop: Header=BB283_555 Depth=1
	v_cmp_ne_u16_e64 s[0:1], 0, v10
	s_andn2_b64 s[8:9], s[8:9], exec
	s_and_b64 s[0:1], s[0:1], exec
	v_mov_b32_e32 v34, 0
	s_or_b64 s[8:9], s[8:9], s[0:1]
	s_or_b64 exec, exec, s[12:13]
	s_and_saveexec_b64 s[12:13], s[8:9]
	s_cbranch_execnz .LBB283_766
	s_branch .LBB283_767
.LBB283_1027:                           ;   in Loop: Header=BB283_555 Depth=1
	v_cmp_eq_u16_sdwa s[26:27], v10, s15 src0_sel:BYTE_0 src1_sel:DWORD
	s_mov_b64 s[0:1], -1
                                        ; implicit-def: $sgpr20
	s_and_saveexec_b64 s[12:13], s[26:27]
; %bb.1028:                             ;   in Loop: Header=BB283_555 Depth=1
	s_mov_b32 s20, 0x7fc02000
	s_xor_b64 s[0:1], exec, -1
; %bb.1029:                             ;   in Loop: Header=BB283_555 Depth=1
	s_or_b64 exec, exec, s[12:13]
	s_and_b64 s[0:1], s[0:1], exec
	s_or_saveexec_b64 s[8:9], s[8:9]
	v_mov_b32_e32 v33, s20
	s_xor_b64 exec, exec, s[8:9]
	s_cbranch_execz .LBB283_769
.LBB283_1030:                           ;   in Loop: Header=BB283_555 Depth=1
	v_cmp_ne_u16_sdwa s[12:13], v10, v11 src0_sel:BYTE_0 src1_sel:DWORD
	s_andn2_b64 s[0:1], s[0:1], exec
	s_and_b64 s[12:13], s[12:13], exec
	v_mov_b32_e32 v33, 0
	s_or_b64 s[0:1], s[0:1], s[12:13]
	s_or_b64 exec, exec, s[8:9]
	s_and_saveexec_b64 s[8:9], s[0:1]
	s_cbranch_execnz .LBB283_770
	s_branch .LBB283_771
.LBB283_1031:                           ;   in Loop: Header=BB283_555 Depth=1
	v_cmp_eq_u16_e64 s[0:1], s15, v10
	s_mov_b64 s[8:9], -1
                                        ; implicit-def: $sgpr26
	s_and_saveexec_b64 s[20:21], s[0:1]
; %bb.1032:                             ;   in Loop: Header=BB283_555 Depth=1
	s_mov_b32 s26, 0x7fc02000
	s_xor_b64 s[8:9], exec, -1
; %bb.1033:                             ;   in Loop: Header=BB283_555 Depth=1
	s_or_b64 exec, exec, s[20:21]
	s_and_b64 s[8:9], s[8:9], exec
	s_or_saveexec_b64 s[12:13], s[12:13]
	v_mov_b32_e32 v35, s26
	s_xor_b64 exec, exec, s[12:13]
	s_cbranch_execz .LBB283_773
.LBB283_1034:                           ;   in Loop: Header=BB283_555 Depth=1
	v_cmp_ne_u16_e64 s[0:1], 0, v10
	s_andn2_b64 s[8:9], s[8:9], exec
	s_and_b64 s[0:1], s[0:1], exec
	v_mov_b32_e32 v35, 0
	s_or_b64 s[8:9], s[8:9], s[0:1]
	s_or_b64 exec, exec, s[12:13]
	s_and_saveexec_b64 s[12:13], s[8:9]
	s_cbranch_execnz .LBB283_774
	s_branch .LBB283_775
.LBB283_1035:                           ;   in Loop: Header=BB283_555 Depth=1
	v_cmp_eq_u16_sdwa s[26:27], v31, s15 src0_sel:BYTE_0 src1_sel:DWORD
	s_mov_b64 s[0:1], -1
                                        ; implicit-def: $sgpr20
	s_and_saveexec_b64 s[12:13], s[26:27]
; %bb.1036:                             ;   in Loop: Header=BB283_555 Depth=1
	s_mov_b32 s20, 0x7fc02000
	s_xor_b64 s[0:1], exec, -1
; %bb.1037:                             ;   in Loop: Header=BB283_555 Depth=1
	s_or_b64 exec, exec, s[12:13]
	s_and_b64 s[0:1], s[0:1], exec
	s_or_saveexec_b64 s[8:9], s[8:9]
	v_mov_b32_e32 v6, s20
	s_xor_b64 exec, exec, s[8:9]
	s_cbranch_execz .LBB283_777
.LBB283_1038:                           ;   in Loop: Header=BB283_555 Depth=1
	v_cmp_ne_u16_sdwa s[12:13], v31, v11 src0_sel:BYTE_0 src1_sel:DWORD
	s_andn2_b64 s[0:1], s[0:1], exec
	s_and_b64 s[12:13], s[12:13], exec
	v_mov_b32_e32 v6, 0
	s_or_b64 s[0:1], s[0:1], s[12:13]
	s_or_b64 exec, exec, s[8:9]
	v_mov_b32_e32 v10, v31
	s_and_saveexec_b64 s[8:9], s[0:1]
	s_cbranch_execnz .LBB283_778
	s_branch .LBB283_779
.LBB283_1039:                           ;   in Loop: Header=BB283_555 Depth=1
	v_cmp_eq_u16_e64 s[0:1], s15, v10
	s_mov_b64 s[8:9], -1
                                        ; implicit-def: $sgpr26
	s_and_saveexec_b64 s[20:21], s[0:1]
; %bb.1040:                             ;   in Loop: Header=BB283_555 Depth=1
	s_mov_b32 s26, 0x7fc02000
	s_xor_b64 s[8:9], exec, -1
; %bb.1041:                             ;   in Loop: Header=BB283_555 Depth=1
	s_or_b64 exec, exec, s[20:21]
	s_and_b64 s[8:9], s[8:9], exec
	s_or_saveexec_b64 s[12:13], s[12:13]
	v_mov_b32_e32 v26, s26
	s_xor_b64 exec, exec, s[12:13]
	s_cbranch_execz .LBB283_781
.LBB283_1042:                           ;   in Loop: Header=BB283_555 Depth=1
	v_cmp_ne_u16_e64 s[0:1], 0, v10
	s_andn2_b64 s[8:9], s[8:9], exec
	s_and_b64 s[0:1], s[0:1], exec
	v_mov_b32_e32 v26, 0
	s_or_b64 s[8:9], s[8:9], s[0:1]
	s_or_b64 exec, exec, s[12:13]
	s_and_saveexec_b64 s[12:13], s[8:9]
	s_cbranch_execnz .LBB283_782
	s_branch .LBB283_783
.LBB283_1043:                           ;   in Loop: Header=BB283_555 Depth=1
	v_cmp_eq_u16_sdwa s[26:27], v10, s15 src0_sel:BYTE_0 src1_sel:DWORD
	s_mov_b64 s[0:1], -1
                                        ; implicit-def: $sgpr20
	s_and_saveexec_b64 s[12:13], s[26:27]
; %bb.1044:                             ;   in Loop: Header=BB283_555 Depth=1
	s_mov_b32 s20, 0x7fc02000
	s_xor_b64 s[0:1], exec, -1
; %bb.1045:                             ;   in Loop: Header=BB283_555 Depth=1
	s_or_b64 exec, exec, s[12:13]
	s_and_b64 s[0:1], s[0:1], exec
	s_or_saveexec_b64 s[8:9], s[8:9]
	v_mov_b32_e32 v27, s20
	s_xor_b64 exec, exec, s[8:9]
	s_cbranch_execz .LBB283_785
.LBB283_1046:                           ;   in Loop: Header=BB283_555 Depth=1
	v_cmp_ne_u16_sdwa s[12:13], v10, v11 src0_sel:BYTE_0 src1_sel:DWORD
	s_andn2_b64 s[0:1], s[0:1], exec
	s_and_b64 s[12:13], s[12:13], exec
	v_mov_b32_e32 v27, 0
	s_or_b64 s[0:1], s[0:1], s[12:13]
	s_or_b64 exec, exec, s[8:9]
	s_and_saveexec_b64 s[8:9], s[0:1]
	s_cbranch_execnz .LBB283_786
	s_branch .LBB283_787
.LBB283_1047:                           ;   in Loop: Header=BB283_555 Depth=1
	v_cmp_eq_u16_e64 s[0:1], s15, v10
	s_mov_b64 s[8:9], -1
                                        ; implicit-def: $sgpr26
	s_and_saveexec_b64 s[20:21], s[0:1]
; %bb.1048:                             ;   in Loop: Header=BB283_555 Depth=1
	s_mov_b32 s26, 0x7fc02000
	s_xor_b64 s[8:9], exec, -1
; %bb.1049:                             ;   in Loop: Header=BB283_555 Depth=1
	s_or_b64 exec, exec, s[20:21]
	s_and_b64 s[8:9], s[8:9], exec
	s_or_saveexec_b64 s[12:13], s[12:13]
	v_mov_b32_e32 v30, s26
	s_xor_b64 exec, exec, s[12:13]
	s_cbranch_execz .LBB283_789
.LBB283_1050:                           ;   in Loop: Header=BB283_555 Depth=1
	v_cmp_ne_u16_e64 s[0:1], 0, v10
	s_andn2_b64 s[8:9], s[8:9], exec
	s_and_b64 s[0:1], s[0:1], exec
	v_mov_b32_e32 v30, 0
	s_or_b64 s[8:9], s[8:9], s[0:1]
	s_or_b64 exec, exec, s[12:13]
	s_and_saveexec_b64 s[12:13], s[8:9]
	s_cbranch_execnz .LBB283_790
	s_branch .LBB283_791
.LBB283_1051:                           ;   in Loop: Header=BB283_555 Depth=1
	v_cmp_eq_u16_sdwa s[26:27], v28, s15 src0_sel:BYTE_0 src1_sel:DWORD
	s_mov_b64 s[0:1], -1
                                        ; implicit-def: $sgpr20
	s_and_saveexec_b64 s[12:13], s[26:27]
; %bb.1052:                             ;   in Loop: Header=BB283_555 Depth=1
	s_mov_b32 s20, 0x7fc02000
	s_xor_b64 s[0:1], exec, -1
; %bb.1053:                             ;   in Loop: Header=BB283_555 Depth=1
	s_or_b64 exec, exec, s[12:13]
	s_and_b64 s[0:1], s[0:1], exec
	s_or_saveexec_b64 s[8:9], s[8:9]
	v_mov_b32_e32 v30, s20
	s_xor_b64 exec, exec, s[8:9]
	s_cbranch_execz .LBB283_795
.LBB283_1054:                           ;   in Loop: Header=BB283_555 Depth=1
	v_cmp_ne_u16_sdwa s[12:13], v28, v11 src0_sel:BYTE_0 src1_sel:DWORD
	s_andn2_b64 s[0:1], s[0:1], exec
	s_and_b64 s[12:13], s[12:13], exec
	v_mov_b32_e32 v30, 0
	s_or_b64 s[0:1], s[0:1], s[12:13]
	s_or_b64 exec, exec, s[8:9]
	s_and_saveexec_b64 s[8:9], s[0:1]
	s_cbranch_execnz .LBB283_796
	s_branch .LBB283_797
.LBB283_1055:                           ;   in Loop: Header=BB283_555 Depth=1
	v_cmp_eq_u16_e64 s[0:1], s15, v10
	s_mov_b64 s[8:9], -1
                                        ; implicit-def: $sgpr26
	s_and_saveexec_b64 s[20:21], s[0:1]
; %bb.1056:                             ;   in Loop: Header=BB283_555 Depth=1
	s_mov_b32 s26, 0x7fc02000
	s_xor_b64 s[8:9], exec, -1
; %bb.1057:                             ;   in Loop: Header=BB283_555 Depth=1
	s_or_b64 exec, exec, s[20:21]
	s_and_b64 s[8:9], s[8:9], exec
	s_or_saveexec_b64 s[12:13], s[12:13]
	v_mov_b32_e32 v32, s26
	s_xor_b64 exec, exec, s[12:13]
	s_cbranch_execz .LBB283_799
.LBB283_1058:                           ;   in Loop: Header=BB283_555 Depth=1
	v_cmp_ne_u16_e64 s[0:1], 0, v10
	s_andn2_b64 s[8:9], s[8:9], exec
	s_and_b64 s[0:1], s[0:1], exec
	v_mov_b32_e32 v32, 0
	s_or_b64 s[8:9], s[8:9], s[0:1]
	s_or_b64 exec, exec, s[12:13]
	s_and_saveexec_b64 s[12:13], s[8:9]
	s_cbranch_execnz .LBB283_800
	s_branch .LBB283_801
.LBB283_1059:                           ;   in Loop: Header=BB283_555 Depth=1
	v_cmp_eq_u16_sdwa s[26:27], v10, s15 src0_sel:BYTE_0 src1_sel:DWORD
	s_mov_b64 s[0:1], -1
                                        ; implicit-def: $sgpr20
	s_and_saveexec_b64 s[12:13], s[26:27]
; %bb.1060:                             ;   in Loop: Header=BB283_555 Depth=1
	s_mov_b32 s20, 0x7fc02000
	s_xor_b64 s[0:1], exec, -1
; %bb.1061:                             ;   in Loop: Header=BB283_555 Depth=1
	s_or_b64 exec, exec, s[12:13]
	s_and_b64 s[0:1], s[0:1], exec
	s_or_saveexec_b64 s[8:9], s[8:9]
	v_mov_b32_e32 v31, s20
	s_xor_b64 exec, exec, s[8:9]
	s_cbranch_execz .LBB283_803
.LBB283_1062:                           ;   in Loop: Header=BB283_555 Depth=1
	v_cmp_ne_u16_sdwa s[12:13], v10, v11 src0_sel:BYTE_0 src1_sel:DWORD
	s_andn2_b64 s[0:1], s[0:1], exec
	s_and_b64 s[12:13], s[12:13], exec
	v_mov_b32_e32 v31, 0
	s_or_b64 s[0:1], s[0:1], s[12:13]
	s_or_b64 exec, exec, s[8:9]
	s_and_saveexec_b64 s[8:9], s[0:1]
	s_cbranch_execnz .LBB283_804
	s_branch .LBB283_805
.LBB283_1063:                           ;   in Loop: Header=BB283_555 Depth=1
	v_cmp_eq_u16_e64 s[0:1], s15, v10
	s_mov_b64 s[8:9], -1
                                        ; implicit-def: $sgpr26
	s_and_saveexec_b64 s[20:21], s[0:1]
; %bb.1064:                             ;   in Loop: Header=BB283_555 Depth=1
	s_mov_b32 s26, 0x7fc02000
	s_xor_b64 s[8:9], exec, -1
; %bb.1065:                             ;   in Loop: Header=BB283_555 Depth=1
	s_or_b64 exec, exec, s[20:21]
	s_and_b64 s[8:9], s[8:9], exec
	s_or_saveexec_b64 s[12:13], s[12:13]
	v_mov_b32_e32 v33, s26
	s_xor_b64 exec, exec, s[12:13]
	s_cbranch_execz .LBB283_807
.LBB283_1066:                           ;   in Loop: Header=BB283_555 Depth=1
	v_cmp_ne_u16_e64 s[0:1], 0, v10
	s_andn2_b64 s[8:9], s[8:9], exec
	s_and_b64 s[0:1], s[0:1], exec
	v_mov_b32_e32 v33, 0
	s_or_b64 s[8:9], s[8:9], s[0:1]
	s_or_b64 exec, exec, s[12:13]
	s_and_saveexec_b64 s[12:13], s[8:9]
	s_cbranch_execnz .LBB283_808
	s_branch .LBB283_809
.LBB283_1067:                           ;   in Loop: Header=BB283_555 Depth=1
	v_cmp_eq_u16_sdwa s[26:27], v29, s15 src0_sel:BYTE_0 src1_sel:DWORD
	s_mov_b64 s[0:1], -1
                                        ; implicit-def: $sgpr20
	s_and_saveexec_b64 s[12:13], s[26:27]
; %bb.1068:                             ;   in Loop: Header=BB283_555 Depth=1
	s_mov_b32 s20, 0x7fc02000
	s_xor_b64 s[0:1], exec, -1
; %bb.1069:                             ;   in Loop: Header=BB283_555 Depth=1
	s_or_b64 exec, exec, s[12:13]
	s_and_b64 s[0:1], s[0:1], exec
	s_or_saveexec_b64 s[8:9], s[8:9]
	v_mov_b32_e32 v19, s20
	s_xor_b64 exec, exec, s[8:9]
	s_cbranch_execz .LBB283_811
.LBB283_1070:                           ;   in Loop: Header=BB283_555 Depth=1
	v_cmp_ne_u16_sdwa s[12:13], v29, v11 src0_sel:BYTE_0 src1_sel:DWORD
	s_andn2_b64 s[0:1], s[0:1], exec
	s_and_b64 s[12:13], s[12:13], exec
	v_mov_b32_e32 v19, 0
	s_or_b64 s[0:1], s[0:1], s[12:13]
	s_or_b64 exec, exec, s[8:9]
	v_mov_b32_e32 v10, v29
	s_and_saveexec_b64 s[8:9], s[0:1]
	s_cbranch_execnz .LBB283_812
	s_branch .LBB283_813
.LBB283_1071:                           ;   in Loop: Header=BB283_555 Depth=1
	v_cmp_eq_u16_e64 s[0:1], s15, v10
	s_mov_b64 s[8:9], -1
                                        ; implicit-def: $sgpr26
	s_and_saveexec_b64 s[20:21], s[0:1]
; %bb.1072:                             ;   in Loop: Header=BB283_555 Depth=1
	s_mov_b32 s26, 0x7fc02000
	s_xor_b64 s[8:9], exec, -1
; %bb.1073:                             ;   in Loop: Header=BB283_555 Depth=1
	s_or_b64 exec, exec, s[20:21]
	s_and_b64 s[8:9], s[8:9], exec
	s_or_saveexec_b64 s[12:13], s[12:13]
	v_mov_b32_e32 v26, s26
	s_xor_b64 exec, exec, s[12:13]
	s_cbranch_execz .LBB283_815
.LBB283_1074:                           ;   in Loop: Header=BB283_555 Depth=1
	v_cmp_ne_u16_e64 s[0:1], 0, v10
	s_andn2_b64 s[8:9], s[8:9], exec
	s_and_b64 s[0:1], s[0:1], exec
	v_mov_b32_e32 v26, 0
	s_or_b64 s[8:9], s[8:9], s[0:1]
	s_or_b64 exec, exec, s[12:13]
	s_and_saveexec_b64 s[12:13], s[8:9]
	s_cbranch_execnz .LBB283_816
	s_branch .LBB283_817
.LBB283_1075:                           ;   in Loop: Header=BB283_555 Depth=1
	v_cmp_eq_u16_sdwa s[26:27], v10, s15 src0_sel:BYTE_0 src1_sel:DWORD
	s_mov_b64 s[0:1], -1
                                        ; implicit-def: $sgpr20
	s_and_saveexec_b64 s[12:13], s[26:27]
; %bb.1076:                             ;   in Loop: Header=BB283_555 Depth=1
	s_mov_b32 s20, 0x7fc02000
	s_xor_b64 s[0:1], exec, -1
; %bb.1077:                             ;   in Loop: Header=BB283_555 Depth=1
	s_or_b64 exec, exec, s[12:13]
	s_and_b64 s[0:1], s[0:1], exec
	s_or_saveexec_b64 s[8:9], s[8:9]
	v_mov_b32_e32 v28, s20
	s_xor_b64 exec, exec, s[8:9]
	s_cbranch_execz .LBB283_819
.LBB283_1078:                           ;   in Loop: Header=BB283_555 Depth=1
	v_cmp_ne_u16_sdwa s[12:13], v10, v11 src0_sel:BYTE_0 src1_sel:DWORD
	s_andn2_b64 s[0:1], s[0:1], exec
	s_and_b64 s[12:13], s[12:13], exec
	v_mov_b32_e32 v28, 0
	s_or_b64 s[0:1], s[0:1], s[12:13]
	s_or_b64 exec, exec, s[8:9]
	s_and_saveexec_b64 s[8:9], s[0:1]
	s_cbranch_execnz .LBB283_820
	s_branch .LBB283_821
.LBB283_1079:                           ;   in Loop: Header=BB283_555 Depth=1
	v_cmp_eq_u16_e64 s[0:1], s15, v10
	s_mov_b64 s[8:9], -1
                                        ; implicit-def: $sgpr26
	s_and_saveexec_b64 s[20:21], s[0:1]
; %bb.1080:                             ;   in Loop: Header=BB283_555 Depth=1
	s_mov_b32 s26, 0x7fc02000
	s_xor_b64 s[8:9], exec, -1
; %bb.1081:                             ;   in Loop: Header=BB283_555 Depth=1
	s_or_b64 exec, exec, s[20:21]
	s_and_b64 s[8:9], s[8:9], exec
	s_or_saveexec_b64 s[12:13], s[12:13]
	v_mov_b32_e32 v34, s26
	s_xor_b64 exec, exec, s[12:13]
	s_cbranch_execz .LBB283_823
.LBB283_1082:                           ;   in Loop: Header=BB283_555 Depth=1
	v_cmp_ne_u16_e64 s[0:1], 0, v10
	s_andn2_b64 s[8:9], s[8:9], exec
	s_and_b64 s[0:1], s[0:1], exec
	v_mov_b32_e32 v34, 0
	s_or_b64 s[8:9], s[8:9], s[0:1]
	s_or_b64 exec, exec, s[12:13]
	s_and_saveexec_b64 s[12:13], s[8:9]
	s_cbranch_execnz .LBB283_824
	s_branch .LBB283_825
.LBB283_1083:
	s_or_b64 exec, exec, s[6:7]
.LBB283_1084:
	s_or_b64 exec, exec, s[4:5]
	ds_bpermute_b32 v6, v37, v8
	ds_bpermute_b32 v7, v37, v9
	;; [unrolled: 1-line block ×8, first 2 shown]
	s_waitcnt lgkmcnt(0)
	v_pk_add_f32 v[6:7], v[8:9], v[6:7]
	v_accvgpr_read_b32 v8, a2
	v_pk_add_f32 v[10:11], v[24:25], v[4:5]
	v_and_b32_e32 v4, 0x3c1, v8
	v_pk_add_f32 v[2:3], v[2:3], v[12:13]
	v_pk_add_f32 v[0:1], v[0:1], v[14:15]
	v_cmp_eq_u32_e32 vcc, 64, v4
	s_barrier
	s_and_saveexec_b64 s[0:1], vcc
	s_cbranch_execz .LBB283_1086
; %bb.1085:
	s_ashr_i32 s17, s16, 31
	s_lshl_b64 s[4:5], s[16:17], 2
	s_getpc_b64 s[6:7]
	s_add_u32 s6, s6, llvm.amdgcn.dynlds.offset.table@rel32@lo+4
	s_addc_u32 s7, s7, llvm.amdgcn.dynlds.offset.table@rel32@hi+12
	s_add_u32 s4, s4, s6
	s_addc_u32 s5, s5, s7
	s_load_dword s3, s[4:5], 0x0
	s_waitcnt lgkmcnt(0)
	v_lshl_add_u32 v5, v23, 1, s3
	ds_write2_b32 v5, v10, v11 offset1:32
	ds_write2_b32 v5, v6, v7 offset0:64 offset1:96
	ds_write2_b32 v5, v2, v3 offset0:128 offset1:160
	ds_write2_b32 v5, v0, v1 offset0:192 offset1:224
.LBB283_1086:
	s_or_b64 exec, exec, s[0:1]
	v_cmp_gt_u32_e32 vcc, 64, v8
	s_waitcnt lgkmcnt(0)
	s_barrier
	s_and_saveexec_b64 s[0:1], vcc
	s_cbranch_execz .LBB283_1097
; %bb.1087:
	v_cmp_eq_u32_e32 vcc, 0, v48
	v_lshrrev_b32_e32 v5, 1, v8
	s_and_saveexec_b64 s[4:5], vcc
	s_cbranch_execnz .LBB283_1100
; %bb.1088:
	s_or_b64 exec, exec, s[4:5]
	s_and_saveexec_b64 s[4:5], vcc
	s_cbranch_execnz .LBB283_1101
.LBB283_1089:
	s_or_b64 exec, exec, s[4:5]
	s_and_saveexec_b64 s[4:5], vcc
	s_cbranch_execnz .LBB283_1102
.LBB283_1090:
	s_or_b64 exec, exec, s[4:5]
	s_and_saveexec_b64 s[4:5], vcc
	s_cbranch_execnz .LBB283_1103
.LBB283_1091:
	s_or_b64 exec, exec, s[4:5]
	s_and_saveexec_b64 s[4:5], vcc
	s_cbranch_execnz .LBB283_1104
.LBB283_1092:
	s_or_b64 exec, exec, s[4:5]
	s_and_saveexec_b64 s[4:5], vcc
	s_cbranch_execnz .LBB283_1105
.LBB283_1093:
	s_or_b64 exec, exec, s[4:5]
	s_and_saveexec_b64 s[4:5], vcc
	s_cbranch_execnz .LBB283_1106
.LBB283_1094:
	s_or_b64 exec, exec, s[4:5]
	s_and_saveexec_b64 s[4:5], vcc
	s_cbranch_execz .LBB283_1096
.LBB283_1095:
	s_ashr_i32 s17, s16, 31
	s_lshl_b64 s[6:7], s[16:17], 2
	s_getpc_b64 s[8:9]
	s_add_u32 s8, s8, llvm.amdgcn.dynlds.offset.table@rel32@lo+4
	s_addc_u32 s9, s9, llvm.amdgcn.dynlds.offset.table@rel32@hi+12
	s_add_u32 s6, s6, s8
	s_addc_u32 s7, s7, s9
	s_load_dword s3, s[6:7], 0x0
	s_waitcnt lgkmcnt(0)
	v_lshl_add_u32 v5, v5, 2, s3
	ds_read_b32 v5, v5 offset:896
	s_waitcnt lgkmcnt(0)
	v_add_f32_e32 v1, v1, v5
.LBB283_1096:
	s_or_b64 exec, exec, s[4:5]
.LBB283_1097:
	s_or_b64 exec, exec, s[0:1]
	v_cmp_eq_u32_e32 vcc, 0, v4
	s_barrier
	s_and_b64 exec, exec, vcc
	s_cbranch_execz .LBB283_1099
; %bb.1098:
	s_lshl_b32 s0, s2, 8
	s_mul_i32 s2, s18, s19
	s_lshl_b32 s4, s14, 8
	s_ashr_i32 s1, s0, 31
	s_ashr_i32 s3, s2, 31
	;; [unrolled: 1-line block ×3, first 2 shown]
	s_lshl_b64 s[0:1], s[0:1], 1
	s_lshl_b64 s[2:3], s[2:3], 1
	;; [unrolled: 1-line block ×3, first 2 shown]
	s_add_u32 s2, s4, s2
	s_addc_u32 s3, s5, s3
	s_add_u32 s0, s2, s0
	v_accvgpr_read_b32 v5, a1
	s_addc_u32 s1, s3, s1
	v_accvgpr_read_b32 v4, a0
	v_lshl_add_u64 v[4:5], s[0:1], 0, v[4:5]
	v_mov_b32_e32 v9, 0
	v_lshl_add_u64 v[4:5], v[4:5], 0, v[8:9]
	;;#ASMSTART
	v_cvt_f16_f32 v8, v10;

	;;#ASMEND
	flat_store_short v[4:5], v8
	;;#ASMSTART
	v_cvt_f16_f32 v8, v11;

	;;#ASMEND
	flat_store_short v[4:5], v8 offset:64
	;;#ASMSTART
	v_cvt_f16_f32 v6, v6;

	;;#ASMEND
	flat_store_short v[4:5], v6 offset:128
	;;#ASMSTART
	v_cvt_f16_f32 v6, v7;

	;;#ASMEND
	flat_store_short v[4:5], v6 offset:192
	;;#ASMSTART
	v_cvt_f16_f32 v2, v2;

	;;#ASMEND
	flat_store_short v[4:5], v2 offset:256
	;;#ASMSTART
	v_cvt_f16_f32 v2, v3;

	;;#ASMEND
	flat_store_short v[4:5], v2 offset:320
	;;#ASMSTART
	v_cvt_f16_f32 v0, v0;

	;;#ASMEND
	flat_store_short v[4:5], v0 offset:384
	;;#ASMSTART
	v_cvt_f16_f32 v0, v1;

	;;#ASMEND
	flat_store_short v[4:5], v0 offset:448
.LBB283_1099:
	s_or_b64 exec, exec, s[10:11]
	scratch_load_dword a53, off, s32        ; 4-byte Folded Reload
	scratch_load_dword a52, off, s32 offset:4 ; 4-byte Folded Reload
	scratch_load_dword a51, off, s32 offset:8 ; 4-byte Folded Reload
	;; [unrolled: 1-line block ×36, first 2 shown]
	v_readlane_b32 s30, v63, 4
	v_readlane_b32 s31, v63, 5
	;; [unrolled: 1-line block ×6, first 2 shown]
	s_or_saveexec_b64 s[0:1], -1
	scratch_load_dword v63, off, s32 offset:160 ; 4-byte Folded Reload
	s_mov_b64 exec, s[0:1]
	s_waitcnt vmcnt(0) lgkmcnt(0)
	s_setpc_b64 s[30:31]
.LBB283_1100:
	s_ashr_i32 s17, s16, 31
	s_lshl_b64 s[6:7], s[16:17], 2
	s_getpc_b64 s[8:9]
	s_add_u32 s8, s8, llvm.amdgcn.dynlds.offset.table@rel32@lo+4
	s_addc_u32 s9, s9, llvm.amdgcn.dynlds.offset.table@rel32@hi+12
	s_add_u32 s6, s6, s8
	s_addc_u32 s7, s7, s9
	s_load_dword s3, s[6:7], 0x0
	s_waitcnt lgkmcnt(0)
	v_lshl_add_u32 v8, v5, 2, s3
	ds_read_b32 v8, v8
	s_waitcnt lgkmcnt(0)
	v_add_f32_e32 v10, v10, v8
	v_accvgpr_read_b32 v8, a2
	s_or_b64 exec, exec, s[4:5]
	s_and_saveexec_b64 s[4:5], vcc
	s_cbranch_execz .LBB283_1089
.LBB283_1101:
	s_ashr_i32 s17, s16, 31
	s_lshl_b64 s[6:7], s[16:17], 2
	s_getpc_b64 s[8:9]
	s_add_u32 s8, s8, llvm.amdgcn.dynlds.offset.table@rel32@lo+4
	s_addc_u32 s9, s9, llvm.amdgcn.dynlds.offset.table@rel32@hi+12
	s_add_u32 s6, s6, s8
	s_addc_u32 s7, s7, s9
	s_load_dword s3, s[6:7], 0x0
	s_waitcnt lgkmcnt(0)
	v_lshl_add_u32 v8, v5, 2, s3
	ds_read_b32 v8, v8 offset:128
	s_waitcnt lgkmcnt(0)
	v_add_f32_e32 v11, v11, v8
	v_accvgpr_read_b32 v8, a2
	s_or_b64 exec, exec, s[4:5]
	s_and_saveexec_b64 s[4:5], vcc
	s_cbranch_execz .LBB283_1090
.LBB283_1102:
	s_ashr_i32 s17, s16, 31
	s_lshl_b64 s[6:7], s[16:17], 2
	s_getpc_b64 s[8:9]
	s_add_u32 s8, s8, llvm.amdgcn.dynlds.offset.table@rel32@lo+4
	s_addc_u32 s9, s9, llvm.amdgcn.dynlds.offset.table@rel32@hi+12
	s_add_u32 s6, s6, s8
	s_addc_u32 s7, s7, s9
	s_load_dword s3, s[6:7], 0x0
	s_waitcnt lgkmcnt(0)
	v_lshl_add_u32 v8, v5, 2, s3
	ds_read_b32 v8, v8 offset:256
	s_waitcnt lgkmcnt(0)
	v_add_f32_e32 v6, v6, v8
	v_accvgpr_read_b32 v8, a2
	s_or_b64 exec, exec, s[4:5]
	s_and_saveexec_b64 s[4:5], vcc
	s_cbranch_execz .LBB283_1091
.LBB283_1103:
	s_ashr_i32 s17, s16, 31
	s_lshl_b64 s[6:7], s[16:17], 2
	s_getpc_b64 s[8:9]
	s_add_u32 s8, s8, llvm.amdgcn.dynlds.offset.table@rel32@lo+4
	s_addc_u32 s9, s9, llvm.amdgcn.dynlds.offset.table@rel32@hi+12
	s_add_u32 s6, s6, s8
	s_addc_u32 s7, s7, s9
	s_load_dword s3, s[6:7], 0x0
	s_waitcnt lgkmcnt(0)
	v_lshl_add_u32 v8, v5, 2, s3
	ds_read_b32 v8, v8 offset:384
	s_waitcnt lgkmcnt(0)
	v_add_f32_e32 v7, v7, v8
	v_accvgpr_read_b32 v8, a2
	s_or_b64 exec, exec, s[4:5]
	s_and_saveexec_b64 s[4:5], vcc
	s_cbranch_execz .LBB283_1092
.LBB283_1104:
	s_ashr_i32 s17, s16, 31
	s_lshl_b64 s[6:7], s[16:17], 2
	s_getpc_b64 s[8:9]
	s_add_u32 s8, s8, llvm.amdgcn.dynlds.offset.table@rel32@lo+4
	s_addc_u32 s9, s9, llvm.amdgcn.dynlds.offset.table@rel32@hi+12
	s_add_u32 s6, s6, s8
	s_addc_u32 s7, s7, s9
	s_load_dword s3, s[6:7], 0x0
	s_waitcnt lgkmcnt(0)
	v_lshl_add_u32 v8, v5, 2, s3
	ds_read_b32 v8, v8 offset:512
	s_waitcnt lgkmcnt(0)
	v_add_f32_e32 v2, v2, v8
	v_accvgpr_read_b32 v8, a2
	s_or_b64 exec, exec, s[4:5]
	s_and_saveexec_b64 s[4:5], vcc
	s_cbranch_execz .LBB283_1093
.LBB283_1105:
	s_ashr_i32 s17, s16, 31
	s_lshl_b64 s[6:7], s[16:17], 2
	s_getpc_b64 s[8:9]
	s_add_u32 s8, s8, llvm.amdgcn.dynlds.offset.table@rel32@lo+4
	s_addc_u32 s9, s9, llvm.amdgcn.dynlds.offset.table@rel32@hi+12
	s_add_u32 s6, s6, s8
	s_addc_u32 s7, s7, s9
	s_load_dword s3, s[6:7], 0x0
	s_waitcnt lgkmcnt(0)
	v_lshl_add_u32 v8, v5, 2, s3
	ds_read_b32 v8, v8 offset:640
	s_waitcnt lgkmcnt(0)
	v_add_f32_e32 v3, v3, v8
	v_accvgpr_read_b32 v8, a2
	s_or_b64 exec, exec, s[4:5]
	s_and_saveexec_b64 s[4:5], vcc
	s_cbranch_execz .LBB283_1094
.LBB283_1106:
	s_ashr_i32 s17, s16, 31
	s_lshl_b64 s[6:7], s[16:17], 2
	s_getpc_b64 s[8:9]
	s_add_u32 s8, s8, llvm.amdgcn.dynlds.offset.table@rel32@lo+4
	s_addc_u32 s9, s9, llvm.amdgcn.dynlds.offset.table@rel32@hi+12
	s_add_u32 s6, s6, s8
	s_addc_u32 s7, s7, s9
	s_load_dword s3, s[6:7], 0x0
	s_waitcnt lgkmcnt(0)
	v_lshl_add_u32 v8, v5, 2, s3
	ds_read_b32 v8, v8 offset:768
	s_waitcnt lgkmcnt(0)
	v_add_f32_e32 v0, v0, v8
	v_accvgpr_read_b32 v8, a2
	s_or_b64 exec, exec, s[4:5]
	s_and_saveexec_b64 s[4:5], vcc
	s_cbranch_execnz .LBB283_1095
	s_branch .LBB283_1096
.Lfunc_end283:
	.size	_ZN4vllm22paged_attention_kernelIthLi256ELi16ELi128ELNS_18Fp8KVCacheDataTypeE1ELb0ELi512EEEvPfS2_PT_PKS3_PKT0_S9_ifPKiSB_iPKfiiiSD_SD_iiiii, .Lfunc_end283-_ZN4vllm22paged_attention_kernelIthLi256ELi16ELi128ELNS_18Fp8KVCacheDataTypeE1ELb0ELi512EEEvPfS2_PT_PKS3_PKT0_S9_ifPKiSB_iPKfiiiSD_SD_iiiii
                                        ; -- End function
	.section	.AMDGPU.csdata,"",@progbits
; Function info:
; codeLenInByte = 46204
; NumSgprs: 44
; NumVgprs: 64
; NumAgprs: 54
; TotalNumVgprs: 118
; ScratchSize: 168
; MemoryBound: 0
	.section	.text._ZN4vllm25paged_attention_v2_kernelIthLi256ELi16ELi128ELNS_18Fp8KVCacheDataTypeE1ELb0ELi512EEEvPfS2_PT_PKS3_PKT0_S9_ifPKiSB_iPKfiiiSD_SD_iiiii,"axG",@progbits,_ZN4vllm25paged_attention_v2_kernelIthLi256ELi16ELi128ELNS_18Fp8KVCacheDataTypeE1ELb0ELi512EEEvPfS2_PT_PKS3_PKT0_S9_ifPKiSB_iPKfiiiSD_SD_iiiii,comdat
	.protected	_ZN4vllm25paged_attention_v2_kernelIthLi256ELi16ELi128ELNS_18Fp8KVCacheDataTypeE1ELb0ELi512EEEvPfS2_PT_PKS3_PKT0_S9_ifPKiSB_iPKfiiiSD_SD_iiiii ; -- Begin function _ZN4vllm25paged_attention_v2_kernelIthLi256ELi16ELi128ELNS_18Fp8KVCacheDataTypeE1ELb0ELi512EEEvPfS2_PT_PKS3_PKT0_S9_ifPKiSB_iPKfiiiSD_SD_iiiii
	.globl	_ZN4vllm25paged_attention_v2_kernelIthLi256ELi16ELi128ELNS_18Fp8KVCacheDataTypeE1ELb0ELi512EEEvPfS2_PT_PKS3_PKT0_S9_ifPKiSB_iPKfiiiSD_SD_iiiii
	.p2align	8
	.type	_ZN4vllm25paged_attention_v2_kernelIthLi256ELi16ELi128ELNS_18Fp8KVCacheDataTypeE1ELb0ELi512EEEvPfS2_PT_PKS3_PKT0_S9_ifPKiSB_iPKfiiiSD_SD_iiiii,@function
_ZN4vllm25paged_attention_v2_kernelIthLi256ELi16ELi128ELNS_18Fp8KVCacheDataTypeE1ELb0ELi512EEEvPfS2_PT_PKS3_PKT0_S9_ifPKiSB_iPKfiiiSD_SD_iiiii: ; @_ZN4vllm25paged_attention_v2_kernelIthLi256ELi16ELi128ELNS_18Fp8KVCacheDataTypeE1ELb0ELi512EEEvPfS2_PT_PKS3_PKT0_S9_ifPKiSB_iPKfiiiSD_SD_iiiii
; %bb.0:
	s_load_dwordx8 s[24:31], s[0:1], 0x0
	s_load_dwordx8 s[16:23], s[0:1], 0x20
	s_load_dwordx2 s[6:7], s[0:1], 0x40
	s_load_dwordx2 s[10:11], s[0:1], 0x50
	s_load_dword s5, s[0:1], 0x48
	s_load_dwordx8 s[36:43], s[0:1], 0x58
	s_add_u32 s8, s0, 0x90
	s_addc_u32 s9, s1, 0
	s_mov_b32 s12, s2
	s_mov_b32 s13, s3
	;; [unrolled: 1-line block ×4, first 2 shown]
	v_mov_b32_e32 v31, v0
	s_waitcnt lgkmcnt(0)
	v_mov_b32_e32 v0, s24
	v_mov_b32_e32 v1, s25
	;; [unrolled: 1-line block ×28, first 2 shown]
	s_mov_b32 s32, 0
	s_getpc_b64 s[0:1]
	s_add_u32 s0, s0, _ZN4vllm22paged_attention_kernelIthLi256ELi16ELi128ELNS_18Fp8KVCacheDataTypeE1ELb0ELi512EEEvPfS2_PT_PKS3_PKT0_S9_ifPKiSB_iPKfiiiSD_SD_iiiii@rel32@lo+4
	s_addc_u32 s1, s1, _ZN4vllm22paged_attention_kernelIthLi256ELi16ELi128ELNS_18Fp8KVCacheDataTypeE1ELb0ELi512EEEvPfS2_PT_PKS3_PKT0_S9_ifPKiSB_iPKfiiiSD_SD_iiiii@rel32@hi+12
	s_swappc_b64 s[30:31], s[0:1]
	s_endpgm
	.section	.rodata,"a",@progbits
	.p2align	6, 0x0
	.amdhsa_kernel _ZN4vllm25paged_attention_v2_kernelIthLi256ELi16ELi128ELNS_18Fp8KVCacheDataTypeE1ELb0ELi512EEEvPfS2_PT_PKS3_PKT0_S9_ifPKiSB_iPKfiiiSD_SD_iiiii
		.amdhsa_group_segment_fixed_size 528
		.amdhsa_private_segment_fixed_size 168
		.amdhsa_kernarg_size 400
		.amdhsa_user_sgpr_count 2
		.amdhsa_user_sgpr_dispatch_ptr 0
		.amdhsa_user_sgpr_queue_ptr 0
		.amdhsa_user_sgpr_kernarg_segment_ptr 1
		.amdhsa_user_sgpr_dispatch_id 0
		.amdhsa_user_sgpr_kernarg_preload_length 0
		.amdhsa_user_sgpr_kernarg_preload_offset 0
		.amdhsa_user_sgpr_private_segment_size 0
		.amdhsa_uses_dynamic_stack 0
		.amdhsa_enable_private_segment 1
		.amdhsa_system_sgpr_workgroup_id_x 1
		.amdhsa_system_sgpr_workgroup_id_y 1
		.amdhsa_system_sgpr_workgroup_id_z 1
		.amdhsa_system_sgpr_workgroup_info 0
		.amdhsa_system_vgpr_workitem_id 0
		.amdhsa_next_free_vgpr 118
		.amdhsa_next_free_sgpr 44
		.amdhsa_accum_offset 64
		.amdhsa_reserve_vcc 1
		.amdhsa_float_round_mode_32 0
		.amdhsa_float_round_mode_16_64 0
		.amdhsa_float_denorm_mode_32 3
		.amdhsa_float_denorm_mode_16_64 3
		.amdhsa_dx10_clamp 1
		.amdhsa_ieee_mode 1
		.amdhsa_fp16_overflow 0
		.amdhsa_tg_split 0
		.amdhsa_exception_fp_ieee_invalid_op 0
		.amdhsa_exception_fp_denorm_src 0
		.amdhsa_exception_fp_ieee_div_zero 0
		.amdhsa_exception_fp_ieee_overflow 0
		.amdhsa_exception_fp_ieee_underflow 0
		.amdhsa_exception_fp_ieee_inexact 0
		.amdhsa_exception_int_div_zero 0
	.end_amdhsa_kernel
	.section	.text._ZN4vllm25paged_attention_v2_kernelIthLi256ELi16ELi128ELNS_18Fp8KVCacheDataTypeE1ELb0ELi512EEEvPfS2_PT_PKS3_PKT0_S9_ifPKiSB_iPKfiiiSD_SD_iiiii,"axG",@progbits,_ZN4vllm25paged_attention_v2_kernelIthLi256ELi16ELi128ELNS_18Fp8KVCacheDataTypeE1ELb0ELi512EEEvPfS2_PT_PKS3_PKT0_S9_ifPKiSB_iPKfiiiSD_SD_iiiii,comdat
.Lfunc_end284:
	.size	_ZN4vllm25paged_attention_v2_kernelIthLi256ELi16ELi128ELNS_18Fp8KVCacheDataTypeE1ELb0ELi512EEEvPfS2_PT_PKS3_PKT0_S9_ifPKiSB_iPKfiiiSD_SD_iiiii, .Lfunc_end284-_ZN4vllm25paged_attention_v2_kernelIthLi256ELi16ELi128ELNS_18Fp8KVCacheDataTypeE1ELb0ELi512EEEvPfS2_PT_PKS3_PKT0_S9_ifPKiSB_iPKfiiiSD_SD_iiiii
                                        ; -- End function
	.section	.AMDGPU.csdata,"",@progbits
; Kernel info:
; codeLenInByte = 228
; NumSgprs: 50
; NumVgprs: 64
; NumAgprs: 54
; TotalNumVgprs: 118
; ScratchSize: 168
; MemoryBound: 0
; FloatMode: 240
; IeeeMode: 1
; LDSByteSize: 528 bytes/workgroup (compile time only)
; SGPRBlocks: 6
; VGPRBlocks: 14
; NumSGPRsForWavesPerEU: 50
; NumVGPRsForWavesPerEU: 118
; AccumOffset: 64
; Occupancy: 4
; WaveLimiterHint : 1
; COMPUTE_PGM_RSRC2:SCRATCH_EN: 1
; COMPUTE_PGM_RSRC2:USER_SGPR: 2
; COMPUTE_PGM_RSRC2:TRAP_HANDLER: 0
; COMPUTE_PGM_RSRC2:TGID_X_EN: 1
; COMPUTE_PGM_RSRC2:TGID_Y_EN: 1
; COMPUTE_PGM_RSRC2:TGID_Z_EN: 1
; COMPUTE_PGM_RSRC2:TIDIG_COMP_CNT: 0
; COMPUTE_PGM_RSRC3_GFX90A:ACCUM_OFFSET: 15
; COMPUTE_PGM_RSRC3_GFX90A:TG_SPLIT: 0
	.section	.text._ZN4vllm25paged_attention_v2_kernelIthLi32ELi32ELi128ELNS_18Fp8KVCacheDataTypeE1ELb1ELi512EEEvPfS2_PT_PKS3_PKT0_S9_ifPKiSB_iPKfiiiSD_SD_iiiii,"axG",@progbits,_ZN4vllm25paged_attention_v2_kernelIthLi32ELi32ELi128ELNS_18Fp8KVCacheDataTypeE1ELb1ELi512EEEvPfS2_PT_PKS3_PKT0_S9_ifPKiSB_iPKfiiiSD_SD_iiiii,comdat
	.protected	_ZN4vllm25paged_attention_v2_kernelIthLi32ELi32ELi128ELNS_18Fp8KVCacheDataTypeE1ELb1ELi512EEEvPfS2_PT_PKS3_PKT0_S9_ifPKiSB_iPKfiiiSD_SD_iiiii ; -- Begin function _ZN4vllm25paged_attention_v2_kernelIthLi32ELi32ELi128ELNS_18Fp8KVCacheDataTypeE1ELb1ELi512EEEvPfS2_PT_PKS3_PKT0_S9_ifPKiSB_iPKfiiiSD_SD_iiiii
	.globl	_ZN4vllm25paged_attention_v2_kernelIthLi32ELi32ELi128ELNS_18Fp8KVCacheDataTypeE1ELb1ELi512EEEvPfS2_PT_PKS3_PKT0_S9_ifPKiSB_iPKfiiiSD_SD_iiiii
	.p2align	8
	.type	_ZN4vllm25paged_attention_v2_kernelIthLi32ELi32ELi128ELNS_18Fp8KVCacheDataTypeE1ELb1ELi512EEEvPfS2_PT_PKS3_PKT0_S9_ifPKiSB_iPKfiiiSD_SD_iiiii,@function
_ZN4vllm25paged_attention_v2_kernelIthLi32ELi32ELi128ELNS_18Fp8KVCacheDataTypeE1ELb1ELi512EEEvPfS2_PT_PKS3_PKT0_S9_ifPKiSB_iPKfiiiSD_SD_iiiii: ; @_ZN4vllm25paged_attention_v2_kernelIthLi32ELi32ELi128ELNS_18Fp8KVCacheDataTypeE1ELb1ELi512EEEvPfS2_PT_PKS3_PKT0_S9_ifPKiSB_iPKfiiiSD_SD_iiiii
; %bb.0:
	s_load_dwordx2 s[6:7], s[0:1], 0x40
	s_mov_b32 s34, s3
	s_ashr_i32 s35, s3, 31
	s_lshl_b64 s[8:9], s[34:35], 2
	s_waitcnt lgkmcnt(0)
	s_add_u32 s6, s6, s8
	s_addc_u32 s7, s7, s9
	s_load_dword s33, s[6:7], 0x0
	s_lshl_b32 s55, s4, 9
	s_waitcnt lgkmcnt(0)
	s_cmp_ge_i32 s55, s33
	s_cbranch_scc1 .LBB285_323
; %bb.1:
	s_load_dword s5, s[0:1], 0x90
	s_load_dwordx2 s[42:43], s[0:1], 0x30
	s_waitcnt lgkmcnt(0)
	s_abs_i32 s7, s5
	s_abs_i32 s3, s42
	v_cvt_f32_u32_e32 v1, s3
	s_sub_i32 s8, 0, s3
	s_xor_b32 s6, s5, s42
	s_ashr_i32 s6, s6, 31
	v_rcp_iflag_f32_e32 v1, v1
	s_nop 0
	v_mul_f32_e32 v1, 0x4f7ffffe, v1
	v_cvt_u32_f32_e32 v1, v1
	s_nop 0
	v_readfirstlane_b32 s9, v1
	s_mul_i32 s8, s8, s9
	s_mul_hi_u32 s8, s9, s8
	s_add_i32 s9, s9, s8
	s_mul_hi_u32 s8, s7, s9
	s_mul_i32 s9, s8, s3
	s_sub_i32 s7, s7, s9
	s_add_i32 s10, s8, 1
	s_sub_i32 s9, s7, s3
	s_cmp_ge_u32 s7, s3
	s_cselect_b32 s8, s10, s8
	s_cselect_b32 s7, s9, s7
	s_add_i32 s9, s8, 1
	s_cmp_ge_u32 s7, s3
	s_cselect_b32 s3, s9, s8
	s_xor_b32 s3, s3, s6
	s_sub_i32 s12, s3, s6
	s_abs_i32 s8, s12
	v_cvt_f32_u32_e32 v1, s8
	s_load_dwordx2 s[6:7], s[0:1], 0x50
	s_sub_i32 s10, 0, s8
	s_abs_i32 s9, s2
	v_rcp_iflag_f32_e32 v1, v1
	s_mov_b32 s3, 0
	v_mul_f32_e32 v1, 0x4f7ffffe, v1
	v_cvt_u32_f32_e32 v1, v1
	s_nop 0
	v_readfirstlane_b32 s11, v1
	s_mul_i32 s10, s10, s11
	s_mul_hi_u32 s10, s11, s10
	s_add_i32 s11, s11, s10
	s_waitcnt lgkmcnt(0)
	s_cmp_eq_u64 s[6:7], 0
	s_mul_hi_u32 s10, s9, s11
	s_cbranch_scc1 .LBB285_3
; %bb.2:
	s_ashr_i32 s3, s2, 31
	s_lshl_b64 s[14:15], s[2:3], 2
	s_add_u32 s6, s6, s14
	s_addc_u32 s7, s7, s15
	s_load_dword s3, s[6:7], 0x0
.LBB285_3:
	s_load_dwordx4 s[16:19], s[0:1], 0x58
	s_ashr_i32 s11, s2, 31
	s_ashr_i32 s12, s12, 31
	v_and_b32_e32 v9, 1, v0
	s_lshl_b32 s28, s2, 5
	v_cmp_gt_u32_e32 vcc, 8, v0
	v_lshlrev_b32_e32 v15, 3, v0
	s_and_saveexec_b64 s[6:7], vcc
	s_cbranch_execz .LBB285_5
; %bb.4:
	s_load_dwordx2 s[14:15], s[0:1], 0x18
	s_waitcnt lgkmcnt(0)
	s_mul_i32 s20, s34, s16
	s_ashr_i32 s21, s20, 31
	s_lshl_b64 s[20:21], s[20:21], 1
	v_lshlrev_b32_e32 v1, 2, v0
	s_add_u32 s13, s14, s20
	s_addc_u32 s16, s15, s21
	s_ashr_i32 s29, s28, 31
	s_lshl_b64 s[14:15], s[28:29], 1
	s_add_u32 s14, s13, s14
	s_addc_u32 s15, s16, s15
	global_load_dwordx2 v[2:3], v15, s[14:15]
	v_and_b32_e32 v1, 0xff8, v1
	v_lshl_add_u32 v1, v9, 5, v1
	s_waitcnt vmcnt(0)
	ds_write_b64 v1, v[2:3]
.LBB285_5:
	s_or_b64 exec, exec, s[6:7]
	s_mul_i32 s7, s10, s8
	s_sub_i32 s7, s9, s7
	s_xor_b32 s6, s11, s12
	s_add_i32 s9, s10, 1
	s_sub_i32 s11, s7, s8
	s_load_dwordx4 s[20:23], s[0:1], 0x78
	s_cmp_ge_u32 s7, s8
	s_cselect_b32 s9, s9, s10
	s_cselect_b32 s7, s11, s7
	s_add_i32 s10, s9, 1
	s_cmp_ge_u32 s7, s8
	s_cselect_b32 s7, s10, s9
	s_load_dword s10, s[0:1], 0x88
	s_waitcnt lgkmcnt(0)
	s_abs_i32 s29, s23
	v_cvt_f32_u32_e32 v1, s29
	s_xor_b32 s7, s7, s6
	s_sub_i32 s54, s7, s6
	s_sub_i32 s6, 0, s29
	v_rcp_iflag_f32_e32 v1, v1
	s_add_i32 s11, s33, -1
	s_abs_i32 s8, s11
	v_mul_f32_e32 v1, 0x4f7ffffe, v1
	v_cvt_u32_f32_e32 v1, v1
	s_barrier
	v_readfirstlane_b32 s35, v1
	s_mul_i32 s6, s6, s35
	s_mul_hi_u32 s6, s35, s6
	s_add_i32 s35, s35, s6
	s_cmp_lt_i32 s10, 0
	s_mul_hi_u32 s9, s8, s35
	s_cbranch_scc0 .LBB285_7
; %bb.6:
	s_mul_i32 s6, s20, s42
	s_add_i32 s6, s54, s6
	s_mul_i32 s6, s6, s10
	s_sub_i32 s42, 1, s6
	s_mov_b64 s[6:7], 0
	s_branch .LBB285_8
.LBB285_7:
	s_mov_b64 s[6:7], -1
                                        ; implicit-def: $sgpr42
.LBB285_8:
	s_load_dwordx2 s[36:37], s[0:1], 0x38
	s_ashr_i32 s11, s11, 31
	s_andn2_b64 vcc, exec, s[6:7]
	s_ashr_i32 s23, s23, 31
	s_cbranch_vccnz .LBB285_10
; %bb.9:
	s_mul_i32 s6, s5, s20
	s_add_i32 s6, s6, s2
	s_mul_i32 s6, s6, s10
	s_add_i32 s42, s6, 1
.LBB285_10:
	s_load_dwordx2 s[40:41], s[0:1], 0x28
	s_load_dword s6, s[0:1], 0x48
	s_load_dwordx4 s[24:27], s[0:1], 0x0
	s_load_dwordx2 s[30:31], s[0:1], 0x10
	s_load_dword s20, s[0:1], 0x98
	s_load_dwordx4 s[12:15], s[0:1], 0x68
	s_mul_i32 s7, s9, s29
	s_waitcnt lgkmcnt(0)
	s_mul_i32 s38, s34, s6
	s_sub_i32 s7, s8, s7
	s_ashr_i32 s39, s38, 31
	s_xor_b32 s6, s11, s23
	s_add_i32 s8, s9, 1
	s_sub_i32 s10, s7, s29
	s_cmp_ge_u32 s7, s29
	s_cselect_b32 s8, s8, s9
	s_cselect_b32 s7, s10, s7
	s_add_i32 s9, s8, 1
	s_cmp_ge_u32 s7, s29
	s_cselect_b32 s7, s9, s8
	s_xor_b32 s7, s7, s6
	s_sub_i32 s53, s7, s6
	s_add_i32 s6, s33, 31
	s_ashr_i32 s7, s6, 31
	s_lshr_b32 s7, s7, 27
	s_add_i32 s6, s6, s7
	s_lshl_b32 s56, s4, 4
	s_ashr_i32 s16, s6, 5
	s_add_i32 s6, s56, 16
	v_lshrrev_b32_e32 v16, 6, v0
	s_min_i32 s52, s6, s16
	v_or_b32_e32 v2, s56, v16
	v_cmp_gt_i32_e64 s[8:9], s52, v2
	v_mov_b32_e32 v20, 0xff7fffff
	s_mul_i32 s54, s54, s18
	v_ashrrev_i32_e32 v3, 31, v2
	v_lshl_add_u32 v1, v16, 5, s55
	v_mbcnt_lo_u32_b32 v17, -1, 0
	s_and_saveexec_b64 s[18:19], s[8:9]
	s_cbranch_execz .LBB285_148
; %bb.11:
	s_load_dwordx2 s[0:1], s[0:1], 0x20
	s_sub_i32 s57, s53, s21
	s_ashr_i32 s6, s54, 31
	v_bfe_u32 v18, v0, 1, 5
	v_lshlrev_b32_e32 v4, 4, v18
	s_waitcnt lgkmcnt(0)
	s_add_u32 s0, s0, s54
	s_addc_u32 s1, s1, s6
	s_abs_i32 s58, s22
	v_cvt_f32_u32_e32 v6, s58
	v_mov_b32_e32 v5, 0
	v_cmp_eq_u32_e32 vcc, 0, v9
	s_mov_b32 s59, s17
	v_rcp_iflag_f32_e32 v10, v6
	v_lshl_add_u64 v[6:7], s[0:1], 0, v[4:5]
	s_sub_i32 s0, 0, s58
	v_lshlrev_b32_e32 v8, 2, v9
	v_mul_f32_e32 v4, 0x4f7ffffe, v10
	v_cvt_u32_f32_e32 v4, v4
	v_lshlrev_b32_e32 v19, 5, v9
	v_cmp_neq_f32_e64 s[6:7], s3, 0
	v_mov_b32_e32 v9, v5
	v_mul_lo_u32 v10, s0, v4
	v_mul_hi_u32 v10, v4, v10
	v_add_u32_e32 v21, v4, v10
	s_lshl_b64 s[0:1], s[38:39], 2
	v_lshlrev_b32_e32 v4, 2, v18
	s_add_u32 s0, s36, s0
	v_lshl_or_b32 v4, v16, 7, v4
	s_addc_u32 s1, s37, s1
	v_add_u32_e32 v23, 0x50, v4
	v_subrev_u32_e32 v4, s33, v18
	v_lshl_add_u64 v[10:11], v[2:3], 2, s[0:1]
	v_lshl_add_u32 v22, v16, 5, s55
	v_add_u32_e32 v24, 1, v4
	s_mov_b64 s[44:45], 0
	v_mov_b32_e32 v25, 0xff7fffff
	s_movk_i32 s60, 0x7f
	s_movk_i32 s61, 0x80
	s_mov_b32 s62, 0x8000
	v_mov_b32_e32 v26, 0x1c00
	v_mbcnt_hi_u32_b32 v27, -1, v17
	v_mov_b32_e32 v20, 0xff7fffff
	v_mov_b32_e32 v28, v2
	s_branch .LBB285_14
.LBB285_12:                             ;   in Loop: Header=BB285_14 Depth=1
	s_or_b64 exec, exec, s[46:47]
.LBB285_13:                             ;   in Loop: Header=BB285_14 Depth=1
	s_or_b64 exec, exec, s[10:11]
	v_add_u32_e32 v28, 2, v28
	v_cmp_le_i32_e64 s[0:1], s52, v28
	v_lshl_add_u64 v[10:11], v[10:11], 0, 8
	v_add_u32_e32 v22, 64, v22
	s_or_b64 s[44:45], s[0:1], s[44:45]
	v_add_u32_e32 v23, 0x100, v23
	s_andn2_b64 exec, exec, s[44:45]
	s_cbranch_execz .LBB285_147
.LBB285_14:                             ; =>This Inner Loop Header: Depth=1
	s_waitcnt lgkmcnt(0)
	v_sub_u32_e32 v12, 0, v22
	v_max_i32_e32 v12, v22, v12
	v_mul_hi_u32 v13, v12, s35
	v_mul_lo_u32 v14, v13, s29
	v_sub_u32_e32 v12, v12, v14
	v_add_u32_e32 v14, 1, v13
	v_cmp_le_u32_e64 s[0:1], s29, v12
	v_ashrrev_i32_e32 v4, 31, v22
	v_xor_b32_e32 v4, s23, v4
	v_cndmask_b32_e64 v13, v13, v14, s[0:1]
	v_subrev_u32_e32 v14, s29, v12
	v_cndmask_b32_e64 v12, v12, v14, s[0:1]
	v_add_u32_e32 v14, 1, v13
	v_cmp_le_u32_e64 s[0:1], s29, v12
	s_nop 1
	v_cndmask_b32_e64 v12, v13, v14, s[0:1]
	v_xor_b32_e32 v12, v12, v4
	v_sub_u32_e32 v4, v12, v4
	v_add_u32_e32 v12, s42, v4
	v_sub_u32_e32 v14, 0, v12
	v_ashrrev_i32_e32 v13, 31, v12
	v_max_i32_e32 v12, v12, v14
	v_mul_hi_u32 v14, v12, v21
	v_mul_lo_u32 v14, v14, s58
	v_sub_u32_e32 v12, v12, v14
	v_subrev_u32_e32 v14, s58, v12
	v_cmp_le_u32_e64 s[0:1], s58, v12
	v_cmp_ge_i32_e64 s[10:11], s57, v4
	s_nop 0
	v_cndmask_b32_e64 v12, v12, v14, s[0:1]
	v_subrev_u32_e32 v14, s58, v12
	v_cmp_le_u32_e64 s[0:1], s58, v12
	s_nop 1
	v_cndmask_b32_e64 v12, v12, v14, s[0:1]
	v_xor_b32_e32 v12, v12, v13
	v_sub_u32_e32 v12, v12, v13
	v_cmp_ne_u32_e64 s[0:1], 0, v12
	s_and_b64 s[0:1], s[0:1], s[10:11]
	s_and_b64 s[46:47], vcc, s[0:1]
	s_and_saveexec_b64 s[10:11], s[46:47]
	s_cbranch_execz .LBB285_16
; %bb.15:                               ;   in Loop: Header=BB285_14 Depth=1
	ds_write_b32 v23, v25
.LBB285_16:                             ;   in Loop: Header=BB285_14 Depth=1
	s_or_b64 exec, exec, s[10:11]
	s_xor_b64 s[0:1], s[0:1], -1
	s_and_saveexec_b64 s[10:11], s[0:1]
	s_cbranch_execz .LBB285_13
; %bb.17:                               ;   in Loop: Header=BB285_14 Depth=1
	global_load_dword v4, v[10:11], off
                                        ; implicit-def: $sgpr50
	s_waitcnt vmcnt(0)
	v_mad_i64_i32 v[12:13], s[0:1], v4, s59, v[6:7]
	v_lshl_add_u64 v[12:13], v[12:13], 0, v[8:9]
	global_load_dword v14, v[12:13], off
	global_load_dword v29, v5, s[12:13]
	s_mov_b64 s[0:1], 0
	s_waitcnt vmcnt(1)
	v_cmp_gt_i16_sdwa s[46:47], v14, s60 src0_sel:BYTE_0 src1_sel:DWORD
	s_and_saveexec_b64 s[48:49], s[46:47]
	s_xor_b64 s[46:47], exec, s[48:49]
	s_cbranch_execnz .LBB285_83
; %bb.18:                               ;   in Loop: Header=BB285_14 Depth=1
	s_or_saveexec_b64 s[46:47], s[46:47]
	v_mov_b32_e32 v30, s50
	s_xor_b64 exec, exec, s[46:47]
	s_cbranch_execnz .LBB285_86
.LBB285_19:                             ;   in Loop: Header=BB285_14 Depth=1
	s_or_b64 exec, exec, s[46:47]
	s_and_saveexec_b64 s[46:47], s[0:1]
	s_cbranch_execz .LBB285_21
.LBB285_20:                             ;   in Loop: Header=BB285_14 Depth=1
	v_and_b32_e32 v4, 7, v14
	v_ffbh_u32_e32 v30, v4
	v_min_u32_e32 v33, 32, v30
	v_subrev_u32_e32 v30, 28, v33
	v_bfe_u32 v32, v14, 3, 4
	v_lshlrev_b64 v[30:31], v30, v[14:15]
	v_sub_u32_e32 v31, 29, v33
	v_cmp_eq_u32_e64 s[0:1], 0, v32
	v_and_b32_e32 v30, 7, v30
	s_nop 0
	v_cndmask_b32_e64 v31, v32, v31, s[0:1]
	v_cndmask_b32_e64 v4, v4, v30, s[0:1]
	v_lshlrev_b32_e32 v30, 8, v14
	v_lshl_add_u32 v31, v31, 10, v26
	v_and_or_b32 v30, v30, s62, v31
	v_lshl_or_b32 v4, v4, 7, v30
	v_cvt_f32_f16_e32 v30, v4
.LBB285_21:                             ;   in Loop: Header=BB285_14 Depth=1
	s_or_b64 exec, exec, s[46:47]
	v_lshrrev_b16_e32 v4, 8, v14
	v_cmp_lt_i16_e64 s[0:1], s60, v4
	s_mov_b64 s[46:47], 0
                                        ; implicit-def: $sgpr63
	s_and_saveexec_b64 s[48:49], s[0:1]
	s_xor_b64 s[48:49], exec, s[48:49]
	s_cbranch_execnz .LBB285_87
; %bb.22:                               ;   in Loop: Header=BB285_14 Depth=1
	s_or_saveexec_b64 s[48:49], s[48:49]
	v_mov_b32_e32 v31, s63
	s_xor_b64 exec, exec, s[48:49]
	s_cbranch_execnz .LBB285_90
.LBB285_23:                             ;   in Loop: Header=BB285_14 Depth=1
	s_or_b64 exec, exec, s[48:49]
	s_and_saveexec_b64 s[48:49], s[46:47]
	s_cbranch_execz .LBB285_25
.LBB285_24:                             ;   in Loop: Header=BB285_14 Depth=1
	v_and_b32_e32 v31, 7, v4
	v_ffbh_u32_e32 v32, v31
	v_min_u32_e32 v35, 32, v32
	v_subrev_u32_e32 v32, 28, v35
	v_bfe_u32 v34, v4, 3, 4
	v_lshlrev_b64 v[32:33], v32, v[4:5]
	v_sub_u32_e32 v33, 29, v35
	v_cmp_eq_u32_e64 s[0:1], 0, v34
	v_and_b32_e32 v32, 7, v32
	v_lshlrev_b32_e32 v4, 8, v4
	v_cndmask_b32_e64 v33, v34, v33, s[0:1]
	v_cndmask_b32_e64 v31, v31, v32, s[0:1]
	v_lshl_add_u32 v32, v33, 10, v26
	v_and_or_b32 v4, v4, s62, v32
	v_lshl_or_b32 v4, v31, 7, v4
	v_cvt_f32_f16_e32 v31, v4
.LBB285_25:                             ;   in Loop: Header=BB285_14 Depth=1
	s_or_b64 exec, exec, s[48:49]
	v_lshrrev_b32_e32 v4, 16, v14
	v_cmp_gt_i16_sdwa s[46:47], v4, s60 src0_sel:BYTE_0 src1_sel:DWORD
	s_mov_b64 s[0:1], 0
                                        ; implicit-def: $sgpr50
	s_and_saveexec_b64 s[48:49], s[46:47]
	s_xor_b64 s[46:47], exec, s[48:49]
	s_cbranch_execnz .LBB285_91
; %bb.26:                               ;   in Loop: Header=BB285_14 Depth=1
	s_or_saveexec_b64 s[46:47], s[46:47]
	v_mov_b32_e32 v32, s50
	s_xor_b64 exec, exec, s[46:47]
	s_cbranch_execnz .LBB285_94
.LBB285_27:                             ;   in Loop: Header=BB285_14 Depth=1
	s_or_b64 exec, exec, s[46:47]
	s_and_saveexec_b64 s[46:47], s[0:1]
	s_cbranch_execz .LBB285_29
.LBB285_28:                             ;   in Loop: Header=BB285_14 Depth=1
	v_bfe_u32 v34, v14, 16, 3
	v_ffbh_u32_e32 v32, v34
	v_min_u32_e32 v36, 32, v32
	v_subrev_u32_e32 v32, 28, v36
	v_bfe_u32 v35, v14, 19, 4
	v_lshlrev_b64 v[32:33], v32, v[4:5]
	v_sub_u32_e32 v33, 29, v36
	v_cmp_eq_u32_e64 s[0:1], 0, v35
	v_and_b32_e32 v32, 7, v32
	v_lshlrev_b32_e32 v4, 8, v4
	v_cndmask_b32_e64 v33, v35, v33, s[0:1]
	v_lshl_add_u32 v33, v33, 10, v26
	v_cndmask_b32_e64 v32, v34, v32, s[0:1]
	v_and_or_b32 v4, v4, s62, v33
	v_lshl_or_b32 v4, v32, 7, v4
	v_cvt_f32_f16_e32 v32, v4
.LBB285_29:                             ;   in Loop: Header=BB285_14 Depth=1
	s_or_b64 exec, exec, s[46:47]
	v_lshrrev_b32_e32 v4, 24, v14
	v_cmp_lt_i16_e64 s[0:1], s60, v4
	s_mov_b64 s[46:47], 0
                                        ; implicit-def: $sgpr63
	s_and_saveexec_b64 s[48:49], s[0:1]
	s_xor_b64 s[48:49], exec, s[48:49]
	s_cbranch_execnz .LBB285_95
; %bb.30:                               ;   in Loop: Header=BB285_14 Depth=1
	s_or_saveexec_b64 s[48:49], s[48:49]
	v_mov_b32_e32 v33, s63
	s_xor_b64 exec, exec, s[48:49]
	s_cbranch_execnz .LBB285_98
.LBB285_31:                             ;   in Loop: Header=BB285_14 Depth=1
	s_or_b64 exec, exec, s[48:49]
	s_and_saveexec_b64 s[48:49], s[46:47]
	s_cbranch_execz .LBB285_33
.LBB285_32:                             ;   in Loop: Header=BB285_14 Depth=1
	v_bfe_u32 v33, v14, 24, 3
	v_ffbh_u32_e32 v34, v33
	v_min_u32_e32 v36, 32, v34
	v_subrev_u32_e32 v34, 28, v36
	v_bfe_u32 v14, v14, 27, 4
	v_lshlrev_b64 v[34:35], v34, v[4:5]
	v_sub_u32_e32 v35, 29, v36
	v_cmp_eq_u32_e64 s[0:1], 0, v14
	v_and_b32_e32 v34, 7, v34
	v_lshlrev_b32_e32 v4, 8, v4
	v_cndmask_b32_e64 v14, v14, v35, s[0:1]
	v_lshl_add_u32 v14, v14, 10, v26
	v_cndmask_b32_e64 v33, v33, v34, s[0:1]
	v_and_or_b32 v4, v4, s62, v14
	v_lshl_or_b32 v4, v33, 7, v4
	v_cvt_f32_f16_e32 v33, v4
.LBB285_33:                             ;   in Loop: Header=BB285_14 Depth=1
	s_or_b64 exec, exec, s[48:49]
	global_load_dword v14, v[12:13], off offset:8
	s_mov_b64 s[0:1], 0
                                        ; implicit-def: $sgpr50
	s_waitcnt vmcnt(0)
	v_cmp_gt_i16_sdwa s[46:47], v14, s60 src0_sel:BYTE_0 src1_sel:DWORD
	s_and_saveexec_b64 s[48:49], s[46:47]
	s_xor_b64 s[46:47], exec, s[48:49]
	s_cbranch_execnz .LBB285_99
; %bb.34:                               ;   in Loop: Header=BB285_14 Depth=1
	s_or_saveexec_b64 s[46:47], s[46:47]
	v_mov_b32_e32 v34, s50
	s_xor_b64 exec, exec, s[46:47]
	s_cbranch_execnz .LBB285_102
.LBB285_35:                             ;   in Loop: Header=BB285_14 Depth=1
	s_or_b64 exec, exec, s[46:47]
	s_and_saveexec_b64 s[46:47], s[0:1]
	s_cbranch_execz .LBB285_37
.LBB285_36:                             ;   in Loop: Header=BB285_14 Depth=1
	v_and_b32_e32 v4, 7, v14
	v_ffbh_u32_e32 v34, v4
	v_min_u32_e32 v37, 32, v34
	v_subrev_u32_e32 v34, 28, v37
	v_bfe_u32 v36, v14, 3, 4
	v_lshlrev_b64 v[34:35], v34, v[14:15]
	v_sub_u32_e32 v35, 29, v37
	v_cmp_eq_u32_e64 s[0:1], 0, v36
	v_and_b32_e32 v34, 7, v34
	s_nop 0
	v_cndmask_b32_e64 v35, v36, v35, s[0:1]
	v_cndmask_b32_e64 v4, v4, v34, s[0:1]
	v_lshlrev_b32_e32 v34, 8, v14
	v_lshl_add_u32 v35, v35, 10, v26
	v_and_or_b32 v34, v34, s62, v35
	v_lshl_or_b32 v4, v4, 7, v34
	v_cvt_f32_f16_e32 v34, v4
.LBB285_37:                             ;   in Loop: Header=BB285_14 Depth=1
	s_or_b64 exec, exec, s[46:47]
	v_lshrrev_b16_e32 v4, 8, v14
	v_cmp_lt_i16_e64 s[0:1], s60, v4
	s_mov_b64 s[46:47], 0
                                        ; implicit-def: $sgpr63
	s_and_saveexec_b64 s[48:49], s[0:1]
	s_xor_b64 s[48:49], exec, s[48:49]
	s_cbranch_execnz .LBB285_103
; %bb.38:                               ;   in Loop: Header=BB285_14 Depth=1
	s_or_saveexec_b64 s[48:49], s[48:49]
	v_mov_b32_e32 v35, s63
	s_xor_b64 exec, exec, s[48:49]
	s_cbranch_execnz .LBB285_106
.LBB285_39:                             ;   in Loop: Header=BB285_14 Depth=1
	s_or_b64 exec, exec, s[48:49]
	s_and_saveexec_b64 s[48:49], s[46:47]
	s_cbranch_execz .LBB285_41
.LBB285_40:                             ;   in Loop: Header=BB285_14 Depth=1
	v_and_b32_e32 v35, 7, v4
	v_ffbh_u32_e32 v36, v35
	v_min_u32_e32 v39, 32, v36
	v_subrev_u32_e32 v36, 28, v39
	v_bfe_u32 v38, v4, 3, 4
	v_lshlrev_b64 v[36:37], v36, v[4:5]
	v_sub_u32_e32 v37, 29, v39
	v_cmp_eq_u32_e64 s[0:1], 0, v38
	v_and_b32_e32 v36, 7, v36
	v_lshlrev_b32_e32 v4, 8, v4
	v_cndmask_b32_e64 v37, v38, v37, s[0:1]
	v_cndmask_b32_e64 v35, v35, v36, s[0:1]
	v_lshl_add_u32 v36, v37, 10, v26
	v_and_or_b32 v4, v4, s62, v36
	v_lshl_or_b32 v4, v35, 7, v4
	v_cvt_f32_f16_e32 v35, v4
.LBB285_41:                             ;   in Loop: Header=BB285_14 Depth=1
	s_or_b64 exec, exec, s[48:49]
	v_lshrrev_b32_e32 v4, 16, v14
	v_cmp_gt_i16_sdwa s[46:47], v4, s60 src0_sel:BYTE_0 src1_sel:DWORD
	s_mov_b64 s[0:1], 0
                                        ; implicit-def: $sgpr50
	s_and_saveexec_b64 s[48:49], s[46:47]
	s_xor_b64 s[46:47], exec, s[48:49]
	s_cbranch_execnz .LBB285_107
; %bb.42:                               ;   in Loop: Header=BB285_14 Depth=1
	s_or_saveexec_b64 s[46:47], s[46:47]
	v_mov_b32_e32 v36, s50
	s_xor_b64 exec, exec, s[46:47]
	s_cbranch_execnz .LBB285_110
.LBB285_43:                             ;   in Loop: Header=BB285_14 Depth=1
	s_or_b64 exec, exec, s[46:47]
	s_and_saveexec_b64 s[46:47], s[0:1]
	s_cbranch_execz .LBB285_45
.LBB285_44:                             ;   in Loop: Header=BB285_14 Depth=1
	v_bfe_u32 v38, v14, 16, 3
	v_ffbh_u32_e32 v36, v38
	v_min_u32_e32 v40, 32, v36
	v_subrev_u32_e32 v36, 28, v40
	v_bfe_u32 v39, v14, 19, 4
	v_lshlrev_b64 v[36:37], v36, v[4:5]
	v_sub_u32_e32 v37, 29, v40
	v_cmp_eq_u32_e64 s[0:1], 0, v39
	v_and_b32_e32 v36, 7, v36
	v_lshlrev_b32_e32 v4, 8, v4
	v_cndmask_b32_e64 v37, v39, v37, s[0:1]
	v_lshl_add_u32 v37, v37, 10, v26
	v_cndmask_b32_e64 v36, v38, v36, s[0:1]
	v_and_or_b32 v4, v4, s62, v37
	v_lshl_or_b32 v4, v36, 7, v4
	v_cvt_f32_f16_e32 v36, v4
.LBB285_45:                             ;   in Loop: Header=BB285_14 Depth=1
	s_or_b64 exec, exec, s[46:47]
	v_lshrrev_b32_e32 v4, 24, v14
	v_cmp_lt_i16_e64 s[0:1], s60, v4
	s_mov_b64 s[46:47], 0
                                        ; implicit-def: $sgpr63
	s_and_saveexec_b64 s[48:49], s[0:1]
	s_xor_b64 s[48:49], exec, s[48:49]
	s_cbranch_execnz .LBB285_111
; %bb.46:                               ;   in Loop: Header=BB285_14 Depth=1
	s_or_saveexec_b64 s[48:49], s[48:49]
	v_mov_b32_e32 v37, s63
	s_xor_b64 exec, exec, s[48:49]
	s_cbranch_execnz .LBB285_114
.LBB285_47:                             ;   in Loop: Header=BB285_14 Depth=1
	s_or_b64 exec, exec, s[48:49]
	s_and_saveexec_b64 s[48:49], s[46:47]
	s_cbranch_execz .LBB285_49
.LBB285_48:                             ;   in Loop: Header=BB285_14 Depth=1
	v_bfe_u32 v37, v14, 24, 3
	v_ffbh_u32_e32 v38, v37
	v_min_u32_e32 v40, 32, v38
	v_subrev_u32_e32 v38, 28, v40
	v_bfe_u32 v14, v14, 27, 4
	v_lshlrev_b64 v[38:39], v38, v[4:5]
	v_sub_u32_e32 v39, 29, v40
	v_cmp_eq_u32_e64 s[0:1], 0, v14
	v_and_b32_e32 v38, 7, v38
	v_lshlrev_b32_e32 v4, 8, v4
	v_cndmask_b32_e64 v14, v14, v39, s[0:1]
	v_lshl_add_u32 v14, v14, 10, v26
	v_cndmask_b32_e64 v37, v37, v38, s[0:1]
	v_and_or_b32 v4, v4, s62, v14
	v_lshl_or_b32 v4, v37, 7, v4
	v_cvt_f32_f16_e32 v37, v4
.LBB285_49:                             ;   in Loop: Header=BB285_14 Depth=1
	s_or_b64 exec, exec, s[48:49]
	global_load_dword v14, v[12:13], off offset:512
	s_mov_b64 s[0:1], 0
                                        ; implicit-def: $sgpr50
	s_waitcnt vmcnt(0)
	v_cmp_gt_i16_sdwa s[46:47], v14, s60 src0_sel:BYTE_0 src1_sel:DWORD
	s_and_saveexec_b64 s[48:49], s[46:47]
	s_xor_b64 s[46:47], exec, s[48:49]
	s_cbranch_execnz .LBB285_115
; %bb.50:                               ;   in Loop: Header=BB285_14 Depth=1
	s_or_saveexec_b64 s[46:47], s[46:47]
	v_mov_b32_e32 v38, s50
	s_xor_b64 exec, exec, s[46:47]
	s_cbranch_execnz .LBB285_118
.LBB285_51:                             ;   in Loop: Header=BB285_14 Depth=1
	s_or_b64 exec, exec, s[46:47]
	s_and_saveexec_b64 s[46:47], s[0:1]
	s_cbranch_execz .LBB285_53
.LBB285_52:                             ;   in Loop: Header=BB285_14 Depth=1
	v_and_b32_e32 v4, 7, v14
	v_ffbh_u32_e32 v38, v4
	v_min_u32_e32 v41, 32, v38
	v_subrev_u32_e32 v38, 28, v41
	v_bfe_u32 v40, v14, 3, 4
	v_lshlrev_b64 v[38:39], v38, v[14:15]
	v_sub_u32_e32 v39, 29, v41
	v_cmp_eq_u32_e64 s[0:1], 0, v40
	v_and_b32_e32 v38, 7, v38
	s_nop 0
	v_cndmask_b32_e64 v39, v40, v39, s[0:1]
	v_cndmask_b32_e64 v4, v4, v38, s[0:1]
	v_lshlrev_b32_e32 v38, 8, v14
	v_lshl_add_u32 v39, v39, 10, v26
	v_and_or_b32 v38, v38, s62, v39
	v_lshl_or_b32 v4, v4, 7, v38
	v_cvt_f32_f16_e32 v38, v4
.LBB285_53:                             ;   in Loop: Header=BB285_14 Depth=1
	s_or_b64 exec, exec, s[46:47]
	v_lshrrev_b16_e32 v4, 8, v14
	v_cmp_lt_i16_e64 s[0:1], s60, v4
	s_mov_b64 s[46:47], 0
                                        ; implicit-def: $sgpr63
	s_and_saveexec_b64 s[48:49], s[0:1]
	s_xor_b64 s[48:49], exec, s[48:49]
	s_cbranch_execnz .LBB285_119
; %bb.54:                               ;   in Loop: Header=BB285_14 Depth=1
	s_or_saveexec_b64 s[48:49], s[48:49]
	v_mov_b32_e32 v39, s63
	s_xor_b64 exec, exec, s[48:49]
	s_cbranch_execnz .LBB285_122
.LBB285_55:                             ;   in Loop: Header=BB285_14 Depth=1
	s_or_b64 exec, exec, s[48:49]
	s_and_saveexec_b64 s[48:49], s[46:47]
	s_cbranch_execz .LBB285_57
.LBB285_56:                             ;   in Loop: Header=BB285_14 Depth=1
	v_and_b32_e32 v39, 7, v4
	v_ffbh_u32_e32 v40, v39
	v_min_u32_e32 v43, 32, v40
	v_subrev_u32_e32 v40, 28, v43
	v_bfe_u32 v42, v4, 3, 4
	v_lshlrev_b64 v[40:41], v40, v[4:5]
	v_sub_u32_e32 v41, 29, v43
	v_cmp_eq_u32_e64 s[0:1], 0, v42
	v_and_b32_e32 v40, 7, v40
	v_lshlrev_b32_e32 v4, 8, v4
	v_cndmask_b32_e64 v41, v42, v41, s[0:1]
	v_cndmask_b32_e64 v39, v39, v40, s[0:1]
	v_lshl_add_u32 v40, v41, 10, v26
	v_and_or_b32 v4, v4, s62, v40
	v_lshl_or_b32 v4, v39, 7, v4
	v_cvt_f32_f16_e32 v39, v4
.LBB285_57:                             ;   in Loop: Header=BB285_14 Depth=1
	s_or_b64 exec, exec, s[48:49]
	v_lshrrev_b32_e32 v4, 16, v14
	v_cmp_gt_i16_sdwa s[46:47], v4, s60 src0_sel:BYTE_0 src1_sel:DWORD
	s_mov_b64 s[0:1], 0
                                        ; implicit-def: $sgpr50
	s_and_saveexec_b64 s[48:49], s[46:47]
	s_xor_b64 s[46:47], exec, s[48:49]
	s_cbranch_execnz .LBB285_123
; %bb.58:                               ;   in Loop: Header=BB285_14 Depth=1
	s_or_saveexec_b64 s[46:47], s[46:47]
	v_mov_b32_e32 v40, s50
	s_xor_b64 exec, exec, s[46:47]
	s_cbranch_execnz .LBB285_126
.LBB285_59:                             ;   in Loop: Header=BB285_14 Depth=1
	s_or_b64 exec, exec, s[46:47]
	s_and_saveexec_b64 s[46:47], s[0:1]
	s_cbranch_execz .LBB285_61
.LBB285_60:                             ;   in Loop: Header=BB285_14 Depth=1
	v_bfe_u32 v42, v14, 16, 3
	v_ffbh_u32_e32 v40, v42
	v_min_u32_e32 v44, 32, v40
	v_subrev_u32_e32 v40, 28, v44
	v_bfe_u32 v43, v14, 19, 4
	v_lshlrev_b64 v[40:41], v40, v[4:5]
	v_sub_u32_e32 v41, 29, v44
	v_cmp_eq_u32_e64 s[0:1], 0, v43
	v_and_b32_e32 v40, 7, v40
	v_lshlrev_b32_e32 v4, 8, v4
	v_cndmask_b32_e64 v41, v43, v41, s[0:1]
	v_lshl_add_u32 v41, v41, 10, v26
	v_cndmask_b32_e64 v40, v42, v40, s[0:1]
	v_and_or_b32 v4, v4, s62, v41
	v_lshl_or_b32 v4, v40, 7, v4
	v_cvt_f32_f16_e32 v40, v4
.LBB285_61:                             ;   in Loop: Header=BB285_14 Depth=1
	s_or_b64 exec, exec, s[46:47]
	v_lshrrev_b32_e32 v4, 24, v14
	v_cmp_lt_i16_e64 s[0:1], s60, v4
	s_mov_b64 s[46:47], 0
                                        ; implicit-def: $sgpr63
	s_and_saveexec_b64 s[48:49], s[0:1]
	s_xor_b64 s[48:49], exec, s[48:49]
	s_cbranch_execnz .LBB285_127
; %bb.62:                               ;   in Loop: Header=BB285_14 Depth=1
	s_or_saveexec_b64 s[48:49], s[48:49]
	v_mov_b32_e32 v41, s63
	s_xor_b64 exec, exec, s[48:49]
	s_cbranch_execnz .LBB285_130
.LBB285_63:                             ;   in Loop: Header=BB285_14 Depth=1
	s_or_b64 exec, exec, s[48:49]
	s_and_saveexec_b64 s[48:49], s[46:47]
	s_cbranch_execz .LBB285_65
.LBB285_64:                             ;   in Loop: Header=BB285_14 Depth=1
	v_bfe_u32 v41, v14, 24, 3
	v_ffbh_u32_e32 v42, v41
	v_min_u32_e32 v44, 32, v42
	v_subrev_u32_e32 v42, 28, v44
	v_bfe_u32 v14, v14, 27, 4
	v_lshlrev_b64 v[42:43], v42, v[4:5]
	v_sub_u32_e32 v43, 29, v44
	v_cmp_eq_u32_e64 s[0:1], 0, v14
	v_and_b32_e32 v42, 7, v42
	v_lshlrev_b32_e32 v4, 8, v4
	v_cndmask_b32_e64 v14, v14, v43, s[0:1]
	v_lshl_add_u32 v14, v14, 10, v26
	v_cndmask_b32_e64 v41, v41, v42, s[0:1]
	v_and_or_b32 v4, v4, s62, v14
	v_lshl_or_b32 v4, v41, 7, v4
	v_cvt_f32_f16_e32 v41, v4
.LBB285_65:                             ;   in Loop: Header=BB285_14 Depth=1
	s_or_b64 exec, exec, s[48:49]
	global_load_dword v12, v[12:13], off offset:520
	s_mov_b64 s[0:1], 0
                                        ; implicit-def: $sgpr50
	s_waitcnt vmcnt(0)
	v_cmp_gt_i16_sdwa s[46:47], v12, s60 src0_sel:BYTE_0 src1_sel:DWORD
	s_and_saveexec_b64 s[48:49], s[46:47]
	s_xor_b64 s[46:47], exec, s[48:49]
	s_cbranch_execnz .LBB285_131
; %bb.66:                               ;   in Loop: Header=BB285_14 Depth=1
	s_or_saveexec_b64 s[46:47], s[46:47]
	v_mov_b32_e32 v13, s50
	s_xor_b64 exec, exec, s[46:47]
	s_cbranch_execnz .LBB285_134
.LBB285_67:                             ;   in Loop: Header=BB285_14 Depth=1
	s_or_b64 exec, exec, s[46:47]
	s_and_saveexec_b64 s[46:47], s[0:1]
	s_cbranch_execz .LBB285_69
.LBB285_68:                             ;   in Loop: Header=BB285_14 Depth=1
	v_and_b32_e32 v4, 7, v12
	v_ffbh_u32_e32 v14, v4
	v_bfe_u32 v13, v12, 3, 4
	v_min_u32_e32 v14, 32, v14
	v_subrev_u32_e32 v42, 28, v14
	v_sub_u32_e32 v14, 29, v14
	v_cmp_eq_u32_e64 s[0:1], 0, v13
	v_lshlrev_b64 v[42:43], v42, v[12:13]
	v_and_b32_e32 v42, 7, v42
	v_cndmask_b32_e64 v13, v13, v14, s[0:1]
	v_lshlrev_b32_e32 v14, 8, v12
	v_lshl_add_u32 v13, v13, 10, v26
	v_cndmask_b32_e64 v4, v4, v42, s[0:1]
	v_and_or_b32 v13, v14, s62, v13
	v_lshl_or_b32 v4, v4, 7, v13
	v_cvt_f32_f16_e32 v13, v4
.LBB285_69:                             ;   in Loop: Header=BB285_14 Depth=1
	s_or_b64 exec, exec, s[46:47]
	v_lshrrev_b16_e32 v4, 8, v12
	v_cmp_lt_i16_e64 s[0:1], s60, v4
	s_mov_b64 s[46:47], 0
                                        ; implicit-def: $sgpr63
	s_and_saveexec_b64 s[48:49], s[0:1]
	s_xor_b64 s[48:49], exec, s[48:49]
	s_cbranch_execnz .LBB285_135
; %bb.70:                               ;   in Loop: Header=BB285_14 Depth=1
	s_or_saveexec_b64 s[48:49], s[48:49]
	v_mov_b32_e32 v14, s63
	s_xor_b64 exec, exec, s[48:49]
	s_cbranch_execnz .LBB285_138
.LBB285_71:                             ;   in Loop: Header=BB285_14 Depth=1
	s_or_b64 exec, exec, s[48:49]
	s_and_saveexec_b64 s[48:49], s[46:47]
	s_cbranch_execz .LBB285_73
.LBB285_72:                             ;   in Loop: Header=BB285_14 Depth=1
	v_and_b32_e32 v14, 7, v4
	v_ffbh_u32_e32 v42, v14
	v_min_u32_e32 v45, 32, v42
	v_subrev_u32_e32 v42, 28, v45
	v_bfe_u32 v44, v4, 3, 4
	v_lshlrev_b64 v[42:43], v42, v[4:5]
	v_sub_u32_e32 v43, 29, v45
	v_cmp_eq_u32_e64 s[0:1], 0, v44
	v_and_b32_e32 v42, 7, v42
	v_lshlrev_b32_e32 v4, 8, v4
	v_cndmask_b32_e64 v43, v44, v43, s[0:1]
	v_cndmask_b32_e64 v14, v14, v42, s[0:1]
	v_lshl_add_u32 v42, v43, 10, v26
	v_and_or_b32 v4, v4, s62, v42
	v_lshl_or_b32 v4, v14, 7, v4
	v_cvt_f32_f16_e32 v14, v4
.LBB285_73:                             ;   in Loop: Header=BB285_14 Depth=1
	s_or_b64 exec, exec, s[48:49]
	v_lshrrev_b32_e32 v4, 16, v12
	v_cmp_gt_i16_sdwa s[46:47], v4, s60 src0_sel:BYTE_0 src1_sel:DWORD
	s_mov_b64 s[0:1], 0
                                        ; implicit-def: $sgpr50
	s_and_saveexec_b64 s[48:49], s[46:47]
	s_xor_b64 s[46:47], exec, s[48:49]
	s_cbranch_execnz .LBB285_139
; %bb.74:                               ;   in Loop: Header=BB285_14 Depth=1
	s_or_saveexec_b64 s[46:47], s[46:47]
	v_mov_b32_e32 v42, s50
	s_xor_b64 exec, exec, s[46:47]
	s_cbranch_execnz .LBB285_142
.LBB285_75:                             ;   in Loop: Header=BB285_14 Depth=1
	s_or_b64 exec, exec, s[46:47]
	s_and_saveexec_b64 s[46:47], s[0:1]
	s_cbranch_execz .LBB285_77
.LBB285_76:                             ;   in Loop: Header=BB285_14 Depth=1
	v_bfe_u32 v44, v12, 16, 3
	v_ffbh_u32_e32 v42, v44
	v_min_u32_e32 v46, 32, v42
	v_subrev_u32_e32 v42, 28, v46
	v_bfe_u32 v45, v12, 19, 4
	v_lshlrev_b64 v[42:43], v42, v[4:5]
	v_sub_u32_e32 v43, 29, v46
	v_cmp_eq_u32_e64 s[0:1], 0, v45
	v_and_b32_e32 v42, 7, v42
	v_lshlrev_b32_e32 v4, 8, v4
	v_cndmask_b32_e64 v43, v45, v43, s[0:1]
	v_lshl_add_u32 v43, v43, 10, v26
	v_cndmask_b32_e64 v42, v44, v42, s[0:1]
	v_and_or_b32 v4, v4, s62, v43
	v_lshl_or_b32 v4, v42, 7, v4
	v_cvt_f32_f16_e32 v42, v4
.LBB285_77:                             ;   in Loop: Header=BB285_14 Depth=1
	s_or_b64 exec, exec, s[46:47]
	v_lshrrev_b32_e32 v4, 24, v12
	v_cmp_lt_i16_e64 s[0:1], s60, v4
	s_mov_b64 s[46:47], 0
                                        ; implicit-def: $sgpr63
	s_and_saveexec_b64 s[48:49], s[0:1]
	s_xor_b64 s[48:49], exec, s[48:49]
	s_cbranch_execnz .LBB285_143
; %bb.78:                               ;   in Loop: Header=BB285_14 Depth=1
	s_or_saveexec_b64 s[48:49], s[48:49]
	v_mov_b32_e32 v43, s63
	s_xor_b64 exec, exec, s[48:49]
	s_cbranch_execnz .LBB285_146
.LBB285_79:                             ;   in Loop: Header=BB285_14 Depth=1
	s_or_b64 exec, exec, s[48:49]
	s_and_saveexec_b64 s[48:49], s[46:47]
	s_cbranch_execz .LBB285_81
.LBB285_80:                             ;   in Loop: Header=BB285_14 Depth=1
	v_bfe_u32 v43, v12, 24, 3
	v_ffbh_u32_e32 v44, v43
	v_min_u32_e32 v46, 32, v44
	v_subrev_u32_e32 v44, 28, v46
	v_bfe_u32 v12, v12, 27, 4
	v_lshlrev_b64 v[44:45], v44, v[4:5]
	v_sub_u32_e32 v45, 29, v46
	v_cmp_eq_u32_e64 s[0:1], 0, v12
	v_and_b32_e32 v44, 7, v44
	v_lshlrev_b32_e32 v4, 8, v4
	v_cndmask_b32_e64 v12, v12, v45, s[0:1]
	v_lshl_add_u32 v12, v12, 10, v26
	v_cndmask_b32_e64 v43, v43, v44, s[0:1]
	v_and_or_b32 v4, v4, s62, v12
	v_lshl_or_b32 v4, v43, 7, v4
	v_cvt_f32_f16_e32 v43, v4
.LBB285_81:                             ;   in Loop: Header=BB285_14 Depth=1
	s_or_b64 exec, exec, s[48:49]
	v_fma_mixlo_f16 v4, v29, v39, 0
	v_fma_mixlo_f16 v39, v29, v40, 0
	;; [unrolled: 1-line block ×5, first 2 shown]
	ds_read_b64 v[34:35], v19
	v_fma_mixlo_f16 v30, v29, v30, 0
	v_fma_mixlo_f16 v31, v29, v31, 0
	v_and_b32_e32 v30, 0xffff, v30
	v_fma_mixlo_f16 v32, v29, v32, 0
	s_waitcnt lgkmcnt(0)
	v_lshrrev_b32_e32 v44, 16, v34
	v_and_b32_e32 v34, 0xffff, v34
	;;#ASMSTART
	v_cvt_f32_f16 v34, v34;
	;;#ASMEND
	;;#ASMSTART
	v_cvt_f32_f16 v44, v44;
	;;#ASMEND
	;; [unrolled: 3-line block ×3, first 2 shown]
	v_and_b32_e32 v30, 0xffff, v31
	;;#ASMSTART
	v_cvt_f32_f16 v46, v30;
	;;#ASMEND
	v_lshrrev_b32_e32 v30, 16, v35
	v_fma_mixlo_f16 v33, v29, v33, 0
	v_and_b32_e32 v31, 0xffff, v35
	;;#ASMSTART
	v_cvt_f32_f16 v35, v31;
	;;#ASMEND
	;;#ASMSTART
	v_cvt_f32_f16 v47, v30;
	;;#ASMEND
	v_and_b32_e32 v30, 0xffff, v32
	;;#ASMSTART
	v_cvt_f32_f16 v32, v30;
	;;#ASMEND
	v_and_b32_e32 v30, 0xffff, v33
	;;#ASMSTART
	v_cvt_f32_f16 v33, v30;
	;;#ASMEND
	ds_read_b64 v[30:31], v19 offset:8
	v_fma_mixlo_f16 v48, v29, v13, 0
	v_and_b32_e32 v41, 0xffff, v41
	v_and_b32_e32 v12, 0xffff, v12
	v_fma_mixlo_f16 v36, v29, v36, 0
	s_waitcnt lgkmcnt(0)
	v_lshrrev_b32_e32 v13, 16, v30
	v_and_b32_e32 v30, 0xffff, v30
	;;#ASMSTART
	v_cvt_f32_f16 v30, v30;
	;;#ASMEND
	;;#ASMSTART
	v_cvt_f32_f16 v13, v13;
	;;#ASMEND
	;; [unrolled: 3-line block ×4, first 2 shown]
	v_fma_mixlo_f16 v37, v29, v37, 0
	v_mul_f32_e32 v30, v30, v41
	v_fmac_f32_e32 v30, v34, v45
	v_mul_f32_e32 v34, v13, v12
	v_lshrrev_b32_e32 v12, 16, v31
	v_and_b32_e32 v13, 0xffff, v31
	;;#ASMSTART
	v_cvt_f32_f16 v31, v13;
	;;#ASMEND
	;;#ASMSTART
	v_cvt_f32_f16 v41, v12;
	;;#ASMEND
	v_and_b32_e32 v12, 0xffff, v36
	;;#ASMSTART
	v_cvt_f32_f16 v36, v12;
	;;#ASMEND
	v_and_b32_e32 v12, 0xffff, v37
	;;#ASMSTART
	v_cvt_f32_f16 v37, v12;
	;;#ASMEND
	ds_read_b64 v[12:13], v19 offset:16
	v_mul_f32_e32 v31, v31, v36
	v_fmac_f32_e32 v31, v35, v32
	v_mul_f32_e32 v32, v41, v37
	v_fma_mixlo_f16 v38, v29, v38, 0
	v_fmac_f32_e32 v32, v47, v33
	s_waitcnt lgkmcnt(0)
	v_lshrrev_b32_e32 v33, 16, v12
	v_and_b32_e32 v12, 0xffff, v12
	;;#ASMSTART
	v_cvt_f32_f16 v35, v12;
	;;#ASMEND
	v_and_b32_e32 v12, 0xffff, v38
	;;#ASMSTART
	v_cvt_f32_f16 v33, v33;
	;;#ASMEND
	;;#ASMSTART
	v_cvt_f32_f16 v36, v12;
	;;#ASMEND
	v_and_b32_e32 v4, 0xffff, v4
	v_lshrrev_b32_e32 v12, 16, v13
	;;#ASMSTART
	v_cvt_f32_f16 v4, v4;
	;;#ASMEND
	v_and_b32_e32 v13, 0xffff, v13
	;;#ASMSTART
	v_cvt_f32_f16 v37, v13;
	;;#ASMEND
	;;#ASMSTART
	v_cvt_f32_f16 v38, v12;
	;;#ASMEND
	v_and_b32_e32 v12, 0xffff, v39
	;;#ASMSTART
	v_cvt_f32_f16 v39, v12;
	;;#ASMEND
	v_and_b32_e32 v12, 0xffff, v40
	;;#ASMSTART
	v_cvt_f32_f16 v40, v12;
	;;#ASMEND
	ds_read_b64 v[12:13], v19 offset:24
	v_fmac_f32_e32 v34, v44, v46
	v_fma_mixlo_f16 v14, v29, v14, 0
	v_fmac_f32_e32 v34, v33, v4
	v_fma_mixlo_f16 v42, v29, v42, 0
	s_waitcnt lgkmcnt(0)
	v_lshrrev_b32_e32 v4, 16, v12
	v_and_b32_e32 v12, 0xffff, v12
	v_fmac_f32_e32 v30, v35, v36
	;;#ASMSTART
	v_cvt_f32_f16 v12, v12;
	;;#ASMEND
	;;#ASMSTART
	v_cvt_f32_f16 v4, v4;
	;;#ASMEND
	v_and_b32_e32 v33, 0xffff, v48
	v_and_b32_e32 v14, 0xffff, v14
	;;#ASMSTART
	v_cvt_f32_f16 v33, v33;
	;;#ASMEND
	;;#ASMSTART
	v_cvt_f32_f16 v14, v14;
	;;#ASMEND
	v_fmac_f32_e32 v31, v37, v39
	v_fmac_f32_e32 v30, v12, v33
	;; [unrolled: 1-line block ×3, first 2 shown]
	v_lshrrev_b32_e32 v4, 16, v13
	v_and_b32_e32 v12, 0xffff, v13
	v_and_b32_e32 v13, 0xffff, v42
	;;#ASMSTART
	v_cvt_f32_f16 v12, v12;
	;;#ASMEND
	;;#ASMSTART
	v_cvt_f32_f16 v4, v4;
	;;#ASMEND
	;; [unrolled: 3-line block ×3, first 2 shown]
	v_fma_mixlo_f16 v29, v29, v43, 0
	v_fmac_f32_e32 v31, v12, v13
	v_and_b32_e32 v13, 64, v27
	v_fmac_f32_e32 v32, v38, v40
	v_and_b32_e32 v14, 0xffff, v29
	v_xor_b32_e32 v12, 1, v27
	v_add_u32_e32 v13, 64, v13
	;;#ASMSTART
	v_cvt_f32_f16 v14, v14;
	;;#ASMEND
	v_cmp_lt_i32_e64 s[0:1], v12, v13
	v_fmac_f32_e32 v32, v4, v14
	v_add_f32_e32 v4, v30, v34
	v_add_f32_e32 v4, v4, v31
	v_cndmask_b32_e64 v12, v27, v12, s[0:1]
	v_add_f32_e32 v4, v32, v4
	v_lshlrev_b32_e32 v12, 2, v12
	ds_bpermute_b32 v12, v12, v4
	s_and_saveexec_b64 s[46:47], vcc
	s_cbranch_execz .LBB285_12
; %bb.82:                               ;   in Loop: Header=BB285_14 Depth=1
	v_add_u32_e32 v13, v24, v22
	v_cvt_f32_i32_e32 v13, v13
	s_waitcnt lgkmcnt(0)
	v_add_f32_e32 v4, v4, v12
	v_add_u32_e32 v14, v18, v22
	v_cmp_gt_i32_e64 s[0:1], s33, v14
	v_mul_f32_e32 v12, s3, v13
	v_cndmask_b32_e64 v12, 0, v12, s[6:7]
	v_fmac_f32_e32 v12, s43, v4
	v_cndmask_b32_e64 v4, 0, v12, s[0:1]
	ds_write_b32 v23, v4
	v_max_f32_e32 v4, v20, v20
	v_max_f32_e32 v4, v4, v12
	v_cndmask_b32_e64 v20, v20, v4, s[0:1]
	s_branch .LBB285_12
.LBB285_83:                             ;   in Loop: Header=BB285_14 Depth=1
	v_cmp_eq_u16_sdwa s[64:65], v14, s61 src0_sel:BYTE_0 src1_sel:DWORD
	s_mov_b64 s[0:1], -1
                                        ; implicit-def: $sgpr50
	s_and_saveexec_b64 s[48:49], s[64:65]
; %bb.84:                               ;   in Loop: Header=BB285_14 Depth=1
	s_mov_b32 s50, 0x7fc02000
	s_xor_b64 s[0:1], exec, -1
; %bb.85:                               ;   in Loop: Header=BB285_14 Depth=1
	s_or_b64 exec, exec, s[48:49]
	s_and_b64 s[0:1], s[0:1], exec
	s_or_saveexec_b64 s[46:47], s[46:47]
	v_mov_b32_e32 v30, s50
	s_xor_b64 exec, exec, s[46:47]
	s_cbranch_execz .LBB285_19
.LBB285_86:                             ;   in Loop: Header=BB285_14 Depth=1
	v_cmp_ne_u16_sdwa s[48:49], v14, v5 src0_sel:BYTE_0 src1_sel:DWORD
	s_andn2_b64 s[0:1], s[0:1], exec
	s_and_b64 s[48:49], s[48:49], exec
	v_mov_b32_e32 v30, 0
	s_or_b64 s[0:1], s[0:1], s[48:49]
	s_or_b64 exec, exec, s[46:47]
	s_and_saveexec_b64 s[46:47], s[0:1]
	s_cbranch_execnz .LBB285_20
	s_branch .LBB285_21
.LBB285_87:                             ;   in Loop: Header=BB285_14 Depth=1
	v_cmp_eq_u16_e64 s[0:1], s61, v4
	s_mov_b64 s[46:47], -1
                                        ; implicit-def: $sgpr63
	s_and_saveexec_b64 s[50:51], s[0:1]
; %bb.88:                               ;   in Loop: Header=BB285_14 Depth=1
	s_mov_b32 s63, 0x7fc02000
	s_xor_b64 s[46:47], exec, -1
; %bb.89:                               ;   in Loop: Header=BB285_14 Depth=1
	s_or_b64 exec, exec, s[50:51]
	s_and_b64 s[46:47], s[46:47], exec
	s_or_saveexec_b64 s[48:49], s[48:49]
	v_mov_b32_e32 v31, s63
	s_xor_b64 exec, exec, s[48:49]
	s_cbranch_execz .LBB285_23
.LBB285_90:                             ;   in Loop: Header=BB285_14 Depth=1
	v_cmp_ne_u16_e64 s[0:1], 0, v4
	s_andn2_b64 s[46:47], s[46:47], exec
	s_and_b64 s[0:1], s[0:1], exec
	v_mov_b32_e32 v31, 0
	s_or_b64 s[46:47], s[46:47], s[0:1]
	s_or_b64 exec, exec, s[48:49]
	s_and_saveexec_b64 s[48:49], s[46:47]
	s_cbranch_execnz .LBB285_24
	s_branch .LBB285_25
.LBB285_91:                             ;   in Loop: Header=BB285_14 Depth=1
	v_cmp_eq_u16_sdwa s[64:65], v4, s61 src0_sel:BYTE_0 src1_sel:DWORD
	s_mov_b64 s[0:1], -1
                                        ; implicit-def: $sgpr50
	s_and_saveexec_b64 s[48:49], s[64:65]
; %bb.92:                               ;   in Loop: Header=BB285_14 Depth=1
	s_mov_b32 s50, 0x7fc02000
	s_xor_b64 s[0:1], exec, -1
; %bb.93:                               ;   in Loop: Header=BB285_14 Depth=1
	s_or_b64 exec, exec, s[48:49]
	s_and_b64 s[0:1], s[0:1], exec
	s_or_saveexec_b64 s[46:47], s[46:47]
	v_mov_b32_e32 v32, s50
	s_xor_b64 exec, exec, s[46:47]
	s_cbranch_execz .LBB285_27
.LBB285_94:                             ;   in Loop: Header=BB285_14 Depth=1
	v_cmp_ne_u16_sdwa s[48:49], v4, v5 src0_sel:BYTE_0 src1_sel:DWORD
	s_andn2_b64 s[0:1], s[0:1], exec
	s_and_b64 s[48:49], s[48:49], exec
	v_mov_b32_e32 v32, 0
	s_or_b64 s[0:1], s[0:1], s[48:49]
	s_or_b64 exec, exec, s[46:47]
	s_and_saveexec_b64 s[46:47], s[0:1]
	s_cbranch_execnz .LBB285_28
	s_branch .LBB285_29
.LBB285_95:                             ;   in Loop: Header=BB285_14 Depth=1
	v_cmp_eq_u16_e64 s[0:1], s61, v4
	s_mov_b64 s[46:47], -1
                                        ; implicit-def: $sgpr63
	s_and_saveexec_b64 s[50:51], s[0:1]
; %bb.96:                               ;   in Loop: Header=BB285_14 Depth=1
	s_mov_b32 s63, 0x7fc02000
	s_xor_b64 s[46:47], exec, -1
; %bb.97:                               ;   in Loop: Header=BB285_14 Depth=1
	s_or_b64 exec, exec, s[50:51]
	s_and_b64 s[46:47], s[46:47], exec
	s_or_saveexec_b64 s[48:49], s[48:49]
	v_mov_b32_e32 v33, s63
	s_xor_b64 exec, exec, s[48:49]
	s_cbranch_execz .LBB285_31
.LBB285_98:                             ;   in Loop: Header=BB285_14 Depth=1
	v_cmp_ne_u16_e64 s[0:1], 0, v4
	s_andn2_b64 s[46:47], s[46:47], exec
	s_and_b64 s[0:1], s[0:1], exec
	v_mov_b32_e32 v33, 0
	s_or_b64 s[46:47], s[46:47], s[0:1]
	s_or_b64 exec, exec, s[48:49]
	s_and_saveexec_b64 s[48:49], s[46:47]
	s_cbranch_execnz .LBB285_32
	s_branch .LBB285_33
.LBB285_99:                             ;   in Loop: Header=BB285_14 Depth=1
	v_cmp_eq_u16_sdwa s[64:65], v14, s61 src0_sel:BYTE_0 src1_sel:DWORD
	s_mov_b64 s[0:1], -1
                                        ; implicit-def: $sgpr50
	s_and_saveexec_b64 s[48:49], s[64:65]
; %bb.100:                              ;   in Loop: Header=BB285_14 Depth=1
	s_mov_b32 s50, 0x7fc02000
	s_xor_b64 s[0:1], exec, -1
; %bb.101:                              ;   in Loop: Header=BB285_14 Depth=1
	s_or_b64 exec, exec, s[48:49]
	s_and_b64 s[0:1], s[0:1], exec
	s_or_saveexec_b64 s[46:47], s[46:47]
	v_mov_b32_e32 v34, s50
	s_xor_b64 exec, exec, s[46:47]
	s_cbranch_execz .LBB285_35
.LBB285_102:                            ;   in Loop: Header=BB285_14 Depth=1
	v_cmp_ne_u16_sdwa s[48:49], v14, v5 src0_sel:BYTE_0 src1_sel:DWORD
	s_andn2_b64 s[0:1], s[0:1], exec
	s_and_b64 s[48:49], s[48:49], exec
	v_mov_b32_e32 v34, 0
	s_or_b64 s[0:1], s[0:1], s[48:49]
	s_or_b64 exec, exec, s[46:47]
	s_and_saveexec_b64 s[46:47], s[0:1]
	s_cbranch_execnz .LBB285_36
	s_branch .LBB285_37
.LBB285_103:                            ;   in Loop: Header=BB285_14 Depth=1
	v_cmp_eq_u16_e64 s[0:1], s61, v4
	s_mov_b64 s[46:47], -1
                                        ; implicit-def: $sgpr63
	s_and_saveexec_b64 s[50:51], s[0:1]
; %bb.104:                              ;   in Loop: Header=BB285_14 Depth=1
	s_mov_b32 s63, 0x7fc02000
	s_xor_b64 s[46:47], exec, -1
; %bb.105:                              ;   in Loop: Header=BB285_14 Depth=1
	s_or_b64 exec, exec, s[50:51]
	s_and_b64 s[46:47], s[46:47], exec
	s_or_saveexec_b64 s[48:49], s[48:49]
	v_mov_b32_e32 v35, s63
	s_xor_b64 exec, exec, s[48:49]
	s_cbranch_execz .LBB285_39
.LBB285_106:                            ;   in Loop: Header=BB285_14 Depth=1
	v_cmp_ne_u16_e64 s[0:1], 0, v4
	s_andn2_b64 s[46:47], s[46:47], exec
	s_and_b64 s[0:1], s[0:1], exec
	v_mov_b32_e32 v35, 0
	s_or_b64 s[46:47], s[46:47], s[0:1]
	s_or_b64 exec, exec, s[48:49]
	s_and_saveexec_b64 s[48:49], s[46:47]
	s_cbranch_execnz .LBB285_40
	s_branch .LBB285_41
.LBB285_107:                            ;   in Loop: Header=BB285_14 Depth=1
	v_cmp_eq_u16_sdwa s[64:65], v4, s61 src0_sel:BYTE_0 src1_sel:DWORD
	s_mov_b64 s[0:1], -1
                                        ; implicit-def: $sgpr50
	s_and_saveexec_b64 s[48:49], s[64:65]
; %bb.108:                              ;   in Loop: Header=BB285_14 Depth=1
	s_mov_b32 s50, 0x7fc02000
	s_xor_b64 s[0:1], exec, -1
; %bb.109:                              ;   in Loop: Header=BB285_14 Depth=1
	s_or_b64 exec, exec, s[48:49]
	s_and_b64 s[0:1], s[0:1], exec
	s_or_saveexec_b64 s[46:47], s[46:47]
	v_mov_b32_e32 v36, s50
	s_xor_b64 exec, exec, s[46:47]
	s_cbranch_execz .LBB285_43
.LBB285_110:                            ;   in Loop: Header=BB285_14 Depth=1
	v_cmp_ne_u16_sdwa s[48:49], v4, v5 src0_sel:BYTE_0 src1_sel:DWORD
	s_andn2_b64 s[0:1], s[0:1], exec
	s_and_b64 s[48:49], s[48:49], exec
	v_mov_b32_e32 v36, 0
	s_or_b64 s[0:1], s[0:1], s[48:49]
	s_or_b64 exec, exec, s[46:47]
	s_and_saveexec_b64 s[46:47], s[0:1]
	s_cbranch_execnz .LBB285_44
	s_branch .LBB285_45
.LBB285_111:                            ;   in Loop: Header=BB285_14 Depth=1
	v_cmp_eq_u16_e64 s[0:1], s61, v4
	s_mov_b64 s[46:47], -1
                                        ; implicit-def: $sgpr63
	s_and_saveexec_b64 s[50:51], s[0:1]
; %bb.112:                              ;   in Loop: Header=BB285_14 Depth=1
	s_mov_b32 s63, 0x7fc02000
	s_xor_b64 s[46:47], exec, -1
; %bb.113:                              ;   in Loop: Header=BB285_14 Depth=1
	s_or_b64 exec, exec, s[50:51]
	s_and_b64 s[46:47], s[46:47], exec
	s_or_saveexec_b64 s[48:49], s[48:49]
	v_mov_b32_e32 v37, s63
	s_xor_b64 exec, exec, s[48:49]
	s_cbranch_execz .LBB285_47
.LBB285_114:                            ;   in Loop: Header=BB285_14 Depth=1
	v_cmp_ne_u16_e64 s[0:1], 0, v4
	s_andn2_b64 s[46:47], s[46:47], exec
	s_and_b64 s[0:1], s[0:1], exec
	v_mov_b32_e32 v37, 0
	s_or_b64 s[46:47], s[46:47], s[0:1]
	s_or_b64 exec, exec, s[48:49]
	s_and_saveexec_b64 s[48:49], s[46:47]
	s_cbranch_execnz .LBB285_48
	s_branch .LBB285_49
.LBB285_115:                            ;   in Loop: Header=BB285_14 Depth=1
	v_cmp_eq_u16_sdwa s[64:65], v14, s61 src0_sel:BYTE_0 src1_sel:DWORD
	s_mov_b64 s[0:1], -1
                                        ; implicit-def: $sgpr50
	s_and_saveexec_b64 s[48:49], s[64:65]
; %bb.116:                              ;   in Loop: Header=BB285_14 Depth=1
	s_mov_b32 s50, 0x7fc02000
	s_xor_b64 s[0:1], exec, -1
; %bb.117:                              ;   in Loop: Header=BB285_14 Depth=1
	s_or_b64 exec, exec, s[48:49]
	s_and_b64 s[0:1], s[0:1], exec
	s_or_saveexec_b64 s[46:47], s[46:47]
	v_mov_b32_e32 v38, s50
	s_xor_b64 exec, exec, s[46:47]
	s_cbranch_execz .LBB285_51
.LBB285_118:                            ;   in Loop: Header=BB285_14 Depth=1
	v_cmp_ne_u16_sdwa s[48:49], v14, v5 src0_sel:BYTE_0 src1_sel:DWORD
	s_andn2_b64 s[0:1], s[0:1], exec
	s_and_b64 s[48:49], s[48:49], exec
	v_mov_b32_e32 v38, 0
	s_or_b64 s[0:1], s[0:1], s[48:49]
	s_or_b64 exec, exec, s[46:47]
	s_and_saveexec_b64 s[46:47], s[0:1]
	s_cbranch_execnz .LBB285_52
	s_branch .LBB285_53
.LBB285_119:                            ;   in Loop: Header=BB285_14 Depth=1
	v_cmp_eq_u16_e64 s[0:1], s61, v4
	s_mov_b64 s[46:47], -1
                                        ; implicit-def: $sgpr63
	s_and_saveexec_b64 s[50:51], s[0:1]
; %bb.120:                              ;   in Loop: Header=BB285_14 Depth=1
	s_mov_b32 s63, 0x7fc02000
	s_xor_b64 s[46:47], exec, -1
; %bb.121:                              ;   in Loop: Header=BB285_14 Depth=1
	s_or_b64 exec, exec, s[50:51]
	s_and_b64 s[46:47], s[46:47], exec
	s_or_saveexec_b64 s[48:49], s[48:49]
	v_mov_b32_e32 v39, s63
	s_xor_b64 exec, exec, s[48:49]
	s_cbranch_execz .LBB285_55
.LBB285_122:                            ;   in Loop: Header=BB285_14 Depth=1
	v_cmp_ne_u16_e64 s[0:1], 0, v4
	s_andn2_b64 s[46:47], s[46:47], exec
	s_and_b64 s[0:1], s[0:1], exec
	v_mov_b32_e32 v39, 0
	s_or_b64 s[46:47], s[46:47], s[0:1]
	s_or_b64 exec, exec, s[48:49]
	s_and_saveexec_b64 s[48:49], s[46:47]
	s_cbranch_execnz .LBB285_56
	s_branch .LBB285_57
.LBB285_123:                            ;   in Loop: Header=BB285_14 Depth=1
	v_cmp_eq_u16_sdwa s[64:65], v4, s61 src0_sel:BYTE_0 src1_sel:DWORD
	s_mov_b64 s[0:1], -1
                                        ; implicit-def: $sgpr50
	s_and_saveexec_b64 s[48:49], s[64:65]
; %bb.124:                              ;   in Loop: Header=BB285_14 Depth=1
	s_mov_b32 s50, 0x7fc02000
	s_xor_b64 s[0:1], exec, -1
; %bb.125:                              ;   in Loop: Header=BB285_14 Depth=1
	s_or_b64 exec, exec, s[48:49]
	s_and_b64 s[0:1], s[0:1], exec
	s_or_saveexec_b64 s[46:47], s[46:47]
	v_mov_b32_e32 v40, s50
	s_xor_b64 exec, exec, s[46:47]
	s_cbranch_execz .LBB285_59
.LBB285_126:                            ;   in Loop: Header=BB285_14 Depth=1
	v_cmp_ne_u16_sdwa s[48:49], v4, v5 src0_sel:BYTE_0 src1_sel:DWORD
	s_andn2_b64 s[0:1], s[0:1], exec
	s_and_b64 s[48:49], s[48:49], exec
	v_mov_b32_e32 v40, 0
	s_or_b64 s[0:1], s[0:1], s[48:49]
	s_or_b64 exec, exec, s[46:47]
	s_and_saveexec_b64 s[46:47], s[0:1]
	s_cbranch_execnz .LBB285_60
	s_branch .LBB285_61
.LBB285_127:                            ;   in Loop: Header=BB285_14 Depth=1
	v_cmp_eq_u16_e64 s[0:1], s61, v4
	s_mov_b64 s[46:47], -1
                                        ; implicit-def: $sgpr63
	s_and_saveexec_b64 s[50:51], s[0:1]
; %bb.128:                              ;   in Loop: Header=BB285_14 Depth=1
	s_mov_b32 s63, 0x7fc02000
	s_xor_b64 s[46:47], exec, -1
; %bb.129:                              ;   in Loop: Header=BB285_14 Depth=1
	s_or_b64 exec, exec, s[50:51]
	s_and_b64 s[46:47], s[46:47], exec
	s_or_saveexec_b64 s[48:49], s[48:49]
	v_mov_b32_e32 v41, s63
	s_xor_b64 exec, exec, s[48:49]
	s_cbranch_execz .LBB285_63
.LBB285_130:                            ;   in Loop: Header=BB285_14 Depth=1
	v_cmp_ne_u16_e64 s[0:1], 0, v4
	s_andn2_b64 s[46:47], s[46:47], exec
	s_and_b64 s[0:1], s[0:1], exec
	v_mov_b32_e32 v41, 0
	s_or_b64 s[46:47], s[46:47], s[0:1]
	s_or_b64 exec, exec, s[48:49]
	s_and_saveexec_b64 s[48:49], s[46:47]
	s_cbranch_execnz .LBB285_64
	s_branch .LBB285_65
.LBB285_131:                            ;   in Loop: Header=BB285_14 Depth=1
	v_cmp_eq_u16_sdwa s[64:65], v12, s61 src0_sel:BYTE_0 src1_sel:DWORD
	s_mov_b64 s[0:1], -1
                                        ; implicit-def: $sgpr50
	s_and_saveexec_b64 s[48:49], s[64:65]
; %bb.132:                              ;   in Loop: Header=BB285_14 Depth=1
	s_mov_b32 s50, 0x7fc02000
	s_xor_b64 s[0:1], exec, -1
; %bb.133:                              ;   in Loop: Header=BB285_14 Depth=1
	s_or_b64 exec, exec, s[48:49]
	s_and_b64 s[0:1], s[0:1], exec
	s_or_saveexec_b64 s[46:47], s[46:47]
	v_mov_b32_e32 v13, s50
	s_xor_b64 exec, exec, s[46:47]
	s_cbranch_execz .LBB285_67
.LBB285_134:                            ;   in Loop: Header=BB285_14 Depth=1
	v_cmp_ne_u16_sdwa s[48:49], v12, v5 src0_sel:BYTE_0 src1_sel:DWORD
	s_andn2_b64 s[0:1], s[0:1], exec
	s_and_b64 s[48:49], s[48:49], exec
	v_mov_b32_e32 v13, 0
	s_or_b64 s[0:1], s[0:1], s[48:49]
	s_or_b64 exec, exec, s[46:47]
	s_and_saveexec_b64 s[46:47], s[0:1]
	s_cbranch_execnz .LBB285_68
	s_branch .LBB285_69
.LBB285_135:                            ;   in Loop: Header=BB285_14 Depth=1
	v_cmp_eq_u16_e64 s[0:1], s61, v4
	s_mov_b64 s[46:47], -1
                                        ; implicit-def: $sgpr63
	s_and_saveexec_b64 s[50:51], s[0:1]
; %bb.136:                              ;   in Loop: Header=BB285_14 Depth=1
	s_mov_b32 s63, 0x7fc02000
	s_xor_b64 s[46:47], exec, -1
; %bb.137:                              ;   in Loop: Header=BB285_14 Depth=1
	s_or_b64 exec, exec, s[50:51]
	s_and_b64 s[46:47], s[46:47], exec
	s_or_saveexec_b64 s[48:49], s[48:49]
	v_mov_b32_e32 v14, s63
	s_xor_b64 exec, exec, s[48:49]
	s_cbranch_execz .LBB285_71
.LBB285_138:                            ;   in Loop: Header=BB285_14 Depth=1
	v_cmp_ne_u16_e64 s[0:1], 0, v4
	s_andn2_b64 s[46:47], s[46:47], exec
	s_and_b64 s[0:1], s[0:1], exec
	v_mov_b32_e32 v14, 0
	s_or_b64 s[46:47], s[46:47], s[0:1]
	s_or_b64 exec, exec, s[48:49]
	s_and_saveexec_b64 s[48:49], s[46:47]
	s_cbranch_execnz .LBB285_72
	s_branch .LBB285_73
.LBB285_139:                            ;   in Loop: Header=BB285_14 Depth=1
	v_cmp_eq_u16_sdwa s[64:65], v4, s61 src0_sel:BYTE_0 src1_sel:DWORD
	s_mov_b64 s[0:1], -1
                                        ; implicit-def: $sgpr50
	s_and_saveexec_b64 s[48:49], s[64:65]
; %bb.140:                              ;   in Loop: Header=BB285_14 Depth=1
	s_mov_b32 s50, 0x7fc02000
	s_xor_b64 s[0:1], exec, -1
; %bb.141:                              ;   in Loop: Header=BB285_14 Depth=1
	s_or_b64 exec, exec, s[48:49]
	s_and_b64 s[0:1], s[0:1], exec
	s_or_saveexec_b64 s[46:47], s[46:47]
	v_mov_b32_e32 v42, s50
	s_xor_b64 exec, exec, s[46:47]
	s_cbranch_execz .LBB285_75
.LBB285_142:                            ;   in Loop: Header=BB285_14 Depth=1
	v_cmp_ne_u16_sdwa s[48:49], v4, v5 src0_sel:BYTE_0 src1_sel:DWORD
	s_andn2_b64 s[0:1], s[0:1], exec
	s_and_b64 s[48:49], s[48:49], exec
	v_mov_b32_e32 v42, 0
	s_or_b64 s[0:1], s[0:1], s[48:49]
	s_or_b64 exec, exec, s[46:47]
	s_and_saveexec_b64 s[46:47], s[0:1]
	s_cbranch_execnz .LBB285_76
	s_branch .LBB285_77
.LBB285_143:                            ;   in Loop: Header=BB285_14 Depth=1
	v_cmp_eq_u16_e64 s[0:1], s61, v4
	s_mov_b64 s[46:47], -1
                                        ; implicit-def: $sgpr63
	s_and_saveexec_b64 s[50:51], s[0:1]
; %bb.144:                              ;   in Loop: Header=BB285_14 Depth=1
	s_mov_b32 s63, 0x7fc02000
	s_xor_b64 s[46:47], exec, -1
; %bb.145:                              ;   in Loop: Header=BB285_14 Depth=1
	s_or_b64 exec, exec, s[50:51]
	s_and_b64 s[46:47], s[46:47], exec
	s_or_saveexec_b64 s[48:49], s[48:49]
	v_mov_b32_e32 v43, s63
	s_xor_b64 exec, exec, s[48:49]
	s_cbranch_execz .LBB285_79
.LBB285_146:                            ;   in Loop: Header=BB285_14 Depth=1
	v_cmp_ne_u16_e64 s[0:1], 0, v4
	s_andn2_b64 s[46:47], s[46:47], exec
	s_and_b64 s[0:1], s[0:1], exec
	v_mov_b32_e32 v43, 0
	s_or_b64 s[46:47], s[46:47], s[0:1]
	s_or_b64 exec, exec, s[48:49]
	s_and_saveexec_b64 s[48:49], s[46:47]
	s_cbranch_execnz .LBB285_80
	s_branch .LBB285_81
.LBB285_147:
	s_or_b64 exec, exec, s[44:45]
.LBB285_148:
	s_or_b64 exec, exec, s[18:19]
	v_mbcnt_hi_u32_b32 v6, -1, v17
	v_and_b32_e32 v4, 64, v6
	v_add_u32_e32 v11, 64, v4
	v_xor_b32_e32 v4, 32, v6
	v_cmp_lt_i32_e32 vcc, v4, v11
	v_xor_b32_e32 v8, 16, v6
	v_max_f32_e32 v7, v20, v20
	v_cndmask_b32_e32 v4, v6, v4, vcc
	v_lshlrev_b32_e32 v4, 2, v4
	ds_bpermute_b32 v5, v4, v20
	v_cmp_lt_i32_e32 vcc, v8, v11
	v_xor_b32_e32 v9, 8, v6
	v_xor_b32_e32 v10, 4, v6
	s_waitcnt lgkmcnt(1)
	v_xor_b32_e32 v12, 2, v6
	s_waitcnt lgkmcnt(0)
	v_max_f32_e32 v5, v5, v5
	v_max_f32_e32 v7, v7, v5
	v_cndmask_b32_e32 v5, v6, v8, vcc
	v_lshlrev_b32_e32 v5, 2, v5
	ds_bpermute_b32 v8, v5, v7
	v_cmp_lt_i32_e32 vcc, v9, v11
	v_and_b32_e32 v22, 63, v0
	s_waitcnt lgkmcnt(0)
	v_max_f32_e32 v8, v8, v8
	v_max_f32_e32 v8, v7, v8
	v_cndmask_b32_e32 v7, v6, v9, vcc
	v_lshlrev_b32_e32 v7, 2, v7
	ds_bpermute_b32 v9, v7, v8
	v_cmp_lt_i32_e32 vcc, v10, v11
	s_waitcnt lgkmcnt(0)
	v_max_f32_e32 v9, v9, v9
	v_max_f32_e32 v9, v8, v9
	v_cndmask_b32_e32 v8, v6, v10, vcc
	v_lshlrev_b32_e32 v8, 2, v8
	ds_bpermute_b32 v10, v8, v9
	v_cmp_lt_i32_e32 vcc, v12, v11
	s_waitcnt lgkmcnt(0)
	v_max_f32_e32 v10, v10, v10
	v_max_f32_e32 v10, v9, v10
	v_cndmask_b32_e32 v9, v6, v12, vcc
	v_lshlrev_b32_e32 v23, 2, v9
	ds_bpermute_b32 v12, v23, v10
	v_cmp_eq_u32_e32 vcc, 0, v22
	v_lshlrev_b32_e32 v9, 2, v16
	s_and_saveexec_b64 s[0:1], vcc
	s_cbranch_execz .LBB285_150
; %bb.149:
	s_waitcnt lgkmcnt(0)
	v_max_f32_e32 v12, v12, v12
	v_max_f32_e32 v10, v10, v10
	;; [unrolled: 1-line block ×3, first 2 shown]
	ds_write_b32 v9, v10 offset:64
.LBB285_150:
	s_or_b64 exec, exec, s[0:1]
	v_cmp_gt_u32_e64 s[0:1], 2, v22
	s_waitcnt lgkmcnt(0)
	v_mov_b32_e32 v12, 0xff7fffff
	v_lshlrev_b32_e32 v10, 2, v22
	s_barrier
	s_and_saveexec_b64 s[6:7], s[0:1]
	s_cbranch_execz .LBB285_152
; %bb.151:
	ds_read_b32 v12, v10 offset:64
.LBB285_152:
	s_or_b64 exec, exec, s[6:7]
	v_xor_b32_e32 v13, 1, v6
	v_cmp_lt_i32_e64 s[6:7], v13, v11
	s_sub_i32 s3, s52, s56
	s_lshl_b32 s3, s3, 5
	v_cndmask_b32_e64 v11, v6, v13, s[6:7]
	v_lshlrev_b32_e32 v24, 2, v11
	s_waitcnt lgkmcnt(0)
	ds_bpermute_b32 v11, v24, v12
	v_max_f32_e32 v12, v12, v12
	v_lshlrev_b32_e32 v6, 2, v6
	s_add_i32 s3, s3, s55
	s_min_i32 s43, s3, s33
	s_waitcnt lgkmcnt(0)
	v_max_f32_e32 v11, v11, v11
	v_max_f32_e32 v12, v12, v11
	v_and_b32_e32 v11, 0x100, v6
	ds_bpermute_b32 v6, v11, v12
	s_sub_i32 s3, s43, s55
	v_cmp_gt_i32_e64 s[6:7], s3, v0
	v_mov_b32_e32 v12, 0
	s_and_saveexec_b64 s[12:13], s[6:7]
	s_cbranch_execz .LBB285_156
; %bb.153:
	v_mov_b32_e32 v12, 0x50
	v_lshl_add_u32 v13, v0, 2, v12
	s_mov_b64 s[18:19], 0
	v_mov_b32_e32 v12, 0
	v_mov_b32_e32 v14, v0
.LBB285_154:                            ; =>This Inner Loop Header: Depth=1
	ds_read_b32 v17, v13
	v_add_u32_e32 v14, 0x80, v14
	v_cmp_le_i32_e64 s[10:11], s3, v14
	s_or_b64 s[18:19], s[10:11], s[18:19]
	s_waitcnt lgkmcnt(0)
	v_sub_f32_e32 v17, v17, v6
	v_mul_f32_e32 v17, 0x3fb8aa3b, v17
	v_exp_f32_e32 v17, v17
	ds_write_b32 v13, v17
	v_add_f32_e32 v12, v12, v17
	v_add_u32_e32 v13, 0x200, v13
	s_andn2_b64 exec, exec, s[18:19]
	s_cbranch_execnz .LBB285_154
; %bb.155:
	s_or_b64 exec, exec, s[18:19]
.LBB285_156:
	s_or_b64 exec, exec, s[12:13]
	ds_bpermute_b32 v4, v4, v12
	s_waitcnt lgkmcnt(0)
	v_add_f32_e32 v4, v12, v4
	ds_bpermute_b32 v5, v5, v4
	s_waitcnt lgkmcnt(0)
	v_add_f32_e32 v4, v4, v5
	;; [unrolled: 3-line block ×6, first 2 shown]
	s_and_saveexec_b64 s[10:11], vcc
	s_cbranch_execz .LBB285_158
; %bb.157:
	ds_write_b32 v9, v4 offset:72
.LBB285_158:
	s_or_b64 exec, exec, s[10:11]
	s_waitcnt lgkmcnt(0)
	s_barrier
	s_and_saveexec_b64 s[10:11], s[0:1]
	s_cbranch_execz .LBB285_160
; %bb.159:
	ds_read_b32 v4, v10 offset:72
.LBB285_160:
	s_or_b64 exec, exec, s[10:11]
	s_waitcnt lgkmcnt(0)
	ds_bpermute_b32 v5, v24, v4
	s_waitcnt lgkmcnt(0)
	v_add_f32_e32 v4, v4, v5
	ds_bpermute_b32 v7, v11, v4
	s_and_saveexec_b64 s[0:1], s[6:7]
	s_cbranch_execz .LBB285_173
; %bb.161:
	s_waitcnt lgkmcnt(0)
	v_add_f32_e32 v4, 0x358637bd, v7
	v_div_scale_f32 v5, s[6:7], v4, v4, 1.0
	v_rcp_f32_e32 v8, v5
	v_div_scale_f32 v9, vcc, 1.0, v4, 1.0
	s_movk_i32 s6, 0x7f
	v_fma_f32 v10, -v5, v8, 1.0
	v_fmac_f32_e32 v8, v10, v8
	v_mul_f32_e32 v10, v9, v8
	v_fma_f32 v11, -v5, v10, v9
	v_fmac_f32_e32 v10, v11, v8
	v_fma_f32 v5, -v5, v10, v9
	v_div_fmas_f32 v5, v5, v8, v10
	v_div_fixup_f32 v4, v5, v4, 1.0
	v_xad_u32 v5, v0, -1, s43
	v_subrev_u32_e32 v8, s55, v5
	v_cmp_lt_u32_e32 vcc, s6, v8
	s_mov_b64 s[10:11], -1
	v_mov_b32_e32 v5, v0
	s_and_saveexec_b64 s[6:7], vcc
	s_cbranch_execz .LBB285_170
; %bb.162:
	v_lshrrev_b32_e32 v8, 7, v8
	v_add_u32_e32 v10, -1, v8
	v_lshrrev_b32_e32 v9, 1, v10
	v_mov_b32_e32 v5, v4
	v_add_u32_e32 v9, 1, v9
	v_cmp_lt_u32_e32 vcc, 13, v10
	v_mov_b32_e32 v12, 0
	s_and_saveexec_b64 s[10:11], vcc
	s_cbranch_execz .LBB285_166
; %bb.163:
	v_mov_b32_e32 v11, 0x50
	v_and_b32_e32 v10, -8, v9
	v_lshl_add_u32 v11, v0, 2, v11
	s_mov_b32 s18, 0
	s_mov_b64 s[12:13], 0
.LBB285_164:                            ; =>This Inner Loop Header: Depth=1
	ds_read2st64_b32 v[12:13], v11 offset1:2
	ds_read2st64_b32 v[18:19], v11 offset0:4 offset1:6
	ds_read2st64_b32 v[20:21], v11 offset0:8 offset1:10
	;; [unrolled: 1-line block ×3, first 2 shown]
	v_add_u32_e32 v10, -8, v10
	s_waitcnt lgkmcnt(3)
	v_pk_mul_f32 v[12:13], v[4:5], v[12:13]
	s_waitcnt lgkmcnt(2)
	v_pk_mul_f32 v[18:19], v[4:5], v[18:19]
	ds_write2st64_b32 v11, v12, v13 offset1:2
	ds_write2st64_b32 v11, v18, v19 offset0:4 offset1:6
	ds_read2st64_b32 v[18:19], v11 offset0:16 offset1:18
	s_waitcnt lgkmcnt(4)
	v_pk_mul_f32 v[12:13], v[4:5], v[20:21]
	ds_write2st64_b32 v11, v12, v13 offset0:8 offset1:10
	s_waitcnt lgkmcnt(4)
	v_pk_mul_f32 v[12:13], v[4:5], v[26:27]
	ds_write2st64_b32 v11, v12, v13 offset0:12 offset1:14
	ds_read2st64_b32 v[12:13], v11 offset0:20 offset1:22
	s_waitcnt lgkmcnt(3)
	v_pk_mul_f32 v[18:19], v[4:5], v[18:19]
	ds_read2st64_b32 v[20:21], v11 offset0:24 offset1:26
	ds_write2st64_b32 v11, v18, v19 offset0:16 offset1:18
	ds_read2st64_b32 v[18:19], v11 offset0:28 offset1:30
	s_waitcnt lgkmcnt(3)
	v_pk_mul_f32 v[12:13], v[4:5], v[12:13]
	ds_write2st64_b32 v11, v12, v13 offset0:20 offset1:22
	s_waitcnt lgkmcnt(3)
	v_pk_mul_f32 v[12:13], v[4:5], v[20:21]
	ds_write2st64_b32 v11, v12, v13 offset0:24 offset1:26
	s_waitcnt lgkmcnt(2)
	v_pk_mul_f32 v[12:13], v[4:5], v[18:19]
	s_add_i32 s18, s18, 16
	v_cmp_eq_u32_e32 vcc, 0, v10
	ds_write2st64_b32 v11, v12, v13 offset0:28 offset1:30
	v_add_u32_e32 v11, 0x2000, v11
	s_or_b64 s[12:13], vcc, s[12:13]
	v_mov_b32_e32 v12, s18
	s_andn2_b64 exec, exec, s[12:13]
	s_cbranch_execnz .LBB285_164
; %bb.165:
	s_or_b64 exec, exec, s[12:13]
.LBB285_166:
	s_or_b64 exec, exec, s[10:11]
	v_and_b32_e32 v9, 7, v9
	v_cmp_ne_u32_e32 vcc, 0, v9
	s_and_saveexec_b64 s[10:11], vcc
	s_cbranch_execz .LBB285_169
; %bb.167:
	v_lshlrev_b32_e32 v10, 9, v12
	v_lshlrev_b32_e32 v11, 2, v0
	s_movk_i32 s12, 0x50
	v_add3_u32 v10, v10, v11, s12
	s_mov_b64 s[12:13], 0
.LBB285_168:                            ; =>This Inner Loop Header: Depth=1
	ds_read2st64_b32 v[12:13], v10 offset1:2
	v_add_u32_e32 v9, -1, v9
	v_cmp_eq_u32_e32 vcc, 0, v9
	s_or_b64 s[12:13], vcc, s[12:13]
	s_waitcnt lgkmcnt(0)
	v_pk_mul_f32 v[12:13], v[4:5], v[12:13]
	ds_write2st64_b32 v10, v12, v13 offset1:2
	v_add_u32_e32 v10, 0x400, v10
	s_andn2_b64 exec, exec, s[12:13]
	s_cbranch_execnz .LBB285_168
.LBB285_169:
	s_or_b64 exec, exec, s[10:11]
	v_add_u32_e32 v8, 1, v8
	v_and_b32_e32 v9, 0x3fffffe, v8
	v_cmp_ne_u32_e32 vcc, v8, v9
	v_lshl_add_u32 v5, v9, 7, v0
	s_orn2_b64 s[10:11], vcc, exec
.LBB285_170:
	s_or_b64 exec, exec, s[6:7]
	s_and_b64 exec, exec, s[10:11]
	s_cbranch_execz .LBB285_173
; %bb.171:
	v_mov_b32_e32 v8, 0x50
	v_lshl_add_u32 v8, v5, 2, v8
	s_mov_b64 s[6:7], 0
.LBB285_172:                            ; =>This Inner Loop Header: Depth=1
	ds_read_b32 v9, v8
	v_add_u32_e32 v5, 0x80, v5
	v_cmp_le_i32_e32 vcc, s3, v5
	s_or_b64 s[6:7], vcc, s[6:7]
	s_waitcnt lgkmcnt(0)
	v_mul_f32_e32 v9, v4, v9
	ds_write_b32 v8, v9
	v_add_u32_e32 v8, 0x200, v8
	s_andn2_b64 exec, exec, s[6:7]
	s_cbranch_execnz .LBB285_172
.LBB285_173:
	s_or_b64 exec, exec, s[0:1]
	s_mul_i32 s0, s20, s34
	v_cmp_eq_u32_e32 vcc, 0, v0
	s_mul_i32 s6, s0, s5
	s_waitcnt lgkmcnt(0)
	s_barrier
	s_and_saveexec_b64 s[0:1], vcc
	s_cbranch_execz .LBB285_175
; %bb.174:
	s_ashr_i32 s7, s6, 31
	s_lshl_b64 s[10:11], s[6:7], 2
	s_add_u32 s5, s26, s10
	s_mul_i32 s2, s20, s2
	s_addc_u32 s7, s27, s11
	s_ashr_i32 s3, s2, 31
	s_lshl_b64 s[2:3], s[2:3], 2
	s_add_u32 s18, s5, s2
	s_addc_u32 s7, s7, s3
	s_ashr_i32 s5, s4, 31
	s_lshl_b64 s[12:13], s[4:5], 2
	s_add_u32 s18, s18, s12
	s_addc_u32 s19, s7, s13
	s_add_u32 s5, s24, s10
	s_addc_u32 s7, s25, s11
	s_add_u32 s2, s5, s2
	s_addc_u32 s3, s7, s3
	s_add_u32 s2, s2, s12
	v_mov_b32_e32 v4, 0
	s_addc_u32 s3, s3, s13
	global_store_dword v4, v6, s[18:19]
	global_store_dword v4, v7, s[2:3]
.LBB285_175:
	s_or_b64 exec, exec, s[0:1]
	s_mov_b32 s0, 0
	v_mov_b32_e32 v5, 0
	v_and_b32_e32 v25, 3, v0
	v_mov_b32_e32 v4, 0
	s_and_saveexec_b64 s[2:3], s[8:9]
	s_cbranch_execz .LBB285_313
; %bb.176:
	s_sub_i32 s5, s53, s21
	s_ashr_i32 s1, s54, 31
	s_add_u32 s8, s40, s54
	s_addc_u32 s9, s41, s1
	s_abs_i32 s7, s22
	v_cvt_f32_u32_e32 v4, s7
	v_and_b32_e32 v6, 0x1f8, v15
	v_mov_b32_e32 v7, 0
	s_add_i32 s24, s16, -1
	v_rcp_iflag_f32_e32 v4, v4
	s_sub_i32 s1, 0, s7
	v_lshl_add_u64 v[8:9], s[8:9], 0, v[6:7]
	s_lshl_b64 s[8:9], s[38:39], 2
	v_mul_f32_e32 v4, 0x4f7ffffe, v4
	v_cvt_u32_f32_e32 v4, v4
	s_add_u32 s8, s36, s8
	s_addc_u32 s9, s37, s9
	v_lshl_add_u64 v[10:11], v[2:3], 2, s[8:9]
	v_mul_lo_u32 v5, s1, v4
	v_lshlrev_b32_e32 v3, 5, v25
	v_mul_hi_u32 v5, v4, v5
	v_lshl_or_b32 v3, v16, 7, v3
	s_mov_b32 s1, s0
	v_and_b32_e32 v26, 24, v15
	s_mov_b32 s21, s17
	s_mov_b32 s22, s33
	v_add_u32_e32 v15, v4, v5
	v_add_u32_e32 v3, 0x50, v3
	s_mov_b64 s[8:9], 0
	v_mov_b64_e32 v[4:5], s[0:1]
	s_movk_i32 s25, 0x7f
	s_movk_i32 s26, 0x80
	s_mov_b32 s27, 0x8000
	s_movk_i32 s34, 0x380
	s_mov_b32 s36, 0x3020706
	s_mov_b32 s37, 0x1000504
	;; [unrolled: 1-line block ×3, first 2 shown]
	v_mov_b32_e32 v27, 0x1c00
	s_branch .LBB285_179
.LBB285_177:                            ;   in Loop: Header=BB285_179 Depth=1
	s_or_b64 exec, exec, s[0:1]
	;;#ASMSTART
	v_pk_mul_f16 v13, v37, v13;

	;;#ASMEND
	;;#ASMSTART
	v_pk_mul_f16 v6, v36, v6;

	;;#ASMEND
	;; [unrolled: 4-line block ×4, first 2 shown]
	v_add_f32_e32 v16, v38, v39
	;;#ASMSTART
	v_pk_add_f16 v6, v13, v6;

	;;#ASMEND
	v_add_f32_e32 v4, v4, v16
	;;#ASMSTART
	v_pk_add_f16 v6, v6, v12;

	;;#ASMEND
	s_nop 0
	;;#ASMSTART
	v_pk_add_f16 v6, v6, v14;

	;;#ASMEND
	s_nop 0
	v_lshrrev_b32_e32 v12, 16, v6
	v_and_b32_e32 v6, 0xffff, v6
	;;#ASMSTART
	v_cvt_f32_f16 v6, v6;
	;;#ASMEND
	;;#ASMSTART
	v_cvt_f32_f16 v12, v12;
	;;#ASMEND
	s_nop 0
	v_add_f32_e32 v6, v6, v12
	v_add_f32_e32 v5, v5, v6
.LBB285_178:                            ;   in Loop: Header=BB285_179 Depth=1
	s_or_b64 exec, exec, s[10:11]
	v_add_u32_e32 v2, 2, v2
	v_cmp_le_i32_e32 vcc, s52, v2
	v_lshl_add_u64 v[10:11], v[10:11], 0, 8
	v_add_u32_e32 v1, 64, v1
	s_or_b64 s[8:9], vcc, s[8:9]
	v_add_u32_e32 v3, 0x100, v3
	s_andn2_b64 exec, exec, s[8:9]
	s_cbranch_execz .LBB285_312
.LBB285_179:                            ; =>This Inner Loop Header: Depth=1
	v_sub_u32_e32 v12, 0, v1
	v_max_i32_e32 v12, v1, v12
	v_mul_hi_u32 v13, v12, s35
	v_mul_lo_u32 v14, v13, s29
	v_sub_u32_e32 v12, v12, v14
	v_add_u32_e32 v14, 1, v13
	v_cmp_le_u32_e32 vcc, s29, v12
	v_ashrrev_i32_e32 v6, 31, v1
	v_xor_b32_e32 v6, s23, v6
	v_cndmask_b32_e32 v13, v13, v14, vcc
	v_subrev_u32_e32 v14, s29, v12
	v_cndmask_b32_e32 v12, v12, v14, vcc
	v_add_u32_e32 v14, 1, v13
	v_cmp_le_u32_e32 vcc, s29, v12
	s_nop 1
	v_cndmask_b32_e32 v12, v13, v14, vcc
	v_xor_b32_e32 v12, v12, v6
	v_sub_u32_e32 v6, v12, v6
	v_add_u32_e32 v12, s42, v6
	v_sub_u32_e32 v14, 0, v12
	v_ashrrev_i32_e32 v13, 31, v12
	v_max_i32_e32 v12, v12, v14
	v_mul_hi_u32 v14, v12, v15
	v_mul_lo_u32 v14, v14, s7
	v_sub_u32_e32 v12, v12, v14
	v_subrev_u32_e32 v14, s7, v12
	v_cmp_le_u32_e32 vcc, s7, v12
	v_cmp_lt_i32_e64 s[0:1], s5, v6
	s_nop 0
	v_cndmask_b32_e32 v12, v12, v14, vcc
	v_subrev_u32_e32 v14, s7, v12
	v_cmp_le_u32_e32 vcc, s7, v12
	s_nop 1
	v_cndmask_b32_e32 v12, v12, v14, vcc
	v_xor_b32_e32 v12, v12, v13
	v_sub_u32_e32 v12, v12, v13
	v_cmp_eq_u32_e32 vcc, 0, v12
	s_or_b64 s[0:1], vcc, s[0:1]
	s_and_saveexec_b64 s[10:11], s[0:1]
	s_cbranch_execz .LBB285_178
; %bb.180:                              ;   in Loop: Header=BB285_179 Depth=1
	ds_read2_b64 v[16:19], v3 offset1:1
	ds_read2_b64 v[28:31], v3 offset0:2 offset1:3
                                        ; implicit-def: $sgpr18
	s_waitcnt lgkmcnt(1)
	;;#ASMSTART
	v_cvt_f16_f32 v34, v16;

	;;#ASMEND
	;;#ASMSTART
	v_cvt_f16_f32 v35, v17;

	;;#ASMEND
	;; [unrolled: 4-line block ×4, first 2 shown]
	s_waitcnt lgkmcnt(0)
	;;#ASMSTART
	v_cvt_f16_f32 v39, v28;

	;;#ASMEND
	;;#ASMSTART
	v_cvt_f16_f32 v40, v29;

	;;#ASMEND
	;; [unrolled: 4-line block ×4, first 2 shown]
	global_load_dword v6, v[10:11], off
	s_waitcnt vmcnt(0)
	v_mad_i64_i32 v[12:13], s[0:1], v6, s21, v[8:9]
	global_load_dwordx2 v[16:17], v[12:13], off
	global_load_dword v14, v7, s[14:15]
	s_mov_b64 s[0:1], 0
	s_waitcnt vmcnt(1)
	v_cmp_gt_i16_sdwa s[12:13], v16, s25 src0_sel:BYTE_0 src1_sel:DWORD
	s_and_saveexec_b64 s[16:17], s[12:13]
	s_xor_b64 s[12:13], exec, s[16:17]
	s_cbranch_execnz .LBB285_248
; %bb.181:                              ;   in Loop: Header=BB285_179 Depth=1
	s_or_saveexec_b64 s[12:13], s[12:13]
	v_mov_b32_e32 v18, s18
	s_xor_b64 exec, exec, s[12:13]
	s_cbranch_execnz .LBB285_251
.LBB285_182:                            ;   in Loop: Header=BB285_179 Depth=1
	s_or_b64 exec, exec, s[12:13]
	s_and_saveexec_b64 s[12:13], s[0:1]
	s_cbranch_execz .LBB285_184
.LBB285_183:                            ;   in Loop: Header=BB285_179 Depth=1
	v_and_b32_e32 v6, 7, v16
	v_ffbh_u32_e32 v6, v6
	v_bfe_u32 v18, v16, 3, 4
	v_min_u32_e32 v6, 32, v6
	v_subrev_u32_e32 v19, 28, v6
	v_sub_u32_e32 v6, 29, v6
	v_cmp_eq_u32_e32 vcc, 0, v18
	s_nop 1
	v_cndmask_b32_e32 v6, v18, v6, vcc
	v_cndmask_b32_e32 v18, 0, v19, vcc
	v_lshlrev_b64 v[18:19], v18, v[16:17]
	v_lshlrev_b32_e32 v19, 8, v16
	v_lshl_add_u32 v6, v6, 10, v27
	v_lshlrev_b32_e32 v18, 7, v18
	v_and_or_b32 v6, v19, s27, v6
	v_and_or_b32 v6, v18, s34, v6
	v_cvt_f32_f16_e32 v18, v6
.LBB285_184:                            ;   in Loop: Header=BB285_179 Depth=1
	s_or_b64 exec, exec, s[12:13]
	v_lshrrev_b16_e32 v6, 8, v16
	v_cmp_lt_i16_e32 vcc, s25, v6
	s_mov_b64 s[0:1], 0
                                        ; implicit-def: $sgpr18
	s_and_saveexec_b64 s[12:13], vcc
	s_xor_b64 s[12:13], exec, s[12:13]
	s_cbranch_execnz .LBB285_252
; %bb.185:                              ;   in Loop: Header=BB285_179 Depth=1
	s_or_saveexec_b64 s[12:13], s[12:13]
	v_mov_b32_e32 v20, s18
	s_xor_b64 exec, exec, s[12:13]
	s_cbranch_execnz .LBB285_255
.LBB285_186:                            ;   in Loop: Header=BB285_179 Depth=1
	s_or_b64 exec, exec, s[12:13]
	s_and_saveexec_b64 s[12:13], s[0:1]
	s_cbranch_execz .LBB285_188
.LBB285_187:                            ;   in Loop: Header=BB285_179 Depth=1
	v_and_b32_e32 v19, 7, v6
	v_ffbh_u32_e32 v20, v19
	v_min_u32_e32 v29, 32, v20
	v_subrev_u32_e32 v20, 28, v29
	v_bfe_u32 v28, v6, 3, 4
	v_lshlrev_b64 v[20:21], v20, v[6:7]
	v_sub_u32_e32 v21, 29, v29
	v_cmp_eq_u32_e32 vcc, 0, v28
	v_and_b32_e32 v20, 7, v20
	v_lshlrev_b32_e32 v6, 8, v6
	v_cndmask_b32_e32 v21, v28, v21, vcc
	v_cndmask_b32_e32 v19, v19, v20, vcc
	v_lshl_add_u32 v20, v21, 10, v27
	v_and_or_b32 v6, v6, s27, v20
	v_lshl_or_b32 v6, v19, 7, v6
	v_cvt_f32_f16_e32 v20, v6
.LBB285_188:                            ;   in Loop: Header=BB285_179 Depth=1
	s_or_b64 exec, exec, s[12:13]
	v_lshrrev_b32_e32 v6, 16, v16
	v_cmp_gt_i16_sdwa s[12:13], v6, s25 src0_sel:BYTE_0 src1_sel:DWORD
	s_mov_b64 s[0:1], 0
                                        ; implicit-def: $sgpr18
	s_and_saveexec_b64 s[16:17], s[12:13]
	s_xor_b64 s[12:13], exec, s[16:17]
	s_cbranch_execnz .LBB285_256
; %bb.189:                              ;   in Loop: Header=BB285_179 Depth=1
	s_or_saveexec_b64 s[12:13], s[12:13]
	v_mov_b32_e32 v19, s18
	s_xor_b64 exec, exec, s[12:13]
	s_cbranch_execnz .LBB285_259
.LBB285_190:                            ;   in Loop: Header=BB285_179 Depth=1
	s_or_b64 exec, exec, s[12:13]
	s_and_saveexec_b64 s[12:13], s[0:1]
	s_cbranch_execz .LBB285_192
.LBB285_191:                            ;   in Loop: Header=BB285_179 Depth=1
	v_bfe_u32 v19, v16, 16, 3
	v_ffbh_u32_e32 v28, v19
	v_min_u32_e32 v30, 32, v28
	v_subrev_u32_e32 v28, 28, v30
	v_bfe_u32 v21, v16, 19, 4
	v_lshlrev_b64 v[28:29], v28, v[6:7]
	v_sub_u32_e32 v29, 29, v30
	v_cmp_eq_u32_e32 vcc, 0, v21
	v_and_b32_e32 v28, 7, v28
	v_lshlrev_b32_e32 v6, 8, v6
	v_cndmask_b32_e32 v21, v21, v29, vcc
	v_lshl_add_u32 v21, v21, 10, v27
	v_cndmask_b32_e32 v19, v19, v28, vcc
	v_and_or_b32 v6, v6, s27, v21
	v_lshl_or_b32 v6, v19, 7, v6
	v_cvt_f32_f16_e32 v19, v6
.LBB285_192:                            ;   in Loop: Header=BB285_179 Depth=1
	s_or_b64 exec, exec, s[12:13]
	v_lshrrev_b32_e32 v6, 24, v16
	v_cmp_lt_i16_e32 vcc, s25, v6
	s_mov_b64 s[0:1], 0
                                        ; implicit-def: $sgpr18
	s_and_saveexec_b64 s[12:13], vcc
	s_xor_b64 s[12:13], exec, s[12:13]
	s_cbranch_execnz .LBB285_260
; %bb.193:                              ;   in Loop: Header=BB285_179 Depth=1
	s_or_saveexec_b64 s[12:13], s[12:13]
	v_mov_b32_e32 v21, s18
	s_xor_b64 exec, exec, s[12:13]
	s_cbranch_execnz .LBB285_263
.LBB285_194:                            ;   in Loop: Header=BB285_179 Depth=1
	s_or_b64 exec, exec, s[12:13]
	s_and_saveexec_b64 s[12:13], s[0:1]
	s_cbranch_execz .LBB285_196
.LBB285_195:                            ;   in Loop: Header=BB285_179 Depth=1
	v_bfe_u32 v21, v16, 24, 3
	v_ffbh_u32_e32 v28, v21
	v_min_u32_e32 v30, 32, v28
	v_subrev_u32_e32 v28, 28, v30
	v_bfe_u32 v16, v16, 27, 4
	v_lshlrev_b64 v[28:29], v28, v[6:7]
	v_sub_u32_e32 v29, 29, v30
	v_cmp_eq_u32_e32 vcc, 0, v16
	v_and_b32_e32 v28, 7, v28
	v_lshlrev_b32_e32 v6, 8, v6
	v_cndmask_b32_e32 v16, v16, v29, vcc
	v_lshl_add_u32 v16, v16, 10, v27
	v_cndmask_b32_e32 v21, v21, v28, vcc
	v_and_or_b32 v6, v6, s27, v16
	v_lshl_or_b32 v6, v21, 7, v6
	v_cvt_f32_f16_e32 v21, v6
.LBB285_196:                            ;   in Loop: Header=BB285_179 Depth=1
	s_or_b64 exec, exec, s[12:13]
	v_cmp_gt_i16_sdwa s[12:13], v17, s25 src0_sel:BYTE_0 src1_sel:DWORD
	s_mov_b64 s[0:1], 0
                                        ; implicit-def: $sgpr18
	s_and_saveexec_b64 s[16:17], s[12:13]
	s_xor_b64 s[12:13], exec, s[16:17]
	s_cbranch_execnz .LBB285_264
; %bb.197:                              ;   in Loop: Header=BB285_179 Depth=1
	s_or_saveexec_b64 s[12:13], s[12:13]
	v_mov_b32_e32 v16, s18
	s_xor_b64 exec, exec, s[12:13]
	s_cbranch_execnz .LBB285_267
.LBB285_198:                            ;   in Loop: Header=BB285_179 Depth=1
	s_or_b64 exec, exec, s[12:13]
	v_mov_b32_e32 v6, v17
	s_and_saveexec_b64 s[12:13], s[0:1]
	s_cbranch_execz .LBB285_200
.LBB285_199:                            ;   in Loop: Header=BB285_179 Depth=1
	v_and_b32_e32 v16, 7, v17
	v_ffbh_u32_e32 v16, v16
	v_bfe_u32 v28, v17, 3, 4
	v_min_u32_e32 v16, 32, v16
	v_subrev_u32_e32 v29, 28, v16
	v_sub_u32_e32 v16, 29, v16
	v_cmp_eq_u32_e32 vcc, 0, v28
	s_nop 1
	v_cndmask_b32_e32 v16, v28, v16, vcc
	v_cndmask_b32_e32 v28, 0, v29, vcc
	v_lshlrev_b64 v[28:29], v28, v[6:7]
	v_lshlrev_b32_e32 v29, 8, v17
	v_lshl_add_u32 v16, v16, 10, v27
	v_lshlrev_b32_e32 v28, 7, v28
	v_and_or_b32 v16, v29, s27, v16
	v_and_or_b32 v16, v28, s34, v16
	v_cvt_f32_f16_e32 v16, v16
.LBB285_200:                            ;   in Loop: Header=BB285_179 Depth=1
	s_or_b64 exec, exec, s[12:13]
	v_lshrrev_b16_e32 v6, 8, v6
	v_cmp_lt_i16_e32 vcc, s25, v6
	s_mov_b64 s[0:1], 0
                                        ; implicit-def: $sgpr18
	s_and_saveexec_b64 s[12:13], vcc
	s_xor_b64 s[12:13], exec, s[12:13]
	s_cbranch_execnz .LBB285_268
; %bb.201:                              ;   in Loop: Header=BB285_179 Depth=1
	s_or_saveexec_b64 s[12:13], s[12:13]
	v_mov_b32_e32 v29, s18
	s_xor_b64 exec, exec, s[12:13]
	s_cbranch_execnz .LBB285_271
.LBB285_202:                            ;   in Loop: Header=BB285_179 Depth=1
	s_or_b64 exec, exec, s[12:13]
	s_and_saveexec_b64 s[12:13], s[0:1]
	s_cbranch_execz .LBB285_204
.LBB285_203:                            ;   in Loop: Header=BB285_179 Depth=1
	v_and_b32_e32 v30, 7, v6
	v_ffbh_u32_e32 v28, v30
	v_min_u32_e32 v32, 32, v28
	v_subrev_u32_e32 v28, 28, v32
	v_bfe_u32 v31, v6, 3, 4
	v_lshlrev_b64 v[28:29], v28, v[6:7]
	v_sub_u32_e32 v29, 29, v32
	v_cmp_eq_u32_e32 vcc, 0, v31
	v_and_b32_e32 v28, 7, v28
	v_lshlrev_b32_e32 v6, 8, v6
	v_cndmask_b32_e32 v29, v31, v29, vcc
	v_lshl_add_u32 v29, v29, 10, v27
	v_cndmask_b32_e32 v28, v30, v28, vcc
	v_and_or_b32 v6, v6, s27, v29
	v_lshl_or_b32 v6, v28, 7, v6
	v_cvt_f32_f16_e32 v29, v6
.LBB285_204:                            ;   in Loop: Header=BB285_179 Depth=1
	s_or_b64 exec, exec, s[12:13]
	v_lshrrev_b32_e32 v6, 16, v17
	v_cmp_gt_i16_sdwa s[12:13], v6, s25 src0_sel:BYTE_0 src1_sel:DWORD
	s_mov_b64 s[0:1], 0
                                        ; implicit-def: $sgpr18
	s_and_saveexec_b64 s[16:17], s[12:13]
	s_xor_b64 s[12:13], exec, s[16:17]
	s_cbranch_execnz .LBB285_272
; %bb.205:                              ;   in Loop: Header=BB285_179 Depth=1
	s_or_saveexec_b64 s[12:13], s[12:13]
	v_mov_b32_e32 v30, s18
	s_xor_b64 exec, exec, s[12:13]
	s_cbranch_execnz .LBB285_275
.LBB285_206:                            ;   in Loop: Header=BB285_179 Depth=1
	s_or_b64 exec, exec, s[12:13]
	s_and_saveexec_b64 s[12:13], s[0:1]
	s_cbranch_execz .LBB285_208
.LBB285_207:                            ;   in Loop: Header=BB285_179 Depth=1
	v_bfe_u32 v28, v17, 16, 3
	v_ffbh_u32_e32 v30, v28
	v_min_u32_e32 v33, 32, v30
	v_subrev_u32_e32 v30, 28, v33
	v_bfe_u32 v32, v17, 19, 4
	v_lshlrev_b64 v[30:31], v30, v[6:7]
	v_sub_u32_e32 v31, 29, v33
	v_cmp_eq_u32_e32 vcc, 0, v32
	v_and_b32_e32 v30, 7, v30
	v_lshlrev_b32_e32 v6, 8, v6
	v_cndmask_b32_e32 v31, v32, v31, vcc
	v_cndmask_b32_e32 v28, v28, v30, vcc
	v_lshl_add_u32 v30, v31, 10, v27
	v_and_or_b32 v6, v6, s27, v30
	v_lshl_or_b32 v6, v28, 7, v6
	v_cvt_f32_f16_e32 v30, v6
.LBB285_208:                            ;   in Loop: Header=BB285_179 Depth=1
	s_or_b64 exec, exec, s[12:13]
	v_lshrrev_b32_e32 v6, 24, v17
	v_cmp_lt_i16_e32 vcc, s25, v6
	s_mov_b64 s[0:1], 0
                                        ; implicit-def: $sgpr18
	s_and_saveexec_b64 s[12:13], vcc
	s_xor_b64 s[12:13], exec, s[12:13]
	s_cbranch_execnz .LBB285_276
; %bb.209:                              ;   in Loop: Header=BB285_179 Depth=1
	s_or_saveexec_b64 s[12:13], s[12:13]
	v_mov_b32_e32 v31, s18
	s_xor_b64 exec, exec, s[12:13]
	s_cbranch_execnz .LBB285_279
.LBB285_210:                            ;   in Loop: Header=BB285_179 Depth=1
	s_or_b64 exec, exec, s[12:13]
	s_and_saveexec_b64 s[12:13], s[0:1]
	s_cbranch_execz .LBB285_212
.LBB285_211:                            ;   in Loop: Header=BB285_179 Depth=1
	v_bfe_u32 v28, v17, 24, 3
	v_ffbh_u32_e32 v31, v28
	v_bfe_u32 v17, v17, 27, 4
	v_min_u32_e32 v31, 32, v31
	v_subrev_u32_e32 v32, 28, v31
	v_sub_u32_e32 v31, 29, v31
	v_cmp_eq_u32_e32 vcc, 0, v17
	v_lshlrev_b64 v[32:33], v32, v[6:7]
	v_and_b32_e32 v32, 7, v32
	v_cndmask_b32_e32 v17, v17, v31, vcc
	v_lshlrev_b32_e32 v6, 8, v6
	v_lshl_add_u32 v17, v17, 10, v27
	v_cndmask_b32_e32 v28, v28, v32, vcc
	v_and_or_b32 v6, v6, s27, v17
	v_lshl_or_b32 v6, v28, 7, v6
	v_cvt_f32_f16_e32 v31, v6
.LBB285_212:                            ;   in Loop: Header=BB285_179 Depth=1
	s_or_b64 exec, exec, s[12:13]
	s_waitcnt vmcnt(0)
	v_pk_mul_f32 v[20:21], v[14:15], v[20:21] op_sel_hi:[0,1]
	v_pk_mul_f32 v[18:19], v[14:15], v[18:19] op_sel_hi:[0,1]
	v_cvt_f16_f32_e32 v6, v21
	v_cvt_f16_f32_e32 v17, v20
	;; [unrolled: 1-line block ×4, first 2 shown]
	v_fma_mixlo_f16 v16, v14, v16, 0
	v_pack_b32_f16 v17, v17, v6
	v_add_u32_e32 v28, v26, v1
	v_pack_b32_f16 v18, v18, v19
	v_perm_b32 v6, v18, v17, s36
	v_perm_b32 v17, v18, v17, s37
	v_fma_mixlo_f16 v18, v14, v29, 0
	v_lshlrev_b32_e32 v18, 16, v18
	v_or_b32_sdwa v16, v18, v16 dst_sel:DWORD dst_unused:UNUSED_PAD src0_sel:DWORD src1_sel:WORD_0
	v_fma_mixlo_f16 v18, v14, v30, 0
	v_fma_mixlo_f16 v14, v14, v31, 0
	v_lshlrev_b32_e32 v14, 16, v14
	v_cmp_eq_u32_e32 vcc, s24, v2
	v_or_b32_sdwa v14, v14, v18 dst_sel:DWORD dst_unused:UNUSED_PAD src0_sel:DWORD src1_sel:WORD_0
	v_add_u32_e32 v33, 1, v28
	v_or_b32_e32 v32, 3, v28
	v_or_b32_e32 v31, 2, v28
	;; [unrolled: 1-line block ×6, first 2 shown]
	s_and_saveexec_b64 s[12:13], vcc
	s_cbranch_execz .LBB285_214
; %bb.213:                              ;   in Loop: Header=BB285_179 Depth=1
	v_lshrrev_b32_e32 v19, 16, v17
	v_cmp_gt_i32_e64 s[0:1], s22, v33
	v_lshrrev_b32_e32 v14, 16, v14
	s_nop 0
	v_cndmask_b32_e64 v19, 0, v19, s[0:1]
	v_cmp_gt_i32_e64 s[0:1], s33, v28
	s_nop 1
	v_cndmask_b32_e64 v17, 0, v17, s[0:1]
	v_perm_b32 v17, v19, v17, s38
	v_lshrrev_b32_e32 v19, 16, v6
	v_cmp_gt_i32_e64 s[0:1], s22, v32
	s_nop 1
	v_cndmask_b32_e64 v19, 0, v19, s[0:1]
	v_cmp_gt_i32_e64 s[0:1], s33, v31
	s_nop 1
	v_cndmask_b32_e64 v6, 0, v6, s[0:1]
	v_perm_b32 v6, v19, v6, s38
	v_lshrrev_b32_e32 v19, 16, v16
	v_cmp_gt_i32_e64 s[0:1], s22, v30
	s_nop 1
	v_cndmask_b32_e64 v19, 0, v19, s[0:1]
	v_cmp_gt_i32_e64 s[0:1], s33, v29
	s_nop 1
	v_cndmask_b32_e64 v16, 0, v16, s[0:1]
	v_cmp_gt_i32_e64 s[0:1], s22, v21
	v_perm_b32 v16, v19, v16, s38
	s_nop 0
	v_cndmask_b32_e64 v14, 0, v14, s[0:1]
	v_cmp_gt_i32_e64 s[0:1], s33, v20
	s_nop 1
	v_cndmask_b32_e64 v18, 0, v18, s[0:1]
	v_perm_b32 v14, v14, v18, s38
.LBB285_214:                            ;   in Loop: Header=BB285_179 Depth=1
	s_or_b64 exec, exec, s[12:13]
	v_and_b32_e32 v18, 0xffff, v34
	v_lshl_or_b32 v37, v35, 16, v18
	v_and_b32_e32 v18, 0xffff, v36
	v_lshl_or_b32 v36, v38, 16, v18
	;; [unrolled: 2-line block ×3, first 2 shown]
	v_and_b32_e32 v18, 0xffff, v41
	;;#ASMSTART
	v_pk_mul_f16 v17, v37, v17;

	;;#ASMEND
	;;#ASMSTART
	v_pk_mul_f16 v6, v36, v6;

	;;#ASMEND
	v_lshl_or_b32 v34, v42, 16, v18
	;;#ASMSTART
	v_pk_mul_f16 v16, v35, v16;

	;;#ASMEND
	;;#ASMSTART
	v_pk_mul_f16 v14, v34, v14;

	;;#ASMEND
	;;#ASMSTART
	v_pk_add_f16 v6, v17, v6;

	;;#ASMEND
	s_mov_b64 s[0:1], 0
	;;#ASMSTART
	v_pk_add_f16 v6, v6, v16;

	;;#ASMEND
                                        ; implicit-def: $sgpr18
	s_nop 0
	;;#ASMSTART
	v_pk_add_f16 v6, v6, v14;

	;;#ASMEND
	s_nop 0
	v_lshrrev_b32_e32 v14, 16, v6
	v_and_b32_e32 v6, 0xffff, v6
	;;#ASMSTART
	v_cvt_f32_f16 v38, v6;
	;;#ASMEND
	;;#ASMSTART
	v_cvt_f32_f16 v39, v14;
	;;#ASMEND
	global_load_dwordx2 v[16:17], v[12:13], off offset:512
	global_load_dword v14, v7, s[14:15]
	s_waitcnt vmcnt(1)
	v_cmp_gt_i16_sdwa s[12:13], v16, s25 src0_sel:BYTE_0 src1_sel:DWORD
	s_and_saveexec_b64 s[16:17], s[12:13]
	s_xor_b64 s[12:13], exec, s[16:17]
	s_cbranch_execnz .LBB285_280
; %bb.215:                              ;   in Loop: Header=BB285_179 Depth=1
	s_or_saveexec_b64 s[12:13], s[12:13]
	v_mov_b32_e32 v12, s18
	s_xor_b64 exec, exec, s[12:13]
	s_cbranch_execnz .LBB285_283
.LBB285_216:                            ;   in Loop: Header=BB285_179 Depth=1
	s_or_b64 exec, exec, s[12:13]
	s_and_saveexec_b64 s[12:13], s[0:1]
	s_cbranch_execz .LBB285_218
.LBB285_217:                            ;   in Loop: Header=BB285_179 Depth=1
	v_and_b32_e32 v6, 7, v16
	v_ffbh_u32_e32 v6, v6
	v_bfe_u32 v12, v16, 3, 4
	v_min_u32_e32 v6, 32, v6
	v_subrev_u32_e32 v13, 28, v6
	v_sub_u32_e32 v6, 29, v6
	v_cmp_eq_u32_e64 s[0:1], 0, v12
	s_nop 1
	v_cndmask_b32_e64 v6, v12, v6, s[0:1]
	v_cndmask_b32_e64 v12, 0, v13, s[0:1]
	v_lshlrev_b64 v[12:13], v12, v[16:17]
	v_lshlrev_b32_e32 v13, 8, v16
	v_lshl_add_u32 v6, v6, 10, v27
	v_lshlrev_b32_e32 v12, 7, v12
	v_and_or_b32 v6, v13, s27, v6
	v_and_or_b32 v6, v12, s34, v6
	v_cvt_f32_f16_e32 v12, v6
.LBB285_218:                            ;   in Loop: Header=BB285_179 Depth=1
	s_or_b64 exec, exec, s[12:13]
	v_lshrrev_b16_e32 v6, 8, v16
	v_cmp_lt_i16_e64 s[0:1], s25, v6
	s_mov_b64 s[12:13], 0
                                        ; implicit-def: $sgpr39
	s_and_saveexec_b64 s[16:17], s[0:1]
	s_xor_b64 s[16:17], exec, s[16:17]
	s_cbranch_execnz .LBB285_284
; %bb.219:                              ;   in Loop: Header=BB285_179 Depth=1
	s_or_saveexec_b64 s[16:17], s[16:17]
	v_mov_b32_e32 v18, s39
	s_xor_b64 exec, exec, s[16:17]
	s_cbranch_execnz .LBB285_287
.LBB285_220:                            ;   in Loop: Header=BB285_179 Depth=1
	s_or_b64 exec, exec, s[16:17]
	s_and_saveexec_b64 s[16:17], s[12:13]
	s_cbranch_execz .LBB285_222
.LBB285_221:                            ;   in Loop: Header=BB285_179 Depth=1
	v_and_b32_e32 v13, 7, v6
	v_ffbh_u32_e32 v18, v13
	v_min_u32_e32 v41, 32, v18
	v_subrev_u32_e32 v18, 28, v41
	v_bfe_u32 v40, v6, 3, 4
	v_lshlrev_b64 v[18:19], v18, v[6:7]
	v_sub_u32_e32 v19, 29, v41
	v_cmp_eq_u32_e64 s[0:1], 0, v40
	v_and_b32_e32 v18, 7, v18
	v_lshlrev_b32_e32 v6, 8, v6
	v_cndmask_b32_e64 v19, v40, v19, s[0:1]
	v_cndmask_b32_e64 v13, v13, v18, s[0:1]
	v_lshl_add_u32 v18, v19, 10, v27
	v_and_or_b32 v6, v6, s27, v18
	v_lshl_or_b32 v6, v13, 7, v6
	v_cvt_f32_f16_e32 v18, v6
.LBB285_222:                            ;   in Loop: Header=BB285_179 Depth=1
	s_or_b64 exec, exec, s[16:17]
	v_lshrrev_b32_e32 v6, 16, v16
	v_cmp_gt_i16_sdwa s[12:13], v6, s25 src0_sel:BYTE_0 src1_sel:DWORD
	s_mov_b64 s[0:1], 0
                                        ; implicit-def: $sgpr18
	s_and_saveexec_b64 s[16:17], s[12:13]
	s_xor_b64 s[12:13], exec, s[16:17]
	s_cbranch_execnz .LBB285_288
; %bb.223:                              ;   in Loop: Header=BB285_179 Depth=1
	s_or_saveexec_b64 s[12:13], s[12:13]
	v_mov_b32_e32 v13, s18
	s_xor_b64 exec, exec, s[12:13]
	s_cbranch_execnz .LBB285_291
.LBB285_224:                            ;   in Loop: Header=BB285_179 Depth=1
	s_or_b64 exec, exec, s[12:13]
	s_and_saveexec_b64 s[12:13], s[0:1]
	s_cbranch_execz .LBB285_226
.LBB285_225:                            ;   in Loop: Header=BB285_179 Depth=1
	v_bfe_u32 v13, v16, 16, 3
	v_ffbh_u32_e32 v40, v13
	v_min_u32_e32 v42, 32, v40
	v_subrev_u32_e32 v40, 28, v42
	v_bfe_u32 v19, v16, 19, 4
	v_lshlrev_b64 v[40:41], v40, v[6:7]
	v_sub_u32_e32 v41, 29, v42
	v_cmp_eq_u32_e64 s[0:1], 0, v19
	v_and_b32_e32 v40, 7, v40
	v_lshlrev_b32_e32 v6, 8, v6
	v_cndmask_b32_e64 v19, v19, v41, s[0:1]
	v_lshl_add_u32 v19, v19, 10, v27
	v_cndmask_b32_e64 v13, v13, v40, s[0:1]
	v_and_or_b32 v6, v6, s27, v19
	v_lshl_or_b32 v6, v13, 7, v6
	v_cvt_f32_f16_e32 v13, v6
.LBB285_226:                            ;   in Loop: Header=BB285_179 Depth=1
	s_or_b64 exec, exec, s[12:13]
	v_lshrrev_b32_e32 v6, 24, v16
	v_cmp_lt_i16_e64 s[0:1], s25, v6
	s_mov_b64 s[12:13], 0
                                        ; implicit-def: $sgpr39
	s_and_saveexec_b64 s[16:17], s[0:1]
	s_xor_b64 s[16:17], exec, s[16:17]
	s_cbranch_execnz .LBB285_292
; %bb.227:                              ;   in Loop: Header=BB285_179 Depth=1
	s_or_saveexec_b64 s[16:17], s[16:17]
	v_mov_b32_e32 v19, s39
	s_xor_b64 exec, exec, s[16:17]
	s_cbranch_execnz .LBB285_295
.LBB285_228:                            ;   in Loop: Header=BB285_179 Depth=1
	s_or_b64 exec, exec, s[16:17]
	s_and_saveexec_b64 s[16:17], s[12:13]
	s_cbranch_execz .LBB285_230
.LBB285_229:                            ;   in Loop: Header=BB285_179 Depth=1
	v_bfe_u32 v19, v16, 24, 3
	v_ffbh_u32_e32 v40, v19
	v_min_u32_e32 v42, 32, v40
	v_subrev_u32_e32 v40, 28, v42
	v_bfe_u32 v16, v16, 27, 4
	v_lshlrev_b64 v[40:41], v40, v[6:7]
	v_sub_u32_e32 v41, 29, v42
	v_cmp_eq_u32_e64 s[0:1], 0, v16
	v_and_b32_e32 v40, 7, v40
	v_lshlrev_b32_e32 v6, 8, v6
	v_cndmask_b32_e64 v16, v16, v41, s[0:1]
	v_lshl_add_u32 v16, v16, 10, v27
	v_cndmask_b32_e64 v19, v19, v40, s[0:1]
	v_and_or_b32 v6, v6, s27, v16
	v_lshl_or_b32 v6, v19, 7, v6
	v_cvt_f32_f16_e32 v19, v6
.LBB285_230:                            ;   in Loop: Header=BB285_179 Depth=1
	s_or_b64 exec, exec, s[16:17]
	v_cmp_gt_i16_sdwa s[12:13], v17, s25 src0_sel:BYTE_0 src1_sel:DWORD
	s_mov_b64 s[0:1], 0
                                        ; implicit-def: $sgpr18
	s_and_saveexec_b64 s[16:17], s[12:13]
	s_xor_b64 s[12:13], exec, s[16:17]
	s_cbranch_execnz .LBB285_296
; %bb.231:                              ;   in Loop: Header=BB285_179 Depth=1
	s_or_saveexec_b64 s[12:13], s[12:13]
	v_mov_b32_e32 v16, s18
	s_xor_b64 exec, exec, s[12:13]
	s_cbranch_execnz .LBB285_299
.LBB285_232:                            ;   in Loop: Header=BB285_179 Depth=1
	s_or_b64 exec, exec, s[12:13]
	v_mov_b32_e32 v6, v17
	s_and_saveexec_b64 s[12:13], s[0:1]
	s_cbranch_execz .LBB285_234
.LBB285_233:                            ;   in Loop: Header=BB285_179 Depth=1
	v_and_b32_e32 v16, 7, v17
	v_ffbh_u32_e32 v16, v16
	v_bfe_u32 v40, v17, 3, 4
	v_min_u32_e32 v16, 32, v16
	v_subrev_u32_e32 v41, 28, v16
	v_sub_u32_e32 v16, 29, v16
	v_cmp_eq_u32_e64 s[0:1], 0, v40
	s_nop 1
	v_cndmask_b32_e64 v16, v40, v16, s[0:1]
	v_cndmask_b32_e64 v40, 0, v41, s[0:1]
	v_lshlrev_b64 v[40:41], v40, v[6:7]
	v_lshlrev_b32_e32 v41, 8, v17
	v_lshl_add_u32 v16, v16, 10, v27
	v_lshlrev_b32_e32 v40, 7, v40
	v_and_or_b32 v16, v41, s27, v16
	v_and_or_b32 v16, v40, s34, v16
	v_cvt_f32_f16_e32 v16, v16
.LBB285_234:                            ;   in Loop: Header=BB285_179 Depth=1
	s_or_b64 exec, exec, s[12:13]
	v_lshrrev_b16_e32 v6, 8, v6
	v_cmp_lt_i16_e64 s[0:1], s25, v6
	s_mov_b64 s[12:13], 0
                                        ; implicit-def: $sgpr39
	s_and_saveexec_b64 s[16:17], s[0:1]
	s_xor_b64 s[16:17], exec, s[16:17]
	s_cbranch_execnz .LBB285_300
; %bb.235:                              ;   in Loop: Header=BB285_179 Depth=1
	s_or_saveexec_b64 s[16:17], s[16:17]
	v_mov_b32_e32 v40, s39
	s_xor_b64 exec, exec, s[16:17]
	s_cbranch_execnz .LBB285_303
.LBB285_236:                            ;   in Loop: Header=BB285_179 Depth=1
	s_or_b64 exec, exec, s[16:17]
	s_and_saveexec_b64 s[16:17], s[12:13]
	s_cbranch_execz .LBB285_238
.LBB285_237:                            ;   in Loop: Header=BB285_179 Depth=1
	v_and_b32_e32 v42, 7, v6
	v_ffbh_u32_e32 v40, v42
	v_min_u32_e32 v44, 32, v40
	v_subrev_u32_e32 v40, 28, v44
	v_bfe_u32 v43, v6, 3, 4
	v_lshlrev_b64 v[40:41], v40, v[6:7]
	v_sub_u32_e32 v41, 29, v44
	v_cmp_eq_u32_e64 s[0:1], 0, v43
	v_and_b32_e32 v40, 7, v40
	v_lshlrev_b32_e32 v6, 8, v6
	v_cndmask_b32_e64 v41, v43, v41, s[0:1]
	v_lshl_add_u32 v41, v41, 10, v27
	v_cndmask_b32_e64 v40, v42, v40, s[0:1]
	v_and_or_b32 v6, v6, s27, v41
	v_lshl_or_b32 v6, v40, 7, v6
	v_cvt_f32_f16_e32 v40, v6
.LBB285_238:                            ;   in Loop: Header=BB285_179 Depth=1
	s_or_b64 exec, exec, s[16:17]
	v_lshrrev_b32_e32 v6, 16, v17
	v_cmp_gt_i16_sdwa s[12:13], v6, s25 src0_sel:BYTE_0 src1_sel:DWORD
	s_mov_b64 s[0:1], 0
                                        ; implicit-def: $sgpr18
	s_and_saveexec_b64 s[16:17], s[12:13]
	s_xor_b64 s[12:13], exec, s[16:17]
	s_cbranch_execnz .LBB285_304
; %bb.239:                              ;   in Loop: Header=BB285_179 Depth=1
	s_or_saveexec_b64 s[12:13], s[12:13]
	v_mov_b32_e32 v41, s18
	s_xor_b64 exec, exec, s[12:13]
	s_cbranch_execnz .LBB285_307
.LBB285_240:                            ;   in Loop: Header=BB285_179 Depth=1
	s_or_b64 exec, exec, s[12:13]
	s_and_saveexec_b64 s[12:13], s[0:1]
	s_cbranch_execz .LBB285_242
.LBB285_241:                            ;   in Loop: Header=BB285_179 Depth=1
	v_bfe_u32 v41, v17, 16, 3
	v_ffbh_u32_e32 v42, v41
	v_min_u32_e32 v45, 32, v42
	v_subrev_u32_e32 v42, 28, v45
	v_bfe_u32 v44, v17, 19, 4
	v_lshlrev_b64 v[42:43], v42, v[6:7]
	v_sub_u32_e32 v43, 29, v45
	v_cmp_eq_u32_e64 s[0:1], 0, v44
	v_and_b32_e32 v42, 7, v42
	v_lshlrev_b32_e32 v6, 8, v6
	v_cndmask_b32_e64 v43, v44, v43, s[0:1]
	v_cndmask_b32_e64 v41, v41, v42, s[0:1]
	v_lshl_add_u32 v42, v43, 10, v27
	v_and_or_b32 v6, v6, s27, v42
	v_lshl_or_b32 v6, v41, 7, v6
	v_cvt_f32_f16_e32 v41, v6
.LBB285_242:                            ;   in Loop: Header=BB285_179 Depth=1
	s_or_b64 exec, exec, s[12:13]
	v_lshrrev_b32_e32 v6, 24, v17
	v_cmp_lt_i16_e64 s[0:1], s25, v6
	s_mov_b64 s[12:13], 0
                                        ; implicit-def: $sgpr39
	s_and_saveexec_b64 s[16:17], s[0:1]
	s_xor_b64 s[16:17], exec, s[16:17]
	s_cbranch_execnz .LBB285_308
; %bb.243:                              ;   in Loop: Header=BB285_179 Depth=1
	s_or_saveexec_b64 s[16:17], s[16:17]
	v_mov_b32_e32 v42, s39
	s_xor_b64 exec, exec, s[16:17]
	s_cbranch_execnz .LBB285_311
.LBB285_244:                            ;   in Loop: Header=BB285_179 Depth=1
	s_or_b64 exec, exec, s[16:17]
	s_and_saveexec_b64 s[16:17], s[12:13]
	s_cbranch_execz .LBB285_246
.LBB285_245:                            ;   in Loop: Header=BB285_179 Depth=1
	v_bfe_u32 v44, v17, 24, 3
	v_ffbh_u32_e32 v42, v44
	v_min_u32_e32 v45, 32, v42
	v_subrev_u32_e32 v42, 28, v45
	v_bfe_u32 v17, v17, 27, 4
	v_lshlrev_b64 v[42:43], v42, v[6:7]
	v_sub_u32_e32 v43, 29, v45
	v_cmp_eq_u32_e64 s[0:1], 0, v17
	v_and_b32_e32 v42, 7, v42
	v_lshlrev_b32_e32 v6, 8, v6
	v_cndmask_b32_e64 v17, v17, v43, s[0:1]
	v_lshl_add_u32 v17, v17, 10, v27
	v_cndmask_b32_e64 v42, v44, v42, s[0:1]
	v_and_or_b32 v6, v6, s27, v17
	v_lshl_or_b32 v6, v42, 7, v6
	v_cvt_f32_f16_e32 v42, v6
.LBB285_246:                            ;   in Loop: Header=BB285_179 Depth=1
	s_or_b64 exec, exec, s[16:17]
	s_waitcnt vmcnt(0)
	v_pk_mul_f32 v[18:19], v[14:15], v[18:19] op_sel_hi:[0,1]
	v_pk_mul_f32 v[12:13], v[14:15], v[12:13] op_sel_hi:[0,1]
	v_cvt_f16_f32_e32 v6, v19
	v_cvt_f16_f32_e32 v17, v18
	;; [unrolled: 1-line block ×4, first 2 shown]
	v_fma_mixlo_f16 v16, v14, v16, 0
	v_pack_b32_f16 v17, v17, v6
	v_pack_b32_f16 v12, v12, v13
	v_perm_b32 v6, v12, v17, s36
	v_perm_b32 v13, v12, v17, s37
	v_fma_mixlo_f16 v12, v14, v40, 0
	v_lshlrev_b32_e32 v12, 16, v12
	v_or_b32_sdwa v12, v12, v16 dst_sel:DWORD dst_unused:UNUSED_PAD src0_sel:DWORD src1_sel:WORD_0
	v_fma_mixlo_f16 v16, v14, v41, 0
	v_fma_mixlo_f16 v14, v14, v42, 0
	v_lshlrev_b32_e32 v14, 16, v14
	v_or_b32_sdwa v14, v14, v16 dst_sel:DWORD dst_unused:UNUSED_PAD src0_sel:DWORD src1_sel:WORD_0
	s_and_saveexec_b64 s[0:1], vcc
	s_cbranch_execz .LBB285_177
; %bb.247:                              ;   in Loop: Header=BB285_179 Depth=1
	v_lshrrev_b32_e32 v17, 16, v13
	v_cmp_gt_i32_e32 vcc, s22, v33
	v_lshrrev_b32_e32 v14, 16, v14
	s_nop 0
	v_cndmask_b32_e32 v17, 0, v17, vcc
	v_cmp_gt_i32_e32 vcc, s33, v28
	s_nop 1
	v_cndmask_b32_e32 v13, 0, v13, vcc
	v_perm_b32 v13, v17, v13, s38
	v_lshrrev_b32_e32 v17, 16, v6
	v_cmp_gt_i32_e32 vcc, s22, v32
	s_nop 1
	v_cndmask_b32_e32 v17, 0, v17, vcc
	v_cmp_gt_i32_e32 vcc, s33, v31
	s_nop 1
	v_cndmask_b32_e32 v6, 0, v6, vcc
	v_perm_b32 v6, v17, v6, s38
	v_lshrrev_b32_e32 v17, 16, v12
	v_cmp_gt_i32_e32 vcc, s22, v30
	s_nop 1
	v_cndmask_b32_e32 v17, 0, v17, vcc
	v_cmp_gt_i32_e32 vcc, s33, v29
	s_nop 1
	v_cndmask_b32_e32 v12, 0, v12, vcc
	v_cmp_gt_i32_e32 vcc, s22, v21
	v_perm_b32 v12, v17, v12, s38
	s_nop 0
	v_cndmask_b32_e32 v14, 0, v14, vcc
	v_cmp_gt_i32_e32 vcc, s33, v20
	s_nop 1
	v_cndmask_b32_e32 v16, 0, v16, vcc
	v_perm_b32 v14, v14, v16, s38
	s_branch .LBB285_177
.LBB285_248:                            ;   in Loop: Header=BB285_179 Depth=1
	v_cmp_eq_u16_sdwa s[40:41], v16, s26 src0_sel:BYTE_0 src1_sel:DWORD
	s_mov_b64 s[0:1], -1
                                        ; implicit-def: $sgpr18
	s_and_saveexec_b64 s[16:17], s[40:41]
; %bb.249:                              ;   in Loop: Header=BB285_179 Depth=1
	s_mov_b32 s18, 0x7fc02000
	s_xor_b64 s[0:1], exec, -1
; %bb.250:                              ;   in Loop: Header=BB285_179 Depth=1
	s_or_b64 exec, exec, s[16:17]
	s_and_b64 s[0:1], s[0:1], exec
	s_or_saveexec_b64 s[12:13], s[12:13]
	v_mov_b32_e32 v18, s18
	s_xor_b64 exec, exec, s[12:13]
	s_cbranch_execz .LBB285_182
.LBB285_251:                            ;   in Loop: Header=BB285_179 Depth=1
	v_cmp_ne_u16_sdwa s[16:17], v16, v7 src0_sel:BYTE_0 src1_sel:DWORD
	s_andn2_b64 s[0:1], s[0:1], exec
	s_and_b64 s[16:17], s[16:17], exec
	v_mov_b32_e32 v18, 0
	s_or_b64 s[0:1], s[0:1], s[16:17]
	s_or_b64 exec, exec, s[12:13]
	s_and_saveexec_b64 s[12:13], s[0:1]
	s_cbranch_execnz .LBB285_183
	s_branch .LBB285_184
.LBB285_252:                            ;   in Loop: Header=BB285_179 Depth=1
	v_cmp_eq_u16_e32 vcc, s26, v6
	s_mov_b64 s[0:1], -1
                                        ; implicit-def: $sgpr18
	s_and_saveexec_b64 s[16:17], vcc
; %bb.253:                              ;   in Loop: Header=BB285_179 Depth=1
	s_mov_b32 s18, 0x7fc02000
	s_xor_b64 s[0:1], exec, -1
; %bb.254:                              ;   in Loop: Header=BB285_179 Depth=1
	s_or_b64 exec, exec, s[16:17]
	s_and_b64 s[0:1], s[0:1], exec
	s_or_saveexec_b64 s[12:13], s[12:13]
	v_mov_b32_e32 v20, s18
	s_xor_b64 exec, exec, s[12:13]
	s_cbranch_execz .LBB285_186
.LBB285_255:                            ;   in Loop: Header=BB285_179 Depth=1
	v_cmp_ne_u16_e32 vcc, 0, v6
	s_andn2_b64 s[0:1], s[0:1], exec
	s_and_b64 s[16:17], vcc, exec
	v_mov_b32_e32 v20, 0
	s_or_b64 s[0:1], s[0:1], s[16:17]
	s_or_b64 exec, exec, s[12:13]
	s_and_saveexec_b64 s[12:13], s[0:1]
	s_cbranch_execnz .LBB285_187
	s_branch .LBB285_188
.LBB285_256:                            ;   in Loop: Header=BB285_179 Depth=1
	v_cmp_eq_u16_sdwa s[40:41], v6, s26 src0_sel:BYTE_0 src1_sel:DWORD
	s_mov_b64 s[0:1], -1
                                        ; implicit-def: $sgpr18
	s_and_saveexec_b64 s[16:17], s[40:41]
; %bb.257:                              ;   in Loop: Header=BB285_179 Depth=1
	s_mov_b32 s18, 0x7fc02000
	s_xor_b64 s[0:1], exec, -1
; %bb.258:                              ;   in Loop: Header=BB285_179 Depth=1
	s_or_b64 exec, exec, s[16:17]
	s_and_b64 s[0:1], s[0:1], exec
	s_or_saveexec_b64 s[12:13], s[12:13]
	v_mov_b32_e32 v19, s18
	s_xor_b64 exec, exec, s[12:13]
	s_cbranch_execz .LBB285_190
.LBB285_259:                            ;   in Loop: Header=BB285_179 Depth=1
	v_cmp_ne_u16_sdwa s[16:17], v6, v7 src0_sel:BYTE_0 src1_sel:DWORD
	s_andn2_b64 s[0:1], s[0:1], exec
	s_and_b64 s[16:17], s[16:17], exec
	v_mov_b32_e32 v19, 0
	s_or_b64 s[0:1], s[0:1], s[16:17]
	s_or_b64 exec, exec, s[12:13]
	s_and_saveexec_b64 s[12:13], s[0:1]
	s_cbranch_execnz .LBB285_191
	s_branch .LBB285_192
.LBB285_260:                            ;   in Loop: Header=BB285_179 Depth=1
	v_cmp_eq_u16_e32 vcc, s26, v6
	s_mov_b64 s[0:1], -1
                                        ; implicit-def: $sgpr18
	s_and_saveexec_b64 s[16:17], vcc
; %bb.261:                              ;   in Loop: Header=BB285_179 Depth=1
	s_mov_b32 s18, 0x7fc02000
	s_xor_b64 s[0:1], exec, -1
; %bb.262:                              ;   in Loop: Header=BB285_179 Depth=1
	s_or_b64 exec, exec, s[16:17]
	s_and_b64 s[0:1], s[0:1], exec
	s_or_saveexec_b64 s[12:13], s[12:13]
	v_mov_b32_e32 v21, s18
	s_xor_b64 exec, exec, s[12:13]
	s_cbranch_execz .LBB285_194
.LBB285_263:                            ;   in Loop: Header=BB285_179 Depth=1
	v_cmp_ne_u16_e32 vcc, 0, v6
	s_andn2_b64 s[0:1], s[0:1], exec
	s_and_b64 s[16:17], vcc, exec
	v_mov_b32_e32 v21, 0
	s_or_b64 s[0:1], s[0:1], s[16:17]
	s_or_b64 exec, exec, s[12:13]
	s_and_saveexec_b64 s[12:13], s[0:1]
	s_cbranch_execnz .LBB285_195
	s_branch .LBB285_196
.LBB285_264:                            ;   in Loop: Header=BB285_179 Depth=1
	v_cmp_eq_u16_sdwa s[40:41], v17, s26 src0_sel:BYTE_0 src1_sel:DWORD
	s_mov_b64 s[0:1], -1
                                        ; implicit-def: $sgpr18
	s_and_saveexec_b64 s[16:17], s[40:41]
; %bb.265:                              ;   in Loop: Header=BB285_179 Depth=1
	s_mov_b32 s18, 0x7fc02000
	s_xor_b64 s[0:1], exec, -1
; %bb.266:                              ;   in Loop: Header=BB285_179 Depth=1
	s_or_b64 exec, exec, s[16:17]
	s_and_b64 s[0:1], s[0:1], exec
	s_or_saveexec_b64 s[12:13], s[12:13]
	v_mov_b32_e32 v16, s18
	s_xor_b64 exec, exec, s[12:13]
	s_cbranch_execz .LBB285_198
.LBB285_267:                            ;   in Loop: Header=BB285_179 Depth=1
	v_cmp_ne_u16_sdwa s[16:17], v17, v7 src0_sel:BYTE_0 src1_sel:DWORD
	s_andn2_b64 s[0:1], s[0:1], exec
	s_and_b64 s[16:17], s[16:17], exec
	v_mov_b32_e32 v16, 0
	s_or_b64 s[0:1], s[0:1], s[16:17]
	s_or_b64 exec, exec, s[12:13]
	v_mov_b32_e32 v6, v17
	s_and_saveexec_b64 s[12:13], s[0:1]
	s_cbranch_execnz .LBB285_199
	s_branch .LBB285_200
.LBB285_268:                            ;   in Loop: Header=BB285_179 Depth=1
	v_cmp_eq_u16_e32 vcc, s26, v6
	s_mov_b64 s[0:1], -1
                                        ; implicit-def: $sgpr18
	s_and_saveexec_b64 s[16:17], vcc
; %bb.269:                              ;   in Loop: Header=BB285_179 Depth=1
	s_mov_b32 s18, 0x7fc02000
	s_xor_b64 s[0:1], exec, -1
; %bb.270:                              ;   in Loop: Header=BB285_179 Depth=1
	s_or_b64 exec, exec, s[16:17]
	s_and_b64 s[0:1], s[0:1], exec
	s_or_saveexec_b64 s[12:13], s[12:13]
	v_mov_b32_e32 v29, s18
	s_xor_b64 exec, exec, s[12:13]
	s_cbranch_execz .LBB285_202
.LBB285_271:                            ;   in Loop: Header=BB285_179 Depth=1
	v_cmp_ne_u16_e32 vcc, 0, v6
	s_andn2_b64 s[0:1], s[0:1], exec
	s_and_b64 s[16:17], vcc, exec
	v_mov_b32_e32 v29, 0
	s_or_b64 s[0:1], s[0:1], s[16:17]
	s_or_b64 exec, exec, s[12:13]
	s_and_saveexec_b64 s[12:13], s[0:1]
	s_cbranch_execnz .LBB285_203
	s_branch .LBB285_204
.LBB285_272:                            ;   in Loop: Header=BB285_179 Depth=1
	v_cmp_eq_u16_sdwa s[40:41], v6, s26 src0_sel:BYTE_0 src1_sel:DWORD
	s_mov_b64 s[0:1], -1
                                        ; implicit-def: $sgpr18
	s_and_saveexec_b64 s[16:17], s[40:41]
; %bb.273:                              ;   in Loop: Header=BB285_179 Depth=1
	s_mov_b32 s18, 0x7fc02000
	s_xor_b64 s[0:1], exec, -1
; %bb.274:                              ;   in Loop: Header=BB285_179 Depth=1
	s_or_b64 exec, exec, s[16:17]
	s_and_b64 s[0:1], s[0:1], exec
	s_or_saveexec_b64 s[12:13], s[12:13]
	v_mov_b32_e32 v30, s18
	s_xor_b64 exec, exec, s[12:13]
	s_cbranch_execz .LBB285_206
.LBB285_275:                            ;   in Loop: Header=BB285_179 Depth=1
	v_cmp_ne_u16_sdwa s[16:17], v6, v7 src0_sel:BYTE_0 src1_sel:DWORD
	s_andn2_b64 s[0:1], s[0:1], exec
	s_and_b64 s[16:17], s[16:17], exec
	v_mov_b32_e32 v30, 0
	s_or_b64 s[0:1], s[0:1], s[16:17]
	s_or_b64 exec, exec, s[12:13]
	s_and_saveexec_b64 s[12:13], s[0:1]
	s_cbranch_execnz .LBB285_207
	s_branch .LBB285_208
.LBB285_276:                            ;   in Loop: Header=BB285_179 Depth=1
	v_cmp_eq_u16_e32 vcc, s26, v6
	s_mov_b64 s[0:1], -1
                                        ; implicit-def: $sgpr18
	s_and_saveexec_b64 s[16:17], vcc
; %bb.277:                              ;   in Loop: Header=BB285_179 Depth=1
	s_mov_b32 s18, 0x7fc02000
	s_xor_b64 s[0:1], exec, -1
; %bb.278:                              ;   in Loop: Header=BB285_179 Depth=1
	s_or_b64 exec, exec, s[16:17]
	s_and_b64 s[0:1], s[0:1], exec
	s_or_saveexec_b64 s[12:13], s[12:13]
	v_mov_b32_e32 v31, s18
	s_xor_b64 exec, exec, s[12:13]
	s_cbranch_execz .LBB285_210
.LBB285_279:                            ;   in Loop: Header=BB285_179 Depth=1
	v_cmp_ne_u16_e32 vcc, 0, v6
	s_andn2_b64 s[0:1], s[0:1], exec
	s_and_b64 s[16:17], vcc, exec
	v_mov_b32_e32 v31, 0
	s_or_b64 s[0:1], s[0:1], s[16:17]
	s_or_b64 exec, exec, s[12:13]
	s_and_saveexec_b64 s[12:13], s[0:1]
	s_cbranch_execnz .LBB285_211
	s_branch .LBB285_212
.LBB285_280:                            ;   in Loop: Header=BB285_179 Depth=1
	v_cmp_eq_u16_sdwa s[40:41], v16, s26 src0_sel:BYTE_0 src1_sel:DWORD
	s_mov_b64 s[0:1], -1
                                        ; implicit-def: $sgpr18
	s_and_saveexec_b64 s[16:17], s[40:41]
; %bb.281:                              ;   in Loop: Header=BB285_179 Depth=1
	s_mov_b32 s18, 0x7fc02000
	s_xor_b64 s[0:1], exec, -1
; %bb.282:                              ;   in Loop: Header=BB285_179 Depth=1
	s_or_b64 exec, exec, s[16:17]
	s_and_b64 s[0:1], s[0:1], exec
	s_or_saveexec_b64 s[12:13], s[12:13]
	v_mov_b32_e32 v12, s18
	s_xor_b64 exec, exec, s[12:13]
	s_cbranch_execz .LBB285_216
.LBB285_283:                            ;   in Loop: Header=BB285_179 Depth=1
	v_cmp_ne_u16_sdwa s[16:17], v16, v7 src0_sel:BYTE_0 src1_sel:DWORD
	s_andn2_b64 s[0:1], s[0:1], exec
	s_and_b64 s[16:17], s[16:17], exec
	v_mov_b32_e32 v12, 0
	s_or_b64 s[0:1], s[0:1], s[16:17]
	s_or_b64 exec, exec, s[12:13]
	s_and_saveexec_b64 s[12:13], s[0:1]
	s_cbranch_execnz .LBB285_217
	s_branch .LBB285_218
.LBB285_284:                            ;   in Loop: Header=BB285_179 Depth=1
	v_cmp_eq_u16_e64 s[0:1], s26, v6
	s_mov_b64 s[12:13], -1
                                        ; implicit-def: $sgpr39
	s_and_saveexec_b64 s[18:19], s[0:1]
; %bb.285:                              ;   in Loop: Header=BB285_179 Depth=1
	s_mov_b32 s39, 0x7fc02000
	s_xor_b64 s[12:13], exec, -1
; %bb.286:                              ;   in Loop: Header=BB285_179 Depth=1
	s_or_b64 exec, exec, s[18:19]
	s_and_b64 s[12:13], s[12:13], exec
	s_or_saveexec_b64 s[16:17], s[16:17]
	v_mov_b32_e32 v18, s39
	s_xor_b64 exec, exec, s[16:17]
	s_cbranch_execz .LBB285_220
.LBB285_287:                            ;   in Loop: Header=BB285_179 Depth=1
	v_cmp_ne_u16_e64 s[0:1], 0, v6
	s_andn2_b64 s[12:13], s[12:13], exec
	s_and_b64 s[0:1], s[0:1], exec
	v_mov_b32_e32 v18, 0
	s_or_b64 s[12:13], s[12:13], s[0:1]
	s_or_b64 exec, exec, s[16:17]
	s_and_saveexec_b64 s[16:17], s[12:13]
	s_cbranch_execnz .LBB285_221
	s_branch .LBB285_222
.LBB285_288:                            ;   in Loop: Header=BB285_179 Depth=1
	v_cmp_eq_u16_sdwa s[40:41], v6, s26 src0_sel:BYTE_0 src1_sel:DWORD
	s_mov_b64 s[0:1], -1
                                        ; implicit-def: $sgpr18
	s_and_saveexec_b64 s[16:17], s[40:41]
; %bb.289:                              ;   in Loop: Header=BB285_179 Depth=1
	s_mov_b32 s18, 0x7fc02000
	s_xor_b64 s[0:1], exec, -1
; %bb.290:                              ;   in Loop: Header=BB285_179 Depth=1
	s_or_b64 exec, exec, s[16:17]
	s_and_b64 s[0:1], s[0:1], exec
	s_or_saveexec_b64 s[12:13], s[12:13]
	v_mov_b32_e32 v13, s18
	s_xor_b64 exec, exec, s[12:13]
	s_cbranch_execz .LBB285_224
.LBB285_291:                            ;   in Loop: Header=BB285_179 Depth=1
	v_cmp_ne_u16_sdwa s[16:17], v6, v7 src0_sel:BYTE_0 src1_sel:DWORD
	s_andn2_b64 s[0:1], s[0:1], exec
	s_and_b64 s[16:17], s[16:17], exec
	v_mov_b32_e32 v13, 0
	s_or_b64 s[0:1], s[0:1], s[16:17]
	s_or_b64 exec, exec, s[12:13]
	s_and_saveexec_b64 s[12:13], s[0:1]
	s_cbranch_execnz .LBB285_225
	s_branch .LBB285_226
.LBB285_292:                            ;   in Loop: Header=BB285_179 Depth=1
	v_cmp_eq_u16_e64 s[0:1], s26, v6
	s_mov_b64 s[12:13], -1
                                        ; implicit-def: $sgpr39
	s_and_saveexec_b64 s[18:19], s[0:1]
; %bb.293:                              ;   in Loop: Header=BB285_179 Depth=1
	s_mov_b32 s39, 0x7fc02000
	s_xor_b64 s[12:13], exec, -1
; %bb.294:                              ;   in Loop: Header=BB285_179 Depth=1
	s_or_b64 exec, exec, s[18:19]
	s_and_b64 s[12:13], s[12:13], exec
	s_or_saveexec_b64 s[16:17], s[16:17]
	v_mov_b32_e32 v19, s39
	s_xor_b64 exec, exec, s[16:17]
	s_cbranch_execz .LBB285_228
.LBB285_295:                            ;   in Loop: Header=BB285_179 Depth=1
	v_cmp_ne_u16_e64 s[0:1], 0, v6
	s_andn2_b64 s[12:13], s[12:13], exec
	s_and_b64 s[0:1], s[0:1], exec
	v_mov_b32_e32 v19, 0
	s_or_b64 s[12:13], s[12:13], s[0:1]
	s_or_b64 exec, exec, s[16:17]
	s_and_saveexec_b64 s[16:17], s[12:13]
	s_cbranch_execnz .LBB285_229
	s_branch .LBB285_230
.LBB285_296:                            ;   in Loop: Header=BB285_179 Depth=1
	v_cmp_eq_u16_sdwa s[40:41], v17, s26 src0_sel:BYTE_0 src1_sel:DWORD
	s_mov_b64 s[0:1], -1
                                        ; implicit-def: $sgpr18
	s_and_saveexec_b64 s[16:17], s[40:41]
; %bb.297:                              ;   in Loop: Header=BB285_179 Depth=1
	s_mov_b32 s18, 0x7fc02000
	s_xor_b64 s[0:1], exec, -1
; %bb.298:                              ;   in Loop: Header=BB285_179 Depth=1
	s_or_b64 exec, exec, s[16:17]
	s_and_b64 s[0:1], s[0:1], exec
	s_or_saveexec_b64 s[12:13], s[12:13]
	v_mov_b32_e32 v16, s18
	s_xor_b64 exec, exec, s[12:13]
	s_cbranch_execz .LBB285_232
.LBB285_299:                            ;   in Loop: Header=BB285_179 Depth=1
	v_cmp_ne_u16_sdwa s[16:17], v17, v7 src0_sel:BYTE_0 src1_sel:DWORD
	s_andn2_b64 s[0:1], s[0:1], exec
	s_and_b64 s[16:17], s[16:17], exec
	v_mov_b32_e32 v16, 0
	s_or_b64 s[0:1], s[0:1], s[16:17]
	s_or_b64 exec, exec, s[12:13]
	v_mov_b32_e32 v6, v17
	s_and_saveexec_b64 s[12:13], s[0:1]
	s_cbranch_execnz .LBB285_233
	s_branch .LBB285_234
.LBB285_300:                            ;   in Loop: Header=BB285_179 Depth=1
	v_cmp_eq_u16_e64 s[0:1], s26, v6
	s_mov_b64 s[12:13], -1
                                        ; implicit-def: $sgpr39
	s_and_saveexec_b64 s[18:19], s[0:1]
; %bb.301:                              ;   in Loop: Header=BB285_179 Depth=1
	s_mov_b32 s39, 0x7fc02000
	s_xor_b64 s[12:13], exec, -1
; %bb.302:                              ;   in Loop: Header=BB285_179 Depth=1
	s_or_b64 exec, exec, s[18:19]
	s_and_b64 s[12:13], s[12:13], exec
	s_or_saveexec_b64 s[16:17], s[16:17]
	v_mov_b32_e32 v40, s39
	s_xor_b64 exec, exec, s[16:17]
	s_cbranch_execz .LBB285_236
.LBB285_303:                            ;   in Loop: Header=BB285_179 Depth=1
	v_cmp_ne_u16_e64 s[0:1], 0, v6
	s_andn2_b64 s[12:13], s[12:13], exec
	s_and_b64 s[0:1], s[0:1], exec
	v_mov_b32_e32 v40, 0
	s_or_b64 s[12:13], s[12:13], s[0:1]
	s_or_b64 exec, exec, s[16:17]
	s_and_saveexec_b64 s[16:17], s[12:13]
	s_cbranch_execnz .LBB285_237
	s_branch .LBB285_238
.LBB285_304:                            ;   in Loop: Header=BB285_179 Depth=1
	v_cmp_eq_u16_sdwa s[40:41], v6, s26 src0_sel:BYTE_0 src1_sel:DWORD
	s_mov_b64 s[0:1], -1
                                        ; implicit-def: $sgpr18
	s_and_saveexec_b64 s[16:17], s[40:41]
; %bb.305:                              ;   in Loop: Header=BB285_179 Depth=1
	s_mov_b32 s18, 0x7fc02000
	s_xor_b64 s[0:1], exec, -1
; %bb.306:                              ;   in Loop: Header=BB285_179 Depth=1
	s_or_b64 exec, exec, s[16:17]
	s_and_b64 s[0:1], s[0:1], exec
	s_or_saveexec_b64 s[12:13], s[12:13]
	v_mov_b32_e32 v41, s18
	s_xor_b64 exec, exec, s[12:13]
	s_cbranch_execz .LBB285_240
.LBB285_307:                            ;   in Loop: Header=BB285_179 Depth=1
	v_cmp_ne_u16_sdwa s[16:17], v6, v7 src0_sel:BYTE_0 src1_sel:DWORD
	s_andn2_b64 s[0:1], s[0:1], exec
	s_and_b64 s[16:17], s[16:17], exec
	v_mov_b32_e32 v41, 0
	s_or_b64 s[0:1], s[0:1], s[16:17]
	s_or_b64 exec, exec, s[12:13]
	s_and_saveexec_b64 s[12:13], s[0:1]
	s_cbranch_execnz .LBB285_241
	s_branch .LBB285_242
.LBB285_308:                            ;   in Loop: Header=BB285_179 Depth=1
	v_cmp_eq_u16_e64 s[0:1], s26, v6
	s_mov_b64 s[12:13], -1
                                        ; implicit-def: $sgpr39
	s_and_saveexec_b64 s[18:19], s[0:1]
; %bb.309:                              ;   in Loop: Header=BB285_179 Depth=1
	s_mov_b32 s39, 0x7fc02000
	s_xor_b64 s[12:13], exec, -1
; %bb.310:                              ;   in Loop: Header=BB285_179 Depth=1
	s_or_b64 exec, exec, s[18:19]
	s_and_b64 s[12:13], s[12:13], exec
	s_or_saveexec_b64 s[16:17], s[16:17]
	v_mov_b32_e32 v42, s39
	s_xor_b64 exec, exec, s[16:17]
	s_cbranch_execz .LBB285_244
.LBB285_311:                            ;   in Loop: Header=BB285_179 Depth=1
	v_cmp_ne_u16_e64 s[0:1], 0, v6
	s_andn2_b64 s[12:13], s[12:13], exec
	s_and_b64 s[0:1], s[0:1], exec
	v_mov_b32_e32 v42, 0
	s_or_b64 s[12:13], s[12:13], s[0:1]
	s_or_b64 exec, exec, s[16:17]
	s_and_saveexec_b64 s[16:17], s[12:13]
	s_cbranch_execnz .LBB285_245
	s_branch .LBB285_246
.LBB285_312:
	s_or_b64 exec, exec, s[8:9]
.LBB285_313:
	s_or_b64 exec, exec, s[2:3]
	ds_bpermute_b32 v2, v23, v4
	ds_bpermute_b32 v3, v23, v5
	v_and_b32_e32 v1, 0x3c3, v0
	v_cmp_eq_u32_e32 vcc, 64, v1
	s_waitcnt lgkmcnt(0)
	s_barrier
	v_pk_add_f32 v[2:3], v[4:5], v[2:3]
	ds_bpermute_b32 v4, v24, v2
	ds_bpermute_b32 v5, v24, v3
	s_waitcnt lgkmcnt(0)
	v_pk_add_f32 v[2:3], v[2:3], v[4:5]
	s_and_saveexec_b64 s[0:1], vcc
	s_cbranch_execz .LBB285_315
; %bb.314:
	v_add_u32_e32 v5, 0x50, v22
	v_add_u32_e32 v4, 0x50, v0
	ds_write_b32 v5, v2
	ds_write_b32 v4, v3
.LBB285_315:
	s_or_b64 exec, exec, s[0:1]
	v_cmp_gt_u32_e32 vcc, 64, v0
	s_waitcnt lgkmcnt(0)
	s_barrier
	s_and_saveexec_b64 s[0:1], vcc
	s_cbranch_execz .LBB285_321
; %bb.316:
	v_cmp_eq_u32_e32 vcc, 0, v25
	v_lshrrev_b32_e32 v4, 2, v0
	s_and_saveexec_b64 s[2:3], vcc
	s_cbranch_execz .LBB285_318
; %bb.317:
	v_mov_b32_e32 v5, 0x50
	v_lshl_add_u32 v5, v4, 2, v5
	ds_read_b32 v5, v5
	s_waitcnt lgkmcnt(0)
	v_add_f32_e32 v2, v2, v5
.LBB285_318:
	s_or_b64 exec, exec, s[2:3]
	s_and_saveexec_b64 s[2:3], vcc
	s_cbranch_execz .LBB285_320
; %bb.319:
	v_mov_b32_e32 v5, 0x50
	v_lshl_add_u32 v4, v4, 2, v5
	ds_read_b32 v4, v4 offset:64
	s_waitcnt lgkmcnt(0)
	v_add_f32_e32 v3, v3, v4
.LBB285_320:
	s_or_b64 exec, exec, s[2:3]
.LBB285_321:
	s_or_b64 exec, exec, s[0:1]
	v_cmp_eq_u32_e32 vcc, 0, v1
	s_barrier
	s_and_saveexec_b64 s[0:1], vcc
	s_cbranch_execz .LBB285_323
; %bb.322:
	s_lshl_b32 s0, s6, 5
	s_ashr_i32 s1, s0, 31
	s_lshl_b64 s[0:1], s[0:1], 1
	s_add_u32 s2, s30, s0
	s_mul_i32 s0, s20, s28
	s_addc_u32 s3, s31, s1
	s_ashr_i32 s1, s0, 31
	s_lshl_b64 s[0:1], s[0:1], 1
	s_add_u32 s2, s2, s0
	s_addc_u32 s3, s3, s1
	s_lshl_b32 s0, s4, 5
	s_ashr_i32 s1, s0, 31
	s_lshl_b64 s[0:1], s[0:1], 1
	s_add_u32 s0, s2, s0
	s_addc_u32 s1, s3, s1
	v_lshrrev_b32_e32 v0, 1, v0
	;;#ASMSTART
	v_cvt_f16_f32 v1, v2;

	;;#ASMEND
	global_store_short v0, v1, s[0:1]
	;;#ASMSTART
	v_cvt_f16_f32 v1, v3;

	;;#ASMEND
	global_store_short v0, v1, s[0:1] offset:32
.LBB285_323:
	s_endpgm
	.section	.rodata,"a",@progbits
	.p2align	6, 0x0
	.amdhsa_kernel _ZN4vllm25paged_attention_v2_kernelIthLi32ELi32ELi128ELNS_18Fp8KVCacheDataTypeE1ELb1ELi512EEEvPfS2_PT_PKS3_PKT0_S9_ifPKiSB_iPKfiiiSD_SD_iiiii
		.amdhsa_group_segment_fixed_size 80
		.amdhsa_private_segment_fixed_size 0
		.amdhsa_kernarg_size 400
		.amdhsa_user_sgpr_count 2
		.amdhsa_user_sgpr_dispatch_ptr 0
		.amdhsa_user_sgpr_queue_ptr 0
		.amdhsa_user_sgpr_kernarg_segment_ptr 1
		.amdhsa_user_sgpr_dispatch_id 0
		.amdhsa_user_sgpr_kernarg_preload_length 0
		.amdhsa_user_sgpr_kernarg_preload_offset 0
		.amdhsa_user_sgpr_private_segment_size 0
		.amdhsa_uses_dynamic_stack 0
		.amdhsa_enable_private_segment 0
		.amdhsa_system_sgpr_workgroup_id_x 1
		.amdhsa_system_sgpr_workgroup_id_y 1
		.amdhsa_system_sgpr_workgroup_id_z 1
		.amdhsa_system_sgpr_workgroup_info 0
		.amdhsa_system_vgpr_workitem_id 0
		.amdhsa_next_free_vgpr 49
		.amdhsa_next_free_sgpr 66
		.amdhsa_accum_offset 52
		.amdhsa_reserve_vcc 1
		.amdhsa_float_round_mode_32 0
		.amdhsa_float_round_mode_16_64 0
		.amdhsa_float_denorm_mode_32 3
		.amdhsa_float_denorm_mode_16_64 3
		.amdhsa_dx10_clamp 1
		.amdhsa_ieee_mode 1
		.amdhsa_fp16_overflow 0
		.amdhsa_tg_split 0
		.amdhsa_exception_fp_ieee_invalid_op 0
		.amdhsa_exception_fp_denorm_src 0
		.amdhsa_exception_fp_ieee_div_zero 0
		.amdhsa_exception_fp_ieee_overflow 0
		.amdhsa_exception_fp_ieee_underflow 0
		.amdhsa_exception_fp_ieee_inexact 0
		.amdhsa_exception_int_div_zero 0
	.end_amdhsa_kernel
	.section	.text._ZN4vllm25paged_attention_v2_kernelIthLi32ELi32ELi128ELNS_18Fp8KVCacheDataTypeE1ELb1ELi512EEEvPfS2_PT_PKS3_PKT0_S9_ifPKiSB_iPKfiiiSD_SD_iiiii,"axG",@progbits,_ZN4vllm25paged_attention_v2_kernelIthLi32ELi32ELi128ELNS_18Fp8KVCacheDataTypeE1ELb1ELi512EEEvPfS2_PT_PKS3_PKT0_S9_ifPKiSB_iPKfiiiSD_SD_iiiii,comdat
.Lfunc_end285:
	.size	_ZN4vllm25paged_attention_v2_kernelIthLi32ELi32ELi128ELNS_18Fp8KVCacheDataTypeE1ELb1ELi512EEEvPfS2_PT_PKS3_PKT0_S9_ifPKiSB_iPKfiiiSD_SD_iiiii, .Lfunc_end285-_ZN4vllm25paged_attention_v2_kernelIthLi32ELi32ELi128ELNS_18Fp8KVCacheDataTypeE1ELb1ELi512EEEvPfS2_PT_PKS3_PKT0_S9_ifPKiSB_iPKfiiiSD_SD_iiiii
                                        ; -- End function
	.section	.AMDGPU.csdata,"",@progbits
; Kernel info:
; codeLenInByte = 13592
; NumSgprs: 72
; NumVgprs: 49
; NumAgprs: 0
; TotalNumVgprs: 49
; ScratchSize: 0
; MemoryBound: 0
; FloatMode: 240
; IeeeMode: 1
; LDSByteSize: 80 bytes/workgroup (compile time only)
; SGPRBlocks: 8
; VGPRBlocks: 6
; NumSGPRsForWavesPerEU: 72
; NumVGPRsForWavesPerEU: 49
; AccumOffset: 52
; Occupancy: 8
; WaveLimiterHint : 1
; COMPUTE_PGM_RSRC2:SCRATCH_EN: 0
; COMPUTE_PGM_RSRC2:USER_SGPR: 2
; COMPUTE_PGM_RSRC2:TRAP_HANDLER: 0
; COMPUTE_PGM_RSRC2:TGID_X_EN: 1
; COMPUTE_PGM_RSRC2:TGID_Y_EN: 1
; COMPUTE_PGM_RSRC2:TGID_Z_EN: 1
; COMPUTE_PGM_RSRC2:TIDIG_COMP_CNT: 0
; COMPUTE_PGM_RSRC3_GFX90A:ACCUM_OFFSET: 12
; COMPUTE_PGM_RSRC3_GFX90A:TG_SPLIT: 0
	.section	.text._ZN4vllm25paged_attention_v2_kernelIthLi64ELi32ELi128ELNS_18Fp8KVCacheDataTypeE1ELb1ELi512EEEvPfS2_PT_PKS3_PKT0_S9_ifPKiSB_iPKfiiiSD_SD_iiiii,"axG",@progbits,_ZN4vllm25paged_attention_v2_kernelIthLi64ELi32ELi128ELNS_18Fp8KVCacheDataTypeE1ELb1ELi512EEEvPfS2_PT_PKS3_PKT0_S9_ifPKiSB_iPKfiiiSD_SD_iiiii,comdat
	.protected	_ZN4vllm25paged_attention_v2_kernelIthLi64ELi32ELi128ELNS_18Fp8KVCacheDataTypeE1ELb1ELi512EEEvPfS2_PT_PKS3_PKT0_S9_ifPKiSB_iPKfiiiSD_SD_iiiii ; -- Begin function _ZN4vllm25paged_attention_v2_kernelIthLi64ELi32ELi128ELNS_18Fp8KVCacheDataTypeE1ELb1ELi512EEEvPfS2_PT_PKS3_PKT0_S9_ifPKiSB_iPKfiiiSD_SD_iiiii
	.globl	_ZN4vllm25paged_attention_v2_kernelIthLi64ELi32ELi128ELNS_18Fp8KVCacheDataTypeE1ELb1ELi512EEEvPfS2_PT_PKS3_PKT0_S9_ifPKiSB_iPKfiiiSD_SD_iiiii
	.p2align	8
	.type	_ZN4vllm25paged_attention_v2_kernelIthLi64ELi32ELi128ELNS_18Fp8KVCacheDataTypeE1ELb1ELi512EEEvPfS2_PT_PKS3_PKT0_S9_ifPKiSB_iPKfiiiSD_SD_iiiii,@function
_ZN4vllm25paged_attention_v2_kernelIthLi64ELi32ELi128ELNS_18Fp8KVCacheDataTypeE1ELb1ELi512EEEvPfS2_PT_PKS3_PKT0_S9_ifPKiSB_iPKfiiiSD_SD_iiiii: ; @_ZN4vllm25paged_attention_v2_kernelIthLi64ELi32ELi128ELNS_18Fp8KVCacheDataTypeE1ELb1ELi512EEEvPfS2_PT_PKS3_PKT0_S9_ifPKiSB_iPKfiiiSD_SD_iiiii
; %bb.0:
	s_load_dwordx2 s[6:7], s[0:1], 0x40
	s_mov_b32 s34, s3
	s_ashr_i32 s35, s3, 31
	s_lshl_b64 s[8:9], s[34:35], 2
	s_waitcnt lgkmcnt(0)
	s_add_u32 s6, s6, s8
	s_addc_u32 s7, s7, s9
	s_load_dword s33, s[6:7], 0x0
	s_lshl_b32 s54, s4, 9
	s_waitcnt lgkmcnt(0)
	s_cmp_ge_i32 s54, s33
	s_cbranch_scc1 .LBB286_584
; %bb.1:
	s_load_dword s5, s[0:1], 0x90
	s_load_dwordx2 s[42:43], s[0:1], 0x30
	s_mov_b32 s55, 0
	s_waitcnt lgkmcnt(0)
	s_abs_i32 s7, s5
	s_abs_i32 s3, s42
	v_cvt_f32_u32_e32 v1, s3
	s_sub_i32 s8, 0, s3
	s_xor_b32 s6, s5, s42
	s_ashr_i32 s6, s6, 31
	v_rcp_iflag_f32_e32 v1, v1
	s_nop 0
	v_mul_f32_e32 v1, 0x4f7ffffe, v1
	v_cvt_u32_f32_e32 v1, v1
	s_nop 0
	v_readfirstlane_b32 s9, v1
	s_mul_i32 s8, s8, s9
	s_mul_hi_u32 s8, s9, s8
	s_add_i32 s9, s9, s8
	s_mul_hi_u32 s8, s7, s9
	s_mul_i32 s9, s8, s3
	s_sub_i32 s7, s7, s9
	s_add_i32 s10, s8, 1
	s_sub_i32 s9, s7, s3
	s_cmp_ge_u32 s7, s3
	s_cselect_b32 s8, s10, s8
	s_cselect_b32 s7, s9, s7
	s_add_i32 s9, s8, 1
	s_cmp_ge_u32 s7, s3
	s_cselect_b32 s3, s9, s8
	s_xor_b32 s3, s3, s6
	s_sub_i32 s11, s3, s6
	s_abs_i32 s8, s11
	v_cvt_f32_u32_e32 v1, s8
	s_load_dwordx2 s[6:7], s[0:1], 0x50
	s_sub_i32 s3, 0, s8
	s_abs_i32 s9, s2
	v_rcp_iflag_f32_e32 v1, v1
	s_nop 0
	v_mul_f32_e32 v1, 0x4f7ffffe, v1
	v_cvt_u32_f32_e32 v1, v1
	s_nop 0
	v_readfirstlane_b32 s10, v1
	s_mul_i32 s3, s3, s10
	s_mul_hi_u32 s3, s10, s3
	s_add_i32 s10, s10, s3
	s_waitcnt lgkmcnt(0)
	s_cmp_eq_u64 s[6:7], 0
	s_mul_hi_u32 s10, s9, s10
	s_cbranch_scc1 .LBB286_3
; %bb.2:
	s_ashr_i32 s3, s2, 31
	s_lshl_b64 s[12:13], s[2:3], 2
	s_add_u32 s6, s6, s12
	s_addc_u32 s7, s7, s13
	s_load_dword s55, s[6:7], 0x0
.LBB286_3:
	s_load_dwordx4 s[16:19], s[0:1], 0x58
	s_ashr_i32 s3, s2, 31
	s_ashr_i32 s11, s11, 31
	v_and_b32_e32 v9, 1, v0
	s_lshl_b32 s28, s2, 6
	v_cmp_gt_u32_e32 vcc, 16, v0
	v_lshlrev_b32_e32 v15, 3, v0
	s_and_saveexec_b64 s[6:7], vcc
	s_cbranch_execz .LBB286_5
; %bb.4:
	s_load_dwordx2 s[12:13], s[0:1], 0x18
	s_waitcnt lgkmcnt(0)
	s_mul_i32 s14, s34, s16
	s_ashr_i32 s15, s14, 31
	s_lshl_b64 s[14:15], s[14:15], 1
	v_lshlrev_b32_e32 v1, 2, v0
	s_add_u32 s14, s12, s14
	s_addc_u32 s15, s13, s15
	s_ashr_i32 s29, s28, 31
	s_lshl_b64 s[12:13], s[28:29], 1
	s_add_u32 s12, s14, s12
	s_addc_u32 s13, s15, s13
	global_load_dwordx2 v[2:3], v15, s[12:13]
	v_and_b32_e32 v1, 0xff8, v1
	v_lshl_add_u32 v1, v9, 6, v1
	s_waitcnt vmcnt(0)
	ds_write_b64 v1, v[2:3]
.LBB286_5:
	s_or_b64 exec, exec, s[6:7]
	s_mul_i32 s6, s10, s8
	s_sub_i32 s6, s9, s6
	s_xor_b32 s3, s3, s11
	s_add_i32 s7, s10, 1
	s_sub_i32 s9, s6, s8
	s_load_dwordx4 s[20:23], s[0:1], 0x78
	s_cmp_ge_u32 s6, s8
	s_cselect_b32 s7, s7, s10
	s_cselect_b32 s6, s9, s6
	s_add_i32 s9, s7, 1
	s_cmp_ge_u32 s6, s8
	s_cselect_b32 s6, s9, s7
	s_load_dword s9, s[0:1], 0x88
	s_waitcnt lgkmcnt(0)
	s_abs_i32 s29, s23
	v_cvt_f32_u32_e32 v1, s29
	s_xor_b32 s6, s6, s3
	s_sub_i32 s53, s6, s3
	s_sub_i32 s6, 0, s29
	v_rcp_iflag_f32_e32 v1, v1
	s_add_i32 s10, s33, -1
	s_abs_i32 s3, s10
	v_mul_f32_e32 v1, 0x4f7ffffe, v1
	v_cvt_u32_f32_e32 v1, v1
	s_barrier
	v_readfirstlane_b32 s35, v1
	s_mul_i32 s6, s6, s35
	s_mul_hi_u32 s6, s35, s6
	s_add_i32 s35, s35, s6
	s_cmp_lt_i32 s9, 0
	s_mul_hi_u32 s8, s3, s35
	s_cbranch_scc0 .LBB286_7
; %bb.6:
	s_mul_i32 s6, s20, s42
	s_add_i32 s6, s53, s6
	s_mul_i32 s6, s6, s9
	s_sub_i32 s42, 1, s6
	s_mov_b64 s[6:7], 0
	s_branch .LBB286_8
.LBB286_7:
	s_mov_b64 s[6:7], -1
                                        ; implicit-def: $sgpr42
.LBB286_8:
	s_load_dwordx2 s[36:37], s[0:1], 0x38
	s_ashr_i32 s10, s10, 31
	s_andn2_b64 vcc, exec, s[6:7]
	s_ashr_i32 s23, s23, 31
	s_cbranch_vccnz .LBB286_10
; %bb.9:
	s_mul_i32 s6, s5, s20
	s_add_i32 s6, s6, s2
	s_mul_i32 s6, s6, s9
	s_add_i32 s42, s6, 1
.LBB286_10:
	s_load_dwordx2 s[40:41], s[0:1], 0x28
	s_load_dword s6, s[0:1], 0x48
	s_load_dwordx4 s[24:27], s[0:1], 0x0
	s_load_dwordx2 s[30:31], s[0:1], 0x10
	s_load_dword s20, s[0:1], 0x98
	s_load_dwordx4 s[12:15], s[0:1], 0x68
	s_mul_i32 s7, s8, s29
	s_waitcnt lgkmcnt(0)
	s_mul_i32 s38, s34, s6
	s_sub_i32 s3, s3, s7
	s_ashr_i32 s39, s38, 31
	s_xor_b32 s6, s10, s23
	s_add_i32 s7, s8, 1
	s_sub_i32 s9, s3, s29
	s_cmp_ge_u32 s3, s29
	s_cselect_b32 s7, s7, s8
	s_cselect_b32 s3, s9, s3
	s_add_i32 s8, s7, 1
	s_cmp_ge_u32 s3, s29
	s_cselect_b32 s3, s8, s7
	s_xor_b32 s3, s3, s6
	s_sub_i32 s16, s3, s6
	s_add_i32 s3, s33, 31
	s_ashr_i32 s6, s3, 31
	s_lshr_b32 s6, s6, 27
	s_add_i32 s3, s3, s6
	s_lshl_b32 s56, s4, 4
	s_ashr_i32 s3, s3, 5
	s_add_i32 s6, s56, 16
	v_lshrrev_b32_e32 v16, 6, v0
	s_min_i32 s52, s6, s3
	v_or_b32_e32 v6, s56, v16
	v_cmp_gt_i32_e64 s[8:9], s52, v6
	v_mov_b32_e32 v20, 0xff7fffff
	s_mul_i32 s53, s53, s18
	v_ashrrev_i32_e32 v7, 31, v6
	v_lshl_add_u32 v1, v16, 5, s54
	v_mbcnt_lo_u32_b32 v17, -1, 0
	s_and_saveexec_b64 s[18:19], s[8:9]
	s_cbranch_execz .LBB286_276
; %bb.11:
	s_load_dwordx2 s[0:1], s[0:1], 0x20
	s_sub_i32 s57, s16, s21
	s_ashr_i32 s6, s53, 31
	v_bfe_u32 v18, v0, 1, 5
	v_lshlrev_b32_e32 v2, 4, v18
	s_waitcnt lgkmcnt(0)
	s_add_u32 s0, s0, s53
	s_addc_u32 s1, s1, s6
	s_abs_i32 s58, s22
	v_cvt_f32_u32_e32 v4, s58
	v_mov_b32_e32 v3, 0
	v_cmp_eq_u32_e32 vcc, 0, v9
	s_mov_b32 s59, s17
	v_rcp_iflag_f32_e32 v10, v4
	v_lshl_add_u64 v[4:5], s[0:1], 0, v[2:3]
	s_sub_i32 s0, 0, s58
	v_lshlrev_b32_e32 v8, 2, v9
	v_mul_f32_e32 v2, 0x4f7ffffe, v10
	v_cvt_u32_f32_e32 v2, v2
	v_lshlrev_b32_e32 v19, 6, v9
	v_cmp_neq_f32_e64 s[6:7], s55, 0
	v_mov_b32_e32 v9, v3
	v_mul_lo_u32 v10, s0, v2
	v_mul_hi_u32 v10, v2, v10
	v_add_u32_e32 v21, v2, v10
	s_lshl_b64 s[0:1], s[38:39], 2
	v_lshlrev_b32_e32 v2, 2, v18
	s_add_u32 s0, s36, s0
	v_lshl_or_b32 v2, v16, 7, v2
	s_addc_u32 s1, s37, s1
	v_add_u32_e32 v23, 0x90, v2
	v_subrev_u32_e32 v2, s33, v18
	v_lshl_add_u64 v[10:11], v[6:7], 2, s[0:1]
	v_lshl_add_u32 v22, v16, 5, s54
	v_add_u32_e32 v24, 1, v2
	s_mov_b64 s[44:45], 0
	s_movk_i32 s60, 0x7f
	s_movk_i32 s61, 0x80
	s_mov_b32 s62, 0x8000
	v_mov_b32_e32 v25, 0x1c00
	v_mbcnt_hi_u32_b32 v26, -1, v17
	v_mov_b32_e32 v20, 0xff7fffff
	v_mov_b32_e32 v27, v6
	s_branch .LBB286_14
.LBB286_12:                             ;   in Loop: Header=BB286_14 Depth=1
	s_or_b64 exec, exec, s[46:47]
.LBB286_13:                             ;   in Loop: Header=BB286_14 Depth=1
	s_or_b64 exec, exec, s[10:11]
	v_add_u32_e32 v27, 2, v27
	v_cmp_le_i32_e64 s[0:1], s52, v27
	v_lshl_add_u64 v[10:11], v[10:11], 0, 8
	v_add_u32_e32 v22, 64, v22
	s_or_b64 s[44:45], s[0:1], s[44:45]
	v_add_u32_e32 v23, 0x100, v23
	s_andn2_b64 exec, exec, s[44:45]
	s_cbranch_execz .LBB286_275
.LBB286_14:                             ; =>This Inner Loop Header: Depth=1
	s_waitcnt lgkmcnt(0)
	v_sub_u32_e32 v12, 0, v22
	v_max_i32_e32 v12, v22, v12
	v_mul_hi_u32 v13, v12, s35
	v_mul_lo_u32 v14, v13, s29
	v_sub_u32_e32 v12, v12, v14
	v_add_u32_e32 v14, 1, v13
	v_cmp_le_u32_e64 s[0:1], s29, v12
	v_ashrrev_i32_e32 v2, 31, v22
	v_xor_b32_e32 v2, s23, v2
	v_cndmask_b32_e64 v13, v13, v14, s[0:1]
	v_subrev_u32_e32 v14, s29, v12
	v_cndmask_b32_e64 v12, v12, v14, s[0:1]
	v_add_u32_e32 v14, 1, v13
	v_cmp_le_u32_e64 s[0:1], s29, v12
	s_nop 1
	v_cndmask_b32_e64 v12, v13, v14, s[0:1]
	v_xor_b32_e32 v12, v12, v2
	v_sub_u32_e32 v2, v12, v2
	v_add_u32_e32 v12, s42, v2
	v_sub_u32_e32 v14, 0, v12
	v_ashrrev_i32_e32 v13, 31, v12
	v_max_i32_e32 v12, v12, v14
	v_mul_hi_u32 v14, v12, v21
	v_mul_lo_u32 v14, v14, s58
	v_sub_u32_e32 v12, v12, v14
	v_subrev_u32_e32 v14, s58, v12
	v_cmp_le_u32_e64 s[0:1], s58, v12
	v_cmp_ge_i32_e64 s[10:11], s57, v2
	s_nop 0
	v_cndmask_b32_e64 v12, v12, v14, s[0:1]
	v_subrev_u32_e32 v14, s58, v12
	v_cmp_le_u32_e64 s[0:1], s58, v12
	s_nop 1
	v_cndmask_b32_e64 v12, v12, v14, s[0:1]
	v_xor_b32_e32 v12, v12, v13
	v_sub_u32_e32 v12, v12, v13
	v_cmp_ne_u32_e64 s[0:1], 0, v12
	s_and_b64 s[0:1], s[0:1], s[10:11]
	s_and_b64 s[46:47], vcc, s[0:1]
	s_and_saveexec_b64 s[10:11], s[46:47]
	s_cbranch_execz .LBB286_16
; %bb.15:                               ;   in Loop: Header=BB286_14 Depth=1
	v_mov_b32_e32 v2, 0xff7fffff
	ds_write_b32 v23, v2
.LBB286_16:                             ;   in Loop: Header=BB286_14 Depth=1
	s_or_b64 exec, exec, s[10:11]
	s_xor_b64 s[0:1], s[0:1], -1
	s_and_saveexec_b64 s[10:11], s[0:1]
	s_cbranch_execz .LBB286_13
; %bb.17:                               ;   in Loop: Header=BB286_14 Depth=1
	global_load_dword v2, v[10:11], off
                                        ; implicit-def: $sgpr50
	s_waitcnt vmcnt(0)
	v_mad_i64_i32 v[12:13], s[0:1], v2, s59, v[4:5]
	v_lshl_add_u64 v[12:13], v[12:13], 0, v[8:9]
	global_load_dword v14, v[12:13], off
	global_load_dword v28, v3, s[12:13]
	s_mov_b64 s[0:1], 0
	s_waitcnt vmcnt(1)
	v_cmp_gt_i16_sdwa s[46:47], v14, s60 src0_sel:BYTE_0 src1_sel:DWORD
	s_and_saveexec_b64 s[48:49], s[46:47]
	s_xor_b64 s[46:47], exec, s[48:49]
	s_cbranch_execnz .LBB286_147
; %bb.18:                               ;   in Loop: Header=BB286_14 Depth=1
	s_or_saveexec_b64 s[46:47], s[46:47]
	v_mov_b32_e32 v29, s50
	s_xor_b64 exec, exec, s[46:47]
	s_cbranch_execnz .LBB286_150
.LBB286_19:                             ;   in Loop: Header=BB286_14 Depth=1
	s_or_b64 exec, exec, s[46:47]
	s_and_saveexec_b64 s[46:47], s[0:1]
	s_cbranch_execz .LBB286_21
.LBB286_20:                             ;   in Loop: Header=BB286_14 Depth=1
	v_and_b32_e32 v2, 7, v14
	v_ffbh_u32_e32 v30, v2
	v_min_u32_e32 v32, 32, v30
	v_subrev_u32_e32 v30, 28, v32
	v_bfe_u32 v29, v14, 3, 4
	v_lshlrev_b64 v[30:31], v30, v[14:15]
	v_sub_u32_e32 v31, 29, v32
	v_cmp_eq_u32_e64 s[0:1], 0, v29
	v_and_b32_e32 v30, 7, v30
	s_nop 0
	v_cndmask_b32_e64 v29, v29, v31, s[0:1]
	v_cndmask_b32_e64 v2, v2, v30, s[0:1]
	v_lshlrev_b32_e32 v30, 8, v14
	v_lshl_add_u32 v29, v29, 10, v25
	v_and_or_b32 v29, v30, s62, v29
	v_lshl_or_b32 v2, v2, 7, v29
	v_cvt_f32_f16_e32 v29, v2
.LBB286_21:                             ;   in Loop: Header=BB286_14 Depth=1
	s_or_b64 exec, exec, s[46:47]
	v_lshrrev_b16_e32 v2, 8, v14
	v_cmp_lt_i16_e64 s[0:1], s60, v2
	s_mov_b64 s[46:47], 0
                                        ; implicit-def: $sgpr63
	s_and_saveexec_b64 s[48:49], s[0:1]
	s_xor_b64 s[48:49], exec, s[48:49]
	s_cbranch_execnz .LBB286_151
; %bb.22:                               ;   in Loop: Header=BB286_14 Depth=1
	s_or_saveexec_b64 s[48:49], s[48:49]
	v_mov_b32_e32 v30, s63
	s_xor_b64 exec, exec, s[48:49]
	s_cbranch_execnz .LBB286_154
.LBB286_23:                             ;   in Loop: Header=BB286_14 Depth=1
	s_or_b64 exec, exec, s[48:49]
	s_and_saveexec_b64 s[48:49], s[46:47]
	s_cbranch_execz .LBB286_25
.LBB286_24:                             ;   in Loop: Header=BB286_14 Depth=1
	v_and_b32_e32 v32, 7, v2
	v_ffbh_u32_e32 v30, v32
	v_min_u32_e32 v34, 32, v30
	v_subrev_u32_e32 v30, 28, v34
	v_bfe_u32 v33, v2, 3, 4
	v_lshlrev_b64 v[30:31], v30, v[2:3]
	v_sub_u32_e32 v31, 29, v34
	v_cmp_eq_u32_e64 s[0:1], 0, v33
	v_and_b32_e32 v30, 7, v30
	v_lshlrev_b32_e32 v2, 8, v2
	v_cndmask_b32_e64 v31, v33, v31, s[0:1]
	v_lshl_add_u32 v31, v31, 10, v25
	v_cndmask_b32_e64 v30, v32, v30, s[0:1]
	v_and_or_b32 v2, v2, s62, v31
	v_lshl_or_b32 v2, v30, 7, v2
	v_cvt_f32_f16_e32 v30, v2
.LBB286_25:                             ;   in Loop: Header=BB286_14 Depth=1
	s_or_b64 exec, exec, s[48:49]
	v_lshrrev_b32_e32 v2, 16, v14
	v_cmp_gt_i16_sdwa s[46:47], v2, s60 src0_sel:BYTE_0 src1_sel:DWORD
	s_mov_b64 s[0:1], 0
                                        ; implicit-def: $sgpr50
	s_and_saveexec_b64 s[48:49], s[46:47]
	s_xor_b64 s[46:47], exec, s[48:49]
	s_cbranch_execnz .LBB286_155
; %bb.26:                               ;   in Loop: Header=BB286_14 Depth=1
	s_or_saveexec_b64 s[46:47], s[46:47]
	v_mov_b32_e32 v31, s50
	s_xor_b64 exec, exec, s[46:47]
	s_cbranch_execnz .LBB286_158
.LBB286_27:                             ;   in Loop: Header=BB286_14 Depth=1
	s_or_b64 exec, exec, s[46:47]
	s_and_saveexec_b64 s[46:47], s[0:1]
	s_cbranch_execz .LBB286_29
.LBB286_28:                             ;   in Loop: Header=BB286_14 Depth=1
	v_bfe_u32 v31, v14, 16, 3
	v_ffbh_u32_e32 v32, v31
	v_min_u32_e32 v35, 32, v32
	v_subrev_u32_e32 v32, 28, v35
	v_bfe_u32 v34, v14, 19, 4
	v_lshlrev_b64 v[32:33], v32, v[2:3]
	v_sub_u32_e32 v33, 29, v35
	v_cmp_eq_u32_e64 s[0:1], 0, v34
	v_and_b32_e32 v32, 7, v32
	v_lshlrev_b32_e32 v2, 8, v2
	v_cndmask_b32_e64 v33, v34, v33, s[0:1]
	v_cndmask_b32_e64 v31, v31, v32, s[0:1]
	v_lshl_add_u32 v32, v33, 10, v25
	v_and_or_b32 v2, v2, s62, v32
	v_lshl_or_b32 v2, v31, 7, v2
	v_cvt_f32_f16_e32 v31, v2
.LBB286_29:                             ;   in Loop: Header=BB286_14 Depth=1
	s_or_b64 exec, exec, s[46:47]
	v_lshrrev_b32_e32 v2, 24, v14
	v_cmp_lt_i16_e64 s[0:1], s60, v2
	s_mov_b64 s[46:47], 0
                                        ; implicit-def: $sgpr63
	s_and_saveexec_b64 s[48:49], s[0:1]
	s_xor_b64 s[48:49], exec, s[48:49]
	s_cbranch_execnz .LBB286_159
; %bb.30:                               ;   in Loop: Header=BB286_14 Depth=1
	s_or_saveexec_b64 s[48:49], s[48:49]
	v_mov_b32_e32 v32, s63
	s_xor_b64 exec, exec, s[48:49]
	s_cbranch_execnz .LBB286_162
.LBB286_31:                             ;   in Loop: Header=BB286_14 Depth=1
	s_or_b64 exec, exec, s[48:49]
	s_and_saveexec_b64 s[48:49], s[46:47]
	s_cbranch_execz .LBB286_33
.LBB286_32:                             ;   in Loop: Header=BB286_14 Depth=1
	v_bfe_u32 v34, v14, 24, 3
	v_ffbh_u32_e32 v32, v34
	v_min_u32_e32 v35, 32, v32
	v_subrev_u32_e32 v32, 28, v35
	v_bfe_u32 v14, v14, 27, 4
	v_lshlrev_b64 v[32:33], v32, v[2:3]
	v_sub_u32_e32 v33, 29, v35
	v_cmp_eq_u32_e64 s[0:1], 0, v14
	v_and_b32_e32 v32, 7, v32
	v_lshlrev_b32_e32 v2, 8, v2
	v_cndmask_b32_e64 v14, v14, v33, s[0:1]
	v_lshl_add_u32 v14, v14, 10, v25
	v_cndmask_b32_e64 v32, v34, v32, s[0:1]
	v_and_or_b32 v2, v2, s62, v14
	v_lshl_or_b32 v2, v32, 7, v2
	v_cvt_f32_f16_e32 v32, v2
.LBB286_33:                             ;   in Loop: Header=BB286_14 Depth=1
	s_or_b64 exec, exec, s[48:49]
	global_load_dword v14, v[12:13], off offset:8
	s_mov_b64 s[0:1], 0
                                        ; implicit-def: $sgpr50
	s_waitcnt vmcnt(0)
	v_cmp_gt_i16_sdwa s[46:47], v14, s60 src0_sel:BYTE_0 src1_sel:DWORD
	s_and_saveexec_b64 s[48:49], s[46:47]
	s_xor_b64 s[46:47], exec, s[48:49]
	s_cbranch_execnz .LBB286_163
; %bb.34:                               ;   in Loop: Header=BB286_14 Depth=1
	s_or_saveexec_b64 s[46:47], s[46:47]
	v_mov_b32_e32 v33, s50
	s_xor_b64 exec, exec, s[46:47]
	s_cbranch_execnz .LBB286_166
.LBB286_35:                             ;   in Loop: Header=BB286_14 Depth=1
	s_or_b64 exec, exec, s[46:47]
	s_and_saveexec_b64 s[46:47], s[0:1]
	s_cbranch_execz .LBB286_37
.LBB286_36:                             ;   in Loop: Header=BB286_14 Depth=1
	v_and_b32_e32 v2, 7, v14
	v_ffbh_u32_e32 v34, v2
	v_min_u32_e32 v36, 32, v34
	v_subrev_u32_e32 v34, 28, v36
	v_bfe_u32 v33, v14, 3, 4
	v_lshlrev_b64 v[34:35], v34, v[14:15]
	v_sub_u32_e32 v35, 29, v36
	v_cmp_eq_u32_e64 s[0:1], 0, v33
	v_and_b32_e32 v34, 7, v34
	s_nop 0
	v_cndmask_b32_e64 v33, v33, v35, s[0:1]
	v_cndmask_b32_e64 v2, v2, v34, s[0:1]
	v_lshlrev_b32_e32 v34, 8, v14
	v_lshl_add_u32 v33, v33, 10, v25
	v_and_or_b32 v33, v34, s62, v33
	v_lshl_or_b32 v2, v2, 7, v33
	v_cvt_f32_f16_e32 v33, v2
.LBB286_37:                             ;   in Loop: Header=BB286_14 Depth=1
	s_or_b64 exec, exec, s[46:47]
	v_lshrrev_b16_e32 v2, 8, v14
	v_cmp_lt_i16_e64 s[0:1], s60, v2
	s_mov_b64 s[46:47], 0
                                        ; implicit-def: $sgpr63
	s_and_saveexec_b64 s[48:49], s[0:1]
	s_xor_b64 s[48:49], exec, s[48:49]
	s_cbranch_execnz .LBB286_167
; %bb.38:                               ;   in Loop: Header=BB286_14 Depth=1
	s_or_saveexec_b64 s[48:49], s[48:49]
	v_mov_b32_e32 v34, s63
	s_xor_b64 exec, exec, s[48:49]
	s_cbranch_execnz .LBB286_170
.LBB286_39:                             ;   in Loop: Header=BB286_14 Depth=1
	s_or_b64 exec, exec, s[48:49]
	s_and_saveexec_b64 s[48:49], s[46:47]
	s_cbranch_execz .LBB286_41
.LBB286_40:                             ;   in Loop: Header=BB286_14 Depth=1
	v_and_b32_e32 v36, 7, v2
	v_ffbh_u32_e32 v34, v36
	v_min_u32_e32 v38, 32, v34
	v_subrev_u32_e32 v34, 28, v38
	v_bfe_u32 v37, v2, 3, 4
	v_lshlrev_b64 v[34:35], v34, v[2:3]
	v_sub_u32_e32 v35, 29, v38
	v_cmp_eq_u32_e64 s[0:1], 0, v37
	v_and_b32_e32 v34, 7, v34
	v_lshlrev_b32_e32 v2, 8, v2
	v_cndmask_b32_e64 v35, v37, v35, s[0:1]
	v_lshl_add_u32 v35, v35, 10, v25
	v_cndmask_b32_e64 v34, v36, v34, s[0:1]
	v_and_or_b32 v2, v2, s62, v35
	v_lshl_or_b32 v2, v34, 7, v2
	v_cvt_f32_f16_e32 v34, v2
.LBB286_41:                             ;   in Loop: Header=BB286_14 Depth=1
	s_or_b64 exec, exec, s[48:49]
	v_lshrrev_b32_e32 v2, 16, v14
	v_cmp_gt_i16_sdwa s[46:47], v2, s60 src0_sel:BYTE_0 src1_sel:DWORD
	s_mov_b64 s[0:1], 0
                                        ; implicit-def: $sgpr50
	s_and_saveexec_b64 s[48:49], s[46:47]
	s_xor_b64 s[46:47], exec, s[48:49]
	s_cbranch_execnz .LBB286_171
; %bb.42:                               ;   in Loop: Header=BB286_14 Depth=1
	s_or_saveexec_b64 s[46:47], s[46:47]
	v_mov_b32_e32 v35, s50
	s_xor_b64 exec, exec, s[46:47]
	s_cbranch_execnz .LBB286_174
.LBB286_43:                             ;   in Loop: Header=BB286_14 Depth=1
	s_or_b64 exec, exec, s[46:47]
	s_and_saveexec_b64 s[46:47], s[0:1]
	s_cbranch_execz .LBB286_45
.LBB286_44:                             ;   in Loop: Header=BB286_14 Depth=1
	v_bfe_u32 v35, v14, 16, 3
	v_ffbh_u32_e32 v36, v35
	v_min_u32_e32 v39, 32, v36
	v_subrev_u32_e32 v36, 28, v39
	v_bfe_u32 v38, v14, 19, 4
	v_lshlrev_b64 v[36:37], v36, v[2:3]
	v_sub_u32_e32 v37, 29, v39
	v_cmp_eq_u32_e64 s[0:1], 0, v38
	v_and_b32_e32 v36, 7, v36
	v_lshlrev_b32_e32 v2, 8, v2
	v_cndmask_b32_e64 v37, v38, v37, s[0:1]
	v_cndmask_b32_e64 v35, v35, v36, s[0:1]
	v_lshl_add_u32 v36, v37, 10, v25
	v_and_or_b32 v2, v2, s62, v36
	v_lshl_or_b32 v2, v35, 7, v2
	v_cvt_f32_f16_e32 v35, v2
.LBB286_45:                             ;   in Loop: Header=BB286_14 Depth=1
	s_or_b64 exec, exec, s[46:47]
	v_lshrrev_b32_e32 v2, 24, v14
	v_cmp_lt_i16_e64 s[0:1], s60, v2
	s_mov_b64 s[46:47], 0
                                        ; implicit-def: $sgpr63
	s_and_saveexec_b64 s[48:49], s[0:1]
	s_xor_b64 s[48:49], exec, s[48:49]
	s_cbranch_execnz .LBB286_175
; %bb.46:                               ;   in Loop: Header=BB286_14 Depth=1
	s_or_saveexec_b64 s[48:49], s[48:49]
	v_mov_b32_e32 v36, s63
	s_xor_b64 exec, exec, s[48:49]
	s_cbranch_execnz .LBB286_178
.LBB286_47:                             ;   in Loop: Header=BB286_14 Depth=1
	s_or_b64 exec, exec, s[48:49]
	s_and_saveexec_b64 s[48:49], s[46:47]
	s_cbranch_execz .LBB286_49
.LBB286_48:                             ;   in Loop: Header=BB286_14 Depth=1
	v_bfe_u32 v38, v14, 24, 3
	v_ffbh_u32_e32 v36, v38
	v_min_u32_e32 v39, 32, v36
	v_subrev_u32_e32 v36, 28, v39
	v_bfe_u32 v14, v14, 27, 4
	v_lshlrev_b64 v[36:37], v36, v[2:3]
	v_sub_u32_e32 v37, 29, v39
	v_cmp_eq_u32_e64 s[0:1], 0, v14
	v_and_b32_e32 v36, 7, v36
	v_lshlrev_b32_e32 v2, 8, v2
	v_cndmask_b32_e64 v14, v14, v37, s[0:1]
	v_lshl_add_u32 v14, v14, 10, v25
	v_cndmask_b32_e64 v36, v38, v36, s[0:1]
	v_and_or_b32 v2, v2, s62, v14
	v_lshl_or_b32 v2, v36, 7, v2
	v_cvt_f32_f16_e32 v36, v2
.LBB286_49:                             ;   in Loop: Header=BB286_14 Depth=1
	s_or_b64 exec, exec, s[48:49]
	global_load_dword v14, v[12:13], off offset:512
	s_mov_b64 s[0:1], 0
                                        ; implicit-def: $sgpr50
	s_waitcnt vmcnt(0)
	v_cmp_gt_i16_sdwa s[46:47], v14, s60 src0_sel:BYTE_0 src1_sel:DWORD
	s_and_saveexec_b64 s[48:49], s[46:47]
	s_xor_b64 s[46:47], exec, s[48:49]
	s_cbranch_execnz .LBB286_179
; %bb.50:                               ;   in Loop: Header=BB286_14 Depth=1
	s_or_saveexec_b64 s[46:47], s[46:47]
	v_mov_b32_e32 v37, s50
	s_xor_b64 exec, exec, s[46:47]
	s_cbranch_execnz .LBB286_182
.LBB286_51:                             ;   in Loop: Header=BB286_14 Depth=1
	s_or_b64 exec, exec, s[46:47]
	s_and_saveexec_b64 s[46:47], s[0:1]
	s_cbranch_execz .LBB286_53
.LBB286_52:                             ;   in Loop: Header=BB286_14 Depth=1
	v_and_b32_e32 v2, 7, v14
	v_ffbh_u32_e32 v38, v2
	v_min_u32_e32 v40, 32, v38
	v_subrev_u32_e32 v38, 28, v40
	v_bfe_u32 v37, v14, 3, 4
	v_lshlrev_b64 v[38:39], v38, v[14:15]
	v_sub_u32_e32 v39, 29, v40
	v_cmp_eq_u32_e64 s[0:1], 0, v37
	v_and_b32_e32 v38, 7, v38
	s_nop 0
	v_cndmask_b32_e64 v37, v37, v39, s[0:1]
	v_cndmask_b32_e64 v2, v2, v38, s[0:1]
	v_lshlrev_b32_e32 v38, 8, v14
	v_lshl_add_u32 v37, v37, 10, v25
	v_and_or_b32 v37, v38, s62, v37
	v_lshl_or_b32 v2, v2, 7, v37
	v_cvt_f32_f16_e32 v37, v2
.LBB286_53:                             ;   in Loop: Header=BB286_14 Depth=1
	s_or_b64 exec, exec, s[46:47]
	v_lshrrev_b16_e32 v2, 8, v14
	v_cmp_lt_i16_e64 s[0:1], s60, v2
	s_mov_b64 s[46:47], 0
                                        ; implicit-def: $sgpr63
	s_and_saveexec_b64 s[48:49], s[0:1]
	s_xor_b64 s[48:49], exec, s[48:49]
	s_cbranch_execnz .LBB286_183
; %bb.54:                               ;   in Loop: Header=BB286_14 Depth=1
	s_or_saveexec_b64 s[48:49], s[48:49]
	v_mov_b32_e32 v38, s63
	s_xor_b64 exec, exec, s[48:49]
	s_cbranch_execnz .LBB286_186
.LBB286_55:                             ;   in Loop: Header=BB286_14 Depth=1
	s_or_b64 exec, exec, s[48:49]
	s_and_saveexec_b64 s[48:49], s[46:47]
	s_cbranch_execz .LBB286_57
.LBB286_56:                             ;   in Loop: Header=BB286_14 Depth=1
	v_and_b32_e32 v40, 7, v2
	v_ffbh_u32_e32 v38, v40
	v_min_u32_e32 v42, 32, v38
	v_subrev_u32_e32 v38, 28, v42
	v_bfe_u32 v41, v2, 3, 4
	v_lshlrev_b64 v[38:39], v38, v[2:3]
	v_sub_u32_e32 v39, 29, v42
	v_cmp_eq_u32_e64 s[0:1], 0, v41
	v_and_b32_e32 v38, 7, v38
	v_lshlrev_b32_e32 v2, 8, v2
	v_cndmask_b32_e64 v39, v41, v39, s[0:1]
	v_lshl_add_u32 v39, v39, 10, v25
	v_cndmask_b32_e64 v38, v40, v38, s[0:1]
	v_and_or_b32 v2, v2, s62, v39
	v_lshl_or_b32 v2, v38, 7, v2
	v_cvt_f32_f16_e32 v38, v2
.LBB286_57:                             ;   in Loop: Header=BB286_14 Depth=1
	s_or_b64 exec, exec, s[48:49]
	v_lshrrev_b32_e32 v2, 16, v14
	v_cmp_gt_i16_sdwa s[46:47], v2, s60 src0_sel:BYTE_0 src1_sel:DWORD
	s_mov_b64 s[0:1], 0
                                        ; implicit-def: $sgpr50
	s_and_saveexec_b64 s[48:49], s[46:47]
	s_xor_b64 s[46:47], exec, s[48:49]
	s_cbranch_execnz .LBB286_187
; %bb.58:                               ;   in Loop: Header=BB286_14 Depth=1
	s_or_saveexec_b64 s[46:47], s[46:47]
	v_mov_b32_e32 v39, s50
	s_xor_b64 exec, exec, s[46:47]
	s_cbranch_execnz .LBB286_190
.LBB286_59:                             ;   in Loop: Header=BB286_14 Depth=1
	s_or_b64 exec, exec, s[46:47]
	s_and_saveexec_b64 s[46:47], s[0:1]
	s_cbranch_execz .LBB286_61
.LBB286_60:                             ;   in Loop: Header=BB286_14 Depth=1
	v_bfe_u32 v39, v14, 16, 3
	v_ffbh_u32_e32 v40, v39
	v_min_u32_e32 v43, 32, v40
	v_subrev_u32_e32 v40, 28, v43
	v_bfe_u32 v42, v14, 19, 4
	v_lshlrev_b64 v[40:41], v40, v[2:3]
	v_sub_u32_e32 v41, 29, v43
	v_cmp_eq_u32_e64 s[0:1], 0, v42
	v_and_b32_e32 v40, 7, v40
	v_lshlrev_b32_e32 v2, 8, v2
	v_cndmask_b32_e64 v41, v42, v41, s[0:1]
	v_cndmask_b32_e64 v39, v39, v40, s[0:1]
	v_lshl_add_u32 v40, v41, 10, v25
	v_and_or_b32 v2, v2, s62, v40
	v_lshl_or_b32 v2, v39, 7, v2
	v_cvt_f32_f16_e32 v39, v2
.LBB286_61:                             ;   in Loop: Header=BB286_14 Depth=1
	s_or_b64 exec, exec, s[46:47]
	v_lshrrev_b32_e32 v2, 24, v14
	v_cmp_lt_i16_e64 s[0:1], s60, v2
	s_mov_b64 s[46:47], 0
                                        ; implicit-def: $sgpr63
	s_and_saveexec_b64 s[48:49], s[0:1]
	s_xor_b64 s[48:49], exec, s[48:49]
	s_cbranch_execnz .LBB286_191
; %bb.62:                               ;   in Loop: Header=BB286_14 Depth=1
	s_or_saveexec_b64 s[48:49], s[48:49]
	v_mov_b32_e32 v40, s63
	s_xor_b64 exec, exec, s[48:49]
	s_cbranch_execnz .LBB286_194
.LBB286_63:                             ;   in Loop: Header=BB286_14 Depth=1
	s_or_b64 exec, exec, s[48:49]
	s_and_saveexec_b64 s[48:49], s[46:47]
	s_cbranch_execz .LBB286_65
.LBB286_64:                             ;   in Loop: Header=BB286_14 Depth=1
	v_bfe_u32 v42, v14, 24, 3
	v_ffbh_u32_e32 v40, v42
	v_min_u32_e32 v43, 32, v40
	v_subrev_u32_e32 v40, 28, v43
	v_bfe_u32 v14, v14, 27, 4
	v_lshlrev_b64 v[40:41], v40, v[2:3]
	v_sub_u32_e32 v41, 29, v43
	v_cmp_eq_u32_e64 s[0:1], 0, v14
	v_and_b32_e32 v40, 7, v40
	v_lshlrev_b32_e32 v2, 8, v2
	v_cndmask_b32_e64 v14, v14, v41, s[0:1]
	v_lshl_add_u32 v14, v14, 10, v25
	v_cndmask_b32_e64 v40, v42, v40, s[0:1]
	v_and_or_b32 v2, v2, s62, v14
	v_lshl_or_b32 v2, v40, 7, v2
	v_cvt_f32_f16_e32 v40, v2
.LBB286_65:                             ;   in Loop: Header=BB286_14 Depth=1
	s_or_b64 exec, exec, s[48:49]
	global_load_dword v14, v[12:13], off offset:520
	s_mov_b64 s[0:1], 0
                                        ; implicit-def: $sgpr50
	s_waitcnt vmcnt(0)
	v_cmp_gt_i16_sdwa s[46:47], v14, s60 src0_sel:BYTE_0 src1_sel:DWORD
	s_and_saveexec_b64 s[48:49], s[46:47]
	s_xor_b64 s[46:47], exec, s[48:49]
	s_cbranch_execnz .LBB286_195
; %bb.66:                               ;   in Loop: Header=BB286_14 Depth=1
	s_or_saveexec_b64 s[46:47], s[46:47]
	v_mov_b32_e32 v41, s50
	s_xor_b64 exec, exec, s[46:47]
	s_cbranch_execnz .LBB286_198
.LBB286_67:                             ;   in Loop: Header=BB286_14 Depth=1
	s_or_b64 exec, exec, s[46:47]
	s_and_saveexec_b64 s[46:47], s[0:1]
	s_cbranch_execz .LBB286_69
.LBB286_68:                             ;   in Loop: Header=BB286_14 Depth=1
	v_and_b32_e32 v2, 7, v14
	v_ffbh_u32_e32 v42, v2
	v_min_u32_e32 v44, 32, v42
	v_subrev_u32_e32 v42, 28, v44
	v_bfe_u32 v41, v14, 3, 4
	v_lshlrev_b64 v[42:43], v42, v[14:15]
	v_sub_u32_e32 v43, 29, v44
	v_cmp_eq_u32_e64 s[0:1], 0, v41
	v_and_b32_e32 v42, 7, v42
	s_nop 0
	v_cndmask_b32_e64 v41, v41, v43, s[0:1]
	v_cndmask_b32_e64 v2, v2, v42, s[0:1]
	v_lshlrev_b32_e32 v42, 8, v14
	v_lshl_add_u32 v41, v41, 10, v25
	v_and_or_b32 v41, v42, s62, v41
	v_lshl_or_b32 v2, v2, 7, v41
	v_cvt_f32_f16_e32 v41, v2
.LBB286_69:                             ;   in Loop: Header=BB286_14 Depth=1
	s_or_b64 exec, exec, s[46:47]
	v_lshrrev_b16_e32 v2, 8, v14
	v_cmp_lt_i16_e64 s[0:1], s60, v2
	s_mov_b64 s[46:47], 0
                                        ; implicit-def: $sgpr63
	s_and_saveexec_b64 s[48:49], s[0:1]
	s_xor_b64 s[48:49], exec, s[48:49]
	s_cbranch_execnz .LBB286_199
; %bb.70:                               ;   in Loop: Header=BB286_14 Depth=1
	s_or_saveexec_b64 s[48:49], s[48:49]
	v_mov_b32_e32 v42, s63
	s_xor_b64 exec, exec, s[48:49]
	s_cbranch_execnz .LBB286_202
.LBB286_71:                             ;   in Loop: Header=BB286_14 Depth=1
	s_or_b64 exec, exec, s[48:49]
	s_and_saveexec_b64 s[48:49], s[46:47]
	s_cbranch_execz .LBB286_73
.LBB286_72:                             ;   in Loop: Header=BB286_14 Depth=1
	v_and_b32_e32 v44, 7, v2
	v_ffbh_u32_e32 v42, v44
	v_min_u32_e32 v46, 32, v42
	v_subrev_u32_e32 v42, 28, v46
	v_bfe_u32 v45, v2, 3, 4
	v_lshlrev_b64 v[42:43], v42, v[2:3]
	v_sub_u32_e32 v43, 29, v46
	v_cmp_eq_u32_e64 s[0:1], 0, v45
	v_and_b32_e32 v42, 7, v42
	v_lshlrev_b32_e32 v2, 8, v2
	v_cndmask_b32_e64 v43, v45, v43, s[0:1]
	v_lshl_add_u32 v43, v43, 10, v25
	v_cndmask_b32_e64 v42, v44, v42, s[0:1]
	v_and_or_b32 v2, v2, s62, v43
	v_lshl_or_b32 v2, v42, 7, v2
	v_cvt_f32_f16_e32 v42, v2
.LBB286_73:                             ;   in Loop: Header=BB286_14 Depth=1
	s_or_b64 exec, exec, s[48:49]
	v_lshrrev_b32_e32 v2, 16, v14
	v_cmp_gt_i16_sdwa s[46:47], v2, s60 src0_sel:BYTE_0 src1_sel:DWORD
	s_mov_b64 s[0:1], 0
                                        ; implicit-def: $sgpr50
	s_and_saveexec_b64 s[48:49], s[46:47]
	s_xor_b64 s[46:47], exec, s[48:49]
	s_cbranch_execnz .LBB286_203
; %bb.74:                               ;   in Loop: Header=BB286_14 Depth=1
	s_or_saveexec_b64 s[46:47], s[46:47]
	v_mov_b32_e32 v43, s50
	s_xor_b64 exec, exec, s[46:47]
	s_cbranch_execnz .LBB286_206
.LBB286_75:                             ;   in Loop: Header=BB286_14 Depth=1
	s_or_b64 exec, exec, s[46:47]
	s_and_saveexec_b64 s[46:47], s[0:1]
	s_cbranch_execz .LBB286_77
.LBB286_76:                             ;   in Loop: Header=BB286_14 Depth=1
	v_bfe_u32 v43, v14, 16, 3
	v_ffbh_u32_e32 v44, v43
	v_min_u32_e32 v47, 32, v44
	v_subrev_u32_e32 v44, 28, v47
	v_bfe_u32 v46, v14, 19, 4
	v_lshlrev_b64 v[44:45], v44, v[2:3]
	v_sub_u32_e32 v45, 29, v47
	v_cmp_eq_u32_e64 s[0:1], 0, v46
	v_and_b32_e32 v44, 7, v44
	v_lshlrev_b32_e32 v2, 8, v2
	v_cndmask_b32_e64 v45, v46, v45, s[0:1]
	v_cndmask_b32_e64 v43, v43, v44, s[0:1]
	v_lshl_add_u32 v44, v45, 10, v25
	v_and_or_b32 v2, v2, s62, v44
	v_lshl_or_b32 v2, v43, 7, v2
	v_cvt_f32_f16_e32 v43, v2
.LBB286_77:                             ;   in Loop: Header=BB286_14 Depth=1
	s_or_b64 exec, exec, s[46:47]
	v_lshrrev_b32_e32 v2, 24, v14
	v_cmp_lt_i16_e64 s[0:1], s60, v2
	s_mov_b64 s[46:47], 0
                                        ; implicit-def: $sgpr63
	s_and_saveexec_b64 s[48:49], s[0:1]
	s_xor_b64 s[48:49], exec, s[48:49]
	s_cbranch_execnz .LBB286_207
; %bb.78:                               ;   in Loop: Header=BB286_14 Depth=1
	s_or_saveexec_b64 s[48:49], s[48:49]
	v_mov_b32_e32 v44, s63
	s_xor_b64 exec, exec, s[48:49]
	s_cbranch_execnz .LBB286_210
.LBB286_79:                             ;   in Loop: Header=BB286_14 Depth=1
	s_or_b64 exec, exec, s[48:49]
	s_and_saveexec_b64 s[48:49], s[46:47]
	s_cbranch_execz .LBB286_81
.LBB286_80:                             ;   in Loop: Header=BB286_14 Depth=1
	v_bfe_u32 v46, v14, 24, 3
	v_ffbh_u32_e32 v44, v46
	v_min_u32_e32 v47, 32, v44
	v_subrev_u32_e32 v44, 28, v47
	v_bfe_u32 v14, v14, 27, 4
	v_lshlrev_b64 v[44:45], v44, v[2:3]
	v_sub_u32_e32 v45, 29, v47
	v_cmp_eq_u32_e64 s[0:1], 0, v14
	v_and_b32_e32 v44, 7, v44
	v_lshlrev_b32_e32 v2, 8, v2
	v_cndmask_b32_e64 v14, v14, v45, s[0:1]
	v_lshl_add_u32 v14, v14, 10, v25
	v_cndmask_b32_e64 v44, v46, v44, s[0:1]
	v_and_or_b32 v2, v2, s62, v14
	v_lshl_or_b32 v2, v44, 7, v2
	v_cvt_f32_f16_e32 v44, v2
.LBB286_81:                             ;   in Loop: Header=BB286_14 Depth=1
	s_or_b64 exec, exec, s[48:49]
	global_load_dword v14, v[12:13], off offset:1024
	s_mov_b64 s[0:1], 0
                                        ; implicit-def: $sgpr50
	s_waitcnt vmcnt(0)
	v_cmp_gt_i16_sdwa s[46:47], v14, s60 src0_sel:BYTE_0 src1_sel:DWORD
	s_and_saveexec_b64 s[48:49], s[46:47]
	s_xor_b64 s[46:47], exec, s[48:49]
	s_cbranch_execnz .LBB286_211
; %bb.82:                               ;   in Loop: Header=BB286_14 Depth=1
	s_or_saveexec_b64 s[46:47], s[46:47]
	v_mov_b32_e32 v45, s50
	s_xor_b64 exec, exec, s[46:47]
	s_cbranch_execnz .LBB286_214
.LBB286_83:                             ;   in Loop: Header=BB286_14 Depth=1
	s_or_b64 exec, exec, s[46:47]
	s_and_saveexec_b64 s[46:47], s[0:1]
	s_cbranch_execz .LBB286_85
.LBB286_84:                             ;   in Loop: Header=BB286_14 Depth=1
	v_and_b32_e32 v2, 7, v14
	v_ffbh_u32_e32 v46, v2
	v_min_u32_e32 v48, 32, v46
	v_subrev_u32_e32 v46, 28, v48
	v_bfe_u32 v45, v14, 3, 4
	v_lshlrev_b64 v[46:47], v46, v[14:15]
	v_sub_u32_e32 v47, 29, v48
	v_cmp_eq_u32_e64 s[0:1], 0, v45
	v_and_b32_e32 v46, 7, v46
	s_nop 0
	v_cndmask_b32_e64 v45, v45, v47, s[0:1]
	v_cndmask_b32_e64 v2, v2, v46, s[0:1]
	v_lshlrev_b32_e32 v46, 8, v14
	v_lshl_add_u32 v45, v45, 10, v25
	v_and_or_b32 v45, v46, s62, v45
	v_lshl_or_b32 v2, v2, 7, v45
	v_cvt_f32_f16_e32 v45, v2
.LBB286_85:                             ;   in Loop: Header=BB286_14 Depth=1
	s_or_b64 exec, exec, s[46:47]
	v_lshrrev_b16_e32 v2, 8, v14
	v_cmp_lt_i16_e64 s[0:1], s60, v2
	s_mov_b64 s[46:47], 0
                                        ; implicit-def: $sgpr63
	s_and_saveexec_b64 s[48:49], s[0:1]
	s_xor_b64 s[48:49], exec, s[48:49]
	s_cbranch_execnz .LBB286_215
; %bb.86:                               ;   in Loop: Header=BB286_14 Depth=1
	s_or_saveexec_b64 s[48:49], s[48:49]
	v_mov_b32_e32 v46, s63
	s_xor_b64 exec, exec, s[48:49]
	s_cbranch_execnz .LBB286_218
.LBB286_87:                             ;   in Loop: Header=BB286_14 Depth=1
	s_or_b64 exec, exec, s[48:49]
	s_and_saveexec_b64 s[48:49], s[46:47]
	s_cbranch_execz .LBB286_89
.LBB286_88:                             ;   in Loop: Header=BB286_14 Depth=1
	v_and_b32_e32 v48, 7, v2
	v_ffbh_u32_e32 v46, v48
	v_min_u32_e32 v50, 32, v46
	v_subrev_u32_e32 v46, 28, v50
	v_bfe_u32 v49, v2, 3, 4
	v_lshlrev_b64 v[46:47], v46, v[2:3]
	v_sub_u32_e32 v47, 29, v50
	v_cmp_eq_u32_e64 s[0:1], 0, v49
	v_and_b32_e32 v46, 7, v46
	v_lshlrev_b32_e32 v2, 8, v2
	v_cndmask_b32_e64 v47, v49, v47, s[0:1]
	v_lshl_add_u32 v47, v47, 10, v25
	v_cndmask_b32_e64 v46, v48, v46, s[0:1]
	v_and_or_b32 v2, v2, s62, v47
	v_lshl_or_b32 v2, v46, 7, v2
	v_cvt_f32_f16_e32 v46, v2
.LBB286_89:                             ;   in Loop: Header=BB286_14 Depth=1
	s_or_b64 exec, exec, s[48:49]
	v_lshrrev_b32_e32 v2, 16, v14
	v_cmp_gt_i16_sdwa s[46:47], v2, s60 src0_sel:BYTE_0 src1_sel:DWORD
	s_mov_b64 s[0:1], 0
                                        ; implicit-def: $sgpr50
	s_and_saveexec_b64 s[48:49], s[46:47]
	s_xor_b64 s[46:47], exec, s[48:49]
	s_cbranch_execnz .LBB286_219
; %bb.90:                               ;   in Loop: Header=BB286_14 Depth=1
	s_or_saveexec_b64 s[46:47], s[46:47]
	v_mov_b32_e32 v47, s50
	s_xor_b64 exec, exec, s[46:47]
	s_cbranch_execnz .LBB286_222
.LBB286_91:                             ;   in Loop: Header=BB286_14 Depth=1
	s_or_b64 exec, exec, s[46:47]
	s_and_saveexec_b64 s[46:47], s[0:1]
	s_cbranch_execz .LBB286_93
.LBB286_92:                             ;   in Loop: Header=BB286_14 Depth=1
	v_bfe_u32 v47, v14, 16, 3
	v_ffbh_u32_e32 v48, v47
	v_min_u32_e32 v51, 32, v48
	v_subrev_u32_e32 v48, 28, v51
	v_bfe_u32 v50, v14, 19, 4
	v_lshlrev_b64 v[48:49], v48, v[2:3]
	v_sub_u32_e32 v49, 29, v51
	v_cmp_eq_u32_e64 s[0:1], 0, v50
	v_and_b32_e32 v48, 7, v48
	v_lshlrev_b32_e32 v2, 8, v2
	v_cndmask_b32_e64 v49, v50, v49, s[0:1]
	v_cndmask_b32_e64 v47, v47, v48, s[0:1]
	v_lshl_add_u32 v48, v49, 10, v25
	v_and_or_b32 v2, v2, s62, v48
	v_lshl_or_b32 v2, v47, 7, v2
	v_cvt_f32_f16_e32 v47, v2
.LBB286_93:                             ;   in Loop: Header=BB286_14 Depth=1
	s_or_b64 exec, exec, s[46:47]
	v_lshrrev_b32_e32 v2, 24, v14
	v_cmp_lt_i16_e64 s[0:1], s60, v2
	s_mov_b64 s[46:47], 0
                                        ; implicit-def: $sgpr63
	s_and_saveexec_b64 s[48:49], s[0:1]
	s_xor_b64 s[48:49], exec, s[48:49]
	s_cbranch_execnz .LBB286_223
; %bb.94:                               ;   in Loop: Header=BB286_14 Depth=1
	s_or_saveexec_b64 s[48:49], s[48:49]
	v_mov_b32_e32 v48, s63
	s_xor_b64 exec, exec, s[48:49]
	s_cbranch_execnz .LBB286_226
.LBB286_95:                             ;   in Loop: Header=BB286_14 Depth=1
	s_or_b64 exec, exec, s[48:49]
	s_and_saveexec_b64 s[48:49], s[46:47]
	s_cbranch_execz .LBB286_97
.LBB286_96:                             ;   in Loop: Header=BB286_14 Depth=1
	v_bfe_u32 v50, v14, 24, 3
	v_ffbh_u32_e32 v48, v50
	v_min_u32_e32 v51, 32, v48
	v_subrev_u32_e32 v48, 28, v51
	v_bfe_u32 v14, v14, 27, 4
	v_lshlrev_b64 v[48:49], v48, v[2:3]
	v_sub_u32_e32 v49, 29, v51
	v_cmp_eq_u32_e64 s[0:1], 0, v14
	v_and_b32_e32 v48, 7, v48
	v_lshlrev_b32_e32 v2, 8, v2
	v_cndmask_b32_e64 v14, v14, v49, s[0:1]
	v_lshl_add_u32 v14, v14, 10, v25
	v_cndmask_b32_e64 v48, v50, v48, s[0:1]
	v_and_or_b32 v2, v2, s62, v14
	v_lshl_or_b32 v2, v48, 7, v2
	v_cvt_f32_f16_e32 v48, v2
.LBB286_97:                             ;   in Loop: Header=BB286_14 Depth=1
	s_or_b64 exec, exec, s[48:49]
	global_load_dword v14, v[12:13], off offset:1032
	s_mov_b64 s[0:1], 0
                                        ; implicit-def: $sgpr50
	s_waitcnt vmcnt(0)
	v_cmp_gt_i16_sdwa s[46:47], v14, s60 src0_sel:BYTE_0 src1_sel:DWORD
	s_and_saveexec_b64 s[48:49], s[46:47]
	s_xor_b64 s[46:47], exec, s[48:49]
	s_cbranch_execnz .LBB286_227
; %bb.98:                               ;   in Loop: Header=BB286_14 Depth=1
	s_or_saveexec_b64 s[46:47], s[46:47]
	v_mov_b32_e32 v49, s50
	s_xor_b64 exec, exec, s[46:47]
	s_cbranch_execnz .LBB286_230
.LBB286_99:                             ;   in Loop: Header=BB286_14 Depth=1
	s_or_b64 exec, exec, s[46:47]
	s_and_saveexec_b64 s[46:47], s[0:1]
	s_cbranch_execz .LBB286_101
.LBB286_100:                            ;   in Loop: Header=BB286_14 Depth=1
	v_and_b32_e32 v2, 7, v14
	v_ffbh_u32_e32 v50, v2
	v_min_u32_e32 v52, 32, v50
	v_subrev_u32_e32 v50, 28, v52
	v_bfe_u32 v49, v14, 3, 4
	v_lshlrev_b64 v[50:51], v50, v[14:15]
	v_sub_u32_e32 v51, 29, v52
	v_cmp_eq_u32_e64 s[0:1], 0, v49
	v_and_b32_e32 v50, 7, v50
	s_nop 0
	v_cndmask_b32_e64 v49, v49, v51, s[0:1]
	v_cndmask_b32_e64 v2, v2, v50, s[0:1]
	v_lshlrev_b32_e32 v50, 8, v14
	v_lshl_add_u32 v49, v49, 10, v25
	v_and_or_b32 v49, v50, s62, v49
	v_lshl_or_b32 v2, v2, 7, v49
	v_cvt_f32_f16_e32 v49, v2
.LBB286_101:                            ;   in Loop: Header=BB286_14 Depth=1
	s_or_b64 exec, exec, s[46:47]
	v_lshrrev_b16_e32 v2, 8, v14
	v_cmp_lt_i16_e64 s[0:1], s60, v2
	s_mov_b64 s[46:47], 0
                                        ; implicit-def: $sgpr63
	s_and_saveexec_b64 s[48:49], s[0:1]
	s_xor_b64 s[48:49], exec, s[48:49]
	s_cbranch_execnz .LBB286_231
; %bb.102:                              ;   in Loop: Header=BB286_14 Depth=1
	s_or_saveexec_b64 s[48:49], s[48:49]
	v_mov_b32_e32 v50, s63
	s_xor_b64 exec, exec, s[48:49]
	s_cbranch_execnz .LBB286_234
.LBB286_103:                            ;   in Loop: Header=BB286_14 Depth=1
	s_or_b64 exec, exec, s[48:49]
	s_and_saveexec_b64 s[48:49], s[46:47]
	s_cbranch_execz .LBB286_105
.LBB286_104:                            ;   in Loop: Header=BB286_14 Depth=1
	v_and_b32_e32 v52, 7, v2
	v_ffbh_u32_e32 v50, v52
	v_min_u32_e32 v54, 32, v50
	v_subrev_u32_e32 v50, 28, v54
	v_bfe_u32 v53, v2, 3, 4
	v_lshlrev_b64 v[50:51], v50, v[2:3]
	v_sub_u32_e32 v51, 29, v54
	v_cmp_eq_u32_e64 s[0:1], 0, v53
	v_and_b32_e32 v50, 7, v50
	v_lshlrev_b32_e32 v2, 8, v2
	v_cndmask_b32_e64 v51, v53, v51, s[0:1]
	v_lshl_add_u32 v51, v51, 10, v25
	v_cndmask_b32_e64 v50, v52, v50, s[0:1]
	v_and_or_b32 v2, v2, s62, v51
	v_lshl_or_b32 v2, v50, 7, v2
	v_cvt_f32_f16_e32 v50, v2
.LBB286_105:                            ;   in Loop: Header=BB286_14 Depth=1
	s_or_b64 exec, exec, s[48:49]
	v_lshrrev_b32_e32 v2, 16, v14
	v_cmp_gt_i16_sdwa s[46:47], v2, s60 src0_sel:BYTE_0 src1_sel:DWORD
	s_mov_b64 s[0:1], 0
                                        ; implicit-def: $sgpr50
	s_and_saveexec_b64 s[48:49], s[46:47]
	s_xor_b64 s[46:47], exec, s[48:49]
	s_cbranch_execnz .LBB286_235
; %bb.106:                              ;   in Loop: Header=BB286_14 Depth=1
	s_or_saveexec_b64 s[46:47], s[46:47]
	v_mov_b32_e32 v51, s50
	s_xor_b64 exec, exec, s[46:47]
	s_cbranch_execnz .LBB286_238
.LBB286_107:                            ;   in Loop: Header=BB286_14 Depth=1
	s_or_b64 exec, exec, s[46:47]
	s_and_saveexec_b64 s[46:47], s[0:1]
	s_cbranch_execz .LBB286_109
.LBB286_108:                            ;   in Loop: Header=BB286_14 Depth=1
	v_bfe_u32 v51, v14, 16, 3
	v_ffbh_u32_e32 v52, v51
	v_min_u32_e32 v55, 32, v52
	v_subrev_u32_e32 v52, 28, v55
	v_bfe_u32 v54, v14, 19, 4
	v_lshlrev_b64 v[52:53], v52, v[2:3]
	v_sub_u32_e32 v53, 29, v55
	v_cmp_eq_u32_e64 s[0:1], 0, v54
	v_and_b32_e32 v52, 7, v52
	v_lshlrev_b32_e32 v2, 8, v2
	v_cndmask_b32_e64 v53, v54, v53, s[0:1]
	v_cndmask_b32_e64 v51, v51, v52, s[0:1]
	v_lshl_add_u32 v52, v53, 10, v25
	v_and_or_b32 v2, v2, s62, v52
	v_lshl_or_b32 v2, v51, 7, v2
	v_cvt_f32_f16_e32 v51, v2
.LBB286_109:                            ;   in Loop: Header=BB286_14 Depth=1
	s_or_b64 exec, exec, s[46:47]
	v_lshrrev_b32_e32 v2, 24, v14
	v_cmp_lt_i16_e64 s[0:1], s60, v2
	s_mov_b64 s[46:47], 0
                                        ; implicit-def: $sgpr63
	s_and_saveexec_b64 s[48:49], s[0:1]
	s_xor_b64 s[48:49], exec, s[48:49]
	s_cbranch_execnz .LBB286_239
; %bb.110:                              ;   in Loop: Header=BB286_14 Depth=1
	s_or_saveexec_b64 s[48:49], s[48:49]
	v_mov_b32_e32 v52, s63
	s_xor_b64 exec, exec, s[48:49]
	s_cbranch_execnz .LBB286_242
.LBB286_111:                            ;   in Loop: Header=BB286_14 Depth=1
	s_or_b64 exec, exec, s[48:49]
	s_and_saveexec_b64 s[48:49], s[46:47]
	s_cbranch_execz .LBB286_113
.LBB286_112:                            ;   in Loop: Header=BB286_14 Depth=1
	v_bfe_u32 v54, v14, 24, 3
	v_ffbh_u32_e32 v52, v54
	v_min_u32_e32 v55, 32, v52
	v_subrev_u32_e32 v52, 28, v55
	v_bfe_u32 v14, v14, 27, 4
	v_lshlrev_b64 v[52:53], v52, v[2:3]
	v_sub_u32_e32 v53, 29, v55
	v_cmp_eq_u32_e64 s[0:1], 0, v14
	v_and_b32_e32 v52, 7, v52
	v_lshlrev_b32_e32 v2, 8, v2
	v_cndmask_b32_e64 v14, v14, v53, s[0:1]
	v_lshl_add_u32 v14, v14, 10, v25
	v_cndmask_b32_e64 v52, v54, v52, s[0:1]
	v_and_or_b32 v2, v2, s62, v14
	v_lshl_or_b32 v2, v52, 7, v2
	v_cvt_f32_f16_e32 v52, v2
.LBB286_113:                            ;   in Loop: Header=BB286_14 Depth=1
	s_or_b64 exec, exec, s[48:49]
	global_load_dword v14, v[12:13], off offset:1536
	s_mov_b64 s[0:1], 0
                                        ; implicit-def: $sgpr50
	s_waitcnt vmcnt(0)
	v_cmp_gt_i16_sdwa s[46:47], v14, s60 src0_sel:BYTE_0 src1_sel:DWORD
	s_and_saveexec_b64 s[48:49], s[46:47]
	s_xor_b64 s[46:47], exec, s[48:49]
	s_cbranch_execnz .LBB286_243
; %bb.114:                              ;   in Loop: Header=BB286_14 Depth=1
	s_or_saveexec_b64 s[46:47], s[46:47]
	v_mov_b32_e32 v53, s50
	s_xor_b64 exec, exec, s[46:47]
	s_cbranch_execnz .LBB286_246
.LBB286_115:                            ;   in Loop: Header=BB286_14 Depth=1
	s_or_b64 exec, exec, s[46:47]
	s_and_saveexec_b64 s[46:47], s[0:1]
	s_cbranch_execz .LBB286_117
.LBB286_116:                            ;   in Loop: Header=BB286_14 Depth=1
	v_and_b32_e32 v2, 7, v14
	v_ffbh_u32_e32 v54, v2
	v_min_u32_e32 v56, 32, v54
	v_subrev_u32_e32 v54, 28, v56
	v_bfe_u32 v53, v14, 3, 4
	v_lshlrev_b64 v[54:55], v54, v[14:15]
	v_sub_u32_e32 v55, 29, v56
	v_cmp_eq_u32_e64 s[0:1], 0, v53
	v_and_b32_e32 v54, 7, v54
	s_nop 0
	v_cndmask_b32_e64 v53, v53, v55, s[0:1]
	v_cndmask_b32_e64 v2, v2, v54, s[0:1]
	v_lshlrev_b32_e32 v54, 8, v14
	v_lshl_add_u32 v53, v53, 10, v25
	v_and_or_b32 v53, v54, s62, v53
	v_lshl_or_b32 v2, v2, 7, v53
	v_cvt_f32_f16_e32 v53, v2
.LBB286_117:                            ;   in Loop: Header=BB286_14 Depth=1
	s_or_b64 exec, exec, s[46:47]
	v_lshrrev_b16_e32 v2, 8, v14
	v_cmp_lt_i16_e64 s[0:1], s60, v2
	s_mov_b64 s[46:47], 0
                                        ; implicit-def: $sgpr63
	s_and_saveexec_b64 s[48:49], s[0:1]
	s_xor_b64 s[48:49], exec, s[48:49]
	s_cbranch_execnz .LBB286_247
; %bb.118:                              ;   in Loop: Header=BB286_14 Depth=1
	s_or_saveexec_b64 s[48:49], s[48:49]
	v_mov_b32_e32 v54, s63
	s_xor_b64 exec, exec, s[48:49]
	s_cbranch_execnz .LBB286_250
.LBB286_119:                            ;   in Loop: Header=BB286_14 Depth=1
	s_or_b64 exec, exec, s[48:49]
	s_and_saveexec_b64 s[48:49], s[46:47]
	s_cbranch_execz .LBB286_121
.LBB286_120:                            ;   in Loop: Header=BB286_14 Depth=1
	v_and_b32_e32 v56, 7, v2
	v_ffbh_u32_e32 v54, v56
	v_min_u32_e32 v58, 32, v54
	v_subrev_u32_e32 v54, 28, v58
	v_bfe_u32 v57, v2, 3, 4
	v_lshlrev_b64 v[54:55], v54, v[2:3]
	v_sub_u32_e32 v55, 29, v58
	v_cmp_eq_u32_e64 s[0:1], 0, v57
	v_and_b32_e32 v54, 7, v54
	v_lshlrev_b32_e32 v2, 8, v2
	v_cndmask_b32_e64 v55, v57, v55, s[0:1]
	v_lshl_add_u32 v55, v55, 10, v25
	v_cndmask_b32_e64 v54, v56, v54, s[0:1]
	v_and_or_b32 v2, v2, s62, v55
	v_lshl_or_b32 v2, v54, 7, v2
	v_cvt_f32_f16_e32 v54, v2
.LBB286_121:                            ;   in Loop: Header=BB286_14 Depth=1
	s_or_b64 exec, exec, s[48:49]
	v_lshrrev_b32_e32 v2, 16, v14
	v_cmp_gt_i16_sdwa s[46:47], v2, s60 src0_sel:BYTE_0 src1_sel:DWORD
	s_mov_b64 s[0:1], 0
                                        ; implicit-def: $sgpr50
	s_and_saveexec_b64 s[48:49], s[46:47]
	s_xor_b64 s[46:47], exec, s[48:49]
	s_cbranch_execnz .LBB286_251
; %bb.122:                              ;   in Loop: Header=BB286_14 Depth=1
	s_or_saveexec_b64 s[46:47], s[46:47]
	v_mov_b32_e32 v55, s50
	s_xor_b64 exec, exec, s[46:47]
	s_cbranch_execnz .LBB286_254
.LBB286_123:                            ;   in Loop: Header=BB286_14 Depth=1
	s_or_b64 exec, exec, s[46:47]
	s_and_saveexec_b64 s[46:47], s[0:1]
	s_cbranch_execz .LBB286_125
.LBB286_124:                            ;   in Loop: Header=BB286_14 Depth=1
	v_bfe_u32 v55, v14, 16, 3
	v_ffbh_u32_e32 v56, v55
	v_min_u32_e32 v59, 32, v56
	v_subrev_u32_e32 v56, 28, v59
	v_bfe_u32 v58, v14, 19, 4
	v_lshlrev_b64 v[56:57], v56, v[2:3]
	v_sub_u32_e32 v57, 29, v59
	v_cmp_eq_u32_e64 s[0:1], 0, v58
	v_and_b32_e32 v56, 7, v56
	v_lshlrev_b32_e32 v2, 8, v2
	v_cndmask_b32_e64 v57, v58, v57, s[0:1]
	v_cndmask_b32_e64 v55, v55, v56, s[0:1]
	v_lshl_add_u32 v56, v57, 10, v25
	v_and_or_b32 v2, v2, s62, v56
	v_lshl_or_b32 v2, v55, 7, v2
	v_cvt_f32_f16_e32 v55, v2
.LBB286_125:                            ;   in Loop: Header=BB286_14 Depth=1
	s_or_b64 exec, exec, s[46:47]
	v_lshrrev_b32_e32 v2, 24, v14
	v_cmp_lt_i16_e64 s[0:1], s60, v2
	s_mov_b64 s[46:47], 0
                                        ; implicit-def: $sgpr63
	s_and_saveexec_b64 s[48:49], s[0:1]
	s_xor_b64 s[48:49], exec, s[48:49]
	s_cbranch_execnz .LBB286_255
; %bb.126:                              ;   in Loop: Header=BB286_14 Depth=1
	s_or_saveexec_b64 s[48:49], s[48:49]
	v_mov_b32_e32 v56, s63
	s_xor_b64 exec, exec, s[48:49]
	s_cbranch_execnz .LBB286_258
.LBB286_127:                            ;   in Loop: Header=BB286_14 Depth=1
	s_or_b64 exec, exec, s[48:49]
	s_and_saveexec_b64 s[48:49], s[46:47]
	s_cbranch_execz .LBB286_129
.LBB286_128:                            ;   in Loop: Header=BB286_14 Depth=1
	v_bfe_u32 v58, v14, 24, 3
	v_ffbh_u32_e32 v56, v58
	v_min_u32_e32 v59, 32, v56
	v_subrev_u32_e32 v56, 28, v59
	v_bfe_u32 v14, v14, 27, 4
	v_lshlrev_b64 v[56:57], v56, v[2:3]
	v_sub_u32_e32 v57, 29, v59
	v_cmp_eq_u32_e64 s[0:1], 0, v14
	v_and_b32_e32 v56, 7, v56
	v_lshlrev_b32_e32 v2, 8, v2
	v_cndmask_b32_e64 v14, v14, v57, s[0:1]
	v_lshl_add_u32 v14, v14, 10, v25
	v_cndmask_b32_e64 v56, v58, v56, s[0:1]
	v_and_or_b32 v2, v2, s62, v14
	v_lshl_or_b32 v2, v56, 7, v2
	v_cvt_f32_f16_e32 v56, v2
.LBB286_129:                            ;   in Loop: Header=BB286_14 Depth=1
	s_or_b64 exec, exec, s[48:49]
	global_load_dword v12, v[12:13], off offset:1544
	s_mov_b64 s[0:1], 0
                                        ; implicit-def: $sgpr50
	s_waitcnt vmcnt(0)
	v_cmp_gt_i16_sdwa s[46:47], v12, s60 src0_sel:BYTE_0 src1_sel:DWORD
	s_and_saveexec_b64 s[48:49], s[46:47]
	s_xor_b64 s[46:47], exec, s[48:49]
	s_cbranch_execnz .LBB286_259
; %bb.130:                              ;   in Loop: Header=BB286_14 Depth=1
	s_or_saveexec_b64 s[46:47], s[46:47]
	v_mov_b32_e32 v13, s50
	s_xor_b64 exec, exec, s[46:47]
	s_cbranch_execnz .LBB286_262
.LBB286_131:                            ;   in Loop: Header=BB286_14 Depth=1
	s_or_b64 exec, exec, s[46:47]
	s_and_saveexec_b64 s[46:47], s[0:1]
	s_cbranch_execz .LBB286_133
.LBB286_132:                            ;   in Loop: Header=BB286_14 Depth=1
	v_and_b32_e32 v2, 7, v12
	v_ffbh_u32_e32 v14, v2
	v_bfe_u32 v13, v12, 3, 4
	v_min_u32_e32 v14, 32, v14
	v_subrev_u32_e32 v57, 28, v14
	v_sub_u32_e32 v14, 29, v14
	v_cmp_eq_u32_e64 s[0:1], 0, v13
	v_lshlrev_b64 v[58:59], v57, v[12:13]
	v_and_b32_e32 v57, 7, v58
	v_cndmask_b32_e64 v13, v13, v14, s[0:1]
	v_lshlrev_b32_e32 v14, 8, v12
	v_lshl_add_u32 v13, v13, 10, v25
	v_cndmask_b32_e64 v2, v2, v57, s[0:1]
	v_and_or_b32 v13, v14, s62, v13
	v_lshl_or_b32 v2, v2, 7, v13
	v_cvt_f32_f16_e32 v13, v2
.LBB286_133:                            ;   in Loop: Header=BB286_14 Depth=1
	s_or_b64 exec, exec, s[46:47]
	v_lshrrev_b16_e32 v2, 8, v12
	v_cmp_lt_i16_e64 s[0:1], s60, v2
	s_mov_b64 s[46:47], 0
                                        ; implicit-def: $sgpr63
	s_and_saveexec_b64 s[48:49], s[0:1]
	s_xor_b64 s[48:49], exec, s[48:49]
	s_cbranch_execnz .LBB286_263
; %bb.134:                              ;   in Loop: Header=BB286_14 Depth=1
	s_or_saveexec_b64 s[48:49], s[48:49]
	v_mov_b32_e32 v14, s63
	s_xor_b64 exec, exec, s[48:49]
	s_cbranch_execnz .LBB286_266
.LBB286_135:                            ;   in Loop: Header=BB286_14 Depth=1
	s_or_b64 exec, exec, s[48:49]
	s_and_saveexec_b64 s[48:49], s[46:47]
	s_cbranch_execz .LBB286_137
.LBB286_136:                            ;   in Loop: Header=BB286_14 Depth=1
	v_and_b32_e32 v14, 7, v2
	v_ffbh_u32_e32 v58, v14
	v_min_u32_e32 v60, 32, v58
	v_subrev_u32_e32 v58, 28, v60
	v_bfe_u32 v57, v2, 3, 4
	v_lshlrev_b64 v[58:59], v58, v[2:3]
	v_sub_u32_e32 v59, 29, v60
	v_cmp_eq_u32_e64 s[0:1], 0, v57
	v_and_b32_e32 v58, 7, v58
	v_lshlrev_b32_e32 v2, 8, v2
	v_cndmask_b32_e64 v57, v57, v59, s[0:1]
	v_lshl_add_u32 v57, v57, 10, v25
	v_cndmask_b32_e64 v14, v14, v58, s[0:1]
	v_and_or_b32 v2, v2, s62, v57
	v_lshl_or_b32 v2, v14, 7, v2
	v_cvt_f32_f16_e32 v14, v2
.LBB286_137:                            ;   in Loop: Header=BB286_14 Depth=1
	s_or_b64 exec, exec, s[48:49]
	v_lshrrev_b32_e32 v2, 16, v12
	v_cmp_gt_i16_sdwa s[46:47], v2, s60 src0_sel:BYTE_0 src1_sel:DWORD
	s_mov_b64 s[0:1], 0
                                        ; implicit-def: $sgpr50
	s_and_saveexec_b64 s[48:49], s[46:47]
	s_xor_b64 s[46:47], exec, s[48:49]
	s_cbranch_execnz .LBB286_267
; %bb.138:                              ;   in Loop: Header=BB286_14 Depth=1
	s_or_saveexec_b64 s[46:47], s[46:47]
	v_mov_b32_e32 v57, s50
	s_xor_b64 exec, exec, s[46:47]
	s_cbranch_execnz .LBB286_270
.LBB286_139:                            ;   in Loop: Header=BB286_14 Depth=1
	s_or_b64 exec, exec, s[46:47]
	s_and_saveexec_b64 s[46:47], s[0:1]
	s_cbranch_execz .LBB286_141
.LBB286_140:                            ;   in Loop: Header=BB286_14 Depth=1
	v_bfe_u32 v57, v12, 16, 3
	v_ffbh_u32_e32 v58, v57
	v_min_u32_e32 v61, 32, v58
	v_subrev_u32_e32 v58, 28, v61
	v_bfe_u32 v60, v12, 19, 4
	v_lshlrev_b64 v[58:59], v58, v[2:3]
	v_sub_u32_e32 v59, 29, v61
	v_cmp_eq_u32_e64 s[0:1], 0, v60
	v_and_b32_e32 v58, 7, v58
	v_lshlrev_b32_e32 v2, 8, v2
	v_cndmask_b32_e64 v59, v60, v59, s[0:1]
	v_cndmask_b32_e64 v57, v57, v58, s[0:1]
	v_lshl_add_u32 v58, v59, 10, v25
	v_and_or_b32 v2, v2, s62, v58
	v_lshl_or_b32 v2, v57, 7, v2
	v_cvt_f32_f16_e32 v57, v2
.LBB286_141:                            ;   in Loop: Header=BB286_14 Depth=1
	s_or_b64 exec, exec, s[46:47]
	v_lshrrev_b32_e32 v2, 24, v12
	v_cmp_lt_i16_e64 s[0:1], s60, v2
	s_mov_b64 s[46:47], 0
                                        ; implicit-def: $sgpr63
	s_and_saveexec_b64 s[48:49], s[0:1]
	s_xor_b64 s[48:49], exec, s[48:49]
	s_cbranch_execnz .LBB286_271
; %bb.142:                              ;   in Loop: Header=BB286_14 Depth=1
	s_or_saveexec_b64 s[48:49], s[48:49]
	v_mov_b32_e32 v58, s63
	s_xor_b64 exec, exec, s[48:49]
	s_cbranch_execnz .LBB286_274
.LBB286_143:                            ;   in Loop: Header=BB286_14 Depth=1
	s_or_b64 exec, exec, s[48:49]
	s_and_saveexec_b64 s[48:49], s[46:47]
	s_cbranch_execz .LBB286_145
.LBB286_144:                            ;   in Loop: Header=BB286_14 Depth=1
	v_bfe_u32 v60, v12, 24, 3
	v_ffbh_u32_e32 v58, v60
	v_min_u32_e32 v61, 32, v58
	v_subrev_u32_e32 v58, 28, v61
	v_bfe_u32 v12, v12, 27, 4
	v_lshlrev_b64 v[58:59], v58, v[2:3]
	v_sub_u32_e32 v59, 29, v61
	v_cmp_eq_u32_e64 s[0:1], 0, v12
	v_and_b32_e32 v58, 7, v58
	v_lshlrev_b32_e32 v2, 8, v2
	v_cndmask_b32_e64 v12, v12, v59, s[0:1]
	v_lshl_add_u32 v12, v12, 10, v25
	v_cndmask_b32_e64 v58, v60, v58, s[0:1]
	v_and_or_b32 v2, v2, s62, v12
	v_lshl_or_b32 v2, v58, 7, v2
	v_cvt_f32_f16_e32 v58, v2
.LBB286_145:                            ;   in Loop: Header=BB286_14 Depth=1
	s_or_b64 exec, exec, s[48:49]
	v_fma_mixlo_f16 v2, v28, v54, 0
	v_fma_mixlo_f16 v54, v28, v55, 0
	;; [unrolled: 1-line block ×5, first 2 shown]
	ds_read_b64 v[34:35], v19
	v_fma_mixlo_f16 v30, v28, v30, 0
	v_fma_mixlo_f16 v29, v28, v29, 0
	v_and_b32_e32 v29, 0xffff, v29
	v_and_b32_e32 v30, 0xffff, v30
	s_waitcnt lgkmcnt(0)
	v_lshrrev_b32_e32 v59, 16, v34
	v_and_b32_e32 v34, 0xffff, v34
	v_fma_mixlo_f16 v31, v28, v31, 0
	;;#ASMSTART
	v_cvt_f32_f16 v34, v34;
	;;#ASMEND
	;;#ASMSTART
	v_cvt_f32_f16 v59, v59;
	;;#ASMEND
	;; [unrolled: 3-line block ×4, first 2 shown]
	v_lshrrev_b32_e32 v30, 16, v35
	v_and_b32_e32 v35, 0xffff, v35
	v_fma_mixlo_f16 v32, v28, v32, 0
	;;#ASMSTART
	v_cvt_f32_f16 v35, v35;
	;;#ASMEND
	;;#ASMSTART
	v_cvt_f32_f16 v61, v30;
	;;#ASMEND
	v_and_b32_e32 v30, 0xffff, v31
	;;#ASMSTART
	v_cvt_f32_f16 v62, v30;
	;;#ASMEND
	v_and_b32_e32 v30, 0xffff, v32
	;;#ASMSTART
	v_cvt_f32_f16 v32, v30;
	;;#ASMEND
	ds_read_b64 v[30:31], v19 offset:8
	v_fma_mixlo_f16 v33, v28, v33, 0
	v_fma_mixlo_f16 v63, v28, v13, 0
	v_and_b32_e32 v33, 0xffff, v33
	v_and_b32_e32 v12, 0xffff, v12
	s_waitcnt lgkmcnt(0)
	v_lshrrev_b32_e32 v13, 16, v30
	v_and_b32_e32 v30, 0xffff, v30
	;;#ASMSTART
	v_cvt_f32_f16 v30, v30;
	;;#ASMEND
	;;#ASMSTART
	v_cvt_f32_f16 v13, v13;
	;;#ASMEND
	;; [unrolled: 3-line block ×4, first 2 shown]
	v_fma_mixlo_f16 v36, v28, v36, 0
	v_mul_f32_e32 v30, v30, v33
	v_fmac_f32_e32 v30, v34, v29
	v_mul_f32_e32 v29, v13, v12
	v_lshrrev_b32_e32 v12, 16, v31
	v_and_b32_e32 v13, 0xffff, v31
	;;#ASMSTART
	v_cvt_f32_f16 v31, v13;
	;;#ASMEND
	;;#ASMSTART
	v_cvt_f32_f16 v33, v12;
	;;#ASMEND
	v_and_b32_e32 v12, 0xffff, v56
	;;#ASMSTART
	v_cvt_f32_f16 v34, v12;
	;;#ASMEND
	v_and_b32_e32 v12, 0xffff, v36
	;;#ASMSTART
	v_cvt_f32_f16 v36, v12;
	;;#ASMEND
	ds_read_b64 v[12:13], v19 offset:16
	v_mul_f32_e32 v33, v33, v36
	v_fma_mixlo_f16 v37, v28, v37, 0
	v_fmac_f32_e32 v33, v61, v32
	v_fma_mixlo_f16 v38, v28, v38, 0
	s_waitcnt lgkmcnt(0)
	v_lshrrev_b32_e32 v32, 16, v12
	v_and_b32_e32 v12, 0xffff, v12
	v_mul_f32_e32 v31, v31, v34
	;;#ASMSTART
	v_cvt_f32_f16 v34, v12;
	;;#ASMEND
	v_and_b32_e32 v12, 0xffff, v37
	v_fmac_f32_e32 v31, v35, v62
	;;#ASMSTART
	v_cvt_f32_f16 v32, v32;
	;;#ASMEND
	;;#ASMSTART
	v_cvt_f32_f16 v35, v12;
	;;#ASMEND
	v_and_b32_e32 v12, 0xffff, v38
	v_fma_mixlo_f16 v39, v28, v39, 0
	;;#ASMSTART
	v_cvt_f32_f16 v36, v12;
	;;#ASMEND
	v_lshrrev_b32_e32 v12, 16, v13
	v_fma_mixlo_f16 v40, v28, v40, 0
	v_and_b32_e32 v13, 0xffff, v13
	;;#ASMSTART
	v_cvt_f32_f16 v37, v13;
	;;#ASMEND
	;;#ASMSTART
	v_cvt_f32_f16 v38, v12;
	;;#ASMEND
	v_and_b32_e32 v12, 0xffff, v39
	;;#ASMSTART
	v_cvt_f32_f16 v39, v12;
	;;#ASMEND
	v_and_b32_e32 v12, 0xffff, v40
	;;#ASMSTART
	v_cvt_f32_f16 v40, v12;
	;;#ASMEND
	ds_read_b64 v[12:13], v19 offset:24
	v_fmac_f32_e32 v29, v59, v60
	v_fma_mixlo_f16 v41, v28, v41, 0
	v_fmac_f32_e32 v29, v32, v36
	v_fma_mixlo_f16 v42, v28, v42, 0
	s_waitcnt lgkmcnt(0)
	v_lshrrev_b32_e32 v32, 16, v12
	v_and_b32_e32 v12, 0xffff, v12
	v_fmac_f32_e32 v30, v34, v35
	;;#ASMSTART
	v_cvt_f32_f16 v34, v12;
	;;#ASMEND
	v_and_b32_e32 v12, 0xffff, v41
	;;#ASMSTART
	v_cvt_f32_f16 v32, v32;
	;;#ASMEND
	;;#ASMSTART
	v_cvt_f32_f16 v35, v12;
	;;#ASMEND
	v_and_b32_e32 v12, 0xffff, v42
	v_fma_mixlo_f16 v43, v28, v43, 0
	;;#ASMSTART
	v_cvt_f32_f16 v36, v12;
	;;#ASMEND
	v_lshrrev_b32_e32 v12, 16, v13
	v_fma_mixlo_f16 v44, v28, v44, 0
	v_fmac_f32_e32 v31, v37, v39
	v_fmac_f32_e32 v33, v38, v40
	v_and_b32_e32 v13, 0xffff, v13
	;;#ASMSTART
	v_cvt_f32_f16 v37, v13;
	;;#ASMEND
	;;#ASMSTART
	v_cvt_f32_f16 v38, v12;
	;;#ASMEND
	v_and_b32_e32 v12, 0xffff, v43
	;;#ASMSTART
	v_cvt_f32_f16 v39, v12;
	;;#ASMEND
	v_and_b32_e32 v12, 0xffff, v44
	;;#ASMSTART
	v_cvt_f32_f16 v40, v12;
	;;#ASMEND
	ds_read_b64 v[12:13], v19 offset:32
	v_fma_mixlo_f16 v45, v28, v45, 0
	v_fmac_f32_e32 v29, v32, v36
	v_fma_mixlo_f16 v46, v28, v46, 0
	v_fmac_f32_e32 v30, v34, v35
	s_waitcnt lgkmcnt(0)
	v_lshrrev_b32_e32 v32, 16, v12
	v_and_b32_e32 v12, 0xffff, v12
	;;#ASMSTART
	v_cvt_f32_f16 v34, v12;
	;;#ASMEND
	v_and_b32_e32 v12, 0xffff, v45
	;;#ASMSTART
	v_cvt_f32_f16 v32, v32;
	;;#ASMEND
	;;#ASMSTART
	v_cvt_f32_f16 v35, v12;
	;;#ASMEND
	v_and_b32_e32 v12, 0xffff, v46
	v_fma_mixlo_f16 v47, v28, v47, 0
	;;#ASMSTART
	v_cvt_f32_f16 v36, v12;
	;;#ASMEND
	v_lshrrev_b32_e32 v12, 16, v13
	v_fma_mixlo_f16 v48, v28, v48, 0
	v_fmac_f32_e32 v31, v37, v39
	v_fmac_f32_e32 v33, v38, v40
	v_and_b32_e32 v13, 0xffff, v13
	;;#ASMSTART
	v_cvt_f32_f16 v37, v13;
	;;#ASMEND
	;;#ASMSTART
	v_cvt_f32_f16 v38, v12;
	;;#ASMEND
	v_and_b32_e32 v12, 0xffff, v47
	;;#ASMSTART
	v_cvt_f32_f16 v39, v12;
	;;#ASMEND
	v_and_b32_e32 v12, 0xffff, v48
	;;#ASMSTART
	v_cvt_f32_f16 v40, v12;
	;;#ASMEND
	ds_read_b64 v[12:13], v19 offset:40
	v_fma_mixlo_f16 v49, v28, v49, 0
	v_fmac_f32_e32 v29, v32, v36
	v_fma_mixlo_f16 v50, v28, v50, 0
	v_fmac_f32_e32 v30, v34, v35
	s_waitcnt lgkmcnt(0)
	v_lshrrev_b32_e32 v32, 16, v12
	v_and_b32_e32 v12, 0xffff, v12
	;;#ASMSTART
	v_cvt_f32_f16 v34, v12;
	;;#ASMEND
	v_and_b32_e32 v12, 0xffff, v49
	;;#ASMSTART
	v_cvt_f32_f16 v32, v32;
	;;#ASMEND
	;;#ASMSTART
	v_cvt_f32_f16 v35, v12;
	;;#ASMEND
	v_and_b32_e32 v12, 0xffff, v50
	v_fma_mixlo_f16 v51, v28, v51, 0
	;;#ASMSTART
	v_cvt_f32_f16 v36, v12;
	;;#ASMEND
	v_lshrrev_b32_e32 v12, 16, v13
	v_fma_mixlo_f16 v52, v28, v52, 0
	v_fmac_f32_e32 v31, v37, v39
	v_fmac_f32_e32 v33, v38, v40
	v_and_b32_e32 v13, 0xffff, v13
	;;#ASMSTART
	v_cvt_f32_f16 v37, v13;
	;;#ASMEND
	;;#ASMSTART
	v_cvt_f32_f16 v38, v12;
	;;#ASMEND
	v_and_b32_e32 v12, 0xffff, v51
	;;#ASMSTART
	v_cvt_f32_f16 v39, v12;
	;;#ASMEND
	v_and_b32_e32 v12, 0xffff, v52
	;;#ASMSTART
	v_cvt_f32_f16 v40, v12;
	;;#ASMEND
	ds_read_b64 v[12:13], v19 offset:48
	v_fma_mixlo_f16 v53, v28, v53, 0
	v_fmac_f32_e32 v29, v32, v36
	v_fmac_f32_e32 v30, v34, v35
	v_and_b32_e32 v2, 0xffff, v2
	s_waitcnt lgkmcnt(0)
	v_lshrrev_b32_e32 v32, 16, v12
	v_and_b32_e32 v12, 0xffff, v12
	;;#ASMSTART
	v_cvt_f32_f16 v34, v12;
	;;#ASMEND
	v_and_b32_e32 v12, 0xffff, v53
	;;#ASMSTART
	v_cvt_f32_f16 v32, v32;
	;;#ASMEND
	;;#ASMSTART
	v_cvt_f32_f16 v35, v12;
	;;#ASMEND
	v_lshrrev_b32_e32 v12, 16, v13
	v_fmac_f32_e32 v31, v37, v39
	;;#ASMSTART
	v_cvt_f32_f16 v2, v2;
	;;#ASMEND
	v_and_b32_e32 v13, 0xffff, v13
	;;#ASMSTART
	v_cvt_f32_f16 v36, v13;
	;;#ASMEND
	;;#ASMSTART
	v_cvt_f32_f16 v37, v12;
	;;#ASMEND
	v_and_b32_e32 v12, 0xffff, v54
	v_fmac_f32_e32 v33, v38, v40
	;;#ASMSTART
	v_cvt_f32_f16 v38, v12;
	;;#ASMEND
	v_and_b32_e32 v12, 0xffff, v55
	;;#ASMSTART
	v_cvt_f32_f16 v39, v12;
	;;#ASMEND
	ds_read_b64 v[12:13], v19 offset:56
	v_fma_mixlo_f16 v14, v28, v14, 0
	v_fmac_f32_e32 v29, v32, v2
	v_fma_mixlo_f16 v57, v28, v57, 0
	v_fmac_f32_e32 v30, v34, v35
	s_waitcnt lgkmcnt(0)
	v_lshrrev_b32_e32 v2, 16, v12
	v_and_b32_e32 v12, 0xffff, v12
	;;#ASMSTART
	v_cvt_f32_f16 v12, v12;
	;;#ASMEND
	;;#ASMSTART
	v_cvt_f32_f16 v2, v2;
	;;#ASMEND
	v_and_b32_e32 v32, 0xffff, v63
	v_and_b32_e32 v14, 0xffff, v14
	;;#ASMSTART
	v_cvt_f32_f16 v32, v32;
	;;#ASMEND
	;;#ASMSTART
	v_cvt_f32_f16 v14, v14;
	;;#ASMEND
	v_fmac_f32_e32 v31, v36, v38
	v_fmac_f32_e32 v30, v12, v32
	;; [unrolled: 1-line block ×3, first 2 shown]
	v_lshrrev_b32_e32 v2, 16, v13
	v_and_b32_e32 v12, 0xffff, v13
	v_and_b32_e32 v13, 0xffff, v57
	;;#ASMSTART
	v_cvt_f32_f16 v12, v12;
	;;#ASMEND
	;;#ASMSTART
	v_cvt_f32_f16 v2, v2;
	;;#ASMEND
	;; [unrolled: 3-line block ×3, first 2 shown]
	v_fma_mixlo_f16 v28, v28, v58, 0
	v_fmac_f32_e32 v31, v12, v13
	v_and_b32_e32 v13, 64, v26
	v_fmac_f32_e32 v33, v37, v39
	v_and_b32_e32 v14, 0xffff, v28
	v_xor_b32_e32 v12, 1, v26
	v_add_u32_e32 v13, 64, v13
	;;#ASMSTART
	v_cvt_f32_f16 v14, v14;
	;;#ASMEND
	v_cmp_lt_i32_e64 s[0:1], v12, v13
	v_fmac_f32_e32 v33, v2, v14
	v_add_f32_e32 v2, v30, v29
	v_add_f32_e32 v2, v2, v31
	v_cndmask_b32_e64 v12, v26, v12, s[0:1]
	v_add_f32_e32 v2, v33, v2
	v_lshlrev_b32_e32 v12, 2, v12
	ds_bpermute_b32 v12, v12, v2
	s_and_saveexec_b64 s[46:47], vcc
	s_cbranch_execz .LBB286_12
; %bb.146:                              ;   in Loop: Header=BB286_14 Depth=1
	v_add_u32_e32 v13, v24, v22
	v_cvt_f32_i32_e32 v13, v13
	s_waitcnt lgkmcnt(0)
	v_add_f32_e32 v2, v2, v12
	v_add_u32_e32 v14, v18, v22
	v_cmp_gt_i32_e64 s[0:1], s33, v14
	v_mul_f32_e32 v12, s55, v13
	v_cndmask_b32_e64 v12, 0, v12, s[6:7]
	v_fmac_f32_e32 v12, s43, v2
	v_cndmask_b32_e64 v2, 0, v12, s[0:1]
	ds_write_b32 v23, v2
	v_max_f32_e32 v2, v20, v20
	v_max_f32_e32 v2, v2, v12
	v_cndmask_b32_e64 v20, v20, v2, s[0:1]
	s_branch .LBB286_12
.LBB286_147:                            ;   in Loop: Header=BB286_14 Depth=1
	v_cmp_eq_u16_sdwa s[64:65], v14, s61 src0_sel:BYTE_0 src1_sel:DWORD
	s_mov_b64 s[0:1], -1
                                        ; implicit-def: $sgpr50
	s_and_saveexec_b64 s[48:49], s[64:65]
; %bb.148:                              ;   in Loop: Header=BB286_14 Depth=1
	s_mov_b32 s50, 0x7fc02000
	s_xor_b64 s[0:1], exec, -1
; %bb.149:                              ;   in Loop: Header=BB286_14 Depth=1
	s_or_b64 exec, exec, s[48:49]
	s_and_b64 s[0:1], s[0:1], exec
	s_or_saveexec_b64 s[46:47], s[46:47]
	v_mov_b32_e32 v29, s50
	s_xor_b64 exec, exec, s[46:47]
	s_cbranch_execz .LBB286_19
.LBB286_150:                            ;   in Loop: Header=BB286_14 Depth=1
	v_cmp_ne_u16_sdwa s[48:49], v14, v3 src0_sel:BYTE_0 src1_sel:DWORD
	s_andn2_b64 s[0:1], s[0:1], exec
	s_and_b64 s[48:49], s[48:49], exec
	v_mov_b32_e32 v29, 0
	s_or_b64 s[0:1], s[0:1], s[48:49]
	s_or_b64 exec, exec, s[46:47]
	s_and_saveexec_b64 s[46:47], s[0:1]
	s_cbranch_execnz .LBB286_20
	s_branch .LBB286_21
.LBB286_151:                            ;   in Loop: Header=BB286_14 Depth=1
	v_cmp_eq_u16_e64 s[0:1], s61, v2
	s_mov_b64 s[46:47], -1
                                        ; implicit-def: $sgpr63
	s_and_saveexec_b64 s[50:51], s[0:1]
; %bb.152:                              ;   in Loop: Header=BB286_14 Depth=1
	s_mov_b32 s63, 0x7fc02000
	s_xor_b64 s[46:47], exec, -1
; %bb.153:                              ;   in Loop: Header=BB286_14 Depth=1
	s_or_b64 exec, exec, s[50:51]
	s_and_b64 s[46:47], s[46:47], exec
	s_or_saveexec_b64 s[48:49], s[48:49]
	v_mov_b32_e32 v30, s63
	s_xor_b64 exec, exec, s[48:49]
	s_cbranch_execz .LBB286_23
.LBB286_154:                            ;   in Loop: Header=BB286_14 Depth=1
	v_cmp_ne_u16_e64 s[0:1], 0, v2
	s_andn2_b64 s[46:47], s[46:47], exec
	s_and_b64 s[0:1], s[0:1], exec
	v_mov_b32_e32 v30, 0
	s_or_b64 s[46:47], s[46:47], s[0:1]
	s_or_b64 exec, exec, s[48:49]
	s_and_saveexec_b64 s[48:49], s[46:47]
	s_cbranch_execnz .LBB286_24
	s_branch .LBB286_25
.LBB286_155:                            ;   in Loop: Header=BB286_14 Depth=1
	v_cmp_eq_u16_sdwa s[64:65], v2, s61 src0_sel:BYTE_0 src1_sel:DWORD
	s_mov_b64 s[0:1], -1
                                        ; implicit-def: $sgpr50
	s_and_saveexec_b64 s[48:49], s[64:65]
; %bb.156:                              ;   in Loop: Header=BB286_14 Depth=1
	s_mov_b32 s50, 0x7fc02000
	s_xor_b64 s[0:1], exec, -1
; %bb.157:                              ;   in Loop: Header=BB286_14 Depth=1
	s_or_b64 exec, exec, s[48:49]
	s_and_b64 s[0:1], s[0:1], exec
	s_or_saveexec_b64 s[46:47], s[46:47]
	v_mov_b32_e32 v31, s50
	s_xor_b64 exec, exec, s[46:47]
	s_cbranch_execz .LBB286_27
.LBB286_158:                            ;   in Loop: Header=BB286_14 Depth=1
	v_cmp_ne_u16_sdwa s[48:49], v2, v3 src0_sel:BYTE_0 src1_sel:DWORD
	s_andn2_b64 s[0:1], s[0:1], exec
	s_and_b64 s[48:49], s[48:49], exec
	v_mov_b32_e32 v31, 0
	s_or_b64 s[0:1], s[0:1], s[48:49]
	s_or_b64 exec, exec, s[46:47]
	s_and_saveexec_b64 s[46:47], s[0:1]
	s_cbranch_execnz .LBB286_28
	s_branch .LBB286_29
.LBB286_159:                            ;   in Loop: Header=BB286_14 Depth=1
	v_cmp_eq_u16_e64 s[0:1], s61, v2
	s_mov_b64 s[46:47], -1
                                        ; implicit-def: $sgpr63
	s_and_saveexec_b64 s[50:51], s[0:1]
; %bb.160:                              ;   in Loop: Header=BB286_14 Depth=1
	s_mov_b32 s63, 0x7fc02000
	s_xor_b64 s[46:47], exec, -1
; %bb.161:                              ;   in Loop: Header=BB286_14 Depth=1
	s_or_b64 exec, exec, s[50:51]
	s_and_b64 s[46:47], s[46:47], exec
	s_or_saveexec_b64 s[48:49], s[48:49]
	v_mov_b32_e32 v32, s63
	s_xor_b64 exec, exec, s[48:49]
	s_cbranch_execz .LBB286_31
.LBB286_162:                            ;   in Loop: Header=BB286_14 Depth=1
	v_cmp_ne_u16_e64 s[0:1], 0, v2
	s_andn2_b64 s[46:47], s[46:47], exec
	s_and_b64 s[0:1], s[0:1], exec
	v_mov_b32_e32 v32, 0
	s_or_b64 s[46:47], s[46:47], s[0:1]
	s_or_b64 exec, exec, s[48:49]
	s_and_saveexec_b64 s[48:49], s[46:47]
	s_cbranch_execnz .LBB286_32
	s_branch .LBB286_33
.LBB286_163:                            ;   in Loop: Header=BB286_14 Depth=1
	v_cmp_eq_u16_sdwa s[64:65], v14, s61 src0_sel:BYTE_0 src1_sel:DWORD
	s_mov_b64 s[0:1], -1
                                        ; implicit-def: $sgpr50
	s_and_saveexec_b64 s[48:49], s[64:65]
; %bb.164:                              ;   in Loop: Header=BB286_14 Depth=1
	s_mov_b32 s50, 0x7fc02000
	s_xor_b64 s[0:1], exec, -1
; %bb.165:                              ;   in Loop: Header=BB286_14 Depth=1
	s_or_b64 exec, exec, s[48:49]
	s_and_b64 s[0:1], s[0:1], exec
	s_or_saveexec_b64 s[46:47], s[46:47]
	v_mov_b32_e32 v33, s50
	s_xor_b64 exec, exec, s[46:47]
	s_cbranch_execz .LBB286_35
.LBB286_166:                            ;   in Loop: Header=BB286_14 Depth=1
	v_cmp_ne_u16_sdwa s[48:49], v14, v3 src0_sel:BYTE_0 src1_sel:DWORD
	s_andn2_b64 s[0:1], s[0:1], exec
	s_and_b64 s[48:49], s[48:49], exec
	v_mov_b32_e32 v33, 0
	s_or_b64 s[0:1], s[0:1], s[48:49]
	s_or_b64 exec, exec, s[46:47]
	s_and_saveexec_b64 s[46:47], s[0:1]
	s_cbranch_execnz .LBB286_36
	s_branch .LBB286_37
.LBB286_167:                            ;   in Loop: Header=BB286_14 Depth=1
	v_cmp_eq_u16_e64 s[0:1], s61, v2
	s_mov_b64 s[46:47], -1
                                        ; implicit-def: $sgpr63
	s_and_saveexec_b64 s[50:51], s[0:1]
; %bb.168:                              ;   in Loop: Header=BB286_14 Depth=1
	s_mov_b32 s63, 0x7fc02000
	s_xor_b64 s[46:47], exec, -1
; %bb.169:                              ;   in Loop: Header=BB286_14 Depth=1
	s_or_b64 exec, exec, s[50:51]
	s_and_b64 s[46:47], s[46:47], exec
	s_or_saveexec_b64 s[48:49], s[48:49]
	v_mov_b32_e32 v34, s63
	s_xor_b64 exec, exec, s[48:49]
	s_cbranch_execz .LBB286_39
.LBB286_170:                            ;   in Loop: Header=BB286_14 Depth=1
	v_cmp_ne_u16_e64 s[0:1], 0, v2
	s_andn2_b64 s[46:47], s[46:47], exec
	s_and_b64 s[0:1], s[0:1], exec
	v_mov_b32_e32 v34, 0
	s_or_b64 s[46:47], s[46:47], s[0:1]
	s_or_b64 exec, exec, s[48:49]
	s_and_saveexec_b64 s[48:49], s[46:47]
	s_cbranch_execnz .LBB286_40
	s_branch .LBB286_41
.LBB286_171:                            ;   in Loop: Header=BB286_14 Depth=1
	v_cmp_eq_u16_sdwa s[64:65], v2, s61 src0_sel:BYTE_0 src1_sel:DWORD
	s_mov_b64 s[0:1], -1
                                        ; implicit-def: $sgpr50
	s_and_saveexec_b64 s[48:49], s[64:65]
; %bb.172:                              ;   in Loop: Header=BB286_14 Depth=1
	s_mov_b32 s50, 0x7fc02000
	s_xor_b64 s[0:1], exec, -1
; %bb.173:                              ;   in Loop: Header=BB286_14 Depth=1
	s_or_b64 exec, exec, s[48:49]
	s_and_b64 s[0:1], s[0:1], exec
	s_or_saveexec_b64 s[46:47], s[46:47]
	v_mov_b32_e32 v35, s50
	s_xor_b64 exec, exec, s[46:47]
	s_cbranch_execz .LBB286_43
.LBB286_174:                            ;   in Loop: Header=BB286_14 Depth=1
	v_cmp_ne_u16_sdwa s[48:49], v2, v3 src0_sel:BYTE_0 src1_sel:DWORD
	s_andn2_b64 s[0:1], s[0:1], exec
	s_and_b64 s[48:49], s[48:49], exec
	v_mov_b32_e32 v35, 0
	s_or_b64 s[0:1], s[0:1], s[48:49]
	s_or_b64 exec, exec, s[46:47]
	s_and_saveexec_b64 s[46:47], s[0:1]
	s_cbranch_execnz .LBB286_44
	s_branch .LBB286_45
.LBB286_175:                            ;   in Loop: Header=BB286_14 Depth=1
	v_cmp_eq_u16_e64 s[0:1], s61, v2
	s_mov_b64 s[46:47], -1
                                        ; implicit-def: $sgpr63
	s_and_saveexec_b64 s[50:51], s[0:1]
; %bb.176:                              ;   in Loop: Header=BB286_14 Depth=1
	s_mov_b32 s63, 0x7fc02000
	s_xor_b64 s[46:47], exec, -1
; %bb.177:                              ;   in Loop: Header=BB286_14 Depth=1
	s_or_b64 exec, exec, s[50:51]
	s_and_b64 s[46:47], s[46:47], exec
	s_or_saveexec_b64 s[48:49], s[48:49]
	v_mov_b32_e32 v36, s63
	s_xor_b64 exec, exec, s[48:49]
	s_cbranch_execz .LBB286_47
.LBB286_178:                            ;   in Loop: Header=BB286_14 Depth=1
	v_cmp_ne_u16_e64 s[0:1], 0, v2
	s_andn2_b64 s[46:47], s[46:47], exec
	s_and_b64 s[0:1], s[0:1], exec
	v_mov_b32_e32 v36, 0
	s_or_b64 s[46:47], s[46:47], s[0:1]
	s_or_b64 exec, exec, s[48:49]
	s_and_saveexec_b64 s[48:49], s[46:47]
	s_cbranch_execnz .LBB286_48
	s_branch .LBB286_49
.LBB286_179:                            ;   in Loop: Header=BB286_14 Depth=1
	v_cmp_eq_u16_sdwa s[64:65], v14, s61 src0_sel:BYTE_0 src1_sel:DWORD
	s_mov_b64 s[0:1], -1
                                        ; implicit-def: $sgpr50
	s_and_saveexec_b64 s[48:49], s[64:65]
; %bb.180:                              ;   in Loop: Header=BB286_14 Depth=1
	s_mov_b32 s50, 0x7fc02000
	s_xor_b64 s[0:1], exec, -1
; %bb.181:                              ;   in Loop: Header=BB286_14 Depth=1
	s_or_b64 exec, exec, s[48:49]
	s_and_b64 s[0:1], s[0:1], exec
	s_or_saveexec_b64 s[46:47], s[46:47]
	v_mov_b32_e32 v37, s50
	s_xor_b64 exec, exec, s[46:47]
	s_cbranch_execz .LBB286_51
.LBB286_182:                            ;   in Loop: Header=BB286_14 Depth=1
	v_cmp_ne_u16_sdwa s[48:49], v14, v3 src0_sel:BYTE_0 src1_sel:DWORD
	s_andn2_b64 s[0:1], s[0:1], exec
	s_and_b64 s[48:49], s[48:49], exec
	v_mov_b32_e32 v37, 0
	s_or_b64 s[0:1], s[0:1], s[48:49]
	s_or_b64 exec, exec, s[46:47]
	s_and_saveexec_b64 s[46:47], s[0:1]
	s_cbranch_execnz .LBB286_52
	s_branch .LBB286_53
.LBB286_183:                            ;   in Loop: Header=BB286_14 Depth=1
	v_cmp_eq_u16_e64 s[0:1], s61, v2
	s_mov_b64 s[46:47], -1
                                        ; implicit-def: $sgpr63
	s_and_saveexec_b64 s[50:51], s[0:1]
; %bb.184:                              ;   in Loop: Header=BB286_14 Depth=1
	s_mov_b32 s63, 0x7fc02000
	s_xor_b64 s[46:47], exec, -1
; %bb.185:                              ;   in Loop: Header=BB286_14 Depth=1
	s_or_b64 exec, exec, s[50:51]
	s_and_b64 s[46:47], s[46:47], exec
	s_or_saveexec_b64 s[48:49], s[48:49]
	v_mov_b32_e32 v38, s63
	s_xor_b64 exec, exec, s[48:49]
	s_cbranch_execz .LBB286_55
.LBB286_186:                            ;   in Loop: Header=BB286_14 Depth=1
	v_cmp_ne_u16_e64 s[0:1], 0, v2
	s_andn2_b64 s[46:47], s[46:47], exec
	s_and_b64 s[0:1], s[0:1], exec
	v_mov_b32_e32 v38, 0
	s_or_b64 s[46:47], s[46:47], s[0:1]
	s_or_b64 exec, exec, s[48:49]
	s_and_saveexec_b64 s[48:49], s[46:47]
	s_cbranch_execnz .LBB286_56
	s_branch .LBB286_57
.LBB286_187:                            ;   in Loop: Header=BB286_14 Depth=1
	v_cmp_eq_u16_sdwa s[64:65], v2, s61 src0_sel:BYTE_0 src1_sel:DWORD
	s_mov_b64 s[0:1], -1
                                        ; implicit-def: $sgpr50
	s_and_saveexec_b64 s[48:49], s[64:65]
; %bb.188:                              ;   in Loop: Header=BB286_14 Depth=1
	s_mov_b32 s50, 0x7fc02000
	s_xor_b64 s[0:1], exec, -1
; %bb.189:                              ;   in Loop: Header=BB286_14 Depth=1
	s_or_b64 exec, exec, s[48:49]
	s_and_b64 s[0:1], s[0:1], exec
	s_or_saveexec_b64 s[46:47], s[46:47]
	v_mov_b32_e32 v39, s50
	s_xor_b64 exec, exec, s[46:47]
	s_cbranch_execz .LBB286_59
.LBB286_190:                            ;   in Loop: Header=BB286_14 Depth=1
	v_cmp_ne_u16_sdwa s[48:49], v2, v3 src0_sel:BYTE_0 src1_sel:DWORD
	s_andn2_b64 s[0:1], s[0:1], exec
	s_and_b64 s[48:49], s[48:49], exec
	v_mov_b32_e32 v39, 0
	s_or_b64 s[0:1], s[0:1], s[48:49]
	s_or_b64 exec, exec, s[46:47]
	s_and_saveexec_b64 s[46:47], s[0:1]
	s_cbranch_execnz .LBB286_60
	s_branch .LBB286_61
.LBB286_191:                            ;   in Loop: Header=BB286_14 Depth=1
	v_cmp_eq_u16_e64 s[0:1], s61, v2
	s_mov_b64 s[46:47], -1
                                        ; implicit-def: $sgpr63
	s_and_saveexec_b64 s[50:51], s[0:1]
; %bb.192:                              ;   in Loop: Header=BB286_14 Depth=1
	s_mov_b32 s63, 0x7fc02000
	s_xor_b64 s[46:47], exec, -1
; %bb.193:                              ;   in Loop: Header=BB286_14 Depth=1
	s_or_b64 exec, exec, s[50:51]
	s_and_b64 s[46:47], s[46:47], exec
	s_or_saveexec_b64 s[48:49], s[48:49]
	v_mov_b32_e32 v40, s63
	s_xor_b64 exec, exec, s[48:49]
	s_cbranch_execz .LBB286_63
.LBB286_194:                            ;   in Loop: Header=BB286_14 Depth=1
	v_cmp_ne_u16_e64 s[0:1], 0, v2
	s_andn2_b64 s[46:47], s[46:47], exec
	s_and_b64 s[0:1], s[0:1], exec
	v_mov_b32_e32 v40, 0
	s_or_b64 s[46:47], s[46:47], s[0:1]
	s_or_b64 exec, exec, s[48:49]
	s_and_saveexec_b64 s[48:49], s[46:47]
	s_cbranch_execnz .LBB286_64
	s_branch .LBB286_65
.LBB286_195:                            ;   in Loop: Header=BB286_14 Depth=1
	v_cmp_eq_u16_sdwa s[64:65], v14, s61 src0_sel:BYTE_0 src1_sel:DWORD
	s_mov_b64 s[0:1], -1
                                        ; implicit-def: $sgpr50
	s_and_saveexec_b64 s[48:49], s[64:65]
; %bb.196:                              ;   in Loop: Header=BB286_14 Depth=1
	s_mov_b32 s50, 0x7fc02000
	s_xor_b64 s[0:1], exec, -1
; %bb.197:                              ;   in Loop: Header=BB286_14 Depth=1
	s_or_b64 exec, exec, s[48:49]
	s_and_b64 s[0:1], s[0:1], exec
	s_or_saveexec_b64 s[46:47], s[46:47]
	v_mov_b32_e32 v41, s50
	s_xor_b64 exec, exec, s[46:47]
	s_cbranch_execz .LBB286_67
.LBB286_198:                            ;   in Loop: Header=BB286_14 Depth=1
	v_cmp_ne_u16_sdwa s[48:49], v14, v3 src0_sel:BYTE_0 src1_sel:DWORD
	s_andn2_b64 s[0:1], s[0:1], exec
	s_and_b64 s[48:49], s[48:49], exec
	v_mov_b32_e32 v41, 0
	s_or_b64 s[0:1], s[0:1], s[48:49]
	s_or_b64 exec, exec, s[46:47]
	s_and_saveexec_b64 s[46:47], s[0:1]
	s_cbranch_execnz .LBB286_68
	s_branch .LBB286_69
.LBB286_199:                            ;   in Loop: Header=BB286_14 Depth=1
	v_cmp_eq_u16_e64 s[0:1], s61, v2
	s_mov_b64 s[46:47], -1
                                        ; implicit-def: $sgpr63
	s_and_saveexec_b64 s[50:51], s[0:1]
; %bb.200:                              ;   in Loop: Header=BB286_14 Depth=1
	s_mov_b32 s63, 0x7fc02000
	s_xor_b64 s[46:47], exec, -1
; %bb.201:                              ;   in Loop: Header=BB286_14 Depth=1
	s_or_b64 exec, exec, s[50:51]
	s_and_b64 s[46:47], s[46:47], exec
	s_or_saveexec_b64 s[48:49], s[48:49]
	v_mov_b32_e32 v42, s63
	s_xor_b64 exec, exec, s[48:49]
	s_cbranch_execz .LBB286_71
.LBB286_202:                            ;   in Loop: Header=BB286_14 Depth=1
	v_cmp_ne_u16_e64 s[0:1], 0, v2
	s_andn2_b64 s[46:47], s[46:47], exec
	s_and_b64 s[0:1], s[0:1], exec
	v_mov_b32_e32 v42, 0
	s_or_b64 s[46:47], s[46:47], s[0:1]
	s_or_b64 exec, exec, s[48:49]
	s_and_saveexec_b64 s[48:49], s[46:47]
	s_cbranch_execnz .LBB286_72
	s_branch .LBB286_73
.LBB286_203:                            ;   in Loop: Header=BB286_14 Depth=1
	v_cmp_eq_u16_sdwa s[64:65], v2, s61 src0_sel:BYTE_0 src1_sel:DWORD
	s_mov_b64 s[0:1], -1
                                        ; implicit-def: $sgpr50
	s_and_saveexec_b64 s[48:49], s[64:65]
; %bb.204:                              ;   in Loop: Header=BB286_14 Depth=1
	s_mov_b32 s50, 0x7fc02000
	s_xor_b64 s[0:1], exec, -1
; %bb.205:                              ;   in Loop: Header=BB286_14 Depth=1
	s_or_b64 exec, exec, s[48:49]
	s_and_b64 s[0:1], s[0:1], exec
	s_or_saveexec_b64 s[46:47], s[46:47]
	v_mov_b32_e32 v43, s50
	s_xor_b64 exec, exec, s[46:47]
	s_cbranch_execz .LBB286_75
.LBB286_206:                            ;   in Loop: Header=BB286_14 Depth=1
	v_cmp_ne_u16_sdwa s[48:49], v2, v3 src0_sel:BYTE_0 src1_sel:DWORD
	s_andn2_b64 s[0:1], s[0:1], exec
	s_and_b64 s[48:49], s[48:49], exec
	v_mov_b32_e32 v43, 0
	s_or_b64 s[0:1], s[0:1], s[48:49]
	s_or_b64 exec, exec, s[46:47]
	s_and_saveexec_b64 s[46:47], s[0:1]
	s_cbranch_execnz .LBB286_76
	s_branch .LBB286_77
.LBB286_207:                            ;   in Loop: Header=BB286_14 Depth=1
	v_cmp_eq_u16_e64 s[0:1], s61, v2
	s_mov_b64 s[46:47], -1
                                        ; implicit-def: $sgpr63
	s_and_saveexec_b64 s[50:51], s[0:1]
; %bb.208:                              ;   in Loop: Header=BB286_14 Depth=1
	s_mov_b32 s63, 0x7fc02000
	s_xor_b64 s[46:47], exec, -1
; %bb.209:                              ;   in Loop: Header=BB286_14 Depth=1
	s_or_b64 exec, exec, s[50:51]
	s_and_b64 s[46:47], s[46:47], exec
	s_or_saveexec_b64 s[48:49], s[48:49]
	v_mov_b32_e32 v44, s63
	s_xor_b64 exec, exec, s[48:49]
	s_cbranch_execz .LBB286_79
.LBB286_210:                            ;   in Loop: Header=BB286_14 Depth=1
	v_cmp_ne_u16_e64 s[0:1], 0, v2
	s_andn2_b64 s[46:47], s[46:47], exec
	s_and_b64 s[0:1], s[0:1], exec
	v_mov_b32_e32 v44, 0
	s_or_b64 s[46:47], s[46:47], s[0:1]
	s_or_b64 exec, exec, s[48:49]
	s_and_saveexec_b64 s[48:49], s[46:47]
	s_cbranch_execnz .LBB286_80
	s_branch .LBB286_81
.LBB286_211:                            ;   in Loop: Header=BB286_14 Depth=1
	v_cmp_eq_u16_sdwa s[64:65], v14, s61 src0_sel:BYTE_0 src1_sel:DWORD
	s_mov_b64 s[0:1], -1
                                        ; implicit-def: $sgpr50
	s_and_saveexec_b64 s[48:49], s[64:65]
; %bb.212:                              ;   in Loop: Header=BB286_14 Depth=1
	s_mov_b32 s50, 0x7fc02000
	s_xor_b64 s[0:1], exec, -1
; %bb.213:                              ;   in Loop: Header=BB286_14 Depth=1
	s_or_b64 exec, exec, s[48:49]
	s_and_b64 s[0:1], s[0:1], exec
	s_or_saveexec_b64 s[46:47], s[46:47]
	v_mov_b32_e32 v45, s50
	s_xor_b64 exec, exec, s[46:47]
	s_cbranch_execz .LBB286_83
.LBB286_214:                            ;   in Loop: Header=BB286_14 Depth=1
	v_cmp_ne_u16_sdwa s[48:49], v14, v3 src0_sel:BYTE_0 src1_sel:DWORD
	s_andn2_b64 s[0:1], s[0:1], exec
	s_and_b64 s[48:49], s[48:49], exec
	v_mov_b32_e32 v45, 0
	s_or_b64 s[0:1], s[0:1], s[48:49]
	s_or_b64 exec, exec, s[46:47]
	s_and_saveexec_b64 s[46:47], s[0:1]
	s_cbranch_execnz .LBB286_84
	s_branch .LBB286_85
.LBB286_215:                            ;   in Loop: Header=BB286_14 Depth=1
	v_cmp_eq_u16_e64 s[0:1], s61, v2
	s_mov_b64 s[46:47], -1
                                        ; implicit-def: $sgpr63
	s_and_saveexec_b64 s[50:51], s[0:1]
; %bb.216:                              ;   in Loop: Header=BB286_14 Depth=1
	s_mov_b32 s63, 0x7fc02000
	s_xor_b64 s[46:47], exec, -1
; %bb.217:                              ;   in Loop: Header=BB286_14 Depth=1
	s_or_b64 exec, exec, s[50:51]
	s_and_b64 s[46:47], s[46:47], exec
	s_or_saveexec_b64 s[48:49], s[48:49]
	v_mov_b32_e32 v46, s63
	s_xor_b64 exec, exec, s[48:49]
	s_cbranch_execz .LBB286_87
.LBB286_218:                            ;   in Loop: Header=BB286_14 Depth=1
	v_cmp_ne_u16_e64 s[0:1], 0, v2
	s_andn2_b64 s[46:47], s[46:47], exec
	s_and_b64 s[0:1], s[0:1], exec
	v_mov_b32_e32 v46, 0
	s_or_b64 s[46:47], s[46:47], s[0:1]
	s_or_b64 exec, exec, s[48:49]
	s_and_saveexec_b64 s[48:49], s[46:47]
	s_cbranch_execnz .LBB286_88
	s_branch .LBB286_89
.LBB286_219:                            ;   in Loop: Header=BB286_14 Depth=1
	v_cmp_eq_u16_sdwa s[64:65], v2, s61 src0_sel:BYTE_0 src1_sel:DWORD
	s_mov_b64 s[0:1], -1
                                        ; implicit-def: $sgpr50
	s_and_saveexec_b64 s[48:49], s[64:65]
; %bb.220:                              ;   in Loop: Header=BB286_14 Depth=1
	s_mov_b32 s50, 0x7fc02000
	s_xor_b64 s[0:1], exec, -1
; %bb.221:                              ;   in Loop: Header=BB286_14 Depth=1
	s_or_b64 exec, exec, s[48:49]
	s_and_b64 s[0:1], s[0:1], exec
	s_or_saveexec_b64 s[46:47], s[46:47]
	v_mov_b32_e32 v47, s50
	s_xor_b64 exec, exec, s[46:47]
	s_cbranch_execz .LBB286_91
.LBB286_222:                            ;   in Loop: Header=BB286_14 Depth=1
	v_cmp_ne_u16_sdwa s[48:49], v2, v3 src0_sel:BYTE_0 src1_sel:DWORD
	s_andn2_b64 s[0:1], s[0:1], exec
	s_and_b64 s[48:49], s[48:49], exec
	v_mov_b32_e32 v47, 0
	s_or_b64 s[0:1], s[0:1], s[48:49]
	s_or_b64 exec, exec, s[46:47]
	s_and_saveexec_b64 s[46:47], s[0:1]
	s_cbranch_execnz .LBB286_92
	s_branch .LBB286_93
.LBB286_223:                            ;   in Loop: Header=BB286_14 Depth=1
	v_cmp_eq_u16_e64 s[0:1], s61, v2
	s_mov_b64 s[46:47], -1
                                        ; implicit-def: $sgpr63
	s_and_saveexec_b64 s[50:51], s[0:1]
; %bb.224:                              ;   in Loop: Header=BB286_14 Depth=1
	s_mov_b32 s63, 0x7fc02000
	s_xor_b64 s[46:47], exec, -1
; %bb.225:                              ;   in Loop: Header=BB286_14 Depth=1
	s_or_b64 exec, exec, s[50:51]
	s_and_b64 s[46:47], s[46:47], exec
	s_or_saveexec_b64 s[48:49], s[48:49]
	v_mov_b32_e32 v48, s63
	s_xor_b64 exec, exec, s[48:49]
	s_cbranch_execz .LBB286_95
.LBB286_226:                            ;   in Loop: Header=BB286_14 Depth=1
	v_cmp_ne_u16_e64 s[0:1], 0, v2
	s_andn2_b64 s[46:47], s[46:47], exec
	s_and_b64 s[0:1], s[0:1], exec
	v_mov_b32_e32 v48, 0
	s_or_b64 s[46:47], s[46:47], s[0:1]
	s_or_b64 exec, exec, s[48:49]
	s_and_saveexec_b64 s[48:49], s[46:47]
	s_cbranch_execnz .LBB286_96
	s_branch .LBB286_97
.LBB286_227:                            ;   in Loop: Header=BB286_14 Depth=1
	v_cmp_eq_u16_sdwa s[64:65], v14, s61 src0_sel:BYTE_0 src1_sel:DWORD
	s_mov_b64 s[0:1], -1
                                        ; implicit-def: $sgpr50
	s_and_saveexec_b64 s[48:49], s[64:65]
; %bb.228:                              ;   in Loop: Header=BB286_14 Depth=1
	s_mov_b32 s50, 0x7fc02000
	s_xor_b64 s[0:1], exec, -1
; %bb.229:                              ;   in Loop: Header=BB286_14 Depth=1
	s_or_b64 exec, exec, s[48:49]
	s_and_b64 s[0:1], s[0:1], exec
	s_or_saveexec_b64 s[46:47], s[46:47]
	v_mov_b32_e32 v49, s50
	s_xor_b64 exec, exec, s[46:47]
	s_cbranch_execz .LBB286_99
.LBB286_230:                            ;   in Loop: Header=BB286_14 Depth=1
	v_cmp_ne_u16_sdwa s[48:49], v14, v3 src0_sel:BYTE_0 src1_sel:DWORD
	s_andn2_b64 s[0:1], s[0:1], exec
	s_and_b64 s[48:49], s[48:49], exec
	v_mov_b32_e32 v49, 0
	s_or_b64 s[0:1], s[0:1], s[48:49]
	s_or_b64 exec, exec, s[46:47]
	s_and_saveexec_b64 s[46:47], s[0:1]
	s_cbranch_execnz .LBB286_100
	s_branch .LBB286_101
.LBB286_231:                            ;   in Loop: Header=BB286_14 Depth=1
	v_cmp_eq_u16_e64 s[0:1], s61, v2
	s_mov_b64 s[46:47], -1
                                        ; implicit-def: $sgpr63
	s_and_saveexec_b64 s[50:51], s[0:1]
; %bb.232:                              ;   in Loop: Header=BB286_14 Depth=1
	s_mov_b32 s63, 0x7fc02000
	s_xor_b64 s[46:47], exec, -1
; %bb.233:                              ;   in Loop: Header=BB286_14 Depth=1
	s_or_b64 exec, exec, s[50:51]
	s_and_b64 s[46:47], s[46:47], exec
	s_or_saveexec_b64 s[48:49], s[48:49]
	v_mov_b32_e32 v50, s63
	s_xor_b64 exec, exec, s[48:49]
	s_cbranch_execz .LBB286_103
.LBB286_234:                            ;   in Loop: Header=BB286_14 Depth=1
	v_cmp_ne_u16_e64 s[0:1], 0, v2
	s_andn2_b64 s[46:47], s[46:47], exec
	s_and_b64 s[0:1], s[0:1], exec
	v_mov_b32_e32 v50, 0
	s_or_b64 s[46:47], s[46:47], s[0:1]
	s_or_b64 exec, exec, s[48:49]
	s_and_saveexec_b64 s[48:49], s[46:47]
	s_cbranch_execnz .LBB286_104
	s_branch .LBB286_105
.LBB286_235:                            ;   in Loop: Header=BB286_14 Depth=1
	v_cmp_eq_u16_sdwa s[64:65], v2, s61 src0_sel:BYTE_0 src1_sel:DWORD
	s_mov_b64 s[0:1], -1
                                        ; implicit-def: $sgpr50
	s_and_saveexec_b64 s[48:49], s[64:65]
; %bb.236:                              ;   in Loop: Header=BB286_14 Depth=1
	s_mov_b32 s50, 0x7fc02000
	s_xor_b64 s[0:1], exec, -1
; %bb.237:                              ;   in Loop: Header=BB286_14 Depth=1
	s_or_b64 exec, exec, s[48:49]
	s_and_b64 s[0:1], s[0:1], exec
	s_or_saveexec_b64 s[46:47], s[46:47]
	v_mov_b32_e32 v51, s50
	s_xor_b64 exec, exec, s[46:47]
	s_cbranch_execz .LBB286_107
.LBB286_238:                            ;   in Loop: Header=BB286_14 Depth=1
	v_cmp_ne_u16_sdwa s[48:49], v2, v3 src0_sel:BYTE_0 src1_sel:DWORD
	s_andn2_b64 s[0:1], s[0:1], exec
	s_and_b64 s[48:49], s[48:49], exec
	v_mov_b32_e32 v51, 0
	s_or_b64 s[0:1], s[0:1], s[48:49]
	s_or_b64 exec, exec, s[46:47]
	s_and_saveexec_b64 s[46:47], s[0:1]
	s_cbranch_execnz .LBB286_108
	s_branch .LBB286_109
.LBB286_239:                            ;   in Loop: Header=BB286_14 Depth=1
	v_cmp_eq_u16_e64 s[0:1], s61, v2
	s_mov_b64 s[46:47], -1
                                        ; implicit-def: $sgpr63
	s_and_saveexec_b64 s[50:51], s[0:1]
; %bb.240:                              ;   in Loop: Header=BB286_14 Depth=1
	s_mov_b32 s63, 0x7fc02000
	s_xor_b64 s[46:47], exec, -1
; %bb.241:                              ;   in Loop: Header=BB286_14 Depth=1
	s_or_b64 exec, exec, s[50:51]
	s_and_b64 s[46:47], s[46:47], exec
	s_or_saveexec_b64 s[48:49], s[48:49]
	v_mov_b32_e32 v52, s63
	s_xor_b64 exec, exec, s[48:49]
	s_cbranch_execz .LBB286_111
.LBB286_242:                            ;   in Loop: Header=BB286_14 Depth=1
	v_cmp_ne_u16_e64 s[0:1], 0, v2
	s_andn2_b64 s[46:47], s[46:47], exec
	s_and_b64 s[0:1], s[0:1], exec
	v_mov_b32_e32 v52, 0
	s_or_b64 s[46:47], s[46:47], s[0:1]
	s_or_b64 exec, exec, s[48:49]
	s_and_saveexec_b64 s[48:49], s[46:47]
	s_cbranch_execnz .LBB286_112
	s_branch .LBB286_113
.LBB286_243:                            ;   in Loop: Header=BB286_14 Depth=1
	v_cmp_eq_u16_sdwa s[64:65], v14, s61 src0_sel:BYTE_0 src1_sel:DWORD
	s_mov_b64 s[0:1], -1
                                        ; implicit-def: $sgpr50
	s_and_saveexec_b64 s[48:49], s[64:65]
; %bb.244:                              ;   in Loop: Header=BB286_14 Depth=1
	s_mov_b32 s50, 0x7fc02000
	s_xor_b64 s[0:1], exec, -1
; %bb.245:                              ;   in Loop: Header=BB286_14 Depth=1
	s_or_b64 exec, exec, s[48:49]
	s_and_b64 s[0:1], s[0:1], exec
	s_or_saveexec_b64 s[46:47], s[46:47]
	v_mov_b32_e32 v53, s50
	s_xor_b64 exec, exec, s[46:47]
	s_cbranch_execz .LBB286_115
.LBB286_246:                            ;   in Loop: Header=BB286_14 Depth=1
	v_cmp_ne_u16_sdwa s[48:49], v14, v3 src0_sel:BYTE_0 src1_sel:DWORD
	s_andn2_b64 s[0:1], s[0:1], exec
	s_and_b64 s[48:49], s[48:49], exec
	v_mov_b32_e32 v53, 0
	s_or_b64 s[0:1], s[0:1], s[48:49]
	s_or_b64 exec, exec, s[46:47]
	s_and_saveexec_b64 s[46:47], s[0:1]
	s_cbranch_execnz .LBB286_116
	s_branch .LBB286_117
.LBB286_247:                            ;   in Loop: Header=BB286_14 Depth=1
	v_cmp_eq_u16_e64 s[0:1], s61, v2
	s_mov_b64 s[46:47], -1
                                        ; implicit-def: $sgpr63
	s_and_saveexec_b64 s[50:51], s[0:1]
; %bb.248:                              ;   in Loop: Header=BB286_14 Depth=1
	s_mov_b32 s63, 0x7fc02000
	s_xor_b64 s[46:47], exec, -1
; %bb.249:                              ;   in Loop: Header=BB286_14 Depth=1
	s_or_b64 exec, exec, s[50:51]
	s_and_b64 s[46:47], s[46:47], exec
	s_or_saveexec_b64 s[48:49], s[48:49]
	v_mov_b32_e32 v54, s63
	s_xor_b64 exec, exec, s[48:49]
	s_cbranch_execz .LBB286_119
.LBB286_250:                            ;   in Loop: Header=BB286_14 Depth=1
	v_cmp_ne_u16_e64 s[0:1], 0, v2
	s_andn2_b64 s[46:47], s[46:47], exec
	s_and_b64 s[0:1], s[0:1], exec
	v_mov_b32_e32 v54, 0
	s_or_b64 s[46:47], s[46:47], s[0:1]
	s_or_b64 exec, exec, s[48:49]
	s_and_saveexec_b64 s[48:49], s[46:47]
	s_cbranch_execnz .LBB286_120
	s_branch .LBB286_121
.LBB286_251:                            ;   in Loop: Header=BB286_14 Depth=1
	v_cmp_eq_u16_sdwa s[64:65], v2, s61 src0_sel:BYTE_0 src1_sel:DWORD
	s_mov_b64 s[0:1], -1
                                        ; implicit-def: $sgpr50
	s_and_saveexec_b64 s[48:49], s[64:65]
; %bb.252:                              ;   in Loop: Header=BB286_14 Depth=1
	s_mov_b32 s50, 0x7fc02000
	s_xor_b64 s[0:1], exec, -1
; %bb.253:                              ;   in Loop: Header=BB286_14 Depth=1
	s_or_b64 exec, exec, s[48:49]
	s_and_b64 s[0:1], s[0:1], exec
	s_or_saveexec_b64 s[46:47], s[46:47]
	v_mov_b32_e32 v55, s50
	s_xor_b64 exec, exec, s[46:47]
	s_cbranch_execz .LBB286_123
.LBB286_254:                            ;   in Loop: Header=BB286_14 Depth=1
	v_cmp_ne_u16_sdwa s[48:49], v2, v3 src0_sel:BYTE_0 src1_sel:DWORD
	s_andn2_b64 s[0:1], s[0:1], exec
	s_and_b64 s[48:49], s[48:49], exec
	v_mov_b32_e32 v55, 0
	s_or_b64 s[0:1], s[0:1], s[48:49]
	s_or_b64 exec, exec, s[46:47]
	s_and_saveexec_b64 s[46:47], s[0:1]
	s_cbranch_execnz .LBB286_124
	s_branch .LBB286_125
.LBB286_255:                            ;   in Loop: Header=BB286_14 Depth=1
	v_cmp_eq_u16_e64 s[0:1], s61, v2
	s_mov_b64 s[46:47], -1
                                        ; implicit-def: $sgpr63
	s_and_saveexec_b64 s[50:51], s[0:1]
; %bb.256:                              ;   in Loop: Header=BB286_14 Depth=1
	s_mov_b32 s63, 0x7fc02000
	s_xor_b64 s[46:47], exec, -1
; %bb.257:                              ;   in Loop: Header=BB286_14 Depth=1
	s_or_b64 exec, exec, s[50:51]
	s_and_b64 s[46:47], s[46:47], exec
	s_or_saveexec_b64 s[48:49], s[48:49]
	v_mov_b32_e32 v56, s63
	s_xor_b64 exec, exec, s[48:49]
	s_cbranch_execz .LBB286_127
.LBB286_258:                            ;   in Loop: Header=BB286_14 Depth=1
	v_cmp_ne_u16_e64 s[0:1], 0, v2
	s_andn2_b64 s[46:47], s[46:47], exec
	s_and_b64 s[0:1], s[0:1], exec
	v_mov_b32_e32 v56, 0
	s_or_b64 s[46:47], s[46:47], s[0:1]
	s_or_b64 exec, exec, s[48:49]
	s_and_saveexec_b64 s[48:49], s[46:47]
	s_cbranch_execnz .LBB286_128
	s_branch .LBB286_129
.LBB286_259:                            ;   in Loop: Header=BB286_14 Depth=1
	v_cmp_eq_u16_sdwa s[64:65], v12, s61 src0_sel:BYTE_0 src1_sel:DWORD
	s_mov_b64 s[0:1], -1
                                        ; implicit-def: $sgpr50
	s_and_saveexec_b64 s[48:49], s[64:65]
; %bb.260:                              ;   in Loop: Header=BB286_14 Depth=1
	s_mov_b32 s50, 0x7fc02000
	s_xor_b64 s[0:1], exec, -1
; %bb.261:                              ;   in Loop: Header=BB286_14 Depth=1
	s_or_b64 exec, exec, s[48:49]
	s_and_b64 s[0:1], s[0:1], exec
	s_or_saveexec_b64 s[46:47], s[46:47]
	v_mov_b32_e32 v13, s50
	s_xor_b64 exec, exec, s[46:47]
	s_cbranch_execz .LBB286_131
.LBB286_262:                            ;   in Loop: Header=BB286_14 Depth=1
	v_cmp_ne_u16_sdwa s[48:49], v12, v3 src0_sel:BYTE_0 src1_sel:DWORD
	s_andn2_b64 s[0:1], s[0:1], exec
	s_and_b64 s[48:49], s[48:49], exec
	v_mov_b32_e32 v13, 0
	s_or_b64 s[0:1], s[0:1], s[48:49]
	s_or_b64 exec, exec, s[46:47]
	s_and_saveexec_b64 s[46:47], s[0:1]
	s_cbranch_execnz .LBB286_132
	s_branch .LBB286_133
.LBB286_263:                            ;   in Loop: Header=BB286_14 Depth=1
	v_cmp_eq_u16_e64 s[0:1], s61, v2
	s_mov_b64 s[46:47], -1
                                        ; implicit-def: $sgpr63
	s_and_saveexec_b64 s[50:51], s[0:1]
; %bb.264:                              ;   in Loop: Header=BB286_14 Depth=1
	s_mov_b32 s63, 0x7fc02000
	s_xor_b64 s[46:47], exec, -1
; %bb.265:                              ;   in Loop: Header=BB286_14 Depth=1
	s_or_b64 exec, exec, s[50:51]
	s_and_b64 s[46:47], s[46:47], exec
	s_or_saveexec_b64 s[48:49], s[48:49]
	v_mov_b32_e32 v14, s63
	s_xor_b64 exec, exec, s[48:49]
	s_cbranch_execz .LBB286_135
.LBB286_266:                            ;   in Loop: Header=BB286_14 Depth=1
	v_cmp_ne_u16_e64 s[0:1], 0, v2
	s_andn2_b64 s[46:47], s[46:47], exec
	s_and_b64 s[0:1], s[0:1], exec
	v_mov_b32_e32 v14, 0
	s_or_b64 s[46:47], s[46:47], s[0:1]
	s_or_b64 exec, exec, s[48:49]
	s_and_saveexec_b64 s[48:49], s[46:47]
	s_cbranch_execnz .LBB286_136
	s_branch .LBB286_137
.LBB286_267:                            ;   in Loop: Header=BB286_14 Depth=1
	v_cmp_eq_u16_sdwa s[64:65], v2, s61 src0_sel:BYTE_0 src1_sel:DWORD
	s_mov_b64 s[0:1], -1
                                        ; implicit-def: $sgpr50
	s_and_saveexec_b64 s[48:49], s[64:65]
; %bb.268:                              ;   in Loop: Header=BB286_14 Depth=1
	s_mov_b32 s50, 0x7fc02000
	s_xor_b64 s[0:1], exec, -1
; %bb.269:                              ;   in Loop: Header=BB286_14 Depth=1
	s_or_b64 exec, exec, s[48:49]
	s_and_b64 s[0:1], s[0:1], exec
	s_or_saveexec_b64 s[46:47], s[46:47]
	v_mov_b32_e32 v57, s50
	s_xor_b64 exec, exec, s[46:47]
	s_cbranch_execz .LBB286_139
.LBB286_270:                            ;   in Loop: Header=BB286_14 Depth=1
	v_cmp_ne_u16_sdwa s[48:49], v2, v3 src0_sel:BYTE_0 src1_sel:DWORD
	s_andn2_b64 s[0:1], s[0:1], exec
	s_and_b64 s[48:49], s[48:49], exec
	v_mov_b32_e32 v57, 0
	s_or_b64 s[0:1], s[0:1], s[48:49]
	s_or_b64 exec, exec, s[46:47]
	s_and_saveexec_b64 s[46:47], s[0:1]
	s_cbranch_execnz .LBB286_140
	s_branch .LBB286_141
.LBB286_271:                            ;   in Loop: Header=BB286_14 Depth=1
	v_cmp_eq_u16_e64 s[0:1], s61, v2
	s_mov_b64 s[46:47], -1
                                        ; implicit-def: $sgpr63
	s_and_saveexec_b64 s[50:51], s[0:1]
; %bb.272:                              ;   in Loop: Header=BB286_14 Depth=1
	s_mov_b32 s63, 0x7fc02000
	s_xor_b64 s[46:47], exec, -1
; %bb.273:                              ;   in Loop: Header=BB286_14 Depth=1
	s_or_b64 exec, exec, s[50:51]
	s_and_b64 s[46:47], s[46:47], exec
	s_or_saveexec_b64 s[48:49], s[48:49]
	v_mov_b32_e32 v58, s63
	s_xor_b64 exec, exec, s[48:49]
	s_cbranch_execz .LBB286_143
.LBB286_274:                            ;   in Loop: Header=BB286_14 Depth=1
	v_cmp_ne_u16_e64 s[0:1], 0, v2
	s_andn2_b64 s[46:47], s[46:47], exec
	s_and_b64 s[0:1], s[0:1], exec
	v_mov_b32_e32 v58, 0
	s_or_b64 s[46:47], s[46:47], s[0:1]
	s_or_b64 exec, exec, s[48:49]
	s_and_saveexec_b64 s[48:49], s[46:47]
	s_cbranch_execnz .LBB286_144
	s_branch .LBB286_145
.LBB286_275:
	s_or_b64 exec, exec, s[44:45]
.LBB286_276:
	s_or_b64 exec, exec, s[18:19]
	v_mbcnt_hi_u32_b32 v4, -1, v17
	v_and_b32_e32 v2, 64, v4
	v_add_u32_e32 v11, 64, v2
	v_xor_b32_e32 v2, 32, v4
	v_cmp_lt_i32_e32 vcc, v2, v11
	v_xor_b32_e32 v8, 16, v4
	v_max_f32_e32 v5, v20, v20
	v_cndmask_b32_e32 v2, v4, v2, vcc
	v_lshlrev_b32_e32 v2, 2, v2
	ds_bpermute_b32 v3, v2, v20
	v_cmp_lt_i32_e32 vcc, v8, v11
	v_xor_b32_e32 v9, 8, v4
	v_xor_b32_e32 v10, 4, v4
	s_waitcnt lgkmcnt(1)
	v_xor_b32_e32 v12, 2, v4
	s_waitcnt lgkmcnt(0)
	v_max_f32_e32 v3, v3, v3
	v_max_f32_e32 v5, v5, v3
	v_cndmask_b32_e32 v3, v4, v8, vcc
	v_lshlrev_b32_e32 v3, 2, v3
	ds_bpermute_b32 v8, v3, v5
	v_cmp_lt_i32_e32 vcc, v9, v11
	v_and_b32_e32 v17, 63, v0
	s_waitcnt lgkmcnt(0)
	v_max_f32_e32 v8, v8, v8
	v_max_f32_e32 v8, v5, v8
	v_cndmask_b32_e32 v5, v4, v9, vcc
	v_lshlrev_b32_e32 v5, 2, v5
	ds_bpermute_b32 v9, v5, v8
	v_cmp_lt_i32_e32 vcc, v10, v11
	s_waitcnt lgkmcnt(0)
	v_max_f32_e32 v9, v9, v9
	v_max_f32_e32 v9, v8, v9
	v_cndmask_b32_e32 v8, v4, v10, vcc
	v_lshlrev_b32_e32 v8, 2, v8
	ds_bpermute_b32 v10, v8, v9
	v_cmp_lt_i32_e32 vcc, v12, v11
	s_waitcnt lgkmcnt(0)
	v_max_f32_e32 v10, v10, v10
	v_max_f32_e32 v10, v9, v10
	v_cndmask_b32_e32 v9, v4, v12, vcc
	v_lshlrev_b32_e32 v24, 2, v9
	ds_bpermute_b32 v12, v24, v10
	v_cmp_eq_u32_e32 vcc, 0, v17
	v_lshlrev_b32_e32 v9, 2, v16
	s_and_saveexec_b64 s[0:1], vcc
	s_cbranch_execz .LBB286_278
; %bb.277:
	s_waitcnt lgkmcnt(0)
	v_max_f32_e32 v12, v12, v12
	v_max_f32_e32 v10, v10, v10
	;; [unrolled: 1-line block ×3, first 2 shown]
	ds_write_b32 v9, v10 offset:128
.LBB286_278:
	s_or_b64 exec, exec, s[0:1]
	v_cmp_gt_u32_e64 s[0:1], 2, v17
	s_waitcnt lgkmcnt(0)
	v_mov_b32_e32 v12, 0xff7fffff
	v_lshlrev_b32_e32 v10, 2, v17
	s_barrier
	s_and_saveexec_b64 s[6:7], s[0:1]
	s_cbranch_execz .LBB286_280
; %bb.279:
	ds_read_b32 v12, v10 offset:128
.LBB286_280:
	s_or_b64 exec, exec, s[6:7]
	v_xor_b32_e32 v13, 1, v4
	v_cmp_lt_i32_e64 s[6:7], v13, v11
	s_nop 1
	v_cndmask_b32_e64 v11, v4, v13, s[6:7]
	v_lshlrev_b32_e32 v25, 2, v11
	s_waitcnt lgkmcnt(0)
	ds_bpermute_b32 v11, v25, v12
	v_max_f32_e32 v12, v12, v12
	v_lshlrev_b32_e32 v4, 2, v4
	s_sub_i32 s6, s52, s56
	s_lshl_b32 s6, s6, 5
	s_waitcnt lgkmcnt(0)
	v_max_f32_e32 v11, v11, v11
	v_max_f32_e32 v12, v12, v11
	v_and_b32_e32 v11, 0x100, v4
	ds_bpermute_b32 v4, v11, v12
	s_add_i32 s6, s6, s54
	s_min_i32 s44, s6, s33
	s_sub_i32 s43, s44, s54
	v_cmp_gt_i32_e64 s[6:7], s43, v0
	v_mov_b32_e32 v12, 0
	s_and_saveexec_b64 s[12:13], s[6:7]
	s_cbranch_execz .LBB286_284
; %bb.281:
	v_mov_b32_e32 v12, 0x90
	v_lshl_add_u32 v13, v0, 2, v12
	s_mov_b64 s[18:19], 0
	v_mov_b32_e32 v12, 0
	v_mov_b32_e32 v14, v0
.LBB286_282:                            ; =>This Inner Loop Header: Depth=1
	ds_read_b32 v18, v13
	v_add_u32_e32 v14, 0x80, v14
	v_cmp_le_i32_e64 s[10:11], s43, v14
	s_or_b64 s[18:19], s[10:11], s[18:19]
	s_waitcnt lgkmcnt(0)
	v_sub_f32_e32 v18, v18, v4
	v_mul_f32_e32 v18, 0x3fb8aa3b, v18
	v_exp_f32_e32 v18, v18
	ds_write_b32 v13, v18
	v_add_f32_e32 v12, v12, v18
	v_add_u32_e32 v13, 0x200, v13
	s_andn2_b64 exec, exec, s[18:19]
	s_cbranch_execnz .LBB286_282
; %bb.283:
	s_or_b64 exec, exec, s[18:19]
.LBB286_284:
	s_or_b64 exec, exec, s[12:13]
	ds_bpermute_b32 v2, v2, v12
	s_waitcnt lgkmcnt(0)
	v_add_f32_e32 v2, v12, v2
	ds_bpermute_b32 v3, v3, v2
	s_waitcnt lgkmcnt(0)
	v_add_f32_e32 v2, v2, v3
	;; [unrolled: 3-line block ×6, first 2 shown]
	s_and_saveexec_b64 s[10:11], vcc
	s_cbranch_execz .LBB286_286
; %bb.285:
	ds_write_b32 v9, v2 offset:136
.LBB286_286:
	s_or_b64 exec, exec, s[10:11]
	s_waitcnt lgkmcnt(0)
	s_barrier
	s_and_saveexec_b64 s[10:11], s[0:1]
	s_cbranch_execz .LBB286_288
; %bb.287:
	ds_read_b32 v2, v10 offset:136
.LBB286_288:
	s_or_b64 exec, exec, s[10:11]
	s_waitcnt lgkmcnt(0)
	ds_bpermute_b32 v3, v25, v2
	s_waitcnt lgkmcnt(0)
	v_add_f32_e32 v2, v2, v3
	ds_bpermute_b32 v5, v11, v2
	s_and_saveexec_b64 s[0:1], s[6:7]
	s_cbranch_execz .LBB286_301
; %bb.289:
	s_waitcnt lgkmcnt(0)
	v_add_f32_e32 v2, 0x358637bd, v5
	v_div_scale_f32 v3, s[6:7], v2, v2, 1.0
	v_rcp_f32_e32 v8, v3
	v_div_scale_f32 v9, vcc, 1.0, v2, 1.0
	s_movk_i32 s6, 0x7f
	v_fma_f32 v10, -v3, v8, 1.0
	v_fmac_f32_e32 v8, v10, v8
	v_mul_f32_e32 v10, v9, v8
	v_fma_f32 v11, -v3, v10, v9
	v_fmac_f32_e32 v10, v11, v8
	v_fma_f32 v3, -v3, v10, v9
	v_div_fmas_f32 v3, v3, v8, v10
	v_div_fixup_f32 v2, v3, v2, 1.0
	v_xad_u32 v3, v0, -1, s44
	v_subrev_u32_e32 v8, s54, v3
	v_cmp_lt_u32_e32 vcc, s6, v8
	s_mov_b64 s[10:11], -1
	v_mov_b32_e32 v3, v0
	s_and_saveexec_b64 s[6:7], vcc
	s_cbranch_execz .LBB286_298
; %bb.290:
	v_lshrrev_b32_e32 v8, 7, v8
	v_add_u32_e32 v10, -1, v8
	v_lshrrev_b32_e32 v9, 1, v10
	v_mov_b32_e32 v3, v2
	v_add_u32_e32 v9, 1, v9
	v_cmp_lt_u32_e32 vcc, 13, v10
	v_mov_b32_e32 v12, 0
	s_and_saveexec_b64 s[10:11], vcc
	s_cbranch_execz .LBB286_294
; %bb.291:
	v_mov_b32_e32 v11, 0x90
	v_and_b32_e32 v10, -8, v9
	v_lshl_add_u32 v11, v0, 2, v11
	s_mov_b32 s18, 0
	s_mov_b64 s[12:13], 0
.LBB286_292:                            ; =>This Inner Loop Header: Depth=1
	ds_read2st64_b32 v[12:13], v11 offset1:2
	ds_read2st64_b32 v[18:19], v11 offset0:4 offset1:6
	ds_read2st64_b32 v[20:21], v11 offset0:8 offset1:10
	;; [unrolled: 1-line block ×3, first 2 shown]
	v_add_u32_e32 v10, -8, v10
	s_waitcnt lgkmcnt(3)
	v_pk_mul_f32 v[12:13], v[2:3], v[12:13]
	s_waitcnt lgkmcnt(2)
	v_pk_mul_f32 v[18:19], v[2:3], v[18:19]
	ds_write2st64_b32 v11, v12, v13 offset1:2
	ds_write2st64_b32 v11, v18, v19 offset0:4 offset1:6
	ds_read2st64_b32 v[18:19], v11 offset0:16 offset1:18
	s_waitcnt lgkmcnt(4)
	v_pk_mul_f32 v[12:13], v[2:3], v[20:21]
	ds_write2st64_b32 v11, v12, v13 offset0:8 offset1:10
	s_waitcnt lgkmcnt(4)
	v_pk_mul_f32 v[12:13], v[2:3], v[22:23]
	ds_write2st64_b32 v11, v12, v13 offset0:12 offset1:14
	ds_read2st64_b32 v[12:13], v11 offset0:20 offset1:22
	s_waitcnt lgkmcnt(3)
	v_pk_mul_f32 v[18:19], v[2:3], v[18:19]
	ds_read2st64_b32 v[20:21], v11 offset0:24 offset1:26
	ds_write2st64_b32 v11, v18, v19 offset0:16 offset1:18
	ds_read2st64_b32 v[18:19], v11 offset0:28 offset1:30
	s_waitcnt lgkmcnt(3)
	v_pk_mul_f32 v[12:13], v[2:3], v[12:13]
	ds_write2st64_b32 v11, v12, v13 offset0:20 offset1:22
	s_waitcnt lgkmcnt(3)
	v_pk_mul_f32 v[12:13], v[2:3], v[20:21]
	ds_write2st64_b32 v11, v12, v13 offset0:24 offset1:26
	s_waitcnt lgkmcnt(2)
	v_pk_mul_f32 v[12:13], v[2:3], v[18:19]
	s_add_i32 s18, s18, 16
	v_cmp_eq_u32_e32 vcc, 0, v10
	ds_write2st64_b32 v11, v12, v13 offset0:28 offset1:30
	v_add_u32_e32 v11, 0x2000, v11
	s_or_b64 s[12:13], vcc, s[12:13]
	v_mov_b32_e32 v12, s18
	s_andn2_b64 exec, exec, s[12:13]
	s_cbranch_execnz .LBB286_292
; %bb.293:
	s_or_b64 exec, exec, s[12:13]
.LBB286_294:
	s_or_b64 exec, exec, s[10:11]
	v_and_b32_e32 v9, 7, v9
	v_cmp_ne_u32_e32 vcc, 0, v9
	s_and_saveexec_b64 s[10:11], vcc
	s_cbranch_execz .LBB286_297
; %bb.295:
	v_lshlrev_b32_e32 v10, 9, v12
	v_lshlrev_b32_e32 v11, 2, v0
	s_movk_i32 s12, 0x90
	v_add3_u32 v10, v10, v11, s12
	s_mov_b64 s[12:13], 0
.LBB286_296:                            ; =>This Inner Loop Header: Depth=1
	ds_read2st64_b32 v[12:13], v10 offset1:2
	v_add_u32_e32 v9, -1, v9
	v_cmp_eq_u32_e32 vcc, 0, v9
	s_or_b64 s[12:13], vcc, s[12:13]
	s_waitcnt lgkmcnt(0)
	v_pk_mul_f32 v[12:13], v[2:3], v[12:13]
	ds_write2st64_b32 v10, v12, v13 offset1:2
	v_add_u32_e32 v10, 0x400, v10
	s_andn2_b64 exec, exec, s[12:13]
	s_cbranch_execnz .LBB286_296
.LBB286_297:
	s_or_b64 exec, exec, s[10:11]
	v_add_u32_e32 v8, 1, v8
	v_and_b32_e32 v9, 0x3fffffe, v8
	v_cmp_ne_u32_e32 vcc, v8, v9
	v_lshl_add_u32 v3, v9, 7, v0
	s_orn2_b64 s[10:11], vcc, exec
.LBB286_298:
	s_or_b64 exec, exec, s[6:7]
	s_and_b64 exec, exec, s[10:11]
	s_cbranch_execz .LBB286_301
; %bb.299:
	v_mov_b32_e32 v8, 0x90
	v_lshl_add_u32 v8, v3, 2, v8
	s_mov_b64 s[6:7], 0
.LBB286_300:                            ; =>This Inner Loop Header: Depth=1
	ds_read_b32 v9, v8
	v_add_u32_e32 v3, 0x80, v3
	v_cmp_le_i32_e32 vcc, s43, v3
	s_or_b64 s[6:7], vcc, s[6:7]
	s_waitcnt lgkmcnt(0)
	v_mul_f32_e32 v9, v2, v9
	ds_write_b32 v8, v9
	v_add_u32_e32 v8, 0x200, v8
	s_andn2_b64 exec, exec, s[6:7]
	s_cbranch_execnz .LBB286_300
.LBB286_301:
	s_or_b64 exec, exec, s[0:1]
	s_mul_i32 s0, s20, s34
	v_cmp_eq_u32_e32 vcc, 0, v0
	s_mul_i32 s6, s0, s5
	s_waitcnt lgkmcnt(0)
	s_barrier
	s_and_saveexec_b64 s[0:1], vcc
	s_cbranch_execz .LBB286_303
; %bb.302:
	s_ashr_i32 s7, s6, 31
	s_lshl_b64 s[10:11], s[6:7], 2
	s_add_u32 s5, s26, s10
	s_mul_i32 s12, s20, s2
	s_addc_u32 s7, s27, s11
	s_ashr_i32 s13, s12, 31
	s_lshl_b64 s[12:13], s[12:13], 2
	s_add_u32 s2, s5, s12
	s_addc_u32 s7, s7, s13
	s_ashr_i32 s5, s4, 31
	s_lshl_b64 s[18:19], s[4:5], 2
	s_add_u32 s26, s2, s18
	s_addc_u32 s27, s7, s19
	s_add_u32 s2, s24, s10
	s_addc_u32 s5, s25, s11
	;; [unrolled: 2-line block ×3, first 2 shown]
	s_add_u32 s10, s2, s18
	v_mov_b32_e32 v2, 0
	s_addc_u32 s11, s5, s19
	global_store_dword v2, v4, s[26:27]
	global_store_dword v2, v5, s[10:11]
.LBB286_303:
	s_or_b64 exec, exec, s[0:1]
	s_mov_b32 s0, 0
	v_mov_b32_e32 v5, 0
	v_and_b32_e32 v26, 3, v0
	v_mov_b32_e32 v4, 0
	v_mov_b32_e32 v3, 0
	;; [unrolled: 1-line block ×3, first 2 shown]
	s_and_saveexec_b64 s[10:11], s[8:9]
	s_cbranch_execz .LBB286_573
; %bb.304:
	s_sub_i32 s5, s16, s21
	s_ashr_i32 s1, s53, 31
	s_add_u32 s8, s40, s53
	s_addc_u32 s9, s41, s1
	s_abs_i32 s7, s22
	v_cvt_f32_u32_e32 v2, s7
	s_sub_i32 s1, 0, s7
	s_add_i32 s24, s3, -1
	s_lshl_b64 s[2:3], s[38:39], 2
	v_rcp_iflag_f32_e32 v2, v2
	s_add_u32 s2, s36, s2
	s_addc_u32 s3, s37, s3
	v_lshl_add_u64 v[12:13], v[6:7], 2, s[2:3]
	v_mul_f32_e32 v2, 0x4f7ffffe, v2
	v_cvt_u32_f32_e32 v2, v2
	s_mov_b32 s2, s0
	s_mov_b32 s3, s0
	v_and_b32_e32 v8, 0x1f8, v15
	v_mul_lo_u32 v3, s1, v2
	v_mul_hi_u32 v3, v2, v3
	v_add_u32_e32 v28, v2, v3
	v_lshlrev_b32_e32 v2, 5, v26
	v_lshl_or_b32 v2, v16, 7, v2
	v_mov_b32_e32 v9, 0
	v_add_u32_e32 v7, 0x90, v2
	s_mov_b32 s1, s0
	v_mov_b64_e32 v[4:5], s[2:3]
	v_and_b32_e32 v27, 24, v15
	s_mov_b32 s21, s17
	s_mov_b32 s22, s33
	v_lshl_add_u64 v[10:11], s[8:9], 0, v[8:9]
	s_mov_b64 s[8:9], 0
	v_mov_b64_e32 v[2:3], s[0:1]
	s_movk_i32 s25, 0x7f
	s_movk_i32 s26, 0x80
	s_mov_b32 s27, 0x8000
	s_movk_i32 s34, 0x380
	s_mov_b32 s36, 0x3020706
	s_mov_b32 s37, 0x1000504
	;; [unrolled: 1-line block ×3, first 2 shown]
	v_mov_b32_e32 v29, 0x1c00
	s_branch .LBB286_307
.LBB286_305:                            ;   in Loop: Header=BB286_307 Depth=1
	s_or_b64 exec, exec, s[0:1]
	;;#ASMSTART
	v_pk_mul_f16 v15, v41, v15;

	;;#ASMEND
	;;#ASMSTART
	v_pk_mul_f16 v8, v40, v8;

	;;#ASMEND
	;; [unrolled: 4-line block ×4, first 2 shown]
	v_add_f32_e32 v18, v42, v43
	;;#ASMSTART
	v_pk_add_f16 v8, v15, v8;

	;;#ASMEND
	v_add_f32_e32 v2, v2, v18
	;;#ASMSTART
	v_pk_add_f16 v8, v8, v14;

	;;#ASMEND
	;; [unrolled: 5-line block ×3, first 2 shown]
	v_add_f32_e32 v3, v3, v18
	v_lshrrev_b32_e32 v14, 16, v8
	v_and_b32_e32 v8, 0xffff, v8
	;;#ASMSTART
	v_cvt_f32_f16 v8, v8;
	;;#ASMEND
	v_add_f32_e32 v18, v22, v23
	;;#ASMSTART
	v_cvt_f32_f16 v14, v14;
	;;#ASMEND
	v_add_f32_e32 v4, v4, v18
	v_add_f32_e32 v8, v8, v14
	;; [unrolled: 1-line block ×3, first 2 shown]
.LBB286_306:                            ;   in Loop: Header=BB286_307 Depth=1
	s_or_b64 exec, exec, s[2:3]
	v_add_u32_e32 v6, 2, v6
	v_cmp_le_i32_e32 vcc, s52, v6
	v_lshl_add_u64 v[12:13], v[12:13], 0, 8
	v_add_u32_e32 v1, 64, v1
	s_or_b64 s[8:9], vcc, s[8:9]
	v_add_u32_e32 v7, 0x100, v7
	s_andn2_b64 exec, exec, s[8:9]
	s_cbranch_execz .LBB286_572
.LBB286_307:                            ; =>This Inner Loop Header: Depth=1
	v_sub_u32_e32 v14, 0, v1
	v_max_i32_e32 v14, v1, v14
	v_mul_hi_u32 v15, v14, s35
	v_mul_lo_u32 v16, v15, s29
	v_sub_u32_e32 v14, v14, v16
	v_add_u32_e32 v16, 1, v15
	v_cmp_le_u32_e32 vcc, s29, v14
	v_ashrrev_i32_e32 v8, 31, v1
	v_xor_b32_e32 v8, s23, v8
	v_cndmask_b32_e32 v15, v15, v16, vcc
	v_subrev_u32_e32 v16, s29, v14
	v_cndmask_b32_e32 v14, v14, v16, vcc
	v_add_u32_e32 v16, 1, v15
	v_cmp_le_u32_e32 vcc, s29, v14
	s_nop 1
	v_cndmask_b32_e32 v14, v15, v16, vcc
	v_xor_b32_e32 v14, v14, v8
	v_sub_u32_e32 v8, v14, v8
	v_add_u32_e32 v14, s42, v8
	v_sub_u32_e32 v16, 0, v14
	v_ashrrev_i32_e32 v15, 31, v14
	v_max_i32_e32 v14, v14, v16
	v_mul_hi_u32 v16, v14, v28
	v_mul_lo_u32 v16, v16, s7
	v_sub_u32_e32 v14, v14, v16
	v_subrev_u32_e32 v16, s7, v14
	v_cmp_le_u32_e32 vcc, s7, v14
	v_cmp_lt_i32_e64 s[0:1], s5, v8
	s_nop 0
	v_cndmask_b32_e32 v14, v14, v16, vcc
	v_subrev_u32_e32 v16, s7, v14
	v_cmp_le_u32_e32 vcc, s7, v14
	s_nop 1
	v_cndmask_b32_e32 v14, v14, v16, vcc
	v_xor_b32_e32 v14, v14, v15
	v_sub_u32_e32 v14, v14, v15
	v_cmp_eq_u32_e32 vcc, 0, v14
	s_or_b64 s[0:1], vcc, s[0:1]
	s_and_saveexec_b64 s[2:3], s[0:1]
	s_cbranch_execz .LBB286_306
; %bb.308:                              ;   in Loop: Header=BB286_307 Depth=1
	ds_read2_b64 v[18:21], v7 offset1:1
	ds_read2_b64 v[30:33], v7 offset0:2 offset1:3
                                        ; implicit-def: $sgpr18
	s_waitcnt lgkmcnt(1)
	;;#ASMSTART
	v_cvt_f16_f32 v38, v18;

	;;#ASMEND
	;;#ASMSTART
	v_cvt_f16_f32 v39, v19;

	;;#ASMEND
	;; [unrolled: 4-line block ×4, first 2 shown]
	s_waitcnt lgkmcnt(0)
	;;#ASMSTART
	v_cvt_f16_f32 v43, v30;

	;;#ASMEND
	;;#ASMSTART
	v_cvt_f16_f32 v44, v31;

	;;#ASMEND
	;; [unrolled: 4-line block ×4, first 2 shown]
	global_load_dword v8, v[12:13], off
	s_waitcnt vmcnt(0)
	v_mad_i64_i32 v[14:15], s[0:1], v8, s21, v[10:11]
	global_load_dwordx2 v[18:19], v[14:15], off
	global_load_dword v16, v9, s[14:15]
	s_mov_b64 s[0:1], 0
	s_waitcnt vmcnt(1)
	v_cmp_gt_i16_sdwa s[12:13], v18, s25 src0_sel:BYTE_0 src1_sel:DWORD
	s_and_saveexec_b64 s[16:17], s[12:13]
	s_xor_b64 s[12:13], exec, s[16:17]
	s_cbranch_execnz .LBB286_444
; %bb.309:                              ;   in Loop: Header=BB286_307 Depth=1
	s_or_saveexec_b64 s[12:13], s[12:13]
	v_mov_b32_e32 v20, s18
	s_xor_b64 exec, exec, s[12:13]
	s_cbranch_execnz .LBB286_447
.LBB286_310:                            ;   in Loop: Header=BB286_307 Depth=1
	s_or_b64 exec, exec, s[12:13]
	s_and_saveexec_b64 s[12:13], s[0:1]
	s_cbranch_execz .LBB286_312
.LBB286_311:                            ;   in Loop: Header=BB286_307 Depth=1
	v_and_b32_e32 v8, 7, v18
	v_ffbh_u32_e32 v8, v8
	v_bfe_u32 v20, v18, 3, 4
	v_min_u32_e32 v8, 32, v8
	v_subrev_u32_e32 v21, 28, v8
	v_sub_u32_e32 v8, 29, v8
	v_cmp_eq_u32_e32 vcc, 0, v20
	s_nop 1
	v_cndmask_b32_e32 v8, v20, v8, vcc
	v_cndmask_b32_e32 v20, 0, v21, vcc
	v_lshlrev_b64 v[20:21], v20, v[18:19]
	v_lshlrev_b32_e32 v21, 8, v18
	v_lshl_add_u32 v8, v8, 10, v29
	v_lshlrev_b32_e32 v20, 7, v20
	v_and_or_b32 v8, v21, s27, v8
	v_and_or_b32 v8, v20, s34, v8
	v_cvt_f32_f16_e32 v20, v8
.LBB286_312:                            ;   in Loop: Header=BB286_307 Depth=1
	s_or_b64 exec, exec, s[12:13]
	v_lshrrev_b16_e32 v8, 8, v18
	v_cmp_lt_i16_e32 vcc, s25, v8
	s_mov_b64 s[0:1], 0
                                        ; implicit-def: $sgpr18
	s_and_saveexec_b64 s[12:13], vcc
	s_xor_b64 s[12:13], exec, s[12:13]
	s_cbranch_execnz .LBB286_448
; %bb.313:                              ;   in Loop: Header=BB286_307 Depth=1
	s_or_saveexec_b64 s[12:13], s[12:13]
	v_mov_b32_e32 v22, s18
	s_xor_b64 exec, exec, s[12:13]
	s_cbranch_execnz .LBB286_451
.LBB286_314:                            ;   in Loop: Header=BB286_307 Depth=1
	s_or_b64 exec, exec, s[12:13]
	s_and_saveexec_b64 s[12:13], s[0:1]
	s_cbranch_execz .LBB286_316
.LBB286_315:                            ;   in Loop: Header=BB286_307 Depth=1
	v_and_b32_e32 v21, 7, v8
	v_ffbh_u32_e32 v22, v21
	v_min_u32_e32 v31, 32, v22
	v_subrev_u32_e32 v22, 28, v31
	v_bfe_u32 v30, v8, 3, 4
	v_lshlrev_b64 v[22:23], v22, v[8:9]
	v_sub_u32_e32 v23, 29, v31
	v_cmp_eq_u32_e32 vcc, 0, v30
	v_and_b32_e32 v22, 7, v22
	v_lshlrev_b32_e32 v8, 8, v8
	v_cndmask_b32_e32 v23, v30, v23, vcc
	v_cndmask_b32_e32 v21, v21, v22, vcc
	v_lshl_add_u32 v22, v23, 10, v29
	v_and_or_b32 v8, v8, s27, v22
	v_lshl_or_b32 v8, v21, 7, v8
	v_cvt_f32_f16_e32 v22, v8
.LBB286_316:                            ;   in Loop: Header=BB286_307 Depth=1
	s_or_b64 exec, exec, s[12:13]
	v_lshrrev_b32_e32 v8, 16, v18
	v_cmp_gt_i16_sdwa s[12:13], v8, s25 src0_sel:BYTE_0 src1_sel:DWORD
	s_mov_b64 s[0:1], 0
                                        ; implicit-def: $sgpr18
	s_and_saveexec_b64 s[16:17], s[12:13]
	s_xor_b64 s[12:13], exec, s[16:17]
	s_cbranch_execnz .LBB286_452
; %bb.317:                              ;   in Loop: Header=BB286_307 Depth=1
	s_or_saveexec_b64 s[12:13], s[12:13]
	v_mov_b32_e32 v21, s18
	s_xor_b64 exec, exec, s[12:13]
	s_cbranch_execnz .LBB286_455
.LBB286_318:                            ;   in Loop: Header=BB286_307 Depth=1
	s_or_b64 exec, exec, s[12:13]
	s_and_saveexec_b64 s[12:13], s[0:1]
	s_cbranch_execz .LBB286_320
.LBB286_319:                            ;   in Loop: Header=BB286_307 Depth=1
	v_bfe_u32 v21, v18, 16, 3
	v_ffbh_u32_e32 v30, v21
	v_min_u32_e32 v32, 32, v30
	v_subrev_u32_e32 v30, 28, v32
	v_bfe_u32 v23, v18, 19, 4
	v_lshlrev_b64 v[30:31], v30, v[8:9]
	v_sub_u32_e32 v31, 29, v32
	v_cmp_eq_u32_e32 vcc, 0, v23
	v_and_b32_e32 v30, 7, v30
	v_lshlrev_b32_e32 v8, 8, v8
	v_cndmask_b32_e32 v23, v23, v31, vcc
	v_lshl_add_u32 v23, v23, 10, v29
	v_cndmask_b32_e32 v21, v21, v30, vcc
	v_and_or_b32 v8, v8, s27, v23
	v_lshl_or_b32 v8, v21, 7, v8
	v_cvt_f32_f16_e32 v21, v8
.LBB286_320:                            ;   in Loop: Header=BB286_307 Depth=1
	s_or_b64 exec, exec, s[12:13]
	v_lshrrev_b32_e32 v8, 24, v18
	v_cmp_lt_i16_e32 vcc, s25, v8
	s_mov_b64 s[0:1], 0
                                        ; implicit-def: $sgpr18
	s_and_saveexec_b64 s[12:13], vcc
	s_xor_b64 s[12:13], exec, s[12:13]
	s_cbranch_execnz .LBB286_456
; %bb.321:                              ;   in Loop: Header=BB286_307 Depth=1
	s_or_saveexec_b64 s[12:13], s[12:13]
	v_mov_b32_e32 v23, s18
	s_xor_b64 exec, exec, s[12:13]
	s_cbranch_execnz .LBB286_459
.LBB286_322:                            ;   in Loop: Header=BB286_307 Depth=1
	s_or_b64 exec, exec, s[12:13]
	s_and_saveexec_b64 s[12:13], s[0:1]
	s_cbranch_execz .LBB286_324
.LBB286_323:                            ;   in Loop: Header=BB286_307 Depth=1
	v_bfe_u32 v23, v18, 24, 3
	v_ffbh_u32_e32 v30, v23
	v_min_u32_e32 v32, 32, v30
	v_subrev_u32_e32 v30, 28, v32
	v_bfe_u32 v18, v18, 27, 4
	v_lshlrev_b64 v[30:31], v30, v[8:9]
	v_sub_u32_e32 v31, 29, v32
	v_cmp_eq_u32_e32 vcc, 0, v18
	v_and_b32_e32 v30, 7, v30
	v_lshlrev_b32_e32 v8, 8, v8
	v_cndmask_b32_e32 v18, v18, v31, vcc
	v_lshl_add_u32 v18, v18, 10, v29
	v_cndmask_b32_e32 v23, v23, v30, vcc
	v_and_or_b32 v8, v8, s27, v18
	v_lshl_or_b32 v8, v23, 7, v8
	v_cvt_f32_f16_e32 v23, v8
.LBB286_324:                            ;   in Loop: Header=BB286_307 Depth=1
	s_or_b64 exec, exec, s[12:13]
	v_cmp_gt_i16_sdwa s[12:13], v19, s25 src0_sel:BYTE_0 src1_sel:DWORD
	s_mov_b64 s[0:1], 0
                                        ; implicit-def: $sgpr18
	s_and_saveexec_b64 s[16:17], s[12:13]
	s_xor_b64 s[12:13], exec, s[16:17]
	s_cbranch_execnz .LBB286_460
; %bb.325:                              ;   in Loop: Header=BB286_307 Depth=1
	s_or_saveexec_b64 s[12:13], s[12:13]
	v_mov_b32_e32 v18, s18
	s_xor_b64 exec, exec, s[12:13]
	s_cbranch_execnz .LBB286_463
.LBB286_326:                            ;   in Loop: Header=BB286_307 Depth=1
	s_or_b64 exec, exec, s[12:13]
	v_mov_b32_e32 v8, v19
	s_and_saveexec_b64 s[12:13], s[0:1]
	s_cbranch_execz .LBB286_328
.LBB286_327:                            ;   in Loop: Header=BB286_307 Depth=1
	v_and_b32_e32 v18, 7, v19
	v_ffbh_u32_e32 v18, v18
	v_bfe_u32 v30, v19, 3, 4
	v_min_u32_e32 v18, 32, v18
	v_subrev_u32_e32 v31, 28, v18
	v_sub_u32_e32 v18, 29, v18
	v_cmp_eq_u32_e32 vcc, 0, v30
	s_nop 1
	v_cndmask_b32_e32 v18, v30, v18, vcc
	v_cndmask_b32_e32 v30, 0, v31, vcc
	v_lshlrev_b64 v[30:31], v30, v[8:9]
	v_lshlrev_b32_e32 v31, 8, v19
	v_lshl_add_u32 v18, v18, 10, v29
	v_lshlrev_b32_e32 v30, 7, v30
	v_and_or_b32 v18, v31, s27, v18
	v_and_or_b32 v18, v30, s34, v18
	v_cvt_f32_f16_e32 v18, v18
.LBB286_328:                            ;   in Loop: Header=BB286_307 Depth=1
	s_or_b64 exec, exec, s[12:13]
	v_lshrrev_b16_e32 v8, 8, v8
	v_cmp_lt_i16_e32 vcc, s25, v8
	s_mov_b64 s[0:1], 0
                                        ; implicit-def: $sgpr18
	s_and_saveexec_b64 s[12:13], vcc
	s_xor_b64 s[12:13], exec, s[12:13]
	s_cbranch_execnz .LBB286_464
; %bb.329:                              ;   in Loop: Header=BB286_307 Depth=1
	s_or_saveexec_b64 s[12:13], s[12:13]
	v_mov_b32_e32 v30, s18
	s_xor_b64 exec, exec, s[12:13]
	s_cbranch_execnz .LBB286_467
.LBB286_330:                            ;   in Loop: Header=BB286_307 Depth=1
	s_or_b64 exec, exec, s[12:13]
	s_and_saveexec_b64 s[12:13], s[0:1]
	s_cbranch_execz .LBB286_332
.LBB286_331:                            ;   in Loop: Header=BB286_307 Depth=1
	v_and_b32_e32 v32, 7, v8
	v_ffbh_u32_e32 v30, v32
	v_min_u32_e32 v34, 32, v30
	v_subrev_u32_e32 v30, 28, v34
	v_bfe_u32 v33, v8, 3, 4
	v_lshlrev_b64 v[30:31], v30, v[8:9]
	v_sub_u32_e32 v31, 29, v34
	v_cmp_eq_u32_e32 vcc, 0, v33
	v_and_b32_e32 v30, 7, v30
	v_lshlrev_b32_e32 v8, 8, v8
	v_cndmask_b32_e32 v31, v33, v31, vcc
	v_lshl_add_u32 v31, v31, 10, v29
	v_cndmask_b32_e32 v30, v32, v30, vcc
	v_and_or_b32 v8, v8, s27, v31
	v_lshl_or_b32 v8, v30, 7, v8
	v_cvt_f32_f16_e32 v30, v8
.LBB286_332:                            ;   in Loop: Header=BB286_307 Depth=1
	s_or_b64 exec, exec, s[12:13]
	v_lshrrev_b32_e32 v8, 16, v19
	v_cmp_gt_i16_sdwa s[12:13], v8, s25 src0_sel:BYTE_0 src1_sel:DWORD
	s_mov_b64 s[0:1], 0
                                        ; implicit-def: $sgpr18
	s_and_saveexec_b64 s[16:17], s[12:13]
	s_xor_b64 s[12:13], exec, s[16:17]
	s_cbranch_execnz .LBB286_468
; %bb.333:                              ;   in Loop: Header=BB286_307 Depth=1
	s_or_saveexec_b64 s[12:13], s[12:13]
	v_mov_b32_e32 v31, s18
	s_xor_b64 exec, exec, s[12:13]
	s_cbranch_execnz .LBB286_471
.LBB286_334:                            ;   in Loop: Header=BB286_307 Depth=1
	s_or_b64 exec, exec, s[12:13]
	s_and_saveexec_b64 s[12:13], s[0:1]
	s_cbranch_execz .LBB286_336
.LBB286_335:                            ;   in Loop: Header=BB286_307 Depth=1
	v_bfe_u32 v31, v19, 16, 3
	v_ffbh_u32_e32 v32, v31
	v_min_u32_e32 v35, 32, v32
	v_subrev_u32_e32 v32, 28, v35
	v_bfe_u32 v34, v19, 19, 4
	v_lshlrev_b64 v[32:33], v32, v[8:9]
	v_sub_u32_e32 v33, 29, v35
	v_cmp_eq_u32_e32 vcc, 0, v34
	v_and_b32_e32 v32, 7, v32
	v_lshlrev_b32_e32 v8, 8, v8
	v_cndmask_b32_e32 v33, v34, v33, vcc
	v_cndmask_b32_e32 v31, v31, v32, vcc
	v_lshl_add_u32 v32, v33, 10, v29
	v_and_or_b32 v8, v8, s27, v32
	v_lshl_or_b32 v8, v31, 7, v8
	v_cvt_f32_f16_e32 v31, v8
.LBB286_336:                            ;   in Loop: Header=BB286_307 Depth=1
	s_or_b64 exec, exec, s[12:13]
	v_lshrrev_b32_e32 v8, 24, v19
	v_cmp_lt_i16_e32 vcc, s25, v8
	s_mov_b64 s[0:1], 0
                                        ; implicit-def: $sgpr18
	s_and_saveexec_b64 s[12:13], vcc
	s_xor_b64 s[12:13], exec, s[12:13]
	s_cbranch_execnz .LBB286_472
; %bb.337:                              ;   in Loop: Header=BB286_307 Depth=1
	s_or_saveexec_b64 s[12:13], s[12:13]
	v_mov_b32_e32 v33, s18
	s_xor_b64 exec, exec, s[12:13]
	s_cbranch_execnz .LBB286_475
.LBB286_338:                            ;   in Loop: Header=BB286_307 Depth=1
	s_or_b64 exec, exec, s[12:13]
	s_and_saveexec_b64 s[12:13], s[0:1]
	s_cbranch_execz .LBB286_340
.LBB286_339:                            ;   in Loop: Header=BB286_307 Depth=1
	v_bfe_u32 v34, v19, 24, 3
	v_ffbh_u32_e32 v32, v34
	v_min_u32_e32 v35, 32, v32
	v_subrev_u32_e32 v32, 28, v35
	v_bfe_u32 v19, v19, 27, 4
	v_lshlrev_b64 v[32:33], v32, v[8:9]
	v_sub_u32_e32 v33, 29, v35
	v_cmp_eq_u32_e32 vcc, 0, v19
	v_and_b32_e32 v32, 7, v32
	v_lshlrev_b32_e32 v8, 8, v8
	v_cndmask_b32_e32 v19, v19, v33, vcc
	v_lshl_add_u32 v19, v19, 10, v29
	v_cndmask_b32_e32 v32, v34, v32, vcc
	v_and_or_b32 v8, v8, s27, v19
	v_lshl_or_b32 v8, v32, 7, v8
	v_cvt_f32_f16_e32 v33, v8
.LBB286_340:                            ;   in Loop: Header=BB286_307 Depth=1
	s_or_b64 exec, exec, s[12:13]
	s_waitcnt vmcnt(0)
	v_pk_mul_f32 v[22:23], v[16:17], v[22:23] op_sel_hi:[0,1]
	v_pk_mul_f32 v[20:21], v[16:17], v[20:21] op_sel_hi:[0,1]
	v_cvt_f16_f32_e32 v8, v23
	v_cvt_f16_f32_e32 v19, v22
	;; [unrolled: 1-line block ×4, first 2 shown]
	v_fma_mixlo_f16 v18, v16, v18, 0
	v_pack_b32_f16 v19, v19, v8
	v_add_u32_e32 v32, v27, v1
	v_pack_b32_f16 v20, v20, v21
	v_perm_b32 v8, v20, v19, s36
	v_perm_b32 v19, v20, v19, s37
	v_fma_mixlo_f16 v20, v16, v30, 0
	v_lshlrev_b32_e32 v20, 16, v20
	v_or_b32_sdwa v18, v20, v18 dst_sel:DWORD dst_unused:UNUSED_PAD src0_sel:DWORD src1_sel:WORD_0
	v_fma_mixlo_f16 v20, v16, v31, 0
	v_fma_mixlo_f16 v16, v16, v33, 0
	v_lshlrev_b32_e32 v16, 16, v16
	v_cmp_eq_u32_e32 vcc, s24, v6
	v_or_b32_sdwa v16, v16, v20 dst_sel:DWORD dst_unused:UNUSED_PAD src0_sel:DWORD src1_sel:WORD_0
	v_add_u32_e32 v37, 1, v32
	v_or_b32_e32 v36, 3, v32
	v_or_b32_e32 v35, 2, v32
	;; [unrolled: 1-line block ×6, first 2 shown]
	s_and_saveexec_b64 s[12:13], vcc
	s_cbranch_execz .LBB286_342
; %bb.341:                              ;   in Loop: Header=BB286_307 Depth=1
	v_lshrrev_b32_e32 v21, 16, v19
	v_cmp_gt_i32_e64 s[0:1], s22, v37
	v_lshrrev_b32_e32 v16, 16, v16
	s_nop 0
	v_cndmask_b32_e64 v21, 0, v21, s[0:1]
	v_cmp_gt_i32_e64 s[0:1], s33, v32
	s_nop 1
	v_cndmask_b32_e64 v19, 0, v19, s[0:1]
	v_perm_b32 v19, v21, v19, s38
	v_lshrrev_b32_e32 v21, 16, v8
	v_cmp_gt_i32_e64 s[0:1], s22, v36
	s_nop 1
	v_cndmask_b32_e64 v21, 0, v21, s[0:1]
	v_cmp_gt_i32_e64 s[0:1], s33, v35
	s_nop 1
	v_cndmask_b32_e64 v8, 0, v8, s[0:1]
	v_perm_b32 v8, v21, v8, s38
	v_lshrrev_b32_e32 v21, 16, v18
	v_cmp_gt_i32_e64 s[0:1], s22, v34
	s_nop 1
	v_cndmask_b32_e64 v21, 0, v21, s[0:1]
	v_cmp_gt_i32_e64 s[0:1], s33, v33
	s_nop 1
	v_cndmask_b32_e64 v18, 0, v18, s[0:1]
	v_cmp_gt_i32_e64 s[0:1], s22, v31
	v_perm_b32 v18, v21, v18, s38
	s_nop 0
	v_cndmask_b32_e64 v16, 0, v16, s[0:1]
	v_cmp_gt_i32_e64 s[0:1], s33, v30
	s_nop 1
	v_cndmask_b32_e64 v20, 0, v20, s[0:1]
	v_perm_b32 v16, v16, v20, s38
.LBB286_342:                            ;   in Loop: Header=BB286_307 Depth=1
	s_or_b64 exec, exec, s[12:13]
	v_and_b32_e32 v20, 0xffff, v38
	v_lshl_or_b32 v41, v39, 16, v20
	v_and_b32_e32 v20, 0xffff, v40
	v_lshl_or_b32 v40, v42, 16, v20
	;; [unrolled: 2-line block ×3, first 2 shown]
	v_and_b32_e32 v20, 0xffff, v45
	;;#ASMSTART
	v_pk_mul_f16 v19, v41, v19;

	;;#ASMEND
	;;#ASMSTART
	v_pk_mul_f16 v8, v40, v8;

	;;#ASMEND
	v_lshl_or_b32 v38, v46, 16, v20
	;;#ASMSTART
	v_pk_mul_f16 v18, v39, v18;

	;;#ASMEND
	;;#ASMSTART
	v_pk_mul_f16 v16, v38, v16;

	;;#ASMEND
	;;#ASMSTART
	v_pk_add_f16 v8, v19, v8;

	;;#ASMEND
	s_mov_b64 s[0:1], 0
	;;#ASMSTART
	v_pk_add_f16 v8, v8, v18;

	;;#ASMEND
                                        ; implicit-def: $sgpr18
	s_nop 0
	;;#ASMSTART
	v_pk_add_f16 v8, v8, v16;

	;;#ASMEND
	s_nop 0
	v_lshrrev_b32_e32 v16, 16, v8
	v_and_b32_e32 v8, 0xffff, v8
	;;#ASMSTART
	v_cvt_f32_f16 v42, v8;
	;;#ASMEND
	;;#ASMSTART
	v_cvt_f32_f16 v43, v16;
	;;#ASMEND
	global_load_dwordx2 v[18:19], v[14:15], off offset:512
	global_load_dword v16, v9, s[14:15]
	s_waitcnt vmcnt(1)
	v_cmp_gt_i16_sdwa s[12:13], v18, s25 src0_sel:BYTE_0 src1_sel:DWORD
	s_and_saveexec_b64 s[16:17], s[12:13]
	s_xor_b64 s[12:13], exec, s[16:17]
	s_cbranch_execnz .LBB286_476
; %bb.343:                              ;   in Loop: Header=BB286_307 Depth=1
	s_or_saveexec_b64 s[12:13], s[12:13]
	v_mov_b32_e32 v20, s18
	s_xor_b64 exec, exec, s[12:13]
	s_cbranch_execnz .LBB286_479
.LBB286_344:                            ;   in Loop: Header=BB286_307 Depth=1
	s_or_b64 exec, exec, s[12:13]
	s_and_saveexec_b64 s[12:13], s[0:1]
	s_cbranch_execz .LBB286_346
.LBB286_345:                            ;   in Loop: Header=BB286_307 Depth=1
	v_and_b32_e32 v8, 7, v18
	v_ffbh_u32_e32 v8, v8
	v_bfe_u32 v20, v18, 3, 4
	v_min_u32_e32 v8, 32, v8
	v_subrev_u32_e32 v21, 28, v8
	v_sub_u32_e32 v8, 29, v8
	v_cmp_eq_u32_e64 s[0:1], 0, v20
	s_nop 1
	v_cndmask_b32_e64 v8, v20, v8, s[0:1]
	v_cndmask_b32_e64 v20, 0, v21, s[0:1]
	v_lshlrev_b64 v[20:21], v20, v[18:19]
	v_lshlrev_b32_e32 v21, 8, v18
	v_lshl_add_u32 v8, v8, 10, v29
	v_lshlrev_b32_e32 v20, 7, v20
	v_and_or_b32 v8, v21, s27, v8
	v_and_or_b32 v8, v20, s34, v8
	v_cvt_f32_f16_e32 v20, v8
.LBB286_346:                            ;   in Loop: Header=BB286_307 Depth=1
	s_or_b64 exec, exec, s[12:13]
	v_lshrrev_b16_e32 v8, 8, v18
	v_cmp_lt_i16_e64 s[0:1], s25, v8
	s_mov_b64 s[12:13], 0
                                        ; implicit-def: $sgpr39
	s_and_saveexec_b64 s[16:17], s[0:1]
	s_xor_b64 s[16:17], exec, s[16:17]
	s_cbranch_execnz .LBB286_480
; %bb.347:                              ;   in Loop: Header=BB286_307 Depth=1
	s_or_saveexec_b64 s[16:17], s[16:17]
	v_mov_b32_e32 v22, s39
	s_xor_b64 exec, exec, s[16:17]
	s_cbranch_execnz .LBB286_483
.LBB286_348:                            ;   in Loop: Header=BB286_307 Depth=1
	s_or_b64 exec, exec, s[16:17]
	s_and_saveexec_b64 s[16:17], s[12:13]
	s_cbranch_execz .LBB286_350
.LBB286_349:                            ;   in Loop: Header=BB286_307 Depth=1
	v_and_b32_e32 v21, 7, v8
	v_ffbh_u32_e32 v22, v21
	v_min_u32_e32 v45, 32, v22
	v_subrev_u32_e32 v22, 28, v45
	v_bfe_u32 v44, v8, 3, 4
	v_lshlrev_b64 v[22:23], v22, v[8:9]
	v_sub_u32_e32 v23, 29, v45
	v_cmp_eq_u32_e64 s[0:1], 0, v44
	v_and_b32_e32 v22, 7, v22
	v_lshlrev_b32_e32 v8, 8, v8
	v_cndmask_b32_e64 v23, v44, v23, s[0:1]
	v_cndmask_b32_e64 v21, v21, v22, s[0:1]
	v_lshl_add_u32 v22, v23, 10, v29
	v_and_or_b32 v8, v8, s27, v22
	v_lshl_or_b32 v8, v21, 7, v8
	v_cvt_f32_f16_e32 v22, v8
.LBB286_350:                            ;   in Loop: Header=BB286_307 Depth=1
	s_or_b64 exec, exec, s[16:17]
	v_lshrrev_b32_e32 v8, 16, v18
	v_cmp_gt_i16_sdwa s[12:13], v8, s25 src0_sel:BYTE_0 src1_sel:DWORD
	s_mov_b64 s[0:1], 0
                                        ; implicit-def: $sgpr18
	s_and_saveexec_b64 s[16:17], s[12:13]
	s_xor_b64 s[12:13], exec, s[16:17]
	s_cbranch_execnz .LBB286_484
; %bb.351:                              ;   in Loop: Header=BB286_307 Depth=1
	s_or_saveexec_b64 s[12:13], s[12:13]
	v_mov_b32_e32 v21, s18
	s_xor_b64 exec, exec, s[12:13]
	s_cbranch_execnz .LBB286_487
.LBB286_352:                            ;   in Loop: Header=BB286_307 Depth=1
	s_or_b64 exec, exec, s[12:13]
	s_and_saveexec_b64 s[12:13], s[0:1]
	s_cbranch_execz .LBB286_354
.LBB286_353:                            ;   in Loop: Header=BB286_307 Depth=1
	v_bfe_u32 v21, v18, 16, 3
	v_ffbh_u32_e32 v44, v21
	v_min_u32_e32 v46, 32, v44
	v_subrev_u32_e32 v44, 28, v46
	v_bfe_u32 v23, v18, 19, 4
	v_lshlrev_b64 v[44:45], v44, v[8:9]
	v_sub_u32_e32 v45, 29, v46
	v_cmp_eq_u32_e64 s[0:1], 0, v23
	v_and_b32_e32 v44, 7, v44
	v_lshlrev_b32_e32 v8, 8, v8
	v_cndmask_b32_e64 v23, v23, v45, s[0:1]
	v_lshl_add_u32 v23, v23, 10, v29
	v_cndmask_b32_e64 v21, v21, v44, s[0:1]
	v_and_or_b32 v8, v8, s27, v23
	v_lshl_or_b32 v8, v21, 7, v8
	v_cvt_f32_f16_e32 v21, v8
.LBB286_354:                            ;   in Loop: Header=BB286_307 Depth=1
	s_or_b64 exec, exec, s[12:13]
	v_lshrrev_b32_e32 v8, 24, v18
	v_cmp_lt_i16_e64 s[0:1], s25, v8
	s_mov_b64 s[12:13], 0
                                        ; implicit-def: $sgpr39
	s_and_saveexec_b64 s[16:17], s[0:1]
	s_xor_b64 s[16:17], exec, s[16:17]
	s_cbranch_execnz .LBB286_488
; %bb.355:                              ;   in Loop: Header=BB286_307 Depth=1
	s_or_saveexec_b64 s[16:17], s[16:17]
	v_mov_b32_e32 v23, s39
	s_xor_b64 exec, exec, s[16:17]
	s_cbranch_execnz .LBB286_491
.LBB286_356:                            ;   in Loop: Header=BB286_307 Depth=1
	s_or_b64 exec, exec, s[16:17]
	s_and_saveexec_b64 s[16:17], s[12:13]
	s_cbranch_execz .LBB286_358
.LBB286_357:                            ;   in Loop: Header=BB286_307 Depth=1
	v_bfe_u32 v23, v18, 24, 3
	v_ffbh_u32_e32 v44, v23
	v_min_u32_e32 v46, 32, v44
	v_subrev_u32_e32 v44, 28, v46
	v_bfe_u32 v18, v18, 27, 4
	v_lshlrev_b64 v[44:45], v44, v[8:9]
	v_sub_u32_e32 v45, 29, v46
	v_cmp_eq_u32_e64 s[0:1], 0, v18
	v_and_b32_e32 v44, 7, v44
	v_lshlrev_b32_e32 v8, 8, v8
	v_cndmask_b32_e64 v18, v18, v45, s[0:1]
	v_lshl_add_u32 v18, v18, 10, v29
	v_cndmask_b32_e64 v23, v23, v44, s[0:1]
	v_and_or_b32 v8, v8, s27, v18
	v_lshl_or_b32 v8, v23, 7, v8
	v_cvt_f32_f16_e32 v23, v8
.LBB286_358:                            ;   in Loop: Header=BB286_307 Depth=1
	s_or_b64 exec, exec, s[16:17]
	v_cmp_gt_i16_sdwa s[12:13], v19, s25 src0_sel:BYTE_0 src1_sel:DWORD
	s_mov_b64 s[0:1], 0
                                        ; implicit-def: $sgpr18
	s_and_saveexec_b64 s[16:17], s[12:13]
	s_xor_b64 s[12:13], exec, s[16:17]
	s_cbranch_execnz .LBB286_492
; %bb.359:                              ;   in Loop: Header=BB286_307 Depth=1
	s_or_saveexec_b64 s[12:13], s[12:13]
	v_mov_b32_e32 v18, s18
	s_xor_b64 exec, exec, s[12:13]
	s_cbranch_execnz .LBB286_495
.LBB286_360:                            ;   in Loop: Header=BB286_307 Depth=1
	s_or_b64 exec, exec, s[12:13]
	v_mov_b32_e32 v8, v19
	s_and_saveexec_b64 s[12:13], s[0:1]
	s_cbranch_execz .LBB286_362
.LBB286_361:                            ;   in Loop: Header=BB286_307 Depth=1
	v_and_b32_e32 v18, 7, v19
	v_ffbh_u32_e32 v18, v18
	v_bfe_u32 v44, v19, 3, 4
	v_min_u32_e32 v18, 32, v18
	v_subrev_u32_e32 v45, 28, v18
	v_sub_u32_e32 v18, 29, v18
	v_cmp_eq_u32_e64 s[0:1], 0, v44
	s_nop 1
	v_cndmask_b32_e64 v18, v44, v18, s[0:1]
	v_cndmask_b32_e64 v44, 0, v45, s[0:1]
	v_lshlrev_b64 v[44:45], v44, v[8:9]
	v_lshlrev_b32_e32 v45, 8, v19
	v_lshl_add_u32 v18, v18, 10, v29
	v_lshlrev_b32_e32 v44, 7, v44
	v_and_or_b32 v18, v45, s27, v18
	v_and_or_b32 v18, v44, s34, v18
	v_cvt_f32_f16_e32 v18, v18
.LBB286_362:                            ;   in Loop: Header=BB286_307 Depth=1
	s_or_b64 exec, exec, s[12:13]
	v_lshrrev_b16_e32 v8, 8, v8
	v_cmp_lt_i16_e64 s[0:1], s25, v8
	s_mov_b64 s[12:13], 0
                                        ; implicit-def: $sgpr39
	s_and_saveexec_b64 s[16:17], s[0:1]
	s_xor_b64 s[16:17], exec, s[16:17]
	s_cbranch_execnz .LBB286_496
; %bb.363:                              ;   in Loop: Header=BB286_307 Depth=1
	s_or_saveexec_b64 s[16:17], s[16:17]
	v_mov_b32_e32 v44, s39
	s_xor_b64 exec, exec, s[16:17]
	s_cbranch_execnz .LBB286_499
.LBB286_364:                            ;   in Loop: Header=BB286_307 Depth=1
	s_or_b64 exec, exec, s[16:17]
	s_and_saveexec_b64 s[16:17], s[12:13]
	s_cbranch_execz .LBB286_366
.LBB286_365:                            ;   in Loop: Header=BB286_307 Depth=1
	v_and_b32_e32 v46, 7, v8
	v_ffbh_u32_e32 v44, v46
	v_min_u32_e32 v48, 32, v44
	v_subrev_u32_e32 v44, 28, v48
	v_bfe_u32 v47, v8, 3, 4
	v_lshlrev_b64 v[44:45], v44, v[8:9]
	v_sub_u32_e32 v45, 29, v48
	v_cmp_eq_u32_e64 s[0:1], 0, v47
	v_and_b32_e32 v44, 7, v44
	v_lshlrev_b32_e32 v8, 8, v8
	v_cndmask_b32_e64 v45, v47, v45, s[0:1]
	v_lshl_add_u32 v45, v45, 10, v29
	v_cndmask_b32_e64 v44, v46, v44, s[0:1]
	v_and_or_b32 v8, v8, s27, v45
	v_lshl_or_b32 v8, v44, 7, v8
	v_cvt_f32_f16_e32 v44, v8
.LBB286_366:                            ;   in Loop: Header=BB286_307 Depth=1
	s_or_b64 exec, exec, s[16:17]
	v_lshrrev_b32_e32 v8, 16, v19
	v_cmp_gt_i16_sdwa s[12:13], v8, s25 src0_sel:BYTE_0 src1_sel:DWORD
	s_mov_b64 s[0:1], 0
                                        ; implicit-def: $sgpr18
	s_and_saveexec_b64 s[16:17], s[12:13]
	s_xor_b64 s[12:13], exec, s[16:17]
	s_cbranch_execnz .LBB286_500
; %bb.367:                              ;   in Loop: Header=BB286_307 Depth=1
	s_or_saveexec_b64 s[12:13], s[12:13]
	v_mov_b32_e32 v45, s18
	s_xor_b64 exec, exec, s[12:13]
	s_cbranch_execnz .LBB286_503
.LBB286_368:                            ;   in Loop: Header=BB286_307 Depth=1
	s_or_b64 exec, exec, s[12:13]
	s_and_saveexec_b64 s[12:13], s[0:1]
	s_cbranch_execz .LBB286_370
.LBB286_369:                            ;   in Loop: Header=BB286_307 Depth=1
	v_bfe_u32 v45, v19, 16, 3
	v_ffbh_u32_e32 v46, v45
	v_min_u32_e32 v49, 32, v46
	v_subrev_u32_e32 v46, 28, v49
	v_bfe_u32 v48, v19, 19, 4
	v_lshlrev_b64 v[46:47], v46, v[8:9]
	v_sub_u32_e32 v47, 29, v49
	v_cmp_eq_u32_e64 s[0:1], 0, v48
	v_and_b32_e32 v46, 7, v46
	v_lshlrev_b32_e32 v8, 8, v8
	v_cndmask_b32_e64 v47, v48, v47, s[0:1]
	v_cndmask_b32_e64 v45, v45, v46, s[0:1]
	v_lshl_add_u32 v46, v47, 10, v29
	v_and_or_b32 v8, v8, s27, v46
	v_lshl_or_b32 v8, v45, 7, v8
	v_cvt_f32_f16_e32 v45, v8
.LBB286_370:                            ;   in Loop: Header=BB286_307 Depth=1
	s_or_b64 exec, exec, s[12:13]
	v_lshrrev_b32_e32 v8, 24, v19
	v_cmp_lt_i16_e64 s[0:1], s25, v8
	s_mov_b64 s[12:13], 0
                                        ; implicit-def: $sgpr39
	s_and_saveexec_b64 s[16:17], s[0:1]
	s_xor_b64 s[16:17], exec, s[16:17]
	s_cbranch_execnz .LBB286_504
; %bb.371:                              ;   in Loop: Header=BB286_307 Depth=1
	s_or_saveexec_b64 s[16:17], s[16:17]
	v_mov_b32_e32 v46, s39
	s_xor_b64 exec, exec, s[16:17]
	s_cbranch_execnz .LBB286_507
.LBB286_372:                            ;   in Loop: Header=BB286_307 Depth=1
	s_or_b64 exec, exec, s[16:17]
	s_and_saveexec_b64 s[16:17], s[12:13]
	s_cbranch_execz .LBB286_374
.LBB286_373:                            ;   in Loop: Header=BB286_307 Depth=1
	v_bfe_u32 v48, v19, 24, 3
	v_ffbh_u32_e32 v46, v48
	v_min_u32_e32 v49, 32, v46
	v_subrev_u32_e32 v46, 28, v49
	v_bfe_u32 v19, v19, 27, 4
	v_lshlrev_b64 v[46:47], v46, v[8:9]
	v_sub_u32_e32 v47, 29, v49
	v_cmp_eq_u32_e64 s[0:1], 0, v19
	v_and_b32_e32 v46, 7, v46
	v_lshlrev_b32_e32 v8, 8, v8
	v_cndmask_b32_e64 v19, v19, v47, s[0:1]
	v_lshl_add_u32 v19, v19, 10, v29
	v_cndmask_b32_e64 v46, v48, v46, s[0:1]
	v_and_or_b32 v8, v8, s27, v19
	v_lshl_or_b32 v8, v46, 7, v8
	v_cvt_f32_f16_e32 v46, v8
.LBB286_374:                            ;   in Loop: Header=BB286_307 Depth=1
	s_or_b64 exec, exec, s[16:17]
	s_waitcnt vmcnt(0)
	v_pk_mul_f32 v[22:23], v[16:17], v[22:23] op_sel_hi:[0,1]
	v_pk_mul_f32 v[20:21], v[16:17], v[20:21] op_sel_hi:[0,1]
	v_cvt_f16_f32_e32 v8, v23
	v_cvt_f16_f32_e32 v19, v22
	v_cvt_f16_f32_e32 v21, v21
	v_cvt_f16_f32_e32 v20, v20
	v_fma_mixlo_f16 v18, v16, v18, 0
	v_pack_b32_f16 v19, v19, v8
	v_pack_b32_f16 v20, v20, v21
	v_perm_b32 v8, v20, v19, s36
	v_perm_b32 v19, v20, v19, s37
	v_fma_mixlo_f16 v20, v16, v44, 0
	v_lshlrev_b32_e32 v20, 16, v20
	v_or_b32_sdwa v18, v20, v18 dst_sel:DWORD dst_unused:UNUSED_PAD src0_sel:DWORD src1_sel:WORD_0
	v_fma_mixlo_f16 v20, v16, v45, 0
	v_fma_mixlo_f16 v16, v16, v46, 0
	v_lshlrev_b32_e32 v16, 16, v16
	v_or_b32_sdwa v16, v16, v20 dst_sel:DWORD dst_unused:UNUSED_PAD src0_sel:DWORD src1_sel:WORD_0
	s_and_saveexec_b64 s[12:13], vcc
	s_cbranch_execz .LBB286_376
; %bb.375:                              ;   in Loop: Header=BB286_307 Depth=1
	v_lshrrev_b32_e32 v21, 16, v19
	v_cmp_gt_i32_e64 s[0:1], s22, v37
	v_lshrrev_b32_e32 v16, 16, v16
	s_nop 0
	v_cndmask_b32_e64 v21, 0, v21, s[0:1]
	v_cmp_gt_i32_e64 s[0:1], s33, v32
	s_nop 1
	v_cndmask_b32_e64 v19, 0, v19, s[0:1]
	v_perm_b32 v19, v21, v19, s38
	v_lshrrev_b32_e32 v21, 16, v8
	v_cmp_gt_i32_e64 s[0:1], s22, v36
	s_nop 1
	v_cndmask_b32_e64 v21, 0, v21, s[0:1]
	v_cmp_gt_i32_e64 s[0:1], s33, v35
	s_nop 1
	v_cndmask_b32_e64 v8, 0, v8, s[0:1]
	v_perm_b32 v8, v21, v8, s38
	v_lshrrev_b32_e32 v21, 16, v18
	v_cmp_gt_i32_e64 s[0:1], s22, v34
	s_nop 1
	v_cndmask_b32_e64 v21, 0, v21, s[0:1]
	v_cmp_gt_i32_e64 s[0:1], s33, v33
	s_nop 1
	v_cndmask_b32_e64 v18, 0, v18, s[0:1]
	v_cmp_gt_i32_e64 s[0:1], s22, v31
	v_perm_b32 v18, v21, v18, s38
	s_nop 0
	v_cndmask_b32_e64 v16, 0, v16, s[0:1]
	v_cmp_gt_i32_e64 s[0:1], s33, v30
	s_nop 1
	v_cndmask_b32_e64 v20, 0, v20, s[0:1]
	v_perm_b32 v16, v16, v20, s38
.LBB286_376:                            ;   in Loop: Header=BB286_307 Depth=1
	s_or_b64 exec, exec, s[12:13]
	;;#ASMSTART
	v_pk_mul_f16 v19, v41, v19;

	;;#ASMEND
	;;#ASMSTART
	v_pk_mul_f16 v8, v40, v8;

	;;#ASMEND
	;; [unrolled: 4-line block ×4, first 2 shown]
	s_mov_b64 s[0:1], 0
	;;#ASMSTART
	v_pk_add_f16 v8, v19, v8;

	;;#ASMEND
                                        ; implicit-def: $sgpr18
	s_nop 0
	;;#ASMSTART
	v_pk_add_f16 v8, v8, v18;

	;;#ASMEND
	s_nop 0
	;;#ASMSTART
	v_pk_add_f16 v8, v8, v16;

	;;#ASMEND
	s_nop 0
	v_lshrrev_b32_e32 v16, 16, v8
	v_and_b32_e32 v8, 0xffff, v8
	;;#ASMSTART
	v_cvt_f32_f16 v44, v8;
	;;#ASMEND
	;;#ASMSTART
	v_cvt_f32_f16 v45, v16;
	;;#ASMEND
	global_load_dwordx2 v[18:19], v[14:15], off offset:1024
	global_load_dword v16, v9, s[14:15]
	s_waitcnt vmcnt(1)
	v_cmp_gt_i16_sdwa s[12:13], v18, s25 src0_sel:BYTE_0 src1_sel:DWORD
	s_and_saveexec_b64 s[16:17], s[12:13]
	s_xor_b64 s[12:13], exec, s[16:17]
	s_cbranch_execnz .LBB286_508
; %bb.377:                              ;   in Loop: Header=BB286_307 Depth=1
	s_or_saveexec_b64 s[12:13], s[12:13]
	v_mov_b32_e32 v20, s18
	s_xor_b64 exec, exec, s[12:13]
	s_cbranch_execnz .LBB286_511
.LBB286_378:                            ;   in Loop: Header=BB286_307 Depth=1
	s_or_b64 exec, exec, s[12:13]
	s_and_saveexec_b64 s[12:13], s[0:1]
	s_cbranch_execz .LBB286_380
.LBB286_379:                            ;   in Loop: Header=BB286_307 Depth=1
	v_and_b32_e32 v8, 7, v18
	v_ffbh_u32_e32 v8, v8
	v_bfe_u32 v20, v18, 3, 4
	v_min_u32_e32 v8, 32, v8
	v_subrev_u32_e32 v21, 28, v8
	v_sub_u32_e32 v8, 29, v8
	v_cmp_eq_u32_e64 s[0:1], 0, v20
	s_nop 1
	v_cndmask_b32_e64 v8, v20, v8, s[0:1]
	v_cndmask_b32_e64 v20, 0, v21, s[0:1]
	v_lshlrev_b64 v[20:21], v20, v[18:19]
	v_lshlrev_b32_e32 v21, 8, v18
	v_lshl_add_u32 v8, v8, 10, v29
	v_lshlrev_b32_e32 v20, 7, v20
	v_and_or_b32 v8, v21, s27, v8
	v_and_or_b32 v8, v20, s34, v8
	v_cvt_f32_f16_e32 v20, v8
.LBB286_380:                            ;   in Loop: Header=BB286_307 Depth=1
	s_or_b64 exec, exec, s[12:13]
	v_lshrrev_b16_e32 v8, 8, v18
	v_cmp_lt_i16_e64 s[0:1], s25, v8
	s_mov_b64 s[12:13], 0
                                        ; implicit-def: $sgpr39
	s_and_saveexec_b64 s[16:17], s[0:1]
	s_xor_b64 s[16:17], exec, s[16:17]
	s_cbranch_execnz .LBB286_512
; %bb.381:                              ;   in Loop: Header=BB286_307 Depth=1
	s_or_saveexec_b64 s[16:17], s[16:17]
	v_mov_b32_e32 v22, s39
	s_xor_b64 exec, exec, s[16:17]
	s_cbranch_execnz .LBB286_515
.LBB286_382:                            ;   in Loop: Header=BB286_307 Depth=1
	s_or_b64 exec, exec, s[16:17]
	s_and_saveexec_b64 s[16:17], s[12:13]
	s_cbranch_execz .LBB286_384
.LBB286_383:                            ;   in Loop: Header=BB286_307 Depth=1
	v_and_b32_e32 v21, 7, v8
	v_ffbh_u32_e32 v22, v21
	v_min_u32_e32 v47, 32, v22
	v_subrev_u32_e32 v22, 28, v47
	v_bfe_u32 v46, v8, 3, 4
	v_lshlrev_b64 v[22:23], v22, v[8:9]
	v_sub_u32_e32 v23, 29, v47
	v_cmp_eq_u32_e64 s[0:1], 0, v46
	v_and_b32_e32 v22, 7, v22
	v_lshlrev_b32_e32 v8, 8, v8
	v_cndmask_b32_e64 v23, v46, v23, s[0:1]
	v_cndmask_b32_e64 v21, v21, v22, s[0:1]
	v_lshl_add_u32 v22, v23, 10, v29
	v_and_or_b32 v8, v8, s27, v22
	v_lshl_or_b32 v8, v21, 7, v8
	v_cvt_f32_f16_e32 v22, v8
.LBB286_384:                            ;   in Loop: Header=BB286_307 Depth=1
	s_or_b64 exec, exec, s[16:17]
	v_lshrrev_b32_e32 v8, 16, v18
	v_cmp_gt_i16_sdwa s[12:13], v8, s25 src0_sel:BYTE_0 src1_sel:DWORD
	s_mov_b64 s[0:1], 0
                                        ; implicit-def: $sgpr18
	s_and_saveexec_b64 s[16:17], s[12:13]
	s_xor_b64 s[12:13], exec, s[16:17]
	s_cbranch_execnz .LBB286_516
; %bb.385:                              ;   in Loop: Header=BB286_307 Depth=1
	s_or_saveexec_b64 s[12:13], s[12:13]
	v_mov_b32_e32 v21, s18
	s_xor_b64 exec, exec, s[12:13]
	s_cbranch_execnz .LBB286_519
.LBB286_386:                            ;   in Loop: Header=BB286_307 Depth=1
	s_or_b64 exec, exec, s[12:13]
	s_and_saveexec_b64 s[12:13], s[0:1]
	s_cbranch_execz .LBB286_388
.LBB286_387:                            ;   in Loop: Header=BB286_307 Depth=1
	v_bfe_u32 v21, v18, 16, 3
	v_ffbh_u32_e32 v46, v21
	v_min_u32_e32 v48, 32, v46
	v_subrev_u32_e32 v46, 28, v48
	v_bfe_u32 v23, v18, 19, 4
	v_lshlrev_b64 v[46:47], v46, v[8:9]
	v_sub_u32_e32 v47, 29, v48
	v_cmp_eq_u32_e64 s[0:1], 0, v23
	v_and_b32_e32 v46, 7, v46
	v_lshlrev_b32_e32 v8, 8, v8
	v_cndmask_b32_e64 v23, v23, v47, s[0:1]
	v_lshl_add_u32 v23, v23, 10, v29
	v_cndmask_b32_e64 v21, v21, v46, s[0:1]
	v_and_or_b32 v8, v8, s27, v23
	v_lshl_or_b32 v8, v21, 7, v8
	v_cvt_f32_f16_e32 v21, v8
.LBB286_388:                            ;   in Loop: Header=BB286_307 Depth=1
	s_or_b64 exec, exec, s[12:13]
	v_lshrrev_b32_e32 v8, 24, v18
	v_cmp_lt_i16_e64 s[0:1], s25, v8
	s_mov_b64 s[12:13], 0
                                        ; implicit-def: $sgpr39
	s_and_saveexec_b64 s[16:17], s[0:1]
	s_xor_b64 s[16:17], exec, s[16:17]
	s_cbranch_execnz .LBB286_520
; %bb.389:                              ;   in Loop: Header=BB286_307 Depth=1
	s_or_saveexec_b64 s[16:17], s[16:17]
	v_mov_b32_e32 v23, s39
	s_xor_b64 exec, exec, s[16:17]
	s_cbranch_execnz .LBB286_523
.LBB286_390:                            ;   in Loop: Header=BB286_307 Depth=1
	s_or_b64 exec, exec, s[16:17]
	s_and_saveexec_b64 s[16:17], s[12:13]
	s_cbranch_execz .LBB286_392
.LBB286_391:                            ;   in Loop: Header=BB286_307 Depth=1
	v_bfe_u32 v23, v18, 24, 3
	v_ffbh_u32_e32 v46, v23
	v_min_u32_e32 v48, 32, v46
	v_subrev_u32_e32 v46, 28, v48
	v_bfe_u32 v18, v18, 27, 4
	v_lshlrev_b64 v[46:47], v46, v[8:9]
	v_sub_u32_e32 v47, 29, v48
	v_cmp_eq_u32_e64 s[0:1], 0, v18
	v_and_b32_e32 v46, 7, v46
	v_lshlrev_b32_e32 v8, 8, v8
	v_cndmask_b32_e64 v18, v18, v47, s[0:1]
	v_lshl_add_u32 v18, v18, 10, v29
	v_cndmask_b32_e64 v23, v23, v46, s[0:1]
	v_and_or_b32 v8, v8, s27, v18
	v_lshl_or_b32 v8, v23, 7, v8
	v_cvt_f32_f16_e32 v23, v8
.LBB286_392:                            ;   in Loop: Header=BB286_307 Depth=1
	s_or_b64 exec, exec, s[16:17]
	v_cmp_gt_i16_sdwa s[12:13], v19, s25 src0_sel:BYTE_0 src1_sel:DWORD
	s_mov_b64 s[0:1], 0
                                        ; implicit-def: $sgpr18
	s_and_saveexec_b64 s[16:17], s[12:13]
	s_xor_b64 s[12:13], exec, s[16:17]
	s_cbranch_execnz .LBB286_524
; %bb.393:                              ;   in Loop: Header=BB286_307 Depth=1
	s_or_saveexec_b64 s[12:13], s[12:13]
	v_mov_b32_e32 v18, s18
	s_xor_b64 exec, exec, s[12:13]
	s_cbranch_execnz .LBB286_527
.LBB286_394:                            ;   in Loop: Header=BB286_307 Depth=1
	s_or_b64 exec, exec, s[12:13]
	v_mov_b32_e32 v8, v19
	s_and_saveexec_b64 s[12:13], s[0:1]
	s_cbranch_execz .LBB286_396
.LBB286_395:                            ;   in Loop: Header=BB286_307 Depth=1
	v_and_b32_e32 v18, 7, v19
	v_ffbh_u32_e32 v18, v18
	v_bfe_u32 v46, v19, 3, 4
	v_min_u32_e32 v18, 32, v18
	v_subrev_u32_e32 v47, 28, v18
	v_sub_u32_e32 v18, 29, v18
	v_cmp_eq_u32_e64 s[0:1], 0, v46
	s_nop 1
	v_cndmask_b32_e64 v18, v46, v18, s[0:1]
	v_cndmask_b32_e64 v46, 0, v47, s[0:1]
	v_lshlrev_b64 v[46:47], v46, v[8:9]
	v_lshlrev_b32_e32 v47, 8, v19
	v_lshl_add_u32 v18, v18, 10, v29
	v_lshlrev_b32_e32 v46, 7, v46
	v_and_or_b32 v18, v47, s27, v18
	v_and_or_b32 v18, v46, s34, v18
	v_cvt_f32_f16_e32 v18, v18
.LBB286_396:                            ;   in Loop: Header=BB286_307 Depth=1
	s_or_b64 exec, exec, s[12:13]
	v_lshrrev_b16_e32 v8, 8, v8
	v_cmp_lt_i16_e64 s[0:1], s25, v8
	s_mov_b64 s[12:13], 0
                                        ; implicit-def: $sgpr39
	s_and_saveexec_b64 s[16:17], s[0:1]
	s_xor_b64 s[16:17], exec, s[16:17]
	s_cbranch_execnz .LBB286_528
; %bb.397:                              ;   in Loop: Header=BB286_307 Depth=1
	s_or_saveexec_b64 s[16:17], s[16:17]
	v_mov_b32_e32 v46, s39
	s_xor_b64 exec, exec, s[16:17]
	s_cbranch_execnz .LBB286_531
.LBB286_398:                            ;   in Loop: Header=BB286_307 Depth=1
	s_or_b64 exec, exec, s[16:17]
	s_and_saveexec_b64 s[16:17], s[12:13]
	s_cbranch_execz .LBB286_400
.LBB286_399:                            ;   in Loop: Header=BB286_307 Depth=1
	v_and_b32_e32 v48, 7, v8
	v_ffbh_u32_e32 v46, v48
	v_min_u32_e32 v50, 32, v46
	v_subrev_u32_e32 v46, 28, v50
	v_bfe_u32 v49, v8, 3, 4
	v_lshlrev_b64 v[46:47], v46, v[8:9]
	v_sub_u32_e32 v47, 29, v50
	v_cmp_eq_u32_e64 s[0:1], 0, v49
	v_and_b32_e32 v46, 7, v46
	v_lshlrev_b32_e32 v8, 8, v8
	v_cndmask_b32_e64 v47, v49, v47, s[0:1]
	v_lshl_add_u32 v47, v47, 10, v29
	v_cndmask_b32_e64 v46, v48, v46, s[0:1]
	v_and_or_b32 v8, v8, s27, v47
	v_lshl_or_b32 v8, v46, 7, v8
	v_cvt_f32_f16_e32 v46, v8
.LBB286_400:                            ;   in Loop: Header=BB286_307 Depth=1
	s_or_b64 exec, exec, s[16:17]
	v_lshrrev_b32_e32 v8, 16, v19
	v_cmp_gt_i16_sdwa s[12:13], v8, s25 src0_sel:BYTE_0 src1_sel:DWORD
	s_mov_b64 s[0:1], 0
                                        ; implicit-def: $sgpr18
	s_and_saveexec_b64 s[16:17], s[12:13]
	s_xor_b64 s[12:13], exec, s[16:17]
	s_cbranch_execnz .LBB286_532
; %bb.401:                              ;   in Loop: Header=BB286_307 Depth=1
	s_or_saveexec_b64 s[12:13], s[12:13]
	v_mov_b32_e32 v47, s18
	s_xor_b64 exec, exec, s[12:13]
	s_cbranch_execnz .LBB286_535
.LBB286_402:                            ;   in Loop: Header=BB286_307 Depth=1
	s_or_b64 exec, exec, s[12:13]
	s_and_saveexec_b64 s[12:13], s[0:1]
	s_cbranch_execz .LBB286_404
.LBB286_403:                            ;   in Loop: Header=BB286_307 Depth=1
	v_bfe_u32 v47, v19, 16, 3
	v_ffbh_u32_e32 v48, v47
	v_min_u32_e32 v51, 32, v48
	v_subrev_u32_e32 v48, 28, v51
	v_bfe_u32 v50, v19, 19, 4
	v_lshlrev_b64 v[48:49], v48, v[8:9]
	v_sub_u32_e32 v49, 29, v51
	v_cmp_eq_u32_e64 s[0:1], 0, v50
	v_and_b32_e32 v48, 7, v48
	v_lshlrev_b32_e32 v8, 8, v8
	v_cndmask_b32_e64 v49, v50, v49, s[0:1]
	v_cndmask_b32_e64 v47, v47, v48, s[0:1]
	v_lshl_add_u32 v48, v49, 10, v29
	v_and_or_b32 v8, v8, s27, v48
	v_lshl_or_b32 v8, v47, 7, v8
	v_cvt_f32_f16_e32 v47, v8
.LBB286_404:                            ;   in Loop: Header=BB286_307 Depth=1
	s_or_b64 exec, exec, s[12:13]
	v_lshrrev_b32_e32 v8, 24, v19
	v_cmp_lt_i16_e64 s[0:1], s25, v8
	s_mov_b64 s[12:13], 0
                                        ; implicit-def: $sgpr39
	s_and_saveexec_b64 s[16:17], s[0:1]
	s_xor_b64 s[16:17], exec, s[16:17]
	s_cbranch_execnz .LBB286_536
; %bb.405:                              ;   in Loop: Header=BB286_307 Depth=1
	s_or_saveexec_b64 s[16:17], s[16:17]
	v_mov_b32_e32 v48, s39
	s_xor_b64 exec, exec, s[16:17]
	s_cbranch_execnz .LBB286_539
.LBB286_406:                            ;   in Loop: Header=BB286_307 Depth=1
	s_or_b64 exec, exec, s[16:17]
	s_and_saveexec_b64 s[16:17], s[12:13]
	s_cbranch_execz .LBB286_408
.LBB286_407:                            ;   in Loop: Header=BB286_307 Depth=1
	v_bfe_u32 v50, v19, 24, 3
	v_ffbh_u32_e32 v48, v50
	v_min_u32_e32 v51, 32, v48
	v_subrev_u32_e32 v48, 28, v51
	v_bfe_u32 v19, v19, 27, 4
	v_lshlrev_b64 v[48:49], v48, v[8:9]
	v_sub_u32_e32 v49, 29, v51
	v_cmp_eq_u32_e64 s[0:1], 0, v19
	v_and_b32_e32 v48, 7, v48
	v_lshlrev_b32_e32 v8, 8, v8
	v_cndmask_b32_e64 v19, v19, v49, s[0:1]
	v_lshl_add_u32 v19, v19, 10, v29
	v_cndmask_b32_e64 v48, v50, v48, s[0:1]
	v_and_or_b32 v8, v8, s27, v19
	v_lshl_or_b32 v8, v48, 7, v8
	v_cvt_f32_f16_e32 v48, v8
.LBB286_408:                            ;   in Loop: Header=BB286_307 Depth=1
	s_or_b64 exec, exec, s[16:17]
	s_waitcnt vmcnt(0)
	v_pk_mul_f32 v[22:23], v[16:17], v[22:23] op_sel_hi:[0,1]
	v_pk_mul_f32 v[20:21], v[16:17], v[20:21] op_sel_hi:[0,1]
	v_cvt_f16_f32_e32 v8, v23
	v_cvt_f16_f32_e32 v19, v22
	v_cvt_f16_f32_e32 v21, v21
	v_cvt_f16_f32_e32 v20, v20
	v_fma_mixlo_f16 v18, v16, v18, 0
	v_pack_b32_f16 v19, v19, v8
	v_pack_b32_f16 v20, v20, v21
	v_perm_b32 v8, v20, v19, s36
	v_perm_b32 v19, v20, v19, s37
	v_fma_mixlo_f16 v20, v16, v46, 0
	v_lshlrev_b32_e32 v20, 16, v20
	v_or_b32_sdwa v18, v20, v18 dst_sel:DWORD dst_unused:UNUSED_PAD src0_sel:DWORD src1_sel:WORD_0
	v_fma_mixlo_f16 v20, v16, v47, 0
	v_fma_mixlo_f16 v16, v16, v48, 0
	v_lshlrev_b32_e32 v16, 16, v16
	v_or_b32_sdwa v16, v16, v20 dst_sel:DWORD dst_unused:UNUSED_PAD src0_sel:DWORD src1_sel:WORD_0
	s_and_saveexec_b64 s[12:13], vcc
	s_cbranch_execz .LBB286_410
; %bb.409:                              ;   in Loop: Header=BB286_307 Depth=1
	v_lshrrev_b32_e32 v21, 16, v19
	v_cmp_gt_i32_e64 s[0:1], s22, v37
	v_lshrrev_b32_e32 v16, 16, v16
	s_nop 0
	v_cndmask_b32_e64 v21, 0, v21, s[0:1]
	v_cmp_gt_i32_e64 s[0:1], s33, v32
	s_nop 1
	v_cndmask_b32_e64 v19, 0, v19, s[0:1]
	v_perm_b32 v19, v21, v19, s38
	v_lshrrev_b32_e32 v21, 16, v8
	v_cmp_gt_i32_e64 s[0:1], s22, v36
	s_nop 1
	v_cndmask_b32_e64 v21, 0, v21, s[0:1]
	v_cmp_gt_i32_e64 s[0:1], s33, v35
	s_nop 1
	v_cndmask_b32_e64 v8, 0, v8, s[0:1]
	v_perm_b32 v8, v21, v8, s38
	v_lshrrev_b32_e32 v21, 16, v18
	v_cmp_gt_i32_e64 s[0:1], s22, v34
	s_nop 1
	v_cndmask_b32_e64 v21, 0, v21, s[0:1]
	v_cmp_gt_i32_e64 s[0:1], s33, v33
	s_nop 1
	v_cndmask_b32_e64 v18, 0, v18, s[0:1]
	v_cmp_gt_i32_e64 s[0:1], s22, v31
	v_perm_b32 v18, v21, v18, s38
	s_nop 0
	v_cndmask_b32_e64 v16, 0, v16, s[0:1]
	v_cmp_gt_i32_e64 s[0:1], s33, v30
	s_nop 1
	v_cndmask_b32_e64 v20, 0, v20, s[0:1]
	v_perm_b32 v16, v16, v20, s38
.LBB286_410:                            ;   in Loop: Header=BB286_307 Depth=1
	s_or_b64 exec, exec, s[12:13]
	;;#ASMSTART
	v_pk_mul_f16 v19, v41, v19;

	;;#ASMEND
	;;#ASMSTART
	v_pk_mul_f16 v8, v40, v8;

	;;#ASMEND
	;; [unrolled: 4-line block ×4, first 2 shown]
	s_mov_b64 s[0:1], 0
	;;#ASMSTART
	v_pk_add_f16 v8, v19, v8;

	;;#ASMEND
                                        ; implicit-def: $sgpr18
	s_nop 0
	;;#ASMSTART
	v_pk_add_f16 v8, v8, v18;

	;;#ASMEND
	s_nop 0
	;;#ASMSTART
	v_pk_add_f16 v8, v8, v16;

	;;#ASMEND
	s_nop 0
	v_lshrrev_b32_e32 v16, 16, v8
	v_and_b32_e32 v8, 0xffff, v8
	;;#ASMSTART
	v_cvt_f32_f16 v22, v8;
	;;#ASMEND
	;;#ASMSTART
	v_cvt_f32_f16 v23, v16;
	;;#ASMEND
	global_load_dwordx2 v[18:19], v[14:15], off offset:1536
	global_load_dword v16, v9, s[14:15]
	s_waitcnt vmcnt(1)
	v_cmp_gt_i16_sdwa s[12:13], v18, s25 src0_sel:BYTE_0 src1_sel:DWORD
	s_and_saveexec_b64 s[16:17], s[12:13]
	s_xor_b64 s[12:13], exec, s[16:17]
	s_cbranch_execnz .LBB286_540
; %bb.411:                              ;   in Loop: Header=BB286_307 Depth=1
	s_or_saveexec_b64 s[12:13], s[12:13]
	v_mov_b32_e32 v14, s18
	s_xor_b64 exec, exec, s[12:13]
	s_cbranch_execnz .LBB286_543
.LBB286_412:                            ;   in Loop: Header=BB286_307 Depth=1
	s_or_b64 exec, exec, s[12:13]
	s_and_saveexec_b64 s[12:13], s[0:1]
	s_cbranch_execz .LBB286_414
.LBB286_413:                            ;   in Loop: Header=BB286_307 Depth=1
	v_and_b32_e32 v8, 7, v18
	v_ffbh_u32_e32 v8, v8
	v_bfe_u32 v14, v18, 3, 4
	v_min_u32_e32 v8, 32, v8
	v_subrev_u32_e32 v15, 28, v8
	v_sub_u32_e32 v8, 29, v8
	v_cmp_eq_u32_e64 s[0:1], 0, v14
	s_nop 1
	v_cndmask_b32_e64 v8, v14, v8, s[0:1]
	v_cndmask_b32_e64 v14, 0, v15, s[0:1]
	v_lshlrev_b64 v[14:15], v14, v[18:19]
	v_lshlrev_b32_e32 v15, 8, v18
	v_lshl_add_u32 v8, v8, 10, v29
	v_lshlrev_b32_e32 v14, 7, v14
	v_and_or_b32 v8, v15, s27, v8
	v_and_or_b32 v8, v14, s34, v8
	v_cvt_f32_f16_e32 v14, v8
.LBB286_414:                            ;   in Loop: Header=BB286_307 Depth=1
	s_or_b64 exec, exec, s[12:13]
	v_lshrrev_b16_e32 v8, 8, v18
	v_cmp_lt_i16_e64 s[0:1], s25, v8
	s_mov_b64 s[12:13], 0
                                        ; implicit-def: $sgpr39
	s_and_saveexec_b64 s[16:17], s[0:1]
	s_xor_b64 s[16:17], exec, s[16:17]
	s_cbranch_execnz .LBB286_544
; %bb.415:                              ;   in Loop: Header=BB286_307 Depth=1
	s_or_saveexec_b64 s[16:17], s[16:17]
	v_mov_b32_e32 v20, s39
	s_xor_b64 exec, exec, s[16:17]
	s_cbranch_execnz .LBB286_547
.LBB286_416:                            ;   in Loop: Header=BB286_307 Depth=1
	s_or_b64 exec, exec, s[16:17]
	s_and_saveexec_b64 s[16:17], s[12:13]
	s_cbranch_execz .LBB286_418
.LBB286_417:                            ;   in Loop: Header=BB286_307 Depth=1
	v_and_b32_e32 v15, 7, v8
	v_ffbh_u32_e32 v20, v15
	v_min_u32_e32 v47, 32, v20
	v_subrev_u32_e32 v20, 28, v47
	v_bfe_u32 v46, v8, 3, 4
	v_lshlrev_b64 v[20:21], v20, v[8:9]
	v_sub_u32_e32 v21, 29, v47
	v_cmp_eq_u32_e64 s[0:1], 0, v46
	v_and_b32_e32 v20, 7, v20
	v_lshlrev_b32_e32 v8, 8, v8
	v_cndmask_b32_e64 v21, v46, v21, s[0:1]
	v_cndmask_b32_e64 v15, v15, v20, s[0:1]
	v_lshl_add_u32 v20, v21, 10, v29
	v_and_or_b32 v8, v8, s27, v20
	v_lshl_or_b32 v8, v15, 7, v8
	v_cvt_f32_f16_e32 v20, v8
.LBB286_418:                            ;   in Loop: Header=BB286_307 Depth=1
	s_or_b64 exec, exec, s[16:17]
	v_lshrrev_b32_e32 v8, 16, v18
	v_cmp_gt_i16_sdwa s[12:13], v8, s25 src0_sel:BYTE_0 src1_sel:DWORD
	s_mov_b64 s[0:1], 0
                                        ; implicit-def: $sgpr18
	s_and_saveexec_b64 s[16:17], s[12:13]
	s_xor_b64 s[12:13], exec, s[16:17]
	s_cbranch_execnz .LBB286_548
; %bb.419:                              ;   in Loop: Header=BB286_307 Depth=1
	s_or_saveexec_b64 s[12:13], s[12:13]
	v_mov_b32_e32 v15, s18
	s_xor_b64 exec, exec, s[12:13]
	s_cbranch_execnz .LBB286_551
.LBB286_420:                            ;   in Loop: Header=BB286_307 Depth=1
	s_or_b64 exec, exec, s[12:13]
	s_and_saveexec_b64 s[12:13], s[0:1]
	s_cbranch_execz .LBB286_422
.LBB286_421:                            ;   in Loop: Header=BB286_307 Depth=1
	v_bfe_u32 v15, v18, 16, 3
	v_ffbh_u32_e32 v46, v15
	v_min_u32_e32 v48, 32, v46
	v_subrev_u32_e32 v46, 28, v48
	v_bfe_u32 v21, v18, 19, 4
	v_lshlrev_b64 v[46:47], v46, v[8:9]
	v_sub_u32_e32 v47, 29, v48
	v_cmp_eq_u32_e64 s[0:1], 0, v21
	v_and_b32_e32 v46, 7, v46
	v_lshlrev_b32_e32 v8, 8, v8
	v_cndmask_b32_e64 v21, v21, v47, s[0:1]
	v_lshl_add_u32 v21, v21, 10, v29
	v_cndmask_b32_e64 v15, v15, v46, s[0:1]
	v_and_or_b32 v8, v8, s27, v21
	v_lshl_or_b32 v8, v15, 7, v8
	v_cvt_f32_f16_e32 v15, v8
.LBB286_422:                            ;   in Loop: Header=BB286_307 Depth=1
	s_or_b64 exec, exec, s[12:13]
	v_lshrrev_b32_e32 v8, 24, v18
	v_cmp_lt_i16_e64 s[0:1], s25, v8
	s_mov_b64 s[12:13], 0
                                        ; implicit-def: $sgpr39
	s_and_saveexec_b64 s[16:17], s[0:1]
	s_xor_b64 s[16:17], exec, s[16:17]
	s_cbranch_execnz .LBB286_552
; %bb.423:                              ;   in Loop: Header=BB286_307 Depth=1
	s_or_saveexec_b64 s[16:17], s[16:17]
	v_mov_b32_e32 v21, s39
	s_xor_b64 exec, exec, s[16:17]
	s_cbranch_execnz .LBB286_555
.LBB286_424:                            ;   in Loop: Header=BB286_307 Depth=1
	s_or_b64 exec, exec, s[16:17]
	s_and_saveexec_b64 s[16:17], s[12:13]
	s_cbranch_execz .LBB286_426
.LBB286_425:                            ;   in Loop: Header=BB286_307 Depth=1
	v_bfe_u32 v21, v18, 24, 3
	v_ffbh_u32_e32 v46, v21
	v_min_u32_e32 v48, 32, v46
	v_subrev_u32_e32 v46, 28, v48
	v_bfe_u32 v18, v18, 27, 4
	v_lshlrev_b64 v[46:47], v46, v[8:9]
	v_sub_u32_e32 v47, 29, v48
	v_cmp_eq_u32_e64 s[0:1], 0, v18
	v_and_b32_e32 v46, 7, v46
	v_lshlrev_b32_e32 v8, 8, v8
	v_cndmask_b32_e64 v18, v18, v47, s[0:1]
	v_lshl_add_u32 v18, v18, 10, v29
	v_cndmask_b32_e64 v21, v21, v46, s[0:1]
	v_and_or_b32 v8, v8, s27, v18
	v_lshl_or_b32 v8, v21, 7, v8
	v_cvt_f32_f16_e32 v21, v8
.LBB286_426:                            ;   in Loop: Header=BB286_307 Depth=1
	s_or_b64 exec, exec, s[16:17]
	v_cmp_gt_i16_sdwa s[12:13], v19, s25 src0_sel:BYTE_0 src1_sel:DWORD
	s_mov_b64 s[0:1], 0
                                        ; implicit-def: $sgpr18
	s_and_saveexec_b64 s[16:17], s[12:13]
	s_xor_b64 s[12:13], exec, s[16:17]
	s_cbranch_execnz .LBB286_556
; %bb.427:                              ;   in Loop: Header=BB286_307 Depth=1
	s_or_saveexec_b64 s[12:13], s[12:13]
	v_mov_b32_e32 v18, s18
	s_xor_b64 exec, exec, s[12:13]
	s_cbranch_execnz .LBB286_559
.LBB286_428:                            ;   in Loop: Header=BB286_307 Depth=1
	s_or_b64 exec, exec, s[12:13]
	v_mov_b32_e32 v8, v19
	s_and_saveexec_b64 s[12:13], s[0:1]
	s_cbranch_execz .LBB286_430
.LBB286_429:                            ;   in Loop: Header=BB286_307 Depth=1
	v_and_b32_e32 v18, 7, v19
	v_ffbh_u32_e32 v18, v18
	v_bfe_u32 v46, v19, 3, 4
	v_min_u32_e32 v18, 32, v18
	v_subrev_u32_e32 v47, 28, v18
	v_sub_u32_e32 v18, 29, v18
	v_cmp_eq_u32_e64 s[0:1], 0, v46
	s_nop 1
	v_cndmask_b32_e64 v18, v46, v18, s[0:1]
	v_cndmask_b32_e64 v46, 0, v47, s[0:1]
	v_lshlrev_b64 v[46:47], v46, v[8:9]
	v_lshlrev_b32_e32 v47, 8, v19
	v_lshl_add_u32 v18, v18, 10, v29
	v_lshlrev_b32_e32 v46, 7, v46
	v_and_or_b32 v18, v47, s27, v18
	v_and_or_b32 v18, v46, s34, v18
	v_cvt_f32_f16_e32 v18, v18
.LBB286_430:                            ;   in Loop: Header=BB286_307 Depth=1
	s_or_b64 exec, exec, s[12:13]
	v_lshrrev_b16_e32 v8, 8, v8
	v_cmp_lt_i16_e64 s[0:1], s25, v8
	s_mov_b64 s[12:13], 0
                                        ; implicit-def: $sgpr39
	s_and_saveexec_b64 s[16:17], s[0:1]
	s_xor_b64 s[16:17], exec, s[16:17]
	s_cbranch_execnz .LBB286_560
; %bb.431:                              ;   in Loop: Header=BB286_307 Depth=1
	s_or_saveexec_b64 s[16:17], s[16:17]
	v_mov_b32_e32 v46, s39
	s_xor_b64 exec, exec, s[16:17]
	s_cbranch_execnz .LBB286_563
.LBB286_432:                            ;   in Loop: Header=BB286_307 Depth=1
	s_or_b64 exec, exec, s[16:17]
	s_and_saveexec_b64 s[16:17], s[12:13]
	s_cbranch_execz .LBB286_434
.LBB286_433:                            ;   in Loop: Header=BB286_307 Depth=1
	v_and_b32_e32 v48, 7, v8
	v_ffbh_u32_e32 v46, v48
	v_min_u32_e32 v50, 32, v46
	v_subrev_u32_e32 v46, 28, v50
	v_bfe_u32 v49, v8, 3, 4
	v_lshlrev_b64 v[46:47], v46, v[8:9]
	v_sub_u32_e32 v47, 29, v50
	v_cmp_eq_u32_e64 s[0:1], 0, v49
	v_and_b32_e32 v46, 7, v46
	v_lshlrev_b32_e32 v8, 8, v8
	v_cndmask_b32_e64 v47, v49, v47, s[0:1]
	v_lshl_add_u32 v47, v47, 10, v29
	v_cndmask_b32_e64 v46, v48, v46, s[0:1]
	v_and_or_b32 v8, v8, s27, v47
	v_lshl_or_b32 v8, v46, 7, v8
	v_cvt_f32_f16_e32 v46, v8
.LBB286_434:                            ;   in Loop: Header=BB286_307 Depth=1
	s_or_b64 exec, exec, s[16:17]
	v_lshrrev_b32_e32 v8, 16, v19
	v_cmp_gt_i16_sdwa s[12:13], v8, s25 src0_sel:BYTE_0 src1_sel:DWORD
	s_mov_b64 s[0:1], 0
                                        ; implicit-def: $sgpr18
	s_and_saveexec_b64 s[16:17], s[12:13]
	s_xor_b64 s[12:13], exec, s[16:17]
	s_cbranch_execnz .LBB286_564
; %bb.435:                              ;   in Loop: Header=BB286_307 Depth=1
	s_or_saveexec_b64 s[12:13], s[12:13]
	v_mov_b32_e32 v47, s18
	s_xor_b64 exec, exec, s[12:13]
	s_cbranch_execnz .LBB286_567
.LBB286_436:                            ;   in Loop: Header=BB286_307 Depth=1
	s_or_b64 exec, exec, s[12:13]
	s_and_saveexec_b64 s[12:13], s[0:1]
	s_cbranch_execz .LBB286_438
.LBB286_437:                            ;   in Loop: Header=BB286_307 Depth=1
	v_bfe_u32 v47, v19, 16, 3
	v_ffbh_u32_e32 v48, v47
	v_min_u32_e32 v51, 32, v48
	v_subrev_u32_e32 v48, 28, v51
	v_bfe_u32 v50, v19, 19, 4
	v_lshlrev_b64 v[48:49], v48, v[8:9]
	v_sub_u32_e32 v49, 29, v51
	v_cmp_eq_u32_e64 s[0:1], 0, v50
	v_and_b32_e32 v48, 7, v48
	v_lshlrev_b32_e32 v8, 8, v8
	v_cndmask_b32_e64 v49, v50, v49, s[0:1]
	v_cndmask_b32_e64 v47, v47, v48, s[0:1]
	v_lshl_add_u32 v48, v49, 10, v29
	v_and_or_b32 v8, v8, s27, v48
	v_lshl_or_b32 v8, v47, 7, v8
	v_cvt_f32_f16_e32 v47, v8
.LBB286_438:                            ;   in Loop: Header=BB286_307 Depth=1
	s_or_b64 exec, exec, s[12:13]
	v_lshrrev_b32_e32 v8, 24, v19
	v_cmp_lt_i16_e64 s[0:1], s25, v8
	s_mov_b64 s[12:13], 0
                                        ; implicit-def: $sgpr39
	s_and_saveexec_b64 s[16:17], s[0:1]
	s_xor_b64 s[16:17], exec, s[16:17]
	s_cbranch_execnz .LBB286_568
; %bb.439:                              ;   in Loop: Header=BB286_307 Depth=1
	s_or_saveexec_b64 s[16:17], s[16:17]
	v_mov_b32_e32 v48, s39
	s_xor_b64 exec, exec, s[16:17]
	s_cbranch_execnz .LBB286_571
.LBB286_440:                            ;   in Loop: Header=BB286_307 Depth=1
	s_or_b64 exec, exec, s[16:17]
	s_and_saveexec_b64 s[16:17], s[12:13]
	s_cbranch_execz .LBB286_442
.LBB286_441:                            ;   in Loop: Header=BB286_307 Depth=1
	v_bfe_u32 v50, v19, 24, 3
	v_ffbh_u32_e32 v48, v50
	v_min_u32_e32 v51, 32, v48
	v_subrev_u32_e32 v48, 28, v51
	v_bfe_u32 v19, v19, 27, 4
	v_lshlrev_b64 v[48:49], v48, v[8:9]
	v_sub_u32_e32 v49, 29, v51
	v_cmp_eq_u32_e64 s[0:1], 0, v19
	v_and_b32_e32 v48, 7, v48
	v_lshlrev_b32_e32 v8, 8, v8
	v_cndmask_b32_e64 v19, v19, v49, s[0:1]
	v_lshl_add_u32 v19, v19, 10, v29
	v_cndmask_b32_e64 v48, v50, v48, s[0:1]
	v_and_or_b32 v8, v8, s27, v19
	v_lshl_or_b32 v8, v48, 7, v8
	v_cvt_f32_f16_e32 v48, v8
.LBB286_442:                            ;   in Loop: Header=BB286_307 Depth=1
	s_or_b64 exec, exec, s[16:17]
	s_waitcnt vmcnt(0)
	v_pk_mul_f32 v[20:21], v[16:17], v[20:21] op_sel_hi:[0,1]
	v_pk_mul_f32 v[14:15], v[16:17], v[14:15] op_sel_hi:[0,1]
	v_cvt_f16_f32_e32 v8, v21
	v_cvt_f16_f32_e32 v19, v20
	;; [unrolled: 1-line block ×4, first 2 shown]
	v_fma_mixlo_f16 v18, v16, v18, 0
	v_pack_b32_f16 v19, v19, v8
	v_pack_b32_f16 v14, v14, v15
	v_perm_b32 v8, v14, v19, s36
	v_perm_b32 v15, v14, v19, s37
	v_fma_mixlo_f16 v14, v16, v46, 0
	v_lshlrev_b32_e32 v14, 16, v14
	v_or_b32_sdwa v14, v14, v18 dst_sel:DWORD dst_unused:UNUSED_PAD src0_sel:DWORD src1_sel:WORD_0
	v_fma_mixlo_f16 v18, v16, v47, 0
	v_fma_mixlo_f16 v16, v16, v48, 0
	v_lshlrev_b32_e32 v16, 16, v16
	v_or_b32_sdwa v16, v16, v18 dst_sel:DWORD dst_unused:UNUSED_PAD src0_sel:DWORD src1_sel:WORD_0
	s_and_saveexec_b64 s[0:1], vcc
	s_cbranch_execz .LBB286_305
; %bb.443:                              ;   in Loop: Header=BB286_307 Depth=1
	v_lshrrev_b32_e32 v19, 16, v15
	v_cmp_gt_i32_e32 vcc, s22, v37
	v_lshrrev_b32_e32 v16, 16, v16
	s_nop 0
	v_cndmask_b32_e32 v19, 0, v19, vcc
	v_cmp_gt_i32_e32 vcc, s33, v32
	s_nop 1
	v_cndmask_b32_e32 v15, 0, v15, vcc
	v_perm_b32 v15, v19, v15, s38
	v_lshrrev_b32_e32 v19, 16, v8
	v_cmp_gt_i32_e32 vcc, s22, v36
	s_nop 1
	v_cndmask_b32_e32 v19, 0, v19, vcc
	v_cmp_gt_i32_e32 vcc, s33, v35
	s_nop 1
	v_cndmask_b32_e32 v8, 0, v8, vcc
	v_perm_b32 v8, v19, v8, s38
	v_lshrrev_b32_e32 v19, 16, v14
	v_cmp_gt_i32_e32 vcc, s22, v34
	s_nop 1
	v_cndmask_b32_e32 v19, 0, v19, vcc
	v_cmp_gt_i32_e32 vcc, s33, v33
	s_nop 1
	v_cndmask_b32_e32 v14, 0, v14, vcc
	v_cmp_gt_i32_e32 vcc, s22, v31
	v_perm_b32 v14, v19, v14, s38
	s_nop 0
	v_cndmask_b32_e32 v16, 0, v16, vcc
	v_cmp_gt_i32_e32 vcc, s33, v30
	s_nop 1
	v_cndmask_b32_e32 v18, 0, v18, vcc
	v_perm_b32 v16, v16, v18, s38
	s_branch .LBB286_305
.LBB286_444:                            ;   in Loop: Header=BB286_307 Depth=1
	v_cmp_eq_u16_sdwa s[40:41], v18, s26 src0_sel:BYTE_0 src1_sel:DWORD
	s_mov_b64 s[0:1], -1
                                        ; implicit-def: $sgpr18
	s_and_saveexec_b64 s[16:17], s[40:41]
; %bb.445:                              ;   in Loop: Header=BB286_307 Depth=1
	s_mov_b32 s18, 0x7fc02000
	s_xor_b64 s[0:1], exec, -1
; %bb.446:                              ;   in Loop: Header=BB286_307 Depth=1
	s_or_b64 exec, exec, s[16:17]
	s_and_b64 s[0:1], s[0:1], exec
	s_or_saveexec_b64 s[12:13], s[12:13]
	v_mov_b32_e32 v20, s18
	s_xor_b64 exec, exec, s[12:13]
	s_cbranch_execz .LBB286_310
.LBB286_447:                            ;   in Loop: Header=BB286_307 Depth=1
	v_cmp_ne_u16_sdwa s[16:17], v18, v9 src0_sel:BYTE_0 src1_sel:DWORD
	s_andn2_b64 s[0:1], s[0:1], exec
	s_and_b64 s[16:17], s[16:17], exec
	v_mov_b32_e32 v20, 0
	s_or_b64 s[0:1], s[0:1], s[16:17]
	s_or_b64 exec, exec, s[12:13]
	s_and_saveexec_b64 s[12:13], s[0:1]
	s_cbranch_execnz .LBB286_311
	s_branch .LBB286_312
.LBB286_448:                            ;   in Loop: Header=BB286_307 Depth=1
	v_cmp_eq_u16_e32 vcc, s26, v8
	s_mov_b64 s[0:1], -1
                                        ; implicit-def: $sgpr18
	s_and_saveexec_b64 s[16:17], vcc
; %bb.449:                              ;   in Loop: Header=BB286_307 Depth=1
	s_mov_b32 s18, 0x7fc02000
	s_xor_b64 s[0:1], exec, -1
; %bb.450:                              ;   in Loop: Header=BB286_307 Depth=1
	s_or_b64 exec, exec, s[16:17]
	s_and_b64 s[0:1], s[0:1], exec
	s_or_saveexec_b64 s[12:13], s[12:13]
	v_mov_b32_e32 v22, s18
	s_xor_b64 exec, exec, s[12:13]
	s_cbranch_execz .LBB286_314
.LBB286_451:                            ;   in Loop: Header=BB286_307 Depth=1
	v_cmp_ne_u16_e32 vcc, 0, v8
	s_andn2_b64 s[0:1], s[0:1], exec
	s_and_b64 s[16:17], vcc, exec
	v_mov_b32_e32 v22, 0
	s_or_b64 s[0:1], s[0:1], s[16:17]
	s_or_b64 exec, exec, s[12:13]
	s_and_saveexec_b64 s[12:13], s[0:1]
	s_cbranch_execnz .LBB286_315
	s_branch .LBB286_316
.LBB286_452:                            ;   in Loop: Header=BB286_307 Depth=1
	v_cmp_eq_u16_sdwa s[40:41], v8, s26 src0_sel:BYTE_0 src1_sel:DWORD
	s_mov_b64 s[0:1], -1
                                        ; implicit-def: $sgpr18
	s_and_saveexec_b64 s[16:17], s[40:41]
; %bb.453:                              ;   in Loop: Header=BB286_307 Depth=1
	s_mov_b32 s18, 0x7fc02000
	s_xor_b64 s[0:1], exec, -1
; %bb.454:                              ;   in Loop: Header=BB286_307 Depth=1
	s_or_b64 exec, exec, s[16:17]
	s_and_b64 s[0:1], s[0:1], exec
	s_or_saveexec_b64 s[12:13], s[12:13]
	v_mov_b32_e32 v21, s18
	s_xor_b64 exec, exec, s[12:13]
	s_cbranch_execz .LBB286_318
.LBB286_455:                            ;   in Loop: Header=BB286_307 Depth=1
	v_cmp_ne_u16_sdwa s[16:17], v8, v9 src0_sel:BYTE_0 src1_sel:DWORD
	s_andn2_b64 s[0:1], s[0:1], exec
	s_and_b64 s[16:17], s[16:17], exec
	v_mov_b32_e32 v21, 0
	s_or_b64 s[0:1], s[0:1], s[16:17]
	s_or_b64 exec, exec, s[12:13]
	s_and_saveexec_b64 s[12:13], s[0:1]
	s_cbranch_execnz .LBB286_319
	s_branch .LBB286_320
.LBB286_456:                            ;   in Loop: Header=BB286_307 Depth=1
	v_cmp_eq_u16_e32 vcc, s26, v8
	s_mov_b64 s[0:1], -1
                                        ; implicit-def: $sgpr18
	s_and_saveexec_b64 s[16:17], vcc
; %bb.457:                              ;   in Loop: Header=BB286_307 Depth=1
	s_mov_b32 s18, 0x7fc02000
	s_xor_b64 s[0:1], exec, -1
; %bb.458:                              ;   in Loop: Header=BB286_307 Depth=1
	s_or_b64 exec, exec, s[16:17]
	s_and_b64 s[0:1], s[0:1], exec
	s_or_saveexec_b64 s[12:13], s[12:13]
	v_mov_b32_e32 v23, s18
	s_xor_b64 exec, exec, s[12:13]
	s_cbranch_execz .LBB286_322
.LBB286_459:                            ;   in Loop: Header=BB286_307 Depth=1
	v_cmp_ne_u16_e32 vcc, 0, v8
	s_andn2_b64 s[0:1], s[0:1], exec
	s_and_b64 s[16:17], vcc, exec
	v_mov_b32_e32 v23, 0
	s_or_b64 s[0:1], s[0:1], s[16:17]
	s_or_b64 exec, exec, s[12:13]
	s_and_saveexec_b64 s[12:13], s[0:1]
	s_cbranch_execnz .LBB286_323
	s_branch .LBB286_324
.LBB286_460:                            ;   in Loop: Header=BB286_307 Depth=1
	v_cmp_eq_u16_sdwa s[40:41], v19, s26 src0_sel:BYTE_0 src1_sel:DWORD
	s_mov_b64 s[0:1], -1
                                        ; implicit-def: $sgpr18
	s_and_saveexec_b64 s[16:17], s[40:41]
; %bb.461:                              ;   in Loop: Header=BB286_307 Depth=1
	s_mov_b32 s18, 0x7fc02000
	s_xor_b64 s[0:1], exec, -1
; %bb.462:                              ;   in Loop: Header=BB286_307 Depth=1
	s_or_b64 exec, exec, s[16:17]
	s_and_b64 s[0:1], s[0:1], exec
	s_or_saveexec_b64 s[12:13], s[12:13]
	v_mov_b32_e32 v18, s18
	s_xor_b64 exec, exec, s[12:13]
	s_cbranch_execz .LBB286_326
.LBB286_463:                            ;   in Loop: Header=BB286_307 Depth=1
	v_cmp_ne_u16_sdwa s[16:17], v19, v9 src0_sel:BYTE_0 src1_sel:DWORD
	s_andn2_b64 s[0:1], s[0:1], exec
	s_and_b64 s[16:17], s[16:17], exec
	v_mov_b32_e32 v18, 0
	s_or_b64 s[0:1], s[0:1], s[16:17]
	s_or_b64 exec, exec, s[12:13]
	v_mov_b32_e32 v8, v19
	s_and_saveexec_b64 s[12:13], s[0:1]
	s_cbranch_execnz .LBB286_327
	s_branch .LBB286_328
.LBB286_464:                            ;   in Loop: Header=BB286_307 Depth=1
	v_cmp_eq_u16_e32 vcc, s26, v8
	s_mov_b64 s[0:1], -1
                                        ; implicit-def: $sgpr18
	s_and_saveexec_b64 s[16:17], vcc
; %bb.465:                              ;   in Loop: Header=BB286_307 Depth=1
	s_mov_b32 s18, 0x7fc02000
	s_xor_b64 s[0:1], exec, -1
; %bb.466:                              ;   in Loop: Header=BB286_307 Depth=1
	s_or_b64 exec, exec, s[16:17]
	s_and_b64 s[0:1], s[0:1], exec
	s_or_saveexec_b64 s[12:13], s[12:13]
	v_mov_b32_e32 v30, s18
	s_xor_b64 exec, exec, s[12:13]
	s_cbranch_execz .LBB286_330
.LBB286_467:                            ;   in Loop: Header=BB286_307 Depth=1
	v_cmp_ne_u16_e32 vcc, 0, v8
	s_andn2_b64 s[0:1], s[0:1], exec
	s_and_b64 s[16:17], vcc, exec
	v_mov_b32_e32 v30, 0
	s_or_b64 s[0:1], s[0:1], s[16:17]
	s_or_b64 exec, exec, s[12:13]
	s_and_saveexec_b64 s[12:13], s[0:1]
	s_cbranch_execnz .LBB286_331
	s_branch .LBB286_332
.LBB286_468:                            ;   in Loop: Header=BB286_307 Depth=1
	v_cmp_eq_u16_sdwa s[40:41], v8, s26 src0_sel:BYTE_0 src1_sel:DWORD
	s_mov_b64 s[0:1], -1
                                        ; implicit-def: $sgpr18
	s_and_saveexec_b64 s[16:17], s[40:41]
; %bb.469:                              ;   in Loop: Header=BB286_307 Depth=1
	s_mov_b32 s18, 0x7fc02000
	s_xor_b64 s[0:1], exec, -1
; %bb.470:                              ;   in Loop: Header=BB286_307 Depth=1
	s_or_b64 exec, exec, s[16:17]
	s_and_b64 s[0:1], s[0:1], exec
	s_or_saveexec_b64 s[12:13], s[12:13]
	v_mov_b32_e32 v31, s18
	s_xor_b64 exec, exec, s[12:13]
	s_cbranch_execz .LBB286_334
.LBB286_471:                            ;   in Loop: Header=BB286_307 Depth=1
	v_cmp_ne_u16_sdwa s[16:17], v8, v9 src0_sel:BYTE_0 src1_sel:DWORD
	s_andn2_b64 s[0:1], s[0:1], exec
	s_and_b64 s[16:17], s[16:17], exec
	v_mov_b32_e32 v31, 0
	s_or_b64 s[0:1], s[0:1], s[16:17]
	s_or_b64 exec, exec, s[12:13]
	s_and_saveexec_b64 s[12:13], s[0:1]
	s_cbranch_execnz .LBB286_335
	s_branch .LBB286_336
.LBB286_472:                            ;   in Loop: Header=BB286_307 Depth=1
	v_cmp_eq_u16_e32 vcc, s26, v8
	s_mov_b64 s[0:1], -1
                                        ; implicit-def: $sgpr18
	s_and_saveexec_b64 s[16:17], vcc
; %bb.473:                              ;   in Loop: Header=BB286_307 Depth=1
	s_mov_b32 s18, 0x7fc02000
	s_xor_b64 s[0:1], exec, -1
; %bb.474:                              ;   in Loop: Header=BB286_307 Depth=1
	s_or_b64 exec, exec, s[16:17]
	s_and_b64 s[0:1], s[0:1], exec
	s_or_saveexec_b64 s[12:13], s[12:13]
	v_mov_b32_e32 v33, s18
	s_xor_b64 exec, exec, s[12:13]
	s_cbranch_execz .LBB286_338
.LBB286_475:                            ;   in Loop: Header=BB286_307 Depth=1
	v_cmp_ne_u16_e32 vcc, 0, v8
	s_andn2_b64 s[0:1], s[0:1], exec
	s_and_b64 s[16:17], vcc, exec
	v_mov_b32_e32 v33, 0
	s_or_b64 s[0:1], s[0:1], s[16:17]
	s_or_b64 exec, exec, s[12:13]
	s_and_saveexec_b64 s[12:13], s[0:1]
	s_cbranch_execnz .LBB286_339
	s_branch .LBB286_340
.LBB286_476:                            ;   in Loop: Header=BB286_307 Depth=1
	v_cmp_eq_u16_sdwa s[40:41], v18, s26 src0_sel:BYTE_0 src1_sel:DWORD
	s_mov_b64 s[0:1], -1
                                        ; implicit-def: $sgpr18
	s_and_saveexec_b64 s[16:17], s[40:41]
; %bb.477:                              ;   in Loop: Header=BB286_307 Depth=1
	s_mov_b32 s18, 0x7fc02000
	s_xor_b64 s[0:1], exec, -1
; %bb.478:                              ;   in Loop: Header=BB286_307 Depth=1
	s_or_b64 exec, exec, s[16:17]
	s_and_b64 s[0:1], s[0:1], exec
	s_or_saveexec_b64 s[12:13], s[12:13]
	v_mov_b32_e32 v20, s18
	s_xor_b64 exec, exec, s[12:13]
	s_cbranch_execz .LBB286_344
.LBB286_479:                            ;   in Loop: Header=BB286_307 Depth=1
	v_cmp_ne_u16_sdwa s[16:17], v18, v9 src0_sel:BYTE_0 src1_sel:DWORD
	s_andn2_b64 s[0:1], s[0:1], exec
	s_and_b64 s[16:17], s[16:17], exec
	v_mov_b32_e32 v20, 0
	s_or_b64 s[0:1], s[0:1], s[16:17]
	s_or_b64 exec, exec, s[12:13]
	s_and_saveexec_b64 s[12:13], s[0:1]
	s_cbranch_execnz .LBB286_345
	s_branch .LBB286_346
.LBB286_480:                            ;   in Loop: Header=BB286_307 Depth=1
	v_cmp_eq_u16_e64 s[0:1], s26, v8
	s_mov_b64 s[12:13], -1
                                        ; implicit-def: $sgpr39
	s_and_saveexec_b64 s[18:19], s[0:1]
; %bb.481:                              ;   in Loop: Header=BB286_307 Depth=1
	s_mov_b32 s39, 0x7fc02000
	s_xor_b64 s[12:13], exec, -1
; %bb.482:                              ;   in Loop: Header=BB286_307 Depth=1
	s_or_b64 exec, exec, s[18:19]
	s_and_b64 s[12:13], s[12:13], exec
	s_or_saveexec_b64 s[16:17], s[16:17]
	v_mov_b32_e32 v22, s39
	s_xor_b64 exec, exec, s[16:17]
	s_cbranch_execz .LBB286_348
.LBB286_483:                            ;   in Loop: Header=BB286_307 Depth=1
	v_cmp_ne_u16_e64 s[0:1], 0, v8
	s_andn2_b64 s[12:13], s[12:13], exec
	s_and_b64 s[0:1], s[0:1], exec
	v_mov_b32_e32 v22, 0
	s_or_b64 s[12:13], s[12:13], s[0:1]
	s_or_b64 exec, exec, s[16:17]
	s_and_saveexec_b64 s[16:17], s[12:13]
	s_cbranch_execnz .LBB286_349
	s_branch .LBB286_350
.LBB286_484:                            ;   in Loop: Header=BB286_307 Depth=1
	v_cmp_eq_u16_sdwa s[40:41], v8, s26 src0_sel:BYTE_0 src1_sel:DWORD
	s_mov_b64 s[0:1], -1
                                        ; implicit-def: $sgpr18
	s_and_saveexec_b64 s[16:17], s[40:41]
; %bb.485:                              ;   in Loop: Header=BB286_307 Depth=1
	s_mov_b32 s18, 0x7fc02000
	s_xor_b64 s[0:1], exec, -1
; %bb.486:                              ;   in Loop: Header=BB286_307 Depth=1
	s_or_b64 exec, exec, s[16:17]
	s_and_b64 s[0:1], s[0:1], exec
	s_or_saveexec_b64 s[12:13], s[12:13]
	v_mov_b32_e32 v21, s18
	s_xor_b64 exec, exec, s[12:13]
	s_cbranch_execz .LBB286_352
.LBB286_487:                            ;   in Loop: Header=BB286_307 Depth=1
	v_cmp_ne_u16_sdwa s[16:17], v8, v9 src0_sel:BYTE_0 src1_sel:DWORD
	s_andn2_b64 s[0:1], s[0:1], exec
	s_and_b64 s[16:17], s[16:17], exec
	v_mov_b32_e32 v21, 0
	s_or_b64 s[0:1], s[0:1], s[16:17]
	s_or_b64 exec, exec, s[12:13]
	s_and_saveexec_b64 s[12:13], s[0:1]
	s_cbranch_execnz .LBB286_353
	s_branch .LBB286_354
.LBB286_488:                            ;   in Loop: Header=BB286_307 Depth=1
	v_cmp_eq_u16_e64 s[0:1], s26, v8
	s_mov_b64 s[12:13], -1
                                        ; implicit-def: $sgpr39
	s_and_saveexec_b64 s[18:19], s[0:1]
; %bb.489:                              ;   in Loop: Header=BB286_307 Depth=1
	s_mov_b32 s39, 0x7fc02000
	s_xor_b64 s[12:13], exec, -1
; %bb.490:                              ;   in Loop: Header=BB286_307 Depth=1
	s_or_b64 exec, exec, s[18:19]
	s_and_b64 s[12:13], s[12:13], exec
	s_or_saveexec_b64 s[16:17], s[16:17]
	v_mov_b32_e32 v23, s39
	s_xor_b64 exec, exec, s[16:17]
	s_cbranch_execz .LBB286_356
.LBB286_491:                            ;   in Loop: Header=BB286_307 Depth=1
	v_cmp_ne_u16_e64 s[0:1], 0, v8
	s_andn2_b64 s[12:13], s[12:13], exec
	s_and_b64 s[0:1], s[0:1], exec
	v_mov_b32_e32 v23, 0
	s_or_b64 s[12:13], s[12:13], s[0:1]
	s_or_b64 exec, exec, s[16:17]
	s_and_saveexec_b64 s[16:17], s[12:13]
	s_cbranch_execnz .LBB286_357
	s_branch .LBB286_358
.LBB286_492:                            ;   in Loop: Header=BB286_307 Depth=1
	v_cmp_eq_u16_sdwa s[40:41], v19, s26 src0_sel:BYTE_0 src1_sel:DWORD
	s_mov_b64 s[0:1], -1
                                        ; implicit-def: $sgpr18
	s_and_saveexec_b64 s[16:17], s[40:41]
; %bb.493:                              ;   in Loop: Header=BB286_307 Depth=1
	s_mov_b32 s18, 0x7fc02000
	s_xor_b64 s[0:1], exec, -1
; %bb.494:                              ;   in Loop: Header=BB286_307 Depth=1
	s_or_b64 exec, exec, s[16:17]
	s_and_b64 s[0:1], s[0:1], exec
	s_or_saveexec_b64 s[12:13], s[12:13]
	v_mov_b32_e32 v18, s18
	s_xor_b64 exec, exec, s[12:13]
	s_cbranch_execz .LBB286_360
.LBB286_495:                            ;   in Loop: Header=BB286_307 Depth=1
	v_cmp_ne_u16_sdwa s[16:17], v19, v9 src0_sel:BYTE_0 src1_sel:DWORD
	s_andn2_b64 s[0:1], s[0:1], exec
	s_and_b64 s[16:17], s[16:17], exec
	v_mov_b32_e32 v18, 0
	s_or_b64 s[0:1], s[0:1], s[16:17]
	s_or_b64 exec, exec, s[12:13]
	v_mov_b32_e32 v8, v19
	s_and_saveexec_b64 s[12:13], s[0:1]
	s_cbranch_execnz .LBB286_361
	s_branch .LBB286_362
.LBB286_496:                            ;   in Loop: Header=BB286_307 Depth=1
	v_cmp_eq_u16_e64 s[0:1], s26, v8
	s_mov_b64 s[12:13], -1
                                        ; implicit-def: $sgpr39
	s_and_saveexec_b64 s[18:19], s[0:1]
; %bb.497:                              ;   in Loop: Header=BB286_307 Depth=1
	s_mov_b32 s39, 0x7fc02000
	s_xor_b64 s[12:13], exec, -1
; %bb.498:                              ;   in Loop: Header=BB286_307 Depth=1
	s_or_b64 exec, exec, s[18:19]
	s_and_b64 s[12:13], s[12:13], exec
	s_or_saveexec_b64 s[16:17], s[16:17]
	v_mov_b32_e32 v44, s39
	s_xor_b64 exec, exec, s[16:17]
	s_cbranch_execz .LBB286_364
.LBB286_499:                            ;   in Loop: Header=BB286_307 Depth=1
	v_cmp_ne_u16_e64 s[0:1], 0, v8
	s_andn2_b64 s[12:13], s[12:13], exec
	s_and_b64 s[0:1], s[0:1], exec
	v_mov_b32_e32 v44, 0
	s_or_b64 s[12:13], s[12:13], s[0:1]
	s_or_b64 exec, exec, s[16:17]
	s_and_saveexec_b64 s[16:17], s[12:13]
	s_cbranch_execnz .LBB286_365
	s_branch .LBB286_366
.LBB286_500:                            ;   in Loop: Header=BB286_307 Depth=1
	v_cmp_eq_u16_sdwa s[40:41], v8, s26 src0_sel:BYTE_0 src1_sel:DWORD
	s_mov_b64 s[0:1], -1
                                        ; implicit-def: $sgpr18
	s_and_saveexec_b64 s[16:17], s[40:41]
; %bb.501:                              ;   in Loop: Header=BB286_307 Depth=1
	s_mov_b32 s18, 0x7fc02000
	s_xor_b64 s[0:1], exec, -1
; %bb.502:                              ;   in Loop: Header=BB286_307 Depth=1
	s_or_b64 exec, exec, s[16:17]
	s_and_b64 s[0:1], s[0:1], exec
	s_or_saveexec_b64 s[12:13], s[12:13]
	v_mov_b32_e32 v45, s18
	s_xor_b64 exec, exec, s[12:13]
	s_cbranch_execz .LBB286_368
.LBB286_503:                            ;   in Loop: Header=BB286_307 Depth=1
	v_cmp_ne_u16_sdwa s[16:17], v8, v9 src0_sel:BYTE_0 src1_sel:DWORD
	s_andn2_b64 s[0:1], s[0:1], exec
	s_and_b64 s[16:17], s[16:17], exec
	v_mov_b32_e32 v45, 0
	s_or_b64 s[0:1], s[0:1], s[16:17]
	s_or_b64 exec, exec, s[12:13]
	s_and_saveexec_b64 s[12:13], s[0:1]
	s_cbranch_execnz .LBB286_369
	s_branch .LBB286_370
.LBB286_504:                            ;   in Loop: Header=BB286_307 Depth=1
	v_cmp_eq_u16_e64 s[0:1], s26, v8
	s_mov_b64 s[12:13], -1
                                        ; implicit-def: $sgpr39
	s_and_saveexec_b64 s[18:19], s[0:1]
; %bb.505:                              ;   in Loop: Header=BB286_307 Depth=1
	s_mov_b32 s39, 0x7fc02000
	s_xor_b64 s[12:13], exec, -1
; %bb.506:                              ;   in Loop: Header=BB286_307 Depth=1
	s_or_b64 exec, exec, s[18:19]
	s_and_b64 s[12:13], s[12:13], exec
	s_or_saveexec_b64 s[16:17], s[16:17]
	v_mov_b32_e32 v46, s39
	s_xor_b64 exec, exec, s[16:17]
	s_cbranch_execz .LBB286_372
.LBB286_507:                            ;   in Loop: Header=BB286_307 Depth=1
	v_cmp_ne_u16_e64 s[0:1], 0, v8
	s_andn2_b64 s[12:13], s[12:13], exec
	s_and_b64 s[0:1], s[0:1], exec
	v_mov_b32_e32 v46, 0
	s_or_b64 s[12:13], s[12:13], s[0:1]
	s_or_b64 exec, exec, s[16:17]
	s_and_saveexec_b64 s[16:17], s[12:13]
	s_cbranch_execnz .LBB286_373
	s_branch .LBB286_374
.LBB286_508:                            ;   in Loop: Header=BB286_307 Depth=1
	v_cmp_eq_u16_sdwa s[40:41], v18, s26 src0_sel:BYTE_0 src1_sel:DWORD
	s_mov_b64 s[0:1], -1
                                        ; implicit-def: $sgpr18
	s_and_saveexec_b64 s[16:17], s[40:41]
; %bb.509:                              ;   in Loop: Header=BB286_307 Depth=1
	s_mov_b32 s18, 0x7fc02000
	s_xor_b64 s[0:1], exec, -1
; %bb.510:                              ;   in Loop: Header=BB286_307 Depth=1
	s_or_b64 exec, exec, s[16:17]
	s_and_b64 s[0:1], s[0:1], exec
	s_or_saveexec_b64 s[12:13], s[12:13]
	v_mov_b32_e32 v20, s18
	s_xor_b64 exec, exec, s[12:13]
	s_cbranch_execz .LBB286_378
.LBB286_511:                            ;   in Loop: Header=BB286_307 Depth=1
	v_cmp_ne_u16_sdwa s[16:17], v18, v9 src0_sel:BYTE_0 src1_sel:DWORD
	s_andn2_b64 s[0:1], s[0:1], exec
	s_and_b64 s[16:17], s[16:17], exec
	v_mov_b32_e32 v20, 0
	s_or_b64 s[0:1], s[0:1], s[16:17]
	s_or_b64 exec, exec, s[12:13]
	s_and_saveexec_b64 s[12:13], s[0:1]
	s_cbranch_execnz .LBB286_379
	s_branch .LBB286_380
.LBB286_512:                            ;   in Loop: Header=BB286_307 Depth=1
	v_cmp_eq_u16_e64 s[0:1], s26, v8
	s_mov_b64 s[12:13], -1
                                        ; implicit-def: $sgpr39
	s_and_saveexec_b64 s[18:19], s[0:1]
; %bb.513:                              ;   in Loop: Header=BB286_307 Depth=1
	s_mov_b32 s39, 0x7fc02000
	s_xor_b64 s[12:13], exec, -1
; %bb.514:                              ;   in Loop: Header=BB286_307 Depth=1
	s_or_b64 exec, exec, s[18:19]
	s_and_b64 s[12:13], s[12:13], exec
	s_or_saveexec_b64 s[16:17], s[16:17]
	v_mov_b32_e32 v22, s39
	s_xor_b64 exec, exec, s[16:17]
	s_cbranch_execz .LBB286_382
.LBB286_515:                            ;   in Loop: Header=BB286_307 Depth=1
	v_cmp_ne_u16_e64 s[0:1], 0, v8
	s_andn2_b64 s[12:13], s[12:13], exec
	s_and_b64 s[0:1], s[0:1], exec
	v_mov_b32_e32 v22, 0
	s_or_b64 s[12:13], s[12:13], s[0:1]
	s_or_b64 exec, exec, s[16:17]
	s_and_saveexec_b64 s[16:17], s[12:13]
	s_cbranch_execnz .LBB286_383
	s_branch .LBB286_384
.LBB286_516:                            ;   in Loop: Header=BB286_307 Depth=1
	v_cmp_eq_u16_sdwa s[40:41], v8, s26 src0_sel:BYTE_0 src1_sel:DWORD
	s_mov_b64 s[0:1], -1
                                        ; implicit-def: $sgpr18
	s_and_saveexec_b64 s[16:17], s[40:41]
; %bb.517:                              ;   in Loop: Header=BB286_307 Depth=1
	s_mov_b32 s18, 0x7fc02000
	s_xor_b64 s[0:1], exec, -1
; %bb.518:                              ;   in Loop: Header=BB286_307 Depth=1
	s_or_b64 exec, exec, s[16:17]
	s_and_b64 s[0:1], s[0:1], exec
	s_or_saveexec_b64 s[12:13], s[12:13]
	v_mov_b32_e32 v21, s18
	s_xor_b64 exec, exec, s[12:13]
	s_cbranch_execz .LBB286_386
.LBB286_519:                            ;   in Loop: Header=BB286_307 Depth=1
	v_cmp_ne_u16_sdwa s[16:17], v8, v9 src0_sel:BYTE_0 src1_sel:DWORD
	s_andn2_b64 s[0:1], s[0:1], exec
	s_and_b64 s[16:17], s[16:17], exec
	v_mov_b32_e32 v21, 0
	s_or_b64 s[0:1], s[0:1], s[16:17]
	s_or_b64 exec, exec, s[12:13]
	s_and_saveexec_b64 s[12:13], s[0:1]
	s_cbranch_execnz .LBB286_387
	s_branch .LBB286_388
.LBB286_520:                            ;   in Loop: Header=BB286_307 Depth=1
	v_cmp_eq_u16_e64 s[0:1], s26, v8
	s_mov_b64 s[12:13], -1
                                        ; implicit-def: $sgpr39
	s_and_saveexec_b64 s[18:19], s[0:1]
; %bb.521:                              ;   in Loop: Header=BB286_307 Depth=1
	s_mov_b32 s39, 0x7fc02000
	s_xor_b64 s[12:13], exec, -1
; %bb.522:                              ;   in Loop: Header=BB286_307 Depth=1
	s_or_b64 exec, exec, s[18:19]
	s_and_b64 s[12:13], s[12:13], exec
	s_or_saveexec_b64 s[16:17], s[16:17]
	v_mov_b32_e32 v23, s39
	s_xor_b64 exec, exec, s[16:17]
	s_cbranch_execz .LBB286_390
.LBB286_523:                            ;   in Loop: Header=BB286_307 Depth=1
	v_cmp_ne_u16_e64 s[0:1], 0, v8
	s_andn2_b64 s[12:13], s[12:13], exec
	s_and_b64 s[0:1], s[0:1], exec
	v_mov_b32_e32 v23, 0
	s_or_b64 s[12:13], s[12:13], s[0:1]
	s_or_b64 exec, exec, s[16:17]
	s_and_saveexec_b64 s[16:17], s[12:13]
	s_cbranch_execnz .LBB286_391
	s_branch .LBB286_392
.LBB286_524:                            ;   in Loop: Header=BB286_307 Depth=1
	v_cmp_eq_u16_sdwa s[40:41], v19, s26 src0_sel:BYTE_0 src1_sel:DWORD
	s_mov_b64 s[0:1], -1
                                        ; implicit-def: $sgpr18
	s_and_saveexec_b64 s[16:17], s[40:41]
; %bb.525:                              ;   in Loop: Header=BB286_307 Depth=1
	s_mov_b32 s18, 0x7fc02000
	s_xor_b64 s[0:1], exec, -1
; %bb.526:                              ;   in Loop: Header=BB286_307 Depth=1
	s_or_b64 exec, exec, s[16:17]
	s_and_b64 s[0:1], s[0:1], exec
	s_or_saveexec_b64 s[12:13], s[12:13]
	v_mov_b32_e32 v18, s18
	s_xor_b64 exec, exec, s[12:13]
	s_cbranch_execz .LBB286_394
.LBB286_527:                            ;   in Loop: Header=BB286_307 Depth=1
	v_cmp_ne_u16_sdwa s[16:17], v19, v9 src0_sel:BYTE_0 src1_sel:DWORD
	s_andn2_b64 s[0:1], s[0:1], exec
	s_and_b64 s[16:17], s[16:17], exec
	v_mov_b32_e32 v18, 0
	s_or_b64 s[0:1], s[0:1], s[16:17]
	s_or_b64 exec, exec, s[12:13]
	v_mov_b32_e32 v8, v19
	s_and_saveexec_b64 s[12:13], s[0:1]
	s_cbranch_execnz .LBB286_395
	s_branch .LBB286_396
.LBB286_528:                            ;   in Loop: Header=BB286_307 Depth=1
	v_cmp_eq_u16_e64 s[0:1], s26, v8
	s_mov_b64 s[12:13], -1
                                        ; implicit-def: $sgpr39
	s_and_saveexec_b64 s[18:19], s[0:1]
; %bb.529:                              ;   in Loop: Header=BB286_307 Depth=1
	s_mov_b32 s39, 0x7fc02000
	s_xor_b64 s[12:13], exec, -1
; %bb.530:                              ;   in Loop: Header=BB286_307 Depth=1
	s_or_b64 exec, exec, s[18:19]
	s_and_b64 s[12:13], s[12:13], exec
	s_or_saveexec_b64 s[16:17], s[16:17]
	v_mov_b32_e32 v46, s39
	s_xor_b64 exec, exec, s[16:17]
	s_cbranch_execz .LBB286_398
.LBB286_531:                            ;   in Loop: Header=BB286_307 Depth=1
	v_cmp_ne_u16_e64 s[0:1], 0, v8
	s_andn2_b64 s[12:13], s[12:13], exec
	s_and_b64 s[0:1], s[0:1], exec
	v_mov_b32_e32 v46, 0
	s_or_b64 s[12:13], s[12:13], s[0:1]
	s_or_b64 exec, exec, s[16:17]
	s_and_saveexec_b64 s[16:17], s[12:13]
	s_cbranch_execnz .LBB286_399
	s_branch .LBB286_400
.LBB286_532:                            ;   in Loop: Header=BB286_307 Depth=1
	v_cmp_eq_u16_sdwa s[40:41], v8, s26 src0_sel:BYTE_0 src1_sel:DWORD
	s_mov_b64 s[0:1], -1
                                        ; implicit-def: $sgpr18
	s_and_saveexec_b64 s[16:17], s[40:41]
; %bb.533:                              ;   in Loop: Header=BB286_307 Depth=1
	s_mov_b32 s18, 0x7fc02000
	s_xor_b64 s[0:1], exec, -1
; %bb.534:                              ;   in Loop: Header=BB286_307 Depth=1
	s_or_b64 exec, exec, s[16:17]
	s_and_b64 s[0:1], s[0:1], exec
	s_or_saveexec_b64 s[12:13], s[12:13]
	v_mov_b32_e32 v47, s18
	s_xor_b64 exec, exec, s[12:13]
	s_cbranch_execz .LBB286_402
.LBB286_535:                            ;   in Loop: Header=BB286_307 Depth=1
	v_cmp_ne_u16_sdwa s[16:17], v8, v9 src0_sel:BYTE_0 src1_sel:DWORD
	s_andn2_b64 s[0:1], s[0:1], exec
	s_and_b64 s[16:17], s[16:17], exec
	v_mov_b32_e32 v47, 0
	s_or_b64 s[0:1], s[0:1], s[16:17]
	s_or_b64 exec, exec, s[12:13]
	s_and_saveexec_b64 s[12:13], s[0:1]
	s_cbranch_execnz .LBB286_403
	s_branch .LBB286_404
.LBB286_536:                            ;   in Loop: Header=BB286_307 Depth=1
	v_cmp_eq_u16_e64 s[0:1], s26, v8
	s_mov_b64 s[12:13], -1
                                        ; implicit-def: $sgpr39
	s_and_saveexec_b64 s[18:19], s[0:1]
; %bb.537:                              ;   in Loop: Header=BB286_307 Depth=1
	s_mov_b32 s39, 0x7fc02000
	s_xor_b64 s[12:13], exec, -1
; %bb.538:                              ;   in Loop: Header=BB286_307 Depth=1
	s_or_b64 exec, exec, s[18:19]
	s_and_b64 s[12:13], s[12:13], exec
	s_or_saveexec_b64 s[16:17], s[16:17]
	v_mov_b32_e32 v48, s39
	s_xor_b64 exec, exec, s[16:17]
	s_cbranch_execz .LBB286_406
.LBB286_539:                            ;   in Loop: Header=BB286_307 Depth=1
	v_cmp_ne_u16_e64 s[0:1], 0, v8
	s_andn2_b64 s[12:13], s[12:13], exec
	s_and_b64 s[0:1], s[0:1], exec
	v_mov_b32_e32 v48, 0
	s_or_b64 s[12:13], s[12:13], s[0:1]
	s_or_b64 exec, exec, s[16:17]
	s_and_saveexec_b64 s[16:17], s[12:13]
	s_cbranch_execnz .LBB286_407
	s_branch .LBB286_408
.LBB286_540:                            ;   in Loop: Header=BB286_307 Depth=1
	v_cmp_eq_u16_sdwa s[40:41], v18, s26 src0_sel:BYTE_0 src1_sel:DWORD
	s_mov_b64 s[0:1], -1
                                        ; implicit-def: $sgpr18
	s_and_saveexec_b64 s[16:17], s[40:41]
; %bb.541:                              ;   in Loop: Header=BB286_307 Depth=1
	s_mov_b32 s18, 0x7fc02000
	s_xor_b64 s[0:1], exec, -1
; %bb.542:                              ;   in Loop: Header=BB286_307 Depth=1
	s_or_b64 exec, exec, s[16:17]
	s_and_b64 s[0:1], s[0:1], exec
	s_or_saveexec_b64 s[12:13], s[12:13]
	v_mov_b32_e32 v14, s18
	s_xor_b64 exec, exec, s[12:13]
	s_cbranch_execz .LBB286_412
.LBB286_543:                            ;   in Loop: Header=BB286_307 Depth=1
	v_cmp_ne_u16_sdwa s[16:17], v18, v9 src0_sel:BYTE_0 src1_sel:DWORD
	s_andn2_b64 s[0:1], s[0:1], exec
	s_and_b64 s[16:17], s[16:17], exec
	v_mov_b32_e32 v14, 0
	s_or_b64 s[0:1], s[0:1], s[16:17]
	s_or_b64 exec, exec, s[12:13]
	s_and_saveexec_b64 s[12:13], s[0:1]
	s_cbranch_execnz .LBB286_413
	s_branch .LBB286_414
.LBB286_544:                            ;   in Loop: Header=BB286_307 Depth=1
	v_cmp_eq_u16_e64 s[0:1], s26, v8
	s_mov_b64 s[12:13], -1
                                        ; implicit-def: $sgpr39
	s_and_saveexec_b64 s[18:19], s[0:1]
; %bb.545:                              ;   in Loop: Header=BB286_307 Depth=1
	s_mov_b32 s39, 0x7fc02000
	s_xor_b64 s[12:13], exec, -1
; %bb.546:                              ;   in Loop: Header=BB286_307 Depth=1
	s_or_b64 exec, exec, s[18:19]
	s_and_b64 s[12:13], s[12:13], exec
	s_or_saveexec_b64 s[16:17], s[16:17]
	v_mov_b32_e32 v20, s39
	s_xor_b64 exec, exec, s[16:17]
	s_cbranch_execz .LBB286_416
.LBB286_547:                            ;   in Loop: Header=BB286_307 Depth=1
	v_cmp_ne_u16_e64 s[0:1], 0, v8
	s_andn2_b64 s[12:13], s[12:13], exec
	s_and_b64 s[0:1], s[0:1], exec
	v_mov_b32_e32 v20, 0
	s_or_b64 s[12:13], s[12:13], s[0:1]
	s_or_b64 exec, exec, s[16:17]
	s_and_saveexec_b64 s[16:17], s[12:13]
	s_cbranch_execnz .LBB286_417
	s_branch .LBB286_418
.LBB286_548:                            ;   in Loop: Header=BB286_307 Depth=1
	v_cmp_eq_u16_sdwa s[40:41], v8, s26 src0_sel:BYTE_0 src1_sel:DWORD
	s_mov_b64 s[0:1], -1
                                        ; implicit-def: $sgpr18
	s_and_saveexec_b64 s[16:17], s[40:41]
; %bb.549:                              ;   in Loop: Header=BB286_307 Depth=1
	s_mov_b32 s18, 0x7fc02000
	s_xor_b64 s[0:1], exec, -1
; %bb.550:                              ;   in Loop: Header=BB286_307 Depth=1
	s_or_b64 exec, exec, s[16:17]
	s_and_b64 s[0:1], s[0:1], exec
	s_or_saveexec_b64 s[12:13], s[12:13]
	v_mov_b32_e32 v15, s18
	s_xor_b64 exec, exec, s[12:13]
	s_cbranch_execz .LBB286_420
.LBB286_551:                            ;   in Loop: Header=BB286_307 Depth=1
	v_cmp_ne_u16_sdwa s[16:17], v8, v9 src0_sel:BYTE_0 src1_sel:DWORD
	s_andn2_b64 s[0:1], s[0:1], exec
	s_and_b64 s[16:17], s[16:17], exec
	v_mov_b32_e32 v15, 0
	s_or_b64 s[0:1], s[0:1], s[16:17]
	s_or_b64 exec, exec, s[12:13]
	s_and_saveexec_b64 s[12:13], s[0:1]
	s_cbranch_execnz .LBB286_421
	s_branch .LBB286_422
.LBB286_552:                            ;   in Loop: Header=BB286_307 Depth=1
	v_cmp_eq_u16_e64 s[0:1], s26, v8
	s_mov_b64 s[12:13], -1
                                        ; implicit-def: $sgpr39
	s_and_saveexec_b64 s[18:19], s[0:1]
; %bb.553:                              ;   in Loop: Header=BB286_307 Depth=1
	s_mov_b32 s39, 0x7fc02000
	s_xor_b64 s[12:13], exec, -1
; %bb.554:                              ;   in Loop: Header=BB286_307 Depth=1
	s_or_b64 exec, exec, s[18:19]
	s_and_b64 s[12:13], s[12:13], exec
	s_or_saveexec_b64 s[16:17], s[16:17]
	v_mov_b32_e32 v21, s39
	s_xor_b64 exec, exec, s[16:17]
	s_cbranch_execz .LBB286_424
.LBB286_555:                            ;   in Loop: Header=BB286_307 Depth=1
	v_cmp_ne_u16_e64 s[0:1], 0, v8
	s_andn2_b64 s[12:13], s[12:13], exec
	s_and_b64 s[0:1], s[0:1], exec
	v_mov_b32_e32 v21, 0
	s_or_b64 s[12:13], s[12:13], s[0:1]
	s_or_b64 exec, exec, s[16:17]
	s_and_saveexec_b64 s[16:17], s[12:13]
	s_cbranch_execnz .LBB286_425
	s_branch .LBB286_426
.LBB286_556:                            ;   in Loop: Header=BB286_307 Depth=1
	v_cmp_eq_u16_sdwa s[40:41], v19, s26 src0_sel:BYTE_0 src1_sel:DWORD
	s_mov_b64 s[0:1], -1
                                        ; implicit-def: $sgpr18
	s_and_saveexec_b64 s[16:17], s[40:41]
; %bb.557:                              ;   in Loop: Header=BB286_307 Depth=1
	s_mov_b32 s18, 0x7fc02000
	s_xor_b64 s[0:1], exec, -1
; %bb.558:                              ;   in Loop: Header=BB286_307 Depth=1
	s_or_b64 exec, exec, s[16:17]
	s_and_b64 s[0:1], s[0:1], exec
	s_or_saveexec_b64 s[12:13], s[12:13]
	v_mov_b32_e32 v18, s18
	s_xor_b64 exec, exec, s[12:13]
	s_cbranch_execz .LBB286_428
.LBB286_559:                            ;   in Loop: Header=BB286_307 Depth=1
	v_cmp_ne_u16_sdwa s[16:17], v19, v9 src0_sel:BYTE_0 src1_sel:DWORD
	s_andn2_b64 s[0:1], s[0:1], exec
	s_and_b64 s[16:17], s[16:17], exec
	v_mov_b32_e32 v18, 0
	s_or_b64 s[0:1], s[0:1], s[16:17]
	s_or_b64 exec, exec, s[12:13]
	v_mov_b32_e32 v8, v19
	s_and_saveexec_b64 s[12:13], s[0:1]
	s_cbranch_execnz .LBB286_429
	s_branch .LBB286_430
.LBB286_560:                            ;   in Loop: Header=BB286_307 Depth=1
	v_cmp_eq_u16_e64 s[0:1], s26, v8
	s_mov_b64 s[12:13], -1
                                        ; implicit-def: $sgpr39
	s_and_saveexec_b64 s[18:19], s[0:1]
; %bb.561:                              ;   in Loop: Header=BB286_307 Depth=1
	s_mov_b32 s39, 0x7fc02000
	s_xor_b64 s[12:13], exec, -1
; %bb.562:                              ;   in Loop: Header=BB286_307 Depth=1
	s_or_b64 exec, exec, s[18:19]
	s_and_b64 s[12:13], s[12:13], exec
	s_or_saveexec_b64 s[16:17], s[16:17]
	v_mov_b32_e32 v46, s39
	s_xor_b64 exec, exec, s[16:17]
	s_cbranch_execz .LBB286_432
.LBB286_563:                            ;   in Loop: Header=BB286_307 Depth=1
	v_cmp_ne_u16_e64 s[0:1], 0, v8
	s_andn2_b64 s[12:13], s[12:13], exec
	s_and_b64 s[0:1], s[0:1], exec
	v_mov_b32_e32 v46, 0
	s_or_b64 s[12:13], s[12:13], s[0:1]
	s_or_b64 exec, exec, s[16:17]
	s_and_saveexec_b64 s[16:17], s[12:13]
	s_cbranch_execnz .LBB286_433
	s_branch .LBB286_434
.LBB286_564:                            ;   in Loop: Header=BB286_307 Depth=1
	v_cmp_eq_u16_sdwa s[40:41], v8, s26 src0_sel:BYTE_0 src1_sel:DWORD
	s_mov_b64 s[0:1], -1
                                        ; implicit-def: $sgpr18
	s_and_saveexec_b64 s[16:17], s[40:41]
; %bb.565:                              ;   in Loop: Header=BB286_307 Depth=1
	s_mov_b32 s18, 0x7fc02000
	s_xor_b64 s[0:1], exec, -1
; %bb.566:                              ;   in Loop: Header=BB286_307 Depth=1
	s_or_b64 exec, exec, s[16:17]
	s_and_b64 s[0:1], s[0:1], exec
	s_or_saveexec_b64 s[12:13], s[12:13]
	v_mov_b32_e32 v47, s18
	s_xor_b64 exec, exec, s[12:13]
	s_cbranch_execz .LBB286_436
.LBB286_567:                            ;   in Loop: Header=BB286_307 Depth=1
	v_cmp_ne_u16_sdwa s[16:17], v8, v9 src0_sel:BYTE_0 src1_sel:DWORD
	s_andn2_b64 s[0:1], s[0:1], exec
	s_and_b64 s[16:17], s[16:17], exec
	v_mov_b32_e32 v47, 0
	s_or_b64 s[0:1], s[0:1], s[16:17]
	s_or_b64 exec, exec, s[12:13]
	s_and_saveexec_b64 s[12:13], s[0:1]
	s_cbranch_execnz .LBB286_437
	s_branch .LBB286_438
.LBB286_568:                            ;   in Loop: Header=BB286_307 Depth=1
	v_cmp_eq_u16_e64 s[0:1], s26, v8
	s_mov_b64 s[12:13], -1
                                        ; implicit-def: $sgpr39
	s_and_saveexec_b64 s[18:19], s[0:1]
; %bb.569:                              ;   in Loop: Header=BB286_307 Depth=1
	s_mov_b32 s39, 0x7fc02000
	s_xor_b64 s[12:13], exec, -1
; %bb.570:                              ;   in Loop: Header=BB286_307 Depth=1
	s_or_b64 exec, exec, s[18:19]
	s_and_b64 s[12:13], s[12:13], exec
	s_or_saveexec_b64 s[16:17], s[16:17]
	v_mov_b32_e32 v48, s39
	s_xor_b64 exec, exec, s[16:17]
	s_cbranch_execz .LBB286_440
.LBB286_571:                            ;   in Loop: Header=BB286_307 Depth=1
	v_cmp_ne_u16_e64 s[0:1], 0, v8
	s_andn2_b64 s[12:13], s[12:13], exec
	s_and_b64 s[0:1], s[0:1], exec
	v_mov_b32_e32 v48, 0
	s_or_b64 s[12:13], s[12:13], s[0:1]
	s_or_b64 exec, exec, s[16:17]
	s_and_saveexec_b64 s[16:17], s[12:13]
	s_cbranch_execnz .LBB286_441
	s_branch .LBB286_442
.LBB286_572:
	s_or_b64 exec, exec, s[8:9]
.LBB286_573:
	s_or_b64 exec, exec, s[10:11]
	ds_bpermute_b32 v6, v24, v2
	ds_bpermute_b32 v7, v24, v3
	;; [unrolled: 1-line block ×4, first 2 shown]
	v_and_b32_e32 v1, 0x3c3, v0
	v_cmp_eq_u32_e32 vcc, 64, v1
	s_waitcnt lgkmcnt(2)
	v_pk_add_f32 v[2:3], v[2:3], v[6:7]
	ds_bpermute_b32 v6, v25, v2
	s_waitcnt lgkmcnt(1)
	v_pk_add_f32 v[8:9], v[4:5], v[8:9]
	ds_bpermute_b32 v7, v25, v3
	ds_bpermute_b32 v10, v25, v8
	;; [unrolled: 1-line block ×3, first 2 shown]
	s_waitcnt lgkmcnt(0)
	s_barrier
	v_pk_add_f32 v[4:5], v[2:3], v[6:7]
	v_pk_add_f32 v[2:3], v[8:9], v[10:11]
	s_and_saveexec_b64 s[0:1], vcc
	s_cbranch_execz .LBB286_575
; %bb.574:
	v_add_u32_e32 v6, 0x90, v17
	ds_write2_b32 v6, v4, v5 offset1:16
	ds_write2_b32 v6, v2, v3 offset0:32 offset1:48
.LBB286_575:
	s_or_b64 exec, exec, s[0:1]
	v_cmp_gt_u32_e32 vcc, 64, v0
	s_waitcnt lgkmcnt(0)
	s_barrier
	s_and_saveexec_b64 s[0:1], vcc
	s_cbranch_execz .LBB286_582
; %bb.576:
	v_cmp_eq_u32_e32 vcc, 0, v26
	v_lshrrev_b32_e32 v6, 2, v0
	s_and_saveexec_b64 s[2:3], vcc
	s_cbranch_execnz .LBB286_585
; %bb.577:
	s_or_b64 exec, exec, s[2:3]
	s_and_saveexec_b64 s[2:3], vcc
	s_cbranch_execnz .LBB286_586
.LBB286_578:
	s_or_b64 exec, exec, s[2:3]
	s_and_saveexec_b64 s[2:3], vcc
	s_cbranch_execnz .LBB286_587
.LBB286_579:
	s_or_b64 exec, exec, s[2:3]
	s_and_saveexec_b64 s[2:3], vcc
	s_cbranch_execz .LBB286_581
.LBB286_580:
	v_mov_b32_e32 v7, 0x90
	v_lshl_add_u32 v6, v6, 2, v7
	ds_read_b32 v6, v6 offset:192
	s_waitcnt lgkmcnt(0)
	v_add_f32_e32 v3, v3, v6
.LBB286_581:
	s_or_b64 exec, exec, s[2:3]
.LBB286_582:
	s_or_b64 exec, exec, s[0:1]
	v_cmp_eq_u32_e32 vcc, 0, v1
	s_barrier
	s_and_saveexec_b64 s[0:1], vcc
	s_cbranch_execz .LBB286_584
; %bb.583:
	s_lshl_b32 s0, s6, 6
	s_ashr_i32 s1, s0, 31
	s_lshl_b64 s[0:1], s[0:1], 1
	s_add_u32 s2, s30, s0
	s_mul_i32 s0, s20, s28
	s_addc_u32 s3, s31, s1
	s_ashr_i32 s1, s0, 31
	s_lshl_b64 s[0:1], s[0:1], 1
	s_add_u32 s2, s2, s0
	s_addc_u32 s3, s3, s1
	s_lshl_b32 s0, s4, 6
	s_ashr_i32 s1, s0, 31
	s_lshl_b64 s[0:1], s[0:1], 1
	s_add_u32 s0, s2, s0
	s_addc_u32 s1, s3, s1
	v_lshrrev_b32_e32 v0, 1, v0
	;;#ASMSTART
	v_cvt_f16_f32 v1, v4;

	;;#ASMEND
	global_store_short v0, v1, s[0:1]
	;;#ASMSTART
	v_cvt_f16_f32 v1, v5;

	;;#ASMEND
	global_store_short v0, v1, s[0:1] offset:32
	;;#ASMSTART
	v_cvt_f16_f32 v1, v2;

	;;#ASMEND
	global_store_short v0, v1, s[0:1] offset:64
	;; [unrolled: 5-line block ×3, first 2 shown]
.LBB286_584:
	s_endpgm
.LBB286_585:
	v_mov_b32_e32 v7, 0x90
	v_lshl_add_u32 v7, v6, 2, v7
	ds_read_b32 v7, v7
	s_waitcnt lgkmcnt(0)
	v_add_f32_e32 v4, v4, v7
	s_or_b64 exec, exec, s[2:3]
	s_and_saveexec_b64 s[2:3], vcc
	s_cbranch_execz .LBB286_578
.LBB286_586:
	v_mov_b32_e32 v7, 0x90
	v_lshl_add_u32 v7, v6, 2, v7
	ds_read_b32 v7, v7 offset:64
	s_waitcnt lgkmcnt(0)
	v_add_f32_e32 v5, v5, v7
	s_or_b64 exec, exec, s[2:3]
	s_and_saveexec_b64 s[2:3], vcc
	s_cbranch_execz .LBB286_579
.LBB286_587:
	v_mov_b32_e32 v7, 0x90
	v_lshl_add_u32 v7, v6, 2, v7
	ds_read_b32 v7, v7 offset:128
	s_waitcnt lgkmcnt(0)
	v_add_f32_e32 v2, v2, v7
	s_or_b64 exec, exec, s[2:3]
	s_and_saveexec_b64 s[2:3], vcc
	s_cbranch_execnz .LBB286_580
	s_branch .LBB286_581
	.section	.rodata,"a",@progbits
	.p2align	6, 0x0
	.amdhsa_kernel _ZN4vllm25paged_attention_v2_kernelIthLi64ELi32ELi128ELNS_18Fp8KVCacheDataTypeE1ELb1ELi512EEEvPfS2_PT_PKS3_PKT0_S9_ifPKiSB_iPKfiiiSD_SD_iiiii
		.amdhsa_group_segment_fixed_size 144
		.amdhsa_private_segment_fixed_size 0
		.amdhsa_kernarg_size 400
		.amdhsa_user_sgpr_count 2
		.amdhsa_user_sgpr_dispatch_ptr 0
		.amdhsa_user_sgpr_queue_ptr 0
		.amdhsa_user_sgpr_kernarg_segment_ptr 1
		.amdhsa_user_sgpr_dispatch_id 0
		.amdhsa_user_sgpr_kernarg_preload_length 0
		.amdhsa_user_sgpr_kernarg_preload_offset 0
		.amdhsa_user_sgpr_private_segment_size 0
		.amdhsa_uses_dynamic_stack 0
		.amdhsa_enable_private_segment 0
		.amdhsa_system_sgpr_workgroup_id_x 1
		.amdhsa_system_sgpr_workgroup_id_y 1
		.amdhsa_system_sgpr_workgroup_id_z 1
		.amdhsa_system_sgpr_workgroup_info 0
		.amdhsa_system_vgpr_workitem_id 0
		.amdhsa_next_free_vgpr 64
		.amdhsa_next_free_sgpr 66
		.amdhsa_accum_offset 64
		.amdhsa_reserve_vcc 1
		.amdhsa_float_round_mode_32 0
		.amdhsa_float_round_mode_16_64 0
		.amdhsa_float_denorm_mode_32 3
		.amdhsa_float_denorm_mode_16_64 3
		.amdhsa_dx10_clamp 1
		.amdhsa_ieee_mode 1
		.amdhsa_fp16_overflow 0
		.amdhsa_tg_split 0
		.amdhsa_exception_fp_ieee_invalid_op 0
		.amdhsa_exception_fp_denorm_src 0
		.amdhsa_exception_fp_ieee_div_zero 0
		.amdhsa_exception_fp_ieee_overflow 0
		.amdhsa_exception_fp_ieee_underflow 0
		.amdhsa_exception_fp_ieee_inexact 0
		.amdhsa_exception_int_div_zero 0
	.end_amdhsa_kernel
	.section	.text._ZN4vllm25paged_attention_v2_kernelIthLi64ELi32ELi128ELNS_18Fp8KVCacheDataTypeE1ELb1ELi512EEEvPfS2_PT_PKS3_PKT0_S9_ifPKiSB_iPKfiiiSD_SD_iiiii,"axG",@progbits,_ZN4vllm25paged_attention_v2_kernelIthLi64ELi32ELi128ELNS_18Fp8KVCacheDataTypeE1ELb1ELi512EEEvPfS2_PT_PKS3_PKT0_S9_ifPKiSB_iPKfiiiSD_SD_iiiii,comdat
.Lfunc_end286:
	.size	_ZN4vllm25paged_attention_v2_kernelIthLi64ELi32ELi128ELNS_18Fp8KVCacheDataTypeE1ELb1ELi512EEEvPfS2_PT_PKS3_PKT0_S9_ifPKiSB_iPKfiiiSD_SD_iiiii, .Lfunc_end286-_ZN4vllm25paged_attention_v2_kernelIthLi64ELi32ELi128ELNS_18Fp8KVCacheDataTypeE1ELb1ELi512EEEvPfS2_PT_PKS3_PKT0_S9_ifPKiSB_iPKfiiiSD_SD_iiiii
                                        ; -- End function
	.section	.AMDGPU.csdata,"",@progbits
; Kernel info:
; codeLenInByte = 23532
; NumSgprs: 72
; NumVgprs: 64
; NumAgprs: 0
; TotalNumVgprs: 64
; ScratchSize: 0
; MemoryBound: 0
; FloatMode: 240
; IeeeMode: 1
; LDSByteSize: 144 bytes/workgroup (compile time only)
; SGPRBlocks: 8
; VGPRBlocks: 7
; NumSGPRsForWavesPerEU: 72
; NumVGPRsForWavesPerEU: 64
; AccumOffset: 64
; Occupancy: 8
; WaveLimiterHint : 1
; COMPUTE_PGM_RSRC2:SCRATCH_EN: 0
; COMPUTE_PGM_RSRC2:USER_SGPR: 2
; COMPUTE_PGM_RSRC2:TRAP_HANDLER: 0
; COMPUTE_PGM_RSRC2:TGID_X_EN: 1
; COMPUTE_PGM_RSRC2:TGID_Y_EN: 1
; COMPUTE_PGM_RSRC2:TGID_Z_EN: 1
; COMPUTE_PGM_RSRC2:TIDIG_COMP_CNT: 0
; COMPUTE_PGM_RSRC3_GFX90A:ACCUM_OFFSET: 15
; COMPUTE_PGM_RSRC3_GFX90A:TG_SPLIT: 0
	.section	.text._ZN4vllm25paged_attention_v2_kernelIthLi80ELi32ELi128ELNS_18Fp8KVCacheDataTypeE1ELb1ELi512EEEvPfS2_PT_PKS3_PKT0_S9_ifPKiSB_iPKfiiiSD_SD_iiiii,"axG",@progbits,_ZN4vllm25paged_attention_v2_kernelIthLi80ELi32ELi128ELNS_18Fp8KVCacheDataTypeE1ELb1ELi512EEEvPfS2_PT_PKS3_PKT0_S9_ifPKiSB_iPKfiiiSD_SD_iiiii,comdat
	.protected	_ZN4vllm25paged_attention_v2_kernelIthLi80ELi32ELi128ELNS_18Fp8KVCacheDataTypeE1ELb1ELi512EEEvPfS2_PT_PKS3_PKT0_S9_ifPKiSB_iPKfiiiSD_SD_iiiii ; -- Begin function _ZN4vllm25paged_attention_v2_kernelIthLi80ELi32ELi128ELNS_18Fp8KVCacheDataTypeE1ELb1ELi512EEEvPfS2_PT_PKS3_PKT0_S9_ifPKiSB_iPKfiiiSD_SD_iiiii
	.globl	_ZN4vllm25paged_attention_v2_kernelIthLi80ELi32ELi128ELNS_18Fp8KVCacheDataTypeE1ELb1ELi512EEEvPfS2_PT_PKS3_PKT0_S9_ifPKiSB_iPKfiiiSD_SD_iiiii
	.p2align	8
	.type	_ZN4vllm25paged_attention_v2_kernelIthLi80ELi32ELi128ELNS_18Fp8KVCacheDataTypeE1ELb1ELi512EEEvPfS2_PT_PKS3_PKT0_S9_ifPKiSB_iPKfiiiSD_SD_iiiii,@function
_ZN4vllm25paged_attention_v2_kernelIthLi80ELi32ELi128ELNS_18Fp8KVCacheDataTypeE1ELb1ELi512EEEvPfS2_PT_PKS3_PKT0_S9_ifPKiSB_iPKfiiiSD_SD_iiiii: ; @_ZN4vllm25paged_attention_v2_kernelIthLi80ELi32ELi128ELNS_18Fp8KVCacheDataTypeE1ELb1ELi512EEEvPfS2_PT_PKS3_PKT0_S9_ifPKiSB_iPKfiiiSD_SD_iiiii
; %bb.0:
	s_load_dwordx2 s[6:7], s[0:1], 0x40
	s_mov_b32 s34, s3
	s_ashr_i32 s35, s3, 31
	s_lshl_b64 s[8:9], s[34:35], 2
	s_waitcnt lgkmcnt(0)
	s_add_u32 s6, s6, s8
	s_addc_u32 s7, s7, s9
	s_load_dword s33, s[6:7], 0x0
	s_lshl_b32 s56, s4, 9
	s_waitcnt lgkmcnt(0)
	s_cmp_ge_i32 s56, s33
	s_cbranch_scc1 .LBB287_715
; %bb.1:
	s_load_dword s5, s[0:1], 0x90
	s_load_dwordx2 s[42:43], s[0:1], 0x30
	s_waitcnt lgkmcnt(0)
	s_abs_i32 s7, s5
	s_abs_i32 s3, s42
	v_cvt_f32_u32_e32 v1, s3
	s_sub_i32 s8, 0, s3
	s_xor_b32 s6, s5, s42
	s_ashr_i32 s6, s6, 31
	v_rcp_iflag_f32_e32 v1, v1
	s_nop 0
	v_mul_f32_e32 v1, 0x4f7ffffe, v1
	v_cvt_u32_f32_e32 v1, v1
	s_nop 0
	v_readfirstlane_b32 s9, v1
	s_mul_i32 s8, s8, s9
	s_mul_hi_u32 s8, s9, s8
	s_add_i32 s9, s9, s8
	s_mul_hi_u32 s8, s7, s9
	s_mul_i32 s9, s8, s3
	s_sub_i32 s7, s7, s9
	s_add_i32 s10, s8, 1
	s_sub_i32 s9, s7, s3
	s_cmp_ge_u32 s7, s3
	s_cselect_b32 s8, s10, s8
	s_cselect_b32 s7, s9, s7
	s_add_i32 s9, s8, 1
	s_cmp_ge_u32 s7, s3
	s_cselect_b32 s3, s9, s8
	s_xor_b32 s3, s3, s6
	s_sub_i32 s12, s3, s6
	s_abs_i32 s8, s12
	v_cvt_f32_u32_e32 v1, s8
	s_load_dwordx2 s[6:7], s[0:1], 0x50
	s_sub_i32 s10, 0, s8
	s_abs_i32 s9, s2
	v_rcp_iflag_f32_e32 v1, v1
	s_mov_b32 s3, 0
	v_mul_f32_e32 v1, 0x4f7ffffe, v1
	v_cvt_u32_f32_e32 v1, v1
	s_nop 0
	v_readfirstlane_b32 s11, v1
	s_mul_i32 s10, s10, s11
	s_mul_hi_u32 s10, s11, s10
	s_add_i32 s11, s11, s10
	s_waitcnt lgkmcnt(0)
	s_cmp_eq_u64 s[6:7], 0
	s_mul_hi_u32 s10, s9, s11
	s_cbranch_scc1 .LBB287_3
; %bb.2:
	s_ashr_i32 s3, s2, 31
	s_lshl_b64 s[14:15], s[2:3], 2
	s_add_u32 s6, s6, s14
	s_addc_u32 s7, s7, s15
	s_load_dword s3, s[6:7], 0x0
.LBB287_3:
	s_ashr_i32 s16, s12, 31
	s_load_dwordx4 s[12:15], s[0:1], 0x58
	s_ashr_i32 s11, s2, 31
	v_and_b32_e32 v7, 1, v0
	s_waitcnt lgkmcnt(0)
	s_movk_i32 s15, 0x50
	s_mul_i32 s28, s2, 0x50
	v_cmp_gt_u32_e32 vcc, 20, v0
	v_lshlrev_b32_e32 v15, 3, v0
	s_and_saveexec_b64 s[6:7], vcc
	s_cbranch_execz .LBB287_5
; %bb.4:
	s_load_dwordx2 s[18:19], s[0:1], 0x18
	s_mul_i32 s20, s34, s12
	s_ashr_i32 s21, s20, 31
	s_lshl_b64 s[20:21], s[20:21], 1
	v_lshlrev_b32_e32 v1, 2, v0
	s_waitcnt lgkmcnt(0)
	s_add_u32 s12, s18, s20
	s_addc_u32 s17, s19, s21
	s_ashr_i32 s29, s28, 31
	s_lshl_b64 s[18:19], s[28:29], 1
	s_add_u32 s18, s12, s18
	s_addc_u32 s19, s17, s19
	global_load_dwordx2 v[2:3], v15, s[18:19]
	v_and_b32_e32 v1, 0xff8, v1
	v_mad_u32_u24 v1, v7, s15, v1
	s_waitcnt vmcnt(0)
	ds_write_b64 v1, v[2:3]
.LBB287_5:
	s_or_b64 exec, exec, s[6:7]
	s_mul_i32 s7, s10, s8
	s_sub_i32 s7, s9, s7
	s_xor_b32 s6, s11, s16
	s_add_i32 s9, s10, 1
	s_sub_i32 s11, s7, s8
	s_load_dwordx4 s[20:23], s[0:1], 0x78
	s_cmp_ge_u32 s7, s8
	s_cselect_b32 s9, s9, s10
	s_cselect_b32 s7, s11, s7
	s_add_i32 s10, s9, 1
	s_cmp_ge_u32 s7, s8
	s_cselect_b32 s7, s10, s9
	s_load_dword s10, s[0:1], 0x88
	s_waitcnt lgkmcnt(0)
	s_abs_i32 s29, s23
	v_cvt_f32_u32_e32 v1, s29
	s_xor_b32 s7, s7, s6
	s_sub_i32 s55, s7, s6
	s_sub_i32 s6, 0, s29
	v_rcp_iflag_f32_e32 v1, v1
	s_add_i32 s11, s33, -1
	s_abs_i32 s8, s11
	v_mul_f32_e32 v1, 0x4f7ffffe, v1
	v_cvt_u32_f32_e32 v1, v1
	s_barrier
	v_readfirstlane_b32 s35, v1
	s_mul_i32 s6, s6, s35
	s_mul_hi_u32 s6, s35, s6
	s_add_i32 s35, s35, s6
	s_cmp_lt_i32 s10, 0
	s_mul_hi_u32 s9, s8, s35
	s_cbranch_scc0 .LBB287_7
; %bb.6:
	s_mul_i32 s6, s20, s42
	s_add_i32 s6, s55, s6
	s_mul_i32 s6, s6, s10
	s_sub_i32 s42, 1, s6
	s_mov_b64 s[6:7], 0
	s_branch .LBB287_8
.LBB287_7:
	s_mov_b64 s[6:7], -1
                                        ; implicit-def: $sgpr42
.LBB287_8:
	s_load_dwordx2 s[36:37], s[0:1], 0x38
	s_ashr_i32 s11, s11, 31
	s_andn2_b64 vcc, exec, s[6:7]
	s_ashr_i32 s23, s23, 31
	s_cbranch_vccnz .LBB287_10
; %bb.9:
	s_mul_i32 s6, s5, s20
	s_add_i32 s6, s6, s2
	s_mul_i32 s6, s6, s10
	s_add_i32 s42, s6, 1
.LBB287_10:
	s_load_dwordx2 s[40:41], s[0:1], 0x28
	s_load_dword s6, s[0:1], 0x48
	s_load_dwordx4 s[24:27], s[0:1], 0x0
	s_load_dwordx2 s[30:31], s[0:1], 0x10
	s_load_dword s20, s[0:1], 0x98
	s_load_dwordx4 s[16:19], s[0:1], 0x68
	s_mul_i32 s7, s9, s29
	s_waitcnt lgkmcnt(0)
	s_mul_i32 s38, s34, s6
	s_sub_i32 s7, s8, s7
	s_ashr_i32 s39, s38, 31
	s_xor_b32 s6, s11, s23
	s_add_i32 s8, s9, 1
	s_sub_i32 s10, s7, s29
	s_cmp_ge_u32 s7, s29
	s_cselect_b32 s8, s8, s9
	s_cselect_b32 s7, s10, s7
	s_add_i32 s9, s8, 1
	s_cmp_ge_u32 s7, s29
	s_cselect_b32 s7, s9, s8
	s_xor_b32 s7, s7, s6
	s_sub_i32 s54, s7, s6
	s_add_i32 s6, s33, 31
	s_ashr_i32 s7, s6, 31
	s_lshr_b32 s7, s7, 27
	s_add_i32 s6, s6, s7
	s_lshl_b32 s12, s4, 4
	s_ashr_i32 s53, s6, 5
	s_add_i32 s6, s12, 16
	v_lshrrev_b32_e32 v16, 6, v0
	s_min_i32 s52, s6, s53
	v_or_b32_e32 v8, s12, v16
	v_cmp_gt_i32_e64 s[8:9], s52, v8
	v_mov_b32_e32 v20, 0xff7fffff
	s_mul_i32 s55, s55, s14
	v_ashrrev_i32_e32 v9, 31, v8
	v_lshl_add_u32 v1, v16, 5, s56
	v_mbcnt_lo_u32_b32 v17, -1, 0
	s_and_saveexec_b64 s[14:15], s[8:9]
	s_cbranch_execz .LBB287_340
; %bb.11:
	s_load_dwordx2 s[0:1], s[0:1], 0x20
	s_sub_i32 s57, s54, s21
	s_ashr_i32 s6, s55, 31
	v_bfe_u32 v18, v0, 1, 5
	v_lshlrev_b32_e32 v2, 4, v18
	s_waitcnt lgkmcnt(0)
	s_add_u32 s0, s0, s55
	s_addc_u32 s1, s1, s6
	s_abs_i32 s58, s22
	v_cvt_f32_u32_e32 v4, s58
	v_mov_b32_e32 v3, 0
	v_cmp_eq_u32_e32 vcc, 0, v7
	s_mov_b32 s59, s13
	v_rcp_iflag_f32_e32 v10, v4
	v_lshl_add_u64 v[4:5], s[0:1], 0, v[2:3]
	s_sub_i32 s0, 0, s58
	v_lshlrev_b32_e32 v6, 2, v7
	v_mul_f32_e32 v2, 0x4f7ffffe, v10
	v_cvt_u32_f32_e32 v2, v2
	v_mul_u32_u24_e32 v19, 0x50, v7
	v_cmp_neq_f32_e64 s[6:7], s3, 0
	v_mov_b32_e32 v7, v3
	v_mul_lo_u32 v10, s0, v2
	v_mul_hi_u32 v10, v2, v10
	v_add_u32_e32 v21, v2, v10
	s_lshl_b64 s[0:1], s[38:39], 2
	v_lshlrev_b32_e32 v2, 2, v18
	s_add_u32 s0, s36, s0
	v_lshl_or_b32 v2, v16, 7, v2
	s_addc_u32 s1, s37, s1
	v_add_u32_e32 v23, 0xb0, v2
	v_subrev_u32_e32 v2, s33, v18
	v_lshl_add_u64 v[10:11], v[8:9], 2, s[0:1]
	v_lshl_add_u32 v22, v16, 5, s56
	v_add_u32_e32 v24, 1, v2
	s_mov_b64 s[44:45], 0
	s_movk_i32 s60, 0x7f
	s_movk_i32 s61, 0x80
	s_mov_b32 s62, 0x8000
	v_mov_b32_e32 v25, 0x1c00
	v_mbcnt_hi_u32_b32 v26, -1, v17
	v_mov_b32_e32 v20, 0xff7fffff
	v_mov_b32_e32 v27, v8
	s_branch .LBB287_14
.LBB287_12:                             ;   in Loop: Header=BB287_14 Depth=1
	s_or_b64 exec, exec, s[46:47]
.LBB287_13:                             ;   in Loop: Header=BB287_14 Depth=1
	s_or_b64 exec, exec, s[10:11]
	v_add_u32_e32 v27, 2, v27
	v_cmp_le_i32_e64 s[0:1], s52, v27
	v_lshl_add_u64 v[10:11], v[10:11], 0, 8
	v_add_u32_e32 v22, 64, v22
	s_or_b64 s[44:45], s[0:1], s[44:45]
	v_add_u32_e32 v23, 0x100, v23
	s_andn2_b64 exec, exec, s[44:45]
	s_cbranch_execz .LBB287_339
.LBB287_14:                             ; =>This Inner Loop Header: Depth=1
	s_waitcnt lgkmcnt(0)
	v_sub_u32_e32 v12, 0, v22
	v_max_i32_e32 v12, v22, v12
	v_mul_hi_u32 v13, v12, s35
	v_mul_lo_u32 v14, v13, s29
	v_sub_u32_e32 v12, v12, v14
	v_add_u32_e32 v14, 1, v13
	v_cmp_le_u32_e64 s[0:1], s29, v12
	v_ashrrev_i32_e32 v2, 31, v22
	v_xor_b32_e32 v2, s23, v2
	v_cndmask_b32_e64 v13, v13, v14, s[0:1]
	v_subrev_u32_e32 v14, s29, v12
	v_cndmask_b32_e64 v12, v12, v14, s[0:1]
	v_add_u32_e32 v14, 1, v13
	v_cmp_le_u32_e64 s[0:1], s29, v12
	s_nop 1
	v_cndmask_b32_e64 v12, v13, v14, s[0:1]
	v_xor_b32_e32 v12, v12, v2
	v_sub_u32_e32 v2, v12, v2
	v_add_u32_e32 v12, s42, v2
	v_sub_u32_e32 v14, 0, v12
	v_ashrrev_i32_e32 v13, 31, v12
	v_max_i32_e32 v12, v12, v14
	v_mul_hi_u32 v14, v12, v21
	v_mul_lo_u32 v14, v14, s58
	v_sub_u32_e32 v12, v12, v14
	v_subrev_u32_e32 v14, s58, v12
	v_cmp_le_u32_e64 s[0:1], s58, v12
	v_cmp_ge_i32_e64 s[10:11], s57, v2
	s_nop 0
	v_cndmask_b32_e64 v12, v12, v14, s[0:1]
	v_subrev_u32_e32 v14, s58, v12
	v_cmp_le_u32_e64 s[0:1], s58, v12
	s_nop 1
	v_cndmask_b32_e64 v12, v12, v14, s[0:1]
	v_xor_b32_e32 v12, v12, v13
	v_sub_u32_e32 v12, v12, v13
	v_cmp_ne_u32_e64 s[0:1], 0, v12
	s_and_b64 s[0:1], s[0:1], s[10:11]
	s_and_b64 s[46:47], vcc, s[0:1]
	s_and_saveexec_b64 s[10:11], s[46:47]
	s_cbranch_execz .LBB287_16
; %bb.15:                               ;   in Loop: Header=BB287_14 Depth=1
	v_mov_b32_e32 v2, 0xff7fffff
	ds_write_b32 v23, v2
.LBB287_16:                             ;   in Loop: Header=BB287_14 Depth=1
	s_or_b64 exec, exec, s[10:11]
	s_xor_b64 s[0:1], s[0:1], -1
	s_and_saveexec_b64 s[10:11], s[0:1]
	s_cbranch_execz .LBB287_13
; %bb.17:                               ;   in Loop: Header=BB287_14 Depth=1
	global_load_dword v2, v[10:11], off
                                        ; implicit-def: $sgpr50
	s_waitcnt vmcnt(0)
	v_mad_i64_i32 v[12:13], s[0:1], v2, s59, v[4:5]
	v_lshl_add_u64 v[12:13], v[12:13], 0, v[6:7]
	global_load_dword v14, v[12:13], off
	global_load_dword v28, v3, s[16:17]
	s_mov_b64 s[0:1], 0
	s_waitcnt vmcnt(1)
	v_cmp_gt_i16_sdwa s[46:47], v14, s60 src0_sel:BYTE_0 src1_sel:DWORD
	s_and_saveexec_b64 s[48:49], s[46:47]
	s_xor_b64 s[46:47], exec, s[48:49]
	s_cbranch_execnz .LBB287_179
; %bb.18:                               ;   in Loop: Header=BB287_14 Depth=1
	s_or_saveexec_b64 s[46:47], s[46:47]
	v_mov_b32_e32 v29, s50
	s_xor_b64 exec, exec, s[46:47]
	s_cbranch_execnz .LBB287_182
.LBB287_19:                             ;   in Loop: Header=BB287_14 Depth=1
	s_or_b64 exec, exec, s[46:47]
	s_and_saveexec_b64 s[46:47], s[0:1]
	s_cbranch_execz .LBB287_21
.LBB287_20:                             ;   in Loop: Header=BB287_14 Depth=1
	v_and_b32_e32 v2, 7, v14
	v_ffbh_u32_e32 v30, v2
	v_min_u32_e32 v32, 32, v30
	v_subrev_u32_e32 v30, 28, v32
	v_bfe_u32 v29, v14, 3, 4
	v_lshlrev_b64 v[30:31], v30, v[14:15]
	v_sub_u32_e32 v31, 29, v32
	v_cmp_eq_u32_e64 s[0:1], 0, v29
	v_and_b32_e32 v30, 7, v30
	s_nop 0
	v_cndmask_b32_e64 v29, v29, v31, s[0:1]
	v_cndmask_b32_e64 v2, v2, v30, s[0:1]
	v_lshlrev_b32_e32 v30, 8, v14
	v_lshl_add_u32 v29, v29, 10, v25
	v_and_or_b32 v29, v30, s62, v29
	v_lshl_or_b32 v2, v2, 7, v29
	v_cvt_f32_f16_e32 v29, v2
.LBB287_21:                             ;   in Loop: Header=BB287_14 Depth=1
	s_or_b64 exec, exec, s[46:47]
	v_lshrrev_b16_e32 v2, 8, v14
	v_cmp_lt_i16_e64 s[0:1], s60, v2
	s_mov_b64 s[46:47], 0
                                        ; implicit-def: $sgpr63
	s_and_saveexec_b64 s[48:49], s[0:1]
	s_xor_b64 s[48:49], exec, s[48:49]
	s_cbranch_execnz .LBB287_183
; %bb.22:                               ;   in Loop: Header=BB287_14 Depth=1
	s_or_saveexec_b64 s[48:49], s[48:49]
	v_mov_b32_e32 v30, s63
	s_xor_b64 exec, exec, s[48:49]
	s_cbranch_execnz .LBB287_186
.LBB287_23:                             ;   in Loop: Header=BB287_14 Depth=1
	s_or_b64 exec, exec, s[48:49]
	s_and_saveexec_b64 s[48:49], s[46:47]
	s_cbranch_execz .LBB287_25
.LBB287_24:                             ;   in Loop: Header=BB287_14 Depth=1
	v_and_b32_e32 v32, 7, v2
	v_ffbh_u32_e32 v30, v32
	v_min_u32_e32 v34, 32, v30
	v_subrev_u32_e32 v30, 28, v34
	v_bfe_u32 v33, v2, 3, 4
	v_lshlrev_b64 v[30:31], v30, v[2:3]
	v_sub_u32_e32 v31, 29, v34
	v_cmp_eq_u32_e64 s[0:1], 0, v33
	v_and_b32_e32 v30, 7, v30
	v_lshlrev_b32_e32 v2, 8, v2
	v_cndmask_b32_e64 v31, v33, v31, s[0:1]
	v_lshl_add_u32 v31, v31, 10, v25
	v_cndmask_b32_e64 v30, v32, v30, s[0:1]
	v_and_or_b32 v2, v2, s62, v31
	v_lshl_or_b32 v2, v30, 7, v2
	v_cvt_f32_f16_e32 v30, v2
.LBB287_25:                             ;   in Loop: Header=BB287_14 Depth=1
	s_or_b64 exec, exec, s[48:49]
	v_lshrrev_b32_e32 v2, 16, v14
	v_cmp_gt_i16_sdwa s[46:47], v2, s60 src0_sel:BYTE_0 src1_sel:DWORD
	s_mov_b64 s[0:1], 0
                                        ; implicit-def: $sgpr50
	s_and_saveexec_b64 s[48:49], s[46:47]
	s_xor_b64 s[46:47], exec, s[48:49]
	s_cbranch_execnz .LBB287_187
; %bb.26:                               ;   in Loop: Header=BB287_14 Depth=1
	s_or_saveexec_b64 s[46:47], s[46:47]
	v_mov_b32_e32 v31, s50
	s_xor_b64 exec, exec, s[46:47]
	s_cbranch_execnz .LBB287_190
.LBB287_27:                             ;   in Loop: Header=BB287_14 Depth=1
	s_or_b64 exec, exec, s[46:47]
	s_and_saveexec_b64 s[46:47], s[0:1]
	s_cbranch_execz .LBB287_29
.LBB287_28:                             ;   in Loop: Header=BB287_14 Depth=1
	v_bfe_u32 v31, v14, 16, 3
	v_ffbh_u32_e32 v32, v31
	v_min_u32_e32 v35, 32, v32
	v_subrev_u32_e32 v32, 28, v35
	v_bfe_u32 v34, v14, 19, 4
	v_lshlrev_b64 v[32:33], v32, v[2:3]
	v_sub_u32_e32 v33, 29, v35
	v_cmp_eq_u32_e64 s[0:1], 0, v34
	v_and_b32_e32 v32, 7, v32
	v_lshlrev_b32_e32 v2, 8, v2
	v_cndmask_b32_e64 v33, v34, v33, s[0:1]
	v_cndmask_b32_e64 v31, v31, v32, s[0:1]
	v_lshl_add_u32 v32, v33, 10, v25
	v_and_or_b32 v2, v2, s62, v32
	v_lshl_or_b32 v2, v31, 7, v2
	v_cvt_f32_f16_e32 v31, v2
.LBB287_29:                             ;   in Loop: Header=BB287_14 Depth=1
	s_or_b64 exec, exec, s[46:47]
	v_lshrrev_b32_e32 v2, 24, v14
	v_cmp_lt_i16_e64 s[0:1], s60, v2
	s_mov_b64 s[46:47], 0
                                        ; implicit-def: $sgpr63
	s_and_saveexec_b64 s[48:49], s[0:1]
	s_xor_b64 s[48:49], exec, s[48:49]
	s_cbranch_execnz .LBB287_191
; %bb.30:                               ;   in Loop: Header=BB287_14 Depth=1
	s_or_saveexec_b64 s[48:49], s[48:49]
	v_mov_b32_e32 v32, s63
	s_xor_b64 exec, exec, s[48:49]
	s_cbranch_execnz .LBB287_194
.LBB287_31:                             ;   in Loop: Header=BB287_14 Depth=1
	s_or_b64 exec, exec, s[48:49]
	s_and_saveexec_b64 s[48:49], s[46:47]
	s_cbranch_execz .LBB287_33
.LBB287_32:                             ;   in Loop: Header=BB287_14 Depth=1
	v_bfe_u32 v34, v14, 24, 3
	v_ffbh_u32_e32 v32, v34
	v_min_u32_e32 v35, 32, v32
	v_subrev_u32_e32 v32, 28, v35
	v_bfe_u32 v14, v14, 27, 4
	v_lshlrev_b64 v[32:33], v32, v[2:3]
	v_sub_u32_e32 v33, 29, v35
	v_cmp_eq_u32_e64 s[0:1], 0, v14
	v_and_b32_e32 v32, 7, v32
	v_lshlrev_b32_e32 v2, 8, v2
	v_cndmask_b32_e64 v14, v14, v33, s[0:1]
	v_lshl_add_u32 v14, v14, 10, v25
	v_cndmask_b32_e64 v32, v34, v32, s[0:1]
	v_and_or_b32 v2, v2, s62, v14
	v_lshl_or_b32 v2, v32, 7, v2
	v_cvt_f32_f16_e32 v32, v2
.LBB287_33:                             ;   in Loop: Header=BB287_14 Depth=1
	s_or_b64 exec, exec, s[48:49]
	global_load_dword v14, v[12:13], off offset:8
	s_mov_b64 s[0:1], 0
                                        ; implicit-def: $sgpr50
	s_waitcnt vmcnt(0)
	v_cmp_gt_i16_sdwa s[46:47], v14, s60 src0_sel:BYTE_0 src1_sel:DWORD
	s_and_saveexec_b64 s[48:49], s[46:47]
	s_xor_b64 s[46:47], exec, s[48:49]
	s_cbranch_execnz .LBB287_195
; %bb.34:                               ;   in Loop: Header=BB287_14 Depth=1
	s_or_saveexec_b64 s[46:47], s[46:47]
	v_mov_b32_e32 v33, s50
	s_xor_b64 exec, exec, s[46:47]
	s_cbranch_execnz .LBB287_198
.LBB287_35:                             ;   in Loop: Header=BB287_14 Depth=1
	s_or_b64 exec, exec, s[46:47]
	s_and_saveexec_b64 s[46:47], s[0:1]
	s_cbranch_execz .LBB287_37
.LBB287_36:                             ;   in Loop: Header=BB287_14 Depth=1
	v_and_b32_e32 v2, 7, v14
	v_ffbh_u32_e32 v34, v2
	v_min_u32_e32 v36, 32, v34
	v_subrev_u32_e32 v34, 28, v36
	v_bfe_u32 v33, v14, 3, 4
	v_lshlrev_b64 v[34:35], v34, v[14:15]
	v_sub_u32_e32 v35, 29, v36
	v_cmp_eq_u32_e64 s[0:1], 0, v33
	v_and_b32_e32 v34, 7, v34
	s_nop 0
	v_cndmask_b32_e64 v33, v33, v35, s[0:1]
	v_cndmask_b32_e64 v2, v2, v34, s[0:1]
	v_lshlrev_b32_e32 v34, 8, v14
	v_lshl_add_u32 v33, v33, 10, v25
	v_and_or_b32 v33, v34, s62, v33
	v_lshl_or_b32 v2, v2, 7, v33
	v_cvt_f32_f16_e32 v33, v2
.LBB287_37:                             ;   in Loop: Header=BB287_14 Depth=1
	s_or_b64 exec, exec, s[46:47]
	v_lshrrev_b16_e32 v2, 8, v14
	v_cmp_lt_i16_e64 s[0:1], s60, v2
	s_mov_b64 s[46:47], 0
                                        ; implicit-def: $sgpr63
	s_and_saveexec_b64 s[48:49], s[0:1]
	s_xor_b64 s[48:49], exec, s[48:49]
	s_cbranch_execnz .LBB287_199
; %bb.38:                               ;   in Loop: Header=BB287_14 Depth=1
	s_or_saveexec_b64 s[48:49], s[48:49]
	v_mov_b32_e32 v34, s63
	s_xor_b64 exec, exec, s[48:49]
	s_cbranch_execnz .LBB287_202
.LBB287_39:                             ;   in Loop: Header=BB287_14 Depth=1
	s_or_b64 exec, exec, s[48:49]
	s_and_saveexec_b64 s[48:49], s[46:47]
	s_cbranch_execz .LBB287_41
.LBB287_40:                             ;   in Loop: Header=BB287_14 Depth=1
	v_and_b32_e32 v36, 7, v2
	v_ffbh_u32_e32 v34, v36
	v_min_u32_e32 v38, 32, v34
	v_subrev_u32_e32 v34, 28, v38
	v_bfe_u32 v37, v2, 3, 4
	v_lshlrev_b64 v[34:35], v34, v[2:3]
	v_sub_u32_e32 v35, 29, v38
	v_cmp_eq_u32_e64 s[0:1], 0, v37
	v_and_b32_e32 v34, 7, v34
	v_lshlrev_b32_e32 v2, 8, v2
	v_cndmask_b32_e64 v35, v37, v35, s[0:1]
	v_lshl_add_u32 v35, v35, 10, v25
	v_cndmask_b32_e64 v34, v36, v34, s[0:1]
	v_and_or_b32 v2, v2, s62, v35
	v_lshl_or_b32 v2, v34, 7, v2
	v_cvt_f32_f16_e32 v34, v2
.LBB287_41:                             ;   in Loop: Header=BB287_14 Depth=1
	s_or_b64 exec, exec, s[48:49]
	v_lshrrev_b32_e32 v2, 16, v14
	v_cmp_gt_i16_sdwa s[46:47], v2, s60 src0_sel:BYTE_0 src1_sel:DWORD
	s_mov_b64 s[0:1], 0
                                        ; implicit-def: $sgpr50
	s_and_saveexec_b64 s[48:49], s[46:47]
	s_xor_b64 s[46:47], exec, s[48:49]
	s_cbranch_execnz .LBB287_203
; %bb.42:                               ;   in Loop: Header=BB287_14 Depth=1
	s_or_saveexec_b64 s[46:47], s[46:47]
	v_mov_b32_e32 v35, s50
	s_xor_b64 exec, exec, s[46:47]
	s_cbranch_execnz .LBB287_206
.LBB287_43:                             ;   in Loop: Header=BB287_14 Depth=1
	s_or_b64 exec, exec, s[46:47]
	s_and_saveexec_b64 s[46:47], s[0:1]
	s_cbranch_execz .LBB287_45
.LBB287_44:                             ;   in Loop: Header=BB287_14 Depth=1
	v_bfe_u32 v35, v14, 16, 3
	v_ffbh_u32_e32 v36, v35
	v_min_u32_e32 v39, 32, v36
	v_subrev_u32_e32 v36, 28, v39
	v_bfe_u32 v38, v14, 19, 4
	v_lshlrev_b64 v[36:37], v36, v[2:3]
	v_sub_u32_e32 v37, 29, v39
	v_cmp_eq_u32_e64 s[0:1], 0, v38
	v_and_b32_e32 v36, 7, v36
	v_lshlrev_b32_e32 v2, 8, v2
	v_cndmask_b32_e64 v37, v38, v37, s[0:1]
	v_cndmask_b32_e64 v35, v35, v36, s[0:1]
	v_lshl_add_u32 v36, v37, 10, v25
	v_and_or_b32 v2, v2, s62, v36
	v_lshl_or_b32 v2, v35, 7, v2
	v_cvt_f32_f16_e32 v35, v2
.LBB287_45:                             ;   in Loop: Header=BB287_14 Depth=1
	s_or_b64 exec, exec, s[46:47]
	v_lshrrev_b32_e32 v2, 24, v14
	v_cmp_lt_i16_e64 s[0:1], s60, v2
	s_mov_b64 s[46:47], 0
                                        ; implicit-def: $sgpr63
	s_and_saveexec_b64 s[48:49], s[0:1]
	s_xor_b64 s[48:49], exec, s[48:49]
	s_cbranch_execnz .LBB287_207
; %bb.46:                               ;   in Loop: Header=BB287_14 Depth=1
	s_or_saveexec_b64 s[48:49], s[48:49]
	v_mov_b32_e32 v36, s63
	s_xor_b64 exec, exec, s[48:49]
	s_cbranch_execnz .LBB287_210
.LBB287_47:                             ;   in Loop: Header=BB287_14 Depth=1
	s_or_b64 exec, exec, s[48:49]
	s_and_saveexec_b64 s[48:49], s[46:47]
	s_cbranch_execz .LBB287_49
.LBB287_48:                             ;   in Loop: Header=BB287_14 Depth=1
	v_bfe_u32 v38, v14, 24, 3
	v_ffbh_u32_e32 v36, v38
	v_min_u32_e32 v39, 32, v36
	v_subrev_u32_e32 v36, 28, v39
	v_bfe_u32 v14, v14, 27, 4
	v_lshlrev_b64 v[36:37], v36, v[2:3]
	v_sub_u32_e32 v37, 29, v39
	v_cmp_eq_u32_e64 s[0:1], 0, v14
	v_and_b32_e32 v36, 7, v36
	v_lshlrev_b32_e32 v2, 8, v2
	v_cndmask_b32_e64 v14, v14, v37, s[0:1]
	v_lshl_add_u32 v14, v14, 10, v25
	v_cndmask_b32_e64 v36, v38, v36, s[0:1]
	v_and_or_b32 v2, v2, s62, v14
	v_lshl_or_b32 v2, v36, 7, v2
	v_cvt_f32_f16_e32 v36, v2
.LBB287_49:                             ;   in Loop: Header=BB287_14 Depth=1
	s_or_b64 exec, exec, s[48:49]
	global_load_dword v14, v[12:13], off offset:512
	s_mov_b64 s[0:1], 0
                                        ; implicit-def: $sgpr50
	s_waitcnt vmcnt(0)
	v_cmp_gt_i16_sdwa s[46:47], v14, s60 src0_sel:BYTE_0 src1_sel:DWORD
	s_and_saveexec_b64 s[48:49], s[46:47]
	s_xor_b64 s[46:47], exec, s[48:49]
	s_cbranch_execnz .LBB287_211
; %bb.50:                               ;   in Loop: Header=BB287_14 Depth=1
	s_or_saveexec_b64 s[46:47], s[46:47]
	v_mov_b32_e32 v37, s50
	s_xor_b64 exec, exec, s[46:47]
	s_cbranch_execnz .LBB287_214
.LBB287_51:                             ;   in Loop: Header=BB287_14 Depth=1
	s_or_b64 exec, exec, s[46:47]
	s_and_saveexec_b64 s[46:47], s[0:1]
	s_cbranch_execz .LBB287_53
.LBB287_52:                             ;   in Loop: Header=BB287_14 Depth=1
	v_and_b32_e32 v2, 7, v14
	v_ffbh_u32_e32 v38, v2
	v_min_u32_e32 v40, 32, v38
	v_subrev_u32_e32 v38, 28, v40
	v_bfe_u32 v37, v14, 3, 4
	v_lshlrev_b64 v[38:39], v38, v[14:15]
	v_sub_u32_e32 v39, 29, v40
	v_cmp_eq_u32_e64 s[0:1], 0, v37
	v_and_b32_e32 v38, 7, v38
	s_nop 0
	v_cndmask_b32_e64 v37, v37, v39, s[0:1]
	v_cndmask_b32_e64 v2, v2, v38, s[0:1]
	v_lshlrev_b32_e32 v38, 8, v14
	v_lshl_add_u32 v37, v37, 10, v25
	v_and_or_b32 v37, v38, s62, v37
	v_lshl_or_b32 v2, v2, 7, v37
	v_cvt_f32_f16_e32 v37, v2
.LBB287_53:                             ;   in Loop: Header=BB287_14 Depth=1
	s_or_b64 exec, exec, s[46:47]
	v_lshrrev_b16_e32 v2, 8, v14
	v_cmp_lt_i16_e64 s[0:1], s60, v2
	s_mov_b64 s[46:47], 0
                                        ; implicit-def: $sgpr63
	s_and_saveexec_b64 s[48:49], s[0:1]
	s_xor_b64 s[48:49], exec, s[48:49]
	s_cbranch_execnz .LBB287_215
; %bb.54:                               ;   in Loop: Header=BB287_14 Depth=1
	s_or_saveexec_b64 s[48:49], s[48:49]
	v_mov_b32_e32 v38, s63
	s_xor_b64 exec, exec, s[48:49]
	s_cbranch_execnz .LBB287_218
.LBB287_55:                             ;   in Loop: Header=BB287_14 Depth=1
	s_or_b64 exec, exec, s[48:49]
	s_and_saveexec_b64 s[48:49], s[46:47]
	s_cbranch_execz .LBB287_57
.LBB287_56:                             ;   in Loop: Header=BB287_14 Depth=1
	v_and_b32_e32 v40, 7, v2
	v_ffbh_u32_e32 v38, v40
	v_min_u32_e32 v42, 32, v38
	v_subrev_u32_e32 v38, 28, v42
	v_bfe_u32 v41, v2, 3, 4
	v_lshlrev_b64 v[38:39], v38, v[2:3]
	v_sub_u32_e32 v39, 29, v42
	v_cmp_eq_u32_e64 s[0:1], 0, v41
	v_and_b32_e32 v38, 7, v38
	v_lshlrev_b32_e32 v2, 8, v2
	v_cndmask_b32_e64 v39, v41, v39, s[0:1]
	v_lshl_add_u32 v39, v39, 10, v25
	v_cndmask_b32_e64 v38, v40, v38, s[0:1]
	v_and_or_b32 v2, v2, s62, v39
	v_lshl_or_b32 v2, v38, 7, v2
	v_cvt_f32_f16_e32 v38, v2
.LBB287_57:                             ;   in Loop: Header=BB287_14 Depth=1
	s_or_b64 exec, exec, s[48:49]
	v_lshrrev_b32_e32 v2, 16, v14
	v_cmp_gt_i16_sdwa s[46:47], v2, s60 src0_sel:BYTE_0 src1_sel:DWORD
	s_mov_b64 s[0:1], 0
                                        ; implicit-def: $sgpr50
	s_and_saveexec_b64 s[48:49], s[46:47]
	s_xor_b64 s[46:47], exec, s[48:49]
	s_cbranch_execnz .LBB287_219
; %bb.58:                               ;   in Loop: Header=BB287_14 Depth=1
	s_or_saveexec_b64 s[46:47], s[46:47]
	v_mov_b32_e32 v39, s50
	s_xor_b64 exec, exec, s[46:47]
	s_cbranch_execnz .LBB287_222
.LBB287_59:                             ;   in Loop: Header=BB287_14 Depth=1
	s_or_b64 exec, exec, s[46:47]
	s_and_saveexec_b64 s[46:47], s[0:1]
	s_cbranch_execz .LBB287_61
.LBB287_60:                             ;   in Loop: Header=BB287_14 Depth=1
	v_bfe_u32 v39, v14, 16, 3
	v_ffbh_u32_e32 v40, v39
	v_min_u32_e32 v43, 32, v40
	v_subrev_u32_e32 v40, 28, v43
	v_bfe_u32 v42, v14, 19, 4
	v_lshlrev_b64 v[40:41], v40, v[2:3]
	v_sub_u32_e32 v41, 29, v43
	v_cmp_eq_u32_e64 s[0:1], 0, v42
	v_and_b32_e32 v40, 7, v40
	v_lshlrev_b32_e32 v2, 8, v2
	v_cndmask_b32_e64 v41, v42, v41, s[0:1]
	v_cndmask_b32_e64 v39, v39, v40, s[0:1]
	v_lshl_add_u32 v40, v41, 10, v25
	v_and_or_b32 v2, v2, s62, v40
	v_lshl_or_b32 v2, v39, 7, v2
	v_cvt_f32_f16_e32 v39, v2
.LBB287_61:                             ;   in Loop: Header=BB287_14 Depth=1
	s_or_b64 exec, exec, s[46:47]
	v_lshrrev_b32_e32 v2, 24, v14
	v_cmp_lt_i16_e64 s[0:1], s60, v2
	s_mov_b64 s[46:47], 0
                                        ; implicit-def: $sgpr63
	s_and_saveexec_b64 s[48:49], s[0:1]
	s_xor_b64 s[48:49], exec, s[48:49]
	s_cbranch_execnz .LBB287_223
; %bb.62:                               ;   in Loop: Header=BB287_14 Depth=1
	s_or_saveexec_b64 s[48:49], s[48:49]
	v_mov_b32_e32 v40, s63
	s_xor_b64 exec, exec, s[48:49]
	s_cbranch_execnz .LBB287_226
.LBB287_63:                             ;   in Loop: Header=BB287_14 Depth=1
	s_or_b64 exec, exec, s[48:49]
	s_and_saveexec_b64 s[48:49], s[46:47]
	s_cbranch_execz .LBB287_65
.LBB287_64:                             ;   in Loop: Header=BB287_14 Depth=1
	v_bfe_u32 v42, v14, 24, 3
	v_ffbh_u32_e32 v40, v42
	v_min_u32_e32 v43, 32, v40
	v_subrev_u32_e32 v40, 28, v43
	v_bfe_u32 v14, v14, 27, 4
	v_lshlrev_b64 v[40:41], v40, v[2:3]
	v_sub_u32_e32 v41, 29, v43
	v_cmp_eq_u32_e64 s[0:1], 0, v14
	v_and_b32_e32 v40, 7, v40
	v_lshlrev_b32_e32 v2, 8, v2
	v_cndmask_b32_e64 v14, v14, v41, s[0:1]
	v_lshl_add_u32 v14, v14, 10, v25
	v_cndmask_b32_e64 v40, v42, v40, s[0:1]
	v_and_or_b32 v2, v2, s62, v14
	v_lshl_or_b32 v2, v40, 7, v2
	v_cvt_f32_f16_e32 v40, v2
.LBB287_65:                             ;   in Loop: Header=BB287_14 Depth=1
	s_or_b64 exec, exec, s[48:49]
	global_load_dword v14, v[12:13], off offset:520
	s_mov_b64 s[0:1], 0
                                        ; implicit-def: $sgpr50
	s_waitcnt vmcnt(0)
	v_cmp_gt_i16_sdwa s[46:47], v14, s60 src0_sel:BYTE_0 src1_sel:DWORD
	s_and_saveexec_b64 s[48:49], s[46:47]
	s_xor_b64 s[46:47], exec, s[48:49]
	s_cbranch_execnz .LBB287_227
; %bb.66:                               ;   in Loop: Header=BB287_14 Depth=1
	s_or_saveexec_b64 s[46:47], s[46:47]
	v_mov_b32_e32 v41, s50
	s_xor_b64 exec, exec, s[46:47]
	s_cbranch_execnz .LBB287_230
.LBB287_67:                             ;   in Loop: Header=BB287_14 Depth=1
	s_or_b64 exec, exec, s[46:47]
	s_and_saveexec_b64 s[46:47], s[0:1]
	s_cbranch_execz .LBB287_69
.LBB287_68:                             ;   in Loop: Header=BB287_14 Depth=1
	v_and_b32_e32 v2, 7, v14
	v_ffbh_u32_e32 v42, v2
	v_min_u32_e32 v44, 32, v42
	v_subrev_u32_e32 v42, 28, v44
	v_bfe_u32 v41, v14, 3, 4
	v_lshlrev_b64 v[42:43], v42, v[14:15]
	v_sub_u32_e32 v43, 29, v44
	v_cmp_eq_u32_e64 s[0:1], 0, v41
	v_and_b32_e32 v42, 7, v42
	s_nop 0
	v_cndmask_b32_e64 v41, v41, v43, s[0:1]
	v_cndmask_b32_e64 v2, v2, v42, s[0:1]
	v_lshlrev_b32_e32 v42, 8, v14
	v_lshl_add_u32 v41, v41, 10, v25
	v_and_or_b32 v41, v42, s62, v41
	v_lshl_or_b32 v2, v2, 7, v41
	v_cvt_f32_f16_e32 v41, v2
.LBB287_69:                             ;   in Loop: Header=BB287_14 Depth=1
	s_or_b64 exec, exec, s[46:47]
	v_lshrrev_b16_e32 v2, 8, v14
	v_cmp_lt_i16_e64 s[0:1], s60, v2
	s_mov_b64 s[46:47], 0
                                        ; implicit-def: $sgpr63
	s_and_saveexec_b64 s[48:49], s[0:1]
	s_xor_b64 s[48:49], exec, s[48:49]
	s_cbranch_execnz .LBB287_231
; %bb.70:                               ;   in Loop: Header=BB287_14 Depth=1
	s_or_saveexec_b64 s[48:49], s[48:49]
	v_mov_b32_e32 v42, s63
	s_xor_b64 exec, exec, s[48:49]
	s_cbranch_execnz .LBB287_234
.LBB287_71:                             ;   in Loop: Header=BB287_14 Depth=1
	s_or_b64 exec, exec, s[48:49]
	s_and_saveexec_b64 s[48:49], s[46:47]
	s_cbranch_execz .LBB287_73
.LBB287_72:                             ;   in Loop: Header=BB287_14 Depth=1
	v_and_b32_e32 v44, 7, v2
	v_ffbh_u32_e32 v42, v44
	v_min_u32_e32 v46, 32, v42
	v_subrev_u32_e32 v42, 28, v46
	v_bfe_u32 v45, v2, 3, 4
	v_lshlrev_b64 v[42:43], v42, v[2:3]
	v_sub_u32_e32 v43, 29, v46
	v_cmp_eq_u32_e64 s[0:1], 0, v45
	v_and_b32_e32 v42, 7, v42
	v_lshlrev_b32_e32 v2, 8, v2
	v_cndmask_b32_e64 v43, v45, v43, s[0:1]
	v_lshl_add_u32 v43, v43, 10, v25
	v_cndmask_b32_e64 v42, v44, v42, s[0:1]
	v_and_or_b32 v2, v2, s62, v43
	v_lshl_or_b32 v2, v42, 7, v2
	v_cvt_f32_f16_e32 v42, v2
.LBB287_73:                             ;   in Loop: Header=BB287_14 Depth=1
	s_or_b64 exec, exec, s[48:49]
	v_lshrrev_b32_e32 v2, 16, v14
	v_cmp_gt_i16_sdwa s[46:47], v2, s60 src0_sel:BYTE_0 src1_sel:DWORD
	s_mov_b64 s[0:1], 0
                                        ; implicit-def: $sgpr50
	s_and_saveexec_b64 s[48:49], s[46:47]
	s_xor_b64 s[46:47], exec, s[48:49]
	s_cbranch_execnz .LBB287_235
; %bb.74:                               ;   in Loop: Header=BB287_14 Depth=1
	s_or_saveexec_b64 s[46:47], s[46:47]
	v_mov_b32_e32 v43, s50
	s_xor_b64 exec, exec, s[46:47]
	s_cbranch_execnz .LBB287_238
.LBB287_75:                             ;   in Loop: Header=BB287_14 Depth=1
	s_or_b64 exec, exec, s[46:47]
	s_and_saveexec_b64 s[46:47], s[0:1]
	s_cbranch_execz .LBB287_77
.LBB287_76:                             ;   in Loop: Header=BB287_14 Depth=1
	v_bfe_u32 v43, v14, 16, 3
	v_ffbh_u32_e32 v44, v43
	v_min_u32_e32 v47, 32, v44
	v_subrev_u32_e32 v44, 28, v47
	v_bfe_u32 v46, v14, 19, 4
	v_lshlrev_b64 v[44:45], v44, v[2:3]
	v_sub_u32_e32 v45, 29, v47
	v_cmp_eq_u32_e64 s[0:1], 0, v46
	v_and_b32_e32 v44, 7, v44
	v_lshlrev_b32_e32 v2, 8, v2
	v_cndmask_b32_e64 v45, v46, v45, s[0:1]
	v_cndmask_b32_e64 v43, v43, v44, s[0:1]
	v_lshl_add_u32 v44, v45, 10, v25
	v_and_or_b32 v2, v2, s62, v44
	v_lshl_or_b32 v2, v43, 7, v2
	v_cvt_f32_f16_e32 v43, v2
.LBB287_77:                             ;   in Loop: Header=BB287_14 Depth=1
	s_or_b64 exec, exec, s[46:47]
	v_lshrrev_b32_e32 v2, 24, v14
	v_cmp_lt_i16_e64 s[0:1], s60, v2
	s_mov_b64 s[46:47], 0
                                        ; implicit-def: $sgpr63
	s_and_saveexec_b64 s[48:49], s[0:1]
	s_xor_b64 s[48:49], exec, s[48:49]
	s_cbranch_execnz .LBB287_239
; %bb.78:                               ;   in Loop: Header=BB287_14 Depth=1
	s_or_saveexec_b64 s[48:49], s[48:49]
	v_mov_b32_e32 v44, s63
	s_xor_b64 exec, exec, s[48:49]
	s_cbranch_execnz .LBB287_242
.LBB287_79:                             ;   in Loop: Header=BB287_14 Depth=1
	s_or_b64 exec, exec, s[48:49]
	s_and_saveexec_b64 s[48:49], s[46:47]
	s_cbranch_execz .LBB287_81
.LBB287_80:                             ;   in Loop: Header=BB287_14 Depth=1
	v_bfe_u32 v46, v14, 24, 3
	v_ffbh_u32_e32 v44, v46
	v_min_u32_e32 v47, 32, v44
	v_subrev_u32_e32 v44, 28, v47
	v_bfe_u32 v14, v14, 27, 4
	v_lshlrev_b64 v[44:45], v44, v[2:3]
	v_sub_u32_e32 v45, 29, v47
	v_cmp_eq_u32_e64 s[0:1], 0, v14
	v_and_b32_e32 v44, 7, v44
	v_lshlrev_b32_e32 v2, 8, v2
	v_cndmask_b32_e64 v14, v14, v45, s[0:1]
	v_lshl_add_u32 v14, v14, 10, v25
	v_cndmask_b32_e64 v44, v46, v44, s[0:1]
	v_and_or_b32 v2, v2, s62, v14
	v_lshl_or_b32 v2, v44, 7, v2
	v_cvt_f32_f16_e32 v44, v2
.LBB287_81:                             ;   in Loop: Header=BB287_14 Depth=1
	s_or_b64 exec, exec, s[48:49]
	global_load_dword v14, v[12:13], off offset:1024
	s_mov_b64 s[0:1], 0
                                        ; implicit-def: $sgpr50
	s_waitcnt vmcnt(0)
	v_cmp_gt_i16_sdwa s[46:47], v14, s60 src0_sel:BYTE_0 src1_sel:DWORD
	s_and_saveexec_b64 s[48:49], s[46:47]
	s_xor_b64 s[46:47], exec, s[48:49]
	s_cbranch_execnz .LBB287_243
; %bb.82:                               ;   in Loop: Header=BB287_14 Depth=1
	s_or_saveexec_b64 s[46:47], s[46:47]
	v_mov_b32_e32 v45, s50
	s_xor_b64 exec, exec, s[46:47]
	s_cbranch_execnz .LBB287_246
.LBB287_83:                             ;   in Loop: Header=BB287_14 Depth=1
	s_or_b64 exec, exec, s[46:47]
	s_and_saveexec_b64 s[46:47], s[0:1]
	s_cbranch_execz .LBB287_85
.LBB287_84:                             ;   in Loop: Header=BB287_14 Depth=1
	v_and_b32_e32 v2, 7, v14
	v_ffbh_u32_e32 v46, v2
	v_min_u32_e32 v48, 32, v46
	v_subrev_u32_e32 v46, 28, v48
	v_bfe_u32 v45, v14, 3, 4
	v_lshlrev_b64 v[46:47], v46, v[14:15]
	v_sub_u32_e32 v47, 29, v48
	v_cmp_eq_u32_e64 s[0:1], 0, v45
	v_and_b32_e32 v46, 7, v46
	s_nop 0
	v_cndmask_b32_e64 v45, v45, v47, s[0:1]
	v_cndmask_b32_e64 v2, v2, v46, s[0:1]
	v_lshlrev_b32_e32 v46, 8, v14
	v_lshl_add_u32 v45, v45, 10, v25
	v_and_or_b32 v45, v46, s62, v45
	v_lshl_or_b32 v2, v2, 7, v45
	v_cvt_f32_f16_e32 v45, v2
.LBB287_85:                             ;   in Loop: Header=BB287_14 Depth=1
	s_or_b64 exec, exec, s[46:47]
	v_lshrrev_b16_e32 v2, 8, v14
	v_cmp_lt_i16_e64 s[0:1], s60, v2
	s_mov_b64 s[46:47], 0
                                        ; implicit-def: $sgpr63
	s_and_saveexec_b64 s[48:49], s[0:1]
	s_xor_b64 s[48:49], exec, s[48:49]
	s_cbranch_execnz .LBB287_247
; %bb.86:                               ;   in Loop: Header=BB287_14 Depth=1
	s_or_saveexec_b64 s[48:49], s[48:49]
	v_mov_b32_e32 v46, s63
	s_xor_b64 exec, exec, s[48:49]
	s_cbranch_execnz .LBB287_250
.LBB287_87:                             ;   in Loop: Header=BB287_14 Depth=1
	s_or_b64 exec, exec, s[48:49]
	s_and_saveexec_b64 s[48:49], s[46:47]
	s_cbranch_execz .LBB287_89
.LBB287_88:                             ;   in Loop: Header=BB287_14 Depth=1
	v_and_b32_e32 v48, 7, v2
	v_ffbh_u32_e32 v46, v48
	v_min_u32_e32 v50, 32, v46
	v_subrev_u32_e32 v46, 28, v50
	v_bfe_u32 v49, v2, 3, 4
	v_lshlrev_b64 v[46:47], v46, v[2:3]
	v_sub_u32_e32 v47, 29, v50
	v_cmp_eq_u32_e64 s[0:1], 0, v49
	v_and_b32_e32 v46, 7, v46
	v_lshlrev_b32_e32 v2, 8, v2
	v_cndmask_b32_e64 v47, v49, v47, s[0:1]
	v_lshl_add_u32 v47, v47, 10, v25
	v_cndmask_b32_e64 v46, v48, v46, s[0:1]
	v_and_or_b32 v2, v2, s62, v47
	v_lshl_or_b32 v2, v46, 7, v2
	v_cvt_f32_f16_e32 v46, v2
.LBB287_89:                             ;   in Loop: Header=BB287_14 Depth=1
	s_or_b64 exec, exec, s[48:49]
	v_lshrrev_b32_e32 v2, 16, v14
	v_cmp_gt_i16_sdwa s[46:47], v2, s60 src0_sel:BYTE_0 src1_sel:DWORD
	s_mov_b64 s[0:1], 0
                                        ; implicit-def: $sgpr50
	s_and_saveexec_b64 s[48:49], s[46:47]
	s_xor_b64 s[46:47], exec, s[48:49]
	s_cbranch_execnz .LBB287_251
; %bb.90:                               ;   in Loop: Header=BB287_14 Depth=1
	s_or_saveexec_b64 s[46:47], s[46:47]
	v_mov_b32_e32 v47, s50
	s_xor_b64 exec, exec, s[46:47]
	s_cbranch_execnz .LBB287_254
.LBB287_91:                             ;   in Loop: Header=BB287_14 Depth=1
	s_or_b64 exec, exec, s[46:47]
	s_and_saveexec_b64 s[46:47], s[0:1]
	s_cbranch_execz .LBB287_93
.LBB287_92:                             ;   in Loop: Header=BB287_14 Depth=1
	v_bfe_u32 v47, v14, 16, 3
	v_ffbh_u32_e32 v48, v47
	v_min_u32_e32 v51, 32, v48
	v_subrev_u32_e32 v48, 28, v51
	v_bfe_u32 v50, v14, 19, 4
	v_lshlrev_b64 v[48:49], v48, v[2:3]
	v_sub_u32_e32 v49, 29, v51
	v_cmp_eq_u32_e64 s[0:1], 0, v50
	v_and_b32_e32 v48, 7, v48
	v_lshlrev_b32_e32 v2, 8, v2
	v_cndmask_b32_e64 v49, v50, v49, s[0:1]
	v_cndmask_b32_e64 v47, v47, v48, s[0:1]
	v_lshl_add_u32 v48, v49, 10, v25
	v_and_or_b32 v2, v2, s62, v48
	v_lshl_or_b32 v2, v47, 7, v2
	v_cvt_f32_f16_e32 v47, v2
.LBB287_93:                             ;   in Loop: Header=BB287_14 Depth=1
	s_or_b64 exec, exec, s[46:47]
	v_lshrrev_b32_e32 v2, 24, v14
	v_cmp_lt_i16_e64 s[0:1], s60, v2
	s_mov_b64 s[46:47], 0
                                        ; implicit-def: $sgpr63
	s_and_saveexec_b64 s[48:49], s[0:1]
	s_xor_b64 s[48:49], exec, s[48:49]
	s_cbranch_execnz .LBB287_255
; %bb.94:                               ;   in Loop: Header=BB287_14 Depth=1
	s_or_saveexec_b64 s[48:49], s[48:49]
	v_mov_b32_e32 v48, s63
	s_xor_b64 exec, exec, s[48:49]
	s_cbranch_execnz .LBB287_258
.LBB287_95:                             ;   in Loop: Header=BB287_14 Depth=1
	s_or_b64 exec, exec, s[48:49]
	s_and_saveexec_b64 s[48:49], s[46:47]
	s_cbranch_execz .LBB287_97
.LBB287_96:                             ;   in Loop: Header=BB287_14 Depth=1
	v_bfe_u32 v50, v14, 24, 3
	v_ffbh_u32_e32 v48, v50
	v_min_u32_e32 v51, 32, v48
	v_subrev_u32_e32 v48, 28, v51
	v_bfe_u32 v14, v14, 27, 4
	v_lshlrev_b64 v[48:49], v48, v[2:3]
	v_sub_u32_e32 v49, 29, v51
	v_cmp_eq_u32_e64 s[0:1], 0, v14
	v_and_b32_e32 v48, 7, v48
	v_lshlrev_b32_e32 v2, 8, v2
	v_cndmask_b32_e64 v14, v14, v49, s[0:1]
	v_lshl_add_u32 v14, v14, 10, v25
	v_cndmask_b32_e64 v48, v50, v48, s[0:1]
	v_and_or_b32 v2, v2, s62, v14
	v_lshl_or_b32 v2, v48, 7, v2
	v_cvt_f32_f16_e32 v48, v2
.LBB287_97:                             ;   in Loop: Header=BB287_14 Depth=1
	s_or_b64 exec, exec, s[48:49]
	global_load_dword v14, v[12:13], off offset:1032
	s_mov_b64 s[0:1], 0
                                        ; implicit-def: $sgpr50
	s_waitcnt vmcnt(0)
	v_cmp_gt_i16_sdwa s[46:47], v14, s60 src0_sel:BYTE_0 src1_sel:DWORD
	s_and_saveexec_b64 s[48:49], s[46:47]
	s_xor_b64 s[46:47], exec, s[48:49]
	s_cbranch_execnz .LBB287_259
; %bb.98:                               ;   in Loop: Header=BB287_14 Depth=1
	s_or_saveexec_b64 s[46:47], s[46:47]
	v_mov_b32_e32 v49, s50
	s_xor_b64 exec, exec, s[46:47]
	s_cbranch_execnz .LBB287_262
.LBB287_99:                             ;   in Loop: Header=BB287_14 Depth=1
	s_or_b64 exec, exec, s[46:47]
	s_and_saveexec_b64 s[46:47], s[0:1]
	s_cbranch_execz .LBB287_101
.LBB287_100:                            ;   in Loop: Header=BB287_14 Depth=1
	v_and_b32_e32 v2, 7, v14
	v_ffbh_u32_e32 v50, v2
	v_min_u32_e32 v52, 32, v50
	v_subrev_u32_e32 v50, 28, v52
	v_bfe_u32 v49, v14, 3, 4
	v_lshlrev_b64 v[50:51], v50, v[14:15]
	v_sub_u32_e32 v51, 29, v52
	v_cmp_eq_u32_e64 s[0:1], 0, v49
	v_and_b32_e32 v50, 7, v50
	s_nop 0
	v_cndmask_b32_e64 v49, v49, v51, s[0:1]
	v_cndmask_b32_e64 v2, v2, v50, s[0:1]
	v_lshlrev_b32_e32 v50, 8, v14
	v_lshl_add_u32 v49, v49, 10, v25
	v_and_or_b32 v49, v50, s62, v49
	v_lshl_or_b32 v2, v2, 7, v49
	v_cvt_f32_f16_e32 v49, v2
.LBB287_101:                            ;   in Loop: Header=BB287_14 Depth=1
	s_or_b64 exec, exec, s[46:47]
	v_lshrrev_b16_e32 v2, 8, v14
	v_cmp_lt_i16_e64 s[0:1], s60, v2
	s_mov_b64 s[46:47], 0
                                        ; implicit-def: $sgpr63
	s_and_saveexec_b64 s[48:49], s[0:1]
	s_xor_b64 s[48:49], exec, s[48:49]
	s_cbranch_execnz .LBB287_263
; %bb.102:                              ;   in Loop: Header=BB287_14 Depth=1
	s_or_saveexec_b64 s[48:49], s[48:49]
	v_mov_b32_e32 v50, s63
	s_xor_b64 exec, exec, s[48:49]
	s_cbranch_execnz .LBB287_266
.LBB287_103:                            ;   in Loop: Header=BB287_14 Depth=1
	s_or_b64 exec, exec, s[48:49]
	s_and_saveexec_b64 s[48:49], s[46:47]
	s_cbranch_execz .LBB287_105
.LBB287_104:                            ;   in Loop: Header=BB287_14 Depth=1
	v_and_b32_e32 v52, 7, v2
	v_ffbh_u32_e32 v50, v52
	v_min_u32_e32 v54, 32, v50
	v_subrev_u32_e32 v50, 28, v54
	v_bfe_u32 v53, v2, 3, 4
	v_lshlrev_b64 v[50:51], v50, v[2:3]
	v_sub_u32_e32 v51, 29, v54
	v_cmp_eq_u32_e64 s[0:1], 0, v53
	v_and_b32_e32 v50, 7, v50
	v_lshlrev_b32_e32 v2, 8, v2
	v_cndmask_b32_e64 v51, v53, v51, s[0:1]
	v_lshl_add_u32 v51, v51, 10, v25
	v_cndmask_b32_e64 v50, v52, v50, s[0:1]
	v_and_or_b32 v2, v2, s62, v51
	v_lshl_or_b32 v2, v50, 7, v2
	v_cvt_f32_f16_e32 v50, v2
.LBB287_105:                            ;   in Loop: Header=BB287_14 Depth=1
	s_or_b64 exec, exec, s[48:49]
	v_lshrrev_b32_e32 v2, 16, v14
	v_cmp_gt_i16_sdwa s[46:47], v2, s60 src0_sel:BYTE_0 src1_sel:DWORD
	s_mov_b64 s[0:1], 0
                                        ; implicit-def: $sgpr50
	s_and_saveexec_b64 s[48:49], s[46:47]
	s_xor_b64 s[46:47], exec, s[48:49]
	s_cbranch_execnz .LBB287_267
; %bb.106:                              ;   in Loop: Header=BB287_14 Depth=1
	s_or_saveexec_b64 s[46:47], s[46:47]
	v_mov_b32_e32 v51, s50
	s_xor_b64 exec, exec, s[46:47]
	s_cbranch_execnz .LBB287_270
.LBB287_107:                            ;   in Loop: Header=BB287_14 Depth=1
	s_or_b64 exec, exec, s[46:47]
	s_and_saveexec_b64 s[46:47], s[0:1]
	s_cbranch_execz .LBB287_109
.LBB287_108:                            ;   in Loop: Header=BB287_14 Depth=1
	v_bfe_u32 v51, v14, 16, 3
	v_ffbh_u32_e32 v52, v51
	v_min_u32_e32 v55, 32, v52
	v_subrev_u32_e32 v52, 28, v55
	v_bfe_u32 v54, v14, 19, 4
	v_lshlrev_b64 v[52:53], v52, v[2:3]
	v_sub_u32_e32 v53, 29, v55
	v_cmp_eq_u32_e64 s[0:1], 0, v54
	v_and_b32_e32 v52, 7, v52
	v_lshlrev_b32_e32 v2, 8, v2
	v_cndmask_b32_e64 v53, v54, v53, s[0:1]
	v_cndmask_b32_e64 v51, v51, v52, s[0:1]
	v_lshl_add_u32 v52, v53, 10, v25
	v_and_or_b32 v2, v2, s62, v52
	v_lshl_or_b32 v2, v51, 7, v2
	v_cvt_f32_f16_e32 v51, v2
.LBB287_109:                            ;   in Loop: Header=BB287_14 Depth=1
	s_or_b64 exec, exec, s[46:47]
	v_lshrrev_b32_e32 v2, 24, v14
	v_cmp_lt_i16_e64 s[0:1], s60, v2
	s_mov_b64 s[46:47], 0
                                        ; implicit-def: $sgpr63
	s_and_saveexec_b64 s[48:49], s[0:1]
	s_xor_b64 s[48:49], exec, s[48:49]
	s_cbranch_execnz .LBB287_271
; %bb.110:                              ;   in Loop: Header=BB287_14 Depth=1
	s_or_saveexec_b64 s[48:49], s[48:49]
	v_mov_b32_e32 v52, s63
	s_xor_b64 exec, exec, s[48:49]
	s_cbranch_execnz .LBB287_274
.LBB287_111:                            ;   in Loop: Header=BB287_14 Depth=1
	s_or_b64 exec, exec, s[48:49]
	s_and_saveexec_b64 s[48:49], s[46:47]
	s_cbranch_execz .LBB287_113
.LBB287_112:                            ;   in Loop: Header=BB287_14 Depth=1
	v_bfe_u32 v54, v14, 24, 3
	v_ffbh_u32_e32 v52, v54
	v_min_u32_e32 v55, 32, v52
	v_subrev_u32_e32 v52, 28, v55
	v_bfe_u32 v14, v14, 27, 4
	v_lshlrev_b64 v[52:53], v52, v[2:3]
	v_sub_u32_e32 v53, 29, v55
	v_cmp_eq_u32_e64 s[0:1], 0, v14
	v_and_b32_e32 v52, 7, v52
	v_lshlrev_b32_e32 v2, 8, v2
	v_cndmask_b32_e64 v14, v14, v53, s[0:1]
	v_lshl_add_u32 v14, v14, 10, v25
	v_cndmask_b32_e64 v52, v54, v52, s[0:1]
	v_and_or_b32 v2, v2, s62, v14
	v_lshl_or_b32 v2, v52, 7, v2
	v_cvt_f32_f16_e32 v52, v2
.LBB287_113:                            ;   in Loop: Header=BB287_14 Depth=1
	s_or_b64 exec, exec, s[48:49]
	global_load_dword v14, v[12:13], off offset:1536
	s_mov_b64 s[0:1], 0
                                        ; implicit-def: $sgpr50
	s_waitcnt vmcnt(0)
	v_cmp_gt_i16_sdwa s[46:47], v14, s60 src0_sel:BYTE_0 src1_sel:DWORD
	s_and_saveexec_b64 s[48:49], s[46:47]
	s_xor_b64 s[46:47], exec, s[48:49]
	s_cbranch_execnz .LBB287_275
; %bb.114:                              ;   in Loop: Header=BB287_14 Depth=1
	s_or_saveexec_b64 s[46:47], s[46:47]
	v_mov_b32_e32 v53, s50
	s_xor_b64 exec, exec, s[46:47]
	s_cbranch_execnz .LBB287_278
.LBB287_115:                            ;   in Loop: Header=BB287_14 Depth=1
	s_or_b64 exec, exec, s[46:47]
	s_and_saveexec_b64 s[46:47], s[0:1]
	s_cbranch_execz .LBB287_117
.LBB287_116:                            ;   in Loop: Header=BB287_14 Depth=1
	v_and_b32_e32 v2, 7, v14
	v_ffbh_u32_e32 v54, v2
	v_min_u32_e32 v56, 32, v54
	v_subrev_u32_e32 v54, 28, v56
	v_bfe_u32 v53, v14, 3, 4
	v_lshlrev_b64 v[54:55], v54, v[14:15]
	v_sub_u32_e32 v55, 29, v56
	v_cmp_eq_u32_e64 s[0:1], 0, v53
	v_and_b32_e32 v54, 7, v54
	s_nop 0
	v_cndmask_b32_e64 v53, v53, v55, s[0:1]
	v_cndmask_b32_e64 v2, v2, v54, s[0:1]
	v_lshlrev_b32_e32 v54, 8, v14
	v_lshl_add_u32 v53, v53, 10, v25
	v_and_or_b32 v53, v54, s62, v53
	v_lshl_or_b32 v2, v2, 7, v53
	v_cvt_f32_f16_e32 v53, v2
.LBB287_117:                            ;   in Loop: Header=BB287_14 Depth=1
	s_or_b64 exec, exec, s[46:47]
	v_lshrrev_b16_e32 v2, 8, v14
	v_cmp_lt_i16_e64 s[0:1], s60, v2
	s_mov_b64 s[46:47], 0
                                        ; implicit-def: $sgpr63
	s_and_saveexec_b64 s[48:49], s[0:1]
	s_xor_b64 s[48:49], exec, s[48:49]
	s_cbranch_execnz .LBB287_279
; %bb.118:                              ;   in Loop: Header=BB287_14 Depth=1
	s_or_saveexec_b64 s[48:49], s[48:49]
	v_mov_b32_e32 v54, s63
	s_xor_b64 exec, exec, s[48:49]
	s_cbranch_execnz .LBB287_282
.LBB287_119:                            ;   in Loop: Header=BB287_14 Depth=1
	s_or_b64 exec, exec, s[48:49]
	s_and_saveexec_b64 s[48:49], s[46:47]
	s_cbranch_execz .LBB287_121
.LBB287_120:                            ;   in Loop: Header=BB287_14 Depth=1
	v_and_b32_e32 v56, 7, v2
	v_ffbh_u32_e32 v54, v56
	v_min_u32_e32 v58, 32, v54
	v_subrev_u32_e32 v54, 28, v58
	v_bfe_u32 v57, v2, 3, 4
	v_lshlrev_b64 v[54:55], v54, v[2:3]
	v_sub_u32_e32 v55, 29, v58
	v_cmp_eq_u32_e64 s[0:1], 0, v57
	v_and_b32_e32 v54, 7, v54
	v_lshlrev_b32_e32 v2, 8, v2
	v_cndmask_b32_e64 v55, v57, v55, s[0:1]
	v_lshl_add_u32 v55, v55, 10, v25
	v_cndmask_b32_e64 v54, v56, v54, s[0:1]
	v_and_or_b32 v2, v2, s62, v55
	v_lshl_or_b32 v2, v54, 7, v2
	v_cvt_f32_f16_e32 v54, v2
.LBB287_121:                            ;   in Loop: Header=BB287_14 Depth=1
	s_or_b64 exec, exec, s[48:49]
	v_lshrrev_b32_e32 v2, 16, v14
	v_cmp_gt_i16_sdwa s[46:47], v2, s60 src0_sel:BYTE_0 src1_sel:DWORD
	s_mov_b64 s[0:1], 0
                                        ; implicit-def: $sgpr50
	s_and_saveexec_b64 s[48:49], s[46:47]
	s_xor_b64 s[46:47], exec, s[48:49]
	s_cbranch_execnz .LBB287_283
; %bb.122:                              ;   in Loop: Header=BB287_14 Depth=1
	s_or_saveexec_b64 s[46:47], s[46:47]
	v_mov_b32_e32 v55, s50
	s_xor_b64 exec, exec, s[46:47]
	s_cbranch_execnz .LBB287_286
.LBB287_123:                            ;   in Loop: Header=BB287_14 Depth=1
	s_or_b64 exec, exec, s[46:47]
	s_and_saveexec_b64 s[46:47], s[0:1]
	s_cbranch_execz .LBB287_125
.LBB287_124:                            ;   in Loop: Header=BB287_14 Depth=1
	v_bfe_u32 v55, v14, 16, 3
	v_ffbh_u32_e32 v56, v55
	v_min_u32_e32 v59, 32, v56
	v_subrev_u32_e32 v56, 28, v59
	v_bfe_u32 v58, v14, 19, 4
	v_lshlrev_b64 v[56:57], v56, v[2:3]
	v_sub_u32_e32 v57, 29, v59
	v_cmp_eq_u32_e64 s[0:1], 0, v58
	v_and_b32_e32 v56, 7, v56
	v_lshlrev_b32_e32 v2, 8, v2
	v_cndmask_b32_e64 v57, v58, v57, s[0:1]
	v_cndmask_b32_e64 v55, v55, v56, s[0:1]
	v_lshl_add_u32 v56, v57, 10, v25
	v_and_or_b32 v2, v2, s62, v56
	v_lshl_or_b32 v2, v55, 7, v2
	v_cvt_f32_f16_e32 v55, v2
.LBB287_125:                            ;   in Loop: Header=BB287_14 Depth=1
	s_or_b64 exec, exec, s[46:47]
	v_lshrrev_b32_e32 v2, 24, v14
	v_cmp_lt_i16_e64 s[0:1], s60, v2
	s_mov_b64 s[46:47], 0
                                        ; implicit-def: $sgpr63
	s_and_saveexec_b64 s[48:49], s[0:1]
	s_xor_b64 s[48:49], exec, s[48:49]
	s_cbranch_execnz .LBB287_287
; %bb.126:                              ;   in Loop: Header=BB287_14 Depth=1
	s_or_saveexec_b64 s[48:49], s[48:49]
	v_mov_b32_e32 v56, s63
	s_xor_b64 exec, exec, s[48:49]
	s_cbranch_execnz .LBB287_290
.LBB287_127:                            ;   in Loop: Header=BB287_14 Depth=1
	s_or_b64 exec, exec, s[48:49]
	s_and_saveexec_b64 s[48:49], s[46:47]
	s_cbranch_execz .LBB287_129
.LBB287_128:                            ;   in Loop: Header=BB287_14 Depth=1
	v_bfe_u32 v58, v14, 24, 3
	v_ffbh_u32_e32 v56, v58
	v_min_u32_e32 v59, 32, v56
	v_subrev_u32_e32 v56, 28, v59
	v_bfe_u32 v14, v14, 27, 4
	v_lshlrev_b64 v[56:57], v56, v[2:3]
	v_sub_u32_e32 v57, 29, v59
	v_cmp_eq_u32_e64 s[0:1], 0, v14
	v_and_b32_e32 v56, 7, v56
	v_lshlrev_b32_e32 v2, 8, v2
	v_cndmask_b32_e64 v14, v14, v57, s[0:1]
	v_lshl_add_u32 v14, v14, 10, v25
	v_cndmask_b32_e64 v56, v58, v56, s[0:1]
	v_and_or_b32 v2, v2, s62, v14
	v_lshl_or_b32 v2, v56, 7, v2
	v_cvt_f32_f16_e32 v56, v2
.LBB287_129:                            ;   in Loop: Header=BB287_14 Depth=1
	s_or_b64 exec, exec, s[48:49]
	global_load_dword v14, v[12:13], off offset:1544
	s_mov_b64 s[0:1], 0
                                        ; implicit-def: $sgpr50
	s_waitcnt vmcnt(0)
	v_cmp_gt_i16_sdwa s[46:47], v14, s60 src0_sel:BYTE_0 src1_sel:DWORD
	s_and_saveexec_b64 s[48:49], s[46:47]
	s_xor_b64 s[46:47], exec, s[48:49]
	s_cbranch_execnz .LBB287_291
; %bb.130:                              ;   in Loop: Header=BB287_14 Depth=1
	s_or_saveexec_b64 s[46:47], s[46:47]
	v_mov_b32_e32 v57, s50
	s_xor_b64 exec, exec, s[46:47]
	s_cbranch_execnz .LBB287_294
.LBB287_131:                            ;   in Loop: Header=BB287_14 Depth=1
	s_or_b64 exec, exec, s[46:47]
	s_and_saveexec_b64 s[46:47], s[0:1]
	s_cbranch_execz .LBB287_133
.LBB287_132:                            ;   in Loop: Header=BB287_14 Depth=1
	v_and_b32_e32 v2, 7, v14
	v_ffbh_u32_e32 v58, v2
	v_min_u32_e32 v60, 32, v58
	v_subrev_u32_e32 v58, 28, v60
	v_bfe_u32 v57, v14, 3, 4
	v_lshlrev_b64 v[58:59], v58, v[14:15]
	v_sub_u32_e32 v59, 29, v60
	v_cmp_eq_u32_e64 s[0:1], 0, v57
	v_and_b32_e32 v58, 7, v58
	s_nop 0
	v_cndmask_b32_e64 v57, v57, v59, s[0:1]
	v_cndmask_b32_e64 v2, v2, v58, s[0:1]
	v_lshlrev_b32_e32 v58, 8, v14
	v_lshl_add_u32 v57, v57, 10, v25
	v_and_or_b32 v57, v58, s62, v57
	v_lshl_or_b32 v2, v2, 7, v57
	v_cvt_f32_f16_e32 v57, v2
.LBB287_133:                            ;   in Loop: Header=BB287_14 Depth=1
	s_or_b64 exec, exec, s[46:47]
	v_lshrrev_b16_e32 v2, 8, v14
	v_cmp_lt_i16_e64 s[0:1], s60, v2
	s_mov_b64 s[46:47], 0
                                        ; implicit-def: $sgpr63
	s_and_saveexec_b64 s[48:49], s[0:1]
	s_xor_b64 s[48:49], exec, s[48:49]
	s_cbranch_execnz .LBB287_295
; %bb.134:                              ;   in Loop: Header=BB287_14 Depth=1
	s_or_saveexec_b64 s[48:49], s[48:49]
	v_mov_b32_e32 v58, s63
	s_xor_b64 exec, exec, s[48:49]
	s_cbranch_execnz .LBB287_298
.LBB287_135:                            ;   in Loop: Header=BB287_14 Depth=1
	s_or_b64 exec, exec, s[48:49]
	s_and_saveexec_b64 s[48:49], s[46:47]
	s_cbranch_execz .LBB287_137
.LBB287_136:                            ;   in Loop: Header=BB287_14 Depth=1
	v_and_b32_e32 v60, 7, v2
	v_ffbh_u32_e32 v58, v60
	v_min_u32_e32 v62, 32, v58
	v_subrev_u32_e32 v58, 28, v62
	v_bfe_u32 v61, v2, 3, 4
	v_lshlrev_b64 v[58:59], v58, v[2:3]
	v_sub_u32_e32 v59, 29, v62
	v_cmp_eq_u32_e64 s[0:1], 0, v61
	v_and_b32_e32 v58, 7, v58
	v_lshlrev_b32_e32 v2, 8, v2
	v_cndmask_b32_e64 v59, v61, v59, s[0:1]
	v_lshl_add_u32 v59, v59, 10, v25
	v_cndmask_b32_e64 v58, v60, v58, s[0:1]
	v_and_or_b32 v2, v2, s62, v59
	v_lshl_or_b32 v2, v58, 7, v2
	v_cvt_f32_f16_e32 v58, v2
.LBB287_137:                            ;   in Loop: Header=BB287_14 Depth=1
	s_or_b64 exec, exec, s[48:49]
	v_lshrrev_b32_e32 v2, 16, v14
	v_cmp_gt_i16_sdwa s[46:47], v2, s60 src0_sel:BYTE_0 src1_sel:DWORD
	s_mov_b64 s[0:1], 0
                                        ; implicit-def: $sgpr50
	s_and_saveexec_b64 s[48:49], s[46:47]
	s_xor_b64 s[46:47], exec, s[48:49]
	s_cbranch_execnz .LBB287_299
; %bb.138:                              ;   in Loop: Header=BB287_14 Depth=1
	s_or_saveexec_b64 s[46:47], s[46:47]
	v_mov_b32_e32 v59, s50
	s_xor_b64 exec, exec, s[46:47]
	s_cbranch_execnz .LBB287_302
.LBB287_139:                            ;   in Loop: Header=BB287_14 Depth=1
	s_or_b64 exec, exec, s[46:47]
	s_and_saveexec_b64 s[46:47], s[0:1]
	s_cbranch_execz .LBB287_141
.LBB287_140:                            ;   in Loop: Header=BB287_14 Depth=1
	v_bfe_u32 v59, v14, 16, 3
	v_ffbh_u32_e32 v60, v59
	v_min_u32_e32 v63, 32, v60
	v_subrev_u32_e32 v60, 28, v63
	v_bfe_u32 v62, v14, 19, 4
	v_lshlrev_b64 v[60:61], v60, v[2:3]
	v_sub_u32_e32 v61, 29, v63
	v_cmp_eq_u32_e64 s[0:1], 0, v62
	v_and_b32_e32 v60, 7, v60
	v_lshlrev_b32_e32 v2, 8, v2
	v_cndmask_b32_e64 v61, v62, v61, s[0:1]
	v_cndmask_b32_e64 v59, v59, v60, s[0:1]
	v_lshl_add_u32 v60, v61, 10, v25
	v_and_or_b32 v2, v2, s62, v60
	v_lshl_or_b32 v2, v59, 7, v2
	v_cvt_f32_f16_e32 v59, v2
.LBB287_141:                            ;   in Loop: Header=BB287_14 Depth=1
	s_or_b64 exec, exec, s[46:47]
	v_lshrrev_b32_e32 v2, 24, v14
	v_cmp_lt_i16_e64 s[0:1], s60, v2
	s_mov_b64 s[46:47], 0
                                        ; implicit-def: $sgpr63
	s_and_saveexec_b64 s[48:49], s[0:1]
	s_xor_b64 s[48:49], exec, s[48:49]
	s_cbranch_execnz .LBB287_303
; %bb.142:                              ;   in Loop: Header=BB287_14 Depth=1
	s_or_saveexec_b64 s[48:49], s[48:49]
	v_mov_b32_e32 v60, s63
	s_xor_b64 exec, exec, s[48:49]
	s_cbranch_execnz .LBB287_306
.LBB287_143:                            ;   in Loop: Header=BB287_14 Depth=1
	s_or_b64 exec, exec, s[48:49]
	s_and_saveexec_b64 s[48:49], s[46:47]
	s_cbranch_execz .LBB287_145
.LBB287_144:                            ;   in Loop: Header=BB287_14 Depth=1
	v_bfe_u32 v62, v14, 24, 3
	v_ffbh_u32_e32 v60, v62
	v_min_u32_e32 v63, 32, v60
	v_subrev_u32_e32 v60, 28, v63
	v_bfe_u32 v14, v14, 27, 4
	v_lshlrev_b64 v[60:61], v60, v[2:3]
	v_sub_u32_e32 v61, 29, v63
	v_cmp_eq_u32_e64 s[0:1], 0, v14
	v_and_b32_e32 v60, 7, v60
	v_lshlrev_b32_e32 v2, 8, v2
	v_cndmask_b32_e64 v14, v14, v61, s[0:1]
	v_lshl_add_u32 v14, v14, 10, v25
	v_cndmask_b32_e64 v60, v62, v60, s[0:1]
	v_and_or_b32 v2, v2, s62, v14
	v_lshl_or_b32 v2, v60, 7, v2
	v_cvt_f32_f16_e32 v60, v2
.LBB287_145:                            ;   in Loop: Header=BB287_14 Depth=1
	s_or_b64 exec, exec, s[48:49]
	global_load_dword v14, v[12:13], off offset:2048
	s_mov_b64 s[0:1], 0
                                        ; implicit-def: $sgpr50
	s_waitcnt vmcnt(0)
	v_cmp_gt_i16_sdwa s[46:47], v14, s60 src0_sel:BYTE_0 src1_sel:DWORD
	s_and_saveexec_b64 s[48:49], s[46:47]
	s_xor_b64 s[46:47], exec, s[48:49]
	s_cbranch_execnz .LBB287_307
; %bb.146:                              ;   in Loop: Header=BB287_14 Depth=1
	s_or_saveexec_b64 s[46:47], s[46:47]
	v_mov_b32_e32 v61, s50
	s_xor_b64 exec, exec, s[46:47]
	s_cbranch_execnz .LBB287_310
.LBB287_147:                            ;   in Loop: Header=BB287_14 Depth=1
	s_or_b64 exec, exec, s[46:47]
	s_and_saveexec_b64 s[46:47], s[0:1]
	s_cbranch_execz .LBB287_149
.LBB287_148:                            ;   in Loop: Header=BB287_14 Depth=1
	v_and_b32_e32 v2, 7, v14
	v_ffbh_u32_e32 v62, v2
	v_min_u32_e32 v64, 32, v62
	v_subrev_u32_e32 v62, 28, v64
	v_bfe_u32 v61, v14, 3, 4
	v_lshlrev_b64 v[62:63], v62, v[14:15]
	v_sub_u32_e32 v63, 29, v64
	v_cmp_eq_u32_e64 s[0:1], 0, v61
	v_and_b32_e32 v62, 7, v62
	s_nop 0
	v_cndmask_b32_e64 v61, v61, v63, s[0:1]
	v_cndmask_b32_e64 v2, v2, v62, s[0:1]
	v_lshlrev_b32_e32 v62, 8, v14
	v_lshl_add_u32 v61, v61, 10, v25
	v_and_or_b32 v61, v62, s62, v61
	v_lshl_or_b32 v2, v2, 7, v61
	v_cvt_f32_f16_e32 v61, v2
.LBB287_149:                            ;   in Loop: Header=BB287_14 Depth=1
	s_or_b64 exec, exec, s[46:47]
	v_lshrrev_b16_e32 v2, 8, v14
	v_cmp_lt_i16_e64 s[0:1], s60, v2
	s_mov_b64 s[46:47], 0
                                        ; implicit-def: $sgpr63
	s_and_saveexec_b64 s[48:49], s[0:1]
	s_xor_b64 s[48:49], exec, s[48:49]
	s_cbranch_execnz .LBB287_311
; %bb.150:                              ;   in Loop: Header=BB287_14 Depth=1
	s_or_saveexec_b64 s[48:49], s[48:49]
	v_mov_b32_e32 v62, s63
	s_xor_b64 exec, exec, s[48:49]
	s_cbranch_execnz .LBB287_314
.LBB287_151:                            ;   in Loop: Header=BB287_14 Depth=1
	s_or_b64 exec, exec, s[48:49]
	s_and_saveexec_b64 s[48:49], s[46:47]
	s_cbranch_execz .LBB287_153
.LBB287_152:                            ;   in Loop: Header=BB287_14 Depth=1
	v_and_b32_e32 v64, 7, v2
	v_ffbh_u32_e32 v62, v64
	v_min_u32_e32 v66, 32, v62
	v_subrev_u32_e32 v62, 28, v66
	v_bfe_u32 v65, v2, 3, 4
	v_lshlrev_b64 v[62:63], v62, v[2:3]
	v_sub_u32_e32 v63, 29, v66
	v_cmp_eq_u32_e64 s[0:1], 0, v65
	v_and_b32_e32 v62, 7, v62
	v_lshlrev_b32_e32 v2, 8, v2
	v_cndmask_b32_e64 v63, v65, v63, s[0:1]
	v_lshl_add_u32 v63, v63, 10, v25
	v_cndmask_b32_e64 v62, v64, v62, s[0:1]
	v_and_or_b32 v2, v2, s62, v63
	v_lshl_or_b32 v2, v62, 7, v2
	v_cvt_f32_f16_e32 v62, v2
.LBB287_153:                            ;   in Loop: Header=BB287_14 Depth=1
	s_or_b64 exec, exec, s[48:49]
	v_lshrrev_b32_e32 v2, 16, v14
	v_cmp_gt_i16_sdwa s[46:47], v2, s60 src0_sel:BYTE_0 src1_sel:DWORD
	s_mov_b64 s[0:1], 0
                                        ; implicit-def: $sgpr50
	s_and_saveexec_b64 s[48:49], s[46:47]
	s_xor_b64 s[46:47], exec, s[48:49]
	s_cbranch_execnz .LBB287_315
; %bb.154:                              ;   in Loop: Header=BB287_14 Depth=1
	s_or_saveexec_b64 s[46:47], s[46:47]
	v_mov_b32_e32 v63, s50
	s_xor_b64 exec, exec, s[46:47]
	s_cbranch_execnz .LBB287_318
.LBB287_155:                            ;   in Loop: Header=BB287_14 Depth=1
	s_or_b64 exec, exec, s[46:47]
	s_and_saveexec_b64 s[46:47], s[0:1]
	s_cbranch_execz .LBB287_157
.LBB287_156:                            ;   in Loop: Header=BB287_14 Depth=1
	v_bfe_u32 v63, v14, 16, 3
	v_ffbh_u32_e32 v64, v63
	v_min_u32_e32 v67, 32, v64
	v_subrev_u32_e32 v64, 28, v67
	v_bfe_u32 v66, v14, 19, 4
	v_lshlrev_b64 v[64:65], v64, v[2:3]
	v_sub_u32_e32 v65, 29, v67
	v_cmp_eq_u32_e64 s[0:1], 0, v66
	v_and_b32_e32 v64, 7, v64
	v_lshlrev_b32_e32 v2, 8, v2
	v_cndmask_b32_e64 v65, v66, v65, s[0:1]
	v_cndmask_b32_e64 v63, v63, v64, s[0:1]
	v_lshl_add_u32 v64, v65, 10, v25
	v_and_or_b32 v2, v2, s62, v64
	v_lshl_or_b32 v2, v63, 7, v2
	v_cvt_f32_f16_e32 v63, v2
.LBB287_157:                            ;   in Loop: Header=BB287_14 Depth=1
	s_or_b64 exec, exec, s[46:47]
	v_lshrrev_b32_e32 v2, 24, v14
	v_cmp_lt_i16_e64 s[0:1], s60, v2
	s_mov_b64 s[46:47], 0
                                        ; implicit-def: $sgpr63
	s_and_saveexec_b64 s[48:49], s[0:1]
	s_xor_b64 s[48:49], exec, s[48:49]
	s_cbranch_execnz .LBB287_319
; %bb.158:                              ;   in Loop: Header=BB287_14 Depth=1
	s_or_saveexec_b64 s[48:49], s[48:49]
	v_mov_b32_e32 v64, s63
	s_xor_b64 exec, exec, s[48:49]
	s_cbranch_execnz .LBB287_322
.LBB287_159:                            ;   in Loop: Header=BB287_14 Depth=1
	s_or_b64 exec, exec, s[48:49]
	s_and_saveexec_b64 s[48:49], s[46:47]
	s_cbranch_execz .LBB287_161
.LBB287_160:                            ;   in Loop: Header=BB287_14 Depth=1
	v_bfe_u32 v66, v14, 24, 3
	v_ffbh_u32_e32 v64, v66
	v_min_u32_e32 v67, 32, v64
	v_subrev_u32_e32 v64, 28, v67
	v_bfe_u32 v14, v14, 27, 4
	v_lshlrev_b64 v[64:65], v64, v[2:3]
	v_sub_u32_e32 v65, 29, v67
	v_cmp_eq_u32_e64 s[0:1], 0, v14
	v_and_b32_e32 v64, 7, v64
	v_lshlrev_b32_e32 v2, 8, v2
	v_cndmask_b32_e64 v14, v14, v65, s[0:1]
	v_lshl_add_u32 v14, v14, 10, v25
	v_cndmask_b32_e64 v64, v66, v64, s[0:1]
	v_and_or_b32 v2, v2, s62, v14
	v_lshl_or_b32 v2, v64, 7, v2
	v_cvt_f32_f16_e32 v64, v2
.LBB287_161:                            ;   in Loop: Header=BB287_14 Depth=1
	s_or_b64 exec, exec, s[48:49]
	global_load_dword v12, v[12:13], off offset:2056
	s_mov_b64 s[0:1], 0
                                        ; implicit-def: $sgpr50
	s_waitcnt vmcnt(0)
	v_cmp_gt_i16_sdwa s[46:47], v12, s60 src0_sel:BYTE_0 src1_sel:DWORD
	s_and_saveexec_b64 s[48:49], s[46:47]
	s_xor_b64 s[46:47], exec, s[48:49]
	s_cbranch_execnz .LBB287_323
; %bb.162:                              ;   in Loop: Header=BB287_14 Depth=1
	s_or_saveexec_b64 s[46:47], s[46:47]
	v_mov_b32_e32 v13, s50
	s_xor_b64 exec, exec, s[46:47]
	s_cbranch_execnz .LBB287_326
.LBB287_163:                            ;   in Loop: Header=BB287_14 Depth=1
	s_or_b64 exec, exec, s[46:47]
	s_and_saveexec_b64 s[46:47], s[0:1]
	s_cbranch_execz .LBB287_165
.LBB287_164:                            ;   in Loop: Header=BB287_14 Depth=1
	v_and_b32_e32 v2, 7, v12
	v_ffbh_u32_e32 v14, v2
	v_bfe_u32 v13, v12, 3, 4
	v_min_u32_e32 v14, 32, v14
	v_subrev_u32_e32 v65, 28, v14
	v_sub_u32_e32 v14, 29, v14
	v_cmp_eq_u32_e64 s[0:1], 0, v13
	v_lshlrev_b64 v[66:67], v65, v[12:13]
	v_and_b32_e32 v65, 7, v66
	v_cndmask_b32_e64 v13, v13, v14, s[0:1]
	v_lshlrev_b32_e32 v14, 8, v12
	v_lshl_add_u32 v13, v13, 10, v25
	v_cndmask_b32_e64 v2, v2, v65, s[0:1]
	v_and_or_b32 v13, v14, s62, v13
	v_lshl_or_b32 v2, v2, 7, v13
	v_cvt_f32_f16_e32 v13, v2
.LBB287_165:                            ;   in Loop: Header=BB287_14 Depth=1
	s_or_b64 exec, exec, s[46:47]
	v_lshrrev_b16_e32 v2, 8, v12
	v_cmp_lt_i16_e64 s[0:1], s60, v2
	s_mov_b64 s[46:47], 0
                                        ; implicit-def: $sgpr63
	s_and_saveexec_b64 s[48:49], s[0:1]
	s_xor_b64 s[48:49], exec, s[48:49]
	s_cbranch_execnz .LBB287_327
; %bb.166:                              ;   in Loop: Header=BB287_14 Depth=1
	s_or_saveexec_b64 s[48:49], s[48:49]
	v_mov_b32_e32 v65, s63
	s_xor_b64 exec, exec, s[48:49]
	s_cbranch_execnz .LBB287_330
.LBB287_167:                            ;   in Loop: Header=BB287_14 Depth=1
	s_or_b64 exec, exec, s[48:49]
	s_and_saveexec_b64 s[48:49], s[46:47]
	s_cbranch_execz .LBB287_169
.LBB287_168:                            ;   in Loop: Header=BB287_14 Depth=1
	v_and_b32_e32 v14, 7, v2
	v_ffbh_u32_e32 v66, v14
	v_min_u32_e32 v68, 32, v66
	v_subrev_u32_e32 v66, 28, v68
	v_bfe_u32 v65, v2, 3, 4
	v_lshlrev_b64 v[66:67], v66, v[2:3]
	v_sub_u32_e32 v67, 29, v68
	v_cmp_eq_u32_e64 s[0:1], 0, v65
	v_and_b32_e32 v66, 7, v66
	v_lshlrev_b32_e32 v2, 8, v2
	v_cndmask_b32_e64 v65, v65, v67, s[0:1]
	v_lshl_add_u32 v65, v65, 10, v25
	v_cndmask_b32_e64 v14, v14, v66, s[0:1]
	v_and_or_b32 v2, v2, s62, v65
	v_lshl_or_b32 v2, v14, 7, v2
	v_cvt_f32_f16_e32 v65, v2
.LBB287_169:                            ;   in Loop: Header=BB287_14 Depth=1
	s_or_b64 exec, exec, s[48:49]
	v_lshrrev_b32_e32 v2, 16, v12
	v_cmp_gt_i16_sdwa s[46:47], v2, s60 src0_sel:BYTE_0 src1_sel:DWORD
	s_mov_b64 s[0:1], 0
                                        ; implicit-def: $sgpr50
	s_and_saveexec_b64 s[48:49], s[46:47]
	s_xor_b64 s[46:47], exec, s[48:49]
	s_cbranch_execnz .LBB287_331
; %bb.170:                              ;   in Loop: Header=BB287_14 Depth=1
	s_or_saveexec_b64 s[46:47], s[46:47]
	v_mov_b32_e32 v66, s50
	s_xor_b64 exec, exec, s[46:47]
	s_cbranch_execnz .LBB287_334
.LBB287_171:                            ;   in Loop: Header=BB287_14 Depth=1
	s_or_b64 exec, exec, s[46:47]
	s_and_saveexec_b64 s[46:47], s[0:1]
	s_cbranch_execz .LBB287_173
.LBB287_172:                            ;   in Loop: Header=BB287_14 Depth=1
	v_bfe_u32 v14, v12, 16, 3
	v_ffbh_u32_e32 v66, v14
	v_min_u32_e32 v69, 32, v66
	v_subrev_u32_e32 v66, 28, v69
	v_bfe_u32 v68, v12, 19, 4
	v_lshlrev_b64 v[66:67], v66, v[2:3]
	v_sub_u32_e32 v67, 29, v69
	v_cmp_eq_u32_e64 s[0:1], 0, v68
	v_and_b32_e32 v66, 7, v66
	v_lshlrev_b32_e32 v2, 8, v2
	v_cndmask_b32_e64 v67, v68, v67, s[0:1]
	v_cndmask_b32_e64 v14, v14, v66, s[0:1]
	v_lshl_add_u32 v66, v67, 10, v25
	v_and_or_b32 v2, v2, s62, v66
	v_lshl_or_b32 v2, v14, 7, v2
	v_cvt_f32_f16_e32 v66, v2
.LBB287_173:                            ;   in Loop: Header=BB287_14 Depth=1
	s_or_b64 exec, exec, s[46:47]
	v_lshrrev_b32_e32 v2, 24, v12
	v_cmp_lt_i16_e64 s[0:1], s60, v2
	s_mov_b64 s[46:47], 0
                                        ; implicit-def: $sgpr63
	s_and_saveexec_b64 s[48:49], s[0:1]
	s_xor_b64 s[48:49], exec, s[48:49]
	s_cbranch_execnz .LBB287_335
; %bb.174:                              ;   in Loop: Header=BB287_14 Depth=1
	s_or_saveexec_b64 s[48:49], s[48:49]
	v_mov_b32_e32 v67, s63
	s_xor_b64 exec, exec, s[48:49]
	s_cbranch_execnz .LBB287_338
.LBB287_175:                            ;   in Loop: Header=BB287_14 Depth=1
	s_or_b64 exec, exec, s[48:49]
	s_and_saveexec_b64 s[48:49], s[46:47]
	s_cbranch_execz .LBB287_177
.LBB287_176:                            ;   in Loop: Header=BB287_14 Depth=1
	v_bfe_u32 v14, v12, 24, 3
	v_ffbh_u32_e32 v67, v14
	v_bfe_u32 v12, v12, 27, 4
	v_min_u32_e32 v67, 32, v67
	v_subrev_u32_e32 v68, 28, v67
	v_sub_u32_e32 v67, 29, v67
	v_cmp_eq_u32_e64 s[0:1], 0, v12
	v_lshlrev_b64 v[68:69], v68, v[2:3]
	v_and_b32_e32 v68, 7, v68
	v_cndmask_b32_e64 v12, v12, v67, s[0:1]
	v_lshlrev_b32_e32 v2, 8, v2
	v_lshl_add_u32 v12, v12, 10, v25
	v_cndmask_b32_e64 v14, v14, v68, s[0:1]
	v_and_or_b32 v2, v2, s62, v12
	v_lshl_or_b32 v2, v14, 7, v2
	v_cvt_f32_f16_e32 v67, v2
.LBB287_177:                            ;   in Loop: Header=BB287_14 Depth=1
	s_or_b64 exec, exec, s[48:49]
	v_fma_mixlo_f16 v14, v28, v62, 0
	v_fma_mixlo_f16 v12, v28, v63, 0
	;; [unrolled: 1-line block ×4, first 2 shown]
	ds_read_b64 v[34:35], v19
	v_fma_mixlo_f16 v30, v28, v30, 0
	v_fma_mixlo_f16 v29, v28, v29, 0
	;; [unrolled: 1-line block ×3, first 2 shown]
	v_and_b32_e32 v29, 0xffff, v29
	s_waitcnt lgkmcnt(0)
	v_lshrrev_b32_e32 v64, 16, v34
	v_and_b32_e32 v34, 0xffff, v34
	v_and_b32_e32 v30, 0xffff, v30
	v_fma_mixlo_f16 v31, v28, v31, 0
	;;#ASMSTART
	v_cvt_f32_f16 v34, v34;
	;;#ASMEND
	;;#ASMSTART
	v_cvt_f32_f16 v64, v64;
	;;#ASMEND
	;;#ASMSTART
	v_cvt_f32_f16 v29, v29;
	;;#ASMEND
	;;#ASMSTART
	v_cvt_f32_f16 v68, v30;
	;;#ASMEND
	v_lshrrev_b32_e32 v30, 16, v35
	v_and_b32_e32 v35, 0xffff, v35
	v_fma_mixlo_f16 v32, v28, v32, 0
	;;#ASMSTART
	v_cvt_f32_f16 v35, v35;
	;;#ASMEND
	;;#ASMSTART
	v_cvt_f32_f16 v69, v30;
	;;#ASMEND
	v_and_b32_e32 v30, 0xffff, v31
	;;#ASMSTART
	v_cvt_f32_f16 v70, v30;
	;;#ASMEND
	v_and_b32_e32 v30, 0xffff, v32
	;;#ASMSTART
	v_cvt_f32_f16 v32, v30;
	;;#ASMEND
	ds_read_b64 v[30:31], v19 offset:8
	v_fma_mixlo_f16 v33, v28, v33, 0
	v_fma_mixlo_f16 v61, v28, v61, 0
	v_fma_mixlo_f16 v58, v28, v58, 0
	v_fma_mixlo_f16 v57, v28, v57, 0
	v_fma_mixlo_f16 v59, v28, v59, 0
	v_fma_mixlo_f16 v60, v28, v60, 0
	v_fma_mixlo_f16 v54, v28, v54, 0
	v_fma_mixlo_f16 v53, v28, v53, 0
	v_fma_mixlo_f16 v55, v28, v55, 0
	v_fma_mixlo_f16 v56, v28, v56, 0
	v_fma_mixlo_f16 v50, v28, v50, 0
	v_fma_mixlo_f16 v49, v28, v49, 0
	v_fma_mixlo_f16 v51, v28, v51, 0
	v_fma_mixlo_f16 v52, v28, v52, 0
	v_fma_mixlo_f16 v46, v28, v46, 0
	v_fma_mixlo_f16 v45, v28, v45, 0
	v_fma_mixlo_f16 v47, v28, v47, 0
	v_fma_mixlo_f16 v48, v28, v48, 0
	v_fma_mixlo_f16 v42, v28, v42, 0
	v_fma_mixlo_f16 v41, v28, v41, 0
	v_fma_mixlo_f16 v43, v28, v43, 0
	v_fma_mixlo_f16 v44, v28, v44, 0
	v_fma_mixlo_f16 v38, v28, v38, 0
	v_fma_mixlo_f16 v37, v28, v37, 0
	v_fma_mixlo_f16 v39, v28, v39, 0
	v_fma_mixlo_f16 v40, v28, v40, 0
	v_fma_mixlo_f16 v36, v28, v36, 0
	v_fma_mixlo_f16 v65, v28, v65, 0
	v_fma_mixlo_f16 v71, v28, v13, 0
	v_fma_mixlo_f16 v66, v28, v66, 0
	v_fma_mixlo_f16 v67, v28, v67, 0
	s_waitcnt lgkmcnt(0)
	v_lshrrev_b32_e32 v13, 16, v30
	v_and_b32_e32 v28, 0xffff, v30
	v_and_b32_e32 v30, 0xffff, v33
	;;#ASMSTART
	v_cvt_f32_f16 v28, v28;
	;;#ASMEND
	;;#ASMSTART
	v_cvt_f32_f16 v13, v13;
	;;#ASMEND
	;; [unrolled: 3-line block ×3, first 2 shown]
	v_and_b32_e32 v33, 0xffff, v62
	;;#ASMSTART
	v_cvt_f32_f16 v33, v33;
	;;#ASMEND
	v_mul_f32_e32 v30, v28, v30
	v_and_b32_e32 v28, 0xffff, v31
	v_mul_f32_e32 v33, v13, v33
	v_lshrrev_b32_e32 v13, 16, v31
	;;#ASMSTART
	v_cvt_f32_f16 v31, v28;
	;;#ASMEND
	v_and_b32_e32 v28, 0xffff, v63
	v_fmac_f32_e32 v30, v34, v29
	;;#ASMSTART
	v_cvt_f32_f16 v13, v13;
	;;#ASMEND
	;;#ASMSTART
	v_cvt_f32_f16 v34, v28;
	;;#ASMEND
	v_and_b32_e32 v28, 0xffff, v36
	;;#ASMSTART
	v_cvt_f32_f16 v36, v28;
	;;#ASMEND
	ds_read_b64 v[28:29], v19 offset:16
	v_mul_f32_e32 v31, v31, v34
	v_mul_f32_e32 v34, v13, v36
	v_fmac_f32_e32 v34, v69, v32
	v_fmac_f32_e32 v31, v35, v70
	s_waitcnt lgkmcnt(0)
	v_lshrrev_b32_e32 v13, 16, v28
	v_and_b32_e32 v28, 0xffff, v28
	;;#ASMSTART
	v_cvt_f32_f16 v32, v28;
	;;#ASMEND
	v_and_b32_e32 v28, 0xffff, v37
	;;#ASMSTART
	v_cvt_f32_f16 v13, v13;
	;;#ASMEND
	;;#ASMSTART
	v_cvt_f32_f16 v35, v28;
	;;#ASMEND
	v_and_b32_e32 v28, 0xffff, v38
	;;#ASMSTART
	v_cvt_f32_f16 v36, v28;
	;;#ASMEND
	v_lshrrev_b32_e32 v28, 16, v29
	v_and_b32_e32 v29, 0xffff, v29
	;;#ASMSTART
	v_cvt_f32_f16 v37, v29;
	;;#ASMEND
	;;#ASMSTART
	v_cvt_f32_f16 v38, v28;
	;;#ASMEND
	v_and_b32_e32 v28, 0xffff, v39
	;;#ASMSTART
	v_cvt_f32_f16 v39, v28;
	;;#ASMEND
	v_and_b32_e32 v28, 0xffff, v40
	;;#ASMSTART
	v_cvt_f32_f16 v40, v28;
	;;#ASMEND
	ds_read_b64 v[28:29], v19 offset:24
	v_fmac_f32_e32 v33, v64, v68
	v_fmac_f32_e32 v33, v13, v36
	;; [unrolled: 1-line block ×4, first 2 shown]
	s_waitcnt lgkmcnt(0)
	v_lshrrev_b32_e32 v13, 16, v28
	v_and_b32_e32 v28, 0xffff, v28
	;;#ASMSTART
	v_cvt_f32_f16 v32, v28;
	;;#ASMEND
	v_and_b32_e32 v28, 0xffff, v41
	;;#ASMSTART
	v_cvt_f32_f16 v13, v13;
	;;#ASMEND
	;;#ASMSTART
	v_cvt_f32_f16 v35, v28;
	;;#ASMEND
	v_and_b32_e32 v28, 0xffff, v42
	;;#ASMSTART
	v_cvt_f32_f16 v36, v28;
	;;#ASMEND
	v_lshrrev_b32_e32 v28, 16, v29
	v_fmac_f32_e32 v34, v38, v40
	v_and_b32_e32 v29, 0xffff, v29
	;;#ASMSTART
	v_cvt_f32_f16 v37, v29;
	;;#ASMEND
	;;#ASMSTART
	v_cvt_f32_f16 v38, v28;
	;;#ASMEND
	v_and_b32_e32 v28, 0xffff, v43
	;;#ASMSTART
	v_cvt_f32_f16 v39, v28;
	;;#ASMEND
	v_and_b32_e32 v28, 0xffff, v44
	;;#ASMSTART
	v_cvt_f32_f16 v40, v28;
	;;#ASMEND
	ds_read_b64 v[28:29], v19 offset:32
	v_fmac_f32_e32 v33, v13, v36
	v_fmac_f32_e32 v30, v32, v35
	v_fmac_f32_e32 v31, v37, v39
	v_fmac_f32_e32 v34, v38, v40
	s_waitcnt lgkmcnt(0)
	v_lshrrev_b32_e32 v13, 16, v28
	v_and_b32_e32 v28, 0xffff, v28
	;;#ASMSTART
	v_cvt_f32_f16 v32, v28;
	;;#ASMEND
	v_and_b32_e32 v28, 0xffff, v45
	;;#ASMSTART
	v_cvt_f32_f16 v13, v13;
	;;#ASMEND
	;;#ASMSTART
	v_cvt_f32_f16 v35, v28;
	;;#ASMEND
	v_and_b32_e32 v28, 0xffff, v46
	;;#ASMSTART
	v_cvt_f32_f16 v36, v28;
	;;#ASMEND
	v_lshrrev_b32_e32 v28, 16, v29
	v_and_b32_e32 v29, 0xffff, v29
	;;#ASMSTART
	v_cvt_f32_f16 v37, v29;
	;;#ASMEND
	;;#ASMSTART
	v_cvt_f32_f16 v38, v28;
	;;#ASMEND
	v_and_b32_e32 v28, 0xffff, v47
	;;#ASMSTART
	v_cvt_f32_f16 v39, v28;
	;;#ASMEND
	v_and_b32_e32 v28, 0xffff, v48
	;;#ASMSTART
	v_cvt_f32_f16 v40, v28;
	;;#ASMEND
	ds_read_b64 v[28:29], v19 offset:40
	v_fmac_f32_e32 v33, v13, v36
	v_fmac_f32_e32 v30, v32, v35
	v_fmac_f32_e32 v31, v37, v39
	v_fmac_f32_e32 v34, v38, v40
	s_waitcnt lgkmcnt(0)
	v_lshrrev_b32_e32 v13, 16, v28
	v_and_b32_e32 v28, 0xffff, v28
	;;#ASMSTART
	v_cvt_f32_f16 v32, v28;
	;;#ASMEND
	v_and_b32_e32 v28, 0xffff, v49
	;;#ASMSTART
	v_cvt_f32_f16 v13, v13;
	;;#ASMEND
	;;#ASMSTART
	v_cvt_f32_f16 v35, v28;
	;;#ASMEND
	v_and_b32_e32 v28, 0xffff, v50
	;;#ASMSTART
	v_cvt_f32_f16 v36, v28;
	;;#ASMEND
	v_lshrrev_b32_e32 v28, 16, v29
	;; [unrolled: 38-line block ×4, first 2 shown]
	v_and_b32_e32 v29, 0xffff, v29
	;;#ASMSTART
	v_cvt_f32_f16 v37, v29;
	;;#ASMEND
	;;#ASMSTART
	v_cvt_f32_f16 v38, v28;
	;;#ASMEND
	v_and_b32_e32 v28, 0xffff, v59
	;;#ASMSTART
	v_cvt_f32_f16 v39, v28;
	;;#ASMEND
	v_and_b32_e32 v28, 0xffff, v60
	;;#ASMSTART
	v_cvt_f32_f16 v40, v28;
	;;#ASMEND
	ds_read_b64 v[28:29], v19 offset:64
	v_fmac_f32_e32 v33, v13, v36
	v_fmac_f32_e32 v30, v32, v35
	v_and_b32_e32 v12, 0xffff, v12
	v_and_b32_e32 v2, 0xffff, v2
	s_waitcnt lgkmcnt(0)
	v_lshrrev_b32_e32 v13, 16, v28
	v_and_b32_e32 v28, 0xffff, v28
	;;#ASMSTART
	v_cvt_f32_f16 v28, v28;
	;;#ASMEND
	;;#ASMSTART
	v_cvt_f32_f16 v32, v13;
	;;#ASMEND
	v_and_b32_e32 v13, 0xffff, v61
	;;#ASMSTART
	v_cvt_f32_f16 v35, v13;
	;;#ASMEND
	v_and_b32_e32 v13, 0xffff, v14
	;;#ASMSTART
	v_cvt_f32_f16 v14, v13;
	;;#ASMEND
	v_lshrrev_b32_e32 v13, 16, v29
	v_and_b32_e32 v29, 0xffff, v29
	v_fmac_f32_e32 v31, v37, v39
	;;#ASMSTART
	v_cvt_f32_f16 v29, v29;
	;;#ASMEND
	;;#ASMSTART
	v_cvt_f32_f16 v36, v13;
	;;#ASMEND
	;; [unrolled: 3-line block ×4, first 2 shown]
	ds_read_b64 v[12:13], v19 offset:72
	v_fmac_f32_e32 v34, v38, v40
	v_fmac_f32_e32 v34, v36, v2
	;; [unrolled: 1-line block ×4, first 2 shown]
	s_waitcnt lgkmcnt(0)
	v_lshrrev_b32_e32 v2, 16, v12
	v_and_b32_e32 v12, 0xffff, v12
	;;#ASMSTART
	v_cvt_f32_f16 v12, v12;
	;;#ASMEND
	;;#ASMSTART
	v_cvt_f32_f16 v2, v2;
	;;#ASMEND
	v_and_b32_e32 v14, 0xffff, v71
	v_and_b32_e32 v28, 0xffff, v65
	;;#ASMSTART
	v_cvt_f32_f16 v14, v14;
	;;#ASMEND
	;;#ASMSTART
	v_cvt_f32_f16 v28, v28;
	;;#ASMEND
	v_fmac_f32_e32 v31, v29, v37
	v_fmac_f32_e32 v30, v12, v14
	;; [unrolled: 1-line block ×3, first 2 shown]
	v_lshrrev_b32_e32 v2, 16, v13
	v_and_b32_e32 v12, 0xffff, v13
	v_and_b32_e32 v13, 0xffff, v66
	;;#ASMSTART
	v_cvt_f32_f16 v12, v12;
	;;#ASMEND
	;;#ASMSTART
	v_cvt_f32_f16 v2, v2;
	;;#ASMEND
	;; [unrolled: 3-line block ×3, first 2 shown]
	v_and_b32_e32 v14, 0xffff, v67
	v_fmac_f32_e32 v31, v12, v13
	v_and_b32_e32 v13, 64, v26
	v_xor_b32_e32 v12, 1, v26
	v_add_u32_e32 v13, 64, v13
	;;#ASMSTART
	v_cvt_f32_f16 v14, v14;
	;;#ASMEND
	v_cmp_lt_i32_e64 s[0:1], v12, v13
	v_fmac_f32_e32 v34, v2, v14
	v_add_f32_e32 v2, v30, v33
	v_add_f32_e32 v2, v2, v31
	v_cndmask_b32_e64 v12, v26, v12, s[0:1]
	v_add_f32_e32 v2, v34, v2
	v_lshlrev_b32_e32 v12, 2, v12
	ds_bpermute_b32 v12, v12, v2
	s_and_saveexec_b64 s[46:47], vcc
	s_cbranch_execz .LBB287_12
; %bb.178:                              ;   in Loop: Header=BB287_14 Depth=1
	v_add_u32_e32 v13, v24, v22
	v_cvt_f32_i32_e32 v13, v13
	s_waitcnt lgkmcnt(0)
	v_add_f32_e32 v2, v2, v12
	v_add_u32_e32 v14, v18, v22
	v_cmp_gt_i32_e64 s[0:1], s33, v14
	v_mul_f32_e32 v12, s3, v13
	v_cndmask_b32_e64 v12, 0, v12, s[6:7]
	v_fmac_f32_e32 v12, s43, v2
	v_cndmask_b32_e64 v2, 0, v12, s[0:1]
	ds_write_b32 v23, v2
	v_max_f32_e32 v2, v20, v20
	v_max_f32_e32 v2, v2, v12
	v_cndmask_b32_e64 v20, v20, v2, s[0:1]
	s_branch .LBB287_12
.LBB287_179:                            ;   in Loop: Header=BB287_14 Depth=1
	v_cmp_eq_u16_sdwa s[64:65], v14, s61 src0_sel:BYTE_0 src1_sel:DWORD
	s_mov_b64 s[0:1], -1
                                        ; implicit-def: $sgpr50
	s_and_saveexec_b64 s[48:49], s[64:65]
; %bb.180:                              ;   in Loop: Header=BB287_14 Depth=1
	s_mov_b32 s50, 0x7fc02000
	s_xor_b64 s[0:1], exec, -1
; %bb.181:                              ;   in Loop: Header=BB287_14 Depth=1
	s_or_b64 exec, exec, s[48:49]
	s_and_b64 s[0:1], s[0:1], exec
	s_or_saveexec_b64 s[46:47], s[46:47]
	v_mov_b32_e32 v29, s50
	s_xor_b64 exec, exec, s[46:47]
	s_cbranch_execz .LBB287_19
.LBB287_182:                            ;   in Loop: Header=BB287_14 Depth=1
	v_cmp_ne_u16_sdwa s[48:49], v14, v3 src0_sel:BYTE_0 src1_sel:DWORD
	s_andn2_b64 s[0:1], s[0:1], exec
	s_and_b64 s[48:49], s[48:49], exec
	v_mov_b32_e32 v29, 0
	s_or_b64 s[0:1], s[0:1], s[48:49]
	s_or_b64 exec, exec, s[46:47]
	s_and_saveexec_b64 s[46:47], s[0:1]
	s_cbranch_execnz .LBB287_20
	s_branch .LBB287_21
.LBB287_183:                            ;   in Loop: Header=BB287_14 Depth=1
	v_cmp_eq_u16_e64 s[0:1], s61, v2
	s_mov_b64 s[46:47], -1
                                        ; implicit-def: $sgpr63
	s_and_saveexec_b64 s[50:51], s[0:1]
; %bb.184:                              ;   in Loop: Header=BB287_14 Depth=1
	s_mov_b32 s63, 0x7fc02000
	s_xor_b64 s[46:47], exec, -1
; %bb.185:                              ;   in Loop: Header=BB287_14 Depth=1
	s_or_b64 exec, exec, s[50:51]
	s_and_b64 s[46:47], s[46:47], exec
	s_or_saveexec_b64 s[48:49], s[48:49]
	v_mov_b32_e32 v30, s63
	s_xor_b64 exec, exec, s[48:49]
	s_cbranch_execz .LBB287_23
.LBB287_186:                            ;   in Loop: Header=BB287_14 Depth=1
	v_cmp_ne_u16_e64 s[0:1], 0, v2
	s_andn2_b64 s[46:47], s[46:47], exec
	s_and_b64 s[0:1], s[0:1], exec
	v_mov_b32_e32 v30, 0
	s_or_b64 s[46:47], s[46:47], s[0:1]
	s_or_b64 exec, exec, s[48:49]
	s_and_saveexec_b64 s[48:49], s[46:47]
	s_cbranch_execnz .LBB287_24
	s_branch .LBB287_25
.LBB287_187:                            ;   in Loop: Header=BB287_14 Depth=1
	v_cmp_eq_u16_sdwa s[64:65], v2, s61 src0_sel:BYTE_0 src1_sel:DWORD
	s_mov_b64 s[0:1], -1
                                        ; implicit-def: $sgpr50
	s_and_saveexec_b64 s[48:49], s[64:65]
; %bb.188:                              ;   in Loop: Header=BB287_14 Depth=1
	s_mov_b32 s50, 0x7fc02000
	s_xor_b64 s[0:1], exec, -1
; %bb.189:                              ;   in Loop: Header=BB287_14 Depth=1
	s_or_b64 exec, exec, s[48:49]
	s_and_b64 s[0:1], s[0:1], exec
	s_or_saveexec_b64 s[46:47], s[46:47]
	v_mov_b32_e32 v31, s50
	s_xor_b64 exec, exec, s[46:47]
	s_cbranch_execz .LBB287_27
.LBB287_190:                            ;   in Loop: Header=BB287_14 Depth=1
	v_cmp_ne_u16_sdwa s[48:49], v2, v3 src0_sel:BYTE_0 src1_sel:DWORD
	s_andn2_b64 s[0:1], s[0:1], exec
	s_and_b64 s[48:49], s[48:49], exec
	v_mov_b32_e32 v31, 0
	s_or_b64 s[0:1], s[0:1], s[48:49]
	s_or_b64 exec, exec, s[46:47]
	s_and_saveexec_b64 s[46:47], s[0:1]
	s_cbranch_execnz .LBB287_28
	s_branch .LBB287_29
.LBB287_191:                            ;   in Loop: Header=BB287_14 Depth=1
	v_cmp_eq_u16_e64 s[0:1], s61, v2
	s_mov_b64 s[46:47], -1
                                        ; implicit-def: $sgpr63
	s_and_saveexec_b64 s[50:51], s[0:1]
; %bb.192:                              ;   in Loop: Header=BB287_14 Depth=1
	s_mov_b32 s63, 0x7fc02000
	s_xor_b64 s[46:47], exec, -1
; %bb.193:                              ;   in Loop: Header=BB287_14 Depth=1
	s_or_b64 exec, exec, s[50:51]
	s_and_b64 s[46:47], s[46:47], exec
	s_or_saveexec_b64 s[48:49], s[48:49]
	v_mov_b32_e32 v32, s63
	s_xor_b64 exec, exec, s[48:49]
	s_cbranch_execz .LBB287_31
.LBB287_194:                            ;   in Loop: Header=BB287_14 Depth=1
	v_cmp_ne_u16_e64 s[0:1], 0, v2
	s_andn2_b64 s[46:47], s[46:47], exec
	s_and_b64 s[0:1], s[0:1], exec
	v_mov_b32_e32 v32, 0
	s_or_b64 s[46:47], s[46:47], s[0:1]
	s_or_b64 exec, exec, s[48:49]
	s_and_saveexec_b64 s[48:49], s[46:47]
	s_cbranch_execnz .LBB287_32
	s_branch .LBB287_33
.LBB287_195:                            ;   in Loop: Header=BB287_14 Depth=1
	v_cmp_eq_u16_sdwa s[64:65], v14, s61 src0_sel:BYTE_0 src1_sel:DWORD
	s_mov_b64 s[0:1], -1
                                        ; implicit-def: $sgpr50
	s_and_saveexec_b64 s[48:49], s[64:65]
; %bb.196:                              ;   in Loop: Header=BB287_14 Depth=1
	s_mov_b32 s50, 0x7fc02000
	s_xor_b64 s[0:1], exec, -1
; %bb.197:                              ;   in Loop: Header=BB287_14 Depth=1
	s_or_b64 exec, exec, s[48:49]
	s_and_b64 s[0:1], s[0:1], exec
	s_or_saveexec_b64 s[46:47], s[46:47]
	v_mov_b32_e32 v33, s50
	s_xor_b64 exec, exec, s[46:47]
	s_cbranch_execz .LBB287_35
.LBB287_198:                            ;   in Loop: Header=BB287_14 Depth=1
	v_cmp_ne_u16_sdwa s[48:49], v14, v3 src0_sel:BYTE_0 src1_sel:DWORD
	s_andn2_b64 s[0:1], s[0:1], exec
	s_and_b64 s[48:49], s[48:49], exec
	v_mov_b32_e32 v33, 0
	s_or_b64 s[0:1], s[0:1], s[48:49]
	s_or_b64 exec, exec, s[46:47]
	s_and_saveexec_b64 s[46:47], s[0:1]
	s_cbranch_execnz .LBB287_36
	s_branch .LBB287_37
.LBB287_199:                            ;   in Loop: Header=BB287_14 Depth=1
	v_cmp_eq_u16_e64 s[0:1], s61, v2
	s_mov_b64 s[46:47], -1
                                        ; implicit-def: $sgpr63
	s_and_saveexec_b64 s[50:51], s[0:1]
; %bb.200:                              ;   in Loop: Header=BB287_14 Depth=1
	s_mov_b32 s63, 0x7fc02000
	s_xor_b64 s[46:47], exec, -1
; %bb.201:                              ;   in Loop: Header=BB287_14 Depth=1
	s_or_b64 exec, exec, s[50:51]
	s_and_b64 s[46:47], s[46:47], exec
	s_or_saveexec_b64 s[48:49], s[48:49]
	v_mov_b32_e32 v34, s63
	s_xor_b64 exec, exec, s[48:49]
	s_cbranch_execz .LBB287_39
.LBB287_202:                            ;   in Loop: Header=BB287_14 Depth=1
	v_cmp_ne_u16_e64 s[0:1], 0, v2
	s_andn2_b64 s[46:47], s[46:47], exec
	s_and_b64 s[0:1], s[0:1], exec
	v_mov_b32_e32 v34, 0
	s_or_b64 s[46:47], s[46:47], s[0:1]
	s_or_b64 exec, exec, s[48:49]
	s_and_saveexec_b64 s[48:49], s[46:47]
	s_cbranch_execnz .LBB287_40
	s_branch .LBB287_41
.LBB287_203:                            ;   in Loop: Header=BB287_14 Depth=1
	v_cmp_eq_u16_sdwa s[64:65], v2, s61 src0_sel:BYTE_0 src1_sel:DWORD
	s_mov_b64 s[0:1], -1
                                        ; implicit-def: $sgpr50
	s_and_saveexec_b64 s[48:49], s[64:65]
; %bb.204:                              ;   in Loop: Header=BB287_14 Depth=1
	s_mov_b32 s50, 0x7fc02000
	s_xor_b64 s[0:1], exec, -1
; %bb.205:                              ;   in Loop: Header=BB287_14 Depth=1
	s_or_b64 exec, exec, s[48:49]
	s_and_b64 s[0:1], s[0:1], exec
	s_or_saveexec_b64 s[46:47], s[46:47]
	v_mov_b32_e32 v35, s50
	s_xor_b64 exec, exec, s[46:47]
	s_cbranch_execz .LBB287_43
.LBB287_206:                            ;   in Loop: Header=BB287_14 Depth=1
	v_cmp_ne_u16_sdwa s[48:49], v2, v3 src0_sel:BYTE_0 src1_sel:DWORD
	s_andn2_b64 s[0:1], s[0:1], exec
	s_and_b64 s[48:49], s[48:49], exec
	v_mov_b32_e32 v35, 0
	s_or_b64 s[0:1], s[0:1], s[48:49]
	s_or_b64 exec, exec, s[46:47]
	s_and_saveexec_b64 s[46:47], s[0:1]
	s_cbranch_execnz .LBB287_44
	s_branch .LBB287_45
.LBB287_207:                            ;   in Loop: Header=BB287_14 Depth=1
	v_cmp_eq_u16_e64 s[0:1], s61, v2
	s_mov_b64 s[46:47], -1
                                        ; implicit-def: $sgpr63
	s_and_saveexec_b64 s[50:51], s[0:1]
; %bb.208:                              ;   in Loop: Header=BB287_14 Depth=1
	s_mov_b32 s63, 0x7fc02000
	s_xor_b64 s[46:47], exec, -1
; %bb.209:                              ;   in Loop: Header=BB287_14 Depth=1
	s_or_b64 exec, exec, s[50:51]
	s_and_b64 s[46:47], s[46:47], exec
	s_or_saveexec_b64 s[48:49], s[48:49]
	v_mov_b32_e32 v36, s63
	s_xor_b64 exec, exec, s[48:49]
	s_cbranch_execz .LBB287_47
.LBB287_210:                            ;   in Loop: Header=BB287_14 Depth=1
	v_cmp_ne_u16_e64 s[0:1], 0, v2
	s_andn2_b64 s[46:47], s[46:47], exec
	s_and_b64 s[0:1], s[0:1], exec
	v_mov_b32_e32 v36, 0
	s_or_b64 s[46:47], s[46:47], s[0:1]
	s_or_b64 exec, exec, s[48:49]
	s_and_saveexec_b64 s[48:49], s[46:47]
	s_cbranch_execnz .LBB287_48
	s_branch .LBB287_49
.LBB287_211:                            ;   in Loop: Header=BB287_14 Depth=1
	v_cmp_eq_u16_sdwa s[64:65], v14, s61 src0_sel:BYTE_0 src1_sel:DWORD
	s_mov_b64 s[0:1], -1
                                        ; implicit-def: $sgpr50
	s_and_saveexec_b64 s[48:49], s[64:65]
; %bb.212:                              ;   in Loop: Header=BB287_14 Depth=1
	s_mov_b32 s50, 0x7fc02000
	s_xor_b64 s[0:1], exec, -1
; %bb.213:                              ;   in Loop: Header=BB287_14 Depth=1
	s_or_b64 exec, exec, s[48:49]
	s_and_b64 s[0:1], s[0:1], exec
	s_or_saveexec_b64 s[46:47], s[46:47]
	v_mov_b32_e32 v37, s50
	s_xor_b64 exec, exec, s[46:47]
	s_cbranch_execz .LBB287_51
.LBB287_214:                            ;   in Loop: Header=BB287_14 Depth=1
	v_cmp_ne_u16_sdwa s[48:49], v14, v3 src0_sel:BYTE_0 src1_sel:DWORD
	s_andn2_b64 s[0:1], s[0:1], exec
	s_and_b64 s[48:49], s[48:49], exec
	v_mov_b32_e32 v37, 0
	s_or_b64 s[0:1], s[0:1], s[48:49]
	s_or_b64 exec, exec, s[46:47]
	s_and_saveexec_b64 s[46:47], s[0:1]
	s_cbranch_execnz .LBB287_52
	s_branch .LBB287_53
.LBB287_215:                            ;   in Loop: Header=BB287_14 Depth=1
	v_cmp_eq_u16_e64 s[0:1], s61, v2
	s_mov_b64 s[46:47], -1
                                        ; implicit-def: $sgpr63
	s_and_saveexec_b64 s[50:51], s[0:1]
; %bb.216:                              ;   in Loop: Header=BB287_14 Depth=1
	s_mov_b32 s63, 0x7fc02000
	s_xor_b64 s[46:47], exec, -1
; %bb.217:                              ;   in Loop: Header=BB287_14 Depth=1
	s_or_b64 exec, exec, s[50:51]
	s_and_b64 s[46:47], s[46:47], exec
	s_or_saveexec_b64 s[48:49], s[48:49]
	v_mov_b32_e32 v38, s63
	s_xor_b64 exec, exec, s[48:49]
	s_cbranch_execz .LBB287_55
.LBB287_218:                            ;   in Loop: Header=BB287_14 Depth=1
	v_cmp_ne_u16_e64 s[0:1], 0, v2
	s_andn2_b64 s[46:47], s[46:47], exec
	s_and_b64 s[0:1], s[0:1], exec
	v_mov_b32_e32 v38, 0
	s_or_b64 s[46:47], s[46:47], s[0:1]
	s_or_b64 exec, exec, s[48:49]
	s_and_saveexec_b64 s[48:49], s[46:47]
	s_cbranch_execnz .LBB287_56
	s_branch .LBB287_57
.LBB287_219:                            ;   in Loop: Header=BB287_14 Depth=1
	v_cmp_eq_u16_sdwa s[64:65], v2, s61 src0_sel:BYTE_0 src1_sel:DWORD
	s_mov_b64 s[0:1], -1
                                        ; implicit-def: $sgpr50
	s_and_saveexec_b64 s[48:49], s[64:65]
; %bb.220:                              ;   in Loop: Header=BB287_14 Depth=1
	s_mov_b32 s50, 0x7fc02000
	s_xor_b64 s[0:1], exec, -1
; %bb.221:                              ;   in Loop: Header=BB287_14 Depth=1
	s_or_b64 exec, exec, s[48:49]
	s_and_b64 s[0:1], s[0:1], exec
	s_or_saveexec_b64 s[46:47], s[46:47]
	v_mov_b32_e32 v39, s50
	s_xor_b64 exec, exec, s[46:47]
	s_cbranch_execz .LBB287_59
.LBB287_222:                            ;   in Loop: Header=BB287_14 Depth=1
	v_cmp_ne_u16_sdwa s[48:49], v2, v3 src0_sel:BYTE_0 src1_sel:DWORD
	s_andn2_b64 s[0:1], s[0:1], exec
	s_and_b64 s[48:49], s[48:49], exec
	v_mov_b32_e32 v39, 0
	s_or_b64 s[0:1], s[0:1], s[48:49]
	s_or_b64 exec, exec, s[46:47]
	s_and_saveexec_b64 s[46:47], s[0:1]
	s_cbranch_execnz .LBB287_60
	s_branch .LBB287_61
.LBB287_223:                            ;   in Loop: Header=BB287_14 Depth=1
	v_cmp_eq_u16_e64 s[0:1], s61, v2
	s_mov_b64 s[46:47], -1
                                        ; implicit-def: $sgpr63
	s_and_saveexec_b64 s[50:51], s[0:1]
; %bb.224:                              ;   in Loop: Header=BB287_14 Depth=1
	s_mov_b32 s63, 0x7fc02000
	s_xor_b64 s[46:47], exec, -1
; %bb.225:                              ;   in Loop: Header=BB287_14 Depth=1
	s_or_b64 exec, exec, s[50:51]
	s_and_b64 s[46:47], s[46:47], exec
	s_or_saveexec_b64 s[48:49], s[48:49]
	v_mov_b32_e32 v40, s63
	s_xor_b64 exec, exec, s[48:49]
	s_cbranch_execz .LBB287_63
.LBB287_226:                            ;   in Loop: Header=BB287_14 Depth=1
	v_cmp_ne_u16_e64 s[0:1], 0, v2
	s_andn2_b64 s[46:47], s[46:47], exec
	s_and_b64 s[0:1], s[0:1], exec
	v_mov_b32_e32 v40, 0
	s_or_b64 s[46:47], s[46:47], s[0:1]
	s_or_b64 exec, exec, s[48:49]
	s_and_saveexec_b64 s[48:49], s[46:47]
	s_cbranch_execnz .LBB287_64
	s_branch .LBB287_65
.LBB287_227:                            ;   in Loop: Header=BB287_14 Depth=1
	v_cmp_eq_u16_sdwa s[64:65], v14, s61 src0_sel:BYTE_0 src1_sel:DWORD
	s_mov_b64 s[0:1], -1
                                        ; implicit-def: $sgpr50
	s_and_saveexec_b64 s[48:49], s[64:65]
; %bb.228:                              ;   in Loop: Header=BB287_14 Depth=1
	s_mov_b32 s50, 0x7fc02000
	s_xor_b64 s[0:1], exec, -1
; %bb.229:                              ;   in Loop: Header=BB287_14 Depth=1
	s_or_b64 exec, exec, s[48:49]
	s_and_b64 s[0:1], s[0:1], exec
	s_or_saveexec_b64 s[46:47], s[46:47]
	v_mov_b32_e32 v41, s50
	s_xor_b64 exec, exec, s[46:47]
	s_cbranch_execz .LBB287_67
.LBB287_230:                            ;   in Loop: Header=BB287_14 Depth=1
	v_cmp_ne_u16_sdwa s[48:49], v14, v3 src0_sel:BYTE_0 src1_sel:DWORD
	s_andn2_b64 s[0:1], s[0:1], exec
	s_and_b64 s[48:49], s[48:49], exec
	v_mov_b32_e32 v41, 0
	s_or_b64 s[0:1], s[0:1], s[48:49]
	s_or_b64 exec, exec, s[46:47]
	s_and_saveexec_b64 s[46:47], s[0:1]
	s_cbranch_execnz .LBB287_68
	s_branch .LBB287_69
.LBB287_231:                            ;   in Loop: Header=BB287_14 Depth=1
	v_cmp_eq_u16_e64 s[0:1], s61, v2
	s_mov_b64 s[46:47], -1
                                        ; implicit-def: $sgpr63
	s_and_saveexec_b64 s[50:51], s[0:1]
; %bb.232:                              ;   in Loop: Header=BB287_14 Depth=1
	s_mov_b32 s63, 0x7fc02000
	s_xor_b64 s[46:47], exec, -1
; %bb.233:                              ;   in Loop: Header=BB287_14 Depth=1
	s_or_b64 exec, exec, s[50:51]
	s_and_b64 s[46:47], s[46:47], exec
	s_or_saveexec_b64 s[48:49], s[48:49]
	v_mov_b32_e32 v42, s63
	s_xor_b64 exec, exec, s[48:49]
	s_cbranch_execz .LBB287_71
.LBB287_234:                            ;   in Loop: Header=BB287_14 Depth=1
	v_cmp_ne_u16_e64 s[0:1], 0, v2
	s_andn2_b64 s[46:47], s[46:47], exec
	s_and_b64 s[0:1], s[0:1], exec
	v_mov_b32_e32 v42, 0
	s_or_b64 s[46:47], s[46:47], s[0:1]
	s_or_b64 exec, exec, s[48:49]
	s_and_saveexec_b64 s[48:49], s[46:47]
	s_cbranch_execnz .LBB287_72
	s_branch .LBB287_73
.LBB287_235:                            ;   in Loop: Header=BB287_14 Depth=1
	v_cmp_eq_u16_sdwa s[64:65], v2, s61 src0_sel:BYTE_0 src1_sel:DWORD
	s_mov_b64 s[0:1], -1
                                        ; implicit-def: $sgpr50
	s_and_saveexec_b64 s[48:49], s[64:65]
; %bb.236:                              ;   in Loop: Header=BB287_14 Depth=1
	s_mov_b32 s50, 0x7fc02000
	s_xor_b64 s[0:1], exec, -1
; %bb.237:                              ;   in Loop: Header=BB287_14 Depth=1
	s_or_b64 exec, exec, s[48:49]
	s_and_b64 s[0:1], s[0:1], exec
	s_or_saveexec_b64 s[46:47], s[46:47]
	v_mov_b32_e32 v43, s50
	s_xor_b64 exec, exec, s[46:47]
	s_cbranch_execz .LBB287_75
.LBB287_238:                            ;   in Loop: Header=BB287_14 Depth=1
	v_cmp_ne_u16_sdwa s[48:49], v2, v3 src0_sel:BYTE_0 src1_sel:DWORD
	s_andn2_b64 s[0:1], s[0:1], exec
	s_and_b64 s[48:49], s[48:49], exec
	v_mov_b32_e32 v43, 0
	s_or_b64 s[0:1], s[0:1], s[48:49]
	s_or_b64 exec, exec, s[46:47]
	s_and_saveexec_b64 s[46:47], s[0:1]
	s_cbranch_execnz .LBB287_76
	s_branch .LBB287_77
.LBB287_239:                            ;   in Loop: Header=BB287_14 Depth=1
	v_cmp_eq_u16_e64 s[0:1], s61, v2
	s_mov_b64 s[46:47], -1
                                        ; implicit-def: $sgpr63
	s_and_saveexec_b64 s[50:51], s[0:1]
; %bb.240:                              ;   in Loop: Header=BB287_14 Depth=1
	s_mov_b32 s63, 0x7fc02000
	s_xor_b64 s[46:47], exec, -1
; %bb.241:                              ;   in Loop: Header=BB287_14 Depth=1
	s_or_b64 exec, exec, s[50:51]
	s_and_b64 s[46:47], s[46:47], exec
	s_or_saveexec_b64 s[48:49], s[48:49]
	v_mov_b32_e32 v44, s63
	s_xor_b64 exec, exec, s[48:49]
	s_cbranch_execz .LBB287_79
.LBB287_242:                            ;   in Loop: Header=BB287_14 Depth=1
	v_cmp_ne_u16_e64 s[0:1], 0, v2
	s_andn2_b64 s[46:47], s[46:47], exec
	s_and_b64 s[0:1], s[0:1], exec
	v_mov_b32_e32 v44, 0
	s_or_b64 s[46:47], s[46:47], s[0:1]
	s_or_b64 exec, exec, s[48:49]
	s_and_saveexec_b64 s[48:49], s[46:47]
	s_cbranch_execnz .LBB287_80
	s_branch .LBB287_81
.LBB287_243:                            ;   in Loop: Header=BB287_14 Depth=1
	v_cmp_eq_u16_sdwa s[64:65], v14, s61 src0_sel:BYTE_0 src1_sel:DWORD
	s_mov_b64 s[0:1], -1
                                        ; implicit-def: $sgpr50
	s_and_saveexec_b64 s[48:49], s[64:65]
; %bb.244:                              ;   in Loop: Header=BB287_14 Depth=1
	s_mov_b32 s50, 0x7fc02000
	s_xor_b64 s[0:1], exec, -1
; %bb.245:                              ;   in Loop: Header=BB287_14 Depth=1
	s_or_b64 exec, exec, s[48:49]
	s_and_b64 s[0:1], s[0:1], exec
	s_or_saveexec_b64 s[46:47], s[46:47]
	v_mov_b32_e32 v45, s50
	s_xor_b64 exec, exec, s[46:47]
	s_cbranch_execz .LBB287_83
.LBB287_246:                            ;   in Loop: Header=BB287_14 Depth=1
	v_cmp_ne_u16_sdwa s[48:49], v14, v3 src0_sel:BYTE_0 src1_sel:DWORD
	s_andn2_b64 s[0:1], s[0:1], exec
	s_and_b64 s[48:49], s[48:49], exec
	v_mov_b32_e32 v45, 0
	s_or_b64 s[0:1], s[0:1], s[48:49]
	s_or_b64 exec, exec, s[46:47]
	s_and_saveexec_b64 s[46:47], s[0:1]
	s_cbranch_execnz .LBB287_84
	s_branch .LBB287_85
.LBB287_247:                            ;   in Loop: Header=BB287_14 Depth=1
	v_cmp_eq_u16_e64 s[0:1], s61, v2
	s_mov_b64 s[46:47], -1
                                        ; implicit-def: $sgpr63
	s_and_saveexec_b64 s[50:51], s[0:1]
; %bb.248:                              ;   in Loop: Header=BB287_14 Depth=1
	s_mov_b32 s63, 0x7fc02000
	s_xor_b64 s[46:47], exec, -1
; %bb.249:                              ;   in Loop: Header=BB287_14 Depth=1
	s_or_b64 exec, exec, s[50:51]
	s_and_b64 s[46:47], s[46:47], exec
	s_or_saveexec_b64 s[48:49], s[48:49]
	v_mov_b32_e32 v46, s63
	s_xor_b64 exec, exec, s[48:49]
	s_cbranch_execz .LBB287_87
.LBB287_250:                            ;   in Loop: Header=BB287_14 Depth=1
	v_cmp_ne_u16_e64 s[0:1], 0, v2
	s_andn2_b64 s[46:47], s[46:47], exec
	s_and_b64 s[0:1], s[0:1], exec
	v_mov_b32_e32 v46, 0
	s_or_b64 s[46:47], s[46:47], s[0:1]
	s_or_b64 exec, exec, s[48:49]
	s_and_saveexec_b64 s[48:49], s[46:47]
	s_cbranch_execnz .LBB287_88
	s_branch .LBB287_89
.LBB287_251:                            ;   in Loop: Header=BB287_14 Depth=1
	v_cmp_eq_u16_sdwa s[64:65], v2, s61 src0_sel:BYTE_0 src1_sel:DWORD
	s_mov_b64 s[0:1], -1
                                        ; implicit-def: $sgpr50
	s_and_saveexec_b64 s[48:49], s[64:65]
; %bb.252:                              ;   in Loop: Header=BB287_14 Depth=1
	s_mov_b32 s50, 0x7fc02000
	s_xor_b64 s[0:1], exec, -1
; %bb.253:                              ;   in Loop: Header=BB287_14 Depth=1
	s_or_b64 exec, exec, s[48:49]
	s_and_b64 s[0:1], s[0:1], exec
	s_or_saveexec_b64 s[46:47], s[46:47]
	v_mov_b32_e32 v47, s50
	s_xor_b64 exec, exec, s[46:47]
	s_cbranch_execz .LBB287_91
.LBB287_254:                            ;   in Loop: Header=BB287_14 Depth=1
	v_cmp_ne_u16_sdwa s[48:49], v2, v3 src0_sel:BYTE_0 src1_sel:DWORD
	s_andn2_b64 s[0:1], s[0:1], exec
	s_and_b64 s[48:49], s[48:49], exec
	v_mov_b32_e32 v47, 0
	s_or_b64 s[0:1], s[0:1], s[48:49]
	s_or_b64 exec, exec, s[46:47]
	s_and_saveexec_b64 s[46:47], s[0:1]
	s_cbranch_execnz .LBB287_92
	s_branch .LBB287_93
.LBB287_255:                            ;   in Loop: Header=BB287_14 Depth=1
	v_cmp_eq_u16_e64 s[0:1], s61, v2
	s_mov_b64 s[46:47], -1
                                        ; implicit-def: $sgpr63
	s_and_saveexec_b64 s[50:51], s[0:1]
; %bb.256:                              ;   in Loop: Header=BB287_14 Depth=1
	s_mov_b32 s63, 0x7fc02000
	s_xor_b64 s[46:47], exec, -1
; %bb.257:                              ;   in Loop: Header=BB287_14 Depth=1
	s_or_b64 exec, exec, s[50:51]
	s_and_b64 s[46:47], s[46:47], exec
	s_or_saveexec_b64 s[48:49], s[48:49]
	v_mov_b32_e32 v48, s63
	s_xor_b64 exec, exec, s[48:49]
	s_cbranch_execz .LBB287_95
.LBB287_258:                            ;   in Loop: Header=BB287_14 Depth=1
	v_cmp_ne_u16_e64 s[0:1], 0, v2
	s_andn2_b64 s[46:47], s[46:47], exec
	s_and_b64 s[0:1], s[0:1], exec
	v_mov_b32_e32 v48, 0
	s_or_b64 s[46:47], s[46:47], s[0:1]
	s_or_b64 exec, exec, s[48:49]
	s_and_saveexec_b64 s[48:49], s[46:47]
	s_cbranch_execnz .LBB287_96
	s_branch .LBB287_97
.LBB287_259:                            ;   in Loop: Header=BB287_14 Depth=1
	v_cmp_eq_u16_sdwa s[64:65], v14, s61 src0_sel:BYTE_0 src1_sel:DWORD
	s_mov_b64 s[0:1], -1
                                        ; implicit-def: $sgpr50
	s_and_saveexec_b64 s[48:49], s[64:65]
; %bb.260:                              ;   in Loop: Header=BB287_14 Depth=1
	s_mov_b32 s50, 0x7fc02000
	s_xor_b64 s[0:1], exec, -1
; %bb.261:                              ;   in Loop: Header=BB287_14 Depth=1
	s_or_b64 exec, exec, s[48:49]
	s_and_b64 s[0:1], s[0:1], exec
	s_or_saveexec_b64 s[46:47], s[46:47]
	v_mov_b32_e32 v49, s50
	s_xor_b64 exec, exec, s[46:47]
	s_cbranch_execz .LBB287_99
.LBB287_262:                            ;   in Loop: Header=BB287_14 Depth=1
	v_cmp_ne_u16_sdwa s[48:49], v14, v3 src0_sel:BYTE_0 src1_sel:DWORD
	s_andn2_b64 s[0:1], s[0:1], exec
	s_and_b64 s[48:49], s[48:49], exec
	v_mov_b32_e32 v49, 0
	s_or_b64 s[0:1], s[0:1], s[48:49]
	s_or_b64 exec, exec, s[46:47]
	s_and_saveexec_b64 s[46:47], s[0:1]
	s_cbranch_execnz .LBB287_100
	s_branch .LBB287_101
.LBB287_263:                            ;   in Loop: Header=BB287_14 Depth=1
	v_cmp_eq_u16_e64 s[0:1], s61, v2
	s_mov_b64 s[46:47], -1
                                        ; implicit-def: $sgpr63
	s_and_saveexec_b64 s[50:51], s[0:1]
; %bb.264:                              ;   in Loop: Header=BB287_14 Depth=1
	s_mov_b32 s63, 0x7fc02000
	s_xor_b64 s[46:47], exec, -1
; %bb.265:                              ;   in Loop: Header=BB287_14 Depth=1
	s_or_b64 exec, exec, s[50:51]
	s_and_b64 s[46:47], s[46:47], exec
	s_or_saveexec_b64 s[48:49], s[48:49]
	v_mov_b32_e32 v50, s63
	s_xor_b64 exec, exec, s[48:49]
	s_cbranch_execz .LBB287_103
.LBB287_266:                            ;   in Loop: Header=BB287_14 Depth=1
	v_cmp_ne_u16_e64 s[0:1], 0, v2
	s_andn2_b64 s[46:47], s[46:47], exec
	s_and_b64 s[0:1], s[0:1], exec
	v_mov_b32_e32 v50, 0
	s_or_b64 s[46:47], s[46:47], s[0:1]
	s_or_b64 exec, exec, s[48:49]
	s_and_saveexec_b64 s[48:49], s[46:47]
	s_cbranch_execnz .LBB287_104
	s_branch .LBB287_105
.LBB287_267:                            ;   in Loop: Header=BB287_14 Depth=1
	v_cmp_eq_u16_sdwa s[64:65], v2, s61 src0_sel:BYTE_0 src1_sel:DWORD
	s_mov_b64 s[0:1], -1
                                        ; implicit-def: $sgpr50
	s_and_saveexec_b64 s[48:49], s[64:65]
; %bb.268:                              ;   in Loop: Header=BB287_14 Depth=1
	s_mov_b32 s50, 0x7fc02000
	s_xor_b64 s[0:1], exec, -1
; %bb.269:                              ;   in Loop: Header=BB287_14 Depth=1
	s_or_b64 exec, exec, s[48:49]
	s_and_b64 s[0:1], s[0:1], exec
	s_or_saveexec_b64 s[46:47], s[46:47]
	v_mov_b32_e32 v51, s50
	s_xor_b64 exec, exec, s[46:47]
	s_cbranch_execz .LBB287_107
.LBB287_270:                            ;   in Loop: Header=BB287_14 Depth=1
	v_cmp_ne_u16_sdwa s[48:49], v2, v3 src0_sel:BYTE_0 src1_sel:DWORD
	s_andn2_b64 s[0:1], s[0:1], exec
	s_and_b64 s[48:49], s[48:49], exec
	v_mov_b32_e32 v51, 0
	s_or_b64 s[0:1], s[0:1], s[48:49]
	s_or_b64 exec, exec, s[46:47]
	s_and_saveexec_b64 s[46:47], s[0:1]
	s_cbranch_execnz .LBB287_108
	s_branch .LBB287_109
.LBB287_271:                            ;   in Loop: Header=BB287_14 Depth=1
	v_cmp_eq_u16_e64 s[0:1], s61, v2
	s_mov_b64 s[46:47], -1
                                        ; implicit-def: $sgpr63
	s_and_saveexec_b64 s[50:51], s[0:1]
; %bb.272:                              ;   in Loop: Header=BB287_14 Depth=1
	s_mov_b32 s63, 0x7fc02000
	s_xor_b64 s[46:47], exec, -1
; %bb.273:                              ;   in Loop: Header=BB287_14 Depth=1
	s_or_b64 exec, exec, s[50:51]
	s_and_b64 s[46:47], s[46:47], exec
	s_or_saveexec_b64 s[48:49], s[48:49]
	v_mov_b32_e32 v52, s63
	s_xor_b64 exec, exec, s[48:49]
	s_cbranch_execz .LBB287_111
.LBB287_274:                            ;   in Loop: Header=BB287_14 Depth=1
	v_cmp_ne_u16_e64 s[0:1], 0, v2
	s_andn2_b64 s[46:47], s[46:47], exec
	s_and_b64 s[0:1], s[0:1], exec
	v_mov_b32_e32 v52, 0
	s_or_b64 s[46:47], s[46:47], s[0:1]
	s_or_b64 exec, exec, s[48:49]
	s_and_saveexec_b64 s[48:49], s[46:47]
	s_cbranch_execnz .LBB287_112
	s_branch .LBB287_113
.LBB287_275:                            ;   in Loop: Header=BB287_14 Depth=1
	v_cmp_eq_u16_sdwa s[64:65], v14, s61 src0_sel:BYTE_0 src1_sel:DWORD
	s_mov_b64 s[0:1], -1
                                        ; implicit-def: $sgpr50
	s_and_saveexec_b64 s[48:49], s[64:65]
; %bb.276:                              ;   in Loop: Header=BB287_14 Depth=1
	s_mov_b32 s50, 0x7fc02000
	s_xor_b64 s[0:1], exec, -1
; %bb.277:                              ;   in Loop: Header=BB287_14 Depth=1
	s_or_b64 exec, exec, s[48:49]
	s_and_b64 s[0:1], s[0:1], exec
	s_or_saveexec_b64 s[46:47], s[46:47]
	v_mov_b32_e32 v53, s50
	s_xor_b64 exec, exec, s[46:47]
	s_cbranch_execz .LBB287_115
.LBB287_278:                            ;   in Loop: Header=BB287_14 Depth=1
	v_cmp_ne_u16_sdwa s[48:49], v14, v3 src0_sel:BYTE_0 src1_sel:DWORD
	s_andn2_b64 s[0:1], s[0:1], exec
	s_and_b64 s[48:49], s[48:49], exec
	v_mov_b32_e32 v53, 0
	s_or_b64 s[0:1], s[0:1], s[48:49]
	s_or_b64 exec, exec, s[46:47]
	s_and_saveexec_b64 s[46:47], s[0:1]
	s_cbranch_execnz .LBB287_116
	s_branch .LBB287_117
.LBB287_279:                            ;   in Loop: Header=BB287_14 Depth=1
	v_cmp_eq_u16_e64 s[0:1], s61, v2
	s_mov_b64 s[46:47], -1
                                        ; implicit-def: $sgpr63
	s_and_saveexec_b64 s[50:51], s[0:1]
; %bb.280:                              ;   in Loop: Header=BB287_14 Depth=1
	s_mov_b32 s63, 0x7fc02000
	s_xor_b64 s[46:47], exec, -1
; %bb.281:                              ;   in Loop: Header=BB287_14 Depth=1
	s_or_b64 exec, exec, s[50:51]
	s_and_b64 s[46:47], s[46:47], exec
	s_or_saveexec_b64 s[48:49], s[48:49]
	v_mov_b32_e32 v54, s63
	s_xor_b64 exec, exec, s[48:49]
	s_cbranch_execz .LBB287_119
.LBB287_282:                            ;   in Loop: Header=BB287_14 Depth=1
	v_cmp_ne_u16_e64 s[0:1], 0, v2
	s_andn2_b64 s[46:47], s[46:47], exec
	s_and_b64 s[0:1], s[0:1], exec
	v_mov_b32_e32 v54, 0
	s_or_b64 s[46:47], s[46:47], s[0:1]
	s_or_b64 exec, exec, s[48:49]
	s_and_saveexec_b64 s[48:49], s[46:47]
	s_cbranch_execnz .LBB287_120
	s_branch .LBB287_121
.LBB287_283:                            ;   in Loop: Header=BB287_14 Depth=1
	v_cmp_eq_u16_sdwa s[64:65], v2, s61 src0_sel:BYTE_0 src1_sel:DWORD
	s_mov_b64 s[0:1], -1
                                        ; implicit-def: $sgpr50
	s_and_saveexec_b64 s[48:49], s[64:65]
; %bb.284:                              ;   in Loop: Header=BB287_14 Depth=1
	s_mov_b32 s50, 0x7fc02000
	s_xor_b64 s[0:1], exec, -1
; %bb.285:                              ;   in Loop: Header=BB287_14 Depth=1
	s_or_b64 exec, exec, s[48:49]
	s_and_b64 s[0:1], s[0:1], exec
	s_or_saveexec_b64 s[46:47], s[46:47]
	v_mov_b32_e32 v55, s50
	s_xor_b64 exec, exec, s[46:47]
	s_cbranch_execz .LBB287_123
.LBB287_286:                            ;   in Loop: Header=BB287_14 Depth=1
	v_cmp_ne_u16_sdwa s[48:49], v2, v3 src0_sel:BYTE_0 src1_sel:DWORD
	s_andn2_b64 s[0:1], s[0:1], exec
	s_and_b64 s[48:49], s[48:49], exec
	v_mov_b32_e32 v55, 0
	s_or_b64 s[0:1], s[0:1], s[48:49]
	s_or_b64 exec, exec, s[46:47]
	s_and_saveexec_b64 s[46:47], s[0:1]
	s_cbranch_execnz .LBB287_124
	s_branch .LBB287_125
.LBB287_287:                            ;   in Loop: Header=BB287_14 Depth=1
	v_cmp_eq_u16_e64 s[0:1], s61, v2
	s_mov_b64 s[46:47], -1
                                        ; implicit-def: $sgpr63
	s_and_saveexec_b64 s[50:51], s[0:1]
; %bb.288:                              ;   in Loop: Header=BB287_14 Depth=1
	s_mov_b32 s63, 0x7fc02000
	s_xor_b64 s[46:47], exec, -1
; %bb.289:                              ;   in Loop: Header=BB287_14 Depth=1
	s_or_b64 exec, exec, s[50:51]
	s_and_b64 s[46:47], s[46:47], exec
	s_or_saveexec_b64 s[48:49], s[48:49]
	v_mov_b32_e32 v56, s63
	s_xor_b64 exec, exec, s[48:49]
	s_cbranch_execz .LBB287_127
.LBB287_290:                            ;   in Loop: Header=BB287_14 Depth=1
	v_cmp_ne_u16_e64 s[0:1], 0, v2
	s_andn2_b64 s[46:47], s[46:47], exec
	s_and_b64 s[0:1], s[0:1], exec
	v_mov_b32_e32 v56, 0
	s_or_b64 s[46:47], s[46:47], s[0:1]
	s_or_b64 exec, exec, s[48:49]
	s_and_saveexec_b64 s[48:49], s[46:47]
	s_cbranch_execnz .LBB287_128
	s_branch .LBB287_129
.LBB287_291:                            ;   in Loop: Header=BB287_14 Depth=1
	v_cmp_eq_u16_sdwa s[64:65], v14, s61 src0_sel:BYTE_0 src1_sel:DWORD
	s_mov_b64 s[0:1], -1
                                        ; implicit-def: $sgpr50
	s_and_saveexec_b64 s[48:49], s[64:65]
; %bb.292:                              ;   in Loop: Header=BB287_14 Depth=1
	s_mov_b32 s50, 0x7fc02000
	s_xor_b64 s[0:1], exec, -1
; %bb.293:                              ;   in Loop: Header=BB287_14 Depth=1
	s_or_b64 exec, exec, s[48:49]
	s_and_b64 s[0:1], s[0:1], exec
	s_or_saveexec_b64 s[46:47], s[46:47]
	v_mov_b32_e32 v57, s50
	s_xor_b64 exec, exec, s[46:47]
	s_cbranch_execz .LBB287_131
.LBB287_294:                            ;   in Loop: Header=BB287_14 Depth=1
	v_cmp_ne_u16_sdwa s[48:49], v14, v3 src0_sel:BYTE_0 src1_sel:DWORD
	s_andn2_b64 s[0:1], s[0:1], exec
	s_and_b64 s[48:49], s[48:49], exec
	v_mov_b32_e32 v57, 0
	s_or_b64 s[0:1], s[0:1], s[48:49]
	s_or_b64 exec, exec, s[46:47]
	s_and_saveexec_b64 s[46:47], s[0:1]
	s_cbranch_execnz .LBB287_132
	s_branch .LBB287_133
.LBB287_295:                            ;   in Loop: Header=BB287_14 Depth=1
	v_cmp_eq_u16_e64 s[0:1], s61, v2
	s_mov_b64 s[46:47], -1
                                        ; implicit-def: $sgpr63
	s_and_saveexec_b64 s[50:51], s[0:1]
; %bb.296:                              ;   in Loop: Header=BB287_14 Depth=1
	s_mov_b32 s63, 0x7fc02000
	s_xor_b64 s[46:47], exec, -1
; %bb.297:                              ;   in Loop: Header=BB287_14 Depth=1
	s_or_b64 exec, exec, s[50:51]
	s_and_b64 s[46:47], s[46:47], exec
	s_or_saveexec_b64 s[48:49], s[48:49]
	v_mov_b32_e32 v58, s63
	s_xor_b64 exec, exec, s[48:49]
	s_cbranch_execz .LBB287_135
.LBB287_298:                            ;   in Loop: Header=BB287_14 Depth=1
	v_cmp_ne_u16_e64 s[0:1], 0, v2
	s_andn2_b64 s[46:47], s[46:47], exec
	s_and_b64 s[0:1], s[0:1], exec
	v_mov_b32_e32 v58, 0
	s_or_b64 s[46:47], s[46:47], s[0:1]
	s_or_b64 exec, exec, s[48:49]
	s_and_saveexec_b64 s[48:49], s[46:47]
	s_cbranch_execnz .LBB287_136
	s_branch .LBB287_137
.LBB287_299:                            ;   in Loop: Header=BB287_14 Depth=1
	v_cmp_eq_u16_sdwa s[64:65], v2, s61 src0_sel:BYTE_0 src1_sel:DWORD
	s_mov_b64 s[0:1], -1
                                        ; implicit-def: $sgpr50
	s_and_saveexec_b64 s[48:49], s[64:65]
; %bb.300:                              ;   in Loop: Header=BB287_14 Depth=1
	s_mov_b32 s50, 0x7fc02000
	s_xor_b64 s[0:1], exec, -1
; %bb.301:                              ;   in Loop: Header=BB287_14 Depth=1
	s_or_b64 exec, exec, s[48:49]
	s_and_b64 s[0:1], s[0:1], exec
	s_or_saveexec_b64 s[46:47], s[46:47]
	v_mov_b32_e32 v59, s50
	s_xor_b64 exec, exec, s[46:47]
	s_cbranch_execz .LBB287_139
.LBB287_302:                            ;   in Loop: Header=BB287_14 Depth=1
	v_cmp_ne_u16_sdwa s[48:49], v2, v3 src0_sel:BYTE_0 src1_sel:DWORD
	s_andn2_b64 s[0:1], s[0:1], exec
	s_and_b64 s[48:49], s[48:49], exec
	v_mov_b32_e32 v59, 0
	s_or_b64 s[0:1], s[0:1], s[48:49]
	s_or_b64 exec, exec, s[46:47]
	s_and_saveexec_b64 s[46:47], s[0:1]
	s_cbranch_execnz .LBB287_140
	s_branch .LBB287_141
.LBB287_303:                            ;   in Loop: Header=BB287_14 Depth=1
	v_cmp_eq_u16_e64 s[0:1], s61, v2
	s_mov_b64 s[46:47], -1
                                        ; implicit-def: $sgpr63
	s_and_saveexec_b64 s[50:51], s[0:1]
; %bb.304:                              ;   in Loop: Header=BB287_14 Depth=1
	s_mov_b32 s63, 0x7fc02000
	s_xor_b64 s[46:47], exec, -1
; %bb.305:                              ;   in Loop: Header=BB287_14 Depth=1
	s_or_b64 exec, exec, s[50:51]
	s_and_b64 s[46:47], s[46:47], exec
	s_or_saveexec_b64 s[48:49], s[48:49]
	v_mov_b32_e32 v60, s63
	s_xor_b64 exec, exec, s[48:49]
	s_cbranch_execz .LBB287_143
.LBB287_306:                            ;   in Loop: Header=BB287_14 Depth=1
	v_cmp_ne_u16_e64 s[0:1], 0, v2
	s_andn2_b64 s[46:47], s[46:47], exec
	s_and_b64 s[0:1], s[0:1], exec
	v_mov_b32_e32 v60, 0
	s_or_b64 s[46:47], s[46:47], s[0:1]
	s_or_b64 exec, exec, s[48:49]
	s_and_saveexec_b64 s[48:49], s[46:47]
	s_cbranch_execnz .LBB287_144
	s_branch .LBB287_145
.LBB287_307:                            ;   in Loop: Header=BB287_14 Depth=1
	v_cmp_eq_u16_sdwa s[64:65], v14, s61 src0_sel:BYTE_0 src1_sel:DWORD
	s_mov_b64 s[0:1], -1
                                        ; implicit-def: $sgpr50
	s_and_saveexec_b64 s[48:49], s[64:65]
; %bb.308:                              ;   in Loop: Header=BB287_14 Depth=1
	s_mov_b32 s50, 0x7fc02000
	s_xor_b64 s[0:1], exec, -1
; %bb.309:                              ;   in Loop: Header=BB287_14 Depth=1
	s_or_b64 exec, exec, s[48:49]
	s_and_b64 s[0:1], s[0:1], exec
	s_or_saveexec_b64 s[46:47], s[46:47]
	v_mov_b32_e32 v61, s50
	s_xor_b64 exec, exec, s[46:47]
	s_cbranch_execz .LBB287_147
.LBB287_310:                            ;   in Loop: Header=BB287_14 Depth=1
	v_cmp_ne_u16_sdwa s[48:49], v14, v3 src0_sel:BYTE_0 src1_sel:DWORD
	s_andn2_b64 s[0:1], s[0:1], exec
	s_and_b64 s[48:49], s[48:49], exec
	v_mov_b32_e32 v61, 0
	s_or_b64 s[0:1], s[0:1], s[48:49]
	s_or_b64 exec, exec, s[46:47]
	s_and_saveexec_b64 s[46:47], s[0:1]
	s_cbranch_execnz .LBB287_148
	s_branch .LBB287_149
.LBB287_311:                            ;   in Loop: Header=BB287_14 Depth=1
	v_cmp_eq_u16_e64 s[0:1], s61, v2
	s_mov_b64 s[46:47], -1
                                        ; implicit-def: $sgpr63
	s_and_saveexec_b64 s[50:51], s[0:1]
; %bb.312:                              ;   in Loop: Header=BB287_14 Depth=1
	s_mov_b32 s63, 0x7fc02000
	s_xor_b64 s[46:47], exec, -1
; %bb.313:                              ;   in Loop: Header=BB287_14 Depth=1
	s_or_b64 exec, exec, s[50:51]
	s_and_b64 s[46:47], s[46:47], exec
	s_or_saveexec_b64 s[48:49], s[48:49]
	v_mov_b32_e32 v62, s63
	s_xor_b64 exec, exec, s[48:49]
	s_cbranch_execz .LBB287_151
.LBB287_314:                            ;   in Loop: Header=BB287_14 Depth=1
	v_cmp_ne_u16_e64 s[0:1], 0, v2
	s_andn2_b64 s[46:47], s[46:47], exec
	s_and_b64 s[0:1], s[0:1], exec
	v_mov_b32_e32 v62, 0
	s_or_b64 s[46:47], s[46:47], s[0:1]
	s_or_b64 exec, exec, s[48:49]
	s_and_saveexec_b64 s[48:49], s[46:47]
	s_cbranch_execnz .LBB287_152
	s_branch .LBB287_153
.LBB287_315:                            ;   in Loop: Header=BB287_14 Depth=1
	v_cmp_eq_u16_sdwa s[64:65], v2, s61 src0_sel:BYTE_0 src1_sel:DWORD
	s_mov_b64 s[0:1], -1
                                        ; implicit-def: $sgpr50
	s_and_saveexec_b64 s[48:49], s[64:65]
; %bb.316:                              ;   in Loop: Header=BB287_14 Depth=1
	s_mov_b32 s50, 0x7fc02000
	s_xor_b64 s[0:1], exec, -1
; %bb.317:                              ;   in Loop: Header=BB287_14 Depth=1
	s_or_b64 exec, exec, s[48:49]
	s_and_b64 s[0:1], s[0:1], exec
	s_or_saveexec_b64 s[46:47], s[46:47]
	v_mov_b32_e32 v63, s50
	s_xor_b64 exec, exec, s[46:47]
	s_cbranch_execz .LBB287_155
.LBB287_318:                            ;   in Loop: Header=BB287_14 Depth=1
	v_cmp_ne_u16_sdwa s[48:49], v2, v3 src0_sel:BYTE_0 src1_sel:DWORD
	s_andn2_b64 s[0:1], s[0:1], exec
	s_and_b64 s[48:49], s[48:49], exec
	v_mov_b32_e32 v63, 0
	s_or_b64 s[0:1], s[0:1], s[48:49]
	s_or_b64 exec, exec, s[46:47]
	s_and_saveexec_b64 s[46:47], s[0:1]
	s_cbranch_execnz .LBB287_156
	s_branch .LBB287_157
.LBB287_319:                            ;   in Loop: Header=BB287_14 Depth=1
	v_cmp_eq_u16_e64 s[0:1], s61, v2
	s_mov_b64 s[46:47], -1
                                        ; implicit-def: $sgpr63
	s_and_saveexec_b64 s[50:51], s[0:1]
; %bb.320:                              ;   in Loop: Header=BB287_14 Depth=1
	s_mov_b32 s63, 0x7fc02000
	s_xor_b64 s[46:47], exec, -1
; %bb.321:                              ;   in Loop: Header=BB287_14 Depth=1
	s_or_b64 exec, exec, s[50:51]
	s_and_b64 s[46:47], s[46:47], exec
	s_or_saveexec_b64 s[48:49], s[48:49]
	v_mov_b32_e32 v64, s63
	s_xor_b64 exec, exec, s[48:49]
	s_cbranch_execz .LBB287_159
.LBB287_322:                            ;   in Loop: Header=BB287_14 Depth=1
	v_cmp_ne_u16_e64 s[0:1], 0, v2
	s_andn2_b64 s[46:47], s[46:47], exec
	s_and_b64 s[0:1], s[0:1], exec
	v_mov_b32_e32 v64, 0
	s_or_b64 s[46:47], s[46:47], s[0:1]
	s_or_b64 exec, exec, s[48:49]
	s_and_saveexec_b64 s[48:49], s[46:47]
	s_cbranch_execnz .LBB287_160
	s_branch .LBB287_161
.LBB287_323:                            ;   in Loop: Header=BB287_14 Depth=1
	v_cmp_eq_u16_sdwa s[64:65], v12, s61 src0_sel:BYTE_0 src1_sel:DWORD
	s_mov_b64 s[0:1], -1
                                        ; implicit-def: $sgpr50
	s_and_saveexec_b64 s[48:49], s[64:65]
; %bb.324:                              ;   in Loop: Header=BB287_14 Depth=1
	s_mov_b32 s50, 0x7fc02000
	s_xor_b64 s[0:1], exec, -1
; %bb.325:                              ;   in Loop: Header=BB287_14 Depth=1
	s_or_b64 exec, exec, s[48:49]
	s_and_b64 s[0:1], s[0:1], exec
	s_or_saveexec_b64 s[46:47], s[46:47]
	v_mov_b32_e32 v13, s50
	s_xor_b64 exec, exec, s[46:47]
	s_cbranch_execz .LBB287_163
.LBB287_326:                            ;   in Loop: Header=BB287_14 Depth=1
	v_cmp_ne_u16_sdwa s[48:49], v12, v3 src0_sel:BYTE_0 src1_sel:DWORD
	s_andn2_b64 s[0:1], s[0:1], exec
	s_and_b64 s[48:49], s[48:49], exec
	v_mov_b32_e32 v13, 0
	s_or_b64 s[0:1], s[0:1], s[48:49]
	s_or_b64 exec, exec, s[46:47]
	s_and_saveexec_b64 s[46:47], s[0:1]
	s_cbranch_execnz .LBB287_164
	s_branch .LBB287_165
.LBB287_327:                            ;   in Loop: Header=BB287_14 Depth=1
	v_cmp_eq_u16_e64 s[0:1], s61, v2
	s_mov_b64 s[46:47], -1
                                        ; implicit-def: $sgpr63
	s_and_saveexec_b64 s[50:51], s[0:1]
; %bb.328:                              ;   in Loop: Header=BB287_14 Depth=1
	s_mov_b32 s63, 0x7fc02000
	s_xor_b64 s[46:47], exec, -1
; %bb.329:                              ;   in Loop: Header=BB287_14 Depth=1
	s_or_b64 exec, exec, s[50:51]
	s_and_b64 s[46:47], s[46:47], exec
	s_or_saveexec_b64 s[48:49], s[48:49]
	v_mov_b32_e32 v65, s63
	s_xor_b64 exec, exec, s[48:49]
	s_cbranch_execz .LBB287_167
.LBB287_330:                            ;   in Loop: Header=BB287_14 Depth=1
	v_cmp_ne_u16_e64 s[0:1], 0, v2
	s_andn2_b64 s[46:47], s[46:47], exec
	s_and_b64 s[0:1], s[0:1], exec
	v_mov_b32_e32 v65, 0
	s_or_b64 s[46:47], s[46:47], s[0:1]
	s_or_b64 exec, exec, s[48:49]
	s_and_saveexec_b64 s[48:49], s[46:47]
	s_cbranch_execnz .LBB287_168
	s_branch .LBB287_169
.LBB287_331:                            ;   in Loop: Header=BB287_14 Depth=1
	v_cmp_eq_u16_sdwa s[64:65], v2, s61 src0_sel:BYTE_0 src1_sel:DWORD
	s_mov_b64 s[0:1], -1
                                        ; implicit-def: $sgpr50
	s_and_saveexec_b64 s[48:49], s[64:65]
; %bb.332:                              ;   in Loop: Header=BB287_14 Depth=1
	s_mov_b32 s50, 0x7fc02000
	s_xor_b64 s[0:1], exec, -1
; %bb.333:                              ;   in Loop: Header=BB287_14 Depth=1
	s_or_b64 exec, exec, s[48:49]
	s_and_b64 s[0:1], s[0:1], exec
	s_or_saveexec_b64 s[46:47], s[46:47]
	v_mov_b32_e32 v66, s50
	s_xor_b64 exec, exec, s[46:47]
	s_cbranch_execz .LBB287_171
.LBB287_334:                            ;   in Loop: Header=BB287_14 Depth=1
	v_cmp_ne_u16_sdwa s[48:49], v2, v3 src0_sel:BYTE_0 src1_sel:DWORD
	s_andn2_b64 s[0:1], s[0:1], exec
	s_and_b64 s[48:49], s[48:49], exec
	v_mov_b32_e32 v66, 0
	s_or_b64 s[0:1], s[0:1], s[48:49]
	s_or_b64 exec, exec, s[46:47]
	s_and_saveexec_b64 s[46:47], s[0:1]
	s_cbranch_execnz .LBB287_172
	s_branch .LBB287_173
.LBB287_335:                            ;   in Loop: Header=BB287_14 Depth=1
	v_cmp_eq_u16_e64 s[0:1], s61, v2
	s_mov_b64 s[46:47], -1
                                        ; implicit-def: $sgpr63
	s_and_saveexec_b64 s[50:51], s[0:1]
; %bb.336:                              ;   in Loop: Header=BB287_14 Depth=1
	s_mov_b32 s63, 0x7fc02000
	s_xor_b64 s[46:47], exec, -1
; %bb.337:                              ;   in Loop: Header=BB287_14 Depth=1
	s_or_b64 exec, exec, s[50:51]
	s_and_b64 s[46:47], s[46:47], exec
	s_or_saveexec_b64 s[48:49], s[48:49]
	v_mov_b32_e32 v67, s63
	s_xor_b64 exec, exec, s[48:49]
	s_cbranch_execz .LBB287_175
.LBB287_338:                            ;   in Loop: Header=BB287_14 Depth=1
	v_cmp_ne_u16_e64 s[0:1], 0, v2
	s_andn2_b64 s[46:47], s[46:47], exec
	s_and_b64 s[0:1], s[0:1], exec
	v_mov_b32_e32 v67, 0
	s_or_b64 s[46:47], s[46:47], s[0:1]
	s_or_b64 exec, exec, s[48:49]
	s_and_saveexec_b64 s[48:49], s[46:47]
	s_cbranch_execnz .LBB287_176
	s_branch .LBB287_177
.LBB287_339:
	s_or_b64 exec, exec, s[44:45]
.LBB287_340:
	s_or_b64 exec, exec, s[14:15]
	v_mbcnt_hi_u32_b32 v4, -1, v17
	v_and_b32_e32 v2, 64, v4
	s_waitcnt lgkmcnt(0)
	v_add_u32_e32 v12, 64, v2
	v_xor_b32_e32 v2, 32, v4
	v_cmp_lt_i32_e32 vcc, v2, v12
	v_xor_b32_e32 v6, 16, v4
	v_max_f32_e32 v5, v20, v20
	v_cndmask_b32_e32 v2, v4, v2, vcc
	v_lshlrev_b32_e32 v2, 2, v2
	ds_bpermute_b32 v3, v2, v20
	v_cmp_lt_i32_e32 vcc, v6, v12
	v_xor_b32_e32 v7, 8, v4
	v_xor_b32_e32 v10, 4, v4
	;; [unrolled: 1-line block ×3, first 2 shown]
	s_waitcnt lgkmcnt(0)
	v_max_f32_e32 v3, v3, v3
	v_max_f32_e32 v5, v5, v3
	v_cndmask_b32_e32 v3, v4, v6, vcc
	v_lshlrev_b32_e32 v3, 2, v3
	ds_bpermute_b32 v6, v3, v5
	v_cmp_lt_i32_e32 vcc, v7, v12
	v_and_b32_e32 v19, 63, v0
	s_waitcnt lgkmcnt(0)
	v_max_f32_e32 v6, v6, v6
	v_max_f32_e32 v6, v5, v6
	v_cndmask_b32_e32 v5, v4, v7, vcc
	v_lshlrev_b32_e32 v5, 2, v5
	ds_bpermute_b32 v7, v5, v6
	v_cmp_lt_i32_e32 vcc, v10, v12
	s_waitcnt lgkmcnt(0)
	v_max_f32_e32 v7, v7, v7
	v_max_f32_e32 v7, v6, v7
	v_cndmask_b32_e32 v6, v4, v10, vcc
	v_lshlrev_b32_e32 v6, 2, v6
	ds_bpermute_b32 v10, v6, v7
	v_cmp_lt_i32_e32 vcc, v13, v12
	s_waitcnt lgkmcnt(0)
	v_max_f32_e32 v10, v10, v10
	v_max_f32_e32 v11, v7, v10
	v_cndmask_b32_e32 v7, v4, v13, vcc
	v_lshlrev_b32_e32 v7, 2, v7
	ds_bpermute_b32 v13, v7, v11
	v_cmp_eq_u32_e32 vcc, 0, v19
	v_lshlrev_b32_e32 v10, 2, v16
	s_and_saveexec_b64 s[0:1], vcc
	s_cbranch_execz .LBB287_342
; %bb.341:
	s_waitcnt lgkmcnt(0)
	v_max_f32_e32 v13, v13, v13
	v_max_f32_e32 v11, v11, v11
	;; [unrolled: 1-line block ×3, first 2 shown]
	ds_write_b32 v10, v11 offset:160
.LBB287_342:
	s_or_b64 exec, exec, s[0:1]
	v_cmp_gt_u32_e64 s[0:1], 2, v19
	s_waitcnt lgkmcnt(0)
	v_mov_b32_e32 v13, 0xff7fffff
	v_lshlrev_b32_e32 v11, 2, v19
	s_barrier
	s_and_saveexec_b64 s[6:7], s[0:1]
	s_cbranch_execz .LBB287_344
; %bb.343:
	ds_read_b32 v13, v11 offset:160
.LBB287_344:
	s_or_b64 exec, exec, s[6:7]
	v_xor_b32_e32 v14, 1, v4
	v_cmp_lt_i32_e64 s[6:7], v14, v12
	s_sub_i32 s3, s52, s12
	s_lshl_b32 s3, s3, 5
	v_cndmask_b32_e64 v12, v4, v14, s[6:7]
	v_lshlrev_b32_e32 v26, 2, v12
	s_waitcnt lgkmcnt(0)
	ds_bpermute_b32 v12, v26, v13
	v_max_f32_e32 v13, v13, v13
	v_lshlrev_b32_e32 v4, 2, v4
	s_add_i32 s3, s3, s56
	s_min_i32 s12, s3, s33
	s_waitcnt lgkmcnt(0)
	v_max_f32_e32 v12, v12, v12
	v_max_f32_e32 v13, v13, v12
	v_and_b32_e32 v12, 0x100, v4
	ds_bpermute_b32 v4, v12, v13
	s_sub_i32 s3, s12, s56
	v_cmp_gt_i32_e64 s[6:7], s3, v0
	v_mov_b32_e32 v13, 0
	s_and_saveexec_b64 s[14:15], s[6:7]
	s_cbranch_execz .LBB287_348
; %bb.345:
	v_mov_b32_e32 v13, 0xb0
	v_lshl_add_u32 v14, v0, 2, v13
	s_mov_b64 s[16:17], 0
	v_mov_b32_e32 v13, 0
	v_mov_b32_e32 v17, v0
.LBB287_346:                            ; =>This Inner Loop Header: Depth=1
	ds_read_b32 v18, v14
	v_add_u32_e32 v17, 0x80, v17
	v_cmp_le_i32_e64 s[10:11], s3, v17
	s_or_b64 s[16:17], s[10:11], s[16:17]
	s_waitcnt lgkmcnt(0)
	v_sub_f32_e32 v18, v18, v4
	v_mul_f32_e32 v18, 0x3fb8aa3b, v18
	v_exp_f32_e32 v18, v18
	ds_write_b32 v14, v18
	v_add_f32_e32 v13, v13, v18
	v_add_u32_e32 v14, 0x200, v14
	s_andn2_b64 exec, exec, s[16:17]
	s_cbranch_execnz .LBB287_346
; %bb.347:
	s_or_b64 exec, exec, s[16:17]
.LBB287_348:
	s_or_b64 exec, exec, s[14:15]
	ds_bpermute_b32 v2, v2, v13
	s_waitcnt lgkmcnt(0)
	v_add_f32_e32 v2, v13, v2
	ds_bpermute_b32 v3, v3, v2
	s_waitcnt lgkmcnt(0)
	v_add_f32_e32 v2, v2, v3
	;; [unrolled: 3-line block ×6, first 2 shown]
	s_and_saveexec_b64 s[10:11], vcc
	s_cbranch_execz .LBB287_350
; %bb.349:
	ds_write_b32 v10, v2 offset:168
.LBB287_350:
	s_or_b64 exec, exec, s[10:11]
	s_waitcnt lgkmcnt(0)
	s_barrier
	s_and_saveexec_b64 s[10:11], s[0:1]
	s_cbranch_execz .LBB287_352
; %bb.351:
	ds_read_b32 v2, v11 offset:168
.LBB287_352:
	s_or_b64 exec, exec, s[10:11]
	s_waitcnt lgkmcnt(0)
	ds_bpermute_b32 v3, v26, v2
	s_waitcnt lgkmcnt(0)
	v_add_f32_e32 v2, v2, v3
	ds_bpermute_b32 v5, v12, v2
	s_and_saveexec_b64 s[0:1], s[6:7]
	s_cbranch_execz .LBB287_365
; %bb.353:
	s_waitcnt lgkmcnt(0)
	v_add_f32_e32 v2, 0x358637bd, v5
	v_div_scale_f32 v3, s[6:7], v2, v2, 1.0
	v_rcp_f32_e32 v6, v3
	v_div_scale_f32 v10, vcc, 1.0, v2, 1.0
	s_movk_i32 s6, 0x7f
	v_fma_f32 v11, -v3, v6, 1.0
	v_fmac_f32_e32 v6, v11, v6
	v_mul_f32_e32 v11, v10, v6
	v_fma_f32 v12, -v3, v11, v10
	v_fmac_f32_e32 v11, v12, v6
	v_fma_f32 v3, -v3, v11, v10
	v_div_fmas_f32 v3, v3, v6, v11
	v_div_fixup_f32 v2, v3, v2, 1.0
	v_xad_u32 v3, v0, -1, s12
	v_subrev_u32_e32 v6, s56, v3
	v_cmp_lt_u32_e32 vcc, s6, v6
	s_mov_b64 s[10:11], -1
	v_mov_b32_e32 v3, v0
	s_and_saveexec_b64 s[6:7], vcc
	s_cbranch_execz .LBB287_362
; %bb.354:
	v_lshrrev_b32_e32 v6, 7, v6
	v_add_u32_e32 v11, -1, v6
	v_lshrrev_b32_e32 v10, 1, v11
	v_mov_b32_e32 v3, v2
	v_add_u32_e32 v10, 1, v10
	v_cmp_lt_u32_e32 vcc, 13, v11
	v_mov_b32_e32 v13, 0
	s_and_saveexec_b64 s[10:11], vcc
	s_cbranch_execz .LBB287_358
; %bb.355:
	v_mov_b32_e32 v12, 0xb0
	v_and_b32_e32 v11, -8, v10
	v_lshl_add_u32 v12, v0, 2, v12
	s_mov_b32 s12, 0
	s_mov_b64 s[14:15], 0
.LBB287_356:                            ; =>This Inner Loop Header: Depth=1
	ds_read2st64_b32 v[20:21], v12 offset1:2
	ds_read2st64_b32 v[22:23], v12 offset0:4 offset1:6
	ds_read2st64_b32 v[24:25], v12 offset0:8 offset1:10
	;; [unrolled: 1-line block ×3, first 2 shown]
	v_add_u32_e32 v11, -8, v11
	s_waitcnt lgkmcnt(3)
	v_pk_mul_f32 v[20:21], v[2:3], v[20:21]
	s_waitcnt lgkmcnt(2)
	v_pk_mul_f32 v[22:23], v[2:3], v[22:23]
	ds_write2st64_b32 v12, v20, v21 offset1:2
	ds_write2st64_b32 v12, v22, v23 offset0:4 offset1:6
	ds_read2st64_b32 v[22:23], v12 offset0:16 offset1:18
	s_waitcnt lgkmcnt(4)
	v_pk_mul_f32 v[20:21], v[2:3], v[24:25]
	ds_write2st64_b32 v12, v20, v21 offset0:8 offset1:10
	s_waitcnt lgkmcnt(4)
	v_pk_mul_f32 v[20:21], v[2:3], v[28:29]
	ds_write2st64_b32 v12, v20, v21 offset0:12 offset1:14
	ds_read2st64_b32 v[20:21], v12 offset0:20 offset1:22
	s_waitcnt lgkmcnt(3)
	v_pk_mul_f32 v[22:23], v[2:3], v[22:23]
	ds_read2st64_b32 v[24:25], v12 offset0:24 offset1:26
	ds_write2st64_b32 v12, v22, v23 offset0:16 offset1:18
	ds_read2st64_b32 v[22:23], v12 offset0:28 offset1:30
	s_waitcnt lgkmcnt(3)
	v_pk_mul_f32 v[20:21], v[2:3], v[20:21]
	ds_write2st64_b32 v12, v20, v21 offset0:20 offset1:22
	s_waitcnt lgkmcnt(3)
	v_pk_mul_f32 v[20:21], v[2:3], v[24:25]
	ds_write2st64_b32 v12, v20, v21 offset0:24 offset1:26
	s_waitcnt lgkmcnt(2)
	v_pk_mul_f32 v[20:21], v[2:3], v[22:23]
	s_add_i32 s12, s12, 16
	v_cmp_eq_u32_e32 vcc, 0, v11
	ds_write2st64_b32 v12, v20, v21 offset0:28 offset1:30
	v_add_u32_e32 v12, 0x2000, v12
	s_or_b64 s[14:15], vcc, s[14:15]
	v_mov_b32_e32 v13, s12
	s_andn2_b64 exec, exec, s[14:15]
	s_cbranch_execnz .LBB287_356
; %bb.357:
	s_or_b64 exec, exec, s[14:15]
.LBB287_358:
	s_or_b64 exec, exec, s[10:11]
	v_and_b32_e32 v10, 7, v10
	v_cmp_ne_u32_e32 vcc, 0, v10
	s_and_saveexec_b64 s[10:11], vcc
	s_cbranch_execz .LBB287_361
; %bb.359:
	v_lshlrev_b32_e32 v11, 9, v13
	v_lshlrev_b32_e32 v12, 2, v0
	s_movk_i32 s12, 0xb0
	v_add3_u32 v11, v11, v12, s12
	s_mov_b64 s[14:15], 0
.LBB287_360:                            ; =>This Inner Loop Header: Depth=1
	ds_read2st64_b32 v[12:13], v11 offset1:2
	v_add_u32_e32 v10, -1, v10
	v_cmp_eq_u32_e32 vcc, 0, v10
	s_or_b64 s[14:15], vcc, s[14:15]
	s_waitcnt lgkmcnt(0)
	v_pk_mul_f32 v[12:13], v[2:3], v[12:13]
	ds_write2st64_b32 v11, v12, v13 offset1:2
	v_add_u32_e32 v11, 0x400, v11
	s_andn2_b64 exec, exec, s[14:15]
	s_cbranch_execnz .LBB287_360
.LBB287_361:
	s_or_b64 exec, exec, s[10:11]
	v_add_u32_e32 v6, 1, v6
	v_and_b32_e32 v10, 0x3fffffe, v6
	v_cmp_ne_u32_e32 vcc, v6, v10
	v_lshl_add_u32 v3, v10, 7, v0
	s_orn2_b64 s[10:11], vcc, exec
.LBB287_362:
	s_or_b64 exec, exec, s[6:7]
	s_and_b64 exec, exec, s[10:11]
	s_cbranch_execz .LBB287_365
; %bb.363:
	v_mov_b32_e32 v6, 0xb0
	v_lshl_add_u32 v6, v3, 2, v6
	s_mov_b64 s[6:7], 0
.LBB287_364:                            ; =>This Inner Loop Header: Depth=1
	ds_read_b32 v10, v6
	v_add_u32_e32 v3, 0x80, v3
	v_cmp_le_i32_e32 vcc, s3, v3
	s_or_b64 s[6:7], vcc, s[6:7]
	s_waitcnt lgkmcnt(0)
	v_mul_f32_e32 v10, v2, v10
	ds_write_b32 v6, v10
	v_add_u32_e32 v6, 0x200, v6
	s_andn2_b64 exec, exec, s[6:7]
	s_cbranch_execnz .LBB287_364
.LBB287_365:
	s_or_b64 exec, exec, s[0:1]
	s_mul_i32 s0, s20, s34
	v_cmp_eq_u32_e32 vcc, 0, v0
	s_mul_i32 s6, s0, s5
	s_waitcnt lgkmcnt(0)
	s_barrier
	s_and_saveexec_b64 s[0:1], vcc
	s_cbranch_execz .LBB287_367
; %bb.366:
	s_ashr_i32 s7, s6, 31
	s_lshl_b64 s[10:11], s[6:7], 2
	s_add_u32 s5, s26, s10
	s_mul_i32 s2, s20, s2
	s_addc_u32 s7, s27, s11
	s_ashr_i32 s3, s2, 31
	s_lshl_b64 s[2:3], s[2:3], 2
	s_add_u32 s12, s5, s2
	s_addc_u32 s7, s7, s3
	s_ashr_i32 s5, s4, 31
	s_lshl_b64 s[14:15], s[4:5], 2
	s_add_u32 s16, s12, s14
	s_addc_u32 s17, s7, s15
	s_add_u32 s5, s24, s10
	s_addc_u32 s7, s25, s11
	;; [unrolled: 2-line block ×3, first 2 shown]
	s_add_u32 s2, s2, s14
	v_mov_b32_e32 v2, 0
	s_addc_u32 s3, s3, s15
	global_store_dword v2, v4, s[16:17]
	global_store_dword v2, v5, s[2:3]
.LBB287_367:
	s_or_b64 exec, exec, s[0:1]
	s_mov_b32 s12, 0
	v_mov_b32_e32 v6, 0
	v_and_b32_e32 v27, 3, v0
	v_mov_b32_e32 v5, 0
	v_mov_b32_e32 v4, 0
	v_mov_b32_e32 v3, 0
	v_mov_b32_e32 v2, 0
	s_and_saveexec_b64 s[2:3], s[8:9]
	s_cbranch_execz .LBB287_703
; %bb.368:
	s_sub_i32 s5, s54, s21
	s_ashr_i32 s1, s55, 31
	s_add_u32 s0, s40, s55
	s_addc_u32 s1, s41, s1
	s_abs_i32 s7, s22
	v_cvt_f32_u32_e32 v2, s7
	s_sub_i32 s8, 0, s7
	v_and_b32_e32 v10, 0x1f8, v15
	v_mov_b32_e32 v11, 0
	v_rcp_iflag_f32_e32 v2, v2
	s_add_i32 s53, s53, -1
	v_lshl_add_u64 v[12:13], s[0:1], 0, v[10:11]
	s_lshl_b64 s[0:1], s[38:39], 2
	v_mul_f32_e32 v2, 0x4f7ffffe, v2
	v_cvt_u32_f32_e32 v2, v2
	s_add_u32 s0, s36, s0
	s_addc_u32 s1, s37, s1
	v_and_b32_e32 v28, 24, v15
	v_mul_lo_u32 v3, s8, v2
	v_mul_hi_u32 v3, v2, v3
	v_add_u32_e32 v29, v2, v3
	v_lshlrev_b32_e32 v2, 5, v27
	v_lshl_or_b32 v2, v16, 7, v2
	s_mov_b32 s21, s13
	v_lshl_add_u64 v[14:15], v[8:9], 2, s[0:1]
	v_add_u32_e32 v9, 0xb0, v2
	s_mov_b32 s13, s12
	s_mov_b32 s14, s12
	;; [unrolled: 1-line block ×4, first 2 shown]
	v_mov_b32_e32 v2, s12
	s_mov_b32 s22, s33
	s_mov_b64 s[8:9], 0
	v_mov_b32_e32 v3, s13
	v_mov_b32_e32 v4, s14
	;; [unrolled: 1-line block ×4, first 2 shown]
	s_movk_i32 s24, 0x7f
	s_movk_i32 s25, 0x80
	s_mov_b32 s26, 0x8000
	s_movk_i32 s27, 0x380
	s_mov_b32 s34, 0x3020706
	s_mov_b32 s36, 0x1000504
	;; [unrolled: 1-line block ×3, first 2 shown]
	v_mov_b32_e32 v30, 0x1c00
	s_branch .LBB287_371
.LBB287_369:                            ;   in Loop: Header=BB287_371 Depth=1
	s_or_b64 exec, exec, s[0:1]
	;;#ASMSTART
	v_pk_mul_f16 v17, v42, v17;

	;;#ASMEND
	;;#ASMSTART
	v_pk_mul_f16 v10, v41, v10;

	;;#ASMEND
	;; [unrolled: 4-line block ×4, first 2 shown]
	v_add_f32_e32 v20, v43, v44
	;;#ASMSTART
	v_pk_add_f16 v10, v17, v10;

	;;#ASMEND
	v_add_f32_e32 v2, v2, v20
	;;#ASMSTART
	v_pk_add_f16 v10, v10, v16;

	;;#ASMEND
	;; [unrolled: 5-line block ×3, first 2 shown]
	v_add_f32_e32 v3, v3, v20
	v_lshrrev_b32_e32 v16, 16, v10
	v_and_b32_e32 v10, 0xffff, v10
	v_add_f32_e32 v20, v47, v48
	;;#ASMSTART
	v_cvt_f32_f16 v10, v10;
	;;#ASMEND
	v_add_f32_e32 v4, v4, v20
	v_add_f32_e32 v20, v24, v25
	;;#ASMSTART
	v_cvt_f32_f16 v16, v16;
	;;#ASMEND
	v_add_f32_e32 v5, v5, v20
	v_add_f32_e32 v10, v10, v16
	;; [unrolled: 1-line block ×3, first 2 shown]
.LBB287_370:                            ;   in Loop: Header=BB287_371 Depth=1
	s_or_b64 exec, exec, s[10:11]
	v_add_u32_e32 v8, 2, v8
	v_cmp_le_i32_e32 vcc, s52, v8
	v_lshl_add_u64 v[14:15], v[14:15], 0, 8
	v_add_u32_e32 v1, 64, v1
	s_or_b64 s[8:9], vcc, s[8:9]
	v_add_u32_e32 v9, 0x100, v9
	s_andn2_b64 exec, exec, s[8:9]
	s_cbranch_execz .LBB287_702
.LBB287_371:                            ; =>This Inner Loop Header: Depth=1
	v_sub_u32_e32 v16, 0, v1
	v_max_i32_e32 v16, v1, v16
	v_mul_hi_u32 v17, v16, s35
	v_mul_lo_u32 v18, v17, s29
	v_sub_u32_e32 v16, v16, v18
	v_add_u32_e32 v18, 1, v17
	v_cmp_le_u32_e32 vcc, s29, v16
	v_ashrrev_i32_e32 v10, 31, v1
	v_xor_b32_e32 v10, s23, v10
	v_cndmask_b32_e32 v17, v17, v18, vcc
	v_subrev_u32_e32 v18, s29, v16
	v_cndmask_b32_e32 v16, v16, v18, vcc
	v_add_u32_e32 v18, 1, v17
	v_cmp_le_u32_e32 vcc, s29, v16
	s_nop 1
	v_cndmask_b32_e32 v16, v17, v18, vcc
	v_xor_b32_e32 v16, v16, v10
	v_sub_u32_e32 v10, v16, v10
	v_add_u32_e32 v16, s42, v10
	v_sub_u32_e32 v18, 0, v16
	v_ashrrev_i32_e32 v17, 31, v16
	v_max_i32_e32 v16, v16, v18
	v_mul_hi_u32 v18, v16, v29
	v_mul_lo_u32 v18, v18, s7
	v_sub_u32_e32 v16, v16, v18
	v_subrev_u32_e32 v18, s7, v16
	v_cmp_le_u32_e32 vcc, s7, v16
	v_cmp_lt_i32_e64 s[0:1], s5, v10
	s_nop 0
	v_cndmask_b32_e32 v16, v16, v18, vcc
	v_subrev_u32_e32 v18, s7, v16
	v_cmp_le_u32_e32 vcc, s7, v16
	s_nop 1
	v_cndmask_b32_e32 v16, v16, v18, vcc
	v_xor_b32_e32 v16, v16, v17
	v_sub_u32_e32 v16, v16, v17
	v_cmp_eq_u32_e32 vcc, 0, v16
	s_or_b64 s[0:1], vcc, s[0:1]
	s_and_saveexec_b64 s[10:11], s[0:1]
	s_cbranch_execz .LBB287_370
; %bb.372:                              ;   in Loop: Header=BB287_371 Depth=1
	ds_read2_b64 v[20:23], v9 offset1:1
	ds_read2_b64 v[32:35], v9 offset0:2 offset1:3
                                        ; implicit-def: $sgpr16
	s_waitcnt lgkmcnt(1)
	;;#ASMSTART
	v_cvt_f16_f32 v39, v20;

	;;#ASMEND
	;;#ASMSTART
	v_cvt_f16_f32 v40, v21;

	;;#ASMEND
	;; [unrolled: 4-line block ×4, first 2 shown]
	s_waitcnt lgkmcnt(0)
	;;#ASMSTART
	v_cvt_f16_f32 v44, v32;

	;;#ASMEND
	;;#ASMSTART
	v_cvt_f16_f32 v45, v33;

	;;#ASMEND
	;; [unrolled: 4-line block ×4, first 2 shown]
	global_load_dword v10, v[14:15], off
	s_waitcnt vmcnt(0)
	v_mad_i64_i32 v[16:17], s[0:1], v10, s21, v[12:13]
	global_load_dwordx2 v[20:21], v[16:17], off
	global_load_dword v18, v11, s[18:19]
	s_mov_b64 s[0:1], 0
	s_waitcnt vmcnt(1)
	v_cmp_gt_i16_sdwa s[12:13], v20, s24 src0_sel:BYTE_0 src1_sel:DWORD
	s_and_saveexec_b64 s[14:15], s[12:13]
	s_xor_b64 s[12:13], exec, s[14:15]
	s_cbranch_execnz .LBB287_542
; %bb.373:                              ;   in Loop: Header=BB287_371 Depth=1
	s_or_saveexec_b64 s[12:13], s[12:13]
	v_mov_b32_e32 v22, s16
	s_xor_b64 exec, exec, s[12:13]
	s_cbranch_execnz .LBB287_545
.LBB287_374:                            ;   in Loop: Header=BB287_371 Depth=1
	s_or_b64 exec, exec, s[12:13]
	s_and_saveexec_b64 s[12:13], s[0:1]
	s_cbranch_execz .LBB287_376
.LBB287_375:                            ;   in Loop: Header=BB287_371 Depth=1
	v_and_b32_e32 v10, 7, v20
	v_ffbh_u32_e32 v10, v10
	v_bfe_u32 v22, v20, 3, 4
	v_min_u32_e32 v10, 32, v10
	v_subrev_u32_e32 v23, 28, v10
	v_sub_u32_e32 v10, 29, v10
	v_cmp_eq_u32_e32 vcc, 0, v22
	s_nop 1
	v_cndmask_b32_e32 v10, v22, v10, vcc
	v_cndmask_b32_e32 v22, 0, v23, vcc
	v_lshlrev_b64 v[22:23], v22, v[20:21]
	v_lshlrev_b32_e32 v23, 8, v20
	v_lshl_add_u32 v10, v10, 10, v30
	v_lshlrev_b32_e32 v22, 7, v22
	v_and_or_b32 v10, v23, s26, v10
	v_and_or_b32 v10, v22, s27, v10
	v_cvt_f32_f16_e32 v22, v10
.LBB287_376:                            ;   in Loop: Header=BB287_371 Depth=1
	s_or_b64 exec, exec, s[12:13]
	v_lshrrev_b16_e32 v10, 8, v20
	v_cmp_lt_i16_e32 vcc, s24, v10
	s_mov_b64 s[0:1], 0
                                        ; implicit-def: $sgpr16
	s_and_saveexec_b64 s[12:13], vcc
	s_xor_b64 s[12:13], exec, s[12:13]
	s_cbranch_execnz .LBB287_546
; %bb.377:                              ;   in Loop: Header=BB287_371 Depth=1
	s_or_saveexec_b64 s[12:13], s[12:13]
	v_mov_b32_e32 v24, s16
	s_xor_b64 exec, exec, s[12:13]
	s_cbranch_execnz .LBB287_549
.LBB287_378:                            ;   in Loop: Header=BB287_371 Depth=1
	s_or_b64 exec, exec, s[12:13]
	s_and_saveexec_b64 s[12:13], s[0:1]
	s_cbranch_execz .LBB287_380
.LBB287_379:                            ;   in Loop: Header=BB287_371 Depth=1
	v_and_b32_e32 v23, 7, v10
	v_ffbh_u32_e32 v24, v23
	v_min_u32_e32 v32, 32, v24
	v_subrev_u32_e32 v24, 28, v32
	v_bfe_u32 v31, v10, 3, 4
	v_lshlrev_b64 v[24:25], v24, v[10:11]
	v_sub_u32_e32 v25, 29, v32
	v_cmp_eq_u32_e32 vcc, 0, v31
	v_and_b32_e32 v24, 7, v24
	v_lshlrev_b32_e32 v10, 8, v10
	v_cndmask_b32_e32 v25, v31, v25, vcc
	v_cndmask_b32_e32 v23, v23, v24, vcc
	v_lshl_add_u32 v24, v25, 10, v30
	v_and_or_b32 v10, v10, s26, v24
	v_lshl_or_b32 v10, v23, 7, v10
	v_cvt_f32_f16_e32 v24, v10
.LBB287_380:                            ;   in Loop: Header=BB287_371 Depth=1
	s_or_b64 exec, exec, s[12:13]
	v_lshrrev_b32_e32 v10, 16, v20
	v_cmp_gt_i16_sdwa s[12:13], v10, s24 src0_sel:BYTE_0 src1_sel:DWORD
	s_mov_b64 s[0:1], 0
                                        ; implicit-def: $sgpr16
	s_and_saveexec_b64 s[14:15], s[12:13]
	s_xor_b64 s[12:13], exec, s[14:15]
	s_cbranch_execnz .LBB287_550
; %bb.381:                              ;   in Loop: Header=BB287_371 Depth=1
	s_or_saveexec_b64 s[12:13], s[12:13]
	v_mov_b32_e32 v23, s16
	s_xor_b64 exec, exec, s[12:13]
	s_cbranch_execnz .LBB287_553
.LBB287_382:                            ;   in Loop: Header=BB287_371 Depth=1
	s_or_b64 exec, exec, s[12:13]
	s_and_saveexec_b64 s[12:13], s[0:1]
	s_cbranch_execz .LBB287_384
.LBB287_383:                            ;   in Loop: Header=BB287_371 Depth=1
	v_bfe_u32 v23, v20, 16, 3
	v_ffbh_u32_e32 v31, v23
	v_bfe_u32 v25, v20, 19, 4
	v_min_u32_e32 v31, 32, v31
	v_subrev_u32_e32 v32, 28, v31
	v_sub_u32_e32 v31, 29, v31
	v_cmp_eq_u32_e32 vcc, 0, v25
	v_lshlrev_b64 v[32:33], v32, v[10:11]
	v_and_b32_e32 v32, 7, v32
	v_cndmask_b32_e32 v25, v25, v31, vcc
	v_lshlrev_b32_e32 v10, 8, v10
	v_lshl_add_u32 v25, v25, 10, v30
	v_cndmask_b32_e32 v23, v23, v32, vcc
	v_and_or_b32 v10, v10, s26, v25
	v_lshl_or_b32 v10, v23, 7, v10
	v_cvt_f32_f16_e32 v23, v10
.LBB287_384:                            ;   in Loop: Header=BB287_371 Depth=1
	s_or_b64 exec, exec, s[12:13]
	v_lshrrev_b32_e32 v10, 24, v20
	v_cmp_lt_i16_e32 vcc, s24, v10
	s_mov_b64 s[0:1], 0
                                        ; implicit-def: $sgpr16
	s_and_saveexec_b64 s[12:13], vcc
	s_xor_b64 s[12:13], exec, s[12:13]
	s_cbranch_execnz .LBB287_554
; %bb.385:                              ;   in Loop: Header=BB287_371 Depth=1
	s_or_saveexec_b64 s[12:13], s[12:13]
	v_mov_b32_e32 v25, s16
	s_xor_b64 exec, exec, s[12:13]
	s_cbranch_execnz .LBB287_557
.LBB287_386:                            ;   in Loop: Header=BB287_371 Depth=1
	s_or_b64 exec, exec, s[12:13]
	s_and_saveexec_b64 s[12:13], s[0:1]
	s_cbranch_execz .LBB287_388
.LBB287_387:                            ;   in Loop: Header=BB287_371 Depth=1
	v_bfe_u32 v25, v20, 24, 3
	v_ffbh_u32_e32 v31, v25
	v_bfe_u32 v20, v20, 27, 4
	v_min_u32_e32 v31, 32, v31
	v_subrev_u32_e32 v32, 28, v31
	v_sub_u32_e32 v31, 29, v31
	v_cmp_eq_u32_e32 vcc, 0, v20
	v_lshlrev_b64 v[32:33], v32, v[10:11]
	v_and_b32_e32 v32, 7, v32
	v_cndmask_b32_e32 v20, v20, v31, vcc
	v_lshlrev_b32_e32 v10, 8, v10
	v_lshl_add_u32 v20, v20, 10, v30
	v_cndmask_b32_e32 v25, v25, v32, vcc
	v_and_or_b32 v10, v10, s26, v20
	v_lshl_or_b32 v10, v25, 7, v10
	v_cvt_f32_f16_e32 v25, v10
.LBB287_388:                            ;   in Loop: Header=BB287_371 Depth=1
	s_or_b64 exec, exec, s[12:13]
	v_cmp_gt_i16_sdwa s[12:13], v21, s24 src0_sel:BYTE_0 src1_sel:DWORD
	s_mov_b64 s[0:1], 0
                                        ; implicit-def: $sgpr16
	s_and_saveexec_b64 s[14:15], s[12:13]
	s_xor_b64 s[12:13], exec, s[14:15]
	s_cbranch_execnz .LBB287_558
; %bb.389:                              ;   in Loop: Header=BB287_371 Depth=1
	s_or_saveexec_b64 s[12:13], s[12:13]
	v_mov_b32_e32 v20, s16
	s_xor_b64 exec, exec, s[12:13]
	s_cbranch_execnz .LBB287_561
.LBB287_390:                            ;   in Loop: Header=BB287_371 Depth=1
	s_or_b64 exec, exec, s[12:13]
	v_mov_b32_e32 v10, v21
	s_and_saveexec_b64 s[12:13], s[0:1]
	s_cbranch_execz .LBB287_392
.LBB287_391:                            ;   in Loop: Header=BB287_371 Depth=1
	v_and_b32_e32 v20, 7, v21
	v_ffbh_u32_e32 v20, v20
	v_bfe_u32 v31, v21, 3, 4
	v_min_u32_e32 v20, 32, v20
	v_subrev_u32_e32 v32, 28, v20
	v_sub_u32_e32 v20, 29, v20
	v_cmp_eq_u32_e32 vcc, 0, v31
	s_nop 1
	v_cndmask_b32_e32 v20, v31, v20, vcc
	v_cndmask_b32_e32 v31, 0, v32, vcc
	v_lshlrev_b64 v[32:33], v31, v[10:11]
	v_lshlrev_b32_e32 v31, 7, v32
	v_lshlrev_b32_e32 v32, 8, v21
	v_lshl_add_u32 v20, v20, 10, v30
	v_and_or_b32 v20, v32, s26, v20
	v_and_or_b32 v20, v31, s27, v20
	v_cvt_f32_f16_e32 v20, v20
.LBB287_392:                            ;   in Loop: Header=BB287_371 Depth=1
	s_or_b64 exec, exec, s[12:13]
	v_lshrrev_b16_e32 v10, 8, v10
	v_cmp_lt_i16_e32 vcc, s24, v10
	s_mov_b64 s[0:1], 0
                                        ; implicit-def: $sgpr16
	s_and_saveexec_b64 s[12:13], vcc
	s_xor_b64 s[12:13], exec, s[12:13]
	s_cbranch_execnz .LBB287_562
; %bb.393:                              ;   in Loop: Header=BB287_371 Depth=1
	s_or_saveexec_b64 s[12:13], s[12:13]
	v_mov_b32_e32 v31, s16
	s_xor_b64 exec, exec, s[12:13]
	s_cbranch_execnz .LBB287_565
.LBB287_394:                            ;   in Loop: Header=BB287_371 Depth=1
	s_or_b64 exec, exec, s[12:13]
	s_and_saveexec_b64 s[12:13], s[0:1]
	s_cbranch_execz .LBB287_396
.LBB287_395:                            ;   in Loop: Header=BB287_371 Depth=1
	v_and_b32_e32 v31, 7, v10
	v_ffbh_u32_e32 v32, v31
	v_min_u32_e32 v35, 32, v32
	v_subrev_u32_e32 v32, 28, v35
	v_bfe_u32 v34, v10, 3, 4
	v_lshlrev_b64 v[32:33], v32, v[10:11]
	v_sub_u32_e32 v33, 29, v35
	v_cmp_eq_u32_e32 vcc, 0, v34
	v_and_b32_e32 v32, 7, v32
	v_lshlrev_b32_e32 v10, 8, v10
	v_cndmask_b32_e32 v33, v34, v33, vcc
	v_cndmask_b32_e32 v31, v31, v32, vcc
	v_lshl_add_u32 v32, v33, 10, v30
	v_and_or_b32 v10, v10, s26, v32
	v_lshl_or_b32 v10, v31, 7, v10
	v_cvt_f32_f16_e32 v31, v10
.LBB287_396:                            ;   in Loop: Header=BB287_371 Depth=1
	s_or_b64 exec, exec, s[12:13]
	v_lshrrev_b32_e32 v10, 16, v21
	v_cmp_gt_i16_sdwa s[12:13], v10, s24 src0_sel:BYTE_0 src1_sel:DWORD
	s_mov_b64 s[0:1], 0
                                        ; implicit-def: $sgpr16
	s_and_saveexec_b64 s[14:15], s[12:13]
	s_xor_b64 s[12:13], exec, s[14:15]
	s_cbranch_execnz .LBB287_566
; %bb.397:                              ;   in Loop: Header=BB287_371 Depth=1
	s_or_saveexec_b64 s[12:13], s[12:13]
	v_mov_b32_e32 v32, s16
	s_xor_b64 exec, exec, s[12:13]
	s_cbranch_execnz .LBB287_569
.LBB287_398:                            ;   in Loop: Header=BB287_371 Depth=1
	s_or_b64 exec, exec, s[12:13]
	s_and_saveexec_b64 s[12:13], s[0:1]
	s_cbranch_execz .LBB287_400
.LBB287_399:                            ;   in Loop: Header=BB287_371 Depth=1
	v_bfe_u32 v34, v21, 16, 3
	v_ffbh_u32_e32 v32, v34
	v_min_u32_e32 v36, 32, v32
	v_subrev_u32_e32 v32, 28, v36
	v_bfe_u32 v35, v21, 19, 4
	v_lshlrev_b64 v[32:33], v32, v[10:11]
	v_sub_u32_e32 v33, 29, v36
	v_cmp_eq_u32_e32 vcc, 0, v35
	v_and_b32_e32 v32, 7, v32
	v_lshlrev_b32_e32 v10, 8, v10
	v_cndmask_b32_e32 v33, v35, v33, vcc
	v_lshl_add_u32 v33, v33, 10, v30
	v_cndmask_b32_e32 v32, v34, v32, vcc
	v_and_or_b32 v10, v10, s26, v33
	v_lshl_or_b32 v10, v32, 7, v10
	v_cvt_f32_f16_e32 v32, v10
.LBB287_400:                            ;   in Loop: Header=BB287_371 Depth=1
	s_or_b64 exec, exec, s[12:13]
	v_lshrrev_b32_e32 v10, 24, v21
	v_cmp_lt_i16_e32 vcc, s24, v10
	s_mov_b64 s[0:1], 0
                                        ; implicit-def: $sgpr16
	s_and_saveexec_b64 s[12:13], vcc
	s_xor_b64 s[12:13], exec, s[12:13]
	s_cbranch_execnz .LBB287_570
; %bb.401:                              ;   in Loop: Header=BB287_371 Depth=1
	s_or_saveexec_b64 s[12:13], s[12:13]
	v_mov_b32_e32 v34, s16
	s_xor_b64 exec, exec, s[12:13]
	s_cbranch_execnz .LBB287_573
.LBB287_402:                            ;   in Loop: Header=BB287_371 Depth=1
	s_or_b64 exec, exec, s[12:13]
	s_and_saveexec_b64 s[12:13], s[0:1]
	s_cbranch_execz .LBB287_404
.LBB287_403:                            ;   in Loop: Header=BB287_371 Depth=1
	v_bfe_u32 v33, v21, 24, 3
	v_ffbh_u32_e32 v34, v33
	v_min_u32_e32 v36, 32, v34
	v_subrev_u32_e32 v34, 28, v36
	v_bfe_u32 v21, v21, 27, 4
	v_lshlrev_b64 v[34:35], v34, v[10:11]
	v_sub_u32_e32 v35, 29, v36
	v_cmp_eq_u32_e32 vcc, 0, v21
	v_and_b32_e32 v34, 7, v34
	v_lshlrev_b32_e32 v10, 8, v10
	v_cndmask_b32_e32 v21, v21, v35, vcc
	v_lshl_add_u32 v21, v21, 10, v30
	v_cndmask_b32_e32 v33, v33, v34, vcc
	v_and_or_b32 v10, v10, s26, v21
	v_lshl_or_b32 v10, v33, 7, v10
	v_cvt_f32_f16_e32 v34, v10
.LBB287_404:                            ;   in Loop: Header=BB287_371 Depth=1
	s_or_b64 exec, exec, s[12:13]
	s_waitcnt vmcnt(0)
	v_pk_mul_f32 v[24:25], v[18:19], v[24:25] op_sel_hi:[0,1]
	v_pk_mul_f32 v[22:23], v[18:19], v[22:23] op_sel_hi:[0,1]
	v_cvt_f16_f32_e32 v10, v25
	v_cvt_f16_f32_e32 v21, v24
	;; [unrolled: 1-line block ×4, first 2 shown]
	v_fma_mixlo_f16 v20, v18, v20, 0
	v_pack_b32_f16 v21, v21, v10
	v_add_u32_e32 v33, v28, v1
	v_pack_b32_f16 v22, v22, v23
	v_perm_b32 v10, v22, v21, s34
	v_perm_b32 v21, v22, v21, s36
	v_fma_mixlo_f16 v22, v18, v31, 0
	v_lshlrev_b32_e32 v22, 16, v22
	v_or_b32_sdwa v20, v22, v20 dst_sel:DWORD dst_unused:UNUSED_PAD src0_sel:DWORD src1_sel:WORD_0
	v_fma_mixlo_f16 v22, v18, v32, 0
	v_fma_mixlo_f16 v18, v18, v34, 0
	v_lshlrev_b32_e32 v18, 16, v18
	v_cmp_eq_u32_e32 vcc, s53, v8
	v_or_b32_sdwa v18, v18, v22 dst_sel:DWORD dst_unused:UNUSED_PAD src0_sel:DWORD src1_sel:WORD_0
	v_add_u32_e32 v38, 1, v33
	v_or_b32_e32 v37, 3, v33
	v_or_b32_e32 v36, 2, v33
	;; [unrolled: 1-line block ×6, first 2 shown]
	s_and_saveexec_b64 s[12:13], vcc
	s_cbranch_execz .LBB287_406
; %bb.405:                              ;   in Loop: Header=BB287_371 Depth=1
	v_lshrrev_b32_e32 v23, 16, v21
	v_cmp_gt_i32_e64 s[0:1], s22, v38
	v_lshrrev_b32_e32 v18, 16, v18
	s_nop 0
	v_cndmask_b32_e64 v23, 0, v23, s[0:1]
	v_cmp_gt_i32_e64 s[0:1], s33, v33
	s_nop 1
	v_cndmask_b32_e64 v21, 0, v21, s[0:1]
	v_perm_b32 v21, v23, v21, s37
	v_lshrrev_b32_e32 v23, 16, v10
	v_cmp_gt_i32_e64 s[0:1], s22, v37
	s_nop 1
	v_cndmask_b32_e64 v23, 0, v23, s[0:1]
	v_cmp_gt_i32_e64 s[0:1], s33, v36
	s_nop 1
	v_cndmask_b32_e64 v10, 0, v10, s[0:1]
	v_perm_b32 v10, v23, v10, s37
	v_lshrrev_b32_e32 v23, 16, v20
	v_cmp_gt_i32_e64 s[0:1], s22, v35
	s_nop 1
	v_cndmask_b32_e64 v23, 0, v23, s[0:1]
	v_cmp_gt_i32_e64 s[0:1], s33, v34
	s_nop 1
	v_cndmask_b32_e64 v20, 0, v20, s[0:1]
	v_cmp_gt_i32_e64 s[0:1], s22, v32
	v_perm_b32 v20, v23, v20, s37
	s_nop 0
	v_cndmask_b32_e64 v18, 0, v18, s[0:1]
	v_cmp_gt_i32_e64 s[0:1], s33, v31
	s_nop 1
	v_cndmask_b32_e64 v22, 0, v22, s[0:1]
	v_perm_b32 v18, v18, v22, s37
.LBB287_406:                            ;   in Loop: Header=BB287_371 Depth=1
	s_or_b64 exec, exec, s[12:13]
	v_and_b32_e32 v22, 0xffff, v39
	v_lshl_or_b32 v42, v40, 16, v22
	v_and_b32_e32 v22, 0xffff, v41
	v_lshl_or_b32 v41, v43, 16, v22
	;; [unrolled: 2-line block ×3, first 2 shown]
	v_and_b32_e32 v22, 0xffff, v46
	;;#ASMSTART
	v_pk_mul_f16 v21, v42, v21;

	;;#ASMEND
	;;#ASMSTART
	v_pk_mul_f16 v10, v41, v10;

	;;#ASMEND
	v_lshl_or_b32 v39, v47, 16, v22
	;;#ASMSTART
	v_pk_mul_f16 v20, v40, v20;

	;;#ASMEND
	;;#ASMSTART
	v_pk_mul_f16 v18, v39, v18;

	;;#ASMEND
	;;#ASMSTART
	v_pk_add_f16 v10, v21, v10;

	;;#ASMEND
	s_mov_b64 s[0:1], 0
	;;#ASMSTART
	v_pk_add_f16 v10, v10, v20;

	;;#ASMEND
                                        ; implicit-def: $sgpr16
	s_nop 0
	;;#ASMSTART
	v_pk_add_f16 v10, v10, v18;

	;;#ASMEND
	s_nop 0
	v_lshrrev_b32_e32 v18, 16, v10
	v_and_b32_e32 v10, 0xffff, v10
	;;#ASMSTART
	v_cvt_f32_f16 v43, v10;
	;;#ASMEND
	;;#ASMSTART
	v_cvt_f32_f16 v44, v18;
	;;#ASMEND
	global_load_dwordx2 v[20:21], v[16:17], off offset:512
	global_load_dword v18, v11, s[18:19]
	s_waitcnt vmcnt(1)
	v_cmp_gt_i16_sdwa s[12:13], v20, s24 src0_sel:BYTE_0 src1_sel:DWORD
	s_and_saveexec_b64 s[14:15], s[12:13]
	s_xor_b64 s[12:13], exec, s[14:15]
	s_cbranch_execnz .LBB287_574
; %bb.407:                              ;   in Loop: Header=BB287_371 Depth=1
	s_or_saveexec_b64 s[12:13], s[12:13]
	v_mov_b32_e32 v22, s16
	s_xor_b64 exec, exec, s[12:13]
	s_cbranch_execnz .LBB287_577
.LBB287_408:                            ;   in Loop: Header=BB287_371 Depth=1
	s_or_b64 exec, exec, s[12:13]
	s_and_saveexec_b64 s[12:13], s[0:1]
	s_cbranch_execz .LBB287_410
.LBB287_409:                            ;   in Loop: Header=BB287_371 Depth=1
	v_and_b32_e32 v10, 7, v20
	v_ffbh_u32_e32 v10, v10
	v_bfe_u32 v22, v20, 3, 4
	v_min_u32_e32 v10, 32, v10
	v_subrev_u32_e32 v23, 28, v10
	v_sub_u32_e32 v10, 29, v10
	v_cmp_eq_u32_e64 s[0:1], 0, v22
	s_nop 1
	v_cndmask_b32_e64 v10, v22, v10, s[0:1]
	v_cndmask_b32_e64 v22, 0, v23, s[0:1]
	v_lshlrev_b64 v[22:23], v22, v[20:21]
	v_lshlrev_b32_e32 v23, 8, v20
	v_lshl_add_u32 v10, v10, 10, v30
	v_lshlrev_b32_e32 v22, 7, v22
	v_and_or_b32 v10, v23, s26, v10
	v_and_or_b32 v10, v22, s27, v10
	v_cvt_f32_f16_e32 v22, v10
.LBB287_410:                            ;   in Loop: Header=BB287_371 Depth=1
	s_or_b64 exec, exec, s[12:13]
	v_lshrrev_b16_e32 v10, 8, v20
	v_cmp_lt_i16_e64 s[0:1], s24, v10
	s_mov_b64 s[12:13], 0
                                        ; implicit-def: $sgpr38
	s_and_saveexec_b64 s[14:15], s[0:1]
	s_xor_b64 s[14:15], exec, s[14:15]
	s_cbranch_execnz .LBB287_578
; %bb.411:                              ;   in Loop: Header=BB287_371 Depth=1
	s_or_saveexec_b64 s[14:15], s[14:15]
	v_mov_b32_e32 v24, s38
	s_xor_b64 exec, exec, s[14:15]
	s_cbranch_execnz .LBB287_581
.LBB287_412:                            ;   in Loop: Header=BB287_371 Depth=1
	s_or_b64 exec, exec, s[14:15]
	s_and_saveexec_b64 s[14:15], s[12:13]
	s_cbranch_execz .LBB287_414
.LBB287_413:                            ;   in Loop: Header=BB287_371 Depth=1
	v_and_b32_e32 v23, 7, v10
	v_ffbh_u32_e32 v24, v23
	v_min_u32_e32 v46, 32, v24
	v_subrev_u32_e32 v24, 28, v46
	v_bfe_u32 v45, v10, 3, 4
	v_lshlrev_b64 v[24:25], v24, v[10:11]
	v_sub_u32_e32 v25, 29, v46
	v_cmp_eq_u32_e64 s[0:1], 0, v45
	v_and_b32_e32 v24, 7, v24
	v_lshlrev_b32_e32 v10, 8, v10
	v_cndmask_b32_e64 v25, v45, v25, s[0:1]
	v_cndmask_b32_e64 v23, v23, v24, s[0:1]
	v_lshl_add_u32 v24, v25, 10, v30
	v_and_or_b32 v10, v10, s26, v24
	v_lshl_or_b32 v10, v23, 7, v10
	v_cvt_f32_f16_e32 v24, v10
.LBB287_414:                            ;   in Loop: Header=BB287_371 Depth=1
	s_or_b64 exec, exec, s[14:15]
	v_lshrrev_b32_e32 v10, 16, v20
	v_cmp_gt_i16_sdwa s[12:13], v10, s24 src0_sel:BYTE_0 src1_sel:DWORD
	s_mov_b64 s[0:1], 0
                                        ; implicit-def: $sgpr16
	s_and_saveexec_b64 s[14:15], s[12:13]
	s_xor_b64 s[12:13], exec, s[14:15]
	s_cbranch_execnz .LBB287_582
; %bb.415:                              ;   in Loop: Header=BB287_371 Depth=1
	s_or_saveexec_b64 s[12:13], s[12:13]
	v_mov_b32_e32 v23, s16
	s_xor_b64 exec, exec, s[12:13]
	s_cbranch_execnz .LBB287_585
.LBB287_416:                            ;   in Loop: Header=BB287_371 Depth=1
	s_or_b64 exec, exec, s[12:13]
	s_and_saveexec_b64 s[12:13], s[0:1]
	s_cbranch_execz .LBB287_418
.LBB287_417:                            ;   in Loop: Header=BB287_371 Depth=1
	v_bfe_u32 v23, v20, 16, 3
	v_ffbh_u32_e32 v45, v23
	v_bfe_u32 v25, v20, 19, 4
	v_min_u32_e32 v45, 32, v45
	v_subrev_u32_e32 v46, 28, v45
	v_sub_u32_e32 v45, 29, v45
	v_cmp_eq_u32_e64 s[0:1], 0, v25
	v_lshlrev_b64 v[46:47], v46, v[10:11]
	v_and_b32_e32 v46, 7, v46
	v_cndmask_b32_e64 v25, v25, v45, s[0:1]
	v_lshlrev_b32_e32 v10, 8, v10
	v_lshl_add_u32 v25, v25, 10, v30
	v_cndmask_b32_e64 v23, v23, v46, s[0:1]
	v_and_or_b32 v10, v10, s26, v25
	v_lshl_or_b32 v10, v23, 7, v10
	v_cvt_f32_f16_e32 v23, v10
.LBB287_418:                            ;   in Loop: Header=BB287_371 Depth=1
	s_or_b64 exec, exec, s[12:13]
	v_lshrrev_b32_e32 v10, 24, v20
	v_cmp_lt_i16_e64 s[0:1], s24, v10
	s_mov_b64 s[12:13], 0
                                        ; implicit-def: $sgpr38
	s_and_saveexec_b64 s[14:15], s[0:1]
	s_xor_b64 s[14:15], exec, s[14:15]
	s_cbranch_execnz .LBB287_586
; %bb.419:                              ;   in Loop: Header=BB287_371 Depth=1
	s_or_saveexec_b64 s[14:15], s[14:15]
	v_mov_b32_e32 v25, s38
	s_xor_b64 exec, exec, s[14:15]
	s_cbranch_execnz .LBB287_589
.LBB287_420:                            ;   in Loop: Header=BB287_371 Depth=1
	s_or_b64 exec, exec, s[14:15]
	s_and_saveexec_b64 s[14:15], s[12:13]
	s_cbranch_execz .LBB287_422
.LBB287_421:                            ;   in Loop: Header=BB287_371 Depth=1
	v_bfe_u32 v25, v20, 24, 3
	v_ffbh_u32_e32 v45, v25
	v_bfe_u32 v20, v20, 27, 4
	v_min_u32_e32 v45, 32, v45
	v_subrev_u32_e32 v46, 28, v45
	v_sub_u32_e32 v45, 29, v45
	v_cmp_eq_u32_e64 s[0:1], 0, v20
	v_lshlrev_b64 v[46:47], v46, v[10:11]
	v_and_b32_e32 v46, 7, v46
	v_cndmask_b32_e64 v20, v20, v45, s[0:1]
	v_lshlrev_b32_e32 v10, 8, v10
	v_lshl_add_u32 v20, v20, 10, v30
	v_cndmask_b32_e64 v25, v25, v46, s[0:1]
	v_and_or_b32 v10, v10, s26, v20
	v_lshl_or_b32 v10, v25, 7, v10
	v_cvt_f32_f16_e32 v25, v10
.LBB287_422:                            ;   in Loop: Header=BB287_371 Depth=1
	s_or_b64 exec, exec, s[14:15]
	v_cmp_gt_i16_sdwa s[12:13], v21, s24 src0_sel:BYTE_0 src1_sel:DWORD
	s_mov_b64 s[0:1], 0
                                        ; implicit-def: $sgpr16
	s_and_saveexec_b64 s[14:15], s[12:13]
	s_xor_b64 s[12:13], exec, s[14:15]
	s_cbranch_execnz .LBB287_590
; %bb.423:                              ;   in Loop: Header=BB287_371 Depth=1
	s_or_saveexec_b64 s[12:13], s[12:13]
	v_mov_b32_e32 v20, s16
	s_xor_b64 exec, exec, s[12:13]
	s_cbranch_execnz .LBB287_593
.LBB287_424:                            ;   in Loop: Header=BB287_371 Depth=1
	s_or_b64 exec, exec, s[12:13]
	v_mov_b32_e32 v10, v21
	s_and_saveexec_b64 s[12:13], s[0:1]
	s_cbranch_execz .LBB287_426
.LBB287_425:                            ;   in Loop: Header=BB287_371 Depth=1
	v_and_b32_e32 v20, 7, v21
	v_ffbh_u32_e32 v20, v20
	v_bfe_u32 v45, v21, 3, 4
	v_min_u32_e32 v20, 32, v20
	v_subrev_u32_e32 v46, 28, v20
	v_sub_u32_e32 v20, 29, v20
	v_cmp_eq_u32_e64 s[0:1], 0, v45
	s_nop 1
	v_cndmask_b32_e64 v20, v45, v20, s[0:1]
	v_cndmask_b32_e64 v45, 0, v46, s[0:1]
	v_lshlrev_b64 v[46:47], v45, v[10:11]
	v_lshlrev_b32_e32 v45, 7, v46
	v_lshlrev_b32_e32 v46, 8, v21
	v_lshl_add_u32 v20, v20, 10, v30
	v_and_or_b32 v20, v46, s26, v20
	v_and_or_b32 v20, v45, s27, v20
	v_cvt_f32_f16_e32 v20, v20
.LBB287_426:                            ;   in Loop: Header=BB287_371 Depth=1
	s_or_b64 exec, exec, s[12:13]
	v_lshrrev_b16_e32 v10, 8, v10
	v_cmp_lt_i16_e64 s[0:1], s24, v10
	s_mov_b64 s[12:13], 0
                                        ; implicit-def: $sgpr38
	s_and_saveexec_b64 s[14:15], s[0:1]
	s_xor_b64 s[14:15], exec, s[14:15]
	s_cbranch_execnz .LBB287_594
; %bb.427:                              ;   in Loop: Header=BB287_371 Depth=1
	s_or_saveexec_b64 s[14:15], s[14:15]
	v_mov_b32_e32 v45, s38
	s_xor_b64 exec, exec, s[14:15]
	s_cbranch_execnz .LBB287_597
.LBB287_428:                            ;   in Loop: Header=BB287_371 Depth=1
	s_or_b64 exec, exec, s[14:15]
	s_and_saveexec_b64 s[14:15], s[12:13]
	s_cbranch_execz .LBB287_430
.LBB287_429:                            ;   in Loop: Header=BB287_371 Depth=1
	v_and_b32_e32 v45, 7, v10
	v_ffbh_u32_e32 v46, v45
	v_min_u32_e32 v49, 32, v46
	v_subrev_u32_e32 v46, 28, v49
	v_bfe_u32 v48, v10, 3, 4
	v_lshlrev_b64 v[46:47], v46, v[10:11]
	v_sub_u32_e32 v47, 29, v49
	v_cmp_eq_u32_e64 s[0:1], 0, v48
	v_and_b32_e32 v46, 7, v46
	v_lshlrev_b32_e32 v10, 8, v10
	v_cndmask_b32_e64 v47, v48, v47, s[0:1]
	v_cndmask_b32_e64 v45, v45, v46, s[0:1]
	v_lshl_add_u32 v46, v47, 10, v30
	v_and_or_b32 v10, v10, s26, v46
	v_lshl_or_b32 v10, v45, 7, v10
	v_cvt_f32_f16_e32 v45, v10
.LBB287_430:                            ;   in Loop: Header=BB287_371 Depth=1
	s_or_b64 exec, exec, s[14:15]
	v_lshrrev_b32_e32 v10, 16, v21
	v_cmp_gt_i16_sdwa s[12:13], v10, s24 src0_sel:BYTE_0 src1_sel:DWORD
	s_mov_b64 s[0:1], 0
                                        ; implicit-def: $sgpr16
	s_and_saveexec_b64 s[14:15], s[12:13]
	s_xor_b64 s[12:13], exec, s[14:15]
	s_cbranch_execnz .LBB287_598
; %bb.431:                              ;   in Loop: Header=BB287_371 Depth=1
	s_or_saveexec_b64 s[12:13], s[12:13]
	v_mov_b32_e32 v46, s16
	s_xor_b64 exec, exec, s[12:13]
	s_cbranch_execnz .LBB287_601
.LBB287_432:                            ;   in Loop: Header=BB287_371 Depth=1
	s_or_b64 exec, exec, s[12:13]
	s_and_saveexec_b64 s[12:13], s[0:1]
	s_cbranch_execz .LBB287_434
.LBB287_433:                            ;   in Loop: Header=BB287_371 Depth=1
	v_bfe_u32 v48, v21, 16, 3
	v_ffbh_u32_e32 v46, v48
	v_min_u32_e32 v50, 32, v46
	v_subrev_u32_e32 v46, 28, v50
	v_bfe_u32 v49, v21, 19, 4
	v_lshlrev_b64 v[46:47], v46, v[10:11]
	v_sub_u32_e32 v47, 29, v50
	v_cmp_eq_u32_e64 s[0:1], 0, v49
	v_and_b32_e32 v46, 7, v46
	v_lshlrev_b32_e32 v10, 8, v10
	v_cndmask_b32_e64 v47, v49, v47, s[0:1]
	v_lshl_add_u32 v47, v47, 10, v30
	v_cndmask_b32_e64 v46, v48, v46, s[0:1]
	v_and_or_b32 v10, v10, s26, v47
	v_lshl_or_b32 v10, v46, 7, v10
	v_cvt_f32_f16_e32 v46, v10
.LBB287_434:                            ;   in Loop: Header=BB287_371 Depth=1
	s_or_b64 exec, exec, s[12:13]
	v_lshrrev_b32_e32 v10, 24, v21
	v_cmp_lt_i16_e64 s[0:1], s24, v10
	s_mov_b64 s[12:13], 0
                                        ; implicit-def: $sgpr38
	s_and_saveexec_b64 s[14:15], s[0:1]
	s_xor_b64 s[14:15], exec, s[14:15]
	s_cbranch_execnz .LBB287_602
; %bb.435:                              ;   in Loop: Header=BB287_371 Depth=1
	s_or_saveexec_b64 s[14:15], s[14:15]
	v_mov_b32_e32 v47, s38
	s_xor_b64 exec, exec, s[14:15]
	s_cbranch_execnz .LBB287_605
.LBB287_436:                            ;   in Loop: Header=BB287_371 Depth=1
	s_or_b64 exec, exec, s[14:15]
	s_and_saveexec_b64 s[14:15], s[12:13]
	s_cbranch_execz .LBB287_438
.LBB287_437:                            ;   in Loop: Header=BB287_371 Depth=1
	v_bfe_u32 v47, v21, 24, 3
	v_ffbh_u32_e32 v48, v47
	v_min_u32_e32 v50, 32, v48
	v_subrev_u32_e32 v48, 28, v50
	v_bfe_u32 v21, v21, 27, 4
	v_lshlrev_b64 v[48:49], v48, v[10:11]
	v_sub_u32_e32 v49, 29, v50
	v_cmp_eq_u32_e64 s[0:1], 0, v21
	v_and_b32_e32 v48, 7, v48
	v_lshlrev_b32_e32 v10, 8, v10
	v_cndmask_b32_e64 v21, v21, v49, s[0:1]
	v_lshl_add_u32 v21, v21, 10, v30
	v_cndmask_b32_e64 v47, v47, v48, s[0:1]
	v_and_or_b32 v10, v10, s26, v21
	v_lshl_or_b32 v10, v47, 7, v10
	v_cvt_f32_f16_e32 v47, v10
.LBB287_438:                            ;   in Loop: Header=BB287_371 Depth=1
	s_or_b64 exec, exec, s[14:15]
	s_waitcnt vmcnt(0)
	v_pk_mul_f32 v[24:25], v[18:19], v[24:25] op_sel_hi:[0,1]
	v_pk_mul_f32 v[22:23], v[18:19], v[22:23] op_sel_hi:[0,1]
	v_cvt_f16_f32_e32 v10, v25
	v_cvt_f16_f32_e32 v21, v24
	v_cvt_f16_f32_e32 v23, v23
	v_cvt_f16_f32_e32 v22, v22
	v_fma_mixlo_f16 v20, v18, v20, 0
	v_pack_b32_f16 v21, v21, v10
	v_pack_b32_f16 v22, v22, v23
	v_perm_b32 v10, v22, v21, s34
	v_perm_b32 v21, v22, v21, s36
	v_fma_mixlo_f16 v22, v18, v45, 0
	v_lshlrev_b32_e32 v22, 16, v22
	v_or_b32_sdwa v20, v22, v20 dst_sel:DWORD dst_unused:UNUSED_PAD src0_sel:DWORD src1_sel:WORD_0
	v_fma_mixlo_f16 v22, v18, v46, 0
	v_fma_mixlo_f16 v18, v18, v47, 0
	v_lshlrev_b32_e32 v18, 16, v18
	v_or_b32_sdwa v18, v18, v22 dst_sel:DWORD dst_unused:UNUSED_PAD src0_sel:DWORD src1_sel:WORD_0
	s_and_saveexec_b64 s[12:13], vcc
	s_cbranch_execz .LBB287_440
; %bb.439:                              ;   in Loop: Header=BB287_371 Depth=1
	v_lshrrev_b32_e32 v23, 16, v21
	v_cmp_gt_i32_e64 s[0:1], s22, v38
	v_lshrrev_b32_e32 v18, 16, v18
	s_nop 0
	v_cndmask_b32_e64 v23, 0, v23, s[0:1]
	v_cmp_gt_i32_e64 s[0:1], s33, v33
	s_nop 1
	v_cndmask_b32_e64 v21, 0, v21, s[0:1]
	v_perm_b32 v21, v23, v21, s37
	v_lshrrev_b32_e32 v23, 16, v10
	v_cmp_gt_i32_e64 s[0:1], s22, v37
	s_nop 1
	v_cndmask_b32_e64 v23, 0, v23, s[0:1]
	v_cmp_gt_i32_e64 s[0:1], s33, v36
	s_nop 1
	v_cndmask_b32_e64 v10, 0, v10, s[0:1]
	v_perm_b32 v10, v23, v10, s37
	v_lshrrev_b32_e32 v23, 16, v20
	v_cmp_gt_i32_e64 s[0:1], s22, v35
	s_nop 1
	v_cndmask_b32_e64 v23, 0, v23, s[0:1]
	v_cmp_gt_i32_e64 s[0:1], s33, v34
	s_nop 1
	v_cndmask_b32_e64 v20, 0, v20, s[0:1]
	v_cmp_gt_i32_e64 s[0:1], s22, v32
	v_perm_b32 v20, v23, v20, s37
	s_nop 0
	v_cndmask_b32_e64 v18, 0, v18, s[0:1]
	v_cmp_gt_i32_e64 s[0:1], s33, v31
	s_nop 1
	v_cndmask_b32_e64 v22, 0, v22, s[0:1]
	v_perm_b32 v18, v18, v22, s37
.LBB287_440:                            ;   in Loop: Header=BB287_371 Depth=1
	s_or_b64 exec, exec, s[12:13]
	;;#ASMSTART
	v_pk_mul_f16 v21, v42, v21;

	;;#ASMEND
	;;#ASMSTART
	v_pk_mul_f16 v10, v41, v10;

	;;#ASMEND
	;; [unrolled: 4-line block ×4, first 2 shown]
	s_mov_b64 s[0:1], 0
	;;#ASMSTART
	v_pk_add_f16 v10, v21, v10;

	;;#ASMEND
                                        ; implicit-def: $sgpr16
	s_nop 0
	;;#ASMSTART
	v_pk_add_f16 v10, v10, v20;

	;;#ASMEND
	s_nop 0
	;;#ASMSTART
	v_pk_add_f16 v10, v10, v18;

	;;#ASMEND
	s_nop 0
	v_lshrrev_b32_e32 v18, 16, v10
	v_and_b32_e32 v10, 0xffff, v10
	;;#ASMSTART
	v_cvt_f32_f16 v45, v10;
	;;#ASMEND
	;;#ASMSTART
	v_cvt_f32_f16 v46, v18;
	;;#ASMEND
	global_load_dwordx2 v[20:21], v[16:17], off offset:1024
	global_load_dword v18, v11, s[18:19]
	s_waitcnt vmcnt(1)
	v_cmp_gt_i16_sdwa s[12:13], v20, s24 src0_sel:BYTE_0 src1_sel:DWORD
	s_and_saveexec_b64 s[14:15], s[12:13]
	s_xor_b64 s[12:13], exec, s[14:15]
	s_cbranch_execnz .LBB287_606
; %bb.441:                              ;   in Loop: Header=BB287_371 Depth=1
	s_or_saveexec_b64 s[12:13], s[12:13]
	v_mov_b32_e32 v22, s16
	s_xor_b64 exec, exec, s[12:13]
	s_cbranch_execnz .LBB287_609
.LBB287_442:                            ;   in Loop: Header=BB287_371 Depth=1
	s_or_b64 exec, exec, s[12:13]
	s_and_saveexec_b64 s[12:13], s[0:1]
	s_cbranch_execz .LBB287_444
.LBB287_443:                            ;   in Loop: Header=BB287_371 Depth=1
	v_and_b32_e32 v10, 7, v20
	v_ffbh_u32_e32 v10, v10
	v_bfe_u32 v22, v20, 3, 4
	v_min_u32_e32 v10, 32, v10
	v_subrev_u32_e32 v23, 28, v10
	v_sub_u32_e32 v10, 29, v10
	v_cmp_eq_u32_e64 s[0:1], 0, v22
	s_nop 1
	v_cndmask_b32_e64 v10, v22, v10, s[0:1]
	v_cndmask_b32_e64 v22, 0, v23, s[0:1]
	v_lshlrev_b64 v[22:23], v22, v[20:21]
	v_lshlrev_b32_e32 v23, 8, v20
	v_lshl_add_u32 v10, v10, 10, v30
	v_lshlrev_b32_e32 v22, 7, v22
	v_and_or_b32 v10, v23, s26, v10
	v_and_or_b32 v10, v22, s27, v10
	v_cvt_f32_f16_e32 v22, v10
.LBB287_444:                            ;   in Loop: Header=BB287_371 Depth=1
	s_or_b64 exec, exec, s[12:13]
	v_lshrrev_b16_e32 v10, 8, v20
	v_cmp_lt_i16_e64 s[0:1], s24, v10
	s_mov_b64 s[12:13], 0
                                        ; implicit-def: $sgpr38
	s_and_saveexec_b64 s[14:15], s[0:1]
	s_xor_b64 s[14:15], exec, s[14:15]
	s_cbranch_execnz .LBB287_610
; %bb.445:                              ;   in Loop: Header=BB287_371 Depth=1
	s_or_saveexec_b64 s[14:15], s[14:15]
	v_mov_b32_e32 v24, s38
	s_xor_b64 exec, exec, s[14:15]
	s_cbranch_execnz .LBB287_613
.LBB287_446:                            ;   in Loop: Header=BB287_371 Depth=1
	s_or_b64 exec, exec, s[14:15]
	s_and_saveexec_b64 s[14:15], s[12:13]
	s_cbranch_execz .LBB287_448
.LBB287_447:                            ;   in Loop: Header=BB287_371 Depth=1
	v_and_b32_e32 v23, 7, v10
	v_ffbh_u32_e32 v24, v23
	v_min_u32_e32 v48, 32, v24
	v_subrev_u32_e32 v24, 28, v48
	v_bfe_u32 v47, v10, 3, 4
	v_lshlrev_b64 v[24:25], v24, v[10:11]
	v_sub_u32_e32 v25, 29, v48
	v_cmp_eq_u32_e64 s[0:1], 0, v47
	v_and_b32_e32 v24, 7, v24
	v_lshlrev_b32_e32 v10, 8, v10
	v_cndmask_b32_e64 v25, v47, v25, s[0:1]
	v_cndmask_b32_e64 v23, v23, v24, s[0:1]
	v_lshl_add_u32 v24, v25, 10, v30
	v_and_or_b32 v10, v10, s26, v24
	v_lshl_or_b32 v10, v23, 7, v10
	v_cvt_f32_f16_e32 v24, v10
.LBB287_448:                            ;   in Loop: Header=BB287_371 Depth=1
	s_or_b64 exec, exec, s[14:15]
	v_lshrrev_b32_e32 v10, 16, v20
	v_cmp_gt_i16_sdwa s[12:13], v10, s24 src0_sel:BYTE_0 src1_sel:DWORD
	s_mov_b64 s[0:1], 0
                                        ; implicit-def: $sgpr16
	s_and_saveexec_b64 s[14:15], s[12:13]
	s_xor_b64 s[12:13], exec, s[14:15]
	s_cbranch_execnz .LBB287_614
; %bb.449:                              ;   in Loop: Header=BB287_371 Depth=1
	s_or_saveexec_b64 s[12:13], s[12:13]
	v_mov_b32_e32 v23, s16
	s_xor_b64 exec, exec, s[12:13]
	s_cbranch_execnz .LBB287_617
.LBB287_450:                            ;   in Loop: Header=BB287_371 Depth=1
	s_or_b64 exec, exec, s[12:13]
	s_and_saveexec_b64 s[12:13], s[0:1]
	s_cbranch_execz .LBB287_452
.LBB287_451:                            ;   in Loop: Header=BB287_371 Depth=1
	v_bfe_u32 v23, v20, 16, 3
	v_ffbh_u32_e32 v47, v23
	v_bfe_u32 v25, v20, 19, 4
	v_min_u32_e32 v47, 32, v47
	v_subrev_u32_e32 v48, 28, v47
	v_sub_u32_e32 v47, 29, v47
	v_cmp_eq_u32_e64 s[0:1], 0, v25
	v_lshlrev_b64 v[48:49], v48, v[10:11]
	v_and_b32_e32 v48, 7, v48
	v_cndmask_b32_e64 v25, v25, v47, s[0:1]
	v_lshlrev_b32_e32 v10, 8, v10
	v_lshl_add_u32 v25, v25, 10, v30
	v_cndmask_b32_e64 v23, v23, v48, s[0:1]
	v_and_or_b32 v10, v10, s26, v25
	v_lshl_or_b32 v10, v23, 7, v10
	v_cvt_f32_f16_e32 v23, v10
.LBB287_452:                            ;   in Loop: Header=BB287_371 Depth=1
	s_or_b64 exec, exec, s[12:13]
	v_lshrrev_b32_e32 v10, 24, v20
	v_cmp_lt_i16_e64 s[0:1], s24, v10
	s_mov_b64 s[12:13], 0
                                        ; implicit-def: $sgpr38
	s_and_saveexec_b64 s[14:15], s[0:1]
	s_xor_b64 s[14:15], exec, s[14:15]
	s_cbranch_execnz .LBB287_618
; %bb.453:                              ;   in Loop: Header=BB287_371 Depth=1
	s_or_saveexec_b64 s[14:15], s[14:15]
	v_mov_b32_e32 v25, s38
	s_xor_b64 exec, exec, s[14:15]
	s_cbranch_execnz .LBB287_621
.LBB287_454:                            ;   in Loop: Header=BB287_371 Depth=1
	s_or_b64 exec, exec, s[14:15]
	s_and_saveexec_b64 s[14:15], s[12:13]
	s_cbranch_execz .LBB287_456
.LBB287_455:                            ;   in Loop: Header=BB287_371 Depth=1
	v_bfe_u32 v25, v20, 24, 3
	v_ffbh_u32_e32 v47, v25
	v_bfe_u32 v20, v20, 27, 4
	v_min_u32_e32 v47, 32, v47
	v_subrev_u32_e32 v48, 28, v47
	v_sub_u32_e32 v47, 29, v47
	v_cmp_eq_u32_e64 s[0:1], 0, v20
	v_lshlrev_b64 v[48:49], v48, v[10:11]
	v_and_b32_e32 v48, 7, v48
	v_cndmask_b32_e64 v20, v20, v47, s[0:1]
	v_lshlrev_b32_e32 v10, 8, v10
	v_lshl_add_u32 v20, v20, 10, v30
	v_cndmask_b32_e64 v25, v25, v48, s[0:1]
	v_and_or_b32 v10, v10, s26, v20
	v_lshl_or_b32 v10, v25, 7, v10
	v_cvt_f32_f16_e32 v25, v10
.LBB287_456:                            ;   in Loop: Header=BB287_371 Depth=1
	s_or_b64 exec, exec, s[14:15]
	v_cmp_gt_i16_sdwa s[12:13], v21, s24 src0_sel:BYTE_0 src1_sel:DWORD
	s_mov_b64 s[0:1], 0
                                        ; implicit-def: $sgpr16
	s_and_saveexec_b64 s[14:15], s[12:13]
	s_xor_b64 s[12:13], exec, s[14:15]
	s_cbranch_execnz .LBB287_622
; %bb.457:                              ;   in Loop: Header=BB287_371 Depth=1
	s_or_saveexec_b64 s[12:13], s[12:13]
	v_mov_b32_e32 v20, s16
	s_xor_b64 exec, exec, s[12:13]
	s_cbranch_execnz .LBB287_625
.LBB287_458:                            ;   in Loop: Header=BB287_371 Depth=1
	s_or_b64 exec, exec, s[12:13]
	v_mov_b32_e32 v10, v21
	s_and_saveexec_b64 s[12:13], s[0:1]
	s_cbranch_execz .LBB287_460
.LBB287_459:                            ;   in Loop: Header=BB287_371 Depth=1
	v_and_b32_e32 v20, 7, v21
	v_ffbh_u32_e32 v20, v20
	v_bfe_u32 v47, v21, 3, 4
	v_min_u32_e32 v20, 32, v20
	v_subrev_u32_e32 v48, 28, v20
	v_sub_u32_e32 v20, 29, v20
	v_cmp_eq_u32_e64 s[0:1], 0, v47
	s_nop 1
	v_cndmask_b32_e64 v20, v47, v20, s[0:1]
	v_cndmask_b32_e64 v47, 0, v48, s[0:1]
	v_lshlrev_b64 v[48:49], v47, v[10:11]
	v_lshlrev_b32_e32 v47, 7, v48
	v_lshlrev_b32_e32 v48, 8, v21
	v_lshl_add_u32 v20, v20, 10, v30
	v_and_or_b32 v20, v48, s26, v20
	v_and_or_b32 v20, v47, s27, v20
	v_cvt_f32_f16_e32 v20, v20
.LBB287_460:                            ;   in Loop: Header=BB287_371 Depth=1
	s_or_b64 exec, exec, s[12:13]
	v_lshrrev_b16_e32 v10, 8, v10
	v_cmp_lt_i16_e64 s[0:1], s24, v10
	s_mov_b64 s[12:13], 0
                                        ; implicit-def: $sgpr38
	s_and_saveexec_b64 s[14:15], s[0:1]
	s_xor_b64 s[14:15], exec, s[14:15]
	s_cbranch_execnz .LBB287_626
; %bb.461:                              ;   in Loop: Header=BB287_371 Depth=1
	s_or_saveexec_b64 s[14:15], s[14:15]
	v_mov_b32_e32 v47, s38
	s_xor_b64 exec, exec, s[14:15]
	s_cbranch_execnz .LBB287_629
.LBB287_462:                            ;   in Loop: Header=BB287_371 Depth=1
	s_or_b64 exec, exec, s[14:15]
	s_and_saveexec_b64 s[14:15], s[12:13]
	s_cbranch_execz .LBB287_464
.LBB287_463:                            ;   in Loop: Header=BB287_371 Depth=1
	v_and_b32_e32 v47, 7, v10
	v_ffbh_u32_e32 v48, v47
	v_min_u32_e32 v51, 32, v48
	v_subrev_u32_e32 v48, 28, v51
	v_bfe_u32 v50, v10, 3, 4
	v_lshlrev_b64 v[48:49], v48, v[10:11]
	v_sub_u32_e32 v49, 29, v51
	v_cmp_eq_u32_e64 s[0:1], 0, v50
	v_and_b32_e32 v48, 7, v48
	v_lshlrev_b32_e32 v10, 8, v10
	v_cndmask_b32_e64 v49, v50, v49, s[0:1]
	v_cndmask_b32_e64 v47, v47, v48, s[0:1]
	v_lshl_add_u32 v48, v49, 10, v30
	v_and_or_b32 v10, v10, s26, v48
	v_lshl_or_b32 v10, v47, 7, v10
	v_cvt_f32_f16_e32 v47, v10
.LBB287_464:                            ;   in Loop: Header=BB287_371 Depth=1
	s_or_b64 exec, exec, s[14:15]
	v_lshrrev_b32_e32 v10, 16, v21
	v_cmp_gt_i16_sdwa s[12:13], v10, s24 src0_sel:BYTE_0 src1_sel:DWORD
	s_mov_b64 s[0:1], 0
                                        ; implicit-def: $sgpr16
	s_and_saveexec_b64 s[14:15], s[12:13]
	s_xor_b64 s[12:13], exec, s[14:15]
	s_cbranch_execnz .LBB287_630
; %bb.465:                              ;   in Loop: Header=BB287_371 Depth=1
	s_or_saveexec_b64 s[12:13], s[12:13]
	v_mov_b32_e32 v48, s16
	s_xor_b64 exec, exec, s[12:13]
	s_cbranch_execnz .LBB287_633
.LBB287_466:                            ;   in Loop: Header=BB287_371 Depth=1
	s_or_b64 exec, exec, s[12:13]
	s_and_saveexec_b64 s[12:13], s[0:1]
	s_cbranch_execz .LBB287_468
.LBB287_467:                            ;   in Loop: Header=BB287_371 Depth=1
	v_bfe_u32 v50, v21, 16, 3
	v_ffbh_u32_e32 v48, v50
	v_min_u32_e32 v52, 32, v48
	v_subrev_u32_e32 v48, 28, v52
	v_bfe_u32 v51, v21, 19, 4
	v_lshlrev_b64 v[48:49], v48, v[10:11]
	v_sub_u32_e32 v49, 29, v52
	v_cmp_eq_u32_e64 s[0:1], 0, v51
	v_and_b32_e32 v48, 7, v48
	v_lshlrev_b32_e32 v10, 8, v10
	v_cndmask_b32_e64 v49, v51, v49, s[0:1]
	v_lshl_add_u32 v49, v49, 10, v30
	v_cndmask_b32_e64 v48, v50, v48, s[0:1]
	v_and_or_b32 v10, v10, s26, v49
	v_lshl_or_b32 v10, v48, 7, v10
	v_cvt_f32_f16_e32 v48, v10
.LBB287_468:                            ;   in Loop: Header=BB287_371 Depth=1
	s_or_b64 exec, exec, s[12:13]
	v_lshrrev_b32_e32 v10, 24, v21
	v_cmp_lt_i16_e64 s[0:1], s24, v10
	s_mov_b64 s[12:13], 0
                                        ; implicit-def: $sgpr38
	s_and_saveexec_b64 s[14:15], s[0:1]
	s_xor_b64 s[14:15], exec, s[14:15]
	s_cbranch_execnz .LBB287_634
; %bb.469:                              ;   in Loop: Header=BB287_371 Depth=1
	s_or_saveexec_b64 s[14:15], s[14:15]
	v_mov_b32_e32 v49, s38
	s_xor_b64 exec, exec, s[14:15]
	s_cbranch_execnz .LBB287_637
.LBB287_470:                            ;   in Loop: Header=BB287_371 Depth=1
	s_or_b64 exec, exec, s[14:15]
	s_and_saveexec_b64 s[14:15], s[12:13]
	s_cbranch_execz .LBB287_472
.LBB287_471:                            ;   in Loop: Header=BB287_371 Depth=1
	v_bfe_u32 v49, v21, 24, 3
	v_ffbh_u32_e32 v50, v49
	v_min_u32_e32 v52, 32, v50
	v_subrev_u32_e32 v50, 28, v52
	v_bfe_u32 v21, v21, 27, 4
	v_lshlrev_b64 v[50:51], v50, v[10:11]
	v_sub_u32_e32 v51, 29, v52
	v_cmp_eq_u32_e64 s[0:1], 0, v21
	v_and_b32_e32 v50, 7, v50
	v_lshlrev_b32_e32 v10, 8, v10
	v_cndmask_b32_e64 v21, v21, v51, s[0:1]
	v_lshl_add_u32 v21, v21, 10, v30
	v_cndmask_b32_e64 v49, v49, v50, s[0:1]
	v_and_or_b32 v10, v10, s26, v21
	v_lshl_or_b32 v10, v49, 7, v10
	v_cvt_f32_f16_e32 v49, v10
.LBB287_472:                            ;   in Loop: Header=BB287_371 Depth=1
	s_or_b64 exec, exec, s[14:15]
	s_waitcnt vmcnt(0)
	v_pk_mul_f32 v[24:25], v[18:19], v[24:25] op_sel_hi:[0,1]
	v_pk_mul_f32 v[22:23], v[18:19], v[22:23] op_sel_hi:[0,1]
	v_cvt_f16_f32_e32 v10, v25
	v_cvt_f16_f32_e32 v21, v24
	;; [unrolled: 1-line block ×4, first 2 shown]
	v_fma_mixlo_f16 v20, v18, v20, 0
	v_pack_b32_f16 v21, v21, v10
	v_pack_b32_f16 v22, v22, v23
	v_perm_b32 v10, v22, v21, s34
	v_perm_b32 v21, v22, v21, s36
	v_fma_mixlo_f16 v22, v18, v47, 0
	v_lshlrev_b32_e32 v22, 16, v22
	v_or_b32_sdwa v20, v22, v20 dst_sel:DWORD dst_unused:UNUSED_PAD src0_sel:DWORD src1_sel:WORD_0
	v_fma_mixlo_f16 v22, v18, v48, 0
	v_fma_mixlo_f16 v18, v18, v49, 0
	v_lshlrev_b32_e32 v18, 16, v18
	v_or_b32_sdwa v18, v18, v22 dst_sel:DWORD dst_unused:UNUSED_PAD src0_sel:DWORD src1_sel:WORD_0
	s_and_saveexec_b64 s[12:13], vcc
	s_cbranch_execz .LBB287_474
; %bb.473:                              ;   in Loop: Header=BB287_371 Depth=1
	v_lshrrev_b32_e32 v23, 16, v21
	v_cmp_gt_i32_e64 s[0:1], s22, v38
	v_lshrrev_b32_e32 v18, 16, v18
	s_nop 0
	v_cndmask_b32_e64 v23, 0, v23, s[0:1]
	v_cmp_gt_i32_e64 s[0:1], s33, v33
	s_nop 1
	v_cndmask_b32_e64 v21, 0, v21, s[0:1]
	v_perm_b32 v21, v23, v21, s37
	v_lshrrev_b32_e32 v23, 16, v10
	v_cmp_gt_i32_e64 s[0:1], s22, v37
	s_nop 1
	v_cndmask_b32_e64 v23, 0, v23, s[0:1]
	v_cmp_gt_i32_e64 s[0:1], s33, v36
	s_nop 1
	v_cndmask_b32_e64 v10, 0, v10, s[0:1]
	v_perm_b32 v10, v23, v10, s37
	v_lshrrev_b32_e32 v23, 16, v20
	v_cmp_gt_i32_e64 s[0:1], s22, v35
	s_nop 1
	v_cndmask_b32_e64 v23, 0, v23, s[0:1]
	v_cmp_gt_i32_e64 s[0:1], s33, v34
	s_nop 1
	v_cndmask_b32_e64 v20, 0, v20, s[0:1]
	v_cmp_gt_i32_e64 s[0:1], s22, v32
	v_perm_b32 v20, v23, v20, s37
	s_nop 0
	v_cndmask_b32_e64 v18, 0, v18, s[0:1]
	v_cmp_gt_i32_e64 s[0:1], s33, v31
	s_nop 1
	v_cndmask_b32_e64 v22, 0, v22, s[0:1]
	v_perm_b32 v18, v18, v22, s37
.LBB287_474:                            ;   in Loop: Header=BB287_371 Depth=1
	s_or_b64 exec, exec, s[12:13]
	;;#ASMSTART
	v_pk_mul_f16 v21, v42, v21;

	;;#ASMEND
	;;#ASMSTART
	v_pk_mul_f16 v10, v41, v10;

	;;#ASMEND
	;; [unrolled: 4-line block ×4, first 2 shown]
	s_mov_b64 s[0:1], 0
	;;#ASMSTART
	v_pk_add_f16 v10, v21, v10;

	;;#ASMEND
                                        ; implicit-def: $sgpr16
	s_nop 0
	;;#ASMSTART
	v_pk_add_f16 v10, v10, v20;

	;;#ASMEND
	s_nop 0
	;;#ASMSTART
	v_pk_add_f16 v10, v10, v18;

	;;#ASMEND
	s_nop 0
	v_lshrrev_b32_e32 v18, 16, v10
	v_and_b32_e32 v10, 0xffff, v10
	;;#ASMSTART
	v_cvt_f32_f16 v47, v10;
	;;#ASMEND
	;;#ASMSTART
	v_cvt_f32_f16 v48, v18;
	;;#ASMEND
	global_load_dwordx2 v[20:21], v[16:17], off offset:1536
	global_load_dword v18, v11, s[18:19]
	s_waitcnt vmcnt(1)
	v_cmp_gt_i16_sdwa s[12:13], v20, s24 src0_sel:BYTE_0 src1_sel:DWORD
	s_and_saveexec_b64 s[14:15], s[12:13]
	s_xor_b64 s[12:13], exec, s[14:15]
	s_cbranch_execnz .LBB287_638
; %bb.475:                              ;   in Loop: Header=BB287_371 Depth=1
	s_or_saveexec_b64 s[12:13], s[12:13]
	v_mov_b32_e32 v22, s16
	s_xor_b64 exec, exec, s[12:13]
	s_cbranch_execnz .LBB287_641
.LBB287_476:                            ;   in Loop: Header=BB287_371 Depth=1
	s_or_b64 exec, exec, s[12:13]
	s_and_saveexec_b64 s[12:13], s[0:1]
	s_cbranch_execz .LBB287_478
.LBB287_477:                            ;   in Loop: Header=BB287_371 Depth=1
	v_and_b32_e32 v10, 7, v20
	v_ffbh_u32_e32 v10, v10
	v_bfe_u32 v22, v20, 3, 4
	v_min_u32_e32 v10, 32, v10
	v_subrev_u32_e32 v23, 28, v10
	v_sub_u32_e32 v10, 29, v10
	v_cmp_eq_u32_e64 s[0:1], 0, v22
	s_nop 1
	v_cndmask_b32_e64 v10, v22, v10, s[0:1]
	v_cndmask_b32_e64 v22, 0, v23, s[0:1]
	v_lshlrev_b64 v[22:23], v22, v[20:21]
	v_lshlrev_b32_e32 v23, 8, v20
	v_lshl_add_u32 v10, v10, 10, v30
	v_lshlrev_b32_e32 v22, 7, v22
	v_and_or_b32 v10, v23, s26, v10
	v_and_or_b32 v10, v22, s27, v10
	v_cvt_f32_f16_e32 v22, v10
.LBB287_478:                            ;   in Loop: Header=BB287_371 Depth=1
	s_or_b64 exec, exec, s[12:13]
	v_lshrrev_b16_e32 v10, 8, v20
	v_cmp_lt_i16_e64 s[0:1], s24, v10
	s_mov_b64 s[12:13], 0
                                        ; implicit-def: $sgpr38
	s_and_saveexec_b64 s[14:15], s[0:1]
	s_xor_b64 s[14:15], exec, s[14:15]
	s_cbranch_execnz .LBB287_642
; %bb.479:                              ;   in Loop: Header=BB287_371 Depth=1
	s_or_saveexec_b64 s[14:15], s[14:15]
	v_mov_b32_e32 v24, s38
	s_xor_b64 exec, exec, s[14:15]
	s_cbranch_execnz .LBB287_645
.LBB287_480:                            ;   in Loop: Header=BB287_371 Depth=1
	s_or_b64 exec, exec, s[14:15]
	s_and_saveexec_b64 s[14:15], s[12:13]
	s_cbranch_execz .LBB287_482
.LBB287_481:                            ;   in Loop: Header=BB287_371 Depth=1
	v_and_b32_e32 v23, 7, v10
	v_ffbh_u32_e32 v24, v23
	v_min_u32_e32 v50, 32, v24
	v_subrev_u32_e32 v24, 28, v50
	v_bfe_u32 v49, v10, 3, 4
	v_lshlrev_b64 v[24:25], v24, v[10:11]
	v_sub_u32_e32 v25, 29, v50
	v_cmp_eq_u32_e64 s[0:1], 0, v49
	v_and_b32_e32 v24, 7, v24
	v_lshlrev_b32_e32 v10, 8, v10
	v_cndmask_b32_e64 v25, v49, v25, s[0:1]
	v_cndmask_b32_e64 v23, v23, v24, s[0:1]
	v_lshl_add_u32 v24, v25, 10, v30
	v_and_or_b32 v10, v10, s26, v24
	v_lshl_or_b32 v10, v23, 7, v10
	v_cvt_f32_f16_e32 v24, v10
.LBB287_482:                            ;   in Loop: Header=BB287_371 Depth=1
	s_or_b64 exec, exec, s[14:15]
	v_lshrrev_b32_e32 v10, 16, v20
	v_cmp_gt_i16_sdwa s[12:13], v10, s24 src0_sel:BYTE_0 src1_sel:DWORD
	s_mov_b64 s[0:1], 0
                                        ; implicit-def: $sgpr16
	s_and_saveexec_b64 s[14:15], s[12:13]
	s_xor_b64 s[12:13], exec, s[14:15]
	s_cbranch_execnz .LBB287_646
; %bb.483:                              ;   in Loop: Header=BB287_371 Depth=1
	s_or_saveexec_b64 s[12:13], s[12:13]
	v_mov_b32_e32 v23, s16
	s_xor_b64 exec, exec, s[12:13]
	s_cbranch_execnz .LBB287_649
.LBB287_484:                            ;   in Loop: Header=BB287_371 Depth=1
	s_or_b64 exec, exec, s[12:13]
	s_and_saveexec_b64 s[12:13], s[0:1]
	s_cbranch_execz .LBB287_486
.LBB287_485:                            ;   in Loop: Header=BB287_371 Depth=1
	v_bfe_u32 v23, v20, 16, 3
	v_ffbh_u32_e32 v49, v23
	v_bfe_u32 v25, v20, 19, 4
	v_min_u32_e32 v49, 32, v49
	v_subrev_u32_e32 v50, 28, v49
	v_sub_u32_e32 v49, 29, v49
	v_cmp_eq_u32_e64 s[0:1], 0, v25
	v_lshlrev_b64 v[50:51], v50, v[10:11]
	v_and_b32_e32 v50, 7, v50
	v_cndmask_b32_e64 v25, v25, v49, s[0:1]
	v_lshlrev_b32_e32 v10, 8, v10
	v_lshl_add_u32 v25, v25, 10, v30
	v_cndmask_b32_e64 v23, v23, v50, s[0:1]
	v_and_or_b32 v10, v10, s26, v25
	v_lshl_or_b32 v10, v23, 7, v10
	v_cvt_f32_f16_e32 v23, v10
.LBB287_486:                            ;   in Loop: Header=BB287_371 Depth=1
	s_or_b64 exec, exec, s[12:13]
	v_lshrrev_b32_e32 v10, 24, v20
	v_cmp_lt_i16_e64 s[0:1], s24, v10
	s_mov_b64 s[12:13], 0
                                        ; implicit-def: $sgpr38
	s_and_saveexec_b64 s[14:15], s[0:1]
	s_xor_b64 s[14:15], exec, s[14:15]
	s_cbranch_execnz .LBB287_650
; %bb.487:                              ;   in Loop: Header=BB287_371 Depth=1
	s_or_saveexec_b64 s[14:15], s[14:15]
	v_mov_b32_e32 v25, s38
	s_xor_b64 exec, exec, s[14:15]
	s_cbranch_execnz .LBB287_653
.LBB287_488:                            ;   in Loop: Header=BB287_371 Depth=1
	s_or_b64 exec, exec, s[14:15]
	s_and_saveexec_b64 s[14:15], s[12:13]
	s_cbranch_execz .LBB287_490
.LBB287_489:                            ;   in Loop: Header=BB287_371 Depth=1
	v_bfe_u32 v25, v20, 24, 3
	v_ffbh_u32_e32 v49, v25
	v_bfe_u32 v20, v20, 27, 4
	v_min_u32_e32 v49, 32, v49
	v_subrev_u32_e32 v50, 28, v49
	v_sub_u32_e32 v49, 29, v49
	v_cmp_eq_u32_e64 s[0:1], 0, v20
	v_lshlrev_b64 v[50:51], v50, v[10:11]
	v_and_b32_e32 v50, 7, v50
	v_cndmask_b32_e64 v20, v20, v49, s[0:1]
	v_lshlrev_b32_e32 v10, 8, v10
	v_lshl_add_u32 v20, v20, 10, v30
	v_cndmask_b32_e64 v25, v25, v50, s[0:1]
	v_and_or_b32 v10, v10, s26, v20
	v_lshl_or_b32 v10, v25, 7, v10
	v_cvt_f32_f16_e32 v25, v10
.LBB287_490:                            ;   in Loop: Header=BB287_371 Depth=1
	s_or_b64 exec, exec, s[14:15]
	v_cmp_gt_i16_sdwa s[12:13], v21, s24 src0_sel:BYTE_0 src1_sel:DWORD
	s_mov_b64 s[0:1], 0
                                        ; implicit-def: $sgpr16
	s_and_saveexec_b64 s[14:15], s[12:13]
	s_xor_b64 s[12:13], exec, s[14:15]
	s_cbranch_execnz .LBB287_654
; %bb.491:                              ;   in Loop: Header=BB287_371 Depth=1
	s_or_saveexec_b64 s[12:13], s[12:13]
	v_mov_b32_e32 v20, s16
	s_xor_b64 exec, exec, s[12:13]
	s_cbranch_execnz .LBB287_657
.LBB287_492:                            ;   in Loop: Header=BB287_371 Depth=1
	s_or_b64 exec, exec, s[12:13]
	v_mov_b32_e32 v10, v21
	s_and_saveexec_b64 s[12:13], s[0:1]
	s_cbranch_execz .LBB287_494
.LBB287_493:                            ;   in Loop: Header=BB287_371 Depth=1
	v_and_b32_e32 v20, 7, v21
	v_ffbh_u32_e32 v20, v20
	v_bfe_u32 v49, v21, 3, 4
	v_min_u32_e32 v20, 32, v20
	v_subrev_u32_e32 v50, 28, v20
	v_sub_u32_e32 v20, 29, v20
	v_cmp_eq_u32_e64 s[0:1], 0, v49
	s_nop 1
	v_cndmask_b32_e64 v20, v49, v20, s[0:1]
	v_cndmask_b32_e64 v49, 0, v50, s[0:1]
	v_lshlrev_b64 v[50:51], v49, v[10:11]
	v_lshlrev_b32_e32 v49, 7, v50
	v_lshlrev_b32_e32 v50, 8, v21
	v_lshl_add_u32 v20, v20, 10, v30
	v_and_or_b32 v20, v50, s26, v20
	v_and_or_b32 v20, v49, s27, v20
	v_cvt_f32_f16_e32 v20, v20
.LBB287_494:                            ;   in Loop: Header=BB287_371 Depth=1
	s_or_b64 exec, exec, s[12:13]
	v_lshrrev_b16_e32 v10, 8, v10
	v_cmp_lt_i16_e64 s[0:1], s24, v10
	s_mov_b64 s[12:13], 0
                                        ; implicit-def: $sgpr38
	s_and_saveexec_b64 s[14:15], s[0:1]
	s_xor_b64 s[14:15], exec, s[14:15]
	s_cbranch_execnz .LBB287_658
; %bb.495:                              ;   in Loop: Header=BB287_371 Depth=1
	s_or_saveexec_b64 s[14:15], s[14:15]
	v_mov_b32_e32 v49, s38
	s_xor_b64 exec, exec, s[14:15]
	s_cbranch_execnz .LBB287_661
.LBB287_496:                            ;   in Loop: Header=BB287_371 Depth=1
	s_or_b64 exec, exec, s[14:15]
	s_and_saveexec_b64 s[14:15], s[12:13]
	s_cbranch_execz .LBB287_498
.LBB287_497:                            ;   in Loop: Header=BB287_371 Depth=1
	v_and_b32_e32 v49, 7, v10
	v_ffbh_u32_e32 v50, v49
	v_min_u32_e32 v53, 32, v50
	v_subrev_u32_e32 v50, 28, v53
	v_bfe_u32 v52, v10, 3, 4
	v_lshlrev_b64 v[50:51], v50, v[10:11]
	v_sub_u32_e32 v51, 29, v53
	v_cmp_eq_u32_e64 s[0:1], 0, v52
	v_and_b32_e32 v50, 7, v50
	v_lshlrev_b32_e32 v10, 8, v10
	v_cndmask_b32_e64 v51, v52, v51, s[0:1]
	v_cndmask_b32_e64 v49, v49, v50, s[0:1]
	v_lshl_add_u32 v50, v51, 10, v30
	v_and_or_b32 v10, v10, s26, v50
	v_lshl_or_b32 v10, v49, 7, v10
	v_cvt_f32_f16_e32 v49, v10
.LBB287_498:                            ;   in Loop: Header=BB287_371 Depth=1
	s_or_b64 exec, exec, s[14:15]
	v_lshrrev_b32_e32 v10, 16, v21
	v_cmp_gt_i16_sdwa s[12:13], v10, s24 src0_sel:BYTE_0 src1_sel:DWORD
	s_mov_b64 s[0:1], 0
                                        ; implicit-def: $sgpr16
	s_and_saveexec_b64 s[14:15], s[12:13]
	s_xor_b64 s[12:13], exec, s[14:15]
	s_cbranch_execnz .LBB287_662
; %bb.499:                              ;   in Loop: Header=BB287_371 Depth=1
	s_or_saveexec_b64 s[12:13], s[12:13]
	v_mov_b32_e32 v50, s16
	s_xor_b64 exec, exec, s[12:13]
	s_cbranch_execnz .LBB287_665
.LBB287_500:                            ;   in Loop: Header=BB287_371 Depth=1
	s_or_b64 exec, exec, s[12:13]
	s_and_saveexec_b64 s[12:13], s[0:1]
	s_cbranch_execz .LBB287_502
.LBB287_501:                            ;   in Loop: Header=BB287_371 Depth=1
	v_bfe_u32 v52, v21, 16, 3
	v_ffbh_u32_e32 v50, v52
	v_min_u32_e32 v54, 32, v50
	v_subrev_u32_e32 v50, 28, v54
	v_bfe_u32 v53, v21, 19, 4
	v_lshlrev_b64 v[50:51], v50, v[10:11]
	v_sub_u32_e32 v51, 29, v54
	v_cmp_eq_u32_e64 s[0:1], 0, v53
	v_and_b32_e32 v50, 7, v50
	v_lshlrev_b32_e32 v10, 8, v10
	v_cndmask_b32_e64 v51, v53, v51, s[0:1]
	v_lshl_add_u32 v51, v51, 10, v30
	v_cndmask_b32_e64 v50, v52, v50, s[0:1]
	v_and_or_b32 v10, v10, s26, v51
	v_lshl_or_b32 v10, v50, 7, v10
	v_cvt_f32_f16_e32 v50, v10
.LBB287_502:                            ;   in Loop: Header=BB287_371 Depth=1
	s_or_b64 exec, exec, s[12:13]
	v_lshrrev_b32_e32 v10, 24, v21
	v_cmp_lt_i16_e64 s[0:1], s24, v10
	s_mov_b64 s[12:13], 0
                                        ; implicit-def: $sgpr38
	s_and_saveexec_b64 s[14:15], s[0:1]
	s_xor_b64 s[14:15], exec, s[14:15]
	s_cbranch_execnz .LBB287_666
; %bb.503:                              ;   in Loop: Header=BB287_371 Depth=1
	s_or_saveexec_b64 s[14:15], s[14:15]
	v_mov_b32_e32 v51, s38
	s_xor_b64 exec, exec, s[14:15]
	s_cbranch_execnz .LBB287_669
.LBB287_504:                            ;   in Loop: Header=BB287_371 Depth=1
	s_or_b64 exec, exec, s[14:15]
	s_and_saveexec_b64 s[14:15], s[12:13]
	s_cbranch_execz .LBB287_506
.LBB287_505:                            ;   in Loop: Header=BB287_371 Depth=1
	v_bfe_u32 v51, v21, 24, 3
	v_ffbh_u32_e32 v52, v51
	v_min_u32_e32 v54, 32, v52
	v_subrev_u32_e32 v52, 28, v54
	v_bfe_u32 v21, v21, 27, 4
	v_lshlrev_b64 v[52:53], v52, v[10:11]
	v_sub_u32_e32 v53, 29, v54
	v_cmp_eq_u32_e64 s[0:1], 0, v21
	v_and_b32_e32 v52, 7, v52
	v_lshlrev_b32_e32 v10, 8, v10
	v_cndmask_b32_e64 v21, v21, v53, s[0:1]
	v_lshl_add_u32 v21, v21, 10, v30
	v_cndmask_b32_e64 v51, v51, v52, s[0:1]
	v_and_or_b32 v10, v10, s26, v21
	v_lshl_or_b32 v10, v51, 7, v10
	v_cvt_f32_f16_e32 v51, v10
.LBB287_506:                            ;   in Loop: Header=BB287_371 Depth=1
	s_or_b64 exec, exec, s[14:15]
	s_waitcnt vmcnt(0)
	v_pk_mul_f32 v[24:25], v[18:19], v[24:25] op_sel_hi:[0,1]
	v_pk_mul_f32 v[22:23], v[18:19], v[22:23] op_sel_hi:[0,1]
	v_cvt_f16_f32_e32 v10, v25
	v_cvt_f16_f32_e32 v21, v24
	;; [unrolled: 1-line block ×4, first 2 shown]
	v_fma_mixlo_f16 v20, v18, v20, 0
	v_pack_b32_f16 v21, v21, v10
	v_pack_b32_f16 v22, v22, v23
	v_perm_b32 v10, v22, v21, s34
	v_perm_b32 v21, v22, v21, s36
	v_fma_mixlo_f16 v22, v18, v49, 0
	v_lshlrev_b32_e32 v22, 16, v22
	v_or_b32_sdwa v20, v22, v20 dst_sel:DWORD dst_unused:UNUSED_PAD src0_sel:DWORD src1_sel:WORD_0
	v_fma_mixlo_f16 v22, v18, v50, 0
	v_fma_mixlo_f16 v18, v18, v51, 0
	v_lshlrev_b32_e32 v18, 16, v18
	v_or_b32_sdwa v18, v18, v22 dst_sel:DWORD dst_unused:UNUSED_PAD src0_sel:DWORD src1_sel:WORD_0
	s_and_saveexec_b64 s[12:13], vcc
	s_cbranch_execz .LBB287_508
; %bb.507:                              ;   in Loop: Header=BB287_371 Depth=1
	v_lshrrev_b32_e32 v23, 16, v21
	v_cmp_gt_i32_e64 s[0:1], s22, v38
	v_lshrrev_b32_e32 v18, 16, v18
	s_nop 0
	v_cndmask_b32_e64 v23, 0, v23, s[0:1]
	v_cmp_gt_i32_e64 s[0:1], s33, v33
	s_nop 1
	v_cndmask_b32_e64 v21, 0, v21, s[0:1]
	v_perm_b32 v21, v23, v21, s37
	v_lshrrev_b32_e32 v23, 16, v10
	v_cmp_gt_i32_e64 s[0:1], s22, v37
	s_nop 1
	v_cndmask_b32_e64 v23, 0, v23, s[0:1]
	v_cmp_gt_i32_e64 s[0:1], s33, v36
	s_nop 1
	v_cndmask_b32_e64 v10, 0, v10, s[0:1]
	v_perm_b32 v10, v23, v10, s37
	v_lshrrev_b32_e32 v23, 16, v20
	v_cmp_gt_i32_e64 s[0:1], s22, v35
	s_nop 1
	v_cndmask_b32_e64 v23, 0, v23, s[0:1]
	v_cmp_gt_i32_e64 s[0:1], s33, v34
	s_nop 1
	v_cndmask_b32_e64 v20, 0, v20, s[0:1]
	v_cmp_gt_i32_e64 s[0:1], s22, v32
	v_perm_b32 v20, v23, v20, s37
	s_nop 0
	v_cndmask_b32_e64 v18, 0, v18, s[0:1]
	v_cmp_gt_i32_e64 s[0:1], s33, v31
	s_nop 1
	v_cndmask_b32_e64 v22, 0, v22, s[0:1]
	v_perm_b32 v18, v18, v22, s37
.LBB287_508:                            ;   in Loop: Header=BB287_371 Depth=1
	s_or_b64 exec, exec, s[12:13]
	;;#ASMSTART
	v_pk_mul_f16 v21, v42, v21;

	;;#ASMEND
	;;#ASMSTART
	v_pk_mul_f16 v10, v41, v10;

	;;#ASMEND
	;; [unrolled: 4-line block ×4, first 2 shown]
	s_mov_b64 s[0:1], 0
	;;#ASMSTART
	v_pk_add_f16 v10, v21, v10;

	;;#ASMEND
                                        ; implicit-def: $sgpr16
	s_nop 0
	;;#ASMSTART
	v_pk_add_f16 v10, v10, v20;

	;;#ASMEND
	s_nop 0
	;;#ASMSTART
	v_pk_add_f16 v10, v10, v18;

	;;#ASMEND
	s_nop 0
	v_lshrrev_b32_e32 v18, 16, v10
	v_and_b32_e32 v10, 0xffff, v10
	;;#ASMSTART
	v_cvt_f32_f16 v24, v10;
	;;#ASMEND
	;;#ASMSTART
	v_cvt_f32_f16 v25, v18;
	;;#ASMEND
	global_load_dwordx2 v[20:21], v[16:17], off offset:2048
	global_load_dword v18, v11, s[18:19]
	s_waitcnt vmcnt(1)
	v_cmp_gt_i16_sdwa s[12:13], v20, s24 src0_sel:BYTE_0 src1_sel:DWORD
	s_and_saveexec_b64 s[14:15], s[12:13]
	s_xor_b64 s[12:13], exec, s[14:15]
	s_cbranch_execnz .LBB287_670
; %bb.509:                              ;   in Loop: Header=BB287_371 Depth=1
	s_or_saveexec_b64 s[12:13], s[12:13]
	v_mov_b32_e32 v16, s16
	s_xor_b64 exec, exec, s[12:13]
	s_cbranch_execnz .LBB287_673
.LBB287_510:                            ;   in Loop: Header=BB287_371 Depth=1
	s_or_b64 exec, exec, s[12:13]
	s_and_saveexec_b64 s[12:13], s[0:1]
	s_cbranch_execz .LBB287_512
.LBB287_511:                            ;   in Loop: Header=BB287_371 Depth=1
	v_and_b32_e32 v10, 7, v20
	v_ffbh_u32_e32 v10, v10
	v_bfe_u32 v16, v20, 3, 4
	v_min_u32_e32 v10, 32, v10
	v_subrev_u32_e32 v17, 28, v10
	v_sub_u32_e32 v10, 29, v10
	v_cmp_eq_u32_e64 s[0:1], 0, v16
	s_nop 1
	v_cndmask_b32_e64 v10, v16, v10, s[0:1]
	v_cndmask_b32_e64 v16, 0, v17, s[0:1]
	v_lshlrev_b64 v[16:17], v16, v[20:21]
	v_lshlrev_b32_e32 v17, 8, v20
	v_lshl_add_u32 v10, v10, 10, v30
	v_lshlrev_b32_e32 v16, 7, v16
	v_and_or_b32 v10, v17, s26, v10
	v_and_or_b32 v10, v16, s27, v10
	v_cvt_f32_f16_e32 v16, v10
.LBB287_512:                            ;   in Loop: Header=BB287_371 Depth=1
	s_or_b64 exec, exec, s[12:13]
	v_lshrrev_b16_e32 v10, 8, v20
	v_cmp_lt_i16_e64 s[0:1], s24, v10
	s_mov_b64 s[12:13], 0
                                        ; implicit-def: $sgpr38
	s_and_saveexec_b64 s[14:15], s[0:1]
	s_xor_b64 s[14:15], exec, s[14:15]
	s_cbranch_execnz .LBB287_674
; %bb.513:                              ;   in Loop: Header=BB287_371 Depth=1
	s_or_saveexec_b64 s[14:15], s[14:15]
	v_mov_b32_e32 v22, s38
	s_xor_b64 exec, exec, s[14:15]
	s_cbranch_execnz .LBB287_677
.LBB287_514:                            ;   in Loop: Header=BB287_371 Depth=1
	s_or_b64 exec, exec, s[14:15]
	s_and_saveexec_b64 s[14:15], s[12:13]
	s_cbranch_execz .LBB287_516
.LBB287_515:                            ;   in Loop: Header=BB287_371 Depth=1
	v_and_b32_e32 v17, 7, v10
	v_ffbh_u32_e32 v22, v17
	v_min_u32_e32 v50, 32, v22
	v_subrev_u32_e32 v22, 28, v50
	v_bfe_u32 v49, v10, 3, 4
	v_lshlrev_b64 v[22:23], v22, v[10:11]
	v_sub_u32_e32 v23, 29, v50
	v_cmp_eq_u32_e64 s[0:1], 0, v49
	v_and_b32_e32 v22, 7, v22
	v_lshlrev_b32_e32 v10, 8, v10
	v_cndmask_b32_e64 v23, v49, v23, s[0:1]
	v_cndmask_b32_e64 v17, v17, v22, s[0:1]
	v_lshl_add_u32 v22, v23, 10, v30
	v_and_or_b32 v10, v10, s26, v22
	v_lshl_or_b32 v10, v17, 7, v10
	v_cvt_f32_f16_e32 v22, v10
.LBB287_516:                            ;   in Loop: Header=BB287_371 Depth=1
	s_or_b64 exec, exec, s[14:15]
	v_lshrrev_b32_e32 v10, 16, v20
	v_cmp_gt_i16_sdwa s[12:13], v10, s24 src0_sel:BYTE_0 src1_sel:DWORD
	s_mov_b64 s[0:1], 0
                                        ; implicit-def: $sgpr16
	s_and_saveexec_b64 s[14:15], s[12:13]
	s_xor_b64 s[12:13], exec, s[14:15]
	s_cbranch_execnz .LBB287_678
; %bb.517:                              ;   in Loop: Header=BB287_371 Depth=1
	s_or_saveexec_b64 s[12:13], s[12:13]
	v_mov_b32_e32 v17, s16
	s_xor_b64 exec, exec, s[12:13]
	s_cbranch_execnz .LBB287_681
.LBB287_518:                            ;   in Loop: Header=BB287_371 Depth=1
	s_or_b64 exec, exec, s[12:13]
	s_and_saveexec_b64 s[12:13], s[0:1]
	s_cbranch_execz .LBB287_520
.LBB287_519:                            ;   in Loop: Header=BB287_371 Depth=1
	v_bfe_u32 v17, v20, 16, 3
	v_ffbh_u32_e32 v49, v17
	v_bfe_u32 v23, v20, 19, 4
	v_min_u32_e32 v49, 32, v49
	v_subrev_u32_e32 v50, 28, v49
	v_sub_u32_e32 v49, 29, v49
	v_cmp_eq_u32_e64 s[0:1], 0, v23
	v_lshlrev_b64 v[50:51], v50, v[10:11]
	v_and_b32_e32 v50, 7, v50
	v_cndmask_b32_e64 v23, v23, v49, s[0:1]
	v_lshlrev_b32_e32 v10, 8, v10
	v_lshl_add_u32 v23, v23, 10, v30
	v_cndmask_b32_e64 v17, v17, v50, s[0:1]
	v_and_or_b32 v10, v10, s26, v23
	v_lshl_or_b32 v10, v17, 7, v10
	v_cvt_f32_f16_e32 v17, v10
.LBB287_520:                            ;   in Loop: Header=BB287_371 Depth=1
	s_or_b64 exec, exec, s[12:13]
	v_lshrrev_b32_e32 v10, 24, v20
	v_cmp_lt_i16_e64 s[0:1], s24, v10
	s_mov_b64 s[12:13], 0
                                        ; implicit-def: $sgpr38
	s_and_saveexec_b64 s[14:15], s[0:1]
	s_xor_b64 s[14:15], exec, s[14:15]
	s_cbranch_execnz .LBB287_682
; %bb.521:                              ;   in Loop: Header=BB287_371 Depth=1
	s_or_saveexec_b64 s[14:15], s[14:15]
	v_mov_b32_e32 v23, s38
	s_xor_b64 exec, exec, s[14:15]
	s_cbranch_execnz .LBB287_685
.LBB287_522:                            ;   in Loop: Header=BB287_371 Depth=1
	s_or_b64 exec, exec, s[14:15]
	s_and_saveexec_b64 s[14:15], s[12:13]
	s_cbranch_execz .LBB287_524
.LBB287_523:                            ;   in Loop: Header=BB287_371 Depth=1
	v_bfe_u32 v23, v20, 24, 3
	v_ffbh_u32_e32 v49, v23
	v_bfe_u32 v20, v20, 27, 4
	v_min_u32_e32 v49, 32, v49
	v_subrev_u32_e32 v50, 28, v49
	v_sub_u32_e32 v49, 29, v49
	v_cmp_eq_u32_e64 s[0:1], 0, v20
	v_lshlrev_b64 v[50:51], v50, v[10:11]
	v_and_b32_e32 v50, 7, v50
	v_cndmask_b32_e64 v20, v20, v49, s[0:1]
	v_lshlrev_b32_e32 v10, 8, v10
	v_lshl_add_u32 v20, v20, 10, v30
	v_cndmask_b32_e64 v23, v23, v50, s[0:1]
	v_and_or_b32 v10, v10, s26, v20
	v_lshl_or_b32 v10, v23, 7, v10
	v_cvt_f32_f16_e32 v23, v10
.LBB287_524:                            ;   in Loop: Header=BB287_371 Depth=1
	s_or_b64 exec, exec, s[14:15]
	v_cmp_gt_i16_sdwa s[12:13], v21, s24 src0_sel:BYTE_0 src1_sel:DWORD
	s_mov_b64 s[0:1], 0
                                        ; implicit-def: $sgpr16
	s_and_saveexec_b64 s[14:15], s[12:13]
	s_xor_b64 s[12:13], exec, s[14:15]
	s_cbranch_execnz .LBB287_686
; %bb.525:                              ;   in Loop: Header=BB287_371 Depth=1
	s_or_saveexec_b64 s[12:13], s[12:13]
	v_mov_b32_e32 v20, s16
	s_xor_b64 exec, exec, s[12:13]
	s_cbranch_execnz .LBB287_689
.LBB287_526:                            ;   in Loop: Header=BB287_371 Depth=1
	s_or_b64 exec, exec, s[12:13]
	v_mov_b32_e32 v10, v21
	s_and_saveexec_b64 s[12:13], s[0:1]
	s_cbranch_execz .LBB287_528
.LBB287_527:                            ;   in Loop: Header=BB287_371 Depth=1
	v_and_b32_e32 v20, 7, v21
	v_ffbh_u32_e32 v20, v20
	v_bfe_u32 v49, v21, 3, 4
	v_min_u32_e32 v20, 32, v20
	v_subrev_u32_e32 v50, 28, v20
	v_sub_u32_e32 v20, 29, v20
	v_cmp_eq_u32_e64 s[0:1], 0, v49
	s_nop 1
	v_cndmask_b32_e64 v20, v49, v20, s[0:1]
	v_cndmask_b32_e64 v49, 0, v50, s[0:1]
	v_lshlrev_b64 v[50:51], v49, v[10:11]
	v_lshlrev_b32_e32 v49, 7, v50
	v_lshlrev_b32_e32 v50, 8, v21
	v_lshl_add_u32 v20, v20, 10, v30
	v_and_or_b32 v20, v50, s26, v20
	v_and_or_b32 v20, v49, s27, v20
	v_cvt_f32_f16_e32 v20, v20
.LBB287_528:                            ;   in Loop: Header=BB287_371 Depth=1
	s_or_b64 exec, exec, s[12:13]
	v_lshrrev_b16_e32 v10, 8, v10
	v_cmp_lt_i16_e64 s[0:1], s24, v10
	s_mov_b64 s[12:13], 0
                                        ; implicit-def: $sgpr38
	s_and_saveexec_b64 s[14:15], s[0:1]
	s_xor_b64 s[14:15], exec, s[14:15]
	s_cbranch_execnz .LBB287_690
; %bb.529:                              ;   in Loop: Header=BB287_371 Depth=1
	s_or_saveexec_b64 s[14:15], s[14:15]
	v_mov_b32_e32 v49, s38
	s_xor_b64 exec, exec, s[14:15]
	s_cbranch_execnz .LBB287_693
.LBB287_530:                            ;   in Loop: Header=BB287_371 Depth=1
	s_or_b64 exec, exec, s[14:15]
	s_and_saveexec_b64 s[14:15], s[12:13]
	s_cbranch_execz .LBB287_532
.LBB287_531:                            ;   in Loop: Header=BB287_371 Depth=1
	v_and_b32_e32 v49, 7, v10
	v_ffbh_u32_e32 v50, v49
	v_min_u32_e32 v53, 32, v50
	v_subrev_u32_e32 v50, 28, v53
	v_bfe_u32 v52, v10, 3, 4
	v_lshlrev_b64 v[50:51], v50, v[10:11]
	v_sub_u32_e32 v51, 29, v53
	v_cmp_eq_u32_e64 s[0:1], 0, v52
	v_and_b32_e32 v50, 7, v50
	v_lshlrev_b32_e32 v10, 8, v10
	v_cndmask_b32_e64 v51, v52, v51, s[0:1]
	v_cndmask_b32_e64 v49, v49, v50, s[0:1]
	v_lshl_add_u32 v50, v51, 10, v30
	v_and_or_b32 v10, v10, s26, v50
	v_lshl_or_b32 v10, v49, 7, v10
	v_cvt_f32_f16_e32 v49, v10
.LBB287_532:                            ;   in Loop: Header=BB287_371 Depth=1
	s_or_b64 exec, exec, s[14:15]
	v_lshrrev_b32_e32 v10, 16, v21
	v_cmp_gt_i16_sdwa s[12:13], v10, s24 src0_sel:BYTE_0 src1_sel:DWORD
	s_mov_b64 s[0:1], 0
                                        ; implicit-def: $sgpr16
	s_and_saveexec_b64 s[14:15], s[12:13]
	s_xor_b64 s[12:13], exec, s[14:15]
	s_cbranch_execnz .LBB287_694
; %bb.533:                              ;   in Loop: Header=BB287_371 Depth=1
	s_or_saveexec_b64 s[12:13], s[12:13]
	v_mov_b32_e32 v50, s16
	s_xor_b64 exec, exec, s[12:13]
	s_cbranch_execnz .LBB287_697
.LBB287_534:                            ;   in Loop: Header=BB287_371 Depth=1
	s_or_b64 exec, exec, s[12:13]
	s_and_saveexec_b64 s[12:13], s[0:1]
	s_cbranch_execz .LBB287_536
.LBB287_535:                            ;   in Loop: Header=BB287_371 Depth=1
	v_bfe_u32 v52, v21, 16, 3
	v_ffbh_u32_e32 v50, v52
	v_min_u32_e32 v54, 32, v50
	v_subrev_u32_e32 v50, 28, v54
	v_bfe_u32 v53, v21, 19, 4
	v_lshlrev_b64 v[50:51], v50, v[10:11]
	v_sub_u32_e32 v51, 29, v54
	v_cmp_eq_u32_e64 s[0:1], 0, v53
	v_and_b32_e32 v50, 7, v50
	v_lshlrev_b32_e32 v10, 8, v10
	v_cndmask_b32_e64 v51, v53, v51, s[0:1]
	v_lshl_add_u32 v51, v51, 10, v30
	v_cndmask_b32_e64 v50, v52, v50, s[0:1]
	v_and_or_b32 v10, v10, s26, v51
	v_lshl_or_b32 v10, v50, 7, v10
	v_cvt_f32_f16_e32 v50, v10
.LBB287_536:                            ;   in Loop: Header=BB287_371 Depth=1
	s_or_b64 exec, exec, s[12:13]
	v_lshrrev_b32_e32 v10, 24, v21
	v_cmp_lt_i16_e64 s[0:1], s24, v10
	s_mov_b64 s[12:13], 0
                                        ; implicit-def: $sgpr38
	s_and_saveexec_b64 s[14:15], s[0:1]
	s_xor_b64 s[14:15], exec, s[14:15]
	s_cbranch_execnz .LBB287_698
; %bb.537:                              ;   in Loop: Header=BB287_371 Depth=1
	s_or_saveexec_b64 s[14:15], s[14:15]
	v_mov_b32_e32 v51, s38
	s_xor_b64 exec, exec, s[14:15]
	s_cbranch_execnz .LBB287_701
.LBB287_538:                            ;   in Loop: Header=BB287_371 Depth=1
	s_or_b64 exec, exec, s[14:15]
	s_and_saveexec_b64 s[14:15], s[12:13]
	s_cbranch_execz .LBB287_540
.LBB287_539:                            ;   in Loop: Header=BB287_371 Depth=1
	v_bfe_u32 v51, v21, 24, 3
	v_ffbh_u32_e32 v52, v51
	v_min_u32_e32 v54, 32, v52
	v_subrev_u32_e32 v52, 28, v54
	v_bfe_u32 v21, v21, 27, 4
	v_lshlrev_b64 v[52:53], v52, v[10:11]
	v_sub_u32_e32 v53, 29, v54
	v_cmp_eq_u32_e64 s[0:1], 0, v21
	v_and_b32_e32 v52, 7, v52
	v_lshlrev_b32_e32 v10, 8, v10
	v_cndmask_b32_e64 v21, v21, v53, s[0:1]
	v_lshl_add_u32 v21, v21, 10, v30
	v_cndmask_b32_e64 v51, v51, v52, s[0:1]
	v_and_or_b32 v10, v10, s26, v21
	v_lshl_or_b32 v10, v51, 7, v10
	v_cvt_f32_f16_e32 v51, v10
.LBB287_540:                            ;   in Loop: Header=BB287_371 Depth=1
	s_or_b64 exec, exec, s[14:15]
	s_waitcnt vmcnt(0)
	v_pk_mul_f32 v[22:23], v[18:19], v[22:23] op_sel_hi:[0,1]
	v_pk_mul_f32 v[16:17], v[18:19], v[16:17] op_sel_hi:[0,1]
	v_cvt_f16_f32_e32 v10, v23
	v_cvt_f16_f32_e32 v21, v22
	;; [unrolled: 1-line block ×4, first 2 shown]
	v_fma_mixlo_f16 v20, v18, v20, 0
	v_pack_b32_f16 v21, v21, v10
	v_pack_b32_f16 v16, v16, v17
	v_perm_b32 v10, v16, v21, s34
	v_perm_b32 v17, v16, v21, s36
	v_fma_mixlo_f16 v16, v18, v49, 0
	v_lshlrev_b32_e32 v16, 16, v16
	v_or_b32_sdwa v16, v16, v20 dst_sel:DWORD dst_unused:UNUSED_PAD src0_sel:DWORD src1_sel:WORD_0
	v_fma_mixlo_f16 v20, v18, v50, 0
	v_fma_mixlo_f16 v18, v18, v51, 0
	v_lshlrev_b32_e32 v18, 16, v18
	v_or_b32_sdwa v18, v18, v20 dst_sel:DWORD dst_unused:UNUSED_PAD src0_sel:DWORD src1_sel:WORD_0
	s_and_saveexec_b64 s[0:1], vcc
	s_cbranch_execz .LBB287_369
; %bb.541:                              ;   in Loop: Header=BB287_371 Depth=1
	v_lshrrev_b32_e32 v21, 16, v17
	v_cmp_gt_i32_e32 vcc, s22, v38
	v_lshrrev_b32_e32 v18, 16, v18
	s_nop 0
	v_cndmask_b32_e32 v21, 0, v21, vcc
	v_cmp_gt_i32_e32 vcc, s33, v33
	s_nop 1
	v_cndmask_b32_e32 v17, 0, v17, vcc
	v_perm_b32 v17, v21, v17, s37
	v_lshrrev_b32_e32 v21, 16, v10
	v_cmp_gt_i32_e32 vcc, s22, v37
	s_nop 1
	v_cndmask_b32_e32 v21, 0, v21, vcc
	v_cmp_gt_i32_e32 vcc, s33, v36
	s_nop 1
	v_cndmask_b32_e32 v10, 0, v10, vcc
	v_perm_b32 v10, v21, v10, s37
	v_lshrrev_b32_e32 v21, 16, v16
	v_cmp_gt_i32_e32 vcc, s22, v35
	s_nop 1
	v_cndmask_b32_e32 v21, 0, v21, vcc
	v_cmp_gt_i32_e32 vcc, s33, v34
	s_nop 1
	v_cndmask_b32_e32 v16, 0, v16, vcc
	v_cmp_gt_i32_e32 vcc, s22, v32
	v_perm_b32 v16, v21, v16, s37
	s_nop 0
	v_cndmask_b32_e32 v18, 0, v18, vcc
	v_cmp_gt_i32_e32 vcc, s33, v31
	s_nop 1
	v_cndmask_b32_e32 v20, 0, v20, vcc
	v_perm_b32 v18, v18, v20, s37
	s_branch .LBB287_369
.LBB287_542:                            ;   in Loop: Header=BB287_371 Depth=1
	v_cmp_eq_u16_sdwa s[38:39], v20, s25 src0_sel:BYTE_0 src1_sel:DWORD
	s_mov_b64 s[0:1], -1
                                        ; implicit-def: $sgpr16
	s_and_saveexec_b64 s[14:15], s[38:39]
; %bb.543:                              ;   in Loop: Header=BB287_371 Depth=1
	s_mov_b32 s16, 0x7fc02000
	s_xor_b64 s[0:1], exec, -1
; %bb.544:                              ;   in Loop: Header=BB287_371 Depth=1
	s_or_b64 exec, exec, s[14:15]
	s_and_b64 s[0:1], s[0:1], exec
	s_or_saveexec_b64 s[12:13], s[12:13]
	v_mov_b32_e32 v22, s16
	s_xor_b64 exec, exec, s[12:13]
	s_cbranch_execz .LBB287_374
.LBB287_545:                            ;   in Loop: Header=BB287_371 Depth=1
	v_cmp_ne_u16_sdwa s[14:15], v20, v11 src0_sel:BYTE_0 src1_sel:DWORD
	s_andn2_b64 s[0:1], s[0:1], exec
	s_and_b64 s[14:15], s[14:15], exec
	v_mov_b32_e32 v22, 0
	s_or_b64 s[0:1], s[0:1], s[14:15]
	s_or_b64 exec, exec, s[12:13]
	s_and_saveexec_b64 s[12:13], s[0:1]
	s_cbranch_execnz .LBB287_375
	s_branch .LBB287_376
.LBB287_546:                            ;   in Loop: Header=BB287_371 Depth=1
	v_cmp_eq_u16_e32 vcc, s25, v10
	s_mov_b64 s[0:1], -1
                                        ; implicit-def: $sgpr16
	s_and_saveexec_b64 s[14:15], vcc
; %bb.547:                              ;   in Loop: Header=BB287_371 Depth=1
	s_mov_b32 s16, 0x7fc02000
	s_xor_b64 s[0:1], exec, -1
; %bb.548:                              ;   in Loop: Header=BB287_371 Depth=1
	s_or_b64 exec, exec, s[14:15]
	s_and_b64 s[0:1], s[0:1], exec
	s_or_saveexec_b64 s[12:13], s[12:13]
	v_mov_b32_e32 v24, s16
	s_xor_b64 exec, exec, s[12:13]
	s_cbranch_execz .LBB287_378
.LBB287_549:                            ;   in Loop: Header=BB287_371 Depth=1
	v_cmp_ne_u16_e32 vcc, 0, v10
	s_andn2_b64 s[0:1], s[0:1], exec
	s_and_b64 s[14:15], vcc, exec
	v_mov_b32_e32 v24, 0
	s_or_b64 s[0:1], s[0:1], s[14:15]
	s_or_b64 exec, exec, s[12:13]
	s_and_saveexec_b64 s[12:13], s[0:1]
	s_cbranch_execnz .LBB287_379
	s_branch .LBB287_380
.LBB287_550:                            ;   in Loop: Header=BB287_371 Depth=1
	v_cmp_eq_u16_sdwa s[38:39], v10, s25 src0_sel:BYTE_0 src1_sel:DWORD
	s_mov_b64 s[0:1], -1
                                        ; implicit-def: $sgpr16
	s_and_saveexec_b64 s[14:15], s[38:39]
; %bb.551:                              ;   in Loop: Header=BB287_371 Depth=1
	s_mov_b32 s16, 0x7fc02000
	s_xor_b64 s[0:1], exec, -1
; %bb.552:                              ;   in Loop: Header=BB287_371 Depth=1
	s_or_b64 exec, exec, s[14:15]
	s_and_b64 s[0:1], s[0:1], exec
	s_or_saveexec_b64 s[12:13], s[12:13]
	v_mov_b32_e32 v23, s16
	s_xor_b64 exec, exec, s[12:13]
	s_cbranch_execz .LBB287_382
.LBB287_553:                            ;   in Loop: Header=BB287_371 Depth=1
	v_cmp_ne_u16_sdwa s[14:15], v10, v11 src0_sel:BYTE_0 src1_sel:DWORD
	s_andn2_b64 s[0:1], s[0:1], exec
	s_and_b64 s[14:15], s[14:15], exec
	v_mov_b32_e32 v23, 0
	s_or_b64 s[0:1], s[0:1], s[14:15]
	s_or_b64 exec, exec, s[12:13]
	s_and_saveexec_b64 s[12:13], s[0:1]
	s_cbranch_execnz .LBB287_383
	s_branch .LBB287_384
.LBB287_554:                            ;   in Loop: Header=BB287_371 Depth=1
	v_cmp_eq_u16_e32 vcc, s25, v10
	s_mov_b64 s[0:1], -1
                                        ; implicit-def: $sgpr16
	s_and_saveexec_b64 s[14:15], vcc
; %bb.555:                              ;   in Loop: Header=BB287_371 Depth=1
	s_mov_b32 s16, 0x7fc02000
	s_xor_b64 s[0:1], exec, -1
; %bb.556:                              ;   in Loop: Header=BB287_371 Depth=1
	s_or_b64 exec, exec, s[14:15]
	s_and_b64 s[0:1], s[0:1], exec
	s_or_saveexec_b64 s[12:13], s[12:13]
	v_mov_b32_e32 v25, s16
	s_xor_b64 exec, exec, s[12:13]
	s_cbranch_execz .LBB287_386
.LBB287_557:                            ;   in Loop: Header=BB287_371 Depth=1
	v_cmp_ne_u16_e32 vcc, 0, v10
	s_andn2_b64 s[0:1], s[0:1], exec
	s_and_b64 s[14:15], vcc, exec
	v_mov_b32_e32 v25, 0
	s_or_b64 s[0:1], s[0:1], s[14:15]
	s_or_b64 exec, exec, s[12:13]
	s_and_saveexec_b64 s[12:13], s[0:1]
	s_cbranch_execnz .LBB287_387
	s_branch .LBB287_388
.LBB287_558:                            ;   in Loop: Header=BB287_371 Depth=1
	v_cmp_eq_u16_sdwa s[38:39], v21, s25 src0_sel:BYTE_0 src1_sel:DWORD
	s_mov_b64 s[0:1], -1
                                        ; implicit-def: $sgpr16
	s_and_saveexec_b64 s[14:15], s[38:39]
; %bb.559:                              ;   in Loop: Header=BB287_371 Depth=1
	s_mov_b32 s16, 0x7fc02000
	s_xor_b64 s[0:1], exec, -1
; %bb.560:                              ;   in Loop: Header=BB287_371 Depth=1
	s_or_b64 exec, exec, s[14:15]
	s_and_b64 s[0:1], s[0:1], exec
	s_or_saveexec_b64 s[12:13], s[12:13]
	v_mov_b32_e32 v20, s16
	s_xor_b64 exec, exec, s[12:13]
	s_cbranch_execz .LBB287_390
.LBB287_561:                            ;   in Loop: Header=BB287_371 Depth=1
	v_cmp_ne_u16_sdwa s[14:15], v21, v11 src0_sel:BYTE_0 src1_sel:DWORD
	s_andn2_b64 s[0:1], s[0:1], exec
	s_and_b64 s[14:15], s[14:15], exec
	v_mov_b32_e32 v20, 0
	s_or_b64 s[0:1], s[0:1], s[14:15]
	s_or_b64 exec, exec, s[12:13]
	v_mov_b32_e32 v10, v21
	s_and_saveexec_b64 s[12:13], s[0:1]
	s_cbranch_execnz .LBB287_391
	s_branch .LBB287_392
.LBB287_562:                            ;   in Loop: Header=BB287_371 Depth=1
	v_cmp_eq_u16_e32 vcc, s25, v10
	s_mov_b64 s[0:1], -1
                                        ; implicit-def: $sgpr16
	s_and_saveexec_b64 s[14:15], vcc
; %bb.563:                              ;   in Loop: Header=BB287_371 Depth=1
	s_mov_b32 s16, 0x7fc02000
	s_xor_b64 s[0:1], exec, -1
; %bb.564:                              ;   in Loop: Header=BB287_371 Depth=1
	s_or_b64 exec, exec, s[14:15]
	s_and_b64 s[0:1], s[0:1], exec
	s_or_saveexec_b64 s[12:13], s[12:13]
	v_mov_b32_e32 v31, s16
	s_xor_b64 exec, exec, s[12:13]
	s_cbranch_execz .LBB287_394
.LBB287_565:                            ;   in Loop: Header=BB287_371 Depth=1
	v_cmp_ne_u16_e32 vcc, 0, v10
	s_andn2_b64 s[0:1], s[0:1], exec
	s_and_b64 s[14:15], vcc, exec
	v_mov_b32_e32 v31, 0
	s_or_b64 s[0:1], s[0:1], s[14:15]
	s_or_b64 exec, exec, s[12:13]
	s_and_saveexec_b64 s[12:13], s[0:1]
	s_cbranch_execnz .LBB287_395
	s_branch .LBB287_396
.LBB287_566:                            ;   in Loop: Header=BB287_371 Depth=1
	v_cmp_eq_u16_sdwa s[38:39], v10, s25 src0_sel:BYTE_0 src1_sel:DWORD
	s_mov_b64 s[0:1], -1
                                        ; implicit-def: $sgpr16
	s_and_saveexec_b64 s[14:15], s[38:39]
; %bb.567:                              ;   in Loop: Header=BB287_371 Depth=1
	s_mov_b32 s16, 0x7fc02000
	s_xor_b64 s[0:1], exec, -1
; %bb.568:                              ;   in Loop: Header=BB287_371 Depth=1
	s_or_b64 exec, exec, s[14:15]
	s_and_b64 s[0:1], s[0:1], exec
	s_or_saveexec_b64 s[12:13], s[12:13]
	v_mov_b32_e32 v32, s16
	s_xor_b64 exec, exec, s[12:13]
	s_cbranch_execz .LBB287_398
.LBB287_569:                            ;   in Loop: Header=BB287_371 Depth=1
	v_cmp_ne_u16_sdwa s[14:15], v10, v11 src0_sel:BYTE_0 src1_sel:DWORD
	s_andn2_b64 s[0:1], s[0:1], exec
	s_and_b64 s[14:15], s[14:15], exec
	v_mov_b32_e32 v32, 0
	s_or_b64 s[0:1], s[0:1], s[14:15]
	s_or_b64 exec, exec, s[12:13]
	s_and_saveexec_b64 s[12:13], s[0:1]
	s_cbranch_execnz .LBB287_399
	s_branch .LBB287_400
.LBB287_570:                            ;   in Loop: Header=BB287_371 Depth=1
	v_cmp_eq_u16_e32 vcc, s25, v10
	s_mov_b64 s[0:1], -1
                                        ; implicit-def: $sgpr16
	s_and_saveexec_b64 s[14:15], vcc
; %bb.571:                              ;   in Loop: Header=BB287_371 Depth=1
	s_mov_b32 s16, 0x7fc02000
	s_xor_b64 s[0:1], exec, -1
; %bb.572:                              ;   in Loop: Header=BB287_371 Depth=1
	s_or_b64 exec, exec, s[14:15]
	s_and_b64 s[0:1], s[0:1], exec
	s_or_saveexec_b64 s[12:13], s[12:13]
	v_mov_b32_e32 v34, s16
	s_xor_b64 exec, exec, s[12:13]
	s_cbranch_execz .LBB287_402
.LBB287_573:                            ;   in Loop: Header=BB287_371 Depth=1
	v_cmp_ne_u16_e32 vcc, 0, v10
	s_andn2_b64 s[0:1], s[0:1], exec
	s_and_b64 s[14:15], vcc, exec
	v_mov_b32_e32 v34, 0
	s_or_b64 s[0:1], s[0:1], s[14:15]
	s_or_b64 exec, exec, s[12:13]
	s_and_saveexec_b64 s[12:13], s[0:1]
	s_cbranch_execnz .LBB287_403
	s_branch .LBB287_404
.LBB287_574:                            ;   in Loop: Header=BB287_371 Depth=1
	v_cmp_eq_u16_sdwa s[38:39], v20, s25 src0_sel:BYTE_0 src1_sel:DWORD
	s_mov_b64 s[0:1], -1
                                        ; implicit-def: $sgpr16
	s_and_saveexec_b64 s[14:15], s[38:39]
; %bb.575:                              ;   in Loop: Header=BB287_371 Depth=1
	s_mov_b32 s16, 0x7fc02000
	s_xor_b64 s[0:1], exec, -1
; %bb.576:                              ;   in Loop: Header=BB287_371 Depth=1
	s_or_b64 exec, exec, s[14:15]
	s_and_b64 s[0:1], s[0:1], exec
	s_or_saveexec_b64 s[12:13], s[12:13]
	v_mov_b32_e32 v22, s16
	s_xor_b64 exec, exec, s[12:13]
	s_cbranch_execz .LBB287_408
.LBB287_577:                            ;   in Loop: Header=BB287_371 Depth=1
	v_cmp_ne_u16_sdwa s[14:15], v20, v11 src0_sel:BYTE_0 src1_sel:DWORD
	s_andn2_b64 s[0:1], s[0:1], exec
	s_and_b64 s[14:15], s[14:15], exec
	v_mov_b32_e32 v22, 0
	s_or_b64 s[0:1], s[0:1], s[14:15]
	s_or_b64 exec, exec, s[12:13]
	s_and_saveexec_b64 s[12:13], s[0:1]
	s_cbranch_execnz .LBB287_409
	s_branch .LBB287_410
.LBB287_578:                            ;   in Loop: Header=BB287_371 Depth=1
	v_cmp_eq_u16_e64 s[0:1], s25, v10
	s_mov_b64 s[12:13], -1
                                        ; implicit-def: $sgpr38
	s_and_saveexec_b64 s[16:17], s[0:1]
; %bb.579:                              ;   in Loop: Header=BB287_371 Depth=1
	s_mov_b32 s38, 0x7fc02000
	s_xor_b64 s[12:13], exec, -1
; %bb.580:                              ;   in Loop: Header=BB287_371 Depth=1
	s_or_b64 exec, exec, s[16:17]
	s_and_b64 s[12:13], s[12:13], exec
	s_or_saveexec_b64 s[14:15], s[14:15]
	v_mov_b32_e32 v24, s38
	s_xor_b64 exec, exec, s[14:15]
	s_cbranch_execz .LBB287_412
.LBB287_581:                            ;   in Loop: Header=BB287_371 Depth=1
	v_cmp_ne_u16_e64 s[0:1], 0, v10
	s_andn2_b64 s[12:13], s[12:13], exec
	s_and_b64 s[0:1], s[0:1], exec
	v_mov_b32_e32 v24, 0
	s_or_b64 s[12:13], s[12:13], s[0:1]
	s_or_b64 exec, exec, s[14:15]
	s_and_saveexec_b64 s[14:15], s[12:13]
	s_cbranch_execnz .LBB287_413
	s_branch .LBB287_414
.LBB287_582:                            ;   in Loop: Header=BB287_371 Depth=1
	v_cmp_eq_u16_sdwa s[38:39], v10, s25 src0_sel:BYTE_0 src1_sel:DWORD
	s_mov_b64 s[0:1], -1
                                        ; implicit-def: $sgpr16
	s_and_saveexec_b64 s[14:15], s[38:39]
; %bb.583:                              ;   in Loop: Header=BB287_371 Depth=1
	s_mov_b32 s16, 0x7fc02000
	s_xor_b64 s[0:1], exec, -1
; %bb.584:                              ;   in Loop: Header=BB287_371 Depth=1
	s_or_b64 exec, exec, s[14:15]
	s_and_b64 s[0:1], s[0:1], exec
	s_or_saveexec_b64 s[12:13], s[12:13]
	v_mov_b32_e32 v23, s16
	s_xor_b64 exec, exec, s[12:13]
	s_cbranch_execz .LBB287_416
.LBB287_585:                            ;   in Loop: Header=BB287_371 Depth=1
	v_cmp_ne_u16_sdwa s[14:15], v10, v11 src0_sel:BYTE_0 src1_sel:DWORD
	s_andn2_b64 s[0:1], s[0:1], exec
	s_and_b64 s[14:15], s[14:15], exec
	v_mov_b32_e32 v23, 0
	s_or_b64 s[0:1], s[0:1], s[14:15]
	s_or_b64 exec, exec, s[12:13]
	s_and_saveexec_b64 s[12:13], s[0:1]
	s_cbranch_execnz .LBB287_417
	s_branch .LBB287_418
.LBB287_586:                            ;   in Loop: Header=BB287_371 Depth=1
	v_cmp_eq_u16_e64 s[0:1], s25, v10
	s_mov_b64 s[12:13], -1
                                        ; implicit-def: $sgpr38
	s_and_saveexec_b64 s[16:17], s[0:1]
; %bb.587:                              ;   in Loop: Header=BB287_371 Depth=1
	s_mov_b32 s38, 0x7fc02000
	s_xor_b64 s[12:13], exec, -1
; %bb.588:                              ;   in Loop: Header=BB287_371 Depth=1
	s_or_b64 exec, exec, s[16:17]
	s_and_b64 s[12:13], s[12:13], exec
	s_or_saveexec_b64 s[14:15], s[14:15]
	v_mov_b32_e32 v25, s38
	s_xor_b64 exec, exec, s[14:15]
	s_cbranch_execz .LBB287_420
.LBB287_589:                            ;   in Loop: Header=BB287_371 Depth=1
	v_cmp_ne_u16_e64 s[0:1], 0, v10
	s_andn2_b64 s[12:13], s[12:13], exec
	s_and_b64 s[0:1], s[0:1], exec
	v_mov_b32_e32 v25, 0
	s_or_b64 s[12:13], s[12:13], s[0:1]
	s_or_b64 exec, exec, s[14:15]
	s_and_saveexec_b64 s[14:15], s[12:13]
	s_cbranch_execnz .LBB287_421
	s_branch .LBB287_422
.LBB287_590:                            ;   in Loop: Header=BB287_371 Depth=1
	v_cmp_eq_u16_sdwa s[38:39], v21, s25 src0_sel:BYTE_0 src1_sel:DWORD
	s_mov_b64 s[0:1], -1
                                        ; implicit-def: $sgpr16
	s_and_saveexec_b64 s[14:15], s[38:39]
; %bb.591:                              ;   in Loop: Header=BB287_371 Depth=1
	s_mov_b32 s16, 0x7fc02000
	s_xor_b64 s[0:1], exec, -1
; %bb.592:                              ;   in Loop: Header=BB287_371 Depth=1
	s_or_b64 exec, exec, s[14:15]
	s_and_b64 s[0:1], s[0:1], exec
	s_or_saveexec_b64 s[12:13], s[12:13]
	v_mov_b32_e32 v20, s16
	s_xor_b64 exec, exec, s[12:13]
	s_cbranch_execz .LBB287_424
.LBB287_593:                            ;   in Loop: Header=BB287_371 Depth=1
	v_cmp_ne_u16_sdwa s[14:15], v21, v11 src0_sel:BYTE_0 src1_sel:DWORD
	s_andn2_b64 s[0:1], s[0:1], exec
	s_and_b64 s[14:15], s[14:15], exec
	v_mov_b32_e32 v20, 0
	s_or_b64 s[0:1], s[0:1], s[14:15]
	s_or_b64 exec, exec, s[12:13]
	v_mov_b32_e32 v10, v21
	s_and_saveexec_b64 s[12:13], s[0:1]
	s_cbranch_execnz .LBB287_425
	s_branch .LBB287_426
.LBB287_594:                            ;   in Loop: Header=BB287_371 Depth=1
	v_cmp_eq_u16_e64 s[0:1], s25, v10
	s_mov_b64 s[12:13], -1
                                        ; implicit-def: $sgpr38
	s_and_saveexec_b64 s[16:17], s[0:1]
; %bb.595:                              ;   in Loop: Header=BB287_371 Depth=1
	s_mov_b32 s38, 0x7fc02000
	s_xor_b64 s[12:13], exec, -1
; %bb.596:                              ;   in Loop: Header=BB287_371 Depth=1
	s_or_b64 exec, exec, s[16:17]
	s_and_b64 s[12:13], s[12:13], exec
	s_or_saveexec_b64 s[14:15], s[14:15]
	v_mov_b32_e32 v45, s38
	s_xor_b64 exec, exec, s[14:15]
	s_cbranch_execz .LBB287_428
.LBB287_597:                            ;   in Loop: Header=BB287_371 Depth=1
	v_cmp_ne_u16_e64 s[0:1], 0, v10
	s_andn2_b64 s[12:13], s[12:13], exec
	s_and_b64 s[0:1], s[0:1], exec
	v_mov_b32_e32 v45, 0
	s_or_b64 s[12:13], s[12:13], s[0:1]
	s_or_b64 exec, exec, s[14:15]
	s_and_saveexec_b64 s[14:15], s[12:13]
	s_cbranch_execnz .LBB287_429
	s_branch .LBB287_430
.LBB287_598:                            ;   in Loop: Header=BB287_371 Depth=1
	v_cmp_eq_u16_sdwa s[38:39], v10, s25 src0_sel:BYTE_0 src1_sel:DWORD
	s_mov_b64 s[0:1], -1
                                        ; implicit-def: $sgpr16
	s_and_saveexec_b64 s[14:15], s[38:39]
; %bb.599:                              ;   in Loop: Header=BB287_371 Depth=1
	s_mov_b32 s16, 0x7fc02000
	s_xor_b64 s[0:1], exec, -1
; %bb.600:                              ;   in Loop: Header=BB287_371 Depth=1
	s_or_b64 exec, exec, s[14:15]
	s_and_b64 s[0:1], s[0:1], exec
	s_or_saveexec_b64 s[12:13], s[12:13]
	v_mov_b32_e32 v46, s16
	s_xor_b64 exec, exec, s[12:13]
	s_cbranch_execz .LBB287_432
.LBB287_601:                            ;   in Loop: Header=BB287_371 Depth=1
	v_cmp_ne_u16_sdwa s[14:15], v10, v11 src0_sel:BYTE_0 src1_sel:DWORD
	s_andn2_b64 s[0:1], s[0:1], exec
	s_and_b64 s[14:15], s[14:15], exec
	v_mov_b32_e32 v46, 0
	s_or_b64 s[0:1], s[0:1], s[14:15]
	s_or_b64 exec, exec, s[12:13]
	s_and_saveexec_b64 s[12:13], s[0:1]
	s_cbranch_execnz .LBB287_433
	s_branch .LBB287_434
.LBB287_602:                            ;   in Loop: Header=BB287_371 Depth=1
	v_cmp_eq_u16_e64 s[0:1], s25, v10
	s_mov_b64 s[12:13], -1
                                        ; implicit-def: $sgpr38
	s_and_saveexec_b64 s[16:17], s[0:1]
; %bb.603:                              ;   in Loop: Header=BB287_371 Depth=1
	s_mov_b32 s38, 0x7fc02000
	s_xor_b64 s[12:13], exec, -1
; %bb.604:                              ;   in Loop: Header=BB287_371 Depth=1
	s_or_b64 exec, exec, s[16:17]
	s_and_b64 s[12:13], s[12:13], exec
	s_or_saveexec_b64 s[14:15], s[14:15]
	v_mov_b32_e32 v47, s38
	s_xor_b64 exec, exec, s[14:15]
	s_cbranch_execz .LBB287_436
.LBB287_605:                            ;   in Loop: Header=BB287_371 Depth=1
	v_cmp_ne_u16_e64 s[0:1], 0, v10
	s_andn2_b64 s[12:13], s[12:13], exec
	s_and_b64 s[0:1], s[0:1], exec
	v_mov_b32_e32 v47, 0
	s_or_b64 s[12:13], s[12:13], s[0:1]
	s_or_b64 exec, exec, s[14:15]
	s_and_saveexec_b64 s[14:15], s[12:13]
	s_cbranch_execnz .LBB287_437
	s_branch .LBB287_438
.LBB287_606:                            ;   in Loop: Header=BB287_371 Depth=1
	v_cmp_eq_u16_sdwa s[38:39], v20, s25 src0_sel:BYTE_0 src1_sel:DWORD
	s_mov_b64 s[0:1], -1
                                        ; implicit-def: $sgpr16
	s_and_saveexec_b64 s[14:15], s[38:39]
; %bb.607:                              ;   in Loop: Header=BB287_371 Depth=1
	s_mov_b32 s16, 0x7fc02000
	s_xor_b64 s[0:1], exec, -1
; %bb.608:                              ;   in Loop: Header=BB287_371 Depth=1
	s_or_b64 exec, exec, s[14:15]
	s_and_b64 s[0:1], s[0:1], exec
	s_or_saveexec_b64 s[12:13], s[12:13]
	v_mov_b32_e32 v22, s16
	s_xor_b64 exec, exec, s[12:13]
	s_cbranch_execz .LBB287_442
.LBB287_609:                            ;   in Loop: Header=BB287_371 Depth=1
	v_cmp_ne_u16_sdwa s[14:15], v20, v11 src0_sel:BYTE_0 src1_sel:DWORD
	s_andn2_b64 s[0:1], s[0:1], exec
	s_and_b64 s[14:15], s[14:15], exec
	v_mov_b32_e32 v22, 0
	s_or_b64 s[0:1], s[0:1], s[14:15]
	s_or_b64 exec, exec, s[12:13]
	s_and_saveexec_b64 s[12:13], s[0:1]
	s_cbranch_execnz .LBB287_443
	s_branch .LBB287_444
.LBB287_610:                            ;   in Loop: Header=BB287_371 Depth=1
	v_cmp_eq_u16_e64 s[0:1], s25, v10
	s_mov_b64 s[12:13], -1
                                        ; implicit-def: $sgpr38
	s_and_saveexec_b64 s[16:17], s[0:1]
; %bb.611:                              ;   in Loop: Header=BB287_371 Depth=1
	s_mov_b32 s38, 0x7fc02000
	s_xor_b64 s[12:13], exec, -1
; %bb.612:                              ;   in Loop: Header=BB287_371 Depth=1
	s_or_b64 exec, exec, s[16:17]
	s_and_b64 s[12:13], s[12:13], exec
	s_or_saveexec_b64 s[14:15], s[14:15]
	v_mov_b32_e32 v24, s38
	s_xor_b64 exec, exec, s[14:15]
	s_cbranch_execz .LBB287_446
.LBB287_613:                            ;   in Loop: Header=BB287_371 Depth=1
	v_cmp_ne_u16_e64 s[0:1], 0, v10
	s_andn2_b64 s[12:13], s[12:13], exec
	s_and_b64 s[0:1], s[0:1], exec
	v_mov_b32_e32 v24, 0
	s_or_b64 s[12:13], s[12:13], s[0:1]
	s_or_b64 exec, exec, s[14:15]
	s_and_saveexec_b64 s[14:15], s[12:13]
	s_cbranch_execnz .LBB287_447
	s_branch .LBB287_448
.LBB287_614:                            ;   in Loop: Header=BB287_371 Depth=1
	v_cmp_eq_u16_sdwa s[38:39], v10, s25 src0_sel:BYTE_0 src1_sel:DWORD
	s_mov_b64 s[0:1], -1
                                        ; implicit-def: $sgpr16
	s_and_saveexec_b64 s[14:15], s[38:39]
; %bb.615:                              ;   in Loop: Header=BB287_371 Depth=1
	s_mov_b32 s16, 0x7fc02000
	s_xor_b64 s[0:1], exec, -1
; %bb.616:                              ;   in Loop: Header=BB287_371 Depth=1
	s_or_b64 exec, exec, s[14:15]
	s_and_b64 s[0:1], s[0:1], exec
	s_or_saveexec_b64 s[12:13], s[12:13]
	v_mov_b32_e32 v23, s16
	s_xor_b64 exec, exec, s[12:13]
	s_cbranch_execz .LBB287_450
.LBB287_617:                            ;   in Loop: Header=BB287_371 Depth=1
	v_cmp_ne_u16_sdwa s[14:15], v10, v11 src0_sel:BYTE_0 src1_sel:DWORD
	s_andn2_b64 s[0:1], s[0:1], exec
	s_and_b64 s[14:15], s[14:15], exec
	v_mov_b32_e32 v23, 0
	s_or_b64 s[0:1], s[0:1], s[14:15]
	s_or_b64 exec, exec, s[12:13]
	s_and_saveexec_b64 s[12:13], s[0:1]
	s_cbranch_execnz .LBB287_451
	s_branch .LBB287_452
.LBB287_618:                            ;   in Loop: Header=BB287_371 Depth=1
	v_cmp_eq_u16_e64 s[0:1], s25, v10
	s_mov_b64 s[12:13], -1
                                        ; implicit-def: $sgpr38
	s_and_saveexec_b64 s[16:17], s[0:1]
; %bb.619:                              ;   in Loop: Header=BB287_371 Depth=1
	s_mov_b32 s38, 0x7fc02000
	s_xor_b64 s[12:13], exec, -1
; %bb.620:                              ;   in Loop: Header=BB287_371 Depth=1
	s_or_b64 exec, exec, s[16:17]
	s_and_b64 s[12:13], s[12:13], exec
	s_or_saveexec_b64 s[14:15], s[14:15]
	v_mov_b32_e32 v25, s38
	s_xor_b64 exec, exec, s[14:15]
	s_cbranch_execz .LBB287_454
.LBB287_621:                            ;   in Loop: Header=BB287_371 Depth=1
	v_cmp_ne_u16_e64 s[0:1], 0, v10
	s_andn2_b64 s[12:13], s[12:13], exec
	s_and_b64 s[0:1], s[0:1], exec
	v_mov_b32_e32 v25, 0
	s_or_b64 s[12:13], s[12:13], s[0:1]
	s_or_b64 exec, exec, s[14:15]
	s_and_saveexec_b64 s[14:15], s[12:13]
	s_cbranch_execnz .LBB287_455
	s_branch .LBB287_456
.LBB287_622:                            ;   in Loop: Header=BB287_371 Depth=1
	v_cmp_eq_u16_sdwa s[38:39], v21, s25 src0_sel:BYTE_0 src1_sel:DWORD
	s_mov_b64 s[0:1], -1
                                        ; implicit-def: $sgpr16
	s_and_saveexec_b64 s[14:15], s[38:39]
; %bb.623:                              ;   in Loop: Header=BB287_371 Depth=1
	s_mov_b32 s16, 0x7fc02000
	s_xor_b64 s[0:1], exec, -1
; %bb.624:                              ;   in Loop: Header=BB287_371 Depth=1
	s_or_b64 exec, exec, s[14:15]
	s_and_b64 s[0:1], s[0:1], exec
	s_or_saveexec_b64 s[12:13], s[12:13]
	v_mov_b32_e32 v20, s16
	s_xor_b64 exec, exec, s[12:13]
	s_cbranch_execz .LBB287_458
.LBB287_625:                            ;   in Loop: Header=BB287_371 Depth=1
	v_cmp_ne_u16_sdwa s[14:15], v21, v11 src0_sel:BYTE_0 src1_sel:DWORD
	s_andn2_b64 s[0:1], s[0:1], exec
	s_and_b64 s[14:15], s[14:15], exec
	v_mov_b32_e32 v20, 0
	s_or_b64 s[0:1], s[0:1], s[14:15]
	s_or_b64 exec, exec, s[12:13]
	v_mov_b32_e32 v10, v21
	s_and_saveexec_b64 s[12:13], s[0:1]
	s_cbranch_execnz .LBB287_459
	s_branch .LBB287_460
.LBB287_626:                            ;   in Loop: Header=BB287_371 Depth=1
	v_cmp_eq_u16_e64 s[0:1], s25, v10
	s_mov_b64 s[12:13], -1
                                        ; implicit-def: $sgpr38
	s_and_saveexec_b64 s[16:17], s[0:1]
; %bb.627:                              ;   in Loop: Header=BB287_371 Depth=1
	s_mov_b32 s38, 0x7fc02000
	s_xor_b64 s[12:13], exec, -1
; %bb.628:                              ;   in Loop: Header=BB287_371 Depth=1
	s_or_b64 exec, exec, s[16:17]
	s_and_b64 s[12:13], s[12:13], exec
	s_or_saveexec_b64 s[14:15], s[14:15]
	v_mov_b32_e32 v47, s38
	s_xor_b64 exec, exec, s[14:15]
	s_cbranch_execz .LBB287_462
.LBB287_629:                            ;   in Loop: Header=BB287_371 Depth=1
	v_cmp_ne_u16_e64 s[0:1], 0, v10
	s_andn2_b64 s[12:13], s[12:13], exec
	s_and_b64 s[0:1], s[0:1], exec
	v_mov_b32_e32 v47, 0
	s_or_b64 s[12:13], s[12:13], s[0:1]
	s_or_b64 exec, exec, s[14:15]
	s_and_saveexec_b64 s[14:15], s[12:13]
	s_cbranch_execnz .LBB287_463
	s_branch .LBB287_464
.LBB287_630:                            ;   in Loop: Header=BB287_371 Depth=1
	v_cmp_eq_u16_sdwa s[38:39], v10, s25 src0_sel:BYTE_0 src1_sel:DWORD
	s_mov_b64 s[0:1], -1
                                        ; implicit-def: $sgpr16
	s_and_saveexec_b64 s[14:15], s[38:39]
; %bb.631:                              ;   in Loop: Header=BB287_371 Depth=1
	s_mov_b32 s16, 0x7fc02000
	s_xor_b64 s[0:1], exec, -1
; %bb.632:                              ;   in Loop: Header=BB287_371 Depth=1
	s_or_b64 exec, exec, s[14:15]
	s_and_b64 s[0:1], s[0:1], exec
	s_or_saveexec_b64 s[12:13], s[12:13]
	v_mov_b32_e32 v48, s16
	s_xor_b64 exec, exec, s[12:13]
	s_cbranch_execz .LBB287_466
.LBB287_633:                            ;   in Loop: Header=BB287_371 Depth=1
	v_cmp_ne_u16_sdwa s[14:15], v10, v11 src0_sel:BYTE_0 src1_sel:DWORD
	s_andn2_b64 s[0:1], s[0:1], exec
	s_and_b64 s[14:15], s[14:15], exec
	v_mov_b32_e32 v48, 0
	s_or_b64 s[0:1], s[0:1], s[14:15]
	s_or_b64 exec, exec, s[12:13]
	s_and_saveexec_b64 s[12:13], s[0:1]
	s_cbranch_execnz .LBB287_467
	s_branch .LBB287_468
.LBB287_634:                            ;   in Loop: Header=BB287_371 Depth=1
	v_cmp_eq_u16_e64 s[0:1], s25, v10
	s_mov_b64 s[12:13], -1
                                        ; implicit-def: $sgpr38
	s_and_saveexec_b64 s[16:17], s[0:1]
; %bb.635:                              ;   in Loop: Header=BB287_371 Depth=1
	s_mov_b32 s38, 0x7fc02000
	s_xor_b64 s[12:13], exec, -1
; %bb.636:                              ;   in Loop: Header=BB287_371 Depth=1
	s_or_b64 exec, exec, s[16:17]
	s_and_b64 s[12:13], s[12:13], exec
	s_or_saveexec_b64 s[14:15], s[14:15]
	v_mov_b32_e32 v49, s38
	s_xor_b64 exec, exec, s[14:15]
	s_cbranch_execz .LBB287_470
.LBB287_637:                            ;   in Loop: Header=BB287_371 Depth=1
	v_cmp_ne_u16_e64 s[0:1], 0, v10
	s_andn2_b64 s[12:13], s[12:13], exec
	s_and_b64 s[0:1], s[0:1], exec
	v_mov_b32_e32 v49, 0
	s_or_b64 s[12:13], s[12:13], s[0:1]
	s_or_b64 exec, exec, s[14:15]
	s_and_saveexec_b64 s[14:15], s[12:13]
	s_cbranch_execnz .LBB287_471
	s_branch .LBB287_472
.LBB287_638:                            ;   in Loop: Header=BB287_371 Depth=1
	v_cmp_eq_u16_sdwa s[38:39], v20, s25 src0_sel:BYTE_0 src1_sel:DWORD
	s_mov_b64 s[0:1], -1
                                        ; implicit-def: $sgpr16
	s_and_saveexec_b64 s[14:15], s[38:39]
; %bb.639:                              ;   in Loop: Header=BB287_371 Depth=1
	s_mov_b32 s16, 0x7fc02000
	s_xor_b64 s[0:1], exec, -1
; %bb.640:                              ;   in Loop: Header=BB287_371 Depth=1
	s_or_b64 exec, exec, s[14:15]
	s_and_b64 s[0:1], s[0:1], exec
	s_or_saveexec_b64 s[12:13], s[12:13]
	v_mov_b32_e32 v22, s16
	s_xor_b64 exec, exec, s[12:13]
	s_cbranch_execz .LBB287_476
.LBB287_641:                            ;   in Loop: Header=BB287_371 Depth=1
	v_cmp_ne_u16_sdwa s[14:15], v20, v11 src0_sel:BYTE_0 src1_sel:DWORD
	s_andn2_b64 s[0:1], s[0:1], exec
	s_and_b64 s[14:15], s[14:15], exec
	v_mov_b32_e32 v22, 0
	s_or_b64 s[0:1], s[0:1], s[14:15]
	s_or_b64 exec, exec, s[12:13]
	s_and_saveexec_b64 s[12:13], s[0:1]
	s_cbranch_execnz .LBB287_477
	s_branch .LBB287_478
.LBB287_642:                            ;   in Loop: Header=BB287_371 Depth=1
	v_cmp_eq_u16_e64 s[0:1], s25, v10
	s_mov_b64 s[12:13], -1
                                        ; implicit-def: $sgpr38
	s_and_saveexec_b64 s[16:17], s[0:1]
; %bb.643:                              ;   in Loop: Header=BB287_371 Depth=1
	s_mov_b32 s38, 0x7fc02000
	s_xor_b64 s[12:13], exec, -1
; %bb.644:                              ;   in Loop: Header=BB287_371 Depth=1
	s_or_b64 exec, exec, s[16:17]
	s_and_b64 s[12:13], s[12:13], exec
	s_or_saveexec_b64 s[14:15], s[14:15]
	v_mov_b32_e32 v24, s38
	s_xor_b64 exec, exec, s[14:15]
	s_cbranch_execz .LBB287_480
.LBB287_645:                            ;   in Loop: Header=BB287_371 Depth=1
	v_cmp_ne_u16_e64 s[0:1], 0, v10
	s_andn2_b64 s[12:13], s[12:13], exec
	s_and_b64 s[0:1], s[0:1], exec
	v_mov_b32_e32 v24, 0
	s_or_b64 s[12:13], s[12:13], s[0:1]
	s_or_b64 exec, exec, s[14:15]
	s_and_saveexec_b64 s[14:15], s[12:13]
	s_cbranch_execnz .LBB287_481
	s_branch .LBB287_482
.LBB287_646:                            ;   in Loop: Header=BB287_371 Depth=1
	v_cmp_eq_u16_sdwa s[38:39], v10, s25 src0_sel:BYTE_0 src1_sel:DWORD
	s_mov_b64 s[0:1], -1
                                        ; implicit-def: $sgpr16
	s_and_saveexec_b64 s[14:15], s[38:39]
; %bb.647:                              ;   in Loop: Header=BB287_371 Depth=1
	s_mov_b32 s16, 0x7fc02000
	s_xor_b64 s[0:1], exec, -1
; %bb.648:                              ;   in Loop: Header=BB287_371 Depth=1
	s_or_b64 exec, exec, s[14:15]
	s_and_b64 s[0:1], s[0:1], exec
	s_or_saveexec_b64 s[12:13], s[12:13]
	v_mov_b32_e32 v23, s16
	s_xor_b64 exec, exec, s[12:13]
	s_cbranch_execz .LBB287_484
.LBB287_649:                            ;   in Loop: Header=BB287_371 Depth=1
	v_cmp_ne_u16_sdwa s[14:15], v10, v11 src0_sel:BYTE_0 src1_sel:DWORD
	s_andn2_b64 s[0:1], s[0:1], exec
	s_and_b64 s[14:15], s[14:15], exec
	v_mov_b32_e32 v23, 0
	s_or_b64 s[0:1], s[0:1], s[14:15]
	s_or_b64 exec, exec, s[12:13]
	s_and_saveexec_b64 s[12:13], s[0:1]
	s_cbranch_execnz .LBB287_485
	s_branch .LBB287_486
.LBB287_650:                            ;   in Loop: Header=BB287_371 Depth=1
	v_cmp_eq_u16_e64 s[0:1], s25, v10
	s_mov_b64 s[12:13], -1
                                        ; implicit-def: $sgpr38
	s_and_saveexec_b64 s[16:17], s[0:1]
; %bb.651:                              ;   in Loop: Header=BB287_371 Depth=1
	s_mov_b32 s38, 0x7fc02000
	s_xor_b64 s[12:13], exec, -1
; %bb.652:                              ;   in Loop: Header=BB287_371 Depth=1
	s_or_b64 exec, exec, s[16:17]
	s_and_b64 s[12:13], s[12:13], exec
	s_or_saveexec_b64 s[14:15], s[14:15]
	v_mov_b32_e32 v25, s38
	s_xor_b64 exec, exec, s[14:15]
	s_cbranch_execz .LBB287_488
.LBB287_653:                            ;   in Loop: Header=BB287_371 Depth=1
	v_cmp_ne_u16_e64 s[0:1], 0, v10
	s_andn2_b64 s[12:13], s[12:13], exec
	s_and_b64 s[0:1], s[0:1], exec
	v_mov_b32_e32 v25, 0
	s_or_b64 s[12:13], s[12:13], s[0:1]
	s_or_b64 exec, exec, s[14:15]
	s_and_saveexec_b64 s[14:15], s[12:13]
	s_cbranch_execnz .LBB287_489
	s_branch .LBB287_490
.LBB287_654:                            ;   in Loop: Header=BB287_371 Depth=1
	v_cmp_eq_u16_sdwa s[38:39], v21, s25 src0_sel:BYTE_0 src1_sel:DWORD
	s_mov_b64 s[0:1], -1
                                        ; implicit-def: $sgpr16
	s_and_saveexec_b64 s[14:15], s[38:39]
; %bb.655:                              ;   in Loop: Header=BB287_371 Depth=1
	s_mov_b32 s16, 0x7fc02000
	s_xor_b64 s[0:1], exec, -1
; %bb.656:                              ;   in Loop: Header=BB287_371 Depth=1
	s_or_b64 exec, exec, s[14:15]
	s_and_b64 s[0:1], s[0:1], exec
	s_or_saveexec_b64 s[12:13], s[12:13]
	v_mov_b32_e32 v20, s16
	s_xor_b64 exec, exec, s[12:13]
	s_cbranch_execz .LBB287_492
.LBB287_657:                            ;   in Loop: Header=BB287_371 Depth=1
	v_cmp_ne_u16_sdwa s[14:15], v21, v11 src0_sel:BYTE_0 src1_sel:DWORD
	s_andn2_b64 s[0:1], s[0:1], exec
	s_and_b64 s[14:15], s[14:15], exec
	v_mov_b32_e32 v20, 0
	s_or_b64 s[0:1], s[0:1], s[14:15]
	s_or_b64 exec, exec, s[12:13]
	v_mov_b32_e32 v10, v21
	s_and_saveexec_b64 s[12:13], s[0:1]
	s_cbranch_execnz .LBB287_493
	s_branch .LBB287_494
.LBB287_658:                            ;   in Loop: Header=BB287_371 Depth=1
	v_cmp_eq_u16_e64 s[0:1], s25, v10
	s_mov_b64 s[12:13], -1
                                        ; implicit-def: $sgpr38
	s_and_saveexec_b64 s[16:17], s[0:1]
; %bb.659:                              ;   in Loop: Header=BB287_371 Depth=1
	s_mov_b32 s38, 0x7fc02000
	s_xor_b64 s[12:13], exec, -1
; %bb.660:                              ;   in Loop: Header=BB287_371 Depth=1
	s_or_b64 exec, exec, s[16:17]
	s_and_b64 s[12:13], s[12:13], exec
	s_or_saveexec_b64 s[14:15], s[14:15]
	v_mov_b32_e32 v49, s38
	s_xor_b64 exec, exec, s[14:15]
	s_cbranch_execz .LBB287_496
.LBB287_661:                            ;   in Loop: Header=BB287_371 Depth=1
	v_cmp_ne_u16_e64 s[0:1], 0, v10
	s_andn2_b64 s[12:13], s[12:13], exec
	s_and_b64 s[0:1], s[0:1], exec
	v_mov_b32_e32 v49, 0
	s_or_b64 s[12:13], s[12:13], s[0:1]
	s_or_b64 exec, exec, s[14:15]
	s_and_saveexec_b64 s[14:15], s[12:13]
	s_cbranch_execnz .LBB287_497
	s_branch .LBB287_498
.LBB287_662:                            ;   in Loop: Header=BB287_371 Depth=1
	v_cmp_eq_u16_sdwa s[38:39], v10, s25 src0_sel:BYTE_0 src1_sel:DWORD
	s_mov_b64 s[0:1], -1
                                        ; implicit-def: $sgpr16
	s_and_saveexec_b64 s[14:15], s[38:39]
; %bb.663:                              ;   in Loop: Header=BB287_371 Depth=1
	s_mov_b32 s16, 0x7fc02000
	s_xor_b64 s[0:1], exec, -1
; %bb.664:                              ;   in Loop: Header=BB287_371 Depth=1
	s_or_b64 exec, exec, s[14:15]
	s_and_b64 s[0:1], s[0:1], exec
	s_or_saveexec_b64 s[12:13], s[12:13]
	v_mov_b32_e32 v50, s16
	s_xor_b64 exec, exec, s[12:13]
	s_cbranch_execz .LBB287_500
.LBB287_665:                            ;   in Loop: Header=BB287_371 Depth=1
	v_cmp_ne_u16_sdwa s[14:15], v10, v11 src0_sel:BYTE_0 src1_sel:DWORD
	s_andn2_b64 s[0:1], s[0:1], exec
	s_and_b64 s[14:15], s[14:15], exec
	v_mov_b32_e32 v50, 0
	s_or_b64 s[0:1], s[0:1], s[14:15]
	s_or_b64 exec, exec, s[12:13]
	s_and_saveexec_b64 s[12:13], s[0:1]
	s_cbranch_execnz .LBB287_501
	s_branch .LBB287_502
.LBB287_666:                            ;   in Loop: Header=BB287_371 Depth=1
	v_cmp_eq_u16_e64 s[0:1], s25, v10
	s_mov_b64 s[12:13], -1
                                        ; implicit-def: $sgpr38
	s_and_saveexec_b64 s[16:17], s[0:1]
; %bb.667:                              ;   in Loop: Header=BB287_371 Depth=1
	s_mov_b32 s38, 0x7fc02000
	s_xor_b64 s[12:13], exec, -1
; %bb.668:                              ;   in Loop: Header=BB287_371 Depth=1
	s_or_b64 exec, exec, s[16:17]
	s_and_b64 s[12:13], s[12:13], exec
	s_or_saveexec_b64 s[14:15], s[14:15]
	v_mov_b32_e32 v51, s38
	s_xor_b64 exec, exec, s[14:15]
	s_cbranch_execz .LBB287_504
.LBB287_669:                            ;   in Loop: Header=BB287_371 Depth=1
	v_cmp_ne_u16_e64 s[0:1], 0, v10
	s_andn2_b64 s[12:13], s[12:13], exec
	s_and_b64 s[0:1], s[0:1], exec
	v_mov_b32_e32 v51, 0
	s_or_b64 s[12:13], s[12:13], s[0:1]
	s_or_b64 exec, exec, s[14:15]
	s_and_saveexec_b64 s[14:15], s[12:13]
	s_cbranch_execnz .LBB287_505
	s_branch .LBB287_506
.LBB287_670:                            ;   in Loop: Header=BB287_371 Depth=1
	v_cmp_eq_u16_sdwa s[38:39], v20, s25 src0_sel:BYTE_0 src1_sel:DWORD
	s_mov_b64 s[0:1], -1
                                        ; implicit-def: $sgpr16
	s_and_saveexec_b64 s[14:15], s[38:39]
; %bb.671:                              ;   in Loop: Header=BB287_371 Depth=1
	s_mov_b32 s16, 0x7fc02000
	s_xor_b64 s[0:1], exec, -1
; %bb.672:                              ;   in Loop: Header=BB287_371 Depth=1
	s_or_b64 exec, exec, s[14:15]
	s_and_b64 s[0:1], s[0:1], exec
	s_or_saveexec_b64 s[12:13], s[12:13]
	v_mov_b32_e32 v16, s16
	s_xor_b64 exec, exec, s[12:13]
	s_cbranch_execz .LBB287_510
.LBB287_673:                            ;   in Loop: Header=BB287_371 Depth=1
	v_cmp_ne_u16_sdwa s[14:15], v20, v11 src0_sel:BYTE_0 src1_sel:DWORD
	s_andn2_b64 s[0:1], s[0:1], exec
	s_and_b64 s[14:15], s[14:15], exec
	v_mov_b32_e32 v16, 0
	s_or_b64 s[0:1], s[0:1], s[14:15]
	s_or_b64 exec, exec, s[12:13]
	s_and_saveexec_b64 s[12:13], s[0:1]
	s_cbranch_execnz .LBB287_511
	s_branch .LBB287_512
.LBB287_674:                            ;   in Loop: Header=BB287_371 Depth=1
	v_cmp_eq_u16_e64 s[0:1], s25, v10
	s_mov_b64 s[12:13], -1
                                        ; implicit-def: $sgpr38
	s_and_saveexec_b64 s[16:17], s[0:1]
; %bb.675:                              ;   in Loop: Header=BB287_371 Depth=1
	s_mov_b32 s38, 0x7fc02000
	s_xor_b64 s[12:13], exec, -1
; %bb.676:                              ;   in Loop: Header=BB287_371 Depth=1
	s_or_b64 exec, exec, s[16:17]
	s_and_b64 s[12:13], s[12:13], exec
	s_or_saveexec_b64 s[14:15], s[14:15]
	v_mov_b32_e32 v22, s38
	s_xor_b64 exec, exec, s[14:15]
	s_cbranch_execz .LBB287_514
.LBB287_677:                            ;   in Loop: Header=BB287_371 Depth=1
	v_cmp_ne_u16_e64 s[0:1], 0, v10
	s_andn2_b64 s[12:13], s[12:13], exec
	s_and_b64 s[0:1], s[0:1], exec
	v_mov_b32_e32 v22, 0
	s_or_b64 s[12:13], s[12:13], s[0:1]
	s_or_b64 exec, exec, s[14:15]
	s_and_saveexec_b64 s[14:15], s[12:13]
	s_cbranch_execnz .LBB287_515
	s_branch .LBB287_516
.LBB287_678:                            ;   in Loop: Header=BB287_371 Depth=1
	v_cmp_eq_u16_sdwa s[38:39], v10, s25 src0_sel:BYTE_0 src1_sel:DWORD
	s_mov_b64 s[0:1], -1
                                        ; implicit-def: $sgpr16
	s_and_saveexec_b64 s[14:15], s[38:39]
; %bb.679:                              ;   in Loop: Header=BB287_371 Depth=1
	s_mov_b32 s16, 0x7fc02000
	s_xor_b64 s[0:1], exec, -1
; %bb.680:                              ;   in Loop: Header=BB287_371 Depth=1
	s_or_b64 exec, exec, s[14:15]
	s_and_b64 s[0:1], s[0:1], exec
	s_or_saveexec_b64 s[12:13], s[12:13]
	v_mov_b32_e32 v17, s16
	s_xor_b64 exec, exec, s[12:13]
	s_cbranch_execz .LBB287_518
.LBB287_681:                            ;   in Loop: Header=BB287_371 Depth=1
	v_cmp_ne_u16_sdwa s[14:15], v10, v11 src0_sel:BYTE_0 src1_sel:DWORD
	s_andn2_b64 s[0:1], s[0:1], exec
	s_and_b64 s[14:15], s[14:15], exec
	v_mov_b32_e32 v17, 0
	s_or_b64 s[0:1], s[0:1], s[14:15]
	s_or_b64 exec, exec, s[12:13]
	s_and_saveexec_b64 s[12:13], s[0:1]
	s_cbranch_execnz .LBB287_519
	s_branch .LBB287_520
.LBB287_682:                            ;   in Loop: Header=BB287_371 Depth=1
	v_cmp_eq_u16_e64 s[0:1], s25, v10
	s_mov_b64 s[12:13], -1
                                        ; implicit-def: $sgpr38
	s_and_saveexec_b64 s[16:17], s[0:1]
; %bb.683:                              ;   in Loop: Header=BB287_371 Depth=1
	s_mov_b32 s38, 0x7fc02000
	s_xor_b64 s[12:13], exec, -1
; %bb.684:                              ;   in Loop: Header=BB287_371 Depth=1
	s_or_b64 exec, exec, s[16:17]
	s_and_b64 s[12:13], s[12:13], exec
	s_or_saveexec_b64 s[14:15], s[14:15]
	v_mov_b32_e32 v23, s38
	s_xor_b64 exec, exec, s[14:15]
	s_cbranch_execz .LBB287_522
.LBB287_685:                            ;   in Loop: Header=BB287_371 Depth=1
	v_cmp_ne_u16_e64 s[0:1], 0, v10
	s_andn2_b64 s[12:13], s[12:13], exec
	s_and_b64 s[0:1], s[0:1], exec
	v_mov_b32_e32 v23, 0
	s_or_b64 s[12:13], s[12:13], s[0:1]
	s_or_b64 exec, exec, s[14:15]
	s_and_saveexec_b64 s[14:15], s[12:13]
	s_cbranch_execnz .LBB287_523
	s_branch .LBB287_524
.LBB287_686:                            ;   in Loop: Header=BB287_371 Depth=1
	v_cmp_eq_u16_sdwa s[38:39], v21, s25 src0_sel:BYTE_0 src1_sel:DWORD
	s_mov_b64 s[0:1], -1
                                        ; implicit-def: $sgpr16
	s_and_saveexec_b64 s[14:15], s[38:39]
; %bb.687:                              ;   in Loop: Header=BB287_371 Depth=1
	s_mov_b32 s16, 0x7fc02000
	s_xor_b64 s[0:1], exec, -1
; %bb.688:                              ;   in Loop: Header=BB287_371 Depth=1
	s_or_b64 exec, exec, s[14:15]
	s_and_b64 s[0:1], s[0:1], exec
	s_or_saveexec_b64 s[12:13], s[12:13]
	v_mov_b32_e32 v20, s16
	s_xor_b64 exec, exec, s[12:13]
	s_cbranch_execz .LBB287_526
.LBB287_689:                            ;   in Loop: Header=BB287_371 Depth=1
	v_cmp_ne_u16_sdwa s[14:15], v21, v11 src0_sel:BYTE_0 src1_sel:DWORD
	s_andn2_b64 s[0:1], s[0:1], exec
	s_and_b64 s[14:15], s[14:15], exec
	v_mov_b32_e32 v20, 0
	s_or_b64 s[0:1], s[0:1], s[14:15]
	s_or_b64 exec, exec, s[12:13]
	v_mov_b32_e32 v10, v21
	s_and_saveexec_b64 s[12:13], s[0:1]
	s_cbranch_execnz .LBB287_527
	s_branch .LBB287_528
.LBB287_690:                            ;   in Loop: Header=BB287_371 Depth=1
	v_cmp_eq_u16_e64 s[0:1], s25, v10
	s_mov_b64 s[12:13], -1
                                        ; implicit-def: $sgpr38
	s_and_saveexec_b64 s[16:17], s[0:1]
; %bb.691:                              ;   in Loop: Header=BB287_371 Depth=1
	s_mov_b32 s38, 0x7fc02000
	s_xor_b64 s[12:13], exec, -1
; %bb.692:                              ;   in Loop: Header=BB287_371 Depth=1
	s_or_b64 exec, exec, s[16:17]
	s_and_b64 s[12:13], s[12:13], exec
	s_or_saveexec_b64 s[14:15], s[14:15]
	v_mov_b32_e32 v49, s38
	s_xor_b64 exec, exec, s[14:15]
	s_cbranch_execz .LBB287_530
.LBB287_693:                            ;   in Loop: Header=BB287_371 Depth=1
	v_cmp_ne_u16_e64 s[0:1], 0, v10
	s_andn2_b64 s[12:13], s[12:13], exec
	s_and_b64 s[0:1], s[0:1], exec
	v_mov_b32_e32 v49, 0
	s_or_b64 s[12:13], s[12:13], s[0:1]
	s_or_b64 exec, exec, s[14:15]
	s_and_saveexec_b64 s[14:15], s[12:13]
	s_cbranch_execnz .LBB287_531
	s_branch .LBB287_532
.LBB287_694:                            ;   in Loop: Header=BB287_371 Depth=1
	v_cmp_eq_u16_sdwa s[38:39], v10, s25 src0_sel:BYTE_0 src1_sel:DWORD
	s_mov_b64 s[0:1], -1
                                        ; implicit-def: $sgpr16
	s_and_saveexec_b64 s[14:15], s[38:39]
; %bb.695:                              ;   in Loop: Header=BB287_371 Depth=1
	s_mov_b32 s16, 0x7fc02000
	s_xor_b64 s[0:1], exec, -1
; %bb.696:                              ;   in Loop: Header=BB287_371 Depth=1
	s_or_b64 exec, exec, s[14:15]
	s_and_b64 s[0:1], s[0:1], exec
	s_or_saveexec_b64 s[12:13], s[12:13]
	v_mov_b32_e32 v50, s16
	s_xor_b64 exec, exec, s[12:13]
	s_cbranch_execz .LBB287_534
.LBB287_697:                            ;   in Loop: Header=BB287_371 Depth=1
	v_cmp_ne_u16_sdwa s[14:15], v10, v11 src0_sel:BYTE_0 src1_sel:DWORD
	s_andn2_b64 s[0:1], s[0:1], exec
	s_and_b64 s[14:15], s[14:15], exec
	v_mov_b32_e32 v50, 0
	s_or_b64 s[0:1], s[0:1], s[14:15]
	s_or_b64 exec, exec, s[12:13]
	s_and_saveexec_b64 s[12:13], s[0:1]
	s_cbranch_execnz .LBB287_535
	s_branch .LBB287_536
.LBB287_698:                            ;   in Loop: Header=BB287_371 Depth=1
	v_cmp_eq_u16_e64 s[0:1], s25, v10
	s_mov_b64 s[12:13], -1
                                        ; implicit-def: $sgpr38
	s_and_saveexec_b64 s[16:17], s[0:1]
; %bb.699:                              ;   in Loop: Header=BB287_371 Depth=1
	s_mov_b32 s38, 0x7fc02000
	s_xor_b64 s[12:13], exec, -1
; %bb.700:                              ;   in Loop: Header=BB287_371 Depth=1
	s_or_b64 exec, exec, s[16:17]
	s_and_b64 s[12:13], s[12:13], exec
	s_or_saveexec_b64 s[14:15], s[14:15]
	v_mov_b32_e32 v51, s38
	s_xor_b64 exec, exec, s[14:15]
	s_cbranch_execz .LBB287_538
.LBB287_701:                            ;   in Loop: Header=BB287_371 Depth=1
	v_cmp_ne_u16_e64 s[0:1], 0, v10
	s_andn2_b64 s[12:13], s[12:13], exec
	s_and_b64 s[0:1], s[0:1], exec
	v_mov_b32_e32 v51, 0
	s_or_b64 s[12:13], s[12:13], s[0:1]
	s_or_b64 exec, exec, s[14:15]
	s_and_saveexec_b64 s[14:15], s[12:13]
	s_cbranch_execnz .LBB287_539
	s_branch .LBB287_540
.LBB287_702:
	s_or_b64 exec, exec, s[8:9]
.LBB287_703:
	s_or_b64 exec, exec, s[2:3]
	ds_bpermute_b32 v8, v7, v2
	ds_bpermute_b32 v9, v7, v3
	ds_bpermute_b32 v10, v7, v4
	ds_bpermute_b32 v11, v7, v5
	ds_bpermute_b32 v1, v7, v6
	s_waitcnt lgkmcnt(0)
	v_pk_add_f32 v[2:3], v[2:3], v[8:9]
	ds_bpermute_b32 v8, v26, v2
	v_pk_add_f32 v[4:5], v[4:5], v[10:11]
	v_add_f32_e32 v1, v6, v1
	ds_bpermute_b32 v9, v26, v3
	ds_bpermute_b32 v10, v26, v4
	;; [unrolled: 1-line block ×4, first 2 shown]
	s_barrier
	s_waitcnt lgkmcnt(3)
	v_pk_add_f32 v[6:7], v[2:3], v[8:9]
	s_waitcnt lgkmcnt(0)
	v_pk_add_f32 v[2:3], v[4:5], v[10:11]
	v_add_f32_e32 v4, v1, v12
	v_and_b32_e32 v1, 0x3c3, v0
	v_cmp_eq_u32_e32 vcc, 64, v1
	s_and_saveexec_b64 s[0:1], vcc
	s_cbranch_execz .LBB287_705
; %bb.704:
	v_add_u32_e32 v5, 0xb0, v19
	ds_write2_b32 v5, v6, v7 offset1:16
	ds_write2_b32 v5, v2, v3 offset0:32 offset1:48
	ds_write_b32 v5, v4 offset:256
.LBB287_705:
	s_or_b64 exec, exec, s[0:1]
	v_cmp_gt_u32_e32 vcc, 64, v0
	s_waitcnt lgkmcnt(0)
	s_barrier
	s_and_saveexec_b64 s[0:1], vcc
	s_cbranch_execz .LBB287_713
; %bb.706:
	v_cmp_eq_u32_e32 vcc, 0, v27
	v_lshrrev_b32_e32 v5, 2, v0
	s_and_saveexec_b64 s[2:3], vcc
	s_cbranch_execnz .LBB287_716
; %bb.707:
	s_or_b64 exec, exec, s[2:3]
	s_and_saveexec_b64 s[2:3], vcc
	s_cbranch_execnz .LBB287_717
.LBB287_708:
	s_or_b64 exec, exec, s[2:3]
	s_and_saveexec_b64 s[2:3], vcc
	s_cbranch_execnz .LBB287_718
.LBB287_709:
	s_or_b64 exec, exec, s[2:3]
	s_and_saveexec_b64 s[2:3], vcc
	s_cbranch_execnz .LBB287_719
.LBB287_710:
	s_or_b64 exec, exec, s[2:3]
	s_and_saveexec_b64 s[2:3], vcc
	s_cbranch_execz .LBB287_712
.LBB287_711:
	v_mov_b32_e32 v8, 0xb0
	v_lshl_add_u32 v5, v5, 2, v8
	ds_read_b32 v5, v5 offset:256
	s_waitcnt lgkmcnt(0)
	v_add_f32_e32 v4, v4, v5
.LBB287_712:
	s_or_b64 exec, exec, s[2:3]
.LBB287_713:
	s_or_b64 exec, exec, s[0:1]
	v_cmp_eq_u32_e32 vcc, 0, v1
	s_barrier
	s_and_saveexec_b64 s[0:1], vcc
	s_cbranch_execz .LBB287_715
; %bb.714:
	s_mul_i32 s0, s6, 0x50
	s_ashr_i32 s1, s0, 31
	s_lshl_b64 s[0:1], s[0:1], 1
	s_add_u32 s2, s30, s0
	s_mul_i32 s0, s20, s28
	s_addc_u32 s3, s31, s1
	s_ashr_i32 s1, s0, 31
	s_lshl_b64 s[0:1], s[0:1], 1
	s_add_u32 s2, s2, s0
	s_mul_i32 s0, s4, 0x50
	s_addc_u32 s3, s3, s1
	s_ashr_i32 s1, s0, 31
	s_lshl_b64 s[0:1], s[0:1], 1
	s_add_u32 s0, s2, s0
	s_addc_u32 s1, s3, s1
	v_lshrrev_b32_e32 v0, 1, v0
	;;#ASMSTART
	v_cvt_f16_f32 v1, v6;

	;;#ASMEND
	global_store_short v0, v1, s[0:1]
	;;#ASMSTART
	v_cvt_f16_f32 v1, v7;

	;;#ASMEND
	global_store_short v0, v1, s[0:1] offset:32
	;;#ASMSTART
	v_cvt_f16_f32 v1, v2;

	;;#ASMEND
	global_store_short v0, v1, s[0:1] offset:64
	;; [unrolled: 5-line block ×4, first 2 shown]
.LBB287_715:
	s_endpgm
.LBB287_716:
	v_mov_b32_e32 v8, 0xb0
	v_lshl_add_u32 v8, v5, 2, v8
	ds_read_b32 v8, v8
	s_waitcnt lgkmcnt(0)
	v_add_f32_e32 v6, v6, v8
	s_or_b64 exec, exec, s[2:3]
	s_and_saveexec_b64 s[2:3], vcc
	s_cbranch_execz .LBB287_708
.LBB287_717:
	v_mov_b32_e32 v8, 0xb0
	v_lshl_add_u32 v8, v5, 2, v8
	ds_read_b32 v8, v8 offset:64
	s_waitcnt lgkmcnt(0)
	v_add_f32_e32 v7, v7, v8
	s_or_b64 exec, exec, s[2:3]
	s_and_saveexec_b64 s[2:3], vcc
	s_cbranch_execz .LBB287_709
.LBB287_718:
	v_mov_b32_e32 v8, 0xb0
	v_lshl_add_u32 v8, v5, 2, v8
	ds_read_b32 v8, v8 offset:128
	s_waitcnt lgkmcnt(0)
	v_add_f32_e32 v2, v2, v8
	s_or_b64 exec, exec, s[2:3]
	s_and_saveexec_b64 s[2:3], vcc
	s_cbranch_execz .LBB287_710
.LBB287_719:
	v_mov_b32_e32 v8, 0xb0
	v_lshl_add_u32 v8, v5, 2, v8
	ds_read_b32 v8, v8 offset:192
	s_waitcnt lgkmcnt(0)
	v_add_f32_e32 v3, v3, v8
	s_or_b64 exec, exec, s[2:3]
	s_and_saveexec_b64 s[2:3], vcc
	s_cbranch_execnz .LBB287_711
	s_branch .LBB287_712
	.section	.rodata,"a",@progbits
	.p2align	6, 0x0
	.amdhsa_kernel _ZN4vllm25paged_attention_v2_kernelIthLi80ELi32ELi128ELNS_18Fp8KVCacheDataTypeE1ELb1ELi512EEEvPfS2_PT_PKS3_PKT0_S9_ifPKiSB_iPKfiiiSD_SD_iiiii
		.amdhsa_group_segment_fixed_size 176
		.amdhsa_private_segment_fixed_size 0
		.amdhsa_kernarg_size 400
		.amdhsa_user_sgpr_count 2
		.amdhsa_user_sgpr_dispatch_ptr 0
		.amdhsa_user_sgpr_queue_ptr 0
		.amdhsa_user_sgpr_kernarg_segment_ptr 1
		.amdhsa_user_sgpr_dispatch_id 0
		.amdhsa_user_sgpr_kernarg_preload_length 0
		.amdhsa_user_sgpr_kernarg_preload_offset 0
		.amdhsa_user_sgpr_private_segment_size 0
		.amdhsa_uses_dynamic_stack 0
		.amdhsa_enable_private_segment 0
		.amdhsa_system_sgpr_workgroup_id_x 1
		.amdhsa_system_sgpr_workgroup_id_y 1
		.amdhsa_system_sgpr_workgroup_id_z 1
		.amdhsa_system_sgpr_workgroup_info 0
		.amdhsa_system_vgpr_workitem_id 0
		.amdhsa_next_free_vgpr 72
		.amdhsa_next_free_sgpr 66
		.amdhsa_accum_offset 72
		.amdhsa_reserve_vcc 1
		.amdhsa_float_round_mode_32 0
		.amdhsa_float_round_mode_16_64 0
		.amdhsa_float_denorm_mode_32 3
		.amdhsa_float_denorm_mode_16_64 3
		.amdhsa_dx10_clamp 1
		.amdhsa_ieee_mode 1
		.amdhsa_fp16_overflow 0
		.amdhsa_tg_split 0
		.amdhsa_exception_fp_ieee_invalid_op 0
		.amdhsa_exception_fp_denorm_src 0
		.amdhsa_exception_fp_ieee_div_zero 0
		.amdhsa_exception_fp_ieee_overflow 0
		.amdhsa_exception_fp_ieee_underflow 0
		.amdhsa_exception_fp_ieee_inexact 0
		.amdhsa_exception_int_div_zero 0
	.end_amdhsa_kernel
	.section	.text._ZN4vllm25paged_attention_v2_kernelIthLi80ELi32ELi128ELNS_18Fp8KVCacheDataTypeE1ELb1ELi512EEEvPfS2_PT_PKS3_PKT0_S9_ifPKiSB_iPKfiiiSD_SD_iiiii,"axG",@progbits,_ZN4vllm25paged_attention_v2_kernelIthLi80ELi32ELi128ELNS_18Fp8KVCacheDataTypeE1ELb1ELi512EEEvPfS2_PT_PKS3_PKT0_S9_ifPKiSB_iPKfiiiSD_SD_iiiii,comdat
.Lfunc_end287:
	.size	_ZN4vllm25paged_attention_v2_kernelIthLi80ELi32ELi128ELNS_18Fp8KVCacheDataTypeE1ELb1ELi512EEEvPfS2_PT_PKS3_PKT0_S9_ifPKiSB_iPKfiiiSD_SD_iiiii, .Lfunc_end287-_ZN4vllm25paged_attention_v2_kernelIthLi80ELi32ELi128ELNS_18Fp8KVCacheDataTypeE1ELb1ELi512EEEvPfS2_PT_PKS3_PKT0_S9_ifPKiSB_iPKfiiiSD_SD_iiiii
                                        ; -- End function
	.section	.AMDGPU.csdata,"",@progbits
; Kernel info:
; codeLenInByte = 28532
; NumSgprs: 72
; NumVgprs: 72
; NumAgprs: 0
; TotalNumVgprs: 72
; ScratchSize: 0
; MemoryBound: 0
; FloatMode: 240
; IeeeMode: 1
; LDSByteSize: 176 bytes/workgroup (compile time only)
; SGPRBlocks: 8
; VGPRBlocks: 8
; NumSGPRsForWavesPerEU: 72
; NumVGPRsForWavesPerEU: 72
; AccumOffset: 72
; Occupancy: 7
; WaveLimiterHint : 1
; COMPUTE_PGM_RSRC2:SCRATCH_EN: 0
; COMPUTE_PGM_RSRC2:USER_SGPR: 2
; COMPUTE_PGM_RSRC2:TRAP_HANDLER: 0
; COMPUTE_PGM_RSRC2:TGID_X_EN: 1
; COMPUTE_PGM_RSRC2:TGID_Y_EN: 1
; COMPUTE_PGM_RSRC2:TGID_Z_EN: 1
; COMPUTE_PGM_RSRC2:TIDIG_COMP_CNT: 0
; COMPUTE_PGM_RSRC3_GFX90A:ACCUM_OFFSET: 17
; COMPUTE_PGM_RSRC3_GFX90A:TG_SPLIT: 0
	.text
	.p2align	2                               ; -- Begin function _ZN4vllm22paged_attention_kernelIthLi96ELi32ELi128ELNS_18Fp8KVCacheDataTypeE1ELb1ELi512EEEvPfS2_PT_PKS3_PKT0_S9_ifPKiSB_iPKfiiiSD_SD_iiiii
	.type	_ZN4vllm22paged_attention_kernelIthLi96ELi32ELi128ELNS_18Fp8KVCacheDataTypeE1ELb1ELi512EEEvPfS2_PT_PKS3_PKT0_S9_ifPKiSB_iPKfiiiSD_SD_iiiii,@function
_ZN4vllm22paged_attention_kernelIthLi96ELi32ELi128ELNS_18Fp8KVCacheDataTypeE1ELb1ELi512EEEvPfS2_PT_PKS3_PKT0_S9_ifPKiSB_iPKfiiiSD_SD_iiiii: ; @_ZN4vllm22paged_attention_kernelIthLi96ELi32ELi128ELNS_18Fp8KVCacheDataTypeE1ELb1ELi512EEEvPfS2_PT_PKS3_PKT0_S9_ifPKiSB_iPKfiiiSD_SD_iiiii
; %bb.0:
	s_waitcnt vmcnt(0) expcnt(0) lgkmcnt(0)
	s_or_saveexec_b64 s[0:1], -1
	scratch_store_dword off, v63, s32 offset:148 ; 4-byte Folded Spill
	s_mov_b64 exec, s[0:1]
	scratch_store_dword off, v40, s32 offset:136 ; 4-byte Folded Spill
	scratch_store_dword off, v41, s32 offset:132 ; 4-byte Folded Spill
	scratch_store_dword off, v42, s32 offset:128 ; 4-byte Folded Spill
	scratch_store_dword off, v43, s32 offset:124 ; 4-byte Folded Spill
	scratch_store_dword off, v44, s32 offset:120 ; 4-byte Folded Spill
	scratch_store_dword off, v45, s32 offset:116 ; 4-byte Folded Spill
	scratch_store_dword off, v46, s32 offset:112 ; 4-byte Folded Spill
	scratch_store_dword off, v47, s32 offset:108 ; 4-byte Folded Spill
	scratch_store_dword off, v56, s32 offset:104 ; 4-byte Folded Spill
	scratch_store_dword off, v57, s32 offset:100 ; 4-byte Folded Spill
	scratch_store_dword off, v58, s32 offset:96 ; 4-byte Folded Spill
	scratch_store_dword off, v59, s32 offset:92 ; 4-byte Folded Spill
	scratch_store_dword off, v60, s32 offset:88 ; 4-byte Folded Spill
	scratch_store_dword off, v61, s32 offset:84 ; 4-byte Folded Spill
	scratch_store_dword off, v62, s32 offset:80 ; 4-byte Folded Spill
	scratch_store_dword off, a32, s32 offset:76 ; 4-byte Folded Spill
	scratch_store_dword off, a33, s32 offset:72 ; 4-byte Folded Spill
	scratch_store_dword off, a34, s32 offset:68 ; 4-byte Folded Spill
	scratch_store_dword off, a35, s32 offset:64 ; 4-byte Folded Spill
	scratch_store_dword off, a36, s32 offset:60 ; 4-byte Folded Spill
	scratch_store_dword off, a37, s32 offset:56 ; 4-byte Folded Spill
	scratch_store_dword off, a38, s32 offset:52 ; 4-byte Folded Spill
	scratch_store_dword off, a39, s32 offset:48 ; 4-byte Folded Spill
	scratch_store_dword off, a40, s32 offset:44 ; 4-byte Folded Spill
	scratch_store_dword off, a41, s32 offset:40 ; 4-byte Folded Spill
	scratch_store_dword off, a42, s32 offset:36 ; 4-byte Folded Spill
	scratch_store_dword off, a43, s32 offset:32 ; 4-byte Folded Spill
	scratch_store_dword off, a44, s32 offset:28 ; 4-byte Folded Spill
	scratch_store_dword off, a45, s32 offset:24 ; 4-byte Folded Spill
	scratch_store_dword off, a46, s32 offset:20 ; 4-byte Folded Spill
	scratch_store_dword off, a47, s32 offset:16 ; 4-byte Folded Spill
	scratch_store_dword off, a48, s32 offset:12 ; 4-byte Folded Spill
	scratch_store_dword off, a49, s32 offset:8 ; 4-byte Folded Spill
	v_writelane_b32 v63, s34, 0
	v_writelane_b32 v63, s35, 1
	;; [unrolled: 1-line block ×7, first 2 shown]
	s_nop 1
	v_writelane_b32 v63, s31, 7
	s_mov_b32 s20, s13
	s_ashr_i32 s21, s13, 31
	v_accvgpr_write_b32 a4, v26
	v_mov_b32_e32 v33, v3
	v_mov_b32_e32 v32, v2
	v_lshl_add_u64 v[2:3], s[20:21], 2, v[16:17]
	v_accvgpr_write_b32 a5, v27
	v_mov_b32_e32 v27, v1
	v_mov_b32_e32 v26, v0
	scratch_load_dword v0, off, s32 offset:4
	s_nop 0
	flat_load_dword v2, v[2:3]
	s_nop 0
	scratch_load_dword v1, off, s32
	v_accvgpr_write_b32 a35, v25
	s_lshl_b32 s21, s14, 9
	v_accvgpr_write_b32 a34, v24
	v_accvgpr_write_b32 a6, v22
	v_mov_b32_e32 v35, v20
	v_mov_b32_e32 v34, v19
	v_accvgpr_write_b32 a33, v13
	v_mov_b32_e32 v25, v11
	v_mov_b32_e32 v24, v10
	s_waitcnt vmcnt(0) lgkmcnt(0)
	v_accvgpr_write_b32 a8, v2
	v_cmp_lt_i32_e32 vcc, s21, v2
	s_and_saveexec_b64 s[10:11], vcc
	s_cbranch_execz .LBB288_845
; %bb.1:
	v_sub_u32_e32 v2, 0, v12
	v_max_i32_e32 v2, v12, v2
	v_cvt_f32_u32_e32 v3, v2
	s_load_dword s0, s[8:9], 0x10
	s_load_dword s2, s[8:9], 0x0
	v_accvgpr_write_b32 a0, v4
	v_accvgpr_write_b32 a1, v5
	v_rcp_iflag_f32_e32 v3, v3
	s_waitcnt lgkmcnt(0)
	s_lshr_b32 s0, s0, 16
	s_cmp_lg_u32 s0, 0
	s_cselect_b64 s[0:1], -1, 0
	v_mul_f32_e32 v3, 0x4f7ffffe, v3
	v_cvt_u32_f32_e32 v3, v3
	v_sub_u32_e32 v5, 0, v2
	s_cmp_lg_u64 s[0:1], 0
	s_mov_b32 s18, s15
	v_mul_lo_u32 v5, v5, v3
	s_addc_u32 s15, s2, 0
	v_mul_hi_u32 v5, v3, v5
	s_abs_i32 s0, s15
	v_add_u32_e32 v3, v3, v5
	v_mul_hi_u32 v3, s0, v3
	v_mul_lo_u32 v5, v3, v2
	v_sub_u32_e32 v5, s0, v5
	v_add_u32_e32 v10, 1, v3
	v_cmp_ge_u32_e32 vcc, v5, v2
	v_xor_b32_e32 v4, s15, v12
	v_ashrrev_i32_e32 v4, 31, v4
	v_cndmask_b32_e32 v3, v3, v10, vcc
	v_sub_u32_e32 v10, v5, v2
	v_cndmask_b32_e32 v5, v5, v10, vcc
	v_add_u32_e32 v10, 1, v3
	v_cmp_ge_u32_e32 vcc, v5, v2
	s_abs_i32 s2, s12
	s_nop 0
	v_cndmask_b32_e32 v2, v3, v10, vcc
	v_xor_b32_e32 v2, v2, v4
	v_sub_u32_e32 v2, v2, v4
	v_sub_u32_e32 v3, 0, v2
	v_max_i32_e32 v3, v2, v3
	v_cvt_f32_u32_e32 v4, v3
	v_sub_u32_e32 v5, 0, v3
	v_cmp_ne_u64_e32 vcc, 0, v[34:35]
	v_rcp_iflag_f32_e32 v4, v4
	s_nop 0
	v_mul_f32_e32 v4, 0x4f7ffffe, v4
	v_cvt_u32_f32_e32 v4, v4
	v_mul_lo_u32 v5, v5, v4
	v_mul_hi_u32 v5, v4, v5
	v_add_u32_e32 v4, v4, v5
	v_mad_u64_u32 v[16:17], s[0:1], s2, v4, 0
	v_mov_b32_e32 v4, 0
	scratch_store_dword off, v4, s32 offset:144 ; 4-byte Folded Spill
	s_and_saveexec_b64 s[0:1], vcc
	s_cbranch_execz .LBB288_3
; %bb.2:
	s_ashr_i32 s13, s12, 31
	v_lshl_add_u64 v[4:5], s[12:13], 2, v[34:35]
	flat_load_dword v4, v[4:5]
	s_waitcnt vmcnt(0) lgkmcnt(0)
	scratch_store_dword off, v4, s32 offset:144 ; 4-byte Folded Spill
.LBB288_3:
	s_or_b64 exec, exec, s[0:1]
	v_and_b32_e32 v5, 0x3ff, v31
	s_ashr_i32 s3, s12, 31
	v_ashrrev_i32_e32 v4, 31, v2
	v_and_b32_e32 v2, 1, v5
	s_movk_i32 s4, 0x60
	s_mul_i32 s16, s12, 0x60
	v_cmp_gt_u32_e32 vcc, 24, v5
	v_accvgpr_write_b32 a2, v5
	v_lshlrev_b32_e32 v34, 3, v5
	s_and_saveexec_b64 s[0:1], vcc
	s_cbranch_execz .LBB288_5
; %bb.4:
	v_mul_lo_u32 v10, s20, v21
	v_ashrrev_i32_e32 v11, 31, v10
	v_lshl_add_u64 v[6:7], v[10:11], 1, v[6:7]
	s_ashr_i32 s17, s16, 31
	v_lshl_add_u64 v[6:7], s[16:17], 1, v[6:7]
	v_mov_b32_e32 v35, 0
	v_lshl_add_u64 v[6:7], v[6:7], 0, v[34:35]
	flat_load_dwordx2 v[6:7], v[6:7]
	v_accvgpr_read_b32 v5, a2
	v_lshlrev_b32_e32 v5, 2, v5
	v_and_b32_e32 v5, 0xff8, v5
	v_mad_u32_u24 v5, v2, s4, v5
	s_waitcnt vmcnt(0) lgkmcnt(0)
	ds_write_b64 v5, v[6:7]
.LBB288_5:
	s_or_b64 exec, exec, s[0:1]
	v_mul_lo_u32 v5, v17, v3
	v_sub_u32_e32 v5, s2, v5
	v_add_u32_e32 v6, 1, v17
	v_cmp_ge_u32_e32 vcc, v5, v3
	v_sub_u32_e32 v7, v5, v3
	v_xor_b32_e32 v4, s3, v4
	v_cndmask_b32_e32 v6, v17, v6, vcc
	v_cndmask_b32_e32 v5, v5, v7, vcc
	v_add_u32_e32 v7, 1, v6
	v_cmp_ge_u32_e32 vcc, v5, v3
	v_sub_u32_e32 v5, 0, v1
	s_waitcnt lgkmcnt(0)
	v_cndmask_b32_e32 v3, v6, v7, vcc
	v_max_i32_e32 v6, v1, v5
	v_cvt_f32_u32_e32 v5, v6
	v_xor_b32_e32 v3, v3, v4
	v_sub_u32_e32 v16, v3, v4
	v_accvgpr_read_b32 v4, a8
	v_rcp_iflag_f32_e32 v3, v5
	v_accvgpr_write_b32 a3, v6
	v_sub_u32_e32 v6, 0, v6
	v_add_u32_e32 v4, -1, v4
	v_mul_f32_e32 v3, 0x4f7ffffe, v3
	v_cvt_u32_f32_e32 v5, v3
	v_sub_u32_e32 v3, 0, v4
	v_max_i32_e32 v3, v4, v3
	v_cmp_gt_i32_e32 vcc, 0, v0
	v_mul_lo_u32 v6, v6, v5
	v_mul_hi_u32 v6, v5, v6
	v_add_u32_e32 v5, v5, v6
	v_accvgpr_write_b32 a7, v5
	v_mad_u64_u32 v[20:21], s[0:1], v3, v5, 0
	s_barrier
	s_waitcnt lgkmcnt(0)
                                        ; implicit-def: $agpr10
	s_and_saveexec_b64 s[0:1], vcc
	s_xor_b64 s[0:1], exec, s[0:1]
; %bb.6:
	v_mad_u64_u32 v[6:7], s[2:3], v28, v12, v[16:17]
	v_mul_lo_u32 v0, v6, v0
	v_sub_u32_e32 v0, 1, v0
	v_accvgpr_write_b32 a10, v0
                                        ; implicit-def: $vgpr28
                                        ; implicit-def: $vgpr0
; %bb.7:
	s_or_saveexec_b64 s[0:1], s[0:1]
	v_ashrrev_i32_e32 v1, 31, v1
	v_ashrrev_i32_e32 v4, 31, v4
	v_accvgpr_write_b32 a9, v1
	s_xor_b64 exec, exec, s[0:1]
; %bb.8:
	v_mul_lo_u32 v1, s15, v28
	v_add_u32_e32 v1, s12, v1
	v_mad_u64_u32 v[0:1], s[2:3], v1, v0, 1
	v_accvgpr_write_b32 a10, v0
; %bb.9:
	s_or_b64 exec, exec, s[0:1]
	v_accvgpr_read_b32 v5, a3
	v_mul_lo_u32 v1, v21, v5
	v_accvgpr_read_b32 v0, a9
	v_sub_u32_e32 v1, v3, v1
	v_xor_b32_e32 v0, v4, v0
	v_add_u32_e32 v3, 1, v21
	v_cmp_ge_u32_e32 vcc, v1, v5
	v_sub_u32_e32 v4, v1, v5
	s_load_dword s34, s[8:9], 0x14
	s_load_dword s13, s[8:9], 0x8
	v_cndmask_b32_e32 v3, v21, v3, vcc
	v_cndmask_b32_e32 v1, v1, v4, vcc
	v_add_u32_e32 v4, 1, v3
	v_cmp_ge_u32_e32 vcc, v1, v5
	s_lshl_b32 s17, s14, 4
	s_add_i32 s0, s17, 16
	v_cndmask_b32_e32 v1, v3, v4, vcc
	v_xor_b32_e32 v1, v1, v0
	v_accvgpr_read_b32 v4, a8
	v_sub_u32_e32 v0, v1, v0
	v_add_u32_e32 v1, 31, v4
	v_ashrrev_i32_e32 v3, 31, v1
	v_lshrrev_b32_e32 v3, 27, v3
	v_add_u32_e32 v1, v1, v3
	v_ashrrev_i32_e32 v28, 5, v1
	v_accvgpr_read_b32 v1, a2
	v_lshrrev_b32_e32 v22, 6, v1
	v_or_b32_e32 v4, s17, v22
	v_ashrrev_i32_e32 v5, 31, v4
	v_mul_lo_u32 v36, s20, v18
	v_min_i32_e32 v3, s0, v28
	v_sub_u32_e32 v0, v0, v29
	v_mul_lo_u32 v38, v16, v23
	v_accvgpr_write_b32 a13, v5
	v_ashrrev_i32_e32 v37, 31, v36
	v_accvgpr_write_b32 a11, v3
	v_cmp_lt_i32_e64 s[0:1], v4, v3
	v_mov_b32_e32 v6, 0xff7fffff
	v_accvgpr_write_b32 a14, v0
	v_accvgpr_write_b32 a12, v4
	v_ashrrev_i32_e32 v39, 31, v38
	v_sub_u32_e32 v23, 0, v30
	v_mbcnt_lo_u32_b32 v4, -1, 0
	v_lshl_add_u32 v0, v22, 5, s21
	s_mov_b64 s[8:9], exec
	s_and_b64 s[2:3], s[8:9], s[0:1]
	v_accvgpr_write_b32 a15, v0
	s_mov_b64 exec, s[2:3]
	s_cbranch_execz .LBB288_403
; %bb.10:
	v_accvgpr_read_b32 v0, a2
	v_bfe_u32 v5, v0, 1, 5
	v_lshl_add_u64 v[0:1], v[8:9], 0, v[38:39]
	v_lshlrev_b32_e32 v8, 4, v5
	v_mov_b32_e32 v9, 0
	v_lshl_add_u64 v[0:1], v[0:1], 0, v[8:9]
	v_accvgpr_write_b32 a39, v1
	v_accvgpr_write_b32 a38, v0
	scratch_load_dword v1, off, s32 offset:144 ; 4-byte Folded Reload
	v_cmp_eq_u32_e32 vcc, 0, v2
	v_lshlrev_b32_e32 v6, 2, v2
	v_mul_u32_u24_e32 v0, 0x60, v2
	v_max_i32_e32 v2, v30, v23
	v_accvgpr_write_b32 a42, v0
	v_cvt_f32_u32_e32 v0, v2
	v_accvgpr_write_b32 a43, v2
	s_ashr_i32 s19, s18, 31
	s_lshl_b64 s[4:5], s[18:19], 2
	v_rcp_iflag_f32_e32 v0, v0
	s_getpc_b64 s[6:7]
	s_add_u32 s6, s6, llvm.amdgcn.dynlds.offset.table@rel32@lo+4
	s_addc_u32 s7, s7, llvm.amdgcn.dynlds.offset.table@rel32@hi+12
	s_add_u32 s22, s4, s6
	s_addc_u32 s23, s5, s7
	v_mul_f32_e32 v0, 0x4f7ffffe, v0
	v_cvt_u32_f32_e32 v0, v0
	s_load_dword s19, s[22:23], 0x0
	v_mov_b32_e32 v7, v9
	v_accvgpr_write_b32 a24, v32
	v_accvgpr_write_b32 a22, v26
	;; [unrolled: 1-line block ×18, first 2 shown]
	v_lshl_add_u32 v46, v22, 5, s21
	v_accvgpr_write_b32 a19, v22
	v_accvgpr_write_b32 a37, v5
	s_mov_b64 s[24:25], 0
	s_movk_i32 s35, 0x7f
	s_movk_i32 s36, 0x80
	s_mov_b32 s37, 0x8000
	v_accvgpr_write_b32 a36, v4
	s_waitcnt vmcnt(0)
	v_cmp_neq_f32_e64 s[2:3], 0, v1
	v_sub_u32_e32 v1, 0, v2
	v_mul_lo_u32 v1, v1, v0
	v_mul_hi_u32 v1, v0, v1
	v_accvgpr_read_b32 v2, a12
	v_add_u32_e32 v0, v0, v1
	v_accvgpr_read_b32 v3, a13
	v_accvgpr_write_b32 a44, v0
	v_lshlrev_b64 v[0:1], 2, v[2:3]
	v_lshl_add_u64 v[0:1], v[36:37], 2, v[0:1]
	v_lshl_add_u64 v[0:1], v[14:15], 0, v[0:1]
	v_accvgpr_write_b32 a47, v1
	v_accvgpr_write_b32 a46, v0
	v_lshlrev_b32_e32 v0, 2, v5
	v_lshl_or_b32 v0, v22, 7, v0
	v_accvgpr_write_b32 a45, v0
	v_accvgpr_read_b32 v0, a8
	v_sub_u32_e32 v0, v5, v0
	v_add_u32_e32 v0, 1, v0
	v_accvgpr_write_b32 a48, v0
	v_mbcnt_hi_u32_b32 v0, -1, v4
	v_accvgpr_write_b32 a49, v0
	v_mov_b32_e32 v0, 0xff7fffff
	v_mov_b32_e32 v60, v2
	scratch_store_dword off, v0, s32 offset:140 ; 4-byte Folded Spill
	s_branch .LBB288_13
.LBB288_11:                             ;   in Loop: Header=BB288_13 Depth=1
	s_or_b64 exec, exec, s[26:27]
.LBB288_12:                             ;   in Loop: Header=BB288_13 Depth=1
	s_or_b64 exec, exec, s[6:7]
	s_waitcnt lgkmcnt(0)
	v_accvgpr_read_b32 v0, a46
	v_accvgpr_read_b32 v1, a47
	v_lshl_add_u64 v[0:1], v[0:1], 0, 8
	v_accvgpr_write_b32 a47, v1
	v_add_u32_e32 v60, 2, v60
	v_accvgpr_write_b32 a46, v0
	v_accvgpr_read_b32 v0, a11
	v_cmp_ge_i32_e64 s[4:5], v60, v0
	v_accvgpr_read_b32 v0, a45
	v_add_u32_e32 v0, 0x100, v0
	v_add_u32_e32 v46, 64, v46
	s_or_b64 s[24:25], s[4:5], s[24:25]
	v_accvgpr_write_b32 a45, v0
	s_andn2_b64 exec, exec, s[24:25]
	s_cbranch_execz .LBB288_402
.LBB288_13:                             ; =>This Inner Loop Header: Depth=1
	v_ashrrev_i32_e32 v0, 31, v46
	v_accvgpr_read_b32 v1, a9
	v_xor_b32_e32 v0, v0, v1
	v_sub_u32_e32 v1, 0, v46
	v_max_i32_e32 v1, v46, v1
	v_accvgpr_read_b32 v2, a7
	v_mul_hi_u32 v2, v1, v2
	v_accvgpr_read_b32 v4, a3
	v_mul_lo_u32 v3, v2, v4
	v_sub_u32_e32 v1, v1, v3
	v_add_u32_e32 v3, 1, v2
	v_cmp_ge_u32_e64 s[4:5], v1, v4
	s_nop 1
	v_cndmask_b32_e64 v2, v2, v3, s[4:5]
	v_sub_u32_e32 v3, v1, v4
	v_cndmask_b32_e64 v1, v1, v3, s[4:5]
	v_add_u32_e32 v3, 1, v2
	v_cmp_ge_u32_e64 s[4:5], v1, v4
	v_accvgpr_read_b32 v4, a44
	s_nop 0
	v_cndmask_b32_e64 v1, v2, v3, s[4:5]
	v_xor_b32_e32 v1, v1, v0
	v_sub_u32_e32 v0, v1, v0
	v_accvgpr_read_b32 v2, a10
	v_add_u32_e32 v1, v0, v2
	v_sub_u32_e32 v3, 0, v1
	v_ashrrev_i32_e32 v2, 31, v1
	v_max_i32_e32 v1, v1, v3
	v_mul_hi_u32 v3, v1, v4
	v_accvgpr_read_b32 v4, a43
	v_mul_lo_u32 v3, v3, v4
	v_sub_u32_e32 v1, v1, v3
	v_sub_u32_e32 v3, v1, v4
	v_cmp_ge_u32_e64 s[4:5], v1, v4
	s_nop 1
	v_cndmask_b32_e64 v1, v1, v3, s[4:5]
	v_sub_u32_e32 v3, v1, v4
	v_cmp_ge_u32_e64 s[4:5], v1, v4
	s_nop 1
	v_cndmask_b32_e64 v1, v1, v3, s[4:5]
	v_xor_b32_e32 v1, v1, v2
	v_sub_u32_e32 v1, v1, v2
	v_cmp_ne_u32_e64 s[4:5], 0, v1
	v_accvgpr_read_b32 v1, a14
	v_cmp_le_i32_e64 s[6:7], v0, v1
	s_and_b64 s[4:5], s[4:5], s[6:7]
	s_and_b64 s[26:27], vcc, s[4:5]
	s_and_saveexec_b64 s[6:7], s[26:27]
	s_cbranch_execz .LBB288_15
; %bb.14:                               ;   in Loop: Header=BB288_13 Depth=1
	v_accvgpr_read_b32 v0, a45
	s_waitcnt lgkmcnt(0)
	v_add_u32_e32 v0, s19, v0
	v_mov_b32_e32 v1, 0xff7fffff
	ds_write_b32 v0, v1
.LBB288_15:                             ;   in Loop: Header=BB288_13 Depth=1
	s_or_b64 exec, exec, s[6:7]
	s_xor_b64 s[4:5], s[4:5], -1
	s_and_saveexec_b64 s[6:7], s[4:5]
	s_cbranch_execz .LBB288_12
; %bb.16:                               ;   in Loop: Header=BB288_13 Depth=1
	v_accvgpr_read_b32 v0, a46
	v_accvgpr_read_b32 v1, a47
	flat_load_dword v0, v[0:1]
	v_accvgpr_read_b32 v4, a38
	v_accvgpr_read_b32 v2, a6
	;; [unrolled: 1-line block ×3, first 2 shown]
                                        ; implicit-def: $sgpr30
	s_waitcnt vmcnt(0) lgkmcnt(0)
	v_mad_i64_i32 v[0:1], s[4:5], v0, v2, v[4:5]
	v_accvgpr_read_b32 v2, a40
	v_accvgpr_read_b32 v3, a41
	v_lshl_add_u64 v[48:49], v[0:1], 0, v[2:3]
	v_accvgpr_read_b32 v0, a34
	flat_load_dword v50, v[48:49]
	v_accvgpr_read_b32 v1, a35
	flat_load_dword v61, v[0:1]
	s_mov_b64 s[4:5], 0
	s_waitcnt vmcnt(0) lgkmcnt(0)
	v_cmp_gt_i16_sdwa s[26:27], v50, s35 src0_sel:BYTE_0 src1_sel:DWORD
	s_and_saveexec_b64 s[28:29], s[26:27]
	s_xor_b64 s[26:27], exec, s[28:29]
	s_cbranch_execnz .LBB288_210
; %bb.17:                               ;   in Loop: Header=BB288_13 Depth=1
	s_or_saveexec_b64 s[26:27], s[26:27]
	v_mov_b32_e32 v21, s30
	s_xor_b64 exec, exec, s[26:27]
	s_cbranch_execnz .LBB288_213
.LBB288_18:                             ;   in Loop: Header=BB288_13 Depth=1
	s_or_b64 exec, exec, s[26:27]
	s_and_saveexec_b64 s[26:27], s[4:5]
	s_cbranch_execz .LBB288_20
.LBB288_19:                             ;   in Loop: Header=BB288_13 Depth=1
	v_and_b32_e32 v2, 7, v50
	v_ffbh_u32_e32 v0, v2
	v_min_u32_e32 v4, 32, v0
	v_subrev_u32_e32 v0, 28, v4
	v_bfe_u32 v3, v50, 3, 4
	v_lshlrev_b64 v[0:1], v0, v[50:51]
	v_sub_u32_e32 v1, 29, v4
	v_cmp_eq_u32_e64 s[4:5], 0, v3
	v_and_b32_e32 v0, 7, v0
	s_nop 0
	v_cndmask_b32_e64 v1, v3, v1, s[4:5]
	v_mov_b32_e32 v3, 0x1c00
	v_cndmask_b32_e64 v0, v2, v0, s[4:5]
	v_lshlrev_b32_e32 v2, 8, v50
	v_lshl_add_u32 v1, v1, 10, v3
	v_and_or_b32 v1, v2, s37, v1
	v_lshl_or_b32 v0, v0, 7, v1
	v_cvt_f32_f16_e32 v21, v0
.LBB288_20:                             ;   in Loop: Header=BB288_13 Depth=1
	s_or_b64 exec, exec, s[26:27]
	v_lshrrev_b16_e32 v8, 8, v50
	v_cmp_lt_i16_e64 s[4:5], s35, v8
	s_mov_b64 s[26:27], 0
                                        ; implicit-def: $sgpr38
	s_and_saveexec_b64 s[28:29], s[4:5]
	s_xor_b64 s[28:29], exec, s[28:29]
	s_cbranch_execnz .LBB288_214
; %bb.21:                               ;   in Loop: Header=BB288_13 Depth=1
	s_or_saveexec_b64 s[28:29], s[28:29]
	v_mov_b32_e32 v23, s38
	s_xor_b64 exec, exec, s[28:29]
	s_cbranch_execnz .LBB288_217
.LBB288_22:                             ;   in Loop: Header=BB288_13 Depth=1
	s_or_b64 exec, exec, s[28:29]
	s_and_saveexec_b64 s[28:29], s[26:27]
	s_cbranch_execz .LBB288_24
.LBB288_23:                             ;   in Loop: Header=BB288_13 Depth=1
	v_and_b32_e32 v2, 7, v8
	v_ffbh_u32_e32 v0, v2
	v_min_u32_e32 v4, 32, v0
	v_subrev_u32_e32 v0, 28, v4
	v_bfe_u32 v3, v8, 3, 4
	v_lshlrev_b64 v[0:1], v0, v[8:9]
	v_sub_u32_e32 v1, 29, v4
	v_cmp_eq_u32_e64 s[4:5], 0, v3
	v_and_b32_e32 v0, 7, v0
	s_nop 0
	v_cndmask_b32_e64 v1, v3, v1, s[4:5]
	v_mov_b32_e32 v3, 0x1c00
	v_cndmask_b32_e64 v0, v2, v0, s[4:5]
	v_lshlrev_b32_e32 v2, 8, v8
	v_lshl_add_u32 v1, v1, 10, v3
	v_and_or_b32 v1, v2, s37, v1
	v_lshl_or_b32 v0, v0, 7, v1
	v_cvt_f32_f16_e32 v23, v0
.LBB288_24:                             ;   in Loop: Header=BB288_13 Depth=1
	s_or_b64 exec, exec, s[28:29]
	v_lshrrev_b32_e32 v8, 16, v50
	v_cmp_gt_i16_sdwa s[26:27], v8, s35 src0_sel:BYTE_0 src1_sel:DWORD
	s_mov_b64 s[4:5], 0
                                        ; implicit-def: $sgpr30
	s_and_saveexec_b64 s[28:29], s[26:27]
	s_xor_b64 s[26:27], exec, s[28:29]
	s_cbranch_execnz .LBB288_218
; %bb.25:                               ;   in Loop: Header=BB288_13 Depth=1
	s_or_saveexec_b64 s[26:27], s[26:27]
	v_mov_b32_e32 v28, s30
	s_xor_b64 exec, exec, s[26:27]
	s_cbranch_execnz .LBB288_221
.LBB288_26:                             ;   in Loop: Header=BB288_13 Depth=1
	s_or_b64 exec, exec, s[26:27]
	s_and_saveexec_b64 s[26:27], s[4:5]
	s_cbranch_execz .LBB288_28
.LBB288_27:                             ;   in Loop: Header=BB288_13 Depth=1
	v_bfe_u32 v2, v50, 16, 3
	v_ffbh_u32_e32 v0, v2
	v_min_u32_e32 v4, 32, v0
	v_subrev_u32_e32 v0, 28, v4
	v_bfe_u32 v3, v50, 19, 4
	v_lshlrev_b64 v[0:1], v0, v[8:9]
	v_sub_u32_e32 v1, 29, v4
	v_cmp_eq_u32_e64 s[4:5], 0, v3
	v_and_b32_e32 v0, 7, v0
	s_nop 0
	v_cndmask_b32_e64 v1, v3, v1, s[4:5]
	v_mov_b32_e32 v3, 0x1c00
	v_cndmask_b32_e64 v0, v2, v0, s[4:5]
	v_lshlrev_b32_e32 v2, 8, v8
	v_lshl_add_u32 v1, v1, 10, v3
	v_and_or_b32 v1, v2, s37, v1
	v_lshl_or_b32 v0, v0, 7, v1
	v_cvt_f32_f16_e32 v28, v0
.LBB288_28:                             ;   in Loop: Header=BB288_13 Depth=1
	s_or_b64 exec, exec, s[26:27]
	v_lshrrev_b32_e32 v8, 24, v50
	v_cmp_lt_i16_e64 s[4:5], s35, v8
	s_mov_b64 s[26:27], 0
                                        ; implicit-def: $sgpr38
	s_and_saveexec_b64 s[28:29], s[4:5]
	s_xor_b64 s[28:29], exec, s[28:29]
	s_cbranch_execnz .LBB288_222
; %bb.29:                               ;   in Loop: Header=BB288_13 Depth=1
	s_or_saveexec_b64 s[28:29], s[28:29]
	v_mov_b32_e32 v29, s38
	s_xor_b64 exec, exec, s[28:29]
	s_cbranch_execnz .LBB288_225
.LBB288_30:                             ;   in Loop: Header=BB288_13 Depth=1
	s_or_b64 exec, exec, s[28:29]
	s_and_saveexec_b64 s[28:29], s[26:27]
	s_cbranch_execz .LBB288_32
.LBB288_31:                             ;   in Loop: Header=BB288_13 Depth=1
	v_bfe_u32 v2, v50, 24, 3
	v_ffbh_u32_e32 v0, v2
	v_min_u32_e32 v4, 32, v0
	v_subrev_u32_e32 v0, 28, v4
	v_bfe_u32 v3, v50, 27, 4
	v_lshlrev_b64 v[0:1], v0, v[8:9]
	v_sub_u32_e32 v1, 29, v4
	v_cmp_eq_u32_e64 s[4:5], 0, v3
	v_and_b32_e32 v0, 7, v0
	s_nop 0
	v_cndmask_b32_e64 v1, v3, v1, s[4:5]
	v_mov_b32_e32 v3, 0x1c00
	v_cndmask_b32_e64 v0, v2, v0, s[4:5]
	v_lshlrev_b32_e32 v2, 8, v8
	v_lshl_add_u32 v1, v1, 10, v3
	v_and_or_b32 v1, v2, s37, v1
	v_lshl_or_b32 v0, v0, 7, v1
	v_cvt_f32_f16_e32 v29, v0
.LBB288_32:                             ;   in Loop: Header=BB288_13 Depth=1
	s_or_b64 exec, exec, s[28:29]
	flat_load_dword v50, v[48:49] offset:8
	s_mov_b64 s[4:5], 0
                                        ; implicit-def: $sgpr30
	s_waitcnt vmcnt(0) lgkmcnt(0)
	v_cmp_gt_i16_sdwa s[26:27], v50, s35 src0_sel:BYTE_0 src1_sel:DWORD
	s_and_saveexec_b64 s[28:29], s[26:27]
	s_xor_b64 s[26:27], exec, s[28:29]
	s_cbranch_execnz .LBB288_226
; %bb.33:                               ;   in Loop: Header=BB288_13 Depth=1
	s_or_saveexec_b64 s[26:27], s[26:27]
	v_mov_b32_e32 v32, s30
	s_xor_b64 exec, exec, s[26:27]
	s_cbranch_execnz .LBB288_229
.LBB288_34:                             ;   in Loop: Header=BB288_13 Depth=1
	s_or_b64 exec, exec, s[26:27]
	s_and_saveexec_b64 s[26:27], s[4:5]
	s_cbranch_execz .LBB288_36
.LBB288_35:                             ;   in Loop: Header=BB288_13 Depth=1
	v_and_b32_e32 v2, 7, v50
	v_ffbh_u32_e32 v0, v2
	v_min_u32_e32 v4, 32, v0
	v_subrev_u32_e32 v0, 28, v4
	v_bfe_u32 v3, v50, 3, 4
	v_lshlrev_b64 v[0:1], v0, v[50:51]
	v_sub_u32_e32 v1, 29, v4
	v_cmp_eq_u32_e64 s[4:5], 0, v3
	v_and_b32_e32 v0, 7, v0
	s_nop 0
	v_cndmask_b32_e64 v1, v3, v1, s[4:5]
	v_mov_b32_e32 v3, 0x1c00
	v_cndmask_b32_e64 v0, v2, v0, s[4:5]
	v_lshlrev_b32_e32 v2, 8, v50
	v_lshl_add_u32 v1, v1, 10, v3
	v_and_or_b32 v1, v2, s37, v1
	v_lshl_or_b32 v0, v0, 7, v1
	v_cvt_f32_f16_e32 v32, v0
.LBB288_36:                             ;   in Loop: Header=BB288_13 Depth=1
	s_or_b64 exec, exec, s[26:27]
	v_lshrrev_b16_e32 v8, 8, v50
	v_cmp_lt_i16_e64 s[4:5], s35, v8
	s_mov_b64 s[26:27], 0
                                        ; implicit-def: $sgpr38
	s_and_saveexec_b64 s[28:29], s[4:5]
	s_xor_b64 s[28:29], exec, s[28:29]
	s_cbranch_execnz .LBB288_230
; %bb.37:                               ;   in Loop: Header=BB288_13 Depth=1
	s_or_saveexec_b64 s[28:29], s[28:29]
	v_mov_b32_e32 v43, s38
	s_xor_b64 exec, exec, s[28:29]
	s_cbranch_execnz .LBB288_233
.LBB288_38:                             ;   in Loop: Header=BB288_13 Depth=1
	s_or_b64 exec, exec, s[28:29]
	s_and_saveexec_b64 s[28:29], s[26:27]
	s_cbranch_execz .LBB288_40
.LBB288_39:                             ;   in Loop: Header=BB288_13 Depth=1
	v_and_b32_e32 v2, 7, v8
	v_ffbh_u32_e32 v0, v2
	v_min_u32_e32 v4, 32, v0
	v_subrev_u32_e32 v0, 28, v4
	v_bfe_u32 v3, v8, 3, 4
	v_lshlrev_b64 v[0:1], v0, v[8:9]
	v_sub_u32_e32 v1, 29, v4
	v_cmp_eq_u32_e64 s[4:5], 0, v3
	v_and_b32_e32 v0, 7, v0
	s_nop 0
	v_cndmask_b32_e64 v1, v3, v1, s[4:5]
	v_mov_b32_e32 v3, 0x1c00
	v_cndmask_b32_e64 v0, v2, v0, s[4:5]
	v_lshlrev_b32_e32 v2, 8, v8
	v_lshl_add_u32 v1, v1, 10, v3
	v_and_or_b32 v1, v2, s37, v1
	v_lshl_or_b32 v0, v0, 7, v1
	v_cvt_f32_f16_e32 v43, v0
.LBB288_40:                             ;   in Loop: Header=BB288_13 Depth=1
	s_or_b64 exec, exec, s[28:29]
	v_lshrrev_b32_e32 v8, 16, v50
	v_cmp_gt_i16_sdwa s[26:27], v8, s35 src0_sel:BYTE_0 src1_sel:DWORD
	s_mov_b64 s[4:5], 0
                                        ; implicit-def: $sgpr30
	s_and_saveexec_b64 s[28:29], s[26:27]
	s_xor_b64 s[26:27], exec, s[28:29]
	s_cbranch_execnz .LBB288_234
; %bb.41:                               ;   in Loop: Header=BB288_13 Depth=1
	s_or_saveexec_b64 s[26:27], s[26:27]
	v_mov_b32_e32 v47, s30
	s_xor_b64 exec, exec, s[26:27]
	s_cbranch_execnz .LBB288_237
.LBB288_42:                             ;   in Loop: Header=BB288_13 Depth=1
	s_or_b64 exec, exec, s[26:27]
	s_and_saveexec_b64 s[26:27], s[4:5]
	s_cbranch_execz .LBB288_44
.LBB288_43:                             ;   in Loop: Header=BB288_13 Depth=1
	v_bfe_u32 v2, v50, 16, 3
	v_ffbh_u32_e32 v0, v2
	v_min_u32_e32 v4, 32, v0
	v_subrev_u32_e32 v0, 28, v4
	v_bfe_u32 v3, v50, 19, 4
	v_lshlrev_b64 v[0:1], v0, v[8:9]
	v_sub_u32_e32 v1, 29, v4
	v_cmp_eq_u32_e64 s[4:5], 0, v3
	v_and_b32_e32 v0, 7, v0
	s_nop 0
	v_cndmask_b32_e64 v1, v3, v1, s[4:5]
	v_mov_b32_e32 v3, 0x1c00
	v_cndmask_b32_e64 v0, v2, v0, s[4:5]
	v_lshlrev_b32_e32 v2, 8, v8
	v_lshl_add_u32 v1, v1, 10, v3
	v_and_or_b32 v1, v2, s37, v1
	v_lshl_or_b32 v0, v0, 7, v1
	v_cvt_f32_f16_e32 v47, v0
.LBB288_44:                             ;   in Loop: Header=BB288_13 Depth=1
	s_or_b64 exec, exec, s[26:27]
	v_lshrrev_b32_e32 v8, 24, v50
	v_cmp_lt_i16_e64 s[4:5], s35, v8
	s_mov_b64 s[26:27], 0
                                        ; implicit-def: $sgpr38
	s_and_saveexec_b64 s[28:29], s[4:5]
	s_xor_b64 s[28:29], exec, s[28:29]
	s_cbranch_execnz .LBB288_238
; %bb.45:                               ;   in Loop: Header=BB288_13 Depth=1
	s_or_saveexec_b64 s[28:29], s[28:29]
	v_mov_b32_e32 v58, s38
	s_xor_b64 exec, exec, s[28:29]
	s_cbranch_execnz .LBB288_241
.LBB288_46:                             ;   in Loop: Header=BB288_13 Depth=1
	s_or_b64 exec, exec, s[28:29]
	s_and_saveexec_b64 s[28:29], s[26:27]
	s_cbranch_execz .LBB288_48
.LBB288_47:                             ;   in Loop: Header=BB288_13 Depth=1
	v_bfe_u32 v2, v50, 24, 3
	v_ffbh_u32_e32 v0, v2
	v_min_u32_e32 v4, 32, v0
	v_subrev_u32_e32 v0, 28, v4
	v_bfe_u32 v3, v50, 27, 4
	v_lshlrev_b64 v[0:1], v0, v[8:9]
	v_sub_u32_e32 v1, 29, v4
	v_cmp_eq_u32_e64 s[4:5], 0, v3
	v_and_b32_e32 v0, 7, v0
	s_nop 0
	v_cndmask_b32_e64 v1, v3, v1, s[4:5]
	v_mov_b32_e32 v3, 0x1c00
	v_cndmask_b32_e64 v0, v2, v0, s[4:5]
	v_lshlrev_b32_e32 v2, 8, v8
	v_lshl_add_u32 v1, v1, 10, v3
	v_and_or_b32 v1, v2, s37, v1
	v_lshl_or_b32 v0, v0, 7, v1
	v_cvt_f32_f16_e32 v58, v0
.LBB288_48:                             ;   in Loop: Header=BB288_13 Depth=1
	s_or_b64 exec, exec, s[28:29]
	flat_load_dword v50, v[48:49] offset:512
	s_mov_b64 s[4:5], 0
                                        ; implicit-def: $sgpr30
	s_waitcnt vmcnt(0) lgkmcnt(0)
	v_cmp_gt_i16_sdwa s[26:27], v50, s35 src0_sel:BYTE_0 src1_sel:DWORD
	s_and_saveexec_b64 s[28:29], s[26:27]
	s_xor_b64 s[26:27], exec, s[28:29]
	s_cbranch_execnz .LBB288_242
; %bb.49:                               ;   in Loop: Header=BB288_13 Depth=1
	s_or_saveexec_b64 s[26:27], s[26:27]
	v_mov_b32_e32 v42, s30
	s_xor_b64 exec, exec, s[26:27]
	s_cbranch_execnz .LBB288_245
.LBB288_50:                             ;   in Loop: Header=BB288_13 Depth=1
	s_or_b64 exec, exec, s[26:27]
	s_and_saveexec_b64 s[26:27], s[4:5]
	s_cbranch_execz .LBB288_52
.LBB288_51:                             ;   in Loop: Header=BB288_13 Depth=1
	v_and_b32_e32 v2, 7, v50
	v_ffbh_u32_e32 v0, v2
	v_min_u32_e32 v4, 32, v0
	v_subrev_u32_e32 v0, 28, v4
	v_bfe_u32 v3, v50, 3, 4
	v_lshlrev_b64 v[0:1], v0, v[50:51]
	v_sub_u32_e32 v1, 29, v4
	v_cmp_eq_u32_e64 s[4:5], 0, v3
	v_and_b32_e32 v0, 7, v0
	s_nop 0
	v_cndmask_b32_e64 v1, v3, v1, s[4:5]
	v_mov_b32_e32 v3, 0x1c00
	v_cndmask_b32_e64 v0, v2, v0, s[4:5]
	v_lshlrev_b32_e32 v2, 8, v50
	v_lshl_add_u32 v1, v1, 10, v3
	v_and_or_b32 v1, v2, s37, v1
	v_lshl_or_b32 v0, v0, 7, v1
	v_cvt_f32_f16_e32 v42, v0
.LBB288_52:                             ;   in Loop: Header=BB288_13 Depth=1
	s_or_b64 exec, exec, s[26:27]
	v_lshrrev_b16_e32 v8, 8, v50
	v_cmp_lt_i16_e64 s[4:5], s35, v8
	s_mov_b64 s[26:27], 0
                                        ; implicit-def: $sgpr38
	s_and_saveexec_b64 s[28:29], s[4:5]
	s_xor_b64 s[28:29], exec, s[28:29]
	s_cbranch_execnz .LBB288_246
; %bb.53:                               ;   in Loop: Header=BB288_13 Depth=1
	s_or_saveexec_b64 s[28:29], s[28:29]
	v_mov_b32_e32 v31, s38
	s_xor_b64 exec, exec, s[28:29]
	s_cbranch_execnz .LBB288_249
.LBB288_54:                             ;   in Loop: Header=BB288_13 Depth=1
	s_or_b64 exec, exec, s[28:29]
	s_and_saveexec_b64 s[28:29], s[26:27]
	s_cbranch_execz .LBB288_56
.LBB288_55:                             ;   in Loop: Header=BB288_13 Depth=1
	v_and_b32_e32 v2, 7, v8
	v_ffbh_u32_e32 v0, v2
	v_min_u32_e32 v4, 32, v0
	v_subrev_u32_e32 v0, 28, v4
	v_bfe_u32 v3, v8, 3, 4
	v_lshlrev_b64 v[0:1], v0, v[8:9]
	v_sub_u32_e32 v1, 29, v4
	v_cmp_eq_u32_e64 s[4:5], 0, v3
	v_and_b32_e32 v0, 7, v0
	s_nop 0
	v_cndmask_b32_e64 v1, v3, v1, s[4:5]
	v_mov_b32_e32 v3, 0x1c00
	v_cndmask_b32_e64 v0, v2, v0, s[4:5]
	v_lshlrev_b32_e32 v2, 8, v8
	v_lshl_add_u32 v1, v1, 10, v3
	v_and_or_b32 v1, v2, s37, v1
	v_lshl_or_b32 v0, v0, 7, v1
	v_cvt_f32_f16_e32 v31, v0
.LBB288_56:                             ;   in Loop: Header=BB288_13 Depth=1
	s_or_b64 exec, exec, s[28:29]
	v_lshrrev_b32_e32 v8, 16, v50
	v_cmp_gt_i16_sdwa s[26:27], v8, s35 src0_sel:BYTE_0 src1_sel:DWORD
	s_mov_b64 s[4:5], 0
                                        ; implicit-def: $sgpr30
	s_and_saveexec_b64 s[28:29], s[26:27]
	s_xor_b64 s[26:27], exec, s[28:29]
	s_cbranch_execnz .LBB288_250
; %bb.57:                               ;   in Loop: Header=BB288_13 Depth=1
	s_or_saveexec_b64 s[26:27], s[26:27]
	v_mov_b32_e32 v4, s30
	s_xor_b64 exec, exec, s[26:27]
	s_cbranch_execnz .LBB288_253
.LBB288_58:                             ;   in Loop: Header=BB288_13 Depth=1
	s_or_b64 exec, exec, s[26:27]
	s_and_saveexec_b64 s[26:27], s[4:5]
	s_cbranch_execz .LBB288_60
.LBB288_59:                             ;   in Loop: Header=BB288_13 Depth=1
	v_bfe_u32 v2, v50, 16, 3
	v_ffbh_u32_e32 v0, v2
	v_min_u32_e32 v4, 32, v0
	v_subrev_u32_e32 v0, 28, v4
	v_bfe_u32 v3, v50, 19, 4
	v_lshlrev_b64 v[0:1], v0, v[8:9]
	v_sub_u32_e32 v1, 29, v4
	v_cmp_eq_u32_e64 s[4:5], 0, v3
	v_and_b32_e32 v0, 7, v0
	s_nop 0
	v_cndmask_b32_e64 v1, v3, v1, s[4:5]
	v_mov_b32_e32 v3, 0x1c00
	v_cndmask_b32_e64 v0, v2, v0, s[4:5]
	v_lshlrev_b32_e32 v2, 8, v8
	v_lshl_add_u32 v1, v1, 10, v3
	v_and_or_b32 v1, v2, s37, v1
	v_lshl_or_b32 v0, v0, 7, v1
	v_cvt_f32_f16_e32 v4, v0
.LBB288_60:                             ;   in Loop: Header=BB288_13 Depth=1
	s_or_b64 exec, exec, s[26:27]
	v_lshrrev_b32_e32 v8, 24, v50
	v_cmp_lt_i16_e64 s[4:5], s35, v8
	s_mov_b64 s[26:27], 0
                                        ; implicit-def: $sgpr38
	s_and_saveexec_b64 s[28:29], s[4:5]
	s_xor_b64 s[28:29], exec, s[28:29]
	s_cbranch_execnz .LBB288_254
; %bb.61:                               ;   in Loop: Header=BB288_13 Depth=1
	s_or_saveexec_b64 s[28:29], s[28:29]
	v_mov_b32_e32 v5, s38
	s_xor_b64 exec, exec, s[28:29]
	s_cbranch_execnz .LBB288_257
.LBB288_62:                             ;   in Loop: Header=BB288_13 Depth=1
	s_or_b64 exec, exec, s[28:29]
	s_and_saveexec_b64 s[28:29], s[26:27]
	s_cbranch_execz .LBB288_64
.LBB288_63:                             ;   in Loop: Header=BB288_13 Depth=1
	v_bfe_u32 v2, v50, 24, 3
	v_ffbh_u32_e32 v0, v2
	v_min_u32_e32 v6, 32, v0
	v_subrev_u32_e32 v0, 28, v6
	v_bfe_u32 v3, v50, 27, 4
	v_lshlrev_b64 v[0:1], v0, v[8:9]
	v_sub_u32_e32 v1, 29, v6
	v_cmp_eq_u32_e64 s[4:5], 0, v3
	v_and_b32_e32 v0, 7, v0
	s_nop 0
	v_cndmask_b32_e64 v1, v3, v1, s[4:5]
	v_mov_b32_e32 v3, 0x1c00
	v_cndmask_b32_e64 v0, v2, v0, s[4:5]
	v_lshlrev_b32_e32 v2, 8, v8
	v_lshl_add_u32 v1, v1, 10, v3
	v_and_or_b32 v1, v2, s37, v1
	v_lshl_or_b32 v0, v0, 7, v1
	v_cvt_f32_f16_e32 v5, v0
.LBB288_64:                             ;   in Loop: Header=BB288_13 Depth=1
	s_or_b64 exec, exec, s[28:29]
	flat_load_dword v50, v[48:49] offset:520
	s_mov_b64 s[4:5], 0
                                        ; implicit-def: $sgpr30
	s_waitcnt vmcnt(0) lgkmcnt(0)
	v_cmp_gt_i16_sdwa s[26:27], v50, s35 src0_sel:BYTE_0 src1_sel:DWORD
	s_and_saveexec_b64 s[28:29], s[26:27]
	s_xor_b64 s[26:27], exec, s[28:29]
	s_cbranch_execnz .LBB288_258
; %bb.65:                               ;   in Loop: Header=BB288_13 Depth=1
	s_or_saveexec_b64 s[26:27], s[26:27]
	v_mov_b32_e32 v33, s30
	s_xor_b64 exec, exec, s[26:27]
	s_cbranch_execnz .LBB288_261
.LBB288_66:                             ;   in Loop: Header=BB288_13 Depth=1
	s_or_b64 exec, exec, s[26:27]
	s_and_saveexec_b64 s[26:27], s[4:5]
	s_cbranch_execz .LBB288_68
.LBB288_67:                             ;   in Loop: Header=BB288_13 Depth=1
	v_and_b32_e32 v2, 7, v50
	v_ffbh_u32_e32 v0, v2
	v_min_u32_e32 v6, 32, v0
	v_subrev_u32_e32 v0, 28, v6
	v_bfe_u32 v3, v50, 3, 4
	v_lshlrev_b64 v[0:1], v0, v[50:51]
	v_sub_u32_e32 v1, 29, v6
	v_cmp_eq_u32_e64 s[4:5], 0, v3
	v_and_b32_e32 v0, 7, v0
	s_nop 0
	v_cndmask_b32_e64 v1, v3, v1, s[4:5]
	v_mov_b32_e32 v3, 0x1c00
	v_cndmask_b32_e64 v0, v2, v0, s[4:5]
	v_lshlrev_b32_e32 v2, 8, v50
	v_lshl_add_u32 v1, v1, 10, v3
	v_and_or_b32 v1, v2, s37, v1
	v_lshl_or_b32 v0, v0, 7, v1
	v_cvt_f32_f16_e32 v33, v0
.LBB288_68:                             ;   in Loop: Header=BB288_13 Depth=1
	s_or_b64 exec, exec, s[26:27]
	v_lshrrev_b16_e32 v8, 8, v50
	v_cmp_lt_i16_e64 s[4:5], s35, v8
	s_mov_b64 s[26:27], 0
                                        ; implicit-def: $sgpr38
	s_and_saveexec_b64 s[28:29], s[4:5]
	s_xor_b64 s[28:29], exec, s[28:29]
	s_cbranch_execnz .LBB288_262
; %bb.69:                               ;   in Loop: Header=BB288_13 Depth=1
	s_or_saveexec_b64 s[28:29], s[28:29]
	v_mov_b32_e32 v38, s38
	s_xor_b64 exec, exec, s[28:29]
	s_cbranch_execnz .LBB288_265
.LBB288_70:                             ;   in Loop: Header=BB288_13 Depth=1
	s_or_b64 exec, exec, s[28:29]
	s_and_saveexec_b64 s[28:29], s[26:27]
	s_cbranch_execz .LBB288_72
.LBB288_71:                             ;   in Loop: Header=BB288_13 Depth=1
	v_and_b32_e32 v2, 7, v8
	v_ffbh_u32_e32 v0, v2
	v_min_u32_e32 v6, 32, v0
	v_subrev_u32_e32 v0, 28, v6
	v_bfe_u32 v3, v8, 3, 4
	v_lshlrev_b64 v[0:1], v0, v[8:9]
	v_sub_u32_e32 v1, 29, v6
	v_cmp_eq_u32_e64 s[4:5], 0, v3
	v_and_b32_e32 v0, 7, v0
	s_nop 0
	v_cndmask_b32_e64 v1, v3, v1, s[4:5]
	v_mov_b32_e32 v3, 0x1c00
	v_cndmask_b32_e64 v0, v2, v0, s[4:5]
	v_lshlrev_b32_e32 v2, 8, v8
	v_lshl_add_u32 v1, v1, 10, v3
	v_and_or_b32 v1, v2, s37, v1
	v_lshl_or_b32 v0, v0, 7, v1
	v_cvt_f32_f16_e32 v38, v0
.LBB288_72:                             ;   in Loop: Header=BB288_13 Depth=1
	s_or_b64 exec, exec, s[28:29]
	v_lshrrev_b32_e32 v8, 16, v50
	v_cmp_gt_i16_sdwa s[26:27], v8, s35 src0_sel:BYTE_0 src1_sel:DWORD
	s_mov_b64 s[4:5], 0
                                        ; implicit-def: $sgpr30
	s_and_saveexec_b64 s[28:29], s[26:27]
	s_xor_b64 s[26:27], exec, s[28:29]
	s_cbranch_execnz .LBB288_266
; %bb.73:                               ;   in Loop: Header=BB288_13 Depth=1
	s_or_saveexec_b64 s[26:27], s[26:27]
	v_mov_b32_e32 v39, s30
	s_xor_b64 exec, exec, s[26:27]
	s_cbranch_execnz .LBB288_269
.LBB288_74:                             ;   in Loop: Header=BB288_13 Depth=1
	s_or_b64 exec, exec, s[26:27]
	s_and_saveexec_b64 s[26:27], s[4:5]
	s_cbranch_execz .LBB288_76
.LBB288_75:                             ;   in Loop: Header=BB288_13 Depth=1
	v_bfe_u32 v2, v50, 16, 3
	v_ffbh_u32_e32 v0, v2
	v_min_u32_e32 v6, 32, v0
	v_subrev_u32_e32 v0, 28, v6
	v_bfe_u32 v3, v50, 19, 4
	v_lshlrev_b64 v[0:1], v0, v[8:9]
	v_sub_u32_e32 v1, 29, v6
	v_cmp_eq_u32_e64 s[4:5], 0, v3
	v_and_b32_e32 v0, 7, v0
	s_nop 0
	v_cndmask_b32_e64 v1, v3, v1, s[4:5]
	v_mov_b32_e32 v3, 0x1c00
	v_cndmask_b32_e64 v0, v2, v0, s[4:5]
	v_lshlrev_b32_e32 v2, 8, v8
	v_lshl_add_u32 v1, v1, 10, v3
	v_and_or_b32 v1, v2, s37, v1
	v_lshl_or_b32 v0, v0, 7, v1
	v_cvt_f32_f16_e32 v39, v0
.LBB288_76:                             ;   in Loop: Header=BB288_13 Depth=1
	s_or_b64 exec, exec, s[26:27]
	v_lshrrev_b32_e32 v8, 24, v50
	v_cmp_lt_i16_e64 s[4:5], s35, v8
	s_mov_b64 s[26:27], 0
                                        ; implicit-def: $sgpr38
	s_and_saveexec_b64 s[28:29], s[4:5]
	s_xor_b64 s[28:29], exec, s[28:29]
	s_cbranch_execnz .LBB288_270
; %bb.77:                               ;   in Loop: Header=BB288_13 Depth=1
	s_or_saveexec_b64 s[28:29], s[28:29]
	v_mov_b32_e32 v57, s38
	s_xor_b64 exec, exec, s[28:29]
	s_cbranch_execnz .LBB288_273
.LBB288_78:                             ;   in Loop: Header=BB288_13 Depth=1
	s_or_b64 exec, exec, s[28:29]
	s_and_saveexec_b64 s[28:29], s[26:27]
	s_cbranch_execz .LBB288_80
.LBB288_79:                             ;   in Loop: Header=BB288_13 Depth=1
	v_bfe_u32 v2, v50, 24, 3
	v_ffbh_u32_e32 v0, v2
	v_min_u32_e32 v6, 32, v0
	v_subrev_u32_e32 v0, 28, v6
	v_bfe_u32 v3, v50, 27, 4
	v_lshlrev_b64 v[0:1], v0, v[8:9]
	v_sub_u32_e32 v1, 29, v6
	v_cmp_eq_u32_e64 s[4:5], 0, v3
	v_and_b32_e32 v0, 7, v0
	s_nop 0
	v_cndmask_b32_e64 v1, v3, v1, s[4:5]
	v_mov_b32_e32 v3, 0x1c00
	v_cndmask_b32_e64 v0, v2, v0, s[4:5]
	v_lshlrev_b32_e32 v2, 8, v8
	v_lshl_add_u32 v1, v1, 10, v3
	v_and_or_b32 v1, v2, s37, v1
	v_lshl_or_b32 v0, v0, 7, v1
	v_cvt_f32_f16_e32 v57, v0
.LBB288_80:                             ;   in Loop: Header=BB288_13 Depth=1
	s_or_b64 exec, exec, s[28:29]
	flat_load_dword v50, v[48:49] offset:1024
	s_mov_b64 s[4:5], 0
                                        ; implicit-def: $sgpr30
	s_waitcnt vmcnt(0) lgkmcnt(0)
	v_cmp_gt_i16_sdwa s[26:27], v50, s35 src0_sel:BYTE_0 src1_sel:DWORD
	s_and_saveexec_b64 s[28:29], s[26:27]
	s_xor_b64 s[26:27], exec, s[28:29]
	s_cbranch_execnz .LBB288_274
; %bb.81:                               ;   in Loop: Header=BB288_13 Depth=1
	s_or_saveexec_b64 s[26:27], s[26:27]
	v_mov_b32_e32 v30, s30
	s_xor_b64 exec, exec, s[26:27]
	s_cbranch_execnz .LBB288_277
.LBB288_82:                             ;   in Loop: Header=BB288_13 Depth=1
	s_or_b64 exec, exec, s[26:27]
	s_and_saveexec_b64 s[26:27], s[4:5]
	s_cbranch_execz .LBB288_84
.LBB288_83:                             ;   in Loop: Header=BB288_13 Depth=1
	v_and_b32_e32 v2, 7, v50
	v_ffbh_u32_e32 v0, v2
	v_min_u32_e32 v6, 32, v0
	v_subrev_u32_e32 v0, 28, v6
	v_bfe_u32 v3, v50, 3, 4
	v_lshlrev_b64 v[0:1], v0, v[50:51]
	v_sub_u32_e32 v1, 29, v6
	v_cmp_eq_u32_e64 s[4:5], 0, v3
	v_and_b32_e32 v0, 7, v0
	s_nop 0
	v_cndmask_b32_e64 v1, v3, v1, s[4:5]
	v_mov_b32_e32 v3, 0x1c00
	v_cndmask_b32_e64 v0, v2, v0, s[4:5]
	v_lshlrev_b32_e32 v2, 8, v50
	v_lshl_add_u32 v1, v1, 10, v3
	v_and_or_b32 v1, v2, s37, v1
	v_lshl_or_b32 v0, v0, 7, v1
	v_cvt_f32_f16_e32 v30, v0
.LBB288_84:                             ;   in Loop: Header=BB288_13 Depth=1
	s_or_b64 exec, exec, s[26:27]
	v_lshrrev_b16_e32 v8, 8, v50
	v_cmp_lt_i16_e64 s[4:5], s35, v8
	s_mov_b64 s[26:27], 0
                                        ; implicit-def: $sgpr38
	s_and_saveexec_b64 s[28:29], s[4:5]
	s_xor_b64 s[28:29], exec, s[28:29]
	s_cbranch_execnz .LBB288_278
; %bb.85:                               ;   in Loop: Header=BB288_13 Depth=1
	s_or_saveexec_b64 s[28:29], s[28:29]
	v_mov_b32_e32 v40, s38
	s_xor_b64 exec, exec, s[28:29]
	s_cbranch_execnz .LBB288_281
.LBB288_86:                             ;   in Loop: Header=BB288_13 Depth=1
	s_or_b64 exec, exec, s[28:29]
	s_and_saveexec_b64 s[28:29], s[26:27]
	s_cbranch_execz .LBB288_88
.LBB288_87:                             ;   in Loop: Header=BB288_13 Depth=1
	v_and_b32_e32 v2, 7, v8
	v_ffbh_u32_e32 v0, v2
	v_min_u32_e32 v6, 32, v0
	v_subrev_u32_e32 v0, 28, v6
	v_bfe_u32 v3, v8, 3, 4
	v_lshlrev_b64 v[0:1], v0, v[8:9]
	v_sub_u32_e32 v1, 29, v6
	v_cmp_eq_u32_e64 s[4:5], 0, v3
	v_and_b32_e32 v0, 7, v0
	s_nop 0
	v_cndmask_b32_e64 v1, v3, v1, s[4:5]
	v_mov_b32_e32 v3, 0x1c00
	v_cndmask_b32_e64 v0, v2, v0, s[4:5]
	v_lshlrev_b32_e32 v2, 8, v8
	v_lshl_add_u32 v1, v1, 10, v3
	v_and_or_b32 v1, v2, s37, v1
	v_lshl_or_b32 v0, v0, 7, v1
	v_cvt_f32_f16_e32 v40, v0
.LBB288_88:                             ;   in Loop: Header=BB288_13 Depth=1
	s_or_b64 exec, exec, s[28:29]
	v_lshrrev_b32_e32 v8, 16, v50
	v_cmp_gt_i16_sdwa s[26:27], v8, s35 src0_sel:BYTE_0 src1_sel:DWORD
	s_mov_b64 s[4:5], 0
                                        ; implicit-def: $sgpr30
	s_and_saveexec_b64 s[28:29], s[26:27]
	s_xor_b64 s[26:27], exec, s[28:29]
	s_cbranch_execnz .LBB288_282
; %bb.89:                               ;   in Loop: Header=BB288_13 Depth=1
	s_or_saveexec_b64 s[26:27], s[26:27]
	v_mov_b32_e32 v11, s30
	s_xor_b64 exec, exec, s[26:27]
	s_cbranch_execnz .LBB288_285
.LBB288_90:                             ;   in Loop: Header=BB288_13 Depth=1
	s_or_b64 exec, exec, s[26:27]
	s_and_saveexec_b64 s[26:27], s[4:5]
	s_cbranch_execz .LBB288_92
.LBB288_91:                             ;   in Loop: Header=BB288_13 Depth=1
	v_bfe_u32 v2, v50, 16, 3
	v_ffbh_u32_e32 v0, v2
	v_min_u32_e32 v6, 32, v0
	v_subrev_u32_e32 v0, 28, v6
	v_bfe_u32 v3, v50, 19, 4
	v_lshlrev_b64 v[0:1], v0, v[8:9]
	v_sub_u32_e32 v1, 29, v6
	v_cmp_eq_u32_e64 s[4:5], 0, v3
	v_and_b32_e32 v0, 7, v0
	s_nop 0
	v_cndmask_b32_e64 v1, v3, v1, s[4:5]
	v_mov_b32_e32 v3, 0x1c00
	v_cndmask_b32_e64 v0, v2, v0, s[4:5]
	v_lshlrev_b32_e32 v2, 8, v8
	v_lshl_add_u32 v1, v1, 10, v3
	v_and_or_b32 v1, v2, s37, v1
	v_lshl_or_b32 v0, v0, 7, v1
	v_cvt_f32_f16_e32 v11, v0
.LBB288_92:                             ;   in Loop: Header=BB288_13 Depth=1
	s_or_b64 exec, exec, s[26:27]
	v_lshrrev_b32_e32 v8, 24, v50
	v_cmp_lt_i16_e64 s[4:5], s35, v8
	s_mov_b64 s[26:27], 0
                                        ; implicit-def: $sgpr38
	s_and_saveexec_b64 s[28:29], s[4:5]
	s_xor_b64 s[28:29], exec, s[28:29]
	s_cbranch_execnz .LBB288_286
; %bb.93:                               ;   in Loop: Header=BB288_13 Depth=1
	s_or_saveexec_b64 s[28:29], s[28:29]
	v_mov_b32_e32 v10, s38
	s_xor_b64 exec, exec, s[28:29]
	s_cbranch_execnz .LBB288_289
.LBB288_94:                             ;   in Loop: Header=BB288_13 Depth=1
	s_or_b64 exec, exec, s[28:29]
	s_and_saveexec_b64 s[28:29], s[26:27]
	s_cbranch_execz .LBB288_96
.LBB288_95:                             ;   in Loop: Header=BB288_13 Depth=1
	v_bfe_u32 v2, v50, 24, 3
	v_ffbh_u32_e32 v0, v2
	v_min_u32_e32 v6, 32, v0
	v_subrev_u32_e32 v0, 28, v6
	v_bfe_u32 v3, v50, 27, 4
	v_lshlrev_b64 v[0:1], v0, v[8:9]
	v_sub_u32_e32 v1, 29, v6
	v_cmp_eq_u32_e64 s[4:5], 0, v3
	v_and_b32_e32 v0, 7, v0
	s_nop 0
	v_cndmask_b32_e64 v1, v3, v1, s[4:5]
	v_mov_b32_e32 v3, 0x1c00
	v_cndmask_b32_e64 v0, v2, v0, s[4:5]
	v_lshlrev_b32_e32 v2, 8, v8
	v_lshl_add_u32 v1, v1, 10, v3
	v_and_or_b32 v1, v2, s37, v1
	v_lshl_or_b32 v0, v0, 7, v1
	v_cvt_f32_f16_e32 v10, v0
.LBB288_96:                             ;   in Loop: Header=BB288_13 Depth=1
	s_or_b64 exec, exec, s[28:29]
	flat_load_dword v50, v[48:49] offset:1032
	s_mov_b64 s[4:5], 0
                                        ; implicit-def: $sgpr30
	s_waitcnt vmcnt(0) lgkmcnt(0)
	v_cmp_gt_i16_sdwa s[26:27], v50, s35 src0_sel:BYTE_0 src1_sel:DWORD
	s_and_saveexec_b64 s[28:29], s[26:27]
	s_xor_b64 s[26:27], exec, s[28:29]
	s_cbranch_execnz .LBB288_290
; %bb.97:                               ;   in Loop: Header=BB288_13 Depth=1
	s_or_saveexec_b64 s[26:27], s[26:27]
	v_mov_b32_e32 v1, s30
	s_xor_b64 exec, exec, s[26:27]
	s_cbranch_execnz .LBB288_293
.LBB288_98:                             ;   in Loop: Header=BB288_13 Depth=1
	s_or_b64 exec, exec, s[26:27]
	s_and_saveexec_b64 s[26:27], s[4:5]
	s_cbranch_execz .LBB288_100
.LBB288_99:                             ;   in Loop: Header=BB288_13 Depth=1
	v_and_b32_e32 v2, 7, v50
	v_ffbh_u32_e32 v0, v2
	v_min_u32_e32 v6, 32, v0
	v_subrev_u32_e32 v0, 28, v6
	v_bfe_u32 v3, v50, 3, 4
	v_lshlrev_b64 v[0:1], v0, v[50:51]
	v_sub_u32_e32 v1, 29, v6
	v_cmp_eq_u32_e64 s[4:5], 0, v3
	v_and_b32_e32 v0, 7, v0
	s_nop 0
	v_cndmask_b32_e64 v1, v3, v1, s[4:5]
	v_mov_b32_e32 v3, 0x1c00
	v_cndmask_b32_e64 v0, v2, v0, s[4:5]
	v_lshlrev_b32_e32 v2, 8, v50
	v_lshl_add_u32 v1, v1, 10, v3
	v_and_or_b32 v1, v2, s37, v1
	v_lshl_or_b32 v0, v0, 7, v1
	v_cvt_f32_f16_e32 v1, v0
.LBB288_100:                            ;   in Loop: Header=BB288_13 Depth=1
	s_or_b64 exec, exec, s[26:27]
	v_lshrrev_b16_e32 v8, 8, v50
	v_cmp_lt_i16_e64 s[4:5], s35, v8
	s_mov_b64 s[26:27], 0
                                        ; implicit-def: $sgpr38
	s_and_saveexec_b64 s[28:29], s[4:5]
	s_xor_b64 s[28:29], exec, s[28:29]
	s_cbranch_execnz .LBB288_294
; %bb.101:                              ;   in Loop: Header=BB288_13 Depth=1
	s_or_saveexec_b64 s[28:29], s[28:29]
	v_mov_b32_e32 v0, s38
	s_xor_b64 exec, exec, s[28:29]
	s_cbranch_execnz .LBB288_297
.LBB288_102:                            ;   in Loop: Header=BB288_13 Depth=1
	s_or_b64 exec, exec, s[28:29]
	s_and_saveexec_b64 s[28:29], s[26:27]
	s_cbranch_execz .LBB288_104
.LBB288_103:                            ;   in Loop: Header=BB288_13 Depth=1
	v_and_b32_e32 v0, 7, v8
	v_ffbh_u32_e32 v2, v0
	v_min_u32_e32 v7, 32, v2
	v_subrev_u32_e32 v2, 28, v7
	v_bfe_u32 v6, v8, 3, 4
	v_lshlrev_b64 v[2:3], v2, v[8:9]
	v_sub_u32_e32 v3, 29, v7
	v_cmp_eq_u32_e64 s[4:5], 0, v6
	v_and_b32_e32 v2, 7, v2
	s_nop 0
	v_cndmask_b32_e64 v3, v6, v3, s[4:5]
	v_mov_b32_e32 v6, 0x1c00
	v_cndmask_b32_e64 v0, v0, v2, s[4:5]
	v_lshlrev_b32_e32 v2, 8, v8
	v_lshl_add_u32 v3, v3, 10, v6
	v_and_or_b32 v2, v2, s37, v3
	v_lshl_or_b32 v0, v0, 7, v2
	v_cvt_f32_f16_e32 v0, v0
.LBB288_104:                            ;   in Loop: Header=BB288_13 Depth=1
	s_or_b64 exec, exec, s[28:29]
	v_lshrrev_b32_e32 v8, 16, v50
	v_cmp_gt_i16_sdwa s[26:27], v8, s35 src0_sel:BYTE_0 src1_sel:DWORD
	s_mov_b64 s[4:5], 0
                                        ; implicit-def: $sgpr30
	s_and_saveexec_b64 s[28:29], s[26:27]
	s_xor_b64 s[26:27], exec, s[28:29]
	s_cbranch_execnz .LBB288_298
; %bb.105:                              ;   in Loop: Header=BB288_13 Depth=1
	s_or_saveexec_b64 s[26:27], s[26:27]
	v_mov_b32_e32 v3, s30
	s_xor_b64 exec, exec, s[26:27]
	s_cbranch_execnz .LBB288_301
.LBB288_106:                            ;   in Loop: Header=BB288_13 Depth=1
	s_or_b64 exec, exec, s[26:27]
	s_and_saveexec_b64 s[26:27], s[4:5]
	s_cbranch_execz .LBB288_108
.LBB288_107:                            ;   in Loop: Header=BB288_13 Depth=1
	v_bfe_u32 v6, v50, 16, 3
	v_ffbh_u32_e32 v2, v6
	v_min_u32_e32 v12, 32, v2
	v_subrev_u32_e32 v2, 28, v12
	v_bfe_u32 v7, v50, 19, 4
	v_lshlrev_b64 v[2:3], v2, v[8:9]
	v_sub_u32_e32 v3, 29, v12
	v_cmp_eq_u32_e64 s[4:5], 0, v7
	v_and_b32_e32 v2, 7, v2
	s_nop 0
	v_cndmask_b32_e64 v3, v7, v3, s[4:5]
	v_mov_b32_e32 v7, 0x1c00
	v_cndmask_b32_e64 v2, v6, v2, s[4:5]
	v_lshlrev_b32_e32 v6, 8, v8
	v_lshl_add_u32 v3, v3, 10, v7
	v_and_or_b32 v3, v6, s37, v3
	v_lshl_or_b32 v2, v2, 7, v3
	v_cvt_f32_f16_e32 v3, v2
.LBB288_108:                            ;   in Loop: Header=BB288_13 Depth=1
	s_or_b64 exec, exec, s[26:27]
	v_lshrrev_b32_e32 v8, 24, v50
	v_cmp_lt_i16_e64 s[4:5], s35, v8
	s_mov_b64 s[26:27], 0
                                        ; implicit-def: $sgpr38
	s_and_saveexec_b64 s[28:29], s[4:5]
	s_xor_b64 s[28:29], exec, s[28:29]
	s_cbranch_execnz .LBB288_302
; %bb.109:                              ;   in Loop: Header=BB288_13 Depth=1
	s_or_saveexec_b64 s[28:29], s[28:29]
	v_mov_b32_e32 v2, s38
	s_xor_b64 exec, exec, s[28:29]
	s_cbranch_execnz .LBB288_305
.LBB288_110:                            ;   in Loop: Header=BB288_13 Depth=1
	s_or_b64 exec, exec, s[28:29]
	s_and_saveexec_b64 s[28:29], s[26:27]
	s_cbranch_execz .LBB288_112
.LBB288_111:                            ;   in Loop: Header=BB288_13 Depth=1
	v_bfe_u32 v2, v50, 24, 3
	v_ffbh_u32_e32 v6, v2
	v_min_u32_e32 v13, 32, v6
	v_subrev_u32_e32 v6, 28, v13
	v_bfe_u32 v12, v50, 27, 4
	v_lshlrev_b64 v[6:7], v6, v[8:9]
	v_sub_u32_e32 v7, 29, v13
	v_and_b32_e32 v6, 7, v6
	v_cmp_eq_u32_e64 s[4:5], 0, v12
	s_nop 1
	v_cndmask_b32_e64 v7, v12, v7, s[4:5]
	v_cndmask_b32_e64 v2, v2, v6, s[4:5]
	v_lshlrev_b32_e32 v6, 8, v8
	v_mov_b32_e32 v8, 0x1c00
	v_lshl_add_u32 v7, v7, 10, v8
	v_and_or_b32 v6, v6, s37, v7
	v_lshl_or_b32 v2, v2, 7, v6
	v_cvt_f32_f16_e32 v2, v2
.LBB288_112:                            ;   in Loop: Header=BB288_13 Depth=1
	s_or_b64 exec, exec, s[28:29]
	flat_load_dword v50, v[48:49] offset:1536
	s_mov_b64 s[4:5], 0
                                        ; implicit-def: $sgpr30
	s_waitcnt vmcnt(0) lgkmcnt(0)
	v_cmp_gt_i16_sdwa s[26:27], v50, s35 src0_sel:BYTE_0 src1_sel:DWORD
	s_and_saveexec_b64 s[28:29], s[26:27]
	s_xor_b64 s[26:27], exec, s[28:29]
	s_cbranch_execnz .LBB288_306
; %bb.113:                              ;   in Loop: Header=BB288_13 Depth=1
	s_or_saveexec_b64 s[26:27], s[26:27]
	v_mov_b32_e32 v13, s30
	s_xor_b64 exec, exec, s[26:27]
	s_cbranch_execnz .LBB288_309
.LBB288_114:                            ;   in Loop: Header=BB288_13 Depth=1
	s_or_b64 exec, exec, s[26:27]
	s_and_saveexec_b64 s[26:27], s[4:5]
	s_cbranch_execz .LBB288_116
.LBB288_115:                            ;   in Loop: Header=BB288_13 Depth=1
	v_and_b32_e32 v8, 7, v50
	v_ffbh_u32_e32 v6, v8
	v_min_u32_e32 v13, 32, v6
	v_subrev_u32_e32 v6, 28, v13
	v_bfe_u32 v12, v50, 3, 4
	v_lshlrev_b64 v[6:7], v6, v[50:51]
	v_sub_u32_e32 v7, 29, v13
	v_cmp_eq_u32_e64 s[4:5], 0, v12
	v_and_b32_e32 v6, 7, v6
	s_nop 0
	v_cndmask_b32_e64 v7, v12, v7, s[4:5]
	v_mov_b32_e32 v12, 0x1c00
	v_cndmask_b32_e64 v6, v8, v6, s[4:5]
	v_lshlrev_b32_e32 v8, 8, v50
	v_lshl_add_u32 v7, v7, 10, v12
	v_and_or_b32 v7, v8, s37, v7
	v_lshl_or_b32 v6, v6, 7, v7
	v_cvt_f32_f16_e32 v13, v6
.LBB288_116:                            ;   in Loop: Header=BB288_13 Depth=1
	s_or_b64 exec, exec, s[26:27]
	v_lshrrev_b16_e32 v8, 8, v50
	v_cmp_lt_i16_e64 s[4:5], s35, v8
	s_mov_b64 s[26:27], 0
                                        ; implicit-def: $sgpr38
	s_and_saveexec_b64 s[28:29], s[4:5]
	s_xor_b64 s[28:29], exec, s[28:29]
	s_cbranch_execnz .LBB288_310
; %bb.117:                              ;   in Loop: Header=BB288_13 Depth=1
	s_or_saveexec_b64 s[28:29], s[28:29]
	v_mov_b32_e32 v54, s38
	s_xor_b64 exec, exec, s[28:29]
	s_cbranch_execnz .LBB288_313
.LBB288_118:                            ;   in Loop: Header=BB288_13 Depth=1
	s_or_b64 exec, exec, s[28:29]
	s_and_saveexec_b64 s[28:29], s[26:27]
	s_cbranch_execz .LBB288_120
.LBB288_119:                            ;   in Loop: Header=BB288_13 Depth=1
	v_and_b32_e32 v12, 7, v8
	v_ffbh_u32_e32 v6, v12
	v_min_u32_e32 v15, 32, v6
	v_subrev_u32_e32 v6, 28, v15
	v_bfe_u32 v14, v8, 3, 4
	v_lshlrev_b64 v[6:7], v6, v[8:9]
	v_sub_u32_e32 v7, 29, v15
	v_and_b32_e32 v6, 7, v6
	v_cmp_eq_u32_e64 s[4:5], 0, v14
	v_lshlrev_b32_e32 v8, 8, v8
	s_nop 0
	v_cndmask_b32_e64 v7, v14, v7, s[4:5]
	v_cndmask_b32_e64 v6, v12, v6, s[4:5]
	v_mov_b32_e32 v12, 0x1c00
	v_lshl_add_u32 v7, v7, 10, v12
	v_and_or_b32 v7, v8, s37, v7
	v_lshl_or_b32 v6, v6, 7, v7
	v_cvt_f32_f16_e32 v54, v6
.LBB288_120:                            ;   in Loop: Header=BB288_13 Depth=1
	s_or_b64 exec, exec, s[28:29]
	v_lshrrev_b32_e32 v8, 16, v50
	v_cmp_gt_i16_sdwa s[26:27], v8, s35 src0_sel:BYTE_0 src1_sel:DWORD
	s_mov_b64 s[4:5], 0
                                        ; implicit-def: $sgpr30
	s_and_saveexec_b64 s[28:29], s[26:27]
	s_xor_b64 s[26:27], exec, s[28:29]
	s_cbranch_execnz .LBB288_314
; %bb.121:                              ;   in Loop: Header=BB288_13 Depth=1
	s_or_saveexec_b64 s[26:27], s[26:27]
	v_mov_b32_e32 v52, s30
	s_xor_b64 exec, exec, s[26:27]
	s_cbranch_execnz .LBB288_317
.LBB288_122:                            ;   in Loop: Header=BB288_13 Depth=1
	s_or_b64 exec, exec, s[26:27]
	s_and_saveexec_b64 s[26:27], s[4:5]
	s_cbranch_execz .LBB288_124
.LBB288_123:                            ;   in Loop: Header=BB288_13 Depth=1
	v_bfe_u32 v12, v50, 16, 3
	v_ffbh_u32_e32 v6, v12
	v_min_u32_e32 v15, 32, v6
	v_subrev_u32_e32 v6, 28, v15
	v_bfe_u32 v14, v50, 19, 4
	v_lshlrev_b64 v[6:7], v6, v[8:9]
	v_sub_u32_e32 v7, 29, v15
	v_and_b32_e32 v6, 7, v6
	v_cmp_eq_u32_e64 s[4:5], 0, v14
	v_lshlrev_b32_e32 v8, 8, v8
	s_nop 0
	v_cndmask_b32_e64 v7, v14, v7, s[4:5]
	v_cndmask_b32_e64 v6, v12, v6, s[4:5]
	v_mov_b32_e32 v12, 0x1c00
	v_lshl_add_u32 v7, v7, 10, v12
	v_and_or_b32 v7, v8, s37, v7
	v_lshl_or_b32 v6, v6, 7, v7
	v_cvt_f32_f16_e32 v52, v6
.LBB288_124:                            ;   in Loop: Header=BB288_13 Depth=1
	s_or_b64 exec, exec, s[26:27]
	v_lshrrev_b32_e32 v8, 24, v50
	v_cmp_lt_i16_e64 s[4:5], s35, v8
	s_mov_b64 s[26:27], 0
                                        ; implicit-def: $sgpr38
	s_and_saveexec_b64 s[28:29], s[4:5]
	s_xor_b64 s[28:29], exec, s[28:29]
	s_cbranch_execnz .LBB288_318
; %bb.125:                              ;   in Loop: Header=BB288_13 Depth=1
	s_or_saveexec_b64 s[28:29], s[28:29]
	v_mov_b32_e32 v53, s38
	s_xor_b64 exec, exec, s[28:29]
	s_cbranch_execnz .LBB288_321
.LBB288_126:                            ;   in Loop: Header=BB288_13 Depth=1
	s_or_b64 exec, exec, s[28:29]
	s_and_saveexec_b64 s[28:29], s[26:27]
	s_cbranch_execz .LBB288_128
.LBB288_127:                            ;   in Loop: Header=BB288_13 Depth=1
	v_bfe_u32 v12, v50, 24, 3
	v_ffbh_u32_e32 v6, v12
	v_min_u32_e32 v15, 32, v6
	v_subrev_u32_e32 v6, 28, v15
	v_bfe_u32 v14, v50, 27, 4
	v_lshlrev_b64 v[6:7], v6, v[8:9]
	v_sub_u32_e32 v7, 29, v15
	v_and_b32_e32 v6, 7, v6
	v_cmp_eq_u32_e64 s[4:5], 0, v14
	v_lshlrev_b32_e32 v8, 8, v8
	s_nop 0
	v_cndmask_b32_e64 v7, v14, v7, s[4:5]
	v_cndmask_b32_e64 v6, v12, v6, s[4:5]
	v_mov_b32_e32 v12, 0x1c00
	v_lshl_add_u32 v7, v7, 10, v12
	v_and_or_b32 v7, v8, s37, v7
	v_lshl_or_b32 v6, v6, 7, v7
	v_cvt_f32_f16_e32 v53, v6
.LBB288_128:                            ;   in Loop: Header=BB288_13 Depth=1
	s_or_b64 exec, exec, s[28:29]
	flat_load_dword v50, v[48:49] offset:1544
	s_mov_b64 s[4:5], 0
                                        ; implicit-def: $sgpr30
	s_waitcnt vmcnt(0) lgkmcnt(0)
	v_cmp_gt_i16_sdwa s[26:27], v50, s35 src0_sel:BYTE_0 src1_sel:DWORD
	s_and_saveexec_b64 s[28:29], s[26:27]
	s_xor_b64 s[26:27], exec, s[28:29]
	s_cbranch_execnz .LBB288_322
; %bb.129:                              ;   in Loop: Header=BB288_13 Depth=1
	s_or_saveexec_b64 s[26:27], s[26:27]
	v_mov_b32_e32 v7, s30
	s_xor_b64 exec, exec, s[26:27]
	s_cbranch_execnz .LBB288_325
.LBB288_130:                            ;   in Loop: Header=BB288_13 Depth=1
	s_or_b64 exec, exec, s[26:27]
	s_and_saveexec_b64 s[26:27], s[4:5]
	s_cbranch_execz .LBB288_132
.LBB288_131:                            ;   in Loop: Header=BB288_13 Depth=1
	v_and_b32_e32 v8, 7, v50
	v_ffbh_u32_e32 v6, v8
	v_min_u32_e32 v14, 32, v6
	v_subrev_u32_e32 v6, 28, v14
	v_bfe_u32 v12, v50, 3, 4
	v_lshlrev_b64 v[6:7], v6, v[50:51]
	v_sub_u32_e32 v7, 29, v14
	v_cmp_eq_u32_e64 s[4:5], 0, v12
	v_and_b32_e32 v6, 7, v6
	s_nop 0
	v_cndmask_b32_e64 v7, v12, v7, s[4:5]
	v_mov_b32_e32 v12, 0x1c00
	v_cndmask_b32_e64 v6, v8, v6, s[4:5]
	v_lshlrev_b32_e32 v8, 8, v50
	v_lshl_add_u32 v7, v7, 10, v12
	v_and_or_b32 v7, v8, s37, v7
	v_lshl_or_b32 v6, v6, 7, v7
	v_cvt_f32_f16_e32 v7, v6
.LBB288_132:                            ;   in Loop: Header=BB288_13 Depth=1
	s_or_b64 exec, exec, s[26:27]
	v_lshrrev_b16_e32 v8, 8, v50
	v_cmp_lt_i16_e64 s[4:5], s35, v8
	s_mov_b64 s[26:27], 0
                                        ; implicit-def: $sgpr38
	s_and_saveexec_b64 s[28:29], s[4:5]
	s_xor_b64 s[28:29], exec, s[28:29]
	s_cbranch_execnz .LBB288_326
; %bb.133:                              ;   in Loop: Header=BB288_13 Depth=1
	s_or_saveexec_b64 s[28:29], s[28:29]
	v_mov_b32_e32 v12, s38
	s_xor_b64 exec, exec, s[28:29]
	s_cbranch_execnz .LBB288_329
.LBB288_134:                            ;   in Loop: Header=BB288_13 Depth=1
	s_or_b64 exec, exec, s[28:29]
	s_and_saveexec_b64 s[28:29], s[26:27]
	s_cbranch_execz .LBB288_136
.LBB288_135:                            ;   in Loop: Header=BB288_13 Depth=1
	v_and_b32_e32 v6, 7, v8
	v_ffbh_u32_e32 v14, v6
	v_min_u32_e32 v16, 32, v14
	v_subrev_u32_e32 v14, 28, v16
	v_bfe_u32 v12, v8, 3, 4
	v_lshlrev_b64 v[14:15], v14, v[8:9]
	v_sub_u32_e32 v15, 29, v16
	v_and_b32_e32 v14, 7, v14
	v_cmp_eq_u32_e64 s[4:5], 0, v12
	v_lshlrev_b32_e32 v8, 8, v8
	s_nop 0
	v_cndmask_b32_e64 v12, v12, v15, s[4:5]
	v_cndmask_b32_e64 v6, v6, v14, s[4:5]
	v_mov_b32_e32 v14, 0x1c00
	v_lshl_add_u32 v12, v12, 10, v14
	v_and_or_b32 v8, v8, s37, v12
	v_lshl_or_b32 v6, v6, 7, v8
	v_cvt_f32_f16_e32 v12, v6
.LBB288_136:                            ;   in Loop: Header=BB288_13 Depth=1
	s_or_b64 exec, exec, s[28:29]
	v_lshrrev_b32_e32 v8, 16, v50
	v_cmp_gt_i16_sdwa s[26:27], v8, s35 src0_sel:BYTE_0 src1_sel:DWORD
	s_mov_b64 s[4:5], 0
                                        ; implicit-def: $sgpr30
	s_and_saveexec_b64 s[28:29], s[26:27]
	s_xor_b64 s[26:27], exec, s[28:29]
	s_cbranch_execnz .LBB288_330
; %bb.137:                              ;   in Loop: Header=BB288_13 Depth=1
	s_or_saveexec_b64 s[26:27], s[26:27]
	v_mov_b32_e32 v15, s30
	s_xor_b64 exec, exec, s[26:27]
	s_cbranch_execnz .LBB288_333
.LBB288_138:                            ;   in Loop: Header=BB288_13 Depth=1
	s_or_b64 exec, exec, s[26:27]
	s_and_saveexec_b64 s[26:27], s[4:5]
	s_cbranch_execz .LBB288_140
.LBB288_139:                            ;   in Loop: Header=BB288_13 Depth=1
	v_bfe_u32 v6, v50, 16, 3
	v_ffbh_u32_e32 v14, v6
	v_min_u32_e32 v17, 32, v14
	v_subrev_u32_e32 v14, 28, v17
	v_bfe_u32 v16, v50, 19, 4
	v_lshlrev_b64 v[14:15], v14, v[8:9]
	v_sub_u32_e32 v15, 29, v17
	v_and_b32_e32 v14, 7, v14
	v_cmp_eq_u32_e64 s[4:5], 0, v16
	v_lshlrev_b32_e32 v8, 8, v8
	s_nop 0
	v_cndmask_b32_e64 v15, v16, v15, s[4:5]
	v_cndmask_b32_e64 v6, v6, v14, s[4:5]
	v_mov_b32_e32 v14, 0x1c00
	v_lshl_add_u32 v14, v15, 10, v14
	v_and_or_b32 v8, v8, s37, v14
	v_lshl_or_b32 v6, v6, 7, v8
	v_cvt_f32_f16_e32 v15, v6
.LBB288_140:                            ;   in Loop: Header=BB288_13 Depth=1
	s_or_b64 exec, exec, s[26:27]
	v_lshrrev_b32_e32 v8, 24, v50
	v_cmp_lt_i16_e64 s[4:5], s35, v8
	s_mov_b64 s[26:27], 0
                                        ; implicit-def: $sgpr38
	s_and_saveexec_b64 s[28:29], s[4:5]
	s_xor_b64 s[28:29], exec, s[28:29]
	s_cbranch_execnz .LBB288_334
; %bb.141:                              ;   in Loop: Header=BB288_13 Depth=1
	s_or_saveexec_b64 s[28:29], s[28:29]
	v_mov_b32_e32 v14, s38
	s_xor_b64 exec, exec, s[28:29]
	s_cbranch_execnz .LBB288_337
.LBB288_142:                            ;   in Loop: Header=BB288_13 Depth=1
	s_or_b64 exec, exec, s[28:29]
	s_and_saveexec_b64 s[28:29], s[26:27]
	s_cbranch_execz .LBB288_144
.LBB288_143:                            ;   in Loop: Header=BB288_13 Depth=1
	v_bfe_u32 v6, v50, 24, 3
	v_ffbh_u32_e32 v16, v6
	v_min_u32_e32 v18, 32, v16
	v_subrev_u32_e32 v16, 28, v18
	v_bfe_u32 v14, v50, 27, 4
	v_lshlrev_b64 v[16:17], v16, v[8:9]
	v_sub_u32_e32 v17, 29, v18
	v_and_b32_e32 v16, 7, v16
	v_cmp_eq_u32_e64 s[4:5], 0, v14
	v_lshlrev_b32_e32 v8, 8, v8
	s_nop 0
	v_cndmask_b32_e64 v14, v14, v17, s[4:5]
	v_cndmask_b32_e64 v6, v6, v16, s[4:5]
	v_mov_b32_e32 v16, 0x1c00
	v_lshl_add_u32 v14, v14, 10, v16
	v_and_or_b32 v8, v8, s37, v14
	v_lshl_or_b32 v6, v6, 7, v8
	v_cvt_f32_f16_e32 v14, v6
.LBB288_144:                            ;   in Loop: Header=BB288_13 Depth=1
	s_or_b64 exec, exec, s[28:29]
	flat_load_dword v50, v[48:49] offset:2048
	s_mov_b64 s[4:5], 0
                                        ; implicit-def: $sgpr30
	s_waitcnt vmcnt(0) lgkmcnt(0)
	v_cmp_gt_i16_sdwa s[26:27], v50, s35 src0_sel:BYTE_0 src1_sel:DWORD
	s_and_saveexec_b64 s[28:29], s[26:27]
	s_xor_b64 s[26:27], exec, s[28:29]
	s_cbranch_execnz .LBB288_338
; %bb.145:                              ;   in Loop: Header=BB288_13 Depth=1
	s_or_saveexec_b64 s[26:27], s[26:27]
	v_mov_b32_e32 v16, s30
	s_xor_b64 exec, exec, s[26:27]
	s_cbranch_execnz .LBB288_341
.LBB288_146:                            ;   in Loop: Header=BB288_13 Depth=1
	s_or_b64 exec, exec, s[26:27]
	s_and_saveexec_b64 s[26:27], s[4:5]
	s_cbranch_execz .LBB288_148
.LBB288_147:                            ;   in Loop: Header=BB288_13 Depth=1
	v_and_b32_e32 v6, 7, v50
	v_ffbh_u32_e32 v16, v6
	v_min_u32_e32 v18, 32, v16
	v_subrev_u32_e32 v16, 28, v18
	v_bfe_u32 v8, v50, 3, 4
	v_lshlrev_b64 v[16:17], v16, v[50:51]
	v_sub_u32_e32 v17, 29, v18
	v_cmp_eq_u32_e64 s[4:5], 0, v8
	v_and_b32_e32 v16, 7, v16
	s_nop 0
	v_cndmask_b32_e64 v8, v8, v17, s[4:5]
	v_mov_b32_e32 v17, 0x1c00
	v_cndmask_b32_e64 v6, v6, v16, s[4:5]
	v_lshlrev_b32_e32 v16, 8, v50
	v_lshl_add_u32 v8, v8, 10, v17
	v_and_or_b32 v8, v16, s37, v8
	v_lshl_or_b32 v6, v6, 7, v8
	v_cvt_f32_f16_e32 v16, v6
.LBB288_148:                            ;   in Loop: Header=BB288_13 Depth=1
	s_or_b64 exec, exec, s[26:27]
	v_lshrrev_b16_e32 v8, 8, v50
	v_cmp_lt_i16_e64 s[4:5], s35, v8
	s_mov_b64 s[26:27], 0
                                        ; implicit-def: $sgpr38
	s_and_saveexec_b64 s[28:29], s[4:5]
	s_xor_b64 s[28:29], exec, s[28:29]
	s_cbranch_execnz .LBB288_342
; %bb.149:                              ;   in Loop: Header=BB288_13 Depth=1
	s_or_saveexec_b64 s[28:29], s[28:29]
	v_mov_b32_e32 v17, s38
	s_xor_b64 exec, exec, s[28:29]
	s_cbranch_execnz .LBB288_345
.LBB288_150:                            ;   in Loop: Header=BB288_13 Depth=1
	s_or_b64 exec, exec, s[28:29]
	s_and_saveexec_b64 s[28:29], s[26:27]
	s_cbranch_execz .LBB288_152
.LBB288_151:                            ;   in Loop: Header=BB288_13 Depth=1
	v_and_b32_e32 v6, 7, v8
	v_ffbh_u32_e32 v18, v6
	v_min_u32_e32 v22, 32, v18
	v_subrev_u32_e32 v18, 28, v22
	v_bfe_u32 v17, v8, 3, 4
	v_lshlrev_b64 v[18:19], v18, v[8:9]
	v_sub_u32_e32 v19, 29, v22
	v_and_b32_e32 v18, 7, v18
	v_cmp_eq_u32_e64 s[4:5], 0, v17
	v_lshlrev_b32_e32 v8, 8, v8
	s_nop 0
	v_cndmask_b32_e64 v17, v17, v19, s[4:5]
	v_cndmask_b32_e64 v6, v6, v18, s[4:5]
	v_mov_b32_e32 v18, 0x1c00
	v_lshl_add_u32 v17, v17, 10, v18
	v_and_or_b32 v8, v8, s37, v17
	v_lshl_or_b32 v6, v6, 7, v8
	v_cvt_f32_f16_e32 v17, v6
.LBB288_152:                            ;   in Loop: Header=BB288_13 Depth=1
	s_or_b64 exec, exec, s[28:29]
	v_lshrrev_b32_e32 v8, 16, v50
	v_cmp_gt_i16_sdwa s[26:27], v8, s35 src0_sel:BYTE_0 src1_sel:DWORD
	s_mov_b64 s[4:5], 0
                                        ; implicit-def: $sgpr30
	s_and_saveexec_b64 s[28:29], s[26:27]
	s_xor_b64 s[26:27], exec, s[28:29]
	s_cbranch_execnz .LBB288_346
; %bb.153:                              ;   in Loop: Header=BB288_13 Depth=1
	s_or_saveexec_b64 s[26:27], s[26:27]
	v_mov_b32_e32 v18, s30
	s_xor_b64 exec, exec, s[26:27]
	s_cbranch_execnz .LBB288_349
.LBB288_154:                            ;   in Loop: Header=BB288_13 Depth=1
	s_or_b64 exec, exec, s[26:27]
	s_and_saveexec_b64 s[26:27], s[4:5]
	s_cbranch_execz .LBB288_156
.LBB288_155:                            ;   in Loop: Header=BB288_13 Depth=1
	v_bfe_u32 v6, v50, 16, 3
	v_ffbh_u32_e32 v18, v6
	v_min_u32_e32 v24, 32, v18
	v_subrev_u32_e32 v18, 28, v24
	v_bfe_u32 v22, v50, 19, 4
	v_lshlrev_b64 v[18:19], v18, v[8:9]
	v_sub_u32_e32 v19, 29, v24
	v_and_b32_e32 v18, 7, v18
	v_cmp_eq_u32_e64 s[4:5], 0, v22
	v_lshlrev_b32_e32 v8, 8, v8
	s_nop 0
	v_cndmask_b32_e64 v19, v22, v19, s[4:5]
	v_cndmask_b32_e64 v6, v6, v18, s[4:5]
	v_mov_b32_e32 v18, 0x1c00
	v_lshl_add_u32 v18, v19, 10, v18
	v_and_or_b32 v8, v8, s37, v18
	v_lshl_or_b32 v6, v6, 7, v8
	v_cvt_f32_f16_e32 v18, v6
.LBB288_156:                            ;   in Loop: Header=BB288_13 Depth=1
	s_or_b64 exec, exec, s[26:27]
	v_lshrrev_b32_e32 v8, 24, v50
	v_cmp_lt_i16_e64 s[4:5], s35, v8
	s_mov_b64 s[26:27], 0
                                        ; implicit-def: $sgpr38
	s_and_saveexec_b64 s[28:29], s[4:5]
	s_xor_b64 s[28:29], exec, s[28:29]
	s_cbranch_execnz .LBB288_350
; %bb.157:                              ;   in Loop: Header=BB288_13 Depth=1
	s_or_saveexec_b64 s[28:29], s[28:29]
	v_mov_b32_e32 v19, s38
	s_xor_b64 exec, exec, s[28:29]
	s_cbranch_execnz .LBB288_353
.LBB288_158:                            ;   in Loop: Header=BB288_13 Depth=1
	s_or_b64 exec, exec, s[28:29]
	s_and_saveexec_b64 s[28:29], s[26:27]
	s_cbranch_execz .LBB288_160
.LBB288_159:                            ;   in Loop: Header=BB288_13 Depth=1
	v_bfe_u32 v6, v50, 24, 3
	v_ffbh_u32_e32 v22, v6
	v_bfe_u32 v19, v50, 27, 4
	v_min_u32_e32 v22, 32, v22
	v_subrev_u32_e32 v24, 28, v22
	v_sub_u32_e32 v22, 29, v22
	v_cmp_eq_u32_e64 s[4:5], 0, v19
	v_lshlrev_b64 v[24:25], v24, v[8:9]
	v_mov_b32_e32 v20, 0x1c00
	v_cndmask_b32_e64 v19, v19, v22, s[4:5]
	v_and_b32_e32 v24, 7, v24
	v_lshlrev_b32_e32 v8, 8, v8
	v_lshl_add_u32 v19, v19, 10, v20
	v_cndmask_b32_e64 v6, v6, v24, s[4:5]
	v_and_or_b32 v8, v8, s37, v19
	v_lshl_or_b32 v6, v6, 7, v8
	v_cvt_f32_f16_e32 v19, v6
.LBB288_160:                            ;   in Loop: Header=BB288_13 Depth=1
	s_or_b64 exec, exec, s[28:29]
	flat_load_dword v50, v[48:49] offset:2056
	s_mov_b64 s[4:5], 0
                                        ; implicit-def: $sgpr30
	s_waitcnt vmcnt(0) lgkmcnt(0)
	v_cmp_gt_i16_sdwa s[26:27], v50, s35 src0_sel:BYTE_0 src1_sel:DWORD
	s_and_saveexec_b64 s[28:29], s[26:27]
	s_xor_b64 s[26:27], exec, s[28:29]
	s_cbranch_execnz .LBB288_354
; %bb.161:                              ;   in Loop: Header=BB288_13 Depth=1
	s_or_saveexec_b64 s[26:27], s[26:27]
	v_mov_b32_e32 v59, s30
	s_xor_b64 exec, exec, s[26:27]
	s_cbranch_execnz .LBB288_357
.LBB288_162:                            ;   in Loop: Header=BB288_13 Depth=1
	s_or_b64 exec, exec, s[26:27]
	s_and_saveexec_b64 s[26:27], s[4:5]
	s_cbranch_execz .LBB288_164
.LBB288_163:                            ;   in Loop: Header=BB288_13 Depth=1
	v_and_b32_e32 v6, 7, v50
	v_ffbh_u32_e32 v22, v6
	v_bfe_u32 v8, v50, 3, 4
	v_min_u32_e32 v22, 32, v22
	v_subrev_u32_e32 v24, 28, v22
	v_sub_u32_e32 v22, 29, v22
	v_cmp_eq_u32_e64 s[4:5], 0, v8
	v_lshlrev_b64 v[24:25], v24, v[50:51]
	v_mov_b32_e32 v20, 0x1c00
	v_cndmask_b32_e64 v8, v8, v22, s[4:5]
	v_and_b32_e32 v24, 7, v24
	v_lshlrev_b32_e32 v22, 8, v50
	v_lshl_add_u32 v8, v8, 10, v20
	v_cndmask_b32_e64 v6, v6, v24, s[4:5]
	v_and_or_b32 v8, v22, s37, v8
	v_lshl_or_b32 v6, v6, 7, v8
	v_cvt_f32_f16_e32 v59, v6
.LBB288_164:                            ;   in Loop: Header=BB288_13 Depth=1
	s_or_b64 exec, exec, s[26:27]
	v_lshrrev_b16_e32 v8, 8, v50
	v_cmp_lt_i16_e64 s[4:5], s35, v8
	s_mov_b64 s[26:27], 0
                                        ; implicit-def: $sgpr38
	s_and_saveexec_b64 s[28:29], s[4:5]
	s_xor_b64 s[28:29], exec, s[28:29]
	s_cbranch_execnz .LBB288_358
; %bb.165:                              ;   in Loop: Header=BB288_13 Depth=1
	s_or_saveexec_b64 s[28:29], s[28:29]
	v_mov_b32_e32 v22, s38
	s_xor_b64 exec, exec, s[28:29]
	s_cbranch_execnz .LBB288_361
.LBB288_166:                            ;   in Loop: Header=BB288_13 Depth=1
	s_or_b64 exec, exec, s[28:29]
	s_and_saveexec_b64 s[28:29], s[26:27]
	s_cbranch_execz .LBB288_168
.LBB288_167:                            ;   in Loop: Header=BB288_13 Depth=1
	v_and_b32_e32 v6, 7, v8
	v_ffbh_u32_e32 v24, v6
	v_min_u32_e32 v26, 32, v24
	v_subrev_u32_e32 v24, 28, v26
	v_bfe_u32 v22, v8, 3, 4
	v_lshlrev_b64 v[24:25], v24, v[8:9]
	v_sub_u32_e32 v25, 29, v26
	v_cmp_eq_u32_e64 s[4:5], 0, v22
	v_mov_b32_e32 v20, 0x1c00
	v_and_b32_e32 v24, 7, v24
	v_cndmask_b32_e64 v22, v22, v25, s[4:5]
	v_lshlrev_b32_e32 v8, 8, v8
	v_lshl_add_u32 v22, v22, 10, v20
	v_cndmask_b32_e64 v6, v6, v24, s[4:5]
	v_and_or_b32 v8, v8, s37, v22
	v_lshl_or_b32 v6, v6, 7, v8
	v_cvt_f32_f16_e32 v22, v6
.LBB288_168:                            ;   in Loop: Header=BB288_13 Depth=1
	s_or_b64 exec, exec, s[28:29]
	v_lshrrev_b32_e32 v8, 16, v50
	v_cmp_gt_i16_sdwa s[26:27], v8, s35 src0_sel:BYTE_0 src1_sel:DWORD
	s_mov_b64 s[4:5], 0
                                        ; implicit-def: $sgpr30
	s_and_saveexec_b64 s[28:29], s[26:27]
	s_xor_b64 s[26:27], exec, s[28:29]
	s_cbranch_execnz .LBB288_362
; %bb.169:                              ;   in Loop: Header=BB288_13 Depth=1
	s_or_saveexec_b64 s[26:27], s[26:27]
	v_mov_b32_e32 v6, s30
	s_xor_b64 exec, exec, s[26:27]
	s_cbranch_execnz .LBB288_365
.LBB288_170:                            ;   in Loop: Header=BB288_13 Depth=1
	s_or_b64 exec, exec, s[26:27]
	s_and_saveexec_b64 s[26:27], s[4:5]
	s_cbranch_execz .LBB288_172
.LBB288_171:                            ;   in Loop: Header=BB288_13 Depth=1
	v_bfe_u32 v6, v50, 16, 3
	v_ffbh_u32_e32 v24, v6
	v_min_u32_e32 v27, 32, v24
	v_subrev_u32_e32 v24, 28, v27
	v_bfe_u32 v26, v50, 19, 4
	v_lshlrev_b64 v[24:25], v24, v[8:9]
	v_sub_u32_e32 v25, 29, v27
	v_cmp_eq_u32_e64 s[4:5], 0, v26
	v_and_b32_e32 v24, 7, v24
	v_mov_b32_e32 v20, 0x1c00
	v_cndmask_b32_e64 v25, v26, v25, s[4:5]
	v_cndmask_b32_e64 v6, v6, v24, s[4:5]
	v_lshlrev_b32_e32 v8, 8, v8
	v_lshl_add_u32 v24, v25, 10, v20
	v_and_or_b32 v8, v8, s37, v24
	v_lshl_or_b32 v6, v6, 7, v8
	v_cvt_f32_f16_e32 v6, v6
.LBB288_172:                            ;   in Loop: Header=BB288_13 Depth=1
	s_or_b64 exec, exec, s[26:27]
	v_lshrrev_b32_e32 v8, 24, v50
	v_cmp_lt_i16_e64 s[4:5], s35, v8
	s_mov_b64 s[26:27], 0
                                        ; implicit-def: $sgpr38
	s_and_saveexec_b64 s[28:29], s[4:5]
	s_xor_b64 s[28:29], exec, s[28:29]
	s_cbranch_execnz .LBB288_366
; %bb.173:                              ;   in Loop: Header=BB288_13 Depth=1
	s_or_saveexec_b64 s[28:29], s[28:29]
	v_mov_b32_e32 v44, s38
	s_xor_b64 exec, exec, s[28:29]
	s_cbranch_execnz .LBB288_369
.LBB288_174:                            ;   in Loop: Header=BB288_13 Depth=1
	s_or_b64 exec, exec, s[28:29]
	s_and_saveexec_b64 s[28:29], s[26:27]
	s_cbranch_execz .LBB288_176
.LBB288_175:                            ;   in Loop: Header=BB288_13 Depth=1
	v_bfe_u32 v26, v50, 24, 3
	v_ffbh_u32_e32 v24, v26
	v_min_u32_e32 v35, 32, v24
	v_subrev_u32_e32 v24, 28, v35
	v_bfe_u32 v27, v50, 27, 4
	v_lshlrev_b64 v[24:25], v24, v[8:9]
	v_sub_u32_e32 v25, 29, v35
	v_cmp_eq_u32_e64 s[4:5], 0, v27
	v_mov_b32_e32 v20, 0x1c00
	v_and_b32_e32 v24, 7, v24
	v_cndmask_b32_e64 v25, v27, v25, s[4:5]
	v_lshlrev_b32_e32 v8, 8, v8
	v_lshl_add_u32 v25, v25, 10, v20
	v_cndmask_b32_e64 v24, v26, v24, s[4:5]
	v_and_or_b32 v8, v8, s37, v25
	v_lshl_or_b32 v8, v24, 7, v8
	v_cvt_f32_f16_e32 v44, v8
.LBB288_176:                            ;   in Loop: Header=BB288_13 Depth=1
	s_or_b64 exec, exec, s[28:29]
	flat_load_dword v50, v[48:49] offset:2560
	s_mov_b64 s[4:5], 0
                                        ; implicit-def: $sgpr30
	s_waitcnt vmcnt(0) lgkmcnt(0)
	v_cmp_gt_i16_sdwa s[26:27], v50, s35 src0_sel:BYTE_0 src1_sel:DWORD
	s_and_saveexec_b64 s[28:29], s[26:27]
	s_xor_b64 s[26:27], exec, s[28:29]
	s_cbranch_execnz .LBB288_370
; %bb.177:                              ;   in Loop: Header=BB288_13 Depth=1
	s_or_saveexec_b64 s[26:27], s[26:27]
	v_mov_b32_e32 v25, s30
	s_xor_b64 exec, exec, s[26:27]
	s_cbranch_execnz .LBB288_373
.LBB288_178:                            ;   in Loop: Header=BB288_13 Depth=1
	s_or_b64 exec, exec, s[26:27]
	s_and_saveexec_b64 s[26:27], s[4:5]
	s_cbranch_execz .LBB288_180
.LBB288_179:                            ;   in Loop: Header=BB288_13 Depth=1
	v_and_b32_e32 v8, 7, v50
	v_ffbh_u32_e32 v24, v8
	v_min_u32_e32 v27, 32, v24
	v_subrev_u32_e32 v24, 28, v27
	v_bfe_u32 v26, v50, 3, 4
	v_lshlrev_b64 v[24:25], v24, v[50:51]
	v_sub_u32_e32 v25, 29, v27
	v_cmp_eq_u32_e64 s[4:5], 0, v26
	v_and_b32_e32 v24, 7, v24
	v_mov_b32_e32 v20, 0x1c00
	v_cndmask_b32_e64 v25, v26, v25, s[4:5]
	v_cndmask_b32_e64 v8, v8, v24, s[4:5]
	v_lshlrev_b32_e32 v24, 8, v50
	v_lshl_add_u32 v25, v25, 10, v20
	v_and_or_b32 v24, v24, s37, v25
	v_lshl_or_b32 v8, v8, 7, v24
	v_cvt_f32_f16_e32 v25, v8
.LBB288_180:                            ;   in Loop: Header=BB288_13 Depth=1
	s_or_b64 exec, exec, s[26:27]
	v_lshrrev_b16_e32 v8, 8, v50
	v_cmp_lt_i16_e64 s[4:5], s35, v8
	s_mov_b64 s[26:27], 0
                                        ; implicit-def: $sgpr38
	s_and_saveexec_b64 s[28:29], s[4:5]
	s_xor_b64 s[28:29], exec, s[28:29]
	s_cbranch_execnz .LBB288_374
; %bb.181:                              ;   in Loop: Header=BB288_13 Depth=1
	s_or_saveexec_b64 s[28:29], s[28:29]
	v_mov_b32_e32 v24, s38
	s_xor_b64 exec, exec, s[28:29]
	s_cbranch_execnz .LBB288_377
.LBB288_182:                            ;   in Loop: Header=BB288_13 Depth=1
	s_or_b64 exec, exec, s[28:29]
	s_and_saveexec_b64 s[28:29], s[26:27]
	s_cbranch_execz .LBB288_184
.LBB288_183:                            ;   in Loop: Header=BB288_13 Depth=1
	v_and_b32_e32 v24, 7, v8
	v_ffbh_u32_e32 v26, v24
	v_min_u32_e32 v36, 32, v26
	v_subrev_u32_e32 v26, 28, v36
	v_bfe_u32 v35, v8, 3, 4
	v_lshlrev_b64 v[26:27], v26, v[8:9]
	v_sub_u32_e32 v27, 29, v36
	v_cmp_eq_u32_e64 s[4:5], 0, v35
	v_and_b32_e32 v26, 7, v26
	v_mov_b32_e32 v20, 0x1c00
	v_cndmask_b32_e64 v27, v35, v27, s[4:5]
	v_cndmask_b32_e64 v24, v24, v26, s[4:5]
	v_lshlrev_b32_e32 v8, 8, v8
	v_lshl_add_u32 v26, v27, 10, v20
	v_and_or_b32 v8, v8, s37, v26
	v_lshl_or_b32 v8, v24, 7, v8
	v_cvt_f32_f16_e32 v24, v8
.LBB288_184:                            ;   in Loop: Header=BB288_13 Depth=1
	s_or_b64 exec, exec, s[28:29]
	v_lshrrev_b32_e32 v8, 16, v50
	v_cmp_gt_i16_sdwa s[26:27], v8, s35 src0_sel:BYTE_0 src1_sel:DWORD
	s_mov_b64 s[4:5], 0
                                        ; implicit-def: $sgpr30
	s_and_saveexec_b64 s[28:29], s[26:27]
	s_xor_b64 s[26:27], exec, s[28:29]
	s_cbranch_execnz .LBB288_378
; %bb.185:                              ;   in Loop: Header=BB288_13 Depth=1
	s_or_saveexec_b64 s[26:27], s[26:27]
	v_mov_b32_e32 v62, s30
	s_xor_b64 exec, exec, s[26:27]
	s_cbranch_execnz .LBB288_381
.LBB288_186:                            ;   in Loop: Header=BB288_13 Depth=1
	s_or_b64 exec, exec, s[26:27]
	s_and_saveexec_b64 s[26:27], s[4:5]
	s_cbranch_execz .LBB288_188
.LBB288_187:                            ;   in Loop: Header=BB288_13 Depth=1
	v_bfe_u32 v35, v50, 16, 3
	v_ffbh_u32_e32 v26, v35
	v_min_u32_e32 v37, 32, v26
	v_subrev_u32_e32 v26, 28, v37
	v_bfe_u32 v36, v50, 19, 4
	v_lshlrev_b64 v[26:27], v26, v[8:9]
	v_sub_u32_e32 v27, 29, v37
	v_cmp_eq_u32_e64 s[4:5], 0, v36
	v_mov_b32_e32 v20, 0x1c00
	v_and_b32_e32 v26, 7, v26
	v_cndmask_b32_e64 v27, v36, v27, s[4:5]
	v_lshlrev_b32_e32 v8, 8, v8
	v_lshl_add_u32 v27, v27, 10, v20
	v_cndmask_b32_e64 v26, v35, v26, s[4:5]
	v_and_or_b32 v8, v8, s37, v27
	v_lshl_or_b32 v8, v26, 7, v8
	v_cvt_f32_f16_e32 v62, v8
.LBB288_188:                            ;   in Loop: Header=BB288_13 Depth=1
	s_or_b64 exec, exec, s[26:27]
	v_lshrrev_b32_e32 v8, 24, v50
	v_cmp_lt_i16_e64 s[4:5], s35, v8
	s_mov_b64 s[26:27], 0
                                        ; implicit-def: $sgpr38
	s_and_saveexec_b64 s[28:29], s[4:5]
	s_xor_b64 s[28:29], exec, s[28:29]
	s_cbranch_execnz .LBB288_382
; %bb.189:                              ;   in Loop: Header=BB288_13 Depth=1
	s_or_saveexec_b64 s[28:29], s[28:29]
	v_mov_b32_e32 v27, s38
	s_xor_b64 exec, exec, s[28:29]
	s_cbranch_execnz .LBB288_385
.LBB288_190:                            ;   in Loop: Header=BB288_13 Depth=1
	s_or_b64 exec, exec, s[28:29]
	s_and_saveexec_b64 s[28:29], s[26:27]
	s_cbranch_execz .LBB288_192
.LBB288_191:                            ;   in Loop: Header=BB288_13 Depth=1
	v_bfe_u32 v35, v50, 24, 3
	v_ffbh_u32_e32 v26, v35
	v_min_u32_e32 v37, 32, v26
	v_subrev_u32_e32 v26, 28, v37
	v_bfe_u32 v36, v50, 27, 4
	v_lshlrev_b64 v[26:27], v26, v[8:9]
	v_sub_u32_e32 v27, 29, v37
	v_cmp_eq_u32_e64 s[4:5], 0, v36
	v_mov_b32_e32 v20, 0x1c00
	v_and_b32_e32 v26, 7, v26
	v_cndmask_b32_e64 v27, v36, v27, s[4:5]
	v_lshlrev_b32_e32 v8, 8, v8
	v_lshl_add_u32 v27, v27, 10, v20
	v_cndmask_b32_e64 v26, v35, v26, s[4:5]
	v_and_or_b32 v8, v8, s37, v27
	v_lshl_or_b32 v8, v26, 7, v8
	v_cvt_f32_f16_e32 v27, v8
.LBB288_192:                            ;   in Loop: Header=BB288_13 Depth=1
	s_or_b64 exec, exec, s[28:29]
	flat_load_dword v48, v[48:49] offset:2568
	s_mov_b64 s[4:5], 0
                                        ; implicit-def: $sgpr30
	s_waitcnt vmcnt(0) lgkmcnt(0)
	v_cmp_gt_i16_sdwa s[26:27], v48, s35 src0_sel:BYTE_0 src1_sel:DWORD
	s_and_saveexec_b64 s[28:29], s[26:27]
	s_xor_b64 s[26:27], exec, s[28:29]
	s_cbranch_execnz .LBB288_386
; %bb.193:                              ;   in Loop: Header=BB288_13 Depth=1
	s_or_saveexec_b64 s[26:27], s[26:27]
	v_mov_b32_e32 v49, s30
	s_xor_b64 exec, exec, s[26:27]
	s_cbranch_execnz .LBB288_389
.LBB288_194:                            ;   in Loop: Header=BB288_13 Depth=1
	s_or_b64 exec, exec, s[26:27]
	s_and_saveexec_b64 s[26:27], s[4:5]
	s_cbranch_execz .LBB288_196
.LBB288_195:                            ;   in Loop: Header=BB288_13 Depth=1
	v_and_b32_e32 v8, 7, v48
	v_ffbh_u32_e32 v35, v8
	v_bfe_u32 v26, v48, 3, 4
	v_min_u32_e32 v35, 32, v35
	v_subrev_u32_e32 v36, 28, v35
	v_sub_u32_e32 v35, 29, v35
	v_cmp_eq_u32_e64 s[4:5], 0, v26
	v_lshlrev_b64 v[36:37], v36, v[48:49]
	v_mov_b32_e32 v20, 0x1c00
	v_cndmask_b32_e64 v26, v26, v35, s[4:5]
	v_and_b32_e32 v36, 7, v36
	v_lshlrev_b32_e32 v35, 8, v48
	v_lshl_add_u32 v26, v26, 10, v20
	v_cndmask_b32_e64 v8, v8, v36, s[4:5]
	v_and_or_b32 v26, v35, s37, v26
	v_lshl_or_b32 v8, v8, 7, v26
	v_cvt_f32_f16_e32 v49, v8
.LBB288_196:                            ;   in Loop: Header=BB288_13 Depth=1
	s_or_b64 exec, exec, s[26:27]
	v_lshrrev_b16_e32 v8, 8, v48
	v_cmp_lt_i16_e64 s[4:5], s35, v8
	s_mov_b64 s[26:27], 0
                                        ; implicit-def: $sgpr38
	s_and_saveexec_b64 s[28:29], s[4:5]
	s_xor_b64 s[28:29], exec, s[28:29]
	s_cbranch_execnz .LBB288_390
; %bb.197:                              ;   in Loop: Header=BB288_13 Depth=1
	s_or_saveexec_b64 s[28:29], s[28:29]
	v_mov_b32_e32 v26, s38
	s_xor_b64 exec, exec, s[28:29]
	s_cbranch_execnz .LBB288_393
.LBB288_198:                            ;   in Loop: Header=BB288_13 Depth=1
	s_or_b64 exec, exec, s[28:29]
	s_and_saveexec_b64 s[28:29], s[26:27]
	s_cbranch_execz .LBB288_200
.LBB288_199:                            ;   in Loop: Header=BB288_13 Depth=1
	v_and_b32_e32 v26, 7, v8
	v_ffbh_u32_e32 v36, v26
	v_min_u32_e32 v50, 32, v36
	v_subrev_u32_e32 v36, 28, v50
	v_bfe_u32 v35, v8, 3, 4
	v_lshlrev_b64 v[36:37], v36, v[8:9]
	v_sub_u32_e32 v37, 29, v50
	v_cmp_eq_u32_e64 s[4:5], 0, v35
	v_mov_b32_e32 v20, 0x1c00
	v_and_b32_e32 v36, 7, v36
	v_cndmask_b32_e64 v35, v35, v37, s[4:5]
	v_lshlrev_b32_e32 v8, 8, v8
	v_lshl_add_u32 v35, v35, 10, v20
	v_cndmask_b32_e64 v26, v26, v36, s[4:5]
	v_and_or_b32 v8, v8, s37, v35
	v_lshl_or_b32 v8, v26, 7, v8
	v_cvt_f32_f16_e32 v26, v8
.LBB288_200:                            ;   in Loop: Header=BB288_13 Depth=1
	s_or_b64 exec, exec, s[28:29]
	v_lshrrev_b32_e32 v8, 16, v48
	v_cmp_gt_i16_sdwa s[26:27], v8, s35 src0_sel:BYTE_0 src1_sel:DWORD
	s_mov_b64 s[4:5], 0
                                        ; implicit-def: $sgpr30
	s_and_saveexec_b64 s[28:29], s[26:27]
	s_xor_b64 s[26:27], exec, s[28:29]
	s_cbranch_execnz .LBB288_394
; %bb.201:                              ;   in Loop: Header=BB288_13 Depth=1
	s_or_saveexec_b64 s[26:27], s[26:27]
	v_mov_b32_e32 v55, s30
	s_xor_b64 exec, exec, s[26:27]
	s_cbranch_execnz .LBB288_397
.LBB288_202:                            ;   in Loop: Header=BB288_13 Depth=1
	s_or_b64 exec, exec, s[26:27]
	s_and_saveexec_b64 s[26:27], s[4:5]
	s_cbranch_execz .LBB288_204
.LBB288_203:                            ;   in Loop: Header=BB288_13 Depth=1
	v_bfe_u32 v35, v48, 16, 3
	v_ffbh_u32_e32 v36, v35
	v_min_u32_e32 v55, 32, v36
	v_subrev_u32_e32 v36, 28, v55
	v_bfe_u32 v50, v48, 19, 4
	v_lshlrev_b64 v[36:37], v36, v[8:9]
	v_sub_u32_e32 v37, 29, v55
	v_cmp_eq_u32_e64 s[4:5], 0, v50
	v_and_b32_e32 v36, 7, v36
	v_mov_b32_e32 v20, 0x1c00
	v_cndmask_b32_e64 v37, v50, v37, s[4:5]
	v_cndmask_b32_e64 v35, v35, v36, s[4:5]
	v_lshlrev_b32_e32 v8, 8, v8
	v_lshl_add_u32 v36, v37, 10, v20
	v_and_or_b32 v8, v8, s37, v36
	v_lshl_or_b32 v8, v35, 7, v8
	v_cvt_f32_f16_e32 v55, v8
.LBB288_204:                            ;   in Loop: Header=BB288_13 Depth=1
	s_or_b64 exec, exec, s[26:27]
	v_lshrrev_b32_e32 v8, 24, v48
	v_cmp_lt_i16_e64 s[4:5], s35, v8
	s_mov_b64 s[26:27], 0
                                        ; implicit-def: $sgpr38
	s_and_saveexec_b64 s[28:29], s[4:5]
	s_xor_b64 s[28:29], exec, s[28:29]
	s_cbranch_execnz .LBB288_398
; %bb.205:                              ;   in Loop: Header=BB288_13 Depth=1
	s_or_saveexec_b64 s[28:29], s[28:29]
	v_mov_b32_e32 v37, s38
	s_xor_b64 exec, exec, s[28:29]
	s_cbranch_execnz .LBB288_401
.LBB288_206:                            ;   in Loop: Header=BB288_13 Depth=1
	s_or_b64 exec, exec, s[28:29]
	s_and_saveexec_b64 s[28:29], s[26:27]
	s_cbranch_execz .LBB288_208
.LBB288_207:                            ;   in Loop: Header=BB288_13 Depth=1
	v_bfe_u32 v35, v48, 24, 3
	v_ffbh_u32_e32 v36, v35
	v_min_u32_e32 v50, 32, v36
	v_subrev_u32_e32 v36, 28, v50
	v_bfe_u32 v48, v48, 27, 4
	v_lshlrev_b64 v[36:37], v36, v[8:9]
	v_sub_u32_e32 v37, 29, v50
	v_cmp_eq_u32_e64 s[4:5], 0, v48
	v_and_b32_e32 v36, 7, v36
	v_mov_b32_e32 v20, 0x1c00
	v_cndmask_b32_e64 v37, v48, v37, s[4:5]
	v_cndmask_b32_e64 v35, v35, v36, s[4:5]
	v_lshlrev_b32_e32 v8, 8, v8
	v_lshl_add_u32 v36, v37, 10, v20
	v_and_or_b32 v8, v8, s37, v36
	v_lshl_or_b32 v8, v35, 7, v8
	v_cvt_f32_f16_e32 v37, v8
.LBB288_208:                            ;   in Loop: Header=BB288_13 Depth=1
	s_or_b64 exec, exec, s[28:29]
	v_fma_mixlo_f16 v50, v61, v59, 0
	v_fma_mixlo_f16 v59, v61, v16, 0
	v_fma_mixlo_f16 v16, v61, v19, 0
	v_fma_mixlo_f16 v19, v61, v7, 0
	v_fma_mixlo_f16 v7, v61, v47, 0
	v_accvgpr_read_b32 v47, a42
	v_fma_mixlo_f16 v35, v61, v0, 0
	v_fma_mixlo_f16 v41, v61, v1, 0
	ds_read_b64 v[0:1], v47
	v_fma_mixlo_f16 v8, v61, v27, 0
	v_fma_mixlo_f16 v27, v61, v22, 0
	;; [unrolled: 1-line block ×13, first 2 shown]
	s_waitcnt lgkmcnt(0)
	v_lshrrev_b32_e32 v43, 16, v0
	v_and_b32_e32 v0, 0xffff, v0
	v_fma_mixlo_f16 v48, v61, v24, 0
	v_fma_mixlo_f16 v24, v61, v62, 0
	;; [unrolled: 1-line block ×8, first 2 shown]
	;;#ASMSTART
	v_cvt_f32_f16 v32, v0;
	;;#ASMEND
	v_and_b32_e32 v0, 0xffff, v5
	v_fma_mixlo_f16 v51, v61, v38, 0
	v_fma_mixlo_f16 v38, v61, v28, 0
	;;#ASMSTART
	v_cvt_f32_f16 v43, v43;
	;;#ASMEND
	;;#ASMSTART
	v_cvt_f32_f16 v28, v0;
	;;#ASMEND
	v_and_b32_e32 v0, 0xffff, v4
	v_fma_mixlo_f16 v56, v61, v39, 0
	v_fma_mixlo_f16 v39, v61, v29, 0
	;;#ASMSTART
	v_cvt_f32_f16 v29, v0;
	;;#ASMEND
	v_lshrrev_b32_e32 v0, 16, v1
	v_fma_mixlo_f16 v36, v61, v30, 0
	v_fma_mixlo_f16 v30, v61, v11, 0
	;; [unrolled: 1-line block ×4, first 2 shown]
	v_and_b32_e32 v1, 0xffff, v1
	;;#ASMSTART
	v_cvt_f32_f16 v23, v1;
	;;#ASMEND
	;;#ASMSTART
	v_cvt_f32_f16 v58, v0;
	;;#ASMEND
	v_and_b32_e32 v0, 0xffff, v38
	;;#ASMSTART
	v_cvt_f32_f16 v20, v0;
	;;#ASMEND
	v_and_b32_e32 v0, 0xffff, v39
	;;#ASMSTART
	v_cvt_f32_f16 v21, v0;
	;;#ASMEND
	ds_read_b64 v[38:39], v47 offset:8
	v_fma_mixlo_f16 v4, v61, v26, 0
	v_fma_mixlo_f16 v0, v61, v37, 0
	v_and_b32_e32 v3, 0xffff, v3
	v_and_b32_e32 v2, 0xffff, v2
	s_waitcnt lgkmcnt(0)
	v_lshrrev_b32_e32 v26, 16, v38
	v_and_b32_e32 v37, 0xffff, v38
	;;#ASMSTART
	v_cvt_f32_f16 v37, v37;
	;;#ASMEND
	;;#ASMSTART
	v_cvt_f32_f16 v26, v26;
	;;#ASMEND
	;; [unrolled: 3-line block ×4, first 2 shown]
	v_and_b32_e32 v7, 0xffff, v7
	v_mul_f32_e32 v2, v37, v3
	v_fmac_f32_e32 v2, v32, v28
	v_mul_f32_e32 v3, v26, v38
	v_lshrrev_b32_e32 v26, 16, v39
	v_and_b32_e32 v28, 0xffff, v39
	v_and_b32_e32 v10, 0xffff, v10
	;;#ASMSTART
	v_cvt_f32_f16 v28, v28;
	;;#ASMEND
	;;#ASMSTART
	v_cvt_f32_f16 v26, v26;
	;;#ASMEND
	;; [unrolled: 3-line block ×4, first 2 shown]
	ds_read_b64 v[38:39], v47 offset:16
	v_fma_mixlo_f16 v31, v61, v31, 0
	v_fma_mixlo_f16 v42, v61, v42, 0
	v_mul_f32_e32 v7, v28, v7
	v_mul_f32_e32 v10, v26, v10
	v_fmac_f32_e32 v3, v43, v29
	v_fmac_f32_e32 v7, v23, v20
	v_fmac_f32_e32 v10, v58, v21
	s_waitcnt lgkmcnt(0)
	v_lshrrev_b32_e32 v20, 16, v38
	v_and_b32_e32 v21, 0xffff, v38
	v_and_b32_e32 v23, 0xffff, v42
	;; [unrolled: 1-line block ×3, first 2 shown]
	v_lshrrev_b32_e32 v28, 16, v39
	v_and_b32_e32 v29, 0xffff, v39
	v_and_b32_e32 v31, 0xffff, v34
	;; [unrolled: 1-line block ×3, first 2 shown]
	;;#ASMSTART
	v_cvt_f32_f16 v21, v21;
	;;#ASMEND
	;;#ASMSTART
	v_cvt_f32_f16 v20, v20;
	;;#ASMEND
	;; [unrolled: 3-line block ×8, first 2 shown]
	ds_read_b64 v[38:39], v47 offset:24
	v_fma_mixlo_f16 v33, v61, v33, 0
	v_fma_mixlo_f16 v57, v61, v57, 0
	v_fmac_f32_e32 v2, v21, v23
	v_fmac_f32_e32 v3, v20, v26
	;; [unrolled: 1-line block ×4, first 2 shown]
	s_waitcnt lgkmcnt(0)
	v_lshrrev_b32_e32 v20, 16, v38
	v_and_b32_e32 v21, 0xffff, v38
	v_and_b32_e32 v23, 0xffff, v33
	;; [unrolled: 1-line block ×3, first 2 shown]
	v_lshrrev_b32_e32 v28, 16, v39
	v_and_b32_e32 v29, 0xffff, v39
	v_and_b32_e32 v31, 0xffff, v56
	;; [unrolled: 1-line block ×3, first 2 shown]
	;;#ASMSTART
	v_cvt_f32_f16 v21, v21;
	;;#ASMEND
	;;#ASMSTART
	v_cvt_f32_f16 v20, v20;
	;;#ASMEND
	;; [unrolled: 3-line block ×8, first 2 shown]
	ds_read_b64 v[38:39], v47 offset:32
	v_fma_mixlo_f16 v40, v61, v40, 0
	v_fmac_f32_e32 v2, v21, v23
	v_fmac_f32_e32 v3, v20, v26
	;; [unrolled: 1-line block ×4, first 2 shown]
	s_waitcnt lgkmcnt(0)
	v_lshrrev_b32_e32 v20, 16, v38
	v_and_b32_e32 v21, 0xffff, v38
	v_and_b32_e32 v23, 0xffff, v36
	;; [unrolled: 1-line block ×3, first 2 shown]
	v_lshrrev_b32_e32 v28, 16, v39
	v_and_b32_e32 v29, 0xffff, v39
	v_and_b32_e32 v30, 0xffff, v30
	;; [unrolled: 1-line block ×3, first 2 shown]
	;;#ASMSTART
	v_cvt_f32_f16 v21, v21;
	;;#ASMEND
	;;#ASMSTART
	v_cvt_f32_f16 v20, v20;
	;;#ASMEND
	;; [unrolled: 3-line block ×8, first 2 shown]
	ds_read_b64 v[30:31], v47 offset:40
	v_fmac_f32_e32 v2, v21, v23
	v_fmac_f32_e32 v3, v20, v26
	;; [unrolled: 1-line block ×4, first 2 shown]
	s_waitcnt lgkmcnt(0)
	v_lshrrev_b32_e32 v11, 16, v30
	v_and_b32_e32 v20, 0xffff, v30
	v_and_b32_e32 v21, 0xffff, v41
	;; [unrolled: 1-line block ×3, first 2 shown]
	v_lshrrev_b32_e32 v26, 16, v31
	v_and_b32_e32 v28, 0xffff, v31
	v_and_b32_e32 v29, 0xffff, v53
	;; [unrolled: 1-line block ×3, first 2 shown]
	;;#ASMSTART
	v_cvt_f32_f16 v20, v20;
	;;#ASMEND
	;;#ASMSTART
	v_cvt_f32_f16 v11, v11;
	;;#ASMEND
	;; [unrolled: 3-line block ×8, first 2 shown]
	ds_read_b64 v[30:31], v47 offset:48
	v_fma_mixlo_f16 v54, v61, v54, 0
	v_fmac_f32_e32 v2, v20, v21
	v_fmac_f32_e32 v3, v11, v23
	;; [unrolled: 1-line block ×4, first 2 shown]
	s_waitcnt lgkmcnt(0)
	v_lshrrev_b32_e32 v11, 16, v30
	v_and_b32_e32 v20, 0xffff, v30
	v_and_b32_e32 v21, 0xffff, v62
	;; [unrolled: 1-line block ×3, first 2 shown]
	v_lshrrev_b32_e32 v26, 16, v31
	v_and_b32_e32 v28, 0xffff, v31
	v_and_b32_e32 v14, 0xffff, v14
	;; [unrolled: 1-line block ×3, first 2 shown]
	;;#ASMSTART
	v_cvt_f32_f16 v20, v20;
	;;#ASMEND
	;;#ASMSTART
	v_cvt_f32_f16 v11, v11;
	;;#ASMEND
	;; [unrolled: 3-line block ×8, first 2 shown]
	ds_read_b64 v[30:31], v47 offset:56
	v_fmac_f32_e32 v10, v26, v13
	v_fmac_f32_e32 v3, v11, v23
	v_fmac_f32_e32 v7, v28, v14
	v_fma_mixlo_f16 v15, v61, v15, 0
	s_waitcnt lgkmcnt(0)
	v_and_b32_e32 v13, 0xffff, v30
	v_lshrrev_b32_e32 v11, 16, v30
	;;#ASMSTART
	v_cvt_f32_f16 v14, v13;
	;;#ASMEND
	v_and_b32_e32 v13, 0xffff, v19
	;;#ASMSTART
	v_cvt_f32_f16 v11, v11;
	;;#ASMEND
	;;#ASMSTART
	v_cvt_f32_f16 v19, v13;
	;;#ASMEND
	v_and_b32_e32 v13, 0xffff, v18
	v_fmac_f32_e32 v2, v20, v21
	;;#ASMSTART
	v_cvt_f32_f16 v18, v13;
	;;#ASMEND
	v_lshrrev_b32_e32 v13, 16, v31
	v_and_b32_e32 v20, 0xffff, v31
	;;#ASMSTART
	v_cvt_f32_f16 v20, v20;
	;;#ASMEND
	;;#ASMSTART
	v_cvt_f32_f16 v21, v13;
	;;#ASMEND
	v_and_b32_e32 v13, 0xffff, v15
	v_and_b32_e32 v12, 0xffff, v12
	;;#ASMSTART
	v_cvt_f32_f16 v15, v13;
	;;#ASMEND
	;;#ASMSTART
	v_cvt_f32_f16 v23, v12;
	;;#ASMEND
	ds_read_b64 v[12:13], v47 offset:64
	v_fmac_f32_e32 v3, v11, v18
	v_fmac_f32_e32 v2, v14, v19
	;; [unrolled: 1-line block ×4, first 2 shown]
	s_waitcnt lgkmcnt(0)
	v_lshrrev_b32_e32 v11, 16, v12
	v_and_b32_e32 v12, 0xffff, v12
	;;#ASMSTART
	v_cvt_f32_f16 v14, v12;
	;;#ASMEND
	v_and_b32_e32 v12, 0xffff, v59
	;;#ASMSTART
	v_cvt_f32_f16 v11, v11;
	;;#ASMEND
	;;#ASMSTART
	v_cvt_f32_f16 v15, v12;
	;;#ASMEND
	v_and_b32_e32 v12, 0xffff, v44
	;;#ASMSTART
	v_cvt_f32_f16 v18, v12;
	;;#ASMEND
	v_lshrrev_b32_e32 v12, 16, v13
	v_and_b32_e32 v13, 0xffff, v13
	;;#ASMSTART
	v_cvt_f32_f16 v19, v13;
	;;#ASMEND
	;;#ASMSTART
	v_cvt_f32_f16 v20, v12;
	;;#ASMEND
	v_and_b32_e32 v12, 0xffff, v17
	;;#ASMSTART
	v_cvt_f32_f16 v17, v12;
	;;#ASMEND
	v_and_b32_e32 v12, 0xffff, v16
	;;#ASMSTART
	v_cvt_f32_f16 v16, v12;
	;;#ASMEND
	ds_read_b64 v[12:13], v47 offset:72
	v_fmac_f32_e32 v3, v11, v18
	v_fmac_f32_e32 v2, v14, v15
	v_fmac_f32_e32 v10, v20, v16
	v_fmac_f32_e32 v7, v19, v17
	s_waitcnt lgkmcnt(0)
	v_lshrrev_b32_e32 v11, 16, v12
	v_and_b32_e32 v12, 0xffff, v12
	;;#ASMSTART
	v_cvt_f32_f16 v14, v12;
	;;#ASMEND
	v_and_b32_e32 v12, 0xffff, v50
	;;#ASMSTART
	v_cvt_f32_f16 v11, v11;
	;;#ASMEND
	;;#ASMSTART
	v_cvt_f32_f16 v15, v12;
	;;#ASMEND
	v_and_b32_e32 v12, 0xffff, v27
	;;#ASMSTART
	v_cvt_f32_f16 v16, v12;
	;;#ASMEND
	v_lshrrev_b32_e32 v12, 16, v13
	v_and_b32_e32 v13, 0xffff, v13
	;;#ASMSTART
	v_cvt_f32_f16 v17, v13;
	;;#ASMEND
	;;#ASMSTART
	v_cvt_f32_f16 v18, v12;
	;;#ASMEND
	v_and_b32_e32 v12, 0xffff, v22
	v_and_b32_e32 v6, 0xffff, v6
	;;#ASMSTART
	v_cvt_f32_f16 v19, v12;
	;;#ASMEND
	;;#ASMSTART
	v_cvt_f32_f16 v6, v6;
	;;#ASMEND
	ds_read_b64 v[12:13], v47 offset:80
	v_fma_mixlo_f16 v25, v61, v25, 0
	v_fmac_f32_e32 v3, v11, v16
	v_fmac_f32_e32 v10, v18, v6
	;; [unrolled: 1-line block ×3, first 2 shown]
	s_waitcnt lgkmcnt(0)
	v_lshrrev_b32_e32 v6, 16, v12
	v_and_b32_e32 v11, 0xffff, v12
	v_and_b32_e32 v12, 0xffff, v25
	;;#ASMSTART
	v_cvt_f32_f16 v11, v11;
	;;#ASMEND
	;;#ASMSTART
	v_cvt_f32_f16 v6, v6;
	;;#ASMEND
	;; [unrolled: 3-line block ×3, first 2 shown]
	v_and_b32_e32 v12, 0xffff, v48
	;;#ASMSTART
	v_cvt_f32_f16 v15, v12;
	;;#ASMEND
	v_lshrrev_b32_e32 v12, 16, v13
	v_fmac_f32_e32 v7, v17, v19
	v_and_b32_e32 v13, 0xffff, v13
	;;#ASMSTART
	v_cvt_f32_f16 v16, v13;
	;;#ASMEND
	;;#ASMSTART
	v_cvt_f32_f16 v17, v12;
	;;#ASMEND
	v_and_b32_e32 v12, 0xffff, v24
	v_and_b32_e32 v8, 0xffff, v8
	;;#ASMSTART
	v_cvt_f32_f16 v18, v12;
	;;#ASMEND
	;;#ASMSTART
	v_cvt_f32_f16 v8, v8;
	;;#ASMEND
	ds_read_b64 v[12:13], v47 offset:88
	v_fma_mixlo_f16 v5, v61, v49, 0
	v_fmac_f32_e32 v3, v6, v15
	v_fmac_f32_e32 v10, v17, v8
	v_and_b32_e32 v5, 0xffff, v5
	s_waitcnt lgkmcnt(0)
	v_lshrrev_b32_e32 v6, 16, v12
	v_and_b32_e32 v8, 0xffff, v12
	v_and_b32_e32 v4, 0xffff, v4
	v_fma_mixlo_f16 v1, v61, v55, 0
	v_fmac_f32_e32 v2, v11, v14
	;;#ASMSTART
	v_cvt_f32_f16 v8, v8;
	;;#ASMEND
	;;#ASMSTART
	v_cvt_f32_f16 v6, v6;
	;;#ASMEND
	;; [unrolled: 3-line block ×4, first 2 shown]
	v_and_b32_e32 v1, 0xffff, v1
	v_fmac_f32_e32 v2, v8, v5
	v_fmac_f32_e32 v3, v6, v4
	v_lshrrev_b32_e32 v4, 16, v13
	v_and_b32_e32 v5, 0xffff, v13
	v_and_b32_e32 v0, 0xffff, v0
	;;#ASMSTART
	v_cvt_f32_f16 v5, v5;
	;;#ASMEND
	;;#ASMSTART
	v_cvt_f32_f16 v4, v4;
	;;#ASMEND
	;; [unrolled: 3-line block ×4, first 2 shown]
	v_fmac_f32_e32 v7, v16, v18
	v_fmac_f32_e32 v10, v4, v0
	v_add_f32_e32 v0, v2, v3
	v_accvgpr_read_b32 v3, a49
	v_and_b32_e32 v2, 64, v3
	v_fmac_f32_e32 v7, v5, v1
	v_xor_b32_e32 v1, 1, v3
	v_add_u32_e32 v2, 64, v2
	v_cmp_lt_i32_e64 s[4:5], v1, v2
	v_add_f32_e32 v0, v0, v7
	v_add_f32_e32 v0, v10, v0
	v_cndmask_b32_e64 v1, v3, v1, s[4:5]
	v_lshlrev_b32_e32 v1, 2, v1
	ds_bpermute_b32 v1, v1, v0
	s_and_saveexec_b64 s[26:27], vcc
	s_cbranch_execz .LBB288_11
; %bb.209:                              ;   in Loop: Header=BB288_13 Depth=1
	scratch_load_dword v4, off, s32 offset:144 ; 4-byte Folded Reload
	v_accvgpr_read_b32 v2, a48
	v_add_u32_e32 v2, v2, v46
	v_cvt_f32_i32_e32 v2, v2
	s_waitcnt lgkmcnt(0)
	v_add_f32_e32 v0, v0, v1
	v_accvgpr_read_b32 v1, a33
	s_load_dword s4, s[22:23], 0x0
	v_accvgpr_read_b32 v3, a37
	v_add_u32_e32 v3, v3, v46
	s_waitcnt vmcnt(0)
	v_mul_f32_e32 v2, v4, v2
	v_cndmask_b32_e64 v2, 0, v2, s[2:3]
	v_fmac_f32_e32 v2, v0, v1
	scratch_load_dword v1, off, s32 offset:140 ; 4-byte Folded Reload
	v_accvgpr_read_b32 v4, a45
	v_accvgpr_read_b32 v0, a8
	s_waitcnt lgkmcnt(0)
	v_add_u32_e32 v4, s4, v4
	v_cmp_lt_i32_e64 s[4:5], v3, v0
	s_nop 1
	v_cndmask_b32_e64 v0, 0, v2, s[4:5]
	ds_write_b32 v4, v0
	s_waitcnt vmcnt(0)
	v_max_f32_e32 v0, v1, v1
	v_max_f32_e32 v0, v0, v2
	v_cndmask_b32_e64 v1, v1, v0, s[4:5]
	scratch_store_dword off, v1, s32 offset:140 ; 4-byte Folded Spill
	s_branch .LBB288_11
.LBB288_210:                            ;   in Loop: Header=BB288_13 Depth=1
	v_cmp_eq_u16_sdwa s[38:39], v50, s36 src0_sel:BYTE_0 src1_sel:DWORD
	s_mov_b64 s[4:5], -1
                                        ; implicit-def: $sgpr30
	s_and_saveexec_b64 s[28:29], s[38:39]
; %bb.211:                              ;   in Loop: Header=BB288_13 Depth=1
	s_mov_b32 s30, 0x7fc02000
	s_xor_b64 s[4:5], exec, -1
; %bb.212:                              ;   in Loop: Header=BB288_13 Depth=1
	s_or_b64 exec, exec, s[28:29]
	s_and_b64 s[4:5], s[4:5], exec
	s_or_saveexec_b64 s[26:27], s[26:27]
	v_mov_b32_e32 v21, s30
	s_xor_b64 exec, exec, s[26:27]
	s_cbranch_execz .LBB288_18
.LBB288_213:                            ;   in Loop: Header=BB288_13 Depth=1
	v_cmp_ne_u16_sdwa s[28:29], v50, v9 src0_sel:BYTE_0 src1_sel:DWORD
	s_andn2_b64 s[4:5], s[4:5], exec
	s_and_b64 s[28:29], s[28:29], exec
	v_mov_b32_e32 v21, 0
	s_or_b64 s[4:5], s[4:5], s[28:29]
	s_or_b64 exec, exec, s[26:27]
	s_and_saveexec_b64 s[26:27], s[4:5]
	s_cbranch_execnz .LBB288_19
	s_branch .LBB288_20
.LBB288_214:                            ;   in Loop: Header=BB288_13 Depth=1
	v_cmp_eq_u16_e64 s[4:5], s36, v8
	s_mov_b64 s[26:27], -1
                                        ; implicit-def: $sgpr38
	s_and_saveexec_b64 s[30:31], s[4:5]
; %bb.215:                              ;   in Loop: Header=BB288_13 Depth=1
	s_mov_b32 s38, 0x7fc02000
	s_xor_b64 s[26:27], exec, -1
; %bb.216:                              ;   in Loop: Header=BB288_13 Depth=1
	s_or_b64 exec, exec, s[30:31]
	s_and_b64 s[26:27], s[26:27], exec
	s_or_saveexec_b64 s[28:29], s[28:29]
	v_mov_b32_e32 v23, s38
	s_xor_b64 exec, exec, s[28:29]
	s_cbranch_execz .LBB288_22
.LBB288_217:                            ;   in Loop: Header=BB288_13 Depth=1
	v_cmp_ne_u16_e64 s[4:5], 0, v8
	s_andn2_b64 s[26:27], s[26:27], exec
	s_and_b64 s[4:5], s[4:5], exec
	v_mov_b32_e32 v23, 0
	s_or_b64 s[26:27], s[26:27], s[4:5]
	s_or_b64 exec, exec, s[28:29]
	s_and_saveexec_b64 s[28:29], s[26:27]
	s_cbranch_execnz .LBB288_23
	s_branch .LBB288_24
.LBB288_218:                            ;   in Loop: Header=BB288_13 Depth=1
	v_cmp_eq_u16_sdwa s[38:39], v8, s36 src0_sel:BYTE_0 src1_sel:DWORD
	s_mov_b64 s[4:5], -1
                                        ; implicit-def: $sgpr30
	s_and_saveexec_b64 s[28:29], s[38:39]
; %bb.219:                              ;   in Loop: Header=BB288_13 Depth=1
	s_mov_b32 s30, 0x7fc02000
	s_xor_b64 s[4:5], exec, -1
; %bb.220:                              ;   in Loop: Header=BB288_13 Depth=1
	s_or_b64 exec, exec, s[28:29]
	s_and_b64 s[4:5], s[4:5], exec
	s_or_saveexec_b64 s[26:27], s[26:27]
	v_mov_b32_e32 v28, s30
	s_xor_b64 exec, exec, s[26:27]
	s_cbranch_execz .LBB288_26
.LBB288_221:                            ;   in Loop: Header=BB288_13 Depth=1
	v_cmp_ne_u16_sdwa s[28:29], v8, v9 src0_sel:BYTE_0 src1_sel:DWORD
	s_andn2_b64 s[4:5], s[4:5], exec
	s_and_b64 s[28:29], s[28:29], exec
	v_mov_b32_e32 v28, 0
	s_or_b64 s[4:5], s[4:5], s[28:29]
	s_or_b64 exec, exec, s[26:27]
	s_and_saveexec_b64 s[26:27], s[4:5]
	s_cbranch_execnz .LBB288_27
	s_branch .LBB288_28
.LBB288_222:                            ;   in Loop: Header=BB288_13 Depth=1
	v_cmp_eq_u16_e64 s[4:5], s36, v8
	s_mov_b64 s[26:27], -1
                                        ; implicit-def: $sgpr38
	s_and_saveexec_b64 s[30:31], s[4:5]
; %bb.223:                              ;   in Loop: Header=BB288_13 Depth=1
	s_mov_b32 s38, 0x7fc02000
	s_xor_b64 s[26:27], exec, -1
; %bb.224:                              ;   in Loop: Header=BB288_13 Depth=1
	s_or_b64 exec, exec, s[30:31]
	s_and_b64 s[26:27], s[26:27], exec
	s_or_saveexec_b64 s[28:29], s[28:29]
	v_mov_b32_e32 v29, s38
	s_xor_b64 exec, exec, s[28:29]
	s_cbranch_execz .LBB288_30
.LBB288_225:                            ;   in Loop: Header=BB288_13 Depth=1
	v_cmp_ne_u16_e64 s[4:5], 0, v8
	s_andn2_b64 s[26:27], s[26:27], exec
	s_and_b64 s[4:5], s[4:5], exec
	v_mov_b32_e32 v29, 0
	s_or_b64 s[26:27], s[26:27], s[4:5]
	s_or_b64 exec, exec, s[28:29]
	s_and_saveexec_b64 s[28:29], s[26:27]
	s_cbranch_execnz .LBB288_31
	s_branch .LBB288_32
.LBB288_226:                            ;   in Loop: Header=BB288_13 Depth=1
	v_cmp_eq_u16_sdwa s[38:39], v50, s36 src0_sel:BYTE_0 src1_sel:DWORD
	s_mov_b64 s[4:5], -1
                                        ; implicit-def: $sgpr30
	s_and_saveexec_b64 s[28:29], s[38:39]
; %bb.227:                              ;   in Loop: Header=BB288_13 Depth=1
	s_mov_b32 s30, 0x7fc02000
	s_xor_b64 s[4:5], exec, -1
; %bb.228:                              ;   in Loop: Header=BB288_13 Depth=1
	s_or_b64 exec, exec, s[28:29]
	s_and_b64 s[4:5], s[4:5], exec
	s_or_saveexec_b64 s[26:27], s[26:27]
	v_mov_b32_e32 v32, s30
	s_xor_b64 exec, exec, s[26:27]
	s_cbranch_execz .LBB288_34
.LBB288_229:                            ;   in Loop: Header=BB288_13 Depth=1
	v_cmp_ne_u16_sdwa s[28:29], v50, v9 src0_sel:BYTE_0 src1_sel:DWORD
	s_andn2_b64 s[4:5], s[4:5], exec
	s_and_b64 s[28:29], s[28:29], exec
	v_mov_b32_e32 v32, 0
	s_or_b64 s[4:5], s[4:5], s[28:29]
	s_or_b64 exec, exec, s[26:27]
	s_and_saveexec_b64 s[26:27], s[4:5]
	s_cbranch_execnz .LBB288_35
	s_branch .LBB288_36
.LBB288_230:                            ;   in Loop: Header=BB288_13 Depth=1
	v_cmp_eq_u16_e64 s[4:5], s36, v8
	s_mov_b64 s[26:27], -1
                                        ; implicit-def: $sgpr38
	s_and_saveexec_b64 s[30:31], s[4:5]
; %bb.231:                              ;   in Loop: Header=BB288_13 Depth=1
	s_mov_b32 s38, 0x7fc02000
	s_xor_b64 s[26:27], exec, -1
; %bb.232:                              ;   in Loop: Header=BB288_13 Depth=1
	s_or_b64 exec, exec, s[30:31]
	s_and_b64 s[26:27], s[26:27], exec
	s_or_saveexec_b64 s[28:29], s[28:29]
	v_mov_b32_e32 v43, s38
	s_xor_b64 exec, exec, s[28:29]
	s_cbranch_execz .LBB288_38
.LBB288_233:                            ;   in Loop: Header=BB288_13 Depth=1
	v_cmp_ne_u16_e64 s[4:5], 0, v8
	s_andn2_b64 s[26:27], s[26:27], exec
	s_and_b64 s[4:5], s[4:5], exec
	v_mov_b32_e32 v43, 0
	s_or_b64 s[26:27], s[26:27], s[4:5]
	s_or_b64 exec, exec, s[28:29]
	s_and_saveexec_b64 s[28:29], s[26:27]
	s_cbranch_execnz .LBB288_39
	s_branch .LBB288_40
.LBB288_234:                            ;   in Loop: Header=BB288_13 Depth=1
	v_cmp_eq_u16_sdwa s[38:39], v8, s36 src0_sel:BYTE_0 src1_sel:DWORD
	s_mov_b64 s[4:5], -1
                                        ; implicit-def: $sgpr30
	s_and_saveexec_b64 s[28:29], s[38:39]
; %bb.235:                              ;   in Loop: Header=BB288_13 Depth=1
	s_mov_b32 s30, 0x7fc02000
	s_xor_b64 s[4:5], exec, -1
; %bb.236:                              ;   in Loop: Header=BB288_13 Depth=1
	s_or_b64 exec, exec, s[28:29]
	s_and_b64 s[4:5], s[4:5], exec
	s_or_saveexec_b64 s[26:27], s[26:27]
	v_mov_b32_e32 v47, s30
	s_xor_b64 exec, exec, s[26:27]
	s_cbranch_execz .LBB288_42
.LBB288_237:                            ;   in Loop: Header=BB288_13 Depth=1
	v_cmp_ne_u16_sdwa s[28:29], v8, v9 src0_sel:BYTE_0 src1_sel:DWORD
	s_andn2_b64 s[4:5], s[4:5], exec
	s_and_b64 s[28:29], s[28:29], exec
	v_mov_b32_e32 v47, 0
	s_or_b64 s[4:5], s[4:5], s[28:29]
	s_or_b64 exec, exec, s[26:27]
	s_and_saveexec_b64 s[26:27], s[4:5]
	s_cbranch_execnz .LBB288_43
	s_branch .LBB288_44
.LBB288_238:                            ;   in Loop: Header=BB288_13 Depth=1
	v_cmp_eq_u16_e64 s[4:5], s36, v8
	s_mov_b64 s[26:27], -1
                                        ; implicit-def: $sgpr38
	s_and_saveexec_b64 s[30:31], s[4:5]
; %bb.239:                              ;   in Loop: Header=BB288_13 Depth=1
	s_mov_b32 s38, 0x7fc02000
	s_xor_b64 s[26:27], exec, -1
; %bb.240:                              ;   in Loop: Header=BB288_13 Depth=1
	s_or_b64 exec, exec, s[30:31]
	s_and_b64 s[26:27], s[26:27], exec
	s_or_saveexec_b64 s[28:29], s[28:29]
	v_mov_b32_e32 v58, s38
	s_xor_b64 exec, exec, s[28:29]
	s_cbranch_execz .LBB288_46
.LBB288_241:                            ;   in Loop: Header=BB288_13 Depth=1
	v_cmp_ne_u16_e64 s[4:5], 0, v8
	s_andn2_b64 s[26:27], s[26:27], exec
	s_and_b64 s[4:5], s[4:5], exec
	v_mov_b32_e32 v58, 0
	s_or_b64 s[26:27], s[26:27], s[4:5]
	s_or_b64 exec, exec, s[28:29]
	s_and_saveexec_b64 s[28:29], s[26:27]
	s_cbranch_execnz .LBB288_47
	s_branch .LBB288_48
.LBB288_242:                            ;   in Loop: Header=BB288_13 Depth=1
	v_cmp_eq_u16_sdwa s[38:39], v50, s36 src0_sel:BYTE_0 src1_sel:DWORD
	s_mov_b64 s[4:5], -1
                                        ; implicit-def: $sgpr30
	s_and_saveexec_b64 s[28:29], s[38:39]
; %bb.243:                              ;   in Loop: Header=BB288_13 Depth=1
	s_mov_b32 s30, 0x7fc02000
	s_xor_b64 s[4:5], exec, -1
; %bb.244:                              ;   in Loop: Header=BB288_13 Depth=1
	s_or_b64 exec, exec, s[28:29]
	s_and_b64 s[4:5], s[4:5], exec
	s_or_saveexec_b64 s[26:27], s[26:27]
	v_mov_b32_e32 v42, s30
	s_xor_b64 exec, exec, s[26:27]
	s_cbranch_execz .LBB288_50
.LBB288_245:                            ;   in Loop: Header=BB288_13 Depth=1
	v_cmp_ne_u16_sdwa s[28:29], v50, v9 src0_sel:BYTE_0 src1_sel:DWORD
	s_andn2_b64 s[4:5], s[4:5], exec
	s_and_b64 s[28:29], s[28:29], exec
	v_mov_b32_e32 v42, 0
	s_or_b64 s[4:5], s[4:5], s[28:29]
	s_or_b64 exec, exec, s[26:27]
	s_and_saveexec_b64 s[26:27], s[4:5]
	s_cbranch_execnz .LBB288_51
	s_branch .LBB288_52
.LBB288_246:                            ;   in Loop: Header=BB288_13 Depth=1
	v_cmp_eq_u16_e64 s[4:5], s36, v8
	s_mov_b64 s[26:27], -1
                                        ; implicit-def: $sgpr38
	s_and_saveexec_b64 s[30:31], s[4:5]
; %bb.247:                              ;   in Loop: Header=BB288_13 Depth=1
	s_mov_b32 s38, 0x7fc02000
	s_xor_b64 s[26:27], exec, -1
; %bb.248:                              ;   in Loop: Header=BB288_13 Depth=1
	s_or_b64 exec, exec, s[30:31]
	s_and_b64 s[26:27], s[26:27], exec
	s_or_saveexec_b64 s[28:29], s[28:29]
	v_mov_b32_e32 v31, s38
	s_xor_b64 exec, exec, s[28:29]
	s_cbranch_execz .LBB288_54
.LBB288_249:                            ;   in Loop: Header=BB288_13 Depth=1
	v_cmp_ne_u16_e64 s[4:5], 0, v8
	s_andn2_b64 s[26:27], s[26:27], exec
	s_and_b64 s[4:5], s[4:5], exec
	v_mov_b32_e32 v31, 0
	s_or_b64 s[26:27], s[26:27], s[4:5]
	s_or_b64 exec, exec, s[28:29]
	s_and_saveexec_b64 s[28:29], s[26:27]
	s_cbranch_execnz .LBB288_55
	s_branch .LBB288_56
.LBB288_250:                            ;   in Loop: Header=BB288_13 Depth=1
	v_cmp_eq_u16_sdwa s[38:39], v8, s36 src0_sel:BYTE_0 src1_sel:DWORD
	s_mov_b64 s[4:5], -1
                                        ; implicit-def: $sgpr30
	s_and_saveexec_b64 s[28:29], s[38:39]
; %bb.251:                              ;   in Loop: Header=BB288_13 Depth=1
	s_mov_b32 s30, 0x7fc02000
	s_xor_b64 s[4:5], exec, -1
; %bb.252:                              ;   in Loop: Header=BB288_13 Depth=1
	s_or_b64 exec, exec, s[28:29]
	s_and_b64 s[4:5], s[4:5], exec
	s_or_saveexec_b64 s[26:27], s[26:27]
	v_mov_b32_e32 v4, s30
	s_xor_b64 exec, exec, s[26:27]
	s_cbranch_execz .LBB288_58
.LBB288_253:                            ;   in Loop: Header=BB288_13 Depth=1
	v_cmp_ne_u16_sdwa s[28:29], v8, v9 src0_sel:BYTE_0 src1_sel:DWORD
	s_andn2_b64 s[4:5], s[4:5], exec
	s_and_b64 s[28:29], s[28:29], exec
	v_mov_b32_e32 v4, 0
	s_or_b64 s[4:5], s[4:5], s[28:29]
	s_or_b64 exec, exec, s[26:27]
	s_and_saveexec_b64 s[26:27], s[4:5]
	s_cbranch_execnz .LBB288_59
	s_branch .LBB288_60
.LBB288_254:                            ;   in Loop: Header=BB288_13 Depth=1
	v_cmp_eq_u16_e64 s[4:5], s36, v8
	s_mov_b64 s[26:27], -1
                                        ; implicit-def: $sgpr38
	s_and_saveexec_b64 s[30:31], s[4:5]
; %bb.255:                              ;   in Loop: Header=BB288_13 Depth=1
	s_mov_b32 s38, 0x7fc02000
	s_xor_b64 s[26:27], exec, -1
; %bb.256:                              ;   in Loop: Header=BB288_13 Depth=1
	s_or_b64 exec, exec, s[30:31]
	s_and_b64 s[26:27], s[26:27], exec
	s_or_saveexec_b64 s[28:29], s[28:29]
	v_mov_b32_e32 v5, s38
	s_xor_b64 exec, exec, s[28:29]
	s_cbranch_execz .LBB288_62
.LBB288_257:                            ;   in Loop: Header=BB288_13 Depth=1
	v_cmp_ne_u16_e64 s[4:5], 0, v8
	s_andn2_b64 s[26:27], s[26:27], exec
	s_and_b64 s[4:5], s[4:5], exec
	v_mov_b32_e32 v5, 0
	s_or_b64 s[26:27], s[26:27], s[4:5]
	s_or_b64 exec, exec, s[28:29]
	s_and_saveexec_b64 s[28:29], s[26:27]
	s_cbranch_execnz .LBB288_63
	s_branch .LBB288_64
.LBB288_258:                            ;   in Loop: Header=BB288_13 Depth=1
	v_cmp_eq_u16_sdwa s[38:39], v50, s36 src0_sel:BYTE_0 src1_sel:DWORD
	s_mov_b64 s[4:5], -1
                                        ; implicit-def: $sgpr30
	s_and_saveexec_b64 s[28:29], s[38:39]
; %bb.259:                              ;   in Loop: Header=BB288_13 Depth=1
	s_mov_b32 s30, 0x7fc02000
	s_xor_b64 s[4:5], exec, -1
; %bb.260:                              ;   in Loop: Header=BB288_13 Depth=1
	s_or_b64 exec, exec, s[28:29]
	s_and_b64 s[4:5], s[4:5], exec
	s_or_saveexec_b64 s[26:27], s[26:27]
	v_mov_b32_e32 v33, s30
	s_xor_b64 exec, exec, s[26:27]
	s_cbranch_execz .LBB288_66
.LBB288_261:                            ;   in Loop: Header=BB288_13 Depth=1
	v_cmp_ne_u16_sdwa s[28:29], v50, v9 src0_sel:BYTE_0 src1_sel:DWORD
	s_andn2_b64 s[4:5], s[4:5], exec
	s_and_b64 s[28:29], s[28:29], exec
	v_mov_b32_e32 v33, 0
	s_or_b64 s[4:5], s[4:5], s[28:29]
	s_or_b64 exec, exec, s[26:27]
	s_and_saveexec_b64 s[26:27], s[4:5]
	s_cbranch_execnz .LBB288_67
	s_branch .LBB288_68
.LBB288_262:                            ;   in Loop: Header=BB288_13 Depth=1
	v_cmp_eq_u16_e64 s[4:5], s36, v8
	s_mov_b64 s[26:27], -1
                                        ; implicit-def: $sgpr38
	s_and_saveexec_b64 s[30:31], s[4:5]
; %bb.263:                              ;   in Loop: Header=BB288_13 Depth=1
	s_mov_b32 s38, 0x7fc02000
	s_xor_b64 s[26:27], exec, -1
; %bb.264:                              ;   in Loop: Header=BB288_13 Depth=1
	s_or_b64 exec, exec, s[30:31]
	s_and_b64 s[26:27], s[26:27], exec
	s_or_saveexec_b64 s[28:29], s[28:29]
	v_mov_b32_e32 v38, s38
	s_xor_b64 exec, exec, s[28:29]
	s_cbranch_execz .LBB288_70
.LBB288_265:                            ;   in Loop: Header=BB288_13 Depth=1
	v_cmp_ne_u16_e64 s[4:5], 0, v8
	s_andn2_b64 s[26:27], s[26:27], exec
	s_and_b64 s[4:5], s[4:5], exec
	v_mov_b32_e32 v38, 0
	s_or_b64 s[26:27], s[26:27], s[4:5]
	s_or_b64 exec, exec, s[28:29]
	s_and_saveexec_b64 s[28:29], s[26:27]
	s_cbranch_execnz .LBB288_71
	s_branch .LBB288_72
.LBB288_266:                            ;   in Loop: Header=BB288_13 Depth=1
	v_cmp_eq_u16_sdwa s[38:39], v8, s36 src0_sel:BYTE_0 src1_sel:DWORD
	s_mov_b64 s[4:5], -1
                                        ; implicit-def: $sgpr30
	s_and_saveexec_b64 s[28:29], s[38:39]
; %bb.267:                              ;   in Loop: Header=BB288_13 Depth=1
	s_mov_b32 s30, 0x7fc02000
	s_xor_b64 s[4:5], exec, -1
; %bb.268:                              ;   in Loop: Header=BB288_13 Depth=1
	s_or_b64 exec, exec, s[28:29]
	s_and_b64 s[4:5], s[4:5], exec
	s_or_saveexec_b64 s[26:27], s[26:27]
	v_mov_b32_e32 v39, s30
	s_xor_b64 exec, exec, s[26:27]
	s_cbranch_execz .LBB288_74
.LBB288_269:                            ;   in Loop: Header=BB288_13 Depth=1
	v_cmp_ne_u16_sdwa s[28:29], v8, v9 src0_sel:BYTE_0 src1_sel:DWORD
	s_andn2_b64 s[4:5], s[4:5], exec
	s_and_b64 s[28:29], s[28:29], exec
	v_mov_b32_e32 v39, 0
	s_or_b64 s[4:5], s[4:5], s[28:29]
	s_or_b64 exec, exec, s[26:27]
	s_and_saveexec_b64 s[26:27], s[4:5]
	s_cbranch_execnz .LBB288_75
	s_branch .LBB288_76
.LBB288_270:                            ;   in Loop: Header=BB288_13 Depth=1
	v_cmp_eq_u16_e64 s[4:5], s36, v8
	s_mov_b64 s[26:27], -1
                                        ; implicit-def: $sgpr38
	s_and_saveexec_b64 s[30:31], s[4:5]
; %bb.271:                              ;   in Loop: Header=BB288_13 Depth=1
	s_mov_b32 s38, 0x7fc02000
	s_xor_b64 s[26:27], exec, -1
; %bb.272:                              ;   in Loop: Header=BB288_13 Depth=1
	s_or_b64 exec, exec, s[30:31]
	s_and_b64 s[26:27], s[26:27], exec
	s_or_saveexec_b64 s[28:29], s[28:29]
	v_mov_b32_e32 v57, s38
	s_xor_b64 exec, exec, s[28:29]
	s_cbranch_execz .LBB288_78
.LBB288_273:                            ;   in Loop: Header=BB288_13 Depth=1
	v_cmp_ne_u16_e64 s[4:5], 0, v8
	s_andn2_b64 s[26:27], s[26:27], exec
	s_and_b64 s[4:5], s[4:5], exec
	v_mov_b32_e32 v57, 0
	s_or_b64 s[26:27], s[26:27], s[4:5]
	s_or_b64 exec, exec, s[28:29]
	s_and_saveexec_b64 s[28:29], s[26:27]
	s_cbranch_execnz .LBB288_79
	s_branch .LBB288_80
.LBB288_274:                            ;   in Loop: Header=BB288_13 Depth=1
	v_cmp_eq_u16_sdwa s[38:39], v50, s36 src0_sel:BYTE_0 src1_sel:DWORD
	s_mov_b64 s[4:5], -1
                                        ; implicit-def: $sgpr30
	s_and_saveexec_b64 s[28:29], s[38:39]
; %bb.275:                              ;   in Loop: Header=BB288_13 Depth=1
	s_mov_b32 s30, 0x7fc02000
	s_xor_b64 s[4:5], exec, -1
; %bb.276:                              ;   in Loop: Header=BB288_13 Depth=1
	s_or_b64 exec, exec, s[28:29]
	s_and_b64 s[4:5], s[4:5], exec
	s_or_saveexec_b64 s[26:27], s[26:27]
	v_mov_b32_e32 v30, s30
	s_xor_b64 exec, exec, s[26:27]
	s_cbranch_execz .LBB288_82
.LBB288_277:                            ;   in Loop: Header=BB288_13 Depth=1
	v_cmp_ne_u16_sdwa s[28:29], v50, v9 src0_sel:BYTE_0 src1_sel:DWORD
	s_andn2_b64 s[4:5], s[4:5], exec
	s_and_b64 s[28:29], s[28:29], exec
	v_mov_b32_e32 v30, 0
	s_or_b64 s[4:5], s[4:5], s[28:29]
	s_or_b64 exec, exec, s[26:27]
	s_and_saveexec_b64 s[26:27], s[4:5]
	s_cbranch_execnz .LBB288_83
	s_branch .LBB288_84
.LBB288_278:                            ;   in Loop: Header=BB288_13 Depth=1
	v_cmp_eq_u16_e64 s[4:5], s36, v8
	s_mov_b64 s[26:27], -1
                                        ; implicit-def: $sgpr38
	s_and_saveexec_b64 s[30:31], s[4:5]
; %bb.279:                              ;   in Loop: Header=BB288_13 Depth=1
	s_mov_b32 s38, 0x7fc02000
	s_xor_b64 s[26:27], exec, -1
; %bb.280:                              ;   in Loop: Header=BB288_13 Depth=1
	s_or_b64 exec, exec, s[30:31]
	s_and_b64 s[26:27], s[26:27], exec
	s_or_saveexec_b64 s[28:29], s[28:29]
	v_mov_b32_e32 v40, s38
	s_xor_b64 exec, exec, s[28:29]
	s_cbranch_execz .LBB288_86
.LBB288_281:                            ;   in Loop: Header=BB288_13 Depth=1
	v_cmp_ne_u16_e64 s[4:5], 0, v8
	s_andn2_b64 s[26:27], s[26:27], exec
	s_and_b64 s[4:5], s[4:5], exec
	v_mov_b32_e32 v40, 0
	s_or_b64 s[26:27], s[26:27], s[4:5]
	s_or_b64 exec, exec, s[28:29]
	s_and_saveexec_b64 s[28:29], s[26:27]
	s_cbranch_execnz .LBB288_87
	s_branch .LBB288_88
.LBB288_282:                            ;   in Loop: Header=BB288_13 Depth=1
	v_cmp_eq_u16_sdwa s[38:39], v8, s36 src0_sel:BYTE_0 src1_sel:DWORD
	s_mov_b64 s[4:5], -1
                                        ; implicit-def: $sgpr30
	s_and_saveexec_b64 s[28:29], s[38:39]
; %bb.283:                              ;   in Loop: Header=BB288_13 Depth=1
	s_mov_b32 s30, 0x7fc02000
	s_xor_b64 s[4:5], exec, -1
; %bb.284:                              ;   in Loop: Header=BB288_13 Depth=1
	s_or_b64 exec, exec, s[28:29]
	s_and_b64 s[4:5], s[4:5], exec
	s_or_saveexec_b64 s[26:27], s[26:27]
	v_mov_b32_e32 v11, s30
	s_xor_b64 exec, exec, s[26:27]
	s_cbranch_execz .LBB288_90
.LBB288_285:                            ;   in Loop: Header=BB288_13 Depth=1
	v_cmp_ne_u16_sdwa s[28:29], v8, v9 src0_sel:BYTE_0 src1_sel:DWORD
	s_andn2_b64 s[4:5], s[4:5], exec
	s_and_b64 s[28:29], s[28:29], exec
	v_mov_b32_e32 v11, 0
	s_or_b64 s[4:5], s[4:5], s[28:29]
	s_or_b64 exec, exec, s[26:27]
	s_and_saveexec_b64 s[26:27], s[4:5]
	s_cbranch_execnz .LBB288_91
	s_branch .LBB288_92
.LBB288_286:                            ;   in Loop: Header=BB288_13 Depth=1
	v_cmp_eq_u16_e64 s[4:5], s36, v8
	s_mov_b64 s[26:27], -1
                                        ; implicit-def: $sgpr38
	s_and_saveexec_b64 s[30:31], s[4:5]
; %bb.287:                              ;   in Loop: Header=BB288_13 Depth=1
	s_mov_b32 s38, 0x7fc02000
	s_xor_b64 s[26:27], exec, -1
; %bb.288:                              ;   in Loop: Header=BB288_13 Depth=1
	s_or_b64 exec, exec, s[30:31]
	s_and_b64 s[26:27], s[26:27], exec
	s_or_saveexec_b64 s[28:29], s[28:29]
	v_mov_b32_e32 v10, s38
	s_xor_b64 exec, exec, s[28:29]
	s_cbranch_execz .LBB288_94
.LBB288_289:                            ;   in Loop: Header=BB288_13 Depth=1
	v_cmp_ne_u16_e64 s[4:5], 0, v8
	s_andn2_b64 s[26:27], s[26:27], exec
	s_and_b64 s[4:5], s[4:5], exec
	v_mov_b32_e32 v10, 0
	s_or_b64 s[26:27], s[26:27], s[4:5]
	s_or_b64 exec, exec, s[28:29]
	s_and_saveexec_b64 s[28:29], s[26:27]
	s_cbranch_execnz .LBB288_95
	s_branch .LBB288_96
.LBB288_290:                            ;   in Loop: Header=BB288_13 Depth=1
	v_cmp_eq_u16_sdwa s[38:39], v50, s36 src0_sel:BYTE_0 src1_sel:DWORD
	s_mov_b64 s[4:5], -1
                                        ; implicit-def: $sgpr30
	s_and_saveexec_b64 s[28:29], s[38:39]
; %bb.291:                              ;   in Loop: Header=BB288_13 Depth=1
	s_mov_b32 s30, 0x7fc02000
	s_xor_b64 s[4:5], exec, -1
; %bb.292:                              ;   in Loop: Header=BB288_13 Depth=1
	s_or_b64 exec, exec, s[28:29]
	s_and_b64 s[4:5], s[4:5], exec
	s_or_saveexec_b64 s[26:27], s[26:27]
	v_mov_b32_e32 v1, s30
	s_xor_b64 exec, exec, s[26:27]
	s_cbranch_execz .LBB288_98
.LBB288_293:                            ;   in Loop: Header=BB288_13 Depth=1
	v_cmp_ne_u16_sdwa s[28:29], v50, v9 src0_sel:BYTE_0 src1_sel:DWORD
	s_andn2_b64 s[4:5], s[4:5], exec
	s_and_b64 s[28:29], s[28:29], exec
	v_mov_b32_e32 v1, 0
	s_or_b64 s[4:5], s[4:5], s[28:29]
	s_or_b64 exec, exec, s[26:27]
	s_and_saveexec_b64 s[26:27], s[4:5]
	s_cbranch_execnz .LBB288_99
	s_branch .LBB288_100
.LBB288_294:                            ;   in Loop: Header=BB288_13 Depth=1
	v_cmp_eq_u16_e64 s[4:5], s36, v8
	s_mov_b64 s[26:27], -1
                                        ; implicit-def: $sgpr38
	s_and_saveexec_b64 s[30:31], s[4:5]
; %bb.295:                              ;   in Loop: Header=BB288_13 Depth=1
	s_mov_b32 s38, 0x7fc02000
	s_xor_b64 s[26:27], exec, -1
; %bb.296:                              ;   in Loop: Header=BB288_13 Depth=1
	s_or_b64 exec, exec, s[30:31]
	s_and_b64 s[26:27], s[26:27], exec
	s_or_saveexec_b64 s[28:29], s[28:29]
	v_mov_b32_e32 v0, s38
	s_xor_b64 exec, exec, s[28:29]
	s_cbranch_execz .LBB288_102
.LBB288_297:                            ;   in Loop: Header=BB288_13 Depth=1
	v_cmp_ne_u16_e64 s[4:5], 0, v8
	s_andn2_b64 s[26:27], s[26:27], exec
	s_and_b64 s[4:5], s[4:5], exec
	v_mov_b32_e32 v0, 0
	s_or_b64 s[26:27], s[26:27], s[4:5]
	s_or_b64 exec, exec, s[28:29]
	s_and_saveexec_b64 s[28:29], s[26:27]
	s_cbranch_execnz .LBB288_103
	s_branch .LBB288_104
.LBB288_298:                            ;   in Loop: Header=BB288_13 Depth=1
	v_cmp_eq_u16_sdwa s[38:39], v8, s36 src0_sel:BYTE_0 src1_sel:DWORD
	s_mov_b64 s[4:5], -1
                                        ; implicit-def: $sgpr30
	s_and_saveexec_b64 s[28:29], s[38:39]
; %bb.299:                              ;   in Loop: Header=BB288_13 Depth=1
	s_mov_b32 s30, 0x7fc02000
	s_xor_b64 s[4:5], exec, -1
; %bb.300:                              ;   in Loop: Header=BB288_13 Depth=1
	s_or_b64 exec, exec, s[28:29]
	s_and_b64 s[4:5], s[4:5], exec
	s_or_saveexec_b64 s[26:27], s[26:27]
	v_mov_b32_e32 v3, s30
	s_xor_b64 exec, exec, s[26:27]
	s_cbranch_execz .LBB288_106
.LBB288_301:                            ;   in Loop: Header=BB288_13 Depth=1
	v_cmp_ne_u16_sdwa s[28:29], v8, v9 src0_sel:BYTE_0 src1_sel:DWORD
	s_andn2_b64 s[4:5], s[4:5], exec
	s_and_b64 s[28:29], s[28:29], exec
	v_mov_b32_e32 v3, 0
	s_or_b64 s[4:5], s[4:5], s[28:29]
	s_or_b64 exec, exec, s[26:27]
	s_and_saveexec_b64 s[26:27], s[4:5]
	s_cbranch_execnz .LBB288_107
	s_branch .LBB288_108
.LBB288_302:                            ;   in Loop: Header=BB288_13 Depth=1
	v_cmp_eq_u16_e64 s[4:5], s36, v8
	s_mov_b64 s[26:27], -1
                                        ; implicit-def: $sgpr38
	s_and_saveexec_b64 s[30:31], s[4:5]
; %bb.303:                              ;   in Loop: Header=BB288_13 Depth=1
	s_mov_b32 s38, 0x7fc02000
	s_xor_b64 s[26:27], exec, -1
; %bb.304:                              ;   in Loop: Header=BB288_13 Depth=1
	s_or_b64 exec, exec, s[30:31]
	s_and_b64 s[26:27], s[26:27], exec
	s_or_saveexec_b64 s[28:29], s[28:29]
	v_mov_b32_e32 v2, s38
	s_xor_b64 exec, exec, s[28:29]
	s_cbranch_execz .LBB288_110
.LBB288_305:                            ;   in Loop: Header=BB288_13 Depth=1
	v_cmp_ne_u16_e64 s[4:5], 0, v8
	s_andn2_b64 s[26:27], s[26:27], exec
	s_and_b64 s[4:5], s[4:5], exec
	v_mov_b32_e32 v2, 0
	s_or_b64 s[26:27], s[26:27], s[4:5]
	s_or_b64 exec, exec, s[28:29]
	s_and_saveexec_b64 s[28:29], s[26:27]
	s_cbranch_execnz .LBB288_111
	s_branch .LBB288_112
.LBB288_306:                            ;   in Loop: Header=BB288_13 Depth=1
	v_cmp_eq_u16_sdwa s[38:39], v50, s36 src0_sel:BYTE_0 src1_sel:DWORD
	s_mov_b64 s[4:5], -1
                                        ; implicit-def: $sgpr30
	s_and_saveexec_b64 s[28:29], s[38:39]
; %bb.307:                              ;   in Loop: Header=BB288_13 Depth=1
	s_mov_b32 s30, 0x7fc02000
	s_xor_b64 s[4:5], exec, -1
; %bb.308:                              ;   in Loop: Header=BB288_13 Depth=1
	s_or_b64 exec, exec, s[28:29]
	s_and_b64 s[4:5], s[4:5], exec
	s_or_saveexec_b64 s[26:27], s[26:27]
	v_mov_b32_e32 v13, s30
	s_xor_b64 exec, exec, s[26:27]
	s_cbranch_execz .LBB288_114
.LBB288_309:                            ;   in Loop: Header=BB288_13 Depth=1
	v_cmp_ne_u16_sdwa s[28:29], v50, v9 src0_sel:BYTE_0 src1_sel:DWORD
	s_andn2_b64 s[4:5], s[4:5], exec
	s_and_b64 s[28:29], s[28:29], exec
	v_mov_b32_e32 v13, 0
	s_or_b64 s[4:5], s[4:5], s[28:29]
	s_or_b64 exec, exec, s[26:27]
	s_and_saveexec_b64 s[26:27], s[4:5]
	s_cbranch_execnz .LBB288_115
	s_branch .LBB288_116
.LBB288_310:                            ;   in Loop: Header=BB288_13 Depth=1
	v_cmp_eq_u16_e64 s[4:5], s36, v8
	s_mov_b64 s[26:27], -1
                                        ; implicit-def: $sgpr38
	s_and_saveexec_b64 s[30:31], s[4:5]
; %bb.311:                              ;   in Loop: Header=BB288_13 Depth=1
	s_mov_b32 s38, 0x7fc02000
	s_xor_b64 s[26:27], exec, -1
; %bb.312:                              ;   in Loop: Header=BB288_13 Depth=1
	s_or_b64 exec, exec, s[30:31]
	s_and_b64 s[26:27], s[26:27], exec
	s_or_saveexec_b64 s[28:29], s[28:29]
	v_mov_b32_e32 v54, s38
	s_xor_b64 exec, exec, s[28:29]
	s_cbranch_execz .LBB288_118
.LBB288_313:                            ;   in Loop: Header=BB288_13 Depth=1
	v_cmp_ne_u16_e64 s[4:5], 0, v8
	s_andn2_b64 s[26:27], s[26:27], exec
	s_and_b64 s[4:5], s[4:5], exec
	v_mov_b32_e32 v54, 0
	s_or_b64 s[26:27], s[26:27], s[4:5]
	s_or_b64 exec, exec, s[28:29]
	s_and_saveexec_b64 s[28:29], s[26:27]
	s_cbranch_execnz .LBB288_119
	s_branch .LBB288_120
.LBB288_314:                            ;   in Loop: Header=BB288_13 Depth=1
	v_cmp_eq_u16_sdwa s[38:39], v8, s36 src0_sel:BYTE_0 src1_sel:DWORD
	s_mov_b64 s[4:5], -1
                                        ; implicit-def: $sgpr30
	s_and_saveexec_b64 s[28:29], s[38:39]
; %bb.315:                              ;   in Loop: Header=BB288_13 Depth=1
	s_mov_b32 s30, 0x7fc02000
	s_xor_b64 s[4:5], exec, -1
; %bb.316:                              ;   in Loop: Header=BB288_13 Depth=1
	s_or_b64 exec, exec, s[28:29]
	s_and_b64 s[4:5], s[4:5], exec
	s_or_saveexec_b64 s[26:27], s[26:27]
	v_mov_b32_e32 v52, s30
	s_xor_b64 exec, exec, s[26:27]
	s_cbranch_execz .LBB288_122
.LBB288_317:                            ;   in Loop: Header=BB288_13 Depth=1
	v_cmp_ne_u16_sdwa s[28:29], v8, v9 src0_sel:BYTE_0 src1_sel:DWORD
	s_andn2_b64 s[4:5], s[4:5], exec
	s_and_b64 s[28:29], s[28:29], exec
	v_mov_b32_e32 v52, 0
	s_or_b64 s[4:5], s[4:5], s[28:29]
	s_or_b64 exec, exec, s[26:27]
	s_and_saveexec_b64 s[26:27], s[4:5]
	s_cbranch_execnz .LBB288_123
	s_branch .LBB288_124
.LBB288_318:                            ;   in Loop: Header=BB288_13 Depth=1
	v_cmp_eq_u16_e64 s[4:5], s36, v8
	s_mov_b64 s[26:27], -1
                                        ; implicit-def: $sgpr38
	s_and_saveexec_b64 s[30:31], s[4:5]
; %bb.319:                              ;   in Loop: Header=BB288_13 Depth=1
	s_mov_b32 s38, 0x7fc02000
	s_xor_b64 s[26:27], exec, -1
; %bb.320:                              ;   in Loop: Header=BB288_13 Depth=1
	s_or_b64 exec, exec, s[30:31]
	s_and_b64 s[26:27], s[26:27], exec
	s_or_saveexec_b64 s[28:29], s[28:29]
	v_mov_b32_e32 v53, s38
	s_xor_b64 exec, exec, s[28:29]
	s_cbranch_execz .LBB288_126
.LBB288_321:                            ;   in Loop: Header=BB288_13 Depth=1
	v_cmp_ne_u16_e64 s[4:5], 0, v8
	s_andn2_b64 s[26:27], s[26:27], exec
	s_and_b64 s[4:5], s[4:5], exec
	v_mov_b32_e32 v53, 0
	s_or_b64 s[26:27], s[26:27], s[4:5]
	s_or_b64 exec, exec, s[28:29]
	s_and_saveexec_b64 s[28:29], s[26:27]
	s_cbranch_execnz .LBB288_127
	s_branch .LBB288_128
.LBB288_322:                            ;   in Loop: Header=BB288_13 Depth=1
	v_cmp_eq_u16_sdwa s[38:39], v50, s36 src0_sel:BYTE_0 src1_sel:DWORD
	s_mov_b64 s[4:5], -1
                                        ; implicit-def: $sgpr30
	s_and_saveexec_b64 s[28:29], s[38:39]
; %bb.323:                              ;   in Loop: Header=BB288_13 Depth=1
	s_mov_b32 s30, 0x7fc02000
	s_xor_b64 s[4:5], exec, -1
; %bb.324:                              ;   in Loop: Header=BB288_13 Depth=1
	s_or_b64 exec, exec, s[28:29]
	s_and_b64 s[4:5], s[4:5], exec
	s_or_saveexec_b64 s[26:27], s[26:27]
	v_mov_b32_e32 v7, s30
	s_xor_b64 exec, exec, s[26:27]
	s_cbranch_execz .LBB288_130
.LBB288_325:                            ;   in Loop: Header=BB288_13 Depth=1
	v_cmp_ne_u16_sdwa s[28:29], v50, v9 src0_sel:BYTE_0 src1_sel:DWORD
	s_andn2_b64 s[4:5], s[4:5], exec
	s_and_b64 s[28:29], s[28:29], exec
	v_mov_b32_e32 v7, 0
	s_or_b64 s[4:5], s[4:5], s[28:29]
	s_or_b64 exec, exec, s[26:27]
	s_and_saveexec_b64 s[26:27], s[4:5]
	s_cbranch_execnz .LBB288_131
	s_branch .LBB288_132
.LBB288_326:                            ;   in Loop: Header=BB288_13 Depth=1
	v_cmp_eq_u16_e64 s[4:5], s36, v8
	s_mov_b64 s[26:27], -1
                                        ; implicit-def: $sgpr38
	s_and_saveexec_b64 s[30:31], s[4:5]
; %bb.327:                              ;   in Loop: Header=BB288_13 Depth=1
	s_mov_b32 s38, 0x7fc02000
	s_xor_b64 s[26:27], exec, -1
; %bb.328:                              ;   in Loop: Header=BB288_13 Depth=1
	s_or_b64 exec, exec, s[30:31]
	s_and_b64 s[26:27], s[26:27], exec
	s_or_saveexec_b64 s[28:29], s[28:29]
	v_mov_b32_e32 v12, s38
	s_xor_b64 exec, exec, s[28:29]
	s_cbranch_execz .LBB288_134
.LBB288_329:                            ;   in Loop: Header=BB288_13 Depth=1
	v_cmp_ne_u16_e64 s[4:5], 0, v8
	s_andn2_b64 s[26:27], s[26:27], exec
	s_and_b64 s[4:5], s[4:5], exec
	v_mov_b32_e32 v12, 0
	s_or_b64 s[26:27], s[26:27], s[4:5]
	s_or_b64 exec, exec, s[28:29]
	s_and_saveexec_b64 s[28:29], s[26:27]
	s_cbranch_execnz .LBB288_135
	s_branch .LBB288_136
.LBB288_330:                            ;   in Loop: Header=BB288_13 Depth=1
	v_cmp_eq_u16_sdwa s[38:39], v8, s36 src0_sel:BYTE_0 src1_sel:DWORD
	s_mov_b64 s[4:5], -1
                                        ; implicit-def: $sgpr30
	s_and_saveexec_b64 s[28:29], s[38:39]
; %bb.331:                              ;   in Loop: Header=BB288_13 Depth=1
	s_mov_b32 s30, 0x7fc02000
	s_xor_b64 s[4:5], exec, -1
; %bb.332:                              ;   in Loop: Header=BB288_13 Depth=1
	s_or_b64 exec, exec, s[28:29]
	s_and_b64 s[4:5], s[4:5], exec
	s_or_saveexec_b64 s[26:27], s[26:27]
	v_mov_b32_e32 v15, s30
	s_xor_b64 exec, exec, s[26:27]
	s_cbranch_execz .LBB288_138
.LBB288_333:                            ;   in Loop: Header=BB288_13 Depth=1
	v_cmp_ne_u16_sdwa s[28:29], v8, v9 src0_sel:BYTE_0 src1_sel:DWORD
	s_andn2_b64 s[4:5], s[4:5], exec
	s_and_b64 s[28:29], s[28:29], exec
	v_mov_b32_e32 v15, 0
	s_or_b64 s[4:5], s[4:5], s[28:29]
	s_or_b64 exec, exec, s[26:27]
	s_and_saveexec_b64 s[26:27], s[4:5]
	s_cbranch_execnz .LBB288_139
	s_branch .LBB288_140
.LBB288_334:                            ;   in Loop: Header=BB288_13 Depth=1
	v_cmp_eq_u16_e64 s[4:5], s36, v8
	s_mov_b64 s[26:27], -1
                                        ; implicit-def: $sgpr38
	s_and_saveexec_b64 s[30:31], s[4:5]
; %bb.335:                              ;   in Loop: Header=BB288_13 Depth=1
	s_mov_b32 s38, 0x7fc02000
	s_xor_b64 s[26:27], exec, -1
; %bb.336:                              ;   in Loop: Header=BB288_13 Depth=1
	s_or_b64 exec, exec, s[30:31]
	s_and_b64 s[26:27], s[26:27], exec
	s_or_saveexec_b64 s[28:29], s[28:29]
	v_mov_b32_e32 v14, s38
	s_xor_b64 exec, exec, s[28:29]
	s_cbranch_execz .LBB288_142
.LBB288_337:                            ;   in Loop: Header=BB288_13 Depth=1
	v_cmp_ne_u16_e64 s[4:5], 0, v8
	s_andn2_b64 s[26:27], s[26:27], exec
	s_and_b64 s[4:5], s[4:5], exec
	v_mov_b32_e32 v14, 0
	s_or_b64 s[26:27], s[26:27], s[4:5]
	s_or_b64 exec, exec, s[28:29]
	s_and_saveexec_b64 s[28:29], s[26:27]
	s_cbranch_execnz .LBB288_143
	s_branch .LBB288_144
.LBB288_338:                            ;   in Loop: Header=BB288_13 Depth=1
	v_cmp_eq_u16_sdwa s[38:39], v50, s36 src0_sel:BYTE_0 src1_sel:DWORD
	s_mov_b64 s[4:5], -1
                                        ; implicit-def: $sgpr30
	s_and_saveexec_b64 s[28:29], s[38:39]
; %bb.339:                              ;   in Loop: Header=BB288_13 Depth=1
	s_mov_b32 s30, 0x7fc02000
	s_xor_b64 s[4:5], exec, -1
; %bb.340:                              ;   in Loop: Header=BB288_13 Depth=1
	s_or_b64 exec, exec, s[28:29]
	s_and_b64 s[4:5], s[4:5], exec
	s_or_saveexec_b64 s[26:27], s[26:27]
	v_mov_b32_e32 v16, s30
	s_xor_b64 exec, exec, s[26:27]
	s_cbranch_execz .LBB288_146
.LBB288_341:                            ;   in Loop: Header=BB288_13 Depth=1
	v_cmp_ne_u16_sdwa s[28:29], v50, v9 src0_sel:BYTE_0 src1_sel:DWORD
	s_andn2_b64 s[4:5], s[4:5], exec
	s_and_b64 s[28:29], s[28:29], exec
	v_mov_b32_e32 v16, 0
	s_or_b64 s[4:5], s[4:5], s[28:29]
	s_or_b64 exec, exec, s[26:27]
	s_and_saveexec_b64 s[26:27], s[4:5]
	s_cbranch_execnz .LBB288_147
	s_branch .LBB288_148
.LBB288_342:                            ;   in Loop: Header=BB288_13 Depth=1
	v_cmp_eq_u16_e64 s[4:5], s36, v8
	s_mov_b64 s[26:27], -1
                                        ; implicit-def: $sgpr38
	s_and_saveexec_b64 s[30:31], s[4:5]
; %bb.343:                              ;   in Loop: Header=BB288_13 Depth=1
	s_mov_b32 s38, 0x7fc02000
	s_xor_b64 s[26:27], exec, -1
; %bb.344:                              ;   in Loop: Header=BB288_13 Depth=1
	s_or_b64 exec, exec, s[30:31]
	s_and_b64 s[26:27], s[26:27], exec
	s_or_saveexec_b64 s[28:29], s[28:29]
	v_mov_b32_e32 v17, s38
	s_xor_b64 exec, exec, s[28:29]
	s_cbranch_execz .LBB288_150
.LBB288_345:                            ;   in Loop: Header=BB288_13 Depth=1
	v_cmp_ne_u16_e64 s[4:5], 0, v8
	s_andn2_b64 s[26:27], s[26:27], exec
	s_and_b64 s[4:5], s[4:5], exec
	v_mov_b32_e32 v17, 0
	s_or_b64 s[26:27], s[26:27], s[4:5]
	s_or_b64 exec, exec, s[28:29]
	s_and_saveexec_b64 s[28:29], s[26:27]
	s_cbranch_execnz .LBB288_151
	s_branch .LBB288_152
.LBB288_346:                            ;   in Loop: Header=BB288_13 Depth=1
	v_cmp_eq_u16_sdwa s[38:39], v8, s36 src0_sel:BYTE_0 src1_sel:DWORD
	s_mov_b64 s[4:5], -1
                                        ; implicit-def: $sgpr30
	s_and_saveexec_b64 s[28:29], s[38:39]
; %bb.347:                              ;   in Loop: Header=BB288_13 Depth=1
	s_mov_b32 s30, 0x7fc02000
	s_xor_b64 s[4:5], exec, -1
; %bb.348:                              ;   in Loop: Header=BB288_13 Depth=1
	s_or_b64 exec, exec, s[28:29]
	s_and_b64 s[4:5], s[4:5], exec
	s_or_saveexec_b64 s[26:27], s[26:27]
	v_mov_b32_e32 v18, s30
	s_xor_b64 exec, exec, s[26:27]
	s_cbranch_execz .LBB288_154
.LBB288_349:                            ;   in Loop: Header=BB288_13 Depth=1
	v_cmp_ne_u16_sdwa s[28:29], v8, v9 src0_sel:BYTE_0 src1_sel:DWORD
	s_andn2_b64 s[4:5], s[4:5], exec
	s_and_b64 s[28:29], s[28:29], exec
	v_mov_b32_e32 v18, 0
	s_or_b64 s[4:5], s[4:5], s[28:29]
	s_or_b64 exec, exec, s[26:27]
	s_and_saveexec_b64 s[26:27], s[4:5]
	s_cbranch_execnz .LBB288_155
	s_branch .LBB288_156
.LBB288_350:                            ;   in Loop: Header=BB288_13 Depth=1
	v_cmp_eq_u16_e64 s[4:5], s36, v8
	s_mov_b64 s[26:27], -1
                                        ; implicit-def: $sgpr38
	s_and_saveexec_b64 s[30:31], s[4:5]
; %bb.351:                              ;   in Loop: Header=BB288_13 Depth=1
	s_mov_b32 s38, 0x7fc02000
	s_xor_b64 s[26:27], exec, -1
; %bb.352:                              ;   in Loop: Header=BB288_13 Depth=1
	s_or_b64 exec, exec, s[30:31]
	s_and_b64 s[26:27], s[26:27], exec
	s_or_saveexec_b64 s[28:29], s[28:29]
	v_mov_b32_e32 v19, s38
	s_xor_b64 exec, exec, s[28:29]
	s_cbranch_execz .LBB288_158
.LBB288_353:                            ;   in Loop: Header=BB288_13 Depth=1
	v_cmp_ne_u16_e64 s[4:5], 0, v8
	s_andn2_b64 s[26:27], s[26:27], exec
	s_and_b64 s[4:5], s[4:5], exec
	v_mov_b32_e32 v19, 0
	s_or_b64 s[26:27], s[26:27], s[4:5]
	s_or_b64 exec, exec, s[28:29]
	s_and_saveexec_b64 s[28:29], s[26:27]
	s_cbranch_execnz .LBB288_159
	s_branch .LBB288_160
.LBB288_354:                            ;   in Loop: Header=BB288_13 Depth=1
	v_cmp_eq_u16_sdwa s[38:39], v50, s36 src0_sel:BYTE_0 src1_sel:DWORD
	s_mov_b64 s[4:5], -1
                                        ; implicit-def: $sgpr30
	s_and_saveexec_b64 s[28:29], s[38:39]
; %bb.355:                              ;   in Loop: Header=BB288_13 Depth=1
	s_mov_b32 s30, 0x7fc02000
	s_xor_b64 s[4:5], exec, -1
; %bb.356:                              ;   in Loop: Header=BB288_13 Depth=1
	s_or_b64 exec, exec, s[28:29]
	s_and_b64 s[4:5], s[4:5], exec
	s_or_saveexec_b64 s[26:27], s[26:27]
	v_mov_b32_e32 v59, s30
	s_xor_b64 exec, exec, s[26:27]
	s_cbranch_execz .LBB288_162
.LBB288_357:                            ;   in Loop: Header=BB288_13 Depth=1
	v_cmp_ne_u16_sdwa s[28:29], v50, v9 src0_sel:BYTE_0 src1_sel:DWORD
	s_andn2_b64 s[4:5], s[4:5], exec
	s_and_b64 s[28:29], s[28:29], exec
	v_mov_b32_e32 v59, 0
	s_or_b64 s[4:5], s[4:5], s[28:29]
	s_or_b64 exec, exec, s[26:27]
	s_and_saveexec_b64 s[26:27], s[4:5]
	s_cbranch_execnz .LBB288_163
	s_branch .LBB288_164
.LBB288_358:                            ;   in Loop: Header=BB288_13 Depth=1
	v_cmp_eq_u16_e64 s[4:5], s36, v8
	s_mov_b64 s[26:27], -1
                                        ; implicit-def: $sgpr38
	s_and_saveexec_b64 s[30:31], s[4:5]
; %bb.359:                              ;   in Loop: Header=BB288_13 Depth=1
	s_mov_b32 s38, 0x7fc02000
	s_xor_b64 s[26:27], exec, -1
; %bb.360:                              ;   in Loop: Header=BB288_13 Depth=1
	s_or_b64 exec, exec, s[30:31]
	s_and_b64 s[26:27], s[26:27], exec
	s_or_saveexec_b64 s[28:29], s[28:29]
	v_mov_b32_e32 v22, s38
	s_xor_b64 exec, exec, s[28:29]
	s_cbranch_execz .LBB288_166
.LBB288_361:                            ;   in Loop: Header=BB288_13 Depth=1
	v_cmp_ne_u16_e64 s[4:5], 0, v8
	s_andn2_b64 s[26:27], s[26:27], exec
	s_and_b64 s[4:5], s[4:5], exec
	v_mov_b32_e32 v22, 0
	s_or_b64 s[26:27], s[26:27], s[4:5]
	s_or_b64 exec, exec, s[28:29]
	s_and_saveexec_b64 s[28:29], s[26:27]
	s_cbranch_execnz .LBB288_167
	s_branch .LBB288_168
.LBB288_362:                            ;   in Loop: Header=BB288_13 Depth=1
	v_cmp_eq_u16_sdwa s[38:39], v8, s36 src0_sel:BYTE_0 src1_sel:DWORD
	s_mov_b64 s[4:5], -1
                                        ; implicit-def: $sgpr30
	s_and_saveexec_b64 s[28:29], s[38:39]
; %bb.363:                              ;   in Loop: Header=BB288_13 Depth=1
	s_mov_b32 s30, 0x7fc02000
	s_xor_b64 s[4:5], exec, -1
; %bb.364:                              ;   in Loop: Header=BB288_13 Depth=1
	s_or_b64 exec, exec, s[28:29]
	s_and_b64 s[4:5], s[4:5], exec
	s_or_saveexec_b64 s[26:27], s[26:27]
	v_mov_b32_e32 v6, s30
	s_xor_b64 exec, exec, s[26:27]
	s_cbranch_execz .LBB288_170
.LBB288_365:                            ;   in Loop: Header=BB288_13 Depth=1
	v_cmp_ne_u16_sdwa s[28:29], v8, v9 src0_sel:BYTE_0 src1_sel:DWORD
	s_andn2_b64 s[4:5], s[4:5], exec
	s_and_b64 s[28:29], s[28:29], exec
	v_mov_b32_e32 v6, 0
	s_or_b64 s[4:5], s[4:5], s[28:29]
	s_or_b64 exec, exec, s[26:27]
	s_and_saveexec_b64 s[26:27], s[4:5]
	s_cbranch_execnz .LBB288_171
	s_branch .LBB288_172
.LBB288_366:                            ;   in Loop: Header=BB288_13 Depth=1
	v_cmp_eq_u16_e64 s[4:5], s36, v8
	s_mov_b64 s[26:27], -1
                                        ; implicit-def: $sgpr38
	s_and_saveexec_b64 s[30:31], s[4:5]
; %bb.367:                              ;   in Loop: Header=BB288_13 Depth=1
	s_mov_b32 s38, 0x7fc02000
	s_xor_b64 s[26:27], exec, -1
; %bb.368:                              ;   in Loop: Header=BB288_13 Depth=1
	s_or_b64 exec, exec, s[30:31]
	s_and_b64 s[26:27], s[26:27], exec
	s_or_saveexec_b64 s[28:29], s[28:29]
	v_mov_b32_e32 v44, s38
	s_xor_b64 exec, exec, s[28:29]
	s_cbranch_execz .LBB288_174
.LBB288_369:                            ;   in Loop: Header=BB288_13 Depth=1
	v_cmp_ne_u16_e64 s[4:5], 0, v8
	s_andn2_b64 s[26:27], s[26:27], exec
	s_and_b64 s[4:5], s[4:5], exec
	v_mov_b32_e32 v44, 0
	s_or_b64 s[26:27], s[26:27], s[4:5]
	s_or_b64 exec, exec, s[28:29]
	s_and_saveexec_b64 s[28:29], s[26:27]
	s_cbranch_execnz .LBB288_175
	s_branch .LBB288_176
.LBB288_370:                            ;   in Loop: Header=BB288_13 Depth=1
	v_cmp_eq_u16_sdwa s[38:39], v50, s36 src0_sel:BYTE_0 src1_sel:DWORD
	s_mov_b64 s[4:5], -1
                                        ; implicit-def: $sgpr30
	s_and_saveexec_b64 s[28:29], s[38:39]
; %bb.371:                              ;   in Loop: Header=BB288_13 Depth=1
	s_mov_b32 s30, 0x7fc02000
	s_xor_b64 s[4:5], exec, -1
; %bb.372:                              ;   in Loop: Header=BB288_13 Depth=1
	s_or_b64 exec, exec, s[28:29]
	s_and_b64 s[4:5], s[4:5], exec
	s_or_saveexec_b64 s[26:27], s[26:27]
	v_mov_b32_e32 v25, s30
	s_xor_b64 exec, exec, s[26:27]
	s_cbranch_execz .LBB288_178
.LBB288_373:                            ;   in Loop: Header=BB288_13 Depth=1
	v_cmp_ne_u16_sdwa s[28:29], v50, v9 src0_sel:BYTE_0 src1_sel:DWORD
	s_andn2_b64 s[4:5], s[4:5], exec
	s_and_b64 s[28:29], s[28:29], exec
	v_mov_b32_e32 v25, 0
	s_or_b64 s[4:5], s[4:5], s[28:29]
	s_or_b64 exec, exec, s[26:27]
	s_and_saveexec_b64 s[26:27], s[4:5]
	s_cbranch_execnz .LBB288_179
	s_branch .LBB288_180
.LBB288_374:                            ;   in Loop: Header=BB288_13 Depth=1
	v_cmp_eq_u16_e64 s[4:5], s36, v8
	s_mov_b64 s[26:27], -1
                                        ; implicit-def: $sgpr38
	s_and_saveexec_b64 s[30:31], s[4:5]
; %bb.375:                              ;   in Loop: Header=BB288_13 Depth=1
	s_mov_b32 s38, 0x7fc02000
	s_xor_b64 s[26:27], exec, -1
; %bb.376:                              ;   in Loop: Header=BB288_13 Depth=1
	s_or_b64 exec, exec, s[30:31]
	s_and_b64 s[26:27], s[26:27], exec
	s_or_saveexec_b64 s[28:29], s[28:29]
	v_mov_b32_e32 v24, s38
	s_xor_b64 exec, exec, s[28:29]
	s_cbranch_execz .LBB288_182
.LBB288_377:                            ;   in Loop: Header=BB288_13 Depth=1
	v_cmp_ne_u16_e64 s[4:5], 0, v8
	s_andn2_b64 s[26:27], s[26:27], exec
	s_and_b64 s[4:5], s[4:5], exec
	v_mov_b32_e32 v24, 0
	s_or_b64 s[26:27], s[26:27], s[4:5]
	s_or_b64 exec, exec, s[28:29]
	s_and_saveexec_b64 s[28:29], s[26:27]
	s_cbranch_execnz .LBB288_183
	s_branch .LBB288_184
.LBB288_378:                            ;   in Loop: Header=BB288_13 Depth=1
	v_cmp_eq_u16_sdwa s[38:39], v8, s36 src0_sel:BYTE_0 src1_sel:DWORD
	s_mov_b64 s[4:5], -1
                                        ; implicit-def: $sgpr30
	s_and_saveexec_b64 s[28:29], s[38:39]
; %bb.379:                              ;   in Loop: Header=BB288_13 Depth=1
	s_mov_b32 s30, 0x7fc02000
	s_xor_b64 s[4:5], exec, -1
; %bb.380:                              ;   in Loop: Header=BB288_13 Depth=1
	s_or_b64 exec, exec, s[28:29]
	s_and_b64 s[4:5], s[4:5], exec
	s_or_saveexec_b64 s[26:27], s[26:27]
	v_mov_b32_e32 v62, s30
	s_xor_b64 exec, exec, s[26:27]
	s_cbranch_execz .LBB288_186
.LBB288_381:                            ;   in Loop: Header=BB288_13 Depth=1
	v_cmp_ne_u16_sdwa s[28:29], v8, v9 src0_sel:BYTE_0 src1_sel:DWORD
	s_andn2_b64 s[4:5], s[4:5], exec
	s_and_b64 s[28:29], s[28:29], exec
	v_mov_b32_e32 v62, 0
	s_or_b64 s[4:5], s[4:5], s[28:29]
	s_or_b64 exec, exec, s[26:27]
	s_and_saveexec_b64 s[26:27], s[4:5]
	s_cbranch_execnz .LBB288_187
	s_branch .LBB288_188
.LBB288_382:                            ;   in Loop: Header=BB288_13 Depth=1
	v_cmp_eq_u16_e64 s[4:5], s36, v8
	s_mov_b64 s[26:27], -1
                                        ; implicit-def: $sgpr38
	s_and_saveexec_b64 s[30:31], s[4:5]
; %bb.383:                              ;   in Loop: Header=BB288_13 Depth=1
	s_mov_b32 s38, 0x7fc02000
	s_xor_b64 s[26:27], exec, -1
; %bb.384:                              ;   in Loop: Header=BB288_13 Depth=1
	s_or_b64 exec, exec, s[30:31]
	s_and_b64 s[26:27], s[26:27], exec
	s_or_saveexec_b64 s[28:29], s[28:29]
	v_mov_b32_e32 v27, s38
	s_xor_b64 exec, exec, s[28:29]
	s_cbranch_execz .LBB288_190
.LBB288_385:                            ;   in Loop: Header=BB288_13 Depth=1
	v_cmp_ne_u16_e64 s[4:5], 0, v8
	s_andn2_b64 s[26:27], s[26:27], exec
	s_and_b64 s[4:5], s[4:5], exec
	v_mov_b32_e32 v27, 0
	s_or_b64 s[26:27], s[26:27], s[4:5]
	s_or_b64 exec, exec, s[28:29]
	s_and_saveexec_b64 s[28:29], s[26:27]
	s_cbranch_execnz .LBB288_191
	s_branch .LBB288_192
.LBB288_386:                            ;   in Loop: Header=BB288_13 Depth=1
	v_cmp_eq_u16_sdwa s[38:39], v48, s36 src0_sel:BYTE_0 src1_sel:DWORD
	s_mov_b64 s[4:5], -1
                                        ; implicit-def: $sgpr30
	s_and_saveexec_b64 s[28:29], s[38:39]
; %bb.387:                              ;   in Loop: Header=BB288_13 Depth=1
	s_mov_b32 s30, 0x7fc02000
	s_xor_b64 s[4:5], exec, -1
; %bb.388:                              ;   in Loop: Header=BB288_13 Depth=1
	s_or_b64 exec, exec, s[28:29]
	s_and_b64 s[4:5], s[4:5], exec
	s_or_saveexec_b64 s[26:27], s[26:27]
	v_mov_b32_e32 v49, s30
	s_xor_b64 exec, exec, s[26:27]
	s_cbranch_execz .LBB288_194
.LBB288_389:                            ;   in Loop: Header=BB288_13 Depth=1
	v_cmp_ne_u16_sdwa s[28:29], v48, v9 src0_sel:BYTE_0 src1_sel:DWORD
	s_andn2_b64 s[4:5], s[4:5], exec
	s_and_b64 s[28:29], s[28:29], exec
	v_mov_b32_e32 v49, 0
	s_or_b64 s[4:5], s[4:5], s[28:29]
	s_or_b64 exec, exec, s[26:27]
	s_and_saveexec_b64 s[26:27], s[4:5]
	s_cbranch_execnz .LBB288_195
	s_branch .LBB288_196
.LBB288_390:                            ;   in Loop: Header=BB288_13 Depth=1
	v_cmp_eq_u16_e64 s[4:5], s36, v8
	s_mov_b64 s[26:27], -1
                                        ; implicit-def: $sgpr38
	s_and_saveexec_b64 s[30:31], s[4:5]
; %bb.391:                              ;   in Loop: Header=BB288_13 Depth=1
	s_mov_b32 s38, 0x7fc02000
	s_xor_b64 s[26:27], exec, -1
; %bb.392:                              ;   in Loop: Header=BB288_13 Depth=1
	s_or_b64 exec, exec, s[30:31]
	s_and_b64 s[26:27], s[26:27], exec
	s_or_saveexec_b64 s[28:29], s[28:29]
	v_mov_b32_e32 v26, s38
	s_xor_b64 exec, exec, s[28:29]
	s_cbranch_execz .LBB288_198
.LBB288_393:                            ;   in Loop: Header=BB288_13 Depth=1
	v_cmp_ne_u16_e64 s[4:5], 0, v8
	s_andn2_b64 s[26:27], s[26:27], exec
	s_and_b64 s[4:5], s[4:5], exec
	v_mov_b32_e32 v26, 0
	s_or_b64 s[26:27], s[26:27], s[4:5]
	s_or_b64 exec, exec, s[28:29]
	s_and_saveexec_b64 s[28:29], s[26:27]
	s_cbranch_execnz .LBB288_199
	s_branch .LBB288_200
.LBB288_394:                            ;   in Loop: Header=BB288_13 Depth=1
	v_cmp_eq_u16_sdwa s[38:39], v8, s36 src0_sel:BYTE_0 src1_sel:DWORD
	s_mov_b64 s[4:5], -1
                                        ; implicit-def: $sgpr30
	s_and_saveexec_b64 s[28:29], s[38:39]
; %bb.395:                              ;   in Loop: Header=BB288_13 Depth=1
	s_mov_b32 s30, 0x7fc02000
	s_xor_b64 s[4:5], exec, -1
; %bb.396:                              ;   in Loop: Header=BB288_13 Depth=1
	s_or_b64 exec, exec, s[28:29]
	s_and_b64 s[4:5], s[4:5], exec
	s_or_saveexec_b64 s[26:27], s[26:27]
	v_mov_b32_e32 v55, s30
	s_xor_b64 exec, exec, s[26:27]
	s_cbranch_execz .LBB288_202
.LBB288_397:                            ;   in Loop: Header=BB288_13 Depth=1
	v_cmp_ne_u16_sdwa s[28:29], v8, v9 src0_sel:BYTE_0 src1_sel:DWORD
	s_andn2_b64 s[4:5], s[4:5], exec
	s_and_b64 s[28:29], s[28:29], exec
	v_mov_b32_e32 v55, 0
	s_or_b64 s[4:5], s[4:5], s[28:29]
	s_or_b64 exec, exec, s[26:27]
	s_and_saveexec_b64 s[26:27], s[4:5]
	s_cbranch_execnz .LBB288_203
	s_branch .LBB288_204
.LBB288_398:                            ;   in Loop: Header=BB288_13 Depth=1
	v_cmp_eq_u16_e64 s[4:5], s36, v8
	s_mov_b64 s[26:27], -1
                                        ; implicit-def: $sgpr38
	s_and_saveexec_b64 s[30:31], s[4:5]
; %bb.399:                              ;   in Loop: Header=BB288_13 Depth=1
	s_mov_b32 s38, 0x7fc02000
	s_xor_b64 s[26:27], exec, -1
; %bb.400:                              ;   in Loop: Header=BB288_13 Depth=1
	s_or_b64 exec, exec, s[30:31]
	s_and_b64 s[26:27], s[26:27], exec
	s_or_saveexec_b64 s[28:29], s[28:29]
	v_mov_b32_e32 v37, s38
	s_xor_b64 exec, exec, s[28:29]
	s_cbranch_execz .LBB288_206
.LBB288_401:                            ;   in Loop: Header=BB288_13 Depth=1
	v_cmp_ne_u16_e64 s[4:5], 0, v8
	s_andn2_b64 s[26:27], s[26:27], exec
	s_and_b64 s[4:5], s[4:5], exec
	v_mov_b32_e32 v37, 0
	s_or_b64 s[26:27], s[26:27], s[4:5]
	s_or_b64 exec, exec, s[28:29]
	s_and_saveexec_b64 s[28:29], s[26:27]
	s_cbranch_execnz .LBB288_207
	s_branch .LBB288_208
.LBB288_402:
	s_or_b64 exec, exec, s[24:25]
	scratch_load_dword v6, off, s32 offset:140 ; 4-byte Folded Reload
	v_accvgpr_read_b32 v14, a16
	v_accvgpr_read_b32 v25, a21
	;; [unrolled: 1-line block ×18, first 2 shown]
.LBB288_403:
	s_or_b64 exec, exec, s[8:9]
	v_mbcnt_hi_u32_b32 v0, -1, v4
	v_and_b32_e32 v1, 64, v0
	v_add_u32_e32 v1, 64, v1
	v_xor_b32_e32 v2, 32, v0
	v_cmp_lt_i32_e32 vcc, v2, v1
	v_xor_b32_e32 v5, 16, v0
	s_waitcnt vmcnt(0)
	v_max_f32_e32 v4, v6, v6
	v_cndmask_b32_e32 v2, v0, v2, vcc
	v_lshlrev_b32_e32 v2, 2, v2
	ds_bpermute_b32 v3, v2, v6
	v_cmp_lt_i32_e32 vcc, v5, v1
	v_xor_b32_e32 v6, 8, v0
	v_xor_b32_e32 v7, 4, v0
	;; [unrolled: 1-line block ×3, first 2 shown]
	s_waitcnt lgkmcnt(0)
	v_max_f32_e32 v3, v3, v3
	v_max_f32_e32 v4, v4, v3
	v_cndmask_b32_e32 v3, v0, v5, vcc
	v_lshlrev_b32_e32 v3, 2, v3
	ds_bpermute_b32 v5, v3, v4
	v_cmp_lt_i32_e32 vcc, v6, v1
	s_lshr_b32 s24, s34, 16
	s_waitcnt lgkmcnt(0)
	v_max_f32_e32 v5, v5, v5
	v_max_f32_e32 v5, v4, v5
	v_cndmask_b32_e32 v4, v0, v6, vcc
	v_lshlrev_b32_e32 v4, 2, v4
	ds_bpermute_b32 v6, v4, v5
	v_cmp_lt_i32_e32 vcc, v7, v1
	s_waitcnt lgkmcnt(0)
	v_max_f32_e32 v6, v6, v6
	v_max_f32_e32 v6, v5, v6
	v_cndmask_b32_e32 v5, v0, v7, vcc
	v_lshlrev_b32_e32 v5, 2, v5
	ds_bpermute_b32 v7, v5, v6
	v_cmp_lt_i32_e32 vcc, v8, v1
	s_waitcnt lgkmcnt(0)
	v_max_f32_e32 v7, v7, v7
	v_max_f32_e32 v7, v6, v7
	v_cndmask_b32_e32 v6, v0, v8, vcc
	v_lshlrev_b32_e32 v49, 2, v6
	ds_bpermute_b32 v8, v49, v7
	v_accvgpr_read_b32 v6, a2
	v_and_b32_e32 v48, 63, v6
	v_cmp_eq_u32_e32 vcc, 0, v48
	v_lshlrev_b32_e32 v6, 2, v22
	s_and_saveexec_b64 s[2:3], vcc
	s_cbranch_execz .LBB288_405
; %bb.404:
	s_waitcnt lgkmcnt(0)
	v_max_f32_e32 v8, v8, v8
	v_max_f32_e32 v7, v7, v7
	;; [unrolled: 1-line block ×3, first 2 shown]
	ds_write_b32 v6, v7 offset:192
.LBB288_405:
	s_or_b64 exec, exec, s[2:3]
	v_cmp_gt_u32_e64 s[2:3], 2, v48
	s_waitcnt lgkmcnt(0)
	v_mov_b32_e32 v8, 0xff7fffff
	v_lshlrev_b32_e32 v7, 2, v48
	s_barrier
	s_and_saveexec_b64 s[4:5], s[2:3]
	s_cbranch_execz .LBB288_407
; %bb.406:
	ds_read_b32 v8, v7 offset:192
.LBB288_407:
	s_or_b64 exec, exec, s[4:5]
	v_xor_b32_e32 v9, 1, v0
	v_cmp_lt_i32_e64 s[4:5], v9, v1
	v_accvgpr_read_b32 v10, a8
	s_nop 0
	v_cndmask_b32_e64 v1, v0, v9, s[4:5]
	v_lshlrev_b32_e32 v50, 2, v1
	s_waitcnt lgkmcnt(0)
	ds_bpermute_b32 v1, v50, v8
	v_max_f32_e32 v8, v8, v8
	v_lshlrev_b32_e32 v0, 2, v0
	v_accvgpr_read_b32 v9, a11
	v_subrev_u32_e32 v9, s17, v9
	s_waitcnt lgkmcnt(0)
	v_max_f32_e32 v1, v1, v1
	v_max_f32_e32 v1, v8, v1
	v_and_b32_e32 v8, 0x100, v0
	ds_bpermute_b32 v0, v8, v1
	v_lshl_add_u32 v9, v9, 5, s21
	v_min_i32_e32 v9, v9, v10
	v_subrev_u32_e32 v1, s21, v9
	v_accvgpr_read_b32 v10, a2
	v_cmp_lt_i32_e64 s[4:5], v10, v1
	v_mov_b32_e32 v10, 0
	s_and_saveexec_b64 s[8:9], s[4:5]
	s_cbranch_execz .LBB288_411
; %bb.408:
	s_ashr_i32 s19, s18, 31
	s_lshl_b64 s[6:7], s[18:19], 2
	s_getpc_b64 s[22:23]
	s_add_u32 s22, s22, llvm.amdgcn.dynlds.offset.table@rel32@lo+4
	s_addc_u32 s23, s23, llvm.amdgcn.dynlds.offset.table@rel32@hi+12
	s_add_u32 s6, s6, s22
	s_addc_u32 s7, s7, s23
	s_load_dword s6, s[6:7], 0x0
	v_accvgpr_read_b32 v12, a2
	s_mov_b64 s[22:23], 0
	v_mov_b32_e32 v10, 0
	s_waitcnt lgkmcnt(0)
	v_lshl_add_u32 v11, v12, 2, s6
.LBB288_409:                            ; =>This Inner Loop Header: Depth=1
	ds_read_b32 v13, v11
	v_add_u32_e32 v12, 0x80, v12
	v_cmp_ge_i32_e64 s[6:7], v12, v1
	s_or_b64 s[22:23], s[6:7], s[22:23]
	s_waitcnt lgkmcnt(0)
	v_sub_f32_e32 v13, v13, v0
	v_mul_f32_e32 v13, 0x3fb8aa3b, v13
	v_exp_f32_e32 v13, v13
	ds_write_b32 v11, v13
	v_add_f32_e32 v10, v10, v13
	v_add_u32_e32 v11, 0x200, v11
	s_andn2_b64 exec, exec, s[22:23]
	s_cbranch_execnz .LBB288_409
; %bb.410:
	s_or_b64 exec, exec, s[22:23]
.LBB288_411:
	s_or_b64 exec, exec, s[8:9]
	ds_bpermute_b32 v2, v2, v10
	s_waitcnt lgkmcnt(0)
	v_add_f32_e32 v2, v10, v2
	ds_bpermute_b32 v3, v3, v2
	s_waitcnt lgkmcnt(0)
	v_add_f32_e32 v2, v2, v3
	;; [unrolled: 3-line block ×6, first 2 shown]
	s_and_saveexec_b64 s[6:7], vcc
	s_cbranch_execz .LBB288_413
; %bb.412:
	ds_write_b32 v6, v2 offset:200
.LBB288_413:
	s_or_b64 exec, exec, s[6:7]
	s_waitcnt lgkmcnt(0)
	s_barrier
	s_and_saveexec_b64 s[6:7], s[2:3]
	s_cbranch_execz .LBB288_415
; %bb.414:
	ds_read_b32 v2, v7 offset:200
.LBB288_415:
	s_or_b64 exec, exec, s[6:7]
	s_waitcnt lgkmcnt(0)
	ds_bpermute_b32 v3, v50, v2
	s_waitcnt lgkmcnt(0)
	v_add_f32_e32 v2, v2, v3
	ds_bpermute_b32 v2, v8, v2
	s_and_saveexec_b64 s[2:3], s[4:5]
	s_cbranch_execz .LBB288_428
; %bb.416:
	s_waitcnt lgkmcnt(0)
	v_add_f32_e32 v3, 0x358637bd, v2
	v_div_scale_f32 v4, s[4:5], v3, v3, 1.0
	v_rcp_f32_e32 v5, v4
	v_div_scale_f32 v6, vcc, 1.0, v3, 1.0
	s_movk_i32 s4, 0x7f
	v_fma_f32 v7, -v4, v5, 1.0
	v_fmac_f32_e32 v5, v7, v5
	v_mul_f32_e32 v7, v6, v5
	v_fma_f32 v8, -v4, v7, v6
	v_fmac_f32_e32 v7, v8, v5
	v_fma_f32 v4, -v4, v7, v6
	v_div_fmas_f32 v4, v4, v5, v7
	v_accvgpr_read_b32 v5, a2
	v_div_fixup_f32 v8, v4, v3, 1.0
	v_xad_u32 v3, v5, -1, v9
	v_subrev_u32_e32 v4, s21, v3
	v_cmp_lt_u32_e32 vcc, s4, v4
	s_mov_b64 s[6:7], -1
	v_accvgpr_read_b32 v3, a2
	s_and_saveexec_b64 s[4:5], vcc
	s_cbranch_execz .LBB288_425
; %bb.417:
	v_lshrrev_b32_e32 v3, 7, v4
	v_add_u32_e32 v5, -1, v3
	v_lshrrev_b32_e32 v4, 1, v5
	v_mov_b32_e32 v9, v8
	v_add_u32_e32 v4, 1, v4
	v_cmp_lt_u32_e32 vcc, 13, v5
	v_mov_b32_e32 v7, 0
	s_and_saveexec_b64 s[6:7], vcc
	s_cbranch_execz .LBB288_421
; %bb.418:
	s_ashr_i32 s19, s18, 31
	s_lshl_b64 s[8:9], s[18:19], 2
	s_getpc_b64 s[22:23]
	s_add_u32 s22, s22, llvm.amdgcn.dynlds.offset.table@rel32@lo+4
	s_addc_u32 s23, s23, llvm.amdgcn.dynlds.offset.table@rel32@hi+12
	s_add_u32 s8, s8, s22
	s_addc_u32 s9, s9, s23
	s_load_dword s8, s[8:9], 0x0
	v_accvgpr_read_b32 v6, a2
	v_and_b32_e32 v5, -8, v4
	s_mov_b32 s17, 0
	s_waitcnt lgkmcnt(0)
	v_lshl_add_u32 v6, v6, 2, s8
	s_mov_b64 s[8:9], 0
.LBB288_419:                            ; =>This Inner Loop Header: Depth=1
	ds_read2st64_b32 v[10:11], v6 offset1:2
	ds_read2st64_b32 v[12:13], v6 offset0:4 offset1:6
	ds_read2st64_b32 v[18:19], v6 offset0:8 offset1:10
	;; [unrolled: 1-line block ×3, first 2 shown]
	v_add_u32_e32 v5, -8, v5
	s_waitcnt lgkmcnt(3)
	v_pk_mul_f32 v[10:11], v[8:9], v[10:11]
	s_waitcnt lgkmcnt(2)
	v_pk_mul_f32 v[12:13], v[8:9], v[12:13]
	ds_write2st64_b32 v6, v10, v11 offset1:2
	ds_write2st64_b32 v6, v12, v13 offset0:4 offset1:6
	ds_read2st64_b32 v[12:13], v6 offset0:16 offset1:18
	s_waitcnt lgkmcnt(4)
	v_pk_mul_f32 v[10:11], v[8:9], v[18:19]
	ds_write2st64_b32 v6, v10, v11 offset0:8 offset1:10
	s_waitcnt lgkmcnt(4)
	v_pk_mul_f32 v[10:11], v[8:9], v[16:17]
	ds_write2st64_b32 v6, v10, v11 offset0:12 offset1:14
	ds_read2st64_b32 v[10:11], v6 offset0:20 offset1:22
	s_waitcnt lgkmcnt(3)
	v_pk_mul_f32 v[12:13], v[8:9], v[12:13]
	ds_read2st64_b32 v[16:17], v6 offset0:24 offset1:26
	ds_write2st64_b32 v6, v12, v13 offset0:16 offset1:18
	ds_read2st64_b32 v[12:13], v6 offset0:28 offset1:30
	s_waitcnt lgkmcnt(3)
	v_pk_mul_f32 v[10:11], v[8:9], v[10:11]
	ds_write2st64_b32 v6, v10, v11 offset0:20 offset1:22
	s_waitcnt lgkmcnt(3)
	v_pk_mul_f32 v[10:11], v[8:9], v[16:17]
	ds_write2st64_b32 v6, v10, v11 offset0:24 offset1:26
	s_waitcnt lgkmcnt(2)
	v_pk_mul_f32 v[10:11], v[8:9], v[12:13]
	s_add_i32 s17, s17, 16
	v_cmp_eq_u32_e32 vcc, 0, v5
	ds_write2st64_b32 v6, v10, v11 offset0:28 offset1:30
	v_add_u32_e32 v6, 0x2000, v6
	s_or_b64 s[8:9], vcc, s[8:9]
	v_mov_b32_e32 v7, s17
	s_andn2_b64 exec, exec, s[8:9]
	s_cbranch_execnz .LBB288_419
; %bb.420:
	s_or_b64 exec, exec, s[8:9]
.LBB288_421:
	s_or_b64 exec, exec, s[6:7]
	v_and_b32_e32 v4, 7, v4
	v_cmp_ne_u32_e32 vcc, 0, v4
	s_and_saveexec_b64 s[6:7], vcc
	s_cbranch_execz .LBB288_424
; %bb.422:
	s_ashr_i32 s19, s18, 31
	s_lshl_b64 s[8:9], s[18:19], 2
	s_getpc_b64 s[22:23]
	s_add_u32 s22, s22, llvm.amdgcn.dynlds.offset.table@rel32@lo+4
	s_addc_u32 s23, s23, llvm.amdgcn.dynlds.offset.table@rel32@hi+12
	s_add_u32 s8, s8, s22
	s_addc_u32 s9, s9, s23
	s_load_dword s8, s[8:9], 0x0
	v_accvgpr_read_b32 v6, a2
	v_lshlrev_b32_e32 v5, 9, v7
	v_lshlrev_b32_e32 v6, 2, v6
	s_waitcnt lgkmcnt(0)
	v_add3_u32 v5, v5, v6, s8
	s_mov_b64 s[8:9], 0
.LBB288_423:                            ; =>This Inner Loop Header: Depth=1
	ds_read2st64_b32 v[6:7], v5 offset1:2
	v_add_u32_e32 v4, -1, v4
	v_cmp_eq_u32_e32 vcc, 0, v4
	s_or_b64 s[8:9], vcc, s[8:9]
	s_waitcnt lgkmcnt(0)
	v_pk_mul_f32 v[6:7], v[8:9], v[6:7]
	ds_write2st64_b32 v5, v6, v7 offset1:2
	v_add_u32_e32 v5, 0x400, v5
	s_andn2_b64 exec, exec, s[8:9]
	s_cbranch_execnz .LBB288_423
.LBB288_424:
	s_or_b64 exec, exec, s[6:7]
	v_add_u32_e32 v4, 1, v3
	v_and_b32_e32 v5, 0x3fffffe, v4
	v_accvgpr_read_b32 v3, a2
	v_cmp_ne_u32_e32 vcc, v4, v5
	v_lshl_add_u32 v3, v5, 7, v3
	s_orn2_b64 s[6:7], vcc, exec
.LBB288_425:
	s_or_b64 exec, exec, s[4:5]
	s_and_b64 exec, exec, s[6:7]
	s_cbranch_execz .LBB288_428
; %bb.426:
	s_ashr_i32 s19, s18, 31
	s_lshl_b64 s[4:5], s[18:19], 2
	s_getpc_b64 s[6:7]
	s_add_u32 s6, s6, llvm.amdgcn.dynlds.offset.table@rel32@lo+4
	s_addc_u32 s7, s7, llvm.amdgcn.dynlds.offset.table@rel32@hi+12
	s_add_u32 s4, s4, s6
	s_addc_u32 s5, s5, s7
	s_load_dword s4, s[4:5], 0x0
	s_waitcnt lgkmcnt(0)
	v_lshl_add_u32 v4, v3, 2, s4
	s_mov_b64 s[4:5], 0
.LBB288_427:                            ; =>This Inner Loop Header: Depth=1
	ds_read_b32 v5, v4
	v_add_u32_e32 v3, 0x80, v3
	v_cmp_ge_i32_e32 vcc, v3, v1
	s_or_b64 s[4:5], vcc, s[4:5]
	s_waitcnt lgkmcnt(0)
	v_mul_f32_e32 v5, v8, v5
	ds_write_b32 v4, v5
	v_add_u32_e32 v4, 0x200, v4
	s_andn2_b64 exec, exec, s[4:5]
	s_cbranch_execnz .LBB288_427
.LBB288_428:
	s_or_b64 exec, exec, s[2:3]
	v_cmp_ne_u16_e64 s[2:3], s24, 0
	s_cmp_lg_u64 s[2:3], 0
	s_addc_u32 s17, s13, 0
	v_accvgpr_read_b32 v1, a2
	s_mul_i32 s2, s17, s20
	v_cmp_eq_u32_e32 vcc, 0, v1
	s_mul_i32 s2, s2, s15
	s_waitcnt lgkmcnt(0)
	s_barrier
	s_and_saveexec_b64 s[4:5], vcc
	s_cbranch_execz .LBB288_430
; %bb.429:
	s_mul_i32 s8, s17, s12
	s_ashr_i32 s3, s2, 31
	s_ashr_i32 s9, s8, 31
	;; [unrolled: 1-line block ×3, first 2 shown]
	s_lshl_b64 s[6:7], s[2:3], 2
	s_lshl_b64 s[8:9], s[8:9], 2
	;; [unrolled: 1-line block ×3, first 2 shown]
	s_add_u32 s3, s12, s8
	s_addc_u32 s8, s13, s9
	s_add_u32 s6, s3, s6
	s_addc_u32 s7, s8, s7
	v_lshl_add_u64 v[4:5], s[6:7], 0, v[32:33]
	flat_store_dword v[4:5], v0
	v_lshl_add_u64 v[0:1], s[6:7], 0, v[26:27]
	flat_store_dword v[0:1], v2
.LBB288_430:
	s_or_b64 exec, exec, s[4:5]
	s_ashr_i32 s19, s18, 31
	s_lshl_b64 s[4:5], s[18:19], 2
	s_getpc_b64 s[6:7]
	s_add_u32 s6, s6, llvm.amdgcn.dynlds.offset.table@rel32@lo+4
	s_addc_u32 s7, s7, llvm.amdgcn.dynlds.offset.table@rel32@hi+12
	s_add_u32 s4, s4, s6
	s_addc_u32 s5, s5, s7
	s_load_dword s3, s[4:5], 0x0
	v_accvgpr_read_b32 v0, a2
	s_mov_b32 s4, 0
	v_mov_b32_e32 v21, 0
	v_and_b32_e32 v40, 3, v0
	v_mov_b32_e32 v20, 0
	v_mov_b32_e32 v19, 0
	;; [unrolled: 1-line block ×5, first 2 shown]
	s_and_saveexec_b64 s[12:13], s[0:1]
	s_cbranch_execz .LBB288_832
; %bb.431:
	v_max_i32_e32 v55, v30, v23
	v_cvt_f32_u32_e32 v0, v55
	v_lshl_add_u64 v[4:5], v[24:25], 0, v[38:39]
	v_mov_b32_e32 v1, 0
	v_sub_u32_e32 v10, 0, v55
	v_rcp_iflag_f32_e32 v2, v0
	v_and_b32_e32 v0, 0x1f8, v34
	v_accvgpr_read_b32 v6, a12
	v_lshl_add_u64 v[8:9], v[4:5], 0, v[0:1]
	v_mul_f32_e32 v2, 0x4f7ffffe, v2
	v_cvt_u32_f32_e32 v2, v2
	v_accvgpr_read_b32 v7, a13
	v_lshlrev_b64 v[6:7], 2, v[6:7]
	s_mov_b32 s8, s4
	v_mul_lo_u32 v0, v10, v2
	v_mul_hi_u32 v0, v2, v0
	v_add_u32_e32 v2, v2, v0
	v_lshlrev_b32_e32 v0, 5, v40
	s_mov_b32 s9, s4
	v_lshl_add_u64 v[4:5], v[36:37], 2, v[6:7]
	v_lshl_or_b32 v0, v22, 7, v0
	s_mov_b32 s5, s4
	s_mov_b32 s6, s4
	;; [unrolled: 1-line block ×3, first 2 shown]
	v_mov_b64_e32 v[20:21], s[8:9]
	v_and_b32_e32 v41, 24, v34
	v_add_u32_e32 v38, -1, v28
	v_accvgpr_read_b32 v3, a8
	v_lshl_add_u64 v[10:11], v[14:15], 0, v[4:5]
	s_waitcnt lgkmcnt(0)
	v_add_u32_e32 v29, s3, v0
	s_mov_b64 s[18:19], 0
	v_mov_b64_e32 v[18:19], s[6:7]
	v_mov_b64_e32 v[16:17], s[4:5]
	s_movk_i32 s15, 0x7f
	s_movk_i32 s22, 0x80
	s_mov_b32 s23, 0x8000
	s_movk_i32 s24, 0x380
	s_mov_b32 s25, 0x3020706
	s_mov_b32 s26, 0x1000504
	;; [unrolled: 1-line block ×3, first 2 shown]
	v_mov_b32_e32 v36, 0x1c00
	v_accvgpr_read_b32 v5, a15
	s_branch .LBB288_434
.LBB288_432:                            ;   in Loop: Header=BB288_434 Depth=1
	s_or_b64 exec, exec, s[0:1]
	v_add_f32_e32 v4, v4, v5
	v_add_f32_e32 v17, v17, v4
	v_add_f32_e32 v4, v33, v62
	v_add_f32_e32 v18, v18, v4
	v_add_f32_e32 v4, v7, v52
	v_add_f32_e32 v19, v19, v4
	v_add_f32_e32 v4, v6, v22
	v_add_f32_e32 v20, v20, v4
	;;#ASMSTART
	v_pk_mul_f16 v4, v59, v15;

	;;#ASMEND
	;;#ASMSTART
	v_pk_mul_f16 v0, v58, v0;

	;;#ASMEND
	;; [unrolled: 4-line block ×4, first 2 shown]
	v_add_f32_e32 v14, v60, v61
	;;#ASMSTART
	v_pk_add_f16 v0, v4, v0;

	;;#ASMEND
	v_add_f32_e32 v16, v16, v14
	;;#ASMSTART
	v_pk_add_f16 v0, v0, v5;

	;;#ASMEND
	s_nop 0
	;;#ASMSTART
	v_pk_add_f16 v0, v0, v6;

	;;#ASMEND
	s_nop 0
	v_lshrrev_b32_e32 v4, 16, v0
	v_and_b32_e32 v0, 0xffff, v0
	;;#ASMSTART
	v_cvt_f32_f16 v0, v0;
	;;#ASMEND
	;;#ASMSTART
	v_cvt_f32_f16 v4, v4;
	;;#ASMEND
	s_nop 0
	v_add_f32_e32 v0, v0, v4
	v_add_f32_e32 v21, v21, v0
.LBB288_433:                            ;   in Loop: Header=BB288_434 Depth=1
	s_or_b64 exec, exec, s[4:5]
	v_accvgpr_read_b32 v4, a12
	v_add_u32_e32 v4, 2, v4
	v_accvgpr_read_b32 v0, a11
	v_mov_b32_e32 v5, v51
	v_cmp_ge_i32_e32 vcc, v4, v0
	v_lshl_add_u64 v[10:11], v[10:11], 0, 8
	v_add_u32_e32 v5, 64, v5
	v_accvgpr_write_b32 a12, v4
	s_or_b64 s[18:19], vcc, s[18:19]
	v_add_u32_e32 v29, 0x100, v29
	s_andn2_b64 exec, exec, s[18:19]
	s_cbranch_execz .LBB288_831
.LBB288_434:                            ; =>This Inner Loop Header: Depth=1
	v_ashrrev_i32_e32 v0, 31, v5
	v_accvgpr_read_b32 v4, a9
	v_xor_b32_e32 v0, v0, v4
	v_sub_u32_e32 v4, 0, v5
	v_mov_b32_e32 v51, v5
	v_max_i32_e32 v4, v5, v4
	v_accvgpr_read_b32 v5, a7
	v_mul_hi_u32 v5, v4, v5
	v_accvgpr_read_b32 v7, a3
	v_mul_lo_u32 v6, v5, v7
	v_sub_u32_e32 v4, v4, v6
	v_add_u32_e32 v6, 1, v5
	v_cmp_ge_u32_e32 vcc, v4, v7
	s_nop 1
	v_cndmask_b32_e32 v5, v5, v6, vcc
	v_sub_u32_e32 v6, v4, v7
	v_cndmask_b32_e32 v4, v4, v6, vcc
	v_add_u32_e32 v6, 1, v5
	v_cmp_ge_u32_e32 vcc, v4, v7
	s_nop 1
	v_cndmask_b32_e32 v4, v5, v6, vcc
	v_xor_b32_e32 v4, v4, v0
	v_sub_u32_e32 v0, v4, v0
	v_accvgpr_read_b32 v4, a10
	v_add_u32_e32 v4, v0, v4
	v_sub_u32_e32 v6, 0, v4
	v_ashrrev_i32_e32 v5, 31, v4
	v_max_i32_e32 v4, v4, v6
	v_mul_hi_u32 v6, v4, v2
	v_mul_lo_u32 v6, v6, v55
	v_sub_u32_e32 v4, v4, v6
	v_sub_u32_e32 v6, v4, v55
	v_cmp_ge_u32_e32 vcc, v4, v55
	s_nop 1
	v_cndmask_b32_e32 v4, v4, v6, vcc
	v_sub_u32_e32 v6, v4, v55
	v_cmp_ge_u32_e32 vcc, v4, v55
	s_nop 1
	v_cndmask_b32_e32 v4, v4, v6, vcc
	v_xor_b32_e32 v4, v4, v5
	v_sub_u32_e32 v4, v4, v5
	v_cmp_eq_u32_e32 vcc, 0, v4
	v_accvgpr_read_b32 v4, a14
	v_cmp_gt_i32_e64 s[0:1], v0, v4
	s_or_b64 s[0:1], vcc, s[0:1]
	s_and_saveexec_b64 s[4:5], s[0:1]
	s_cbranch_execz .LBB288_433
; %bb.435:                              ;   in Loop: Header=BB288_434 Depth=1
	ds_read2_b64 v[4:7], v29 offset1:1
	ds_read2_b64 v[24:27], v29 offset0:2 offset1:3
	v_accvgpr_read_b32 v12, a6
                                        ; implicit-def: $sgpr20
	s_waitcnt lgkmcnt(0)
	;;#ASMSTART
	v_cvt_f16_f32 v4, v4;

	;;#ASMEND
	;;#ASMSTART
	v_cvt_f16_f32 v5, v5;

	;;#ASMEND
	;;#ASMSTART
	v_cvt_f16_f32 v6, v6;

	;;#ASMEND
	;;#ASMSTART
	v_cvt_f16_f32 v7, v7;

	;;#ASMEND
	;;#ASMSTART
	v_cvt_f16_f32 v15, v24;

	;;#ASMEND
	;;#ASMSTART
	v_cvt_f16_f32 v22, v25;

	;;#ASMEND
	;;#ASMSTART
	v_cvt_f16_f32 v33, v26;

	;;#ASMEND
	;;#ASMSTART
	v_cvt_f16_f32 v52, v27;

	;;#ASMEND
	flat_load_dword v0, v[10:11]
	v_accvgpr_read_b32 v27, a5
	v_accvgpr_read_b32 v26, a4
	flat_load_dword v14, v[26:27]
	s_waitcnt vmcnt(0) lgkmcnt(0)
	v_mad_i64_i32 v[12:13], s[0:1], v0, v12, v[8:9]
	flat_load_dwordx2 v[24:25], v[12:13]
	s_mov_b64 s[0:1], 0
	s_waitcnt vmcnt(0) lgkmcnt(0)
	v_cmp_gt_i16_sdwa s[6:7], v24, s15 src0_sel:BYTE_0 src1_sel:DWORD
	s_and_saveexec_b64 s[8:9], s[6:7]
	s_xor_b64 s[6:7], exec, s[8:9]
	s_cbranch_execnz .LBB288_639
; %bb.436:                              ;   in Loop: Header=BB288_434 Depth=1
	s_or_saveexec_b64 s[6:7], s[6:7]
	v_mov_b32_e32 v30, s20
	s_xor_b64 exec, exec, s[6:7]
	s_cbranch_execnz .LBB288_642
.LBB288_437:                            ;   in Loop: Header=BB288_434 Depth=1
	s_or_b64 exec, exec, s[6:7]
	s_and_saveexec_b64 s[6:7], s[0:1]
	s_cbranch_execz .LBB288_439
.LBB288_438:                            ;   in Loop: Header=BB288_434 Depth=1
	v_and_b32_e32 v0, 7, v24
	v_ffbh_u32_e32 v0, v0
	v_bfe_u32 v23, v24, 3, 4
	v_min_u32_e32 v0, 32, v0
	v_subrev_u32_e32 v26, 28, v0
	v_sub_u32_e32 v0, 29, v0
	v_cmp_eq_u32_e32 vcc, 0, v23
	s_nop 1
	v_cndmask_b32_e32 v0, v23, v0, vcc
	v_cndmask_b32_e32 v23, 0, v26, vcc
	v_lshlrev_b64 v[26:27], v23, v[24:25]
	v_lshlrev_b32_e32 v23, 7, v26
	v_lshlrev_b32_e32 v26, 8, v24
	v_lshl_add_u32 v0, v0, 10, v36
	v_and_or_b32 v0, v26, s23, v0
	v_and_or_b32 v0, v23, s24, v0
	v_cvt_f32_f16_e32 v30, v0
.LBB288_439:                            ;   in Loop: Header=BB288_434 Depth=1
	s_or_b64 exec, exec, s[6:7]
	v_lshrrev_b16_e32 v0, 8, v24
	v_cmp_lt_i16_e32 vcc, s15, v0
	s_mov_b64 s[0:1], 0
                                        ; implicit-def: $sgpr20
	s_and_saveexec_b64 s[6:7], vcc
	s_xor_b64 s[6:7], exec, s[6:7]
	s_cbranch_execnz .LBB288_643
; %bb.440:                              ;   in Loop: Header=BB288_434 Depth=1
	s_or_saveexec_b64 s[6:7], s[6:7]
	v_mov_b32_e32 v34, s20
	s_xor_b64 exec, exec, s[6:7]
	s_cbranch_execnz .LBB288_646
.LBB288_441:                            ;   in Loop: Header=BB288_434 Depth=1
	s_or_b64 exec, exec, s[6:7]
	s_and_saveexec_b64 s[6:7], s[0:1]
	s_cbranch_execz .LBB288_443
.LBB288_442:                            ;   in Loop: Header=BB288_434 Depth=1
	v_and_b32_e32 v23, 7, v0
	v_ffbh_u32_e32 v26, v23
	v_min_u32_e32 v31, 32, v26
	v_subrev_u32_e32 v26, 28, v31
	v_bfe_u32 v28, v0, 3, 4
	v_lshlrev_b64 v[26:27], v26, v[0:1]
	v_sub_u32_e32 v27, 29, v31
	v_cmp_eq_u32_e32 vcc, 0, v28
	v_and_b32_e32 v26, 7, v26
	v_lshlrev_b32_e32 v0, 8, v0
	v_cndmask_b32_e32 v27, v28, v27, vcc
	v_cndmask_b32_e32 v23, v23, v26, vcc
	v_lshl_add_u32 v26, v27, 10, v36
	v_and_or_b32 v0, v0, s23, v26
	v_lshl_or_b32 v0, v23, 7, v0
	v_cvt_f32_f16_e32 v34, v0
.LBB288_443:                            ;   in Loop: Header=BB288_434 Depth=1
	s_or_b64 exec, exec, s[6:7]
	v_lshrrev_b32_e32 v0, 16, v24
	v_cmp_gt_i16_sdwa s[6:7], v0, s15 src0_sel:BYTE_0 src1_sel:DWORD
	s_mov_b64 s[0:1], 0
                                        ; implicit-def: $sgpr20
	s_and_saveexec_b64 s[8:9], s[6:7]
	s_xor_b64 s[6:7], exec, s[8:9]
	s_cbranch_execnz .LBB288_647
; %bb.444:                              ;   in Loop: Header=BB288_434 Depth=1
	s_or_saveexec_b64 s[6:7], s[6:7]
	v_mov_b32_e32 v31, s20
	s_xor_b64 exec, exec, s[6:7]
	s_cbranch_execnz .LBB288_650
.LBB288_445:                            ;   in Loop: Header=BB288_434 Depth=1
	s_or_b64 exec, exec, s[6:7]
	s_and_saveexec_b64 s[6:7], s[0:1]
	s_cbranch_execz .LBB288_447
.LBB288_446:                            ;   in Loop: Header=BB288_434 Depth=1
	v_bfe_u32 v23, v24, 16, 3
	v_ffbh_u32_e32 v26, v23
	v_min_u32_e32 v31, 32, v26
	v_subrev_u32_e32 v26, 28, v31
	v_bfe_u32 v28, v24, 19, 4
	v_lshlrev_b64 v[26:27], v26, v[0:1]
	v_sub_u32_e32 v27, 29, v31
	v_cmp_eq_u32_e32 vcc, 0, v28
	v_and_b32_e32 v26, 7, v26
	v_lshlrev_b32_e32 v0, 8, v0
	v_cndmask_b32_e32 v27, v28, v27, vcc
	v_cndmask_b32_e32 v23, v23, v26, vcc
	v_lshl_add_u32 v26, v27, 10, v36
	v_and_or_b32 v0, v0, s23, v26
	v_lshl_or_b32 v0, v23, 7, v0
	v_cvt_f32_f16_e32 v31, v0
.LBB288_447:                            ;   in Loop: Header=BB288_434 Depth=1
	s_or_b64 exec, exec, s[6:7]
	v_lshrrev_b32_e32 v0, 24, v24
	v_cmp_lt_i16_e32 vcc, s15, v0
	s_mov_b64 s[0:1], 0
                                        ; implicit-def: $sgpr20
	s_and_saveexec_b64 s[6:7], vcc
	s_xor_b64 s[6:7], exec, s[6:7]
	s_cbranch_execnz .LBB288_651
; %bb.448:                              ;   in Loop: Header=BB288_434 Depth=1
	s_or_saveexec_b64 s[6:7], s[6:7]
	v_mov_b32_e32 v35, s20
	s_xor_b64 exec, exec, s[6:7]
	s_cbranch_execnz .LBB288_654
.LBB288_449:                            ;   in Loop: Header=BB288_434 Depth=1
	s_or_b64 exec, exec, s[6:7]
	s_and_saveexec_b64 s[6:7], s[0:1]
	s_cbranch_execz .LBB288_451
.LBB288_450:                            ;   in Loop: Header=BB288_434 Depth=1
	v_bfe_u32 v23, v24, 24, 3
	v_ffbh_u32_e32 v26, v23
	v_min_u32_e32 v28, 32, v26
	v_subrev_u32_e32 v26, 28, v28
	v_bfe_u32 v24, v24, 27, 4
	v_lshlrev_b64 v[26:27], v26, v[0:1]
	v_sub_u32_e32 v27, 29, v28
	v_cmp_eq_u32_e32 vcc, 0, v24
	v_and_b32_e32 v26, 7, v26
	v_lshlrev_b32_e32 v0, 8, v0
	v_cndmask_b32_e32 v24, v24, v27, vcc
	v_lshl_add_u32 v24, v24, 10, v36
	v_cndmask_b32_e32 v23, v23, v26, vcc
	v_and_or_b32 v0, v0, s23, v24
	v_lshl_or_b32 v0, v23, 7, v0
	v_cvt_f32_f16_e32 v35, v0
.LBB288_451:                            ;   in Loop: Header=BB288_434 Depth=1
	s_or_b64 exec, exec, s[6:7]
	v_cmp_gt_i16_sdwa s[6:7], v25, s15 src0_sel:BYTE_0 src1_sel:DWORD
	s_mov_b64 s[0:1], 0
                                        ; implicit-def: $sgpr20
	s_and_saveexec_b64 s[8:9], s[6:7]
	s_xor_b64 s[6:7], exec, s[8:9]
	s_cbranch_execnz .LBB288_655
; %bb.452:                              ;   in Loop: Header=BB288_434 Depth=1
	s_or_saveexec_b64 s[6:7], s[6:7]
	v_mov_b32_e32 v24, s20
	s_xor_b64 exec, exec, s[6:7]
	s_cbranch_execnz .LBB288_658
.LBB288_453:                            ;   in Loop: Header=BB288_434 Depth=1
	s_or_b64 exec, exec, s[6:7]
	v_mov_b32_e32 v0, v25
	s_and_saveexec_b64 s[6:7], s[0:1]
	s_cbranch_execz .LBB288_455
.LBB288_454:                            ;   in Loop: Header=BB288_434 Depth=1
	v_and_b32_e32 v23, 7, v25
	v_ffbh_u32_e32 v23, v23
	v_bfe_u32 v24, v25, 3, 4
	v_min_u32_e32 v23, 32, v23
	v_subrev_u32_e32 v26, 28, v23
	v_sub_u32_e32 v23, 29, v23
	v_cmp_eq_u32_e32 vcc, 0, v24
	s_nop 1
	v_cndmask_b32_e32 v23, v24, v23, vcc
	v_cndmask_b32_e32 v24, 0, v26, vcc
	v_lshlrev_b64 v[26:27], v24, v[0:1]
	v_lshlrev_b32_e32 v24, 7, v26
	v_lshlrev_b32_e32 v26, 8, v25
	v_lshl_add_u32 v23, v23, 10, v36
	v_and_or_b32 v23, v26, s23, v23
	v_and_or_b32 v23, v24, s24, v23
	v_cvt_f32_f16_e32 v24, v23
.LBB288_455:                            ;   in Loop: Header=BB288_434 Depth=1
	s_or_b64 exec, exec, s[6:7]
	v_lshrrev_b16_e32 v0, 8, v0
	v_cmp_lt_i16_e32 vcc, s15, v0
	s_mov_b64 s[0:1], 0
                                        ; implicit-def: $sgpr20
	s_and_saveexec_b64 s[6:7], vcc
	s_xor_b64 s[6:7], exec, s[6:7]
	s_cbranch_execnz .LBB288_659
; %bb.456:                              ;   in Loop: Header=BB288_434 Depth=1
	s_or_saveexec_b64 s[6:7], s[6:7]
	v_mov_b32_e32 v26, s20
	s_xor_b64 exec, exec, s[6:7]
	s_cbranch_execnz .LBB288_662
.LBB288_457:                            ;   in Loop: Header=BB288_434 Depth=1
	s_or_b64 exec, exec, s[6:7]
	s_and_saveexec_b64 s[6:7], s[0:1]
	s_cbranch_execz .LBB288_459
.LBB288_458:                            ;   in Loop: Header=BB288_434 Depth=1
	v_and_b32_e32 v23, 7, v0
	v_ffbh_u32_e32 v26, v23
	v_min_u32_e32 v32, 32, v26
	v_subrev_u32_e32 v26, 28, v32
	v_bfe_u32 v28, v0, 3, 4
	v_lshlrev_b64 v[26:27], v26, v[0:1]
	v_sub_u32_e32 v27, 29, v32
	v_cmp_eq_u32_e32 vcc, 0, v28
	v_and_b32_e32 v26, 7, v26
	v_lshlrev_b32_e32 v0, 8, v0
	v_cndmask_b32_e32 v27, v28, v27, vcc
	v_cndmask_b32_e32 v23, v23, v26, vcc
	v_lshl_add_u32 v26, v27, 10, v36
	v_and_or_b32 v0, v0, s23, v26
	v_lshl_or_b32 v0, v23, 7, v0
	v_cvt_f32_f16_e32 v26, v0
.LBB288_459:                            ;   in Loop: Header=BB288_434 Depth=1
	s_or_b64 exec, exec, s[6:7]
	v_lshrrev_b32_e32 v0, 16, v25
	v_cmp_gt_i16_sdwa s[6:7], v0, s15 src0_sel:BYTE_0 src1_sel:DWORD
	s_mov_b64 s[0:1], 0
                                        ; implicit-def: $sgpr20
	s_and_saveexec_b64 s[8:9], s[6:7]
	s_xor_b64 s[6:7], exec, s[8:9]
	s_cbranch_execnz .LBB288_663
; %bb.460:                              ;   in Loop: Header=BB288_434 Depth=1
	s_or_saveexec_b64 s[6:7], s[6:7]
	v_mov_b32_e32 v27, s20
	s_xor_b64 exec, exec, s[6:7]
	s_cbranch_execnz .LBB288_666
.LBB288_461:                            ;   in Loop: Header=BB288_434 Depth=1
	s_or_b64 exec, exec, s[6:7]
	s_and_saveexec_b64 s[6:7], s[0:1]
	s_cbranch_execz .LBB288_463
.LBB288_462:                            ;   in Loop: Header=BB288_434 Depth=1
	v_bfe_u32 v23, v25, 16, 3
	v_ffbh_u32_e32 v28, v23
	v_bfe_u32 v27, v25, 19, 4
	v_min_u32_e32 v28, 32, v28
	v_subrev_u32_e32 v32, 28, v28
	v_sub_u32_e32 v28, 29, v28
	v_cmp_eq_u32_e32 vcc, 0, v27
	v_lshlrev_b64 v[42:43], v32, v[0:1]
	v_and_b32_e32 v32, 7, v42
	v_cndmask_b32_e32 v27, v27, v28, vcc
	v_lshlrev_b32_e32 v0, 8, v0
	v_lshl_add_u32 v27, v27, 10, v36
	v_cndmask_b32_e32 v23, v23, v32, vcc
	v_and_or_b32 v0, v0, s23, v27
	v_lshl_or_b32 v0, v23, 7, v0
	v_cvt_f32_f16_e32 v27, v0
.LBB288_463:                            ;   in Loop: Header=BB288_434 Depth=1
	s_or_b64 exec, exec, s[6:7]
	v_lshrrev_b32_e32 v0, 24, v25
	v_cmp_lt_i16_e32 vcc, s15, v0
	s_mov_b64 s[0:1], 0
                                        ; implicit-def: $sgpr20
	s_and_saveexec_b64 s[6:7], vcc
	s_xor_b64 s[6:7], exec, s[6:7]
	s_cbranch_execnz .LBB288_667
; %bb.464:                              ;   in Loop: Header=BB288_434 Depth=1
	s_or_saveexec_b64 s[6:7], s[6:7]
	v_mov_b32_e32 v37, s20
	s_xor_b64 exec, exec, s[6:7]
	s_cbranch_execnz .LBB288_670
.LBB288_465:                            ;   in Loop: Header=BB288_434 Depth=1
	s_or_b64 exec, exec, s[6:7]
	s_and_saveexec_b64 s[6:7], s[0:1]
	s_cbranch_execz .LBB288_467
.LBB288_466:                            ;   in Loop: Header=BB288_434 Depth=1
	v_bfe_u32 v23, v25, 24, 3
	v_ffbh_u32_e32 v28, v23
	v_bfe_u32 v25, v25, 27, 4
	v_min_u32_e32 v28, 32, v28
	v_subrev_u32_e32 v32, 28, v28
	v_sub_u32_e32 v28, 29, v28
	v_cmp_eq_u32_e32 vcc, 0, v25
	v_lshlrev_b64 v[42:43], v32, v[0:1]
	v_and_b32_e32 v32, 7, v42
	v_cndmask_b32_e32 v25, v25, v28, vcc
	v_lshlrev_b32_e32 v0, 8, v0
	v_lshl_add_u32 v25, v25, 10, v36
	v_cndmask_b32_e32 v23, v23, v32, vcc
	v_and_or_b32 v0, v0, s23, v25
	v_lshl_or_b32 v0, v23, 7, v0
	v_cvt_f32_f16_e32 v37, v0
.LBB288_467:                            ;   in Loop: Header=BB288_434 Depth=1
	s_or_b64 exec, exec, s[6:7]
	v_pk_mul_f32 v[34:35], v[14:15], v[34:35] op_sel_hi:[0,1]
	v_pk_mul_f32 v[30:31], v[14:15], v[30:31] op_sel_hi:[0,1]
	v_cvt_f16_f32_e32 v0, v35
	v_cvt_f16_f32_e32 v23, v34
	;; [unrolled: 1-line block ×4, first 2 shown]
	v_mov_b32_e32 v30, v51
	v_pack_b32_f16 v23, v23, v0
	v_fma_mixlo_f16 v24, v14, v24, 0
	v_pack_b32_f16 v25, v28, v25
	v_perm_b32 v0, v25, v23, s25
	v_perm_b32 v25, v25, v23, s26
	v_fma_mixlo_f16 v23, v14, v26, 0
	v_fma_mixlo_f16 v26, v14, v27, 0
	;; [unrolled: 1-line block ×3, first 2 shown]
	v_add_u32_e32 v42, v41, v30
	v_accvgpr_read_b32 v30, a12
	v_lshlrev_b32_e32 v23, 16, v23
	v_lshlrev_b32_e32 v14, 16, v14
	v_cmp_eq_u32_e32 vcc, v38, v30
	v_or_b32_sdwa v24, v23, v24 dst_sel:DWORD dst_unused:UNUSED_PAD src0_sel:DWORD src1_sel:WORD_0
	v_or_b32_sdwa v14, v14, v26 dst_sel:DWORD dst_unused:UNUSED_PAD src0_sel:DWORD src1_sel:WORD_0
	v_add_u32_e32 v47, 1, v42
	v_or_b32_e32 v46, 3, v42
	v_or_b32_e32 v45, 2, v42
	;; [unrolled: 1-line block ×6, first 2 shown]
	s_and_saveexec_b64 s[6:7], vcc
	s_cbranch_execz .LBB288_469
; %bb.468:                              ;   in Loop: Header=BB288_434 Depth=1
	v_lshrrev_b32_e32 v23, 16, v25
	v_cmp_lt_i32_e64 s[0:1], v47, v3
	v_accvgpr_read_b32 v28, a8
	v_lshrrev_b32_e32 v14, 16, v14
	v_cndmask_b32_e64 v23, 0, v23, s[0:1]
	v_cmp_lt_i32_e64 s[0:1], v42, v28
	s_nop 1
	v_cndmask_b32_e64 v25, 0, v25, s[0:1]
	v_perm_b32 v25, v23, v25, s27
	v_lshrrev_b32_e32 v23, 16, v0
	v_cmp_lt_i32_e64 s[0:1], v46, v3
	s_nop 1
	v_cndmask_b32_e64 v23, 0, v23, s[0:1]
	v_cmp_lt_i32_e64 s[0:1], v45, v28
	s_nop 1
	v_cndmask_b32_e64 v0, 0, v0, s[0:1]
	v_perm_b32 v0, v23, v0, s27
	v_lshrrev_b32_e32 v23, 16, v24
	v_cmp_lt_i32_e64 s[0:1], v44, v3
	s_nop 1
	v_cndmask_b32_e64 v23, 0, v23, s[0:1]
	v_cmp_lt_i32_e64 s[0:1], v43, v28
	s_nop 1
	v_cndmask_b32_e64 v24, 0, v24, s[0:1]
	v_cmp_lt_i32_e64 s[0:1], v39, v3
	v_perm_b32 v24, v23, v24, s27
	s_nop 0
	v_cndmask_b32_e64 v14, 0, v14, s[0:1]
	v_cmp_lt_i32_e64 s[0:1], v37, v28
	s_nop 1
	v_cndmask_b32_e64 v23, 0, v26, s[0:1]
	v_perm_b32 v14, v14, v23, s27
.LBB288_469:                            ;   in Loop: Header=BB288_434 Depth=1
	s_or_b64 exec, exec, s[6:7]
	v_and_b32_e32 v4, 0xffff, v4
	v_lshl_or_b32 v59, v5, 16, v4
	v_and_b32_e32 v4, 0xffff, v6
	v_lshl_or_b32 v58, v7, 16, v4
	;; [unrolled: 2-line block ×4, first 2 shown]
	;;#ASMSTART
	v_pk_mul_f16 v4, v59, v25;

	;;#ASMEND
	;;#ASMSTART
	v_pk_mul_f16 v0, v58, v0;

	;;#ASMEND
	;; [unrolled: 4-line block ×4, first 2 shown]
	s_mov_b64 s[0:1], 0
	;;#ASMSTART
	v_pk_add_f16 v0, v4, v0;

	;;#ASMEND
                                        ; implicit-def: $sgpr20
	s_nop 0
	;;#ASMSTART
	v_pk_add_f16 v0, v0, v5;

	;;#ASMEND
	s_nop 0
	;;#ASMSTART
	v_pk_add_f16 v0, v0, v6;

	;;#ASMEND
	s_nop 0
	v_lshrrev_b32_e32 v4, 16, v0
	v_and_b32_e32 v0, 0xffff, v0
	;;#ASMSTART
	v_cvt_f32_f16 v60, v0;
	;;#ASMEND
	;;#ASMSTART
	v_cvt_f32_f16 v61, v4;
	;;#ASMEND
	v_accvgpr_read_b32 v4, a4
	flat_load_dwordx2 v[24:25], v[12:13] offset:512
	v_accvgpr_read_b32 v5, a5
	flat_load_dword v14, v[4:5]
	s_waitcnt vmcnt(0) lgkmcnt(0)
	v_cmp_gt_i16_sdwa s[6:7], v24, s15 src0_sel:BYTE_0 src1_sel:DWORD
	s_and_saveexec_b64 s[8:9], s[6:7]
	s_xor_b64 s[6:7], exec, s[8:9]
	s_cbranch_execnz .LBB288_671
; %bb.470:                              ;   in Loop: Header=BB288_434 Depth=1
	s_or_saveexec_b64 s[6:7], s[6:7]
	v_mov_b32_e32 v30, s20
	s_xor_b64 exec, exec, s[6:7]
	s_cbranch_execnz .LBB288_674
.LBB288_471:                            ;   in Loop: Header=BB288_434 Depth=1
	s_or_b64 exec, exec, s[6:7]
	s_and_saveexec_b64 s[6:7], s[0:1]
	s_cbranch_execz .LBB288_473
.LBB288_472:                            ;   in Loop: Header=BB288_434 Depth=1
	v_and_b32_e32 v0, 7, v24
	v_ffbh_u32_e32 v0, v0
	v_bfe_u32 v4, v24, 3, 4
	v_min_u32_e32 v0, 32, v0
	v_subrev_u32_e32 v5, 28, v0
	v_sub_u32_e32 v0, 29, v0
	v_cmp_eq_u32_e64 s[0:1], 0, v4
	s_nop 1
	v_cndmask_b32_e64 v0, v4, v0, s[0:1]
	v_cndmask_b32_e64 v4, 0, v5, s[0:1]
	v_lshlrev_b64 v[4:5], v4, v[24:25]
	v_lshlrev_b32_e32 v5, 8, v24
	v_lshl_add_u32 v0, v0, 10, v36
	v_lshlrev_b32_e32 v4, 7, v4
	v_and_or_b32 v0, v5, s23, v0
	v_and_or_b32 v0, v4, s24, v0
	v_cvt_f32_f16_e32 v30, v0
.LBB288_473:                            ;   in Loop: Header=BB288_434 Depth=1
	s_or_b64 exec, exec, s[6:7]
	v_lshrrev_b16_e32 v0, 8, v24
	v_cmp_lt_i16_e64 s[0:1], s15, v0
	s_mov_b64 s[6:7], 0
                                        ; implicit-def: $sgpr28
	s_and_saveexec_b64 s[8:9], s[0:1]
	s_xor_b64 s[8:9], exec, s[8:9]
	s_cbranch_execnz .LBB288_675
; %bb.474:                              ;   in Loop: Header=BB288_434 Depth=1
	s_or_saveexec_b64 s[8:9], s[8:9]
	v_mov_b32_e32 v34, s28
	s_xor_b64 exec, exec, s[8:9]
	s_cbranch_execnz .LBB288_678
.LBB288_475:                            ;   in Loop: Header=BB288_434 Depth=1
	s_or_b64 exec, exec, s[8:9]
	s_and_saveexec_b64 s[8:9], s[6:7]
	s_cbranch_execz .LBB288_477
.LBB288_476:                            ;   in Loop: Header=BB288_434 Depth=1
	v_and_b32_e32 v6, 7, v0
	v_ffbh_u32_e32 v4, v6
	v_min_u32_e32 v15, 32, v4
	v_subrev_u32_e32 v4, 28, v15
	v_bfe_u32 v7, v0, 3, 4
	v_lshlrev_b64 v[4:5], v4, v[0:1]
	v_sub_u32_e32 v5, 29, v15
	v_cmp_eq_u32_e64 s[0:1], 0, v7
	v_and_b32_e32 v4, 7, v4
	v_lshlrev_b32_e32 v0, 8, v0
	v_cndmask_b32_e64 v5, v7, v5, s[0:1]
	v_lshl_add_u32 v5, v5, 10, v36
	v_cndmask_b32_e64 v4, v6, v4, s[0:1]
	v_and_or_b32 v0, v0, s23, v5
	v_lshl_or_b32 v0, v4, 7, v0
	v_cvt_f32_f16_e32 v34, v0
.LBB288_477:                            ;   in Loop: Header=BB288_434 Depth=1
	s_or_b64 exec, exec, s[8:9]
	v_lshrrev_b32_e32 v0, 16, v24
	v_cmp_gt_i16_sdwa s[6:7], v0, s15 src0_sel:BYTE_0 src1_sel:DWORD
	s_mov_b64 s[0:1], 0
                                        ; implicit-def: $sgpr20
	s_and_saveexec_b64 s[8:9], s[6:7]
	s_xor_b64 s[6:7], exec, s[8:9]
	s_cbranch_execnz .LBB288_679
; %bb.478:                              ;   in Loop: Header=BB288_434 Depth=1
	s_or_saveexec_b64 s[6:7], s[6:7]
	v_mov_b32_e32 v31, s20
	s_xor_b64 exec, exec, s[6:7]
	s_cbranch_execnz .LBB288_682
.LBB288_479:                            ;   in Loop: Header=BB288_434 Depth=1
	s_or_b64 exec, exec, s[6:7]
	s_and_saveexec_b64 s[6:7], s[0:1]
	s_cbranch_execz .LBB288_481
.LBB288_480:                            ;   in Loop: Header=BB288_434 Depth=1
	v_bfe_u32 v6, v24, 16, 3
	v_ffbh_u32_e32 v4, v6
	v_min_u32_e32 v15, 32, v4
	v_subrev_u32_e32 v4, 28, v15
	v_bfe_u32 v7, v24, 19, 4
	v_lshlrev_b64 v[4:5], v4, v[0:1]
	v_sub_u32_e32 v5, 29, v15
	v_cmp_eq_u32_e64 s[0:1], 0, v7
	v_and_b32_e32 v4, 7, v4
	v_lshlrev_b32_e32 v0, 8, v0
	v_cndmask_b32_e64 v5, v7, v5, s[0:1]
	v_lshl_add_u32 v5, v5, 10, v36
	v_cndmask_b32_e64 v4, v6, v4, s[0:1]
	v_and_or_b32 v0, v0, s23, v5
	v_lshl_or_b32 v0, v4, 7, v0
	v_cvt_f32_f16_e32 v31, v0
.LBB288_481:                            ;   in Loop: Header=BB288_434 Depth=1
	s_or_b64 exec, exec, s[6:7]
	v_lshrrev_b32_e32 v0, 24, v24
	v_cmp_lt_i16_e64 s[0:1], s15, v0
	s_mov_b64 s[6:7], 0
                                        ; implicit-def: $sgpr28
	s_and_saveexec_b64 s[8:9], s[0:1]
	s_xor_b64 s[8:9], exec, s[8:9]
	s_cbranch_execnz .LBB288_683
; %bb.482:                              ;   in Loop: Header=BB288_434 Depth=1
	s_or_saveexec_b64 s[8:9], s[8:9]
	v_mov_b32_e32 v35, s28
	s_xor_b64 exec, exec, s[8:9]
	s_cbranch_execnz .LBB288_686
.LBB288_483:                            ;   in Loop: Header=BB288_434 Depth=1
	s_or_b64 exec, exec, s[8:9]
	s_and_saveexec_b64 s[8:9], s[6:7]
	s_cbranch_execz .LBB288_485
.LBB288_484:                            ;   in Loop: Header=BB288_434 Depth=1
	v_bfe_u32 v6, v24, 24, 3
	v_ffbh_u32_e32 v4, v6
	v_min_u32_e32 v15, 32, v4
	v_subrev_u32_e32 v4, 28, v15
	v_bfe_u32 v7, v24, 27, 4
	v_lshlrev_b64 v[4:5], v4, v[0:1]
	v_sub_u32_e32 v5, 29, v15
	v_cmp_eq_u32_e64 s[0:1], 0, v7
	v_and_b32_e32 v4, 7, v4
	v_lshlrev_b32_e32 v0, 8, v0
	v_cndmask_b32_e64 v5, v7, v5, s[0:1]
	v_lshl_add_u32 v5, v5, 10, v36
	v_cndmask_b32_e64 v4, v6, v4, s[0:1]
	v_and_or_b32 v0, v0, s23, v5
	v_lshl_or_b32 v0, v4, 7, v0
	v_cvt_f32_f16_e32 v35, v0
.LBB288_485:                            ;   in Loop: Header=BB288_434 Depth=1
	s_or_b64 exec, exec, s[8:9]
	v_cmp_gt_i16_sdwa s[6:7], v25, s15 src0_sel:BYTE_0 src1_sel:DWORD
	s_mov_b64 s[0:1], 0
                                        ; implicit-def: $sgpr20
	s_and_saveexec_b64 s[8:9], s[6:7]
	s_xor_b64 s[6:7], exec, s[8:9]
	s_cbranch_execnz .LBB288_687
; %bb.486:                              ;   in Loop: Header=BB288_434 Depth=1
	s_or_saveexec_b64 s[6:7], s[6:7]
	v_mov_b32_e32 v4, s20
	s_xor_b64 exec, exec, s[6:7]
	s_cbranch_execnz .LBB288_690
.LBB288_487:                            ;   in Loop: Header=BB288_434 Depth=1
	s_or_b64 exec, exec, s[6:7]
	v_mov_b32_e32 v0, v25
	s_and_saveexec_b64 s[6:7], s[0:1]
	s_cbranch_execz .LBB288_489
.LBB288_488:                            ;   in Loop: Header=BB288_434 Depth=1
	v_and_b32_e32 v4, 7, v25
	v_ffbh_u32_e32 v4, v4
	v_bfe_u32 v5, v25, 3, 4
	v_min_u32_e32 v4, 32, v4
	v_subrev_u32_e32 v6, 28, v4
	v_sub_u32_e32 v4, 29, v4
	v_cmp_eq_u32_e64 s[0:1], 0, v5
	s_nop 1
	v_cndmask_b32_e64 v7, v5, v4, s[0:1]
	v_cndmask_b32_e64 v4, 0, v6, s[0:1]
	v_lshlrev_b64 v[4:5], v4, v[0:1]
	v_lshlrev_b32_e32 v5, 8, v25
	v_lshl_add_u32 v6, v7, 10, v36
	v_lshlrev_b32_e32 v4, 7, v4
	v_and_or_b32 v5, v5, s23, v6
	v_and_or_b32 v4, v4, s24, v5
	v_cvt_f32_f16_e32 v4, v4
.LBB288_489:                            ;   in Loop: Header=BB288_434 Depth=1
	s_or_b64 exec, exec, s[6:7]
	v_lshrrev_b16_e32 v0, 8, v0
	v_cmp_lt_i16_e64 s[0:1], s15, v0
	s_mov_b64 s[6:7], 0
                                        ; implicit-def: $sgpr28
	s_and_saveexec_b64 s[8:9], s[0:1]
	s_xor_b64 s[8:9], exec, s[8:9]
	s_cbranch_execnz .LBB288_691
; %bb.490:                              ;   in Loop: Header=BB288_434 Depth=1
	s_or_saveexec_b64 s[8:9], s[8:9]
	v_mov_b32_e32 v5, s28
	s_xor_b64 exec, exec, s[8:9]
	s_cbranch_execnz .LBB288_694
.LBB288_491:                            ;   in Loop: Header=BB288_434 Depth=1
	s_or_b64 exec, exec, s[8:9]
	s_and_saveexec_b64 s[8:9], s[6:7]
	s_cbranch_execz .LBB288_493
.LBB288_492:                            ;   in Loop: Header=BB288_434 Depth=1
	v_and_b32_e32 v5, 7, v0
	v_ffbh_u32_e32 v6, v5
	v_min_u32_e32 v22, 32, v6
	v_subrev_u32_e32 v6, 28, v22
	v_bfe_u32 v15, v0, 3, 4
	v_lshlrev_b64 v[6:7], v6, v[0:1]
	v_sub_u32_e32 v7, 29, v22
	v_cmp_eq_u32_e64 s[0:1], 0, v15
	v_and_b32_e32 v6, 7, v6
	v_lshlrev_b32_e32 v0, 8, v0
	v_cndmask_b32_e64 v7, v15, v7, s[0:1]
	v_cndmask_b32_e64 v5, v5, v6, s[0:1]
	v_lshl_add_u32 v6, v7, 10, v36
	v_and_or_b32 v0, v0, s23, v6
	v_lshl_or_b32 v0, v5, 7, v0
	v_cvt_f32_f16_e32 v5, v0
.LBB288_493:                            ;   in Loop: Header=BB288_434 Depth=1
	s_or_b64 exec, exec, s[8:9]
	v_lshrrev_b32_e32 v0, 16, v25
	v_cmp_gt_i16_sdwa s[6:7], v0, s15 src0_sel:BYTE_0 src1_sel:DWORD
	s_mov_b64 s[0:1], 0
                                        ; implicit-def: $sgpr20
	s_and_saveexec_b64 s[8:9], s[6:7]
	s_xor_b64 s[6:7], exec, s[8:9]
	s_cbranch_execnz .LBB288_695
; %bb.494:                              ;   in Loop: Header=BB288_434 Depth=1
	s_or_saveexec_b64 s[6:7], s[6:7]
	v_mov_b32_e32 v6, s20
	s_xor_b64 exec, exec, s[6:7]
	s_cbranch_execnz .LBB288_698
.LBB288_495:                            ;   in Loop: Header=BB288_434 Depth=1
	s_or_b64 exec, exec, s[6:7]
	s_and_saveexec_b64 s[6:7], s[0:1]
	s_cbranch_execz .LBB288_497
.LBB288_496:                            ;   in Loop: Header=BB288_434 Depth=1
	v_bfe_u32 v15, v25, 16, 3
	v_ffbh_u32_e32 v6, v15
	v_min_u32_e32 v23, 32, v6
	v_subrev_u32_e32 v6, 28, v23
	v_bfe_u32 v22, v25, 19, 4
	v_lshlrev_b64 v[6:7], v6, v[0:1]
	v_sub_u32_e32 v7, 29, v23
	v_cmp_eq_u32_e64 s[0:1], 0, v22
	v_and_b32_e32 v6, 7, v6
	v_lshlrev_b32_e32 v0, 8, v0
	v_cndmask_b32_e64 v7, v22, v7, s[0:1]
	v_lshl_add_u32 v7, v7, 10, v36
	v_cndmask_b32_e64 v6, v15, v6, s[0:1]
	v_and_or_b32 v0, v0, s23, v7
	v_lshl_or_b32 v0, v6, 7, v0
	v_cvt_f32_f16_e32 v6, v0
.LBB288_497:                            ;   in Loop: Header=BB288_434 Depth=1
	s_or_b64 exec, exec, s[6:7]
	v_lshrrev_b32_e32 v0, 24, v25
	v_cmp_lt_i16_e64 s[0:1], s15, v0
	s_mov_b64 s[6:7], 0
                                        ; implicit-def: $sgpr28
	s_and_saveexec_b64 s[8:9], s[0:1]
	s_xor_b64 s[8:9], exec, s[8:9]
	s_cbranch_execnz .LBB288_699
; %bb.498:                              ;   in Loop: Header=BB288_434 Depth=1
	s_or_saveexec_b64 s[8:9], s[8:9]
	v_mov_b32_e32 v15, s28
	s_xor_b64 exec, exec, s[8:9]
	s_cbranch_execnz .LBB288_702
.LBB288_499:                            ;   in Loop: Header=BB288_434 Depth=1
	s_or_b64 exec, exec, s[8:9]
	s_and_saveexec_b64 s[8:9], s[6:7]
	s_cbranch_execz .LBB288_501
.LBB288_500:                            ;   in Loop: Header=BB288_434 Depth=1
	v_bfe_u32 v7, v25, 24, 3
	v_ffbh_u32_e32 v22, v7
	v_bfe_u32 v15, v25, 27, 4
	v_min_u32_e32 v22, 32, v22
	v_subrev_u32_e32 v23, 28, v22
	v_sub_u32_e32 v22, 29, v22
	v_cmp_eq_u32_e64 s[0:1], 0, v15
	v_lshlrev_b64 v[24:25], v23, v[0:1]
	v_and_b32_e32 v23, 7, v24
	v_cndmask_b32_e64 v15, v15, v22, s[0:1]
	v_lshlrev_b32_e32 v0, 8, v0
	v_lshl_add_u32 v15, v15, 10, v36
	v_cndmask_b32_e64 v7, v7, v23, s[0:1]
	v_and_or_b32 v0, v0, s23, v15
	v_lshl_or_b32 v0, v7, 7, v0
	v_cvt_f32_f16_e32 v15, v0
.LBB288_501:                            ;   in Loop: Header=BB288_434 Depth=1
	s_or_b64 exec, exec, s[8:9]
	v_pk_mul_f32 v[24:25], v[14:15], v[34:35] op_sel_hi:[0,1]
	v_pk_mul_f32 v[26:27], v[14:15], v[30:31] op_sel_hi:[0,1]
	v_cvt_f16_f32_e32 v0, v25
	v_cvt_f16_f32_e32 v7, v24
	;; [unrolled: 1-line block ×4, first 2 shown]
	v_fma_mixlo_f16 v5, v14, v5, 0
	v_lshlrev_b32_e32 v5, 16, v5
	v_fma_mixlo_f16 v4, v14, v4, 0
	v_or_b32_sdwa v4, v5, v4 dst_sel:DWORD dst_unused:UNUSED_PAD src0_sel:DWORD src1_sel:WORD_0
	v_fma_mixlo_f16 v5, v14, v15, 0
	v_pack_b32_f16 v7, v7, v0
	v_pack_b32_f16 v22, v23, v22
	v_fma_mixlo_f16 v6, v14, v6, 0
	v_lshlrev_b32_e32 v5, 16, v5
	v_perm_b32 v0, v22, v7, s25
	v_perm_b32 v7, v22, v7, s26
	v_or_b32_sdwa v5, v5, v6 dst_sel:DWORD dst_unused:UNUSED_PAD src0_sel:DWORD src1_sel:WORD_0
	s_and_saveexec_b64 s[6:7], vcc
	s_cbranch_execz .LBB288_503
; %bb.502:                              ;   in Loop: Header=BB288_434 Depth=1
	v_lshrrev_b32_e32 v14, 16, v7
	v_cmp_lt_i32_e64 s[0:1], v47, v3
	v_accvgpr_read_b32 v22, a8
	v_lshrrev_b32_e32 v5, 16, v5
	v_cndmask_b32_e64 v14, 0, v14, s[0:1]
	v_cmp_lt_i32_e64 s[0:1], v42, v22
	s_nop 1
	v_cndmask_b32_e64 v7, 0, v7, s[0:1]
	v_perm_b32 v7, v14, v7, s27
	v_lshrrev_b32_e32 v14, 16, v0
	v_cmp_lt_i32_e64 s[0:1], v46, v3
	s_nop 1
	v_cndmask_b32_e64 v14, 0, v14, s[0:1]
	v_cmp_lt_i32_e64 s[0:1], v45, v22
	s_nop 1
	v_cndmask_b32_e64 v0, 0, v0, s[0:1]
	v_perm_b32 v0, v14, v0, s27
	v_lshrrev_b32_e32 v14, 16, v4
	v_cmp_lt_i32_e64 s[0:1], v44, v3
	s_nop 1
	v_cndmask_b32_e64 v14, 0, v14, s[0:1]
	v_cmp_lt_i32_e64 s[0:1], v43, v22
	s_nop 1
	v_cndmask_b32_e64 v4, 0, v4, s[0:1]
	v_cmp_lt_i32_e64 s[0:1], v39, v3
	v_perm_b32 v4, v14, v4, s27
	s_nop 0
	v_cndmask_b32_e64 v5, 0, v5, s[0:1]
	v_cmp_lt_i32_e64 s[0:1], v37, v22
	s_nop 1
	v_cndmask_b32_e64 v6, 0, v6, s[0:1]
	v_perm_b32 v5, v5, v6, s27
.LBB288_503:                            ;   in Loop: Header=BB288_434 Depth=1
	s_or_b64 exec, exec, s[6:7]
	;;#ASMSTART
	v_pk_mul_f16 v6, v59, v7;

	;;#ASMEND
	;;#ASMSTART
	v_pk_mul_f16 v0, v58, v0;

	;;#ASMEND
	;; [unrolled: 4-line block ×4, first 2 shown]
	s_mov_b64 s[0:1], 0
	;;#ASMSTART
	v_pk_add_f16 v0, v6, v0;

	;;#ASMEND
	v_accvgpr_read_b32 v7, a5
	;;#ASMSTART
	v_pk_add_f16 v0, v0, v4;

	;;#ASMEND
	v_accvgpr_read_b32 v6, a4
	;;#ASMSTART
	v_pk_add_f16 v0, v0, v5;

	;;#ASMEND
                                        ; implicit-def: $sgpr20
	s_nop 0
	v_lshrrev_b32_e32 v5, 16, v0
	v_and_b32_e32 v0, 0xffff, v0
	;;#ASMSTART
	v_cvt_f32_f16 v4, v0;
	;;#ASMEND
	;;#ASMSTART
	v_cvt_f32_f16 v5, v5;
	;;#ASMEND
	flat_load_dwordx2 v[24:25], v[12:13] offset:1024
	flat_load_dword v14, v[6:7]
	s_waitcnt vmcnt(0) lgkmcnt(0)
	v_cmp_gt_i16_sdwa s[6:7], v24, s15 src0_sel:BYTE_0 src1_sel:DWORD
	s_and_saveexec_b64 s[8:9], s[6:7]
	s_xor_b64 s[6:7], exec, s[8:9]
	s_cbranch_execnz .LBB288_703
; %bb.504:                              ;   in Loop: Header=BB288_434 Depth=1
	s_or_saveexec_b64 s[6:7], s[6:7]
	v_mov_b32_e32 v30, s20
	s_xor_b64 exec, exec, s[6:7]
	s_cbranch_execnz .LBB288_706
.LBB288_505:                            ;   in Loop: Header=BB288_434 Depth=1
	s_or_b64 exec, exec, s[6:7]
	s_and_saveexec_b64 s[6:7], s[0:1]
	s_cbranch_execz .LBB288_507
.LBB288_506:                            ;   in Loop: Header=BB288_434 Depth=1
	v_and_b32_e32 v0, 7, v24
	v_ffbh_u32_e32 v0, v0
	v_bfe_u32 v6, v24, 3, 4
	v_min_u32_e32 v0, 32, v0
	v_subrev_u32_e32 v7, 28, v0
	v_sub_u32_e32 v0, 29, v0
	v_cmp_eq_u32_e64 s[0:1], 0, v6
	s_nop 1
	v_cndmask_b32_e64 v0, v6, v0, s[0:1]
	v_cndmask_b32_e64 v6, 0, v7, s[0:1]
	v_lshlrev_b64 v[6:7], v6, v[24:25]
	v_lshlrev_b32_e32 v7, 8, v24
	v_lshl_add_u32 v0, v0, 10, v36
	v_lshlrev_b32_e32 v6, 7, v6
	v_and_or_b32 v0, v7, s23, v0
	v_and_or_b32 v0, v6, s24, v0
	v_cvt_f32_f16_e32 v30, v0
.LBB288_507:                            ;   in Loop: Header=BB288_434 Depth=1
	s_or_b64 exec, exec, s[6:7]
	v_lshrrev_b16_e32 v0, 8, v24
	v_cmp_lt_i16_e64 s[0:1], s15, v0
	s_mov_b64 s[6:7], 0
                                        ; implicit-def: $sgpr28
	s_and_saveexec_b64 s[8:9], s[0:1]
	s_xor_b64 s[8:9], exec, s[8:9]
	s_cbranch_execnz .LBB288_707
; %bb.508:                              ;   in Loop: Header=BB288_434 Depth=1
	s_or_saveexec_b64 s[8:9], s[8:9]
	v_mov_b32_e32 v34, s28
	s_xor_b64 exec, exec, s[8:9]
	s_cbranch_execnz .LBB288_710
.LBB288_509:                            ;   in Loop: Header=BB288_434 Depth=1
	s_or_b64 exec, exec, s[8:9]
	s_and_saveexec_b64 s[8:9], s[6:7]
	s_cbranch_execz .LBB288_511
.LBB288_510:                            ;   in Loop: Header=BB288_434 Depth=1
	v_and_b32_e32 v15, 7, v0
	v_ffbh_u32_e32 v6, v15
	v_min_u32_e32 v23, 32, v6
	v_subrev_u32_e32 v6, 28, v23
	v_bfe_u32 v22, v0, 3, 4
	v_lshlrev_b64 v[6:7], v6, v[0:1]
	v_sub_u32_e32 v7, 29, v23
	v_cmp_eq_u32_e64 s[0:1], 0, v22
	v_and_b32_e32 v6, 7, v6
	v_lshlrev_b32_e32 v0, 8, v0
	v_cndmask_b32_e64 v7, v22, v7, s[0:1]
	v_lshl_add_u32 v7, v7, 10, v36
	v_cndmask_b32_e64 v6, v15, v6, s[0:1]
	v_and_or_b32 v0, v0, s23, v7
	v_lshl_or_b32 v0, v6, 7, v0
	v_cvt_f32_f16_e32 v34, v0
.LBB288_511:                            ;   in Loop: Header=BB288_434 Depth=1
	s_or_b64 exec, exec, s[8:9]
	v_lshrrev_b32_e32 v0, 16, v24
	v_cmp_gt_i16_sdwa s[6:7], v0, s15 src0_sel:BYTE_0 src1_sel:DWORD
	s_mov_b64 s[0:1], 0
                                        ; implicit-def: $sgpr20
	s_and_saveexec_b64 s[8:9], s[6:7]
	s_xor_b64 s[6:7], exec, s[8:9]
	s_cbranch_execnz .LBB288_711
; %bb.512:                              ;   in Loop: Header=BB288_434 Depth=1
	s_or_saveexec_b64 s[6:7], s[6:7]
	v_mov_b32_e32 v31, s20
	s_xor_b64 exec, exec, s[6:7]
	s_cbranch_execnz .LBB288_714
.LBB288_513:                            ;   in Loop: Header=BB288_434 Depth=1
	s_or_b64 exec, exec, s[6:7]
	s_and_saveexec_b64 s[6:7], s[0:1]
	s_cbranch_execz .LBB288_515
.LBB288_514:                            ;   in Loop: Header=BB288_434 Depth=1
	v_bfe_u32 v15, v24, 16, 3
	v_ffbh_u32_e32 v6, v15
	v_min_u32_e32 v23, 32, v6
	v_subrev_u32_e32 v6, 28, v23
	v_bfe_u32 v22, v24, 19, 4
	v_lshlrev_b64 v[6:7], v6, v[0:1]
	v_sub_u32_e32 v7, 29, v23
	v_cmp_eq_u32_e64 s[0:1], 0, v22
	v_and_b32_e32 v6, 7, v6
	v_lshlrev_b32_e32 v0, 8, v0
	v_cndmask_b32_e64 v7, v22, v7, s[0:1]
	v_lshl_add_u32 v7, v7, 10, v36
	v_cndmask_b32_e64 v6, v15, v6, s[0:1]
	v_and_or_b32 v0, v0, s23, v7
	v_lshl_or_b32 v0, v6, 7, v0
	v_cvt_f32_f16_e32 v31, v0
.LBB288_515:                            ;   in Loop: Header=BB288_434 Depth=1
	s_or_b64 exec, exec, s[6:7]
	v_lshrrev_b32_e32 v0, 24, v24
	v_cmp_lt_i16_e64 s[0:1], s15, v0
	s_mov_b64 s[6:7], 0
                                        ; implicit-def: $sgpr28
	s_and_saveexec_b64 s[8:9], s[0:1]
	s_xor_b64 s[8:9], exec, s[8:9]
	s_cbranch_execnz .LBB288_715
; %bb.516:                              ;   in Loop: Header=BB288_434 Depth=1
	s_or_saveexec_b64 s[8:9], s[8:9]
	v_mov_b32_e32 v35, s28
	s_xor_b64 exec, exec, s[8:9]
	s_cbranch_execnz .LBB288_718
.LBB288_517:                            ;   in Loop: Header=BB288_434 Depth=1
	s_or_b64 exec, exec, s[8:9]
	s_and_saveexec_b64 s[8:9], s[6:7]
	s_cbranch_execz .LBB288_519
.LBB288_518:                            ;   in Loop: Header=BB288_434 Depth=1
	v_bfe_u32 v15, v24, 24, 3
	v_ffbh_u32_e32 v6, v15
	v_min_u32_e32 v23, 32, v6
	v_subrev_u32_e32 v6, 28, v23
	v_bfe_u32 v22, v24, 27, 4
	v_lshlrev_b64 v[6:7], v6, v[0:1]
	v_sub_u32_e32 v7, 29, v23
	v_cmp_eq_u32_e64 s[0:1], 0, v22
	v_and_b32_e32 v6, 7, v6
	v_lshlrev_b32_e32 v0, 8, v0
	v_cndmask_b32_e64 v7, v22, v7, s[0:1]
	v_lshl_add_u32 v7, v7, 10, v36
	v_cndmask_b32_e64 v6, v15, v6, s[0:1]
	v_and_or_b32 v0, v0, s23, v7
	v_lshl_or_b32 v0, v6, 7, v0
	v_cvt_f32_f16_e32 v35, v0
.LBB288_519:                            ;   in Loop: Header=BB288_434 Depth=1
	s_or_b64 exec, exec, s[8:9]
	v_cmp_gt_i16_sdwa s[6:7], v25, s15 src0_sel:BYTE_0 src1_sel:DWORD
	s_mov_b64 s[0:1], 0
                                        ; implicit-def: $sgpr20
	s_and_saveexec_b64 s[8:9], s[6:7]
	s_xor_b64 s[6:7], exec, s[8:9]
	s_cbranch_execnz .LBB288_719
; %bb.520:                              ;   in Loop: Header=BB288_434 Depth=1
	s_or_saveexec_b64 s[6:7], s[6:7]
	v_mov_b32_e32 v6, s20
	s_xor_b64 exec, exec, s[6:7]
	s_cbranch_execnz .LBB288_722
.LBB288_521:                            ;   in Loop: Header=BB288_434 Depth=1
	s_or_b64 exec, exec, s[6:7]
	v_mov_b32_e32 v0, v25
	s_and_saveexec_b64 s[6:7], s[0:1]
	s_cbranch_execz .LBB288_523
.LBB288_522:                            ;   in Loop: Header=BB288_434 Depth=1
	v_and_b32_e32 v6, 7, v25
	v_ffbh_u32_e32 v6, v6
	v_bfe_u32 v7, v25, 3, 4
	v_min_u32_e32 v6, 32, v6
	v_subrev_u32_e32 v15, 28, v6
	v_sub_u32_e32 v6, 29, v6
	v_cmp_eq_u32_e64 s[0:1], 0, v7
	s_nop 1
	v_cndmask_b32_e64 v22, v7, v6, s[0:1]
	v_cndmask_b32_e64 v6, 0, v15, s[0:1]
	v_lshlrev_b64 v[6:7], v6, v[0:1]
	v_lshlrev_b32_e32 v7, 8, v25
	v_lshl_add_u32 v15, v22, 10, v36
	v_lshlrev_b32_e32 v6, 7, v6
	v_and_or_b32 v7, v7, s23, v15
	v_and_or_b32 v6, v6, s24, v7
	v_cvt_f32_f16_e32 v6, v6
.LBB288_523:                            ;   in Loop: Header=BB288_434 Depth=1
	s_or_b64 exec, exec, s[6:7]
	v_lshrrev_b16_e32 v0, 8, v0
	v_cmp_lt_i16_e64 s[0:1], s15, v0
	s_mov_b64 s[6:7], 0
                                        ; implicit-def: $sgpr28
	s_and_saveexec_b64 s[8:9], s[0:1]
	s_xor_b64 s[8:9], exec, s[8:9]
	s_cbranch_execnz .LBB288_723
; %bb.524:                              ;   in Loop: Header=BB288_434 Depth=1
	s_or_saveexec_b64 s[8:9], s[8:9]
	v_mov_b32_e32 v7, s28
	s_xor_b64 exec, exec, s[8:9]
	s_cbranch_execnz .LBB288_726
.LBB288_525:                            ;   in Loop: Header=BB288_434 Depth=1
	s_or_b64 exec, exec, s[8:9]
	s_and_saveexec_b64 s[8:9], s[6:7]
	s_cbranch_execz .LBB288_527
.LBB288_526:                            ;   in Loop: Header=BB288_434 Depth=1
	v_and_b32_e32 v7, 7, v0
	v_ffbh_u32_e32 v22, v7
	v_bfe_u32 v15, v0, 3, 4
	v_min_u32_e32 v22, 32, v22
	v_subrev_u32_e32 v23, 28, v22
	v_sub_u32_e32 v22, 29, v22
	v_cmp_eq_u32_e64 s[0:1], 0, v15
	v_lshlrev_b64 v[26:27], v23, v[0:1]
	v_and_b32_e32 v23, 7, v26
	v_cndmask_b32_e64 v15, v15, v22, s[0:1]
	v_lshlrev_b32_e32 v0, 8, v0
	v_lshl_add_u32 v15, v15, 10, v36
	v_cndmask_b32_e64 v7, v7, v23, s[0:1]
	v_and_or_b32 v0, v0, s23, v15
	v_lshl_or_b32 v0, v7, 7, v0
	v_cvt_f32_f16_e32 v7, v0
.LBB288_527:                            ;   in Loop: Header=BB288_434 Depth=1
	s_or_b64 exec, exec, s[8:9]
	v_lshrrev_b32_e32 v0, 16, v25
	v_cmp_gt_i16_sdwa s[6:7], v0, s15 src0_sel:BYTE_0 src1_sel:DWORD
	s_mov_b64 s[0:1], 0
                                        ; implicit-def: $sgpr20
	s_and_saveexec_b64 s[8:9], s[6:7]
	s_xor_b64 s[6:7], exec, s[8:9]
	s_cbranch_execnz .LBB288_727
; %bb.528:                              ;   in Loop: Header=BB288_434 Depth=1
	s_or_saveexec_b64 s[6:7], s[6:7]
	v_mov_b32_e32 v15, s20
	s_xor_b64 exec, exec, s[6:7]
	s_cbranch_execnz .LBB288_730
.LBB288_529:                            ;   in Loop: Header=BB288_434 Depth=1
	s_or_b64 exec, exec, s[6:7]
	s_and_saveexec_b64 s[6:7], s[0:1]
	s_cbranch_execz .LBB288_531
.LBB288_530:                            ;   in Loop: Header=BB288_434 Depth=1
	v_bfe_u32 v15, v25, 16, 3
	v_ffbh_u32_e32 v23, v15
	v_bfe_u32 v22, v25, 19, 4
	v_min_u32_e32 v23, 32, v23
	v_subrev_u32_e32 v24, 28, v23
	v_sub_u32_e32 v23, 29, v23
	v_cmp_eq_u32_e64 s[0:1], 0, v22
	v_lshlrev_b64 v[26:27], v24, v[0:1]
	v_and_b32_e32 v24, 7, v26
	v_cndmask_b32_e64 v22, v22, v23, s[0:1]
	v_lshlrev_b32_e32 v0, 8, v0
	v_lshl_add_u32 v22, v22, 10, v36
	v_cndmask_b32_e64 v15, v15, v24, s[0:1]
	v_and_or_b32 v0, v0, s23, v22
	v_lshl_or_b32 v0, v15, 7, v0
	v_cvt_f32_f16_e32 v15, v0
.LBB288_531:                            ;   in Loop: Header=BB288_434 Depth=1
	s_or_b64 exec, exec, s[6:7]
	v_lshrrev_b32_e32 v0, 24, v25
	v_cmp_lt_i16_e64 s[0:1], s15, v0
	s_mov_b64 s[6:7], 0
                                        ; implicit-def: $sgpr28
	s_and_saveexec_b64 s[8:9], s[0:1]
	s_xor_b64 s[8:9], exec, s[8:9]
	s_cbranch_execnz .LBB288_731
; %bb.532:                              ;   in Loop: Header=BB288_434 Depth=1
	s_or_saveexec_b64 s[8:9], s[8:9]
	v_mov_b32_e32 v24, s28
	s_xor_b64 exec, exec, s[8:9]
	s_cbranch_execnz .LBB288_734
.LBB288_533:                            ;   in Loop: Header=BB288_434 Depth=1
	s_or_b64 exec, exec, s[8:9]
	s_and_saveexec_b64 s[8:9], s[6:7]
	s_cbranch_execz .LBB288_535
.LBB288_534:                            ;   in Loop: Header=BB288_434 Depth=1
	v_bfe_u32 v22, v25, 24, 3
	v_ffbh_u32_e32 v24, v22
	v_min_u32_e32 v26, 32, v24
	v_subrev_u32_e32 v24, 28, v26
	v_bfe_u32 v23, v25, 27, 4
	v_lshlrev_b64 v[24:25], v24, v[0:1]
	v_sub_u32_e32 v25, 29, v26
	v_cmp_eq_u32_e64 s[0:1], 0, v23
	v_and_b32_e32 v24, 7, v24
	v_lshlrev_b32_e32 v0, 8, v0
	v_cndmask_b32_e64 v23, v23, v25, s[0:1]
	v_lshl_add_u32 v23, v23, 10, v36
	v_cndmask_b32_e64 v22, v22, v24, s[0:1]
	v_and_or_b32 v0, v0, s23, v23
	v_lshl_or_b32 v0, v22, 7, v0
	v_cvt_f32_f16_e32 v24, v0
.LBB288_535:                            ;   in Loop: Header=BB288_434 Depth=1
	s_or_b64 exec, exec, s[8:9]
	v_pk_mul_f32 v[26:27], v[14:15], v[34:35] op_sel_hi:[0,1]
	v_pk_mul_f32 v[30:31], v[14:15], v[30:31] op_sel_hi:[0,1]
	v_cvt_f16_f32_e32 v0, v27
	v_cvt_f16_f32_e32 v22, v26
	v_cvt_f16_f32_e32 v23, v31
	v_cvt_f16_f32_e32 v25, v30
	v_fma_mixlo_f16 v7, v14, v7, 0
	v_lshlrev_b32_e32 v7, 16, v7
	v_fma_mixlo_f16 v6, v14, v6, 0
	v_or_b32_sdwa v6, v7, v6 dst_sel:DWORD dst_unused:UNUSED_PAD src0_sel:DWORD src1_sel:WORD_0
	v_fma_mixlo_f16 v7, v14, v24, 0
	v_pack_b32_f16 v22, v22, v0
	v_pack_b32_f16 v23, v25, v23
	v_fma_mixlo_f16 v15, v14, v15, 0
	v_lshlrev_b32_e32 v7, 16, v7
	v_perm_b32 v0, v23, v22, s25
	v_perm_b32 v22, v23, v22, s26
	v_or_b32_sdwa v7, v7, v15 dst_sel:DWORD dst_unused:UNUSED_PAD src0_sel:DWORD src1_sel:WORD_0
	s_and_saveexec_b64 s[6:7], vcc
	s_cbranch_execz .LBB288_537
; %bb.536:                              ;   in Loop: Header=BB288_434 Depth=1
	v_lshrrev_b32_e32 v14, 16, v22
	v_cmp_lt_i32_e64 s[0:1], v47, v3
	v_accvgpr_read_b32 v24, a8
	v_lshrrev_b32_e32 v7, 16, v7
	v_cndmask_b32_e64 v14, 0, v14, s[0:1]
	v_cmp_lt_i32_e64 s[0:1], v42, v24
	s_nop 1
	v_cndmask_b32_e64 v22, 0, v22, s[0:1]
	v_perm_b32 v22, v14, v22, s27
	v_lshrrev_b32_e32 v14, 16, v0
	v_cmp_lt_i32_e64 s[0:1], v46, v3
	s_nop 1
	v_cndmask_b32_e64 v14, 0, v14, s[0:1]
	v_cmp_lt_i32_e64 s[0:1], v45, v24
	s_nop 1
	v_cndmask_b32_e64 v0, 0, v0, s[0:1]
	v_perm_b32 v0, v14, v0, s27
	v_lshrrev_b32_e32 v14, 16, v6
	v_cmp_lt_i32_e64 s[0:1], v44, v3
	s_nop 1
	v_cndmask_b32_e64 v14, 0, v14, s[0:1]
	v_cmp_lt_i32_e64 s[0:1], v43, v24
	s_nop 1
	v_cndmask_b32_e64 v6, 0, v6, s[0:1]
	v_cmp_lt_i32_e64 s[0:1], v39, v3
	v_perm_b32 v6, v14, v6, s27
	s_nop 0
	v_cndmask_b32_e64 v7, 0, v7, s[0:1]
	v_cmp_lt_i32_e64 s[0:1], v37, v24
	s_nop 1
	v_cndmask_b32_e64 v14, 0, v15, s[0:1]
	v_perm_b32 v7, v7, v14, s27
.LBB288_537:                            ;   in Loop: Header=BB288_434 Depth=1
	s_or_b64 exec, exec, s[6:7]
	;;#ASMSTART
	v_pk_mul_f16 v14, v59, v22;

	;;#ASMEND
	;;#ASMSTART
	v_pk_mul_f16 v0, v58, v0;

	;;#ASMEND
	;; [unrolled: 4-line block ×4, first 2 shown]
	s_mov_b64 s[0:1], 0
	;;#ASMSTART
	v_pk_add_f16 v0, v14, v0;

	;;#ASMEND
                                        ; implicit-def: $sgpr20
	s_nop 0
	;;#ASMSTART
	v_pk_add_f16 v0, v0, v6;

	;;#ASMEND
	s_nop 0
	;;#ASMSTART
	v_pk_add_f16 v0, v0, v7;

	;;#ASMEND
	s_nop 0
	v_lshrrev_b32_e32 v6, 16, v0
	v_and_b32_e32 v0, 0xffff, v0
	;;#ASMSTART
	v_cvt_f32_f16 v33, v0;
	;;#ASMEND
	;;#ASMSTART
	v_cvt_f32_f16 v62, v6;
	;;#ASMEND
	v_accvgpr_read_b32 v7, a5
	flat_load_dwordx2 v[24:25], v[12:13] offset:1536
	v_accvgpr_read_b32 v6, a4
	flat_load_dword v14, v[6:7]
	s_waitcnt vmcnt(0) lgkmcnt(0)
	v_cmp_gt_i16_sdwa s[6:7], v24, s15 src0_sel:BYTE_0 src1_sel:DWORD
	s_and_saveexec_b64 s[8:9], s[6:7]
	s_xor_b64 s[6:7], exec, s[8:9]
	s_cbranch_execnz .LBB288_735
; %bb.538:                              ;   in Loop: Header=BB288_434 Depth=1
	s_or_saveexec_b64 s[6:7], s[6:7]
	v_mov_b32_e32 v30, s20
	s_xor_b64 exec, exec, s[6:7]
	s_cbranch_execnz .LBB288_738
.LBB288_539:                            ;   in Loop: Header=BB288_434 Depth=1
	s_or_b64 exec, exec, s[6:7]
	s_and_saveexec_b64 s[6:7], s[0:1]
	s_cbranch_execz .LBB288_541
.LBB288_540:                            ;   in Loop: Header=BB288_434 Depth=1
	v_and_b32_e32 v0, 7, v24
	v_ffbh_u32_e32 v0, v0
	v_bfe_u32 v6, v24, 3, 4
	v_min_u32_e32 v0, 32, v0
	v_subrev_u32_e32 v7, 28, v0
	v_sub_u32_e32 v0, 29, v0
	v_cmp_eq_u32_e64 s[0:1], 0, v6
	s_nop 1
	v_cndmask_b32_e64 v0, v6, v0, s[0:1]
	v_cndmask_b32_e64 v6, 0, v7, s[0:1]
	v_lshlrev_b64 v[6:7], v6, v[24:25]
	v_lshlrev_b32_e32 v7, 8, v24
	v_lshl_add_u32 v0, v0, 10, v36
	v_lshlrev_b32_e32 v6, 7, v6
	v_and_or_b32 v0, v7, s23, v0
	v_and_or_b32 v0, v6, s24, v0
	v_cvt_f32_f16_e32 v30, v0
.LBB288_541:                            ;   in Loop: Header=BB288_434 Depth=1
	s_or_b64 exec, exec, s[6:7]
	v_lshrrev_b16_e32 v0, 8, v24
	v_cmp_lt_i16_e64 s[0:1], s15, v0
	s_mov_b64 s[6:7], 0
                                        ; implicit-def: $sgpr28
	s_and_saveexec_b64 s[8:9], s[0:1]
	s_xor_b64 s[8:9], exec, s[8:9]
	s_cbranch_execnz .LBB288_739
; %bb.542:                              ;   in Loop: Header=BB288_434 Depth=1
	s_or_saveexec_b64 s[8:9], s[8:9]
	v_mov_b32_e32 v34, s28
	s_xor_b64 exec, exec, s[8:9]
	s_cbranch_execnz .LBB288_742
.LBB288_543:                            ;   in Loop: Header=BB288_434 Depth=1
	s_or_b64 exec, exec, s[8:9]
	s_and_saveexec_b64 s[8:9], s[6:7]
	s_cbranch_execz .LBB288_545
.LBB288_544:                            ;   in Loop: Header=BB288_434 Depth=1
	v_and_b32_e32 v15, 7, v0
	v_ffbh_u32_e32 v6, v15
	v_min_u32_e32 v23, 32, v6
	v_subrev_u32_e32 v6, 28, v23
	v_bfe_u32 v22, v0, 3, 4
	v_lshlrev_b64 v[6:7], v6, v[0:1]
	v_sub_u32_e32 v7, 29, v23
	v_cmp_eq_u32_e64 s[0:1], 0, v22
	v_and_b32_e32 v6, 7, v6
	v_lshlrev_b32_e32 v0, 8, v0
	v_cndmask_b32_e64 v7, v22, v7, s[0:1]
	v_lshl_add_u32 v7, v7, 10, v36
	v_cndmask_b32_e64 v6, v15, v6, s[0:1]
	v_and_or_b32 v0, v0, s23, v7
	v_lshl_or_b32 v0, v6, 7, v0
	v_cvt_f32_f16_e32 v34, v0
.LBB288_545:                            ;   in Loop: Header=BB288_434 Depth=1
	s_or_b64 exec, exec, s[8:9]
	v_lshrrev_b32_e32 v0, 16, v24
	v_cmp_gt_i16_sdwa s[6:7], v0, s15 src0_sel:BYTE_0 src1_sel:DWORD
	s_mov_b64 s[0:1], 0
                                        ; implicit-def: $sgpr20
	s_and_saveexec_b64 s[8:9], s[6:7]
	s_xor_b64 s[6:7], exec, s[8:9]
	s_cbranch_execnz .LBB288_743
; %bb.546:                              ;   in Loop: Header=BB288_434 Depth=1
	s_or_saveexec_b64 s[6:7], s[6:7]
	v_mov_b32_e32 v31, s20
	s_xor_b64 exec, exec, s[6:7]
	s_cbranch_execnz .LBB288_746
.LBB288_547:                            ;   in Loop: Header=BB288_434 Depth=1
	s_or_b64 exec, exec, s[6:7]
	s_and_saveexec_b64 s[6:7], s[0:1]
	s_cbranch_execz .LBB288_549
.LBB288_548:                            ;   in Loop: Header=BB288_434 Depth=1
	v_bfe_u32 v15, v24, 16, 3
	v_ffbh_u32_e32 v6, v15
	v_min_u32_e32 v23, 32, v6
	v_subrev_u32_e32 v6, 28, v23
	v_bfe_u32 v22, v24, 19, 4
	v_lshlrev_b64 v[6:7], v6, v[0:1]
	v_sub_u32_e32 v7, 29, v23
	v_cmp_eq_u32_e64 s[0:1], 0, v22
	v_and_b32_e32 v6, 7, v6
	v_lshlrev_b32_e32 v0, 8, v0
	v_cndmask_b32_e64 v7, v22, v7, s[0:1]
	v_lshl_add_u32 v7, v7, 10, v36
	v_cndmask_b32_e64 v6, v15, v6, s[0:1]
	v_and_or_b32 v0, v0, s23, v7
	v_lshl_or_b32 v0, v6, 7, v0
	v_cvt_f32_f16_e32 v31, v0
.LBB288_549:                            ;   in Loop: Header=BB288_434 Depth=1
	s_or_b64 exec, exec, s[6:7]
	v_lshrrev_b32_e32 v0, 24, v24
	v_cmp_lt_i16_e64 s[0:1], s15, v0
	s_mov_b64 s[6:7], 0
                                        ; implicit-def: $sgpr28
	s_and_saveexec_b64 s[8:9], s[0:1]
	s_xor_b64 s[8:9], exec, s[8:9]
	s_cbranch_execnz .LBB288_747
; %bb.550:                              ;   in Loop: Header=BB288_434 Depth=1
	s_or_saveexec_b64 s[8:9], s[8:9]
	v_mov_b32_e32 v35, s28
	s_xor_b64 exec, exec, s[8:9]
	s_cbranch_execnz .LBB288_750
.LBB288_551:                            ;   in Loop: Header=BB288_434 Depth=1
	s_or_b64 exec, exec, s[8:9]
	s_and_saveexec_b64 s[8:9], s[6:7]
	s_cbranch_execz .LBB288_553
.LBB288_552:                            ;   in Loop: Header=BB288_434 Depth=1
	v_bfe_u32 v15, v24, 24, 3
	v_ffbh_u32_e32 v6, v15
	v_min_u32_e32 v23, 32, v6
	v_subrev_u32_e32 v6, 28, v23
	v_bfe_u32 v22, v24, 27, 4
	v_lshlrev_b64 v[6:7], v6, v[0:1]
	v_sub_u32_e32 v7, 29, v23
	v_cmp_eq_u32_e64 s[0:1], 0, v22
	v_and_b32_e32 v6, 7, v6
	v_lshlrev_b32_e32 v0, 8, v0
	v_cndmask_b32_e64 v7, v22, v7, s[0:1]
	v_lshl_add_u32 v7, v7, 10, v36
	v_cndmask_b32_e64 v6, v15, v6, s[0:1]
	v_and_or_b32 v0, v0, s23, v7
	v_lshl_or_b32 v0, v6, 7, v0
	v_cvt_f32_f16_e32 v35, v0
.LBB288_553:                            ;   in Loop: Header=BB288_434 Depth=1
	s_or_b64 exec, exec, s[8:9]
	v_cmp_gt_i16_sdwa s[6:7], v25, s15 src0_sel:BYTE_0 src1_sel:DWORD
	s_mov_b64 s[0:1], 0
                                        ; implicit-def: $sgpr20
	s_and_saveexec_b64 s[8:9], s[6:7]
	s_xor_b64 s[6:7], exec, s[8:9]
	s_cbranch_execnz .LBB288_751
; %bb.554:                              ;   in Loop: Header=BB288_434 Depth=1
	s_or_saveexec_b64 s[6:7], s[6:7]
	v_mov_b32_e32 v6, s20
	s_xor_b64 exec, exec, s[6:7]
	s_cbranch_execnz .LBB288_754
.LBB288_555:                            ;   in Loop: Header=BB288_434 Depth=1
	s_or_b64 exec, exec, s[6:7]
	v_mov_b32_e32 v0, v25
	s_and_saveexec_b64 s[6:7], s[0:1]
	s_cbranch_execz .LBB288_557
.LBB288_556:                            ;   in Loop: Header=BB288_434 Depth=1
	v_and_b32_e32 v6, 7, v25
	v_ffbh_u32_e32 v6, v6
	v_bfe_u32 v7, v25, 3, 4
	v_min_u32_e32 v6, 32, v6
	v_subrev_u32_e32 v15, 28, v6
	v_sub_u32_e32 v6, 29, v6
	v_cmp_eq_u32_e64 s[0:1], 0, v7
	s_nop 1
	v_cndmask_b32_e64 v22, v7, v6, s[0:1]
	v_cndmask_b32_e64 v6, 0, v15, s[0:1]
	v_lshlrev_b64 v[6:7], v6, v[0:1]
	v_lshlrev_b32_e32 v7, 8, v25
	v_lshl_add_u32 v15, v22, 10, v36
	v_lshlrev_b32_e32 v6, 7, v6
	v_and_or_b32 v7, v7, s23, v15
	v_and_or_b32 v6, v6, s24, v7
	v_cvt_f32_f16_e32 v6, v6
.LBB288_557:                            ;   in Loop: Header=BB288_434 Depth=1
	s_or_b64 exec, exec, s[6:7]
	v_lshrrev_b16_e32 v0, 8, v0
	v_cmp_lt_i16_e64 s[0:1], s15, v0
	s_mov_b64 s[6:7], 0
                                        ; implicit-def: $sgpr28
	s_and_saveexec_b64 s[8:9], s[0:1]
	s_xor_b64 s[8:9], exec, s[8:9]
	s_cbranch_execnz .LBB288_755
; %bb.558:                              ;   in Loop: Header=BB288_434 Depth=1
	s_or_saveexec_b64 s[8:9], s[8:9]
	v_mov_b32_e32 v7, s28
	s_xor_b64 exec, exec, s[8:9]
	s_cbranch_execnz .LBB288_758
.LBB288_559:                            ;   in Loop: Header=BB288_434 Depth=1
	s_or_b64 exec, exec, s[8:9]
	s_and_saveexec_b64 s[8:9], s[6:7]
	s_cbranch_execz .LBB288_561
.LBB288_560:                            ;   in Loop: Header=BB288_434 Depth=1
	v_and_b32_e32 v7, 7, v0
	v_ffbh_u32_e32 v22, v7
	v_bfe_u32 v15, v0, 3, 4
	v_min_u32_e32 v22, 32, v22
	v_subrev_u32_e32 v23, 28, v22
	v_sub_u32_e32 v22, 29, v22
	v_cmp_eq_u32_e64 s[0:1], 0, v15
	v_lshlrev_b64 v[26:27], v23, v[0:1]
	v_and_b32_e32 v23, 7, v26
	v_cndmask_b32_e64 v15, v15, v22, s[0:1]
	v_lshlrev_b32_e32 v0, 8, v0
	v_lshl_add_u32 v15, v15, 10, v36
	v_cndmask_b32_e64 v7, v7, v23, s[0:1]
	v_and_or_b32 v0, v0, s23, v15
	v_lshl_or_b32 v0, v7, 7, v0
	v_cvt_f32_f16_e32 v7, v0
.LBB288_561:                            ;   in Loop: Header=BB288_434 Depth=1
	s_or_b64 exec, exec, s[8:9]
	v_lshrrev_b32_e32 v0, 16, v25
	v_cmp_gt_i16_sdwa s[6:7], v0, s15 src0_sel:BYTE_0 src1_sel:DWORD
	s_mov_b64 s[0:1], 0
                                        ; implicit-def: $sgpr20
	s_and_saveexec_b64 s[8:9], s[6:7]
	s_xor_b64 s[6:7], exec, s[8:9]
	s_cbranch_execnz .LBB288_759
; %bb.562:                              ;   in Loop: Header=BB288_434 Depth=1
	s_or_saveexec_b64 s[6:7], s[6:7]
	v_mov_b32_e32 v15, s20
	s_xor_b64 exec, exec, s[6:7]
	s_cbranch_execnz .LBB288_762
.LBB288_563:                            ;   in Loop: Header=BB288_434 Depth=1
	s_or_b64 exec, exec, s[6:7]
	s_and_saveexec_b64 s[6:7], s[0:1]
	s_cbranch_execz .LBB288_565
.LBB288_564:                            ;   in Loop: Header=BB288_434 Depth=1
	v_bfe_u32 v15, v25, 16, 3
	v_ffbh_u32_e32 v23, v15
	v_bfe_u32 v22, v25, 19, 4
	v_min_u32_e32 v23, 32, v23
	v_subrev_u32_e32 v24, 28, v23
	v_sub_u32_e32 v23, 29, v23
	v_cmp_eq_u32_e64 s[0:1], 0, v22
	v_lshlrev_b64 v[26:27], v24, v[0:1]
	v_and_b32_e32 v24, 7, v26
	v_cndmask_b32_e64 v22, v22, v23, s[0:1]
	v_lshlrev_b32_e32 v0, 8, v0
	v_lshl_add_u32 v22, v22, 10, v36
	v_cndmask_b32_e64 v15, v15, v24, s[0:1]
	v_and_or_b32 v0, v0, s23, v22
	v_lshl_or_b32 v0, v15, 7, v0
	v_cvt_f32_f16_e32 v15, v0
.LBB288_565:                            ;   in Loop: Header=BB288_434 Depth=1
	s_or_b64 exec, exec, s[6:7]
	v_lshrrev_b32_e32 v0, 24, v25
	v_cmp_lt_i16_e64 s[0:1], s15, v0
	s_mov_b64 s[6:7], 0
                                        ; implicit-def: $sgpr28
	s_and_saveexec_b64 s[8:9], s[0:1]
	s_xor_b64 s[8:9], exec, s[8:9]
	s_cbranch_execnz .LBB288_763
; %bb.566:                              ;   in Loop: Header=BB288_434 Depth=1
	s_or_saveexec_b64 s[8:9], s[8:9]
	v_mov_b32_e32 v24, s28
	s_xor_b64 exec, exec, s[8:9]
	s_cbranch_execnz .LBB288_766
.LBB288_567:                            ;   in Loop: Header=BB288_434 Depth=1
	s_or_b64 exec, exec, s[8:9]
	s_and_saveexec_b64 s[8:9], s[6:7]
	s_cbranch_execz .LBB288_569
.LBB288_568:                            ;   in Loop: Header=BB288_434 Depth=1
	v_bfe_u32 v22, v25, 24, 3
	v_ffbh_u32_e32 v24, v22
	v_min_u32_e32 v26, 32, v24
	v_subrev_u32_e32 v24, 28, v26
	v_bfe_u32 v23, v25, 27, 4
	v_lshlrev_b64 v[24:25], v24, v[0:1]
	v_sub_u32_e32 v25, 29, v26
	v_cmp_eq_u32_e64 s[0:1], 0, v23
	v_and_b32_e32 v24, 7, v24
	v_lshlrev_b32_e32 v0, 8, v0
	v_cndmask_b32_e64 v23, v23, v25, s[0:1]
	v_lshl_add_u32 v23, v23, 10, v36
	v_cndmask_b32_e64 v22, v22, v24, s[0:1]
	v_and_or_b32 v0, v0, s23, v23
	v_lshl_or_b32 v0, v22, 7, v0
	v_cvt_f32_f16_e32 v24, v0
.LBB288_569:                            ;   in Loop: Header=BB288_434 Depth=1
	s_or_b64 exec, exec, s[8:9]
	v_pk_mul_f32 v[26:27], v[14:15], v[34:35] op_sel_hi:[0,1]
	v_pk_mul_f32 v[30:31], v[14:15], v[30:31] op_sel_hi:[0,1]
	v_cvt_f16_f32_e32 v0, v27
	v_cvt_f16_f32_e32 v22, v26
	;; [unrolled: 1-line block ×4, first 2 shown]
	v_fma_mixlo_f16 v7, v14, v7, 0
	v_lshlrev_b32_e32 v7, 16, v7
	v_fma_mixlo_f16 v6, v14, v6, 0
	v_or_b32_sdwa v6, v7, v6 dst_sel:DWORD dst_unused:UNUSED_PAD src0_sel:DWORD src1_sel:WORD_0
	v_fma_mixlo_f16 v7, v14, v24, 0
	v_pack_b32_f16 v22, v22, v0
	v_pack_b32_f16 v23, v25, v23
	v_fma_mixlo_f16 v15, v14, v15, 0
	v_lshlrev_b32_e32 v7, 16, v7
	v_perm_b32 v0, v23, v22, s25
	v_perm_b32 v22, v23, v22, s26
	v_or_b32_sdwa v7, v7, v15 dst_sel:DWORD dst_unused:UNUSED_PAD src0_sel:DWORD src1_sel:WORD_0
	s_and_saveexec_b64 s[6:7], vcc
	s_cbranch_execz .LBB288_571
; %bb.570:                              ;   in Loop: Header=BB288_434 Depth=1
	v_lshrrev_b32_e32 v14, 16, v22
	v_cmp_lt_i32_e64 s[0:1], v47, v3
	v_accvgpr_read_b32 v24, a8
	v_lshrrev_b32_e32 v7, 16, v7
	v_cndmask_b32_e64 v14, 0, v14, s[0:1]
	v_cmp_lt_i32_e64 s[0:1], v42, v24
	s_nop 1
	v_cndmask_b32_e64 v22, 0, v22, s[0:1]
	v_perm_b32 v22, v14, v22, s27
	v_lshrrev_b32_e32 v14, 16, v0
	v_cmp_lt_i32_e64 s[0:1], v46, v3
	s_nop 1
	v_cndmask_b32_e64 v14, 0, v14, s[0:1]
	v_cmp_lt_i32_e64 s[0:1], v45, v24
	s_nop 1
	v_cndmask_b32_e64 v0, 0, v0, s[0:1]
	v_perm_b32 v0, v14, v0, s27
	v_lshrrev_b32_e32 v14, 16, v6
	v_cmp_lt_i32_e64 s[0:1], v44, v3
	s_nop 1
	v_cndmask_b32_e64 v14, 0, v14, s[0:1]
	v_cmp_lt_i32_e64 s[0:1], v43, v24
	s_nop 1
	v_cndmask_b32_e64 v6, 0, v6, s[0:1]
	v_cmp_lt_i32_e64 s[0:1], v39, v3
	v_perm_b32 v6, v14, v6, s27
	s_nop 0
	v_cndmask_b32_e64 v7, 0, v7, s[0:1]
	v_cmp_lt_i32_e64 s[0:1], v37, v24
	s_nop 1
	v_cndmask_b32_e64 v14, 0, v15, s[0:1]
	v_perm_b32 v7, v7, v14, s27
.LBB288_571:                            ;   in Loop: Header=BB288_434 Depth=1
	s_or_b64 exec, exec, s[6:7]
	;;#ASMSTART
	v_pk_mul_f16 v14, v59, v22;

	;;#ASMEND
	;;#ASMSTART
	v_pk_mul_f16 v0, v58, v0;

	;;#ASMEND
	;; [unrolled: 4-line block ×4, first 2 shown]
	s_mov_b64 s[0:1], 0
	;;#ASMSTART
	v_pk_add_f16 v0, v14, v0;

	;;#ASMEND
	v_accvgpr_read_b32 v15, a5
	;;#ASMSTART
	v_pk_add_f16 v0, v0, v6;

	;;#ASMEND
	v_accvgpr_read_b32 v14, a4
	;;#ASMSTART
	v_pk_add_f16 v0, v0, v7;

	;;#ASMEND
                                        ; implicit-def: $sgpr20
	s_nop 0
	v_lshrrev_b32_e32 v6, 16, v0
	v_and_b32_e32 v0, 0xffff, v0
	;;#ASMSTART
	v_cvt_f32_f16 v7, v0;
	;;#ASMEND
	;;#ASMSTART
	v_cvt_f32_f16 v52, v6;
	;;#ASMEND
	flat_load_dwordx2 v[24:25], v[12:13] offset:2048
	s_waitcnt vmcnt(0) lgkmcnt(0)
	v_cmp_gt_i16_sdwa s[6:7], v24, s15 src0_sel:BYTE_0 src1_sel:DWORD
	flat_load_dword v14, v[14:15]
	s_and_saveexec_b64 s[8:9], s[6:7]
	s_xor_b64 s[6:7], exec, s[8:9]
	s_cbranch_execnz .LBB288_767
; %bb.572:                              ;   in Loop: Header=BB288_434 Depth=1
	s_or_saveexec_b64 s[6:7], s[6:7]
	v_mov_b32_e32 v30, s20
	s_xor_b64 exec, exec, s[6:7]
	s_cbranch_execnz .LBB288_770
.LBB288_573:                            ;   in Loop: Header=BB288_434 Depth=1
	s_or_b64 exec, exec, s[6:7]
	s_and_saveexec_b64 s[6:7], s[0:1]
	s_cbranch_execz .LBB288_575
.LBB288_574:                            ;   in Loop: Header=BB288_434 Depth=1
	v_and_b32_e32 v0, 7, v24
	v_ffbh_u32_e32 v0, v0
	v_bfe_u32 v6, v24, 3, 4
	v_min_u32_e32 v0, 32, v0
	v_subrev_u32_e32 v15, 28, v0
	v_sub_u32_e32 v0, 29, v0
	v_cmp_eq_u32_e64 s[0:1], 0, v6
	s_nop 1
	v_cndmask_b32_e64 v0, v6, v0, s[0:1]
	v_cndmask_b32_e64 v6, 0, v15, s[0:1]
	v_lshlrev_b64 v[26:27], v6, v[24:25]
	v_lshlrev_b32_e32 v15, 8, v24
	v_lshl_add_u32 v0, v0, 10, v36
	v_lshlrev_b32_e32 v6, 7, v26
	v_and_or_b32 v0, v15, s23, v0
	v_and_or_b32 v0, v6, s24, v0
	v_cvt_f32_f16_e32 v30, v0
.LBB288_575:                            ;   in Loop: Header=BB288_434 Depth=1
	s_or_b64 exec, exec, s[6:7]
	v_lshrrev_b16_e32 v0, 8, v24
	v_cmp_lt_i16_e64 s[0:1], s15, v0
	s_mov_b64 s[6:7], 0
                                        ; implicit-def: $sgpr28
	s_and_saveexec_b64 s[8:9], s[0:1]
	s_xor_b64 s[8:9], exec, s[8:9]
	s_cbranch_execnz .LBB288_771
; %bb.576:                              ;   in Loop: Header=BB288_434 Depth=1
	s_or_saveexec_b64 s[8:9], s[8:9]
	v_mov_b32_e32 v34, s28
	s_xor_b64 exec, exec, s[8:9]
	s_cbranch_execnz .LBB288_774
.LBB288_577:                            ;   in Loop: Header=BB288_434 Depth=1
	s_or_b64 exec, exec, s[8:9]
	s_and_saveexec_b64 s[8:9], s[6:7]
	s_cbranch_execz .LBB288_579
.LBB288_578:                            ;   in Loop: Header=BB288_434 Depth=1
	v_and_b32_e32 v6, 7, v0
	v_ffbh_u32_e32 v22, v6
	v_bfe_u32 v15, v0, 3, 4
	v_min_u32_e32 v22, 32, v22
	v_subrev_u32_e32 v23, 28, v22
	v_sub_u32_e32 v22, 29, v22
	v_cmp_eq_u32_e64 s[0:1], 0, v15
	v_lshlrev_b64 v[26:27], v23, v[0:1]
	v_and_b32_e32 v23, 7, v26
	v_cndmask_b32_e64 v15, v15, v22, s[0:1]
	v_lshlrev_b32_e32 v0, 8, v0
	v_lshl_add_u32 v15, v15, 10, v36
	v_cndmask_b32_e64 v6, v6, v23, s[0:1]
	v_and_or_b32 v0, v0, s23, v15
	v_lshl_or_b32 v0, v6, 7, v0
	v_cvt_f32_f16_e32 v34, v0
.LBB288_579:                            ;   in Loop: Header=BB288_434 Depth=1
	s_or_b64 exec, exec, s[8:9]
	v_lshrrev_b32_e32 v0, 16, v24
	v_cmp_gt_i16_sdwa s[6:7], v0, s15 src0_sel:BYTE_0 src1_sel:DWORD
	s_mov_b64 s[0:1], 0
                                        ; implicit-def: $sgpr20
	s_and_saveexec_b64 s[8:9], s[6:7]
	s_xor_b64 s[6:7], exec, s[8:9]
	s_cbranch_execnz .LBB288_775
; %bb.580:                              ;   in Loop: Header=BB288_434 Depth=1
	s_or_saveexec_b64 s[6:7], s[6:7]
	v_mov_b32_e32 v31, s20
	s_xor_b64 exec, exec, s[6:7]
	s_cbranch_execnz .LBB288_778
.LBB288_581:                            ;   in Loop: Header=BB288_434 Depth=1
	s_or_b64 exec, exec, s[6:7]
	s_and_saveexec_b64 s[6:7], s[0:1]
	s_cbranch_execz .LBB288_583
.LBB288_582:                            ;   in Loop: Header=BB288_434 Depth=1
	v_bfe_u32 v6, v24, 16, 3
	v_ffbh_u32_e32 v22, v6
	v_bfe_u32 v15, v24, 19, 4
	v_min_u32_e32 v22, 32, v22
	v_subrev_u32_e32 v23, 28, v22
	v_sub_u32_e32 v22, 29, v22
	v_cmp_eq_u32_e64 s[0:1], 0, v15
	v_lshlrev_b64 v[26:27], v23, v[0:1]
	v_and_b32_e32 v23, 7, v26
	v_cndmask_b32_e64 v15, v15, v22, s[0:1]
	v_lshlrev_b32_e32 v0, 8, v0
	v_lshl_add_u32 v15, v15, 10, v36
	v_cndmask_b32_e64 v6, v6, v23, s[0:1]
	v_and_or_b32 v0, v0, s23, v15
	v_lshl_or_b32 v0, v6, 7, v0
	v_cvt_f32_f16_e32 v31, v0
.LBB288_583:                            ;   in Loop: Header=BB288_434 Depth=1
	s_or_b64 exec, exec, s[6:7]
	v_lshrrev_b32_e32 v0, 24, v24
	v_cmp_lt_i16_e64 s[0:1], s15, v0
	s_mov_b64 s[6:7], 0
                                        ; implicit-def: $sgpr28
	s_and_saveexec_b64 s[8:9], s[0:1]
	s_xor_b64 s[8:9], exec, s[8:9]
	s_cbranch_execnz .LBB288_779
; %bb.584:                              ;   in Loop: Header=BB288_434 Depth=1
	s_or_saveexec_b64 s[8:9], s[8:9]
	v_mov_b32_e32 v35, s28
	s_xor_b64 exec, exec, s[8:9]
	s_cbranch_execnz .LBB288_782
.LBB288_585:                            ;   in Loop: Header=BB288_434 Depth=1
	s_or_b64 exec, exec, s[8:9]
	s_and_saveexec_b64 s[8:9], s[6:7]
	s_cbranch_execz .LBB288_587
.LBB288_586:                            ;   in Loop: Header=BB288_434 Depth=1
	v_bfe_u32 v6, v24, 24, 3
	v_ffbh_u32_e32 v22, v6
	v_bfe_u32 v15, v24, 27, 4
	v_min_u32_e32 v22, 32, v22
	v_subrev_u32_e32 v23, 28, v22
	v_sub_u32_e32 v22, 29, v22
	v_cmp_eq_u32_e64 s[0:1], 0, v15
	v_lshlrev_b64 v[26:27], v23, v[0:1]
	v_and_b32_e32 v23, 7, v26
	v_cndmask_b32_e64 v15, v15, v22, s[0:1]
	v_lshlrev_b32_e32 v0, 8, v0
	v_lshl_add_u32 v15, v15, 10, v36
	v_cndmask_b32_e64 v6, v6, v23, s[0:1]
	v_and_or_b32 v0, v0, s23, v15
	v_lshl_or_b32 v0, v6, 7, v0
	v_cvt_f32_f16_e32 v35, v0
.LBB288_587:                            ;   in Loop: Header=BB288_434 Depth=1
	s_or_b64 exec, exec, s[8:9]
	v_cmp_gt_i16_sdwa s[6:7], v25, s15 src0_sel:BYTE_0 src1_sel:DWORD
	s_mov_b64 s[0:1], 0
                                        ; implicit-def: $sgpr20
	s_and_saveexec_b64 s[8:9], s[6:7]
	s_xor_b64 s[6:7], exec, s[8:9]
	s_cbranch_execnz .LBB288_783
; %bb.588:                              ;   in Loop: Header=BB288_434 Depth=1
	s_or_saveexec_b64 s[6:7], s[6:7]
	v_mov_b32_e32 v6, s20
	s_xor_b64 exec, exec, s[6:7]
	s_cbranch_execnz .LBB288_786
.LBB288_589:                            ;   in Loop: Header=BB288_434 Depth=1
	s_or_b64 exec, exec, s[6:7]
	v_mov_b32_e32 v0, v25
	s_and_saveexec_b64 s[6:7], s[0:1]
	s_cbranch_execz .LBB288_591
.LBB288_590:                            ;   in Loop: Header=BB288_434 Depth=1
	v_and_b32_e32 v6, 7, v25
	v_ffbh_u32_e32 v6, v6
	v_bfe_u32 v15, v25, 3, 4
	v_min_u32_e32 v6, 32, v6
	v_subrev_u32_e32 v22, 28, v6
	v_sub_u32_e32 v6, 29, v6
	v_cmp_eq_u32_e64 s[0:1], 0, v15
	s_nop 1
	v_cndmask_b32_e64 v6, v15, v6, s[0:1]
	v_cndmask_b32_e64 v15, 0, v22, s[0:1]
	v_lshlrev_b64 v[26:27], v15, v[0:1]
	v_lshlrev_b32_e32 v22, 8, v25
	v_lshl_add_u32 v6, v6, 10, v36
	v_lshlrev_b32_e32 v15, 7, v26
	v_and_or_b32 v6, v22, s23, v6
	v_and_or_b32 v6, v15, s24, v6
	v_cvt_f32_f16_e32 v6, v6
.LBB288_591:                            ;   in Loop: Header=BB288_434 Depth=1
	s_or_b64 exec, exec, s[6:7]
	v_lshrrev_b16_e32 v0, 8, v0
	v_cmp_lt_i16_e64 s[0:1], s15, v0
	s_mov_b64 s[6:7], 0
                                        ; implicit-def: $sgpr28
	s_and_saveexec_b64 s[8:9], s[0:1]
	s_xor_b64 s[8:9], exec, s[8:9]
	s_cbranch_execnz .LBB288_787
; %bb.592:                              ;   in Loop: Header=BB288_434 Depth=1
	s_or_saveexec_b64 s[8:9], s[8:9]
	v_mov_b32_e32 v15, s28
	s_xor_b64 exec, exec, s[8:9]
	s_cbranch_execnz .LBB288_790
.LBB288_593:                            ;   in Loop: Header=BB288_434 Depth=1
	s_or_b64 exec, exec, s[8:9]
	s_and_saveexec_b64 s[8:9], s[6:7]
	s_cbranch_execz .LBB288_595
.LBB288_594:                            ;   in Loop: Header=BB288_434 Depth=1
	v_and_b32_e32 v15, 7, v0
	v_ffbh_u32_e32 v23, v15
	v_bfe_u32 v22, v0, 3, 4
	v_min_u32_e32 v23, 32, v23
	v_subrev_u32_e32 v24, 28, v23
	v_sub_u32_e32 v23, 29, v23
	v_cmp_eq_u32_e64 s[0:1], 0, v22
	v_lshlrev_b64 v[26:27], v24, v[0:1]
	v_and_b32_e32 v24, 7, v26
	v_cndmask_b32_e64 v22, v22, v23, s[0:1]
	v_lshlrev_b32_e32 v0, 8, v0
	v_lshl_add_u32 v22, v22, 10, v36
	v_cndmask_b32_e64 v15, v15, v24, s[0:1]
	v_and_or_b32 v0, v0, s23, v22
	v_lshl_or_b32 v0, v15, 7, v0
	v_cvt_f32_f16_e32 v15, v0
.LBB288_595:                            ;   in Loop: Header=BB288_434 Depth=1
	s_or_b64 exec, exec, s[8:9]
	v_lshrrev_b32_e32 v0, 16, v25
	v_cmp_gt_i16_sdwa s[6:7], v0, s15 src0_sel:BYTE_0 src1_sel:DWORD
	s_mov_b64 s[0:1], 0
                                        ; implicit-def: $sgpr20
	s_and_saveexec_b64 s[8:9], s[6:7]
	s_xor_b64 s[6:7], exec, s[8:9]
	s_cbranch_execnz .LBB288_791
; %bb.596:                              ;   in Loop: Header=BB288_434 Depth=1
	s_or_saveexec_b64 s[6:7], s[6:7]
	v_mov_b32_e32 v22, s20
	s_xor_b64 exec, exec, s[6:7]
	s_cbranch_execnz .LBB288_794
.LBB288_597:                            ;   in Loop: Header=BB288_434 Depth=1
	s_or_b64 exec, exec, s[6:7]
	s_and_saveexec_b64 s[6:7], s[0:1]
	s_cbranch_execz .LBB288_599
.LBB288_598:                            ;   in Loop: Header=BB288_434 Depth=1
	v_bfe_u32 v22, v25, 16, 3
	v_ffbh_u32_e32 v24, v22
	v_bfe_u32 v23, v25, 19, 4
	v_min_u32_e32 v24, 32, v24
	v_subrev_u32_e32 v26, 28, v24
	v_sub_u32_e32 v24, 29, v24
	v_cmp_eq_u32_e64 s[0:1], 0, v23
	v_lshlrev_b64 v[26:27], v26, v[0:1]
	v_and_b32_e32 v26, 7, v26
	v_cndmask_b32_e64 v23, v23, v24, s[0:1]
	v_lshlrev_b32_e32 v0, 8, v0
	v_lshl_add_u32 v23, v23, 10, v36
	v_cndmask_b32_e64 v22, v22, v26, s[0:1]
	v_and_or_b32 v0, v0, s23, v23
	v_lshl_or_b32 v0, v22, 7, v0
	v_cvt_f32_f16_e32 v22, v0
.LBB288_599:                            ;   in Loop: Header=BB288_434 Depth=1
	s_or_b64 exec, exec, s[6:7]
	v_lshrrev_b32_e32 v0, 24, v25
	v_cmp_lt_i16_e64 s[0:1], s15, v0
	s_mov_b64 s[6:7], 0
                                        ; implicit-def: $sgpr28
	s_and_saveexec_b64 s[8:9], s[0:1]
	s_xor_b64 s[8:9], exec, s[8:9]
	s_cbranch_execnz .LBB288_795
; %bb.600:                              ;   in Loop: Header=BB288_434 Depth=1
	s_or_saveexec_b64 s[8:9], s[8:9]
	v_mov_b32_e32 v26, s28
	s_xor_b64 exec, exec, s[8:9]
	s_cbranch_execnz .LBB288_798
.LBB288_601:                            ;   in Loop: Header=BB288_434 Depth=1
	s_or_b64 exec, exec, s[8:9]
	s_and_saveexec_b64 s[8:9], s[6:7]
	s_cbranch_execz .LBB288_603
.LBB288_602:                            ;   in Loop: Header=BB288_434 Depth=1
	v_bfe_u32 v23, v25, 24, 3
	v_ffbh_u32_e32 v24, v23
	v_min_u32_e32 v27, 32, v24
	v_subrev_u32_e32 v24, 28, v27
	v_bfe_u32 v26, v25, 27, 4
	v_lshlrev_b64 v[24:25], v24, v[0:1]
	v_sub_u32_e32 v25, 29, v27
	v_cmp_eq_u32_e64 s[0:1], 0, v26
	v_and_b32_e32 v24, 7, v24
	v_lshlrev_b32_e32 v0, 8, v0
	v_cndmask_b32_e64 v25, v26, v25, s[0:1]
	v_cndmask_b32_e64 v23, v23, v24, s[0:1]
	v_lshl_add_u32 v24, v25, 10, v36
	v_and_or_b32 v0, v0, s23, v24
	v_lshl_or_b32 v0, v23, 7, v0
	v_cvt_f32_f16_e32 v26, v0
.LBB288_603:                            ;   in Loop: Header=BB288_434 Depth=1
	s_or_b64 exec, exec, s[8:9]
	s_waitcnt vmcnt(0) lgkmcnt(0)
	v_pk_mul_f32 v[24:25], v[14:15], v[34:35] op_sel_hi:[0,1]
	v_pk_mul_f32 v[30:31], v[14:15], v[30:31] op_sel_hi:[0,1]
	v_cvt_f16_f32_e32 v0, v25
	v_cvt_f16_f32_e32 v23, v24
	;; [unrolled: 1-line block ×4, first 2 shown]
	v_fma_mixlo_f16 v15, v14, v15, 0
	v_lshlrev_b32_e32 v15, 16, v15
	v_fma_mixlo_f16 v6, v14, v6, 0
	v_or_b32_sdwa v6, v15, v6 dst_sel:DWORD dst_unused:UNUSED_PAD src0_sel:DWORD src1_sel:WORD_0
	v_fma_mixlo_f16 v15, v14, v22, 0
	v_fma_mixlo_f16 v14, v14, v26, 0
	v_pack_b32_f16 v23, v23, v0
	v_pack_b32_f16 v24, v25, v24
	v_lshlrev_b32_e32 v14, 16, v14
	v_perm_b32 v0, v24, v23, s25
	v_perm_b32 v24, v24, v23, s26
	v_or_b32_sdwa v14, v14, v15 dst_sel:DWORD dst_unused:UNUSED_PAD src0_sel:DWORD src1_sel:WORD_0
	s_and_saveexec_b64 s[6:7], vcc
	s_cbranch_execz .LBB288_605
; %bb.604:                              ;   in Loop: Header=BB288_434 Depth=1
	v_lshrrev_b32_e32 v22, 16, v24
	v_cmp_lt_i32_e64 s[0:1], v47, v3
	v_accvgpr_read_b32 v26, a8
	v_lshrrev_b32_e32 v14, 16, v14
	v_cndmask_b32_e64 v22, 0, v22, s[0:1]
	v_cmp_lt_i32_e64 s[0:1], v42, v26
	s_nop 1
	v_cndmask_b32_e64 v23, 0, v24, s[0:1]
	v_perm_b32 v24, v22, v23, s27
	v_lshrrev_b32_e32 v22, 16, v0
	v_cmp_lt_i32_e64 s[0:1], v46, v3
	s_nop 1
	v_cndmask_b32_e64 v22, 0, v22, s[0:1]
	v_cmp_lt_i32_e64 s[0:1], v45, v26
	s_nop 1
	v_cndmask_b32_e64 v0, 0, v0, s[0:1]
	v_perm_b32 v0, v22, v0, s27
	v_lshrrev_b32_e32 v22, 16, v6
	v_cmp_lt_i32_e64 s[0:1], v44, v3
	s_nop 1
	v_cndmask_b32_e64 v22, 0, v22, s[0:1]
	v_cmp_lt_i32_e64 s[0:1], v43, v26
	s_nop 1
	v_cndmask_b32_e64 v6, 0, v6, s[0:1]
	v_cmp_lt_i32_e64 s[0:1], v39, v3
	v_perm_b32 v6, v22, v6, s27
	s_nop 0
	v_cndmask_b32_e64 v14, 0, v14, s[0:1]
	v_cmp_lt_i32_e64 s[0:1], v37, v26
	s_nop 1
	v_cndmask_b32_e64 v15, 0, v15, s[0:1]
	v_perm_b32 v14, v14, v15, s27
.LBB288_605:                            ;   in Loop: Header=BB288_434 Depth=1
	s_or_b64 exec, exec, s[6:7]
	;;#ASMSTART
	v_pk_mul_f16 v15, v59, v24;

	;;#ASMEND
	;;#ASMSTART
	v_pk_mul_f16 v0, v58, v0;

	;;#ASMEND
	;; [unrolled: 4-line block ×4, first 2 shown]
	s_mov_b64 s[0:1], 0
	;;#ASMSTART
	v_pk_add_f16 v0, v15, v0;

	;;#ASMEND
                                        ; implicit-def: $sgpr20
	s_nop 0
	;;#ASMSTART
	v_pk_add_f16 v0, v0, v6;

	;;#ASMEND
	s_nop 0
	;;#ASMSTART
	v_pk_add_f16 v0, v0, v14;

	;;#ASMEND
	s_nop 0
	v_lshrrev_b32_e32 v14, 16, v0
	v_and_b32_e32 v0, 0xffff, v0
	;;#ASMSTART
	v_cvt_f32_f16 v6, v0;
	;;#ASMEND
	;;#ASMSTART
	v_cvt_f32_f16 v22, v14;
	;;#ASMEND
	flat_load_dwordx2 v[14:15], v[12:13] offset:2560
	v_accvgpr_read_b32 v13, a5
	v_accvgpr_read_b32 v12, a4
	flat_load_dword v12, v[12:13]
	s_waitcnt vmcnt(0) lgkmcnt(0)
	v_cmp_gt_i16_sdwa s[6:7], v14, s15 src0_sel:BYTE_0 src1_sel:DWORD
	s_and_saveexec_b64 s[8:9], s[6:7]
	s_xor_b64 s[6:7], exec, s[8:9]
	s_cbranch_execnz .LBB288_799
; %bb.606:                              ;   in Loop: Header=BB288_434 Depth=1
	s_or_saveexec_b64 s[6:7], s[6:7]
	v_mov_b32_e32 v24, s20
	s_xor_b64 exec, exec, s[6:7]
	s_cbranch_execnz .LBB288_802
.LBB288_607:                            ;   in Loop: Header=BB288_434 Depth=1
	s_or_b64 exec, exec, s[6:7]
	s_and_saveexec_b64 s[6:7], s[0:1]
	s_cbranch_execz .LBB288_609
.LBB288_608:                            ;   in Loop: Header=BB288_434 Depth=1
	v_and_b32_e32 v0, 7, v14
	v_ffbh_u32_e32 v0, v0
	v_bfe_u32 v13, v14, 3, 4
	v_min_u32_e32 v0, 32, v0
	v_subrev_u32_e32 v23, 28, v0
	v_sub_u32_e32 v0, 29, v0
	v_cmp_eq_u32_e64 s[0:1], 0, v13
	s_nop 1
	v_cndmask_b32_e64 v0, v13, v0, s[0:1]
	v_cndmask_b32_e64 v13, 0, v23, s[0:1]
	v_lshlrev_b64 v[24:25], v13, v[14:15]
	v_lshlrev_b32_e32 v23, 8, v14
	v_lshl_add_u32 v0, v0, 10, v36
	v_lshlrev_b32_e32 v13, 7, v24
	v_and_or_b32 v0, v23, s23, v0
	v_and_or_b32 v0, v13, s24, v0
	v_cvt_f32_f16_e32 v24, v0
.LBB288_609:                            ;   in Loop: Header=BB288_434 Depth=1
	s_or_b64 exec, exec, s[6:7]
	v_lshrrev_b16_e32 v0, 8, v14
	v_cmp_lt_i16_e64 s[0:1], s15, v0
	s_mov_b64 s[6:7], 0
                                        ; implicit-def: $sgpr28
	s_and_saveexec_b64 s[8:9], s[0:1]
	s_xor_b64 s[8:9], exec, s[8:9]
	s_cbranch_execnz .LBB288_803
; %bb.610:                              ;   in Loop: Header=BB288_434 Depth=1
	s_or_saveexec_b64 s[8:9], s[8:9]
	v_mov_b32_e32 v30, s28
	s_xor_b64 exec, exec, s[8:9]
	s_cbranch_execnz .LBB288_806
.LBB288_611:                            ;   in Loop: Header=BB288_434 Depth=1
	s_or_b64 exec, exec, s[8:9]
	s_and_saveexec_b64 s[8:9], s[6:7]
	s_cbranch_execz .LBB288_613
.LBB288_612:                            ;   in Loop: Header=BB288_434 Depth=1
	v_and_b32_e32 v13, 7, v0
	v_ffbh_u32_e32 v25, v13
	v_bfe_u32 v23, v0, 3, 4
	v_min_u32_e32 v25, 32, v25
	v_subrev_u32_e32 v26, 28, v25
	v_sub_u32_e32 v25, 29, v25
	v_cmp_eq_u32_e64 s[0:1], 0, v23
	v_lshlrev_b64 v[26:27], v26, v[0:1]
	v_and_b32_e32 v26, 7, v26
	v_cndmask_b32_e64 v23, v23, v25, s[0:1]
	v_lshlrev_b32_e32 v0, 8, v0
	v_lshl_add_u32 v23, v23, 10, v36
	v_cndmask_b32_e64 v13, v13, v26, s[0:1]
	v_and_or_b32 v0, v0, s23, v23
	v_lshl_or_b32 v0, v13, 7, v0
	v_cvt_f32_f16_e32 v30, v0
.LBB288_613:                            ;   in Loop: Header=BB288_434 Depth=1
	s_or_b64 exec, exec, s[8:9]
	v_lshrrev_b32_e32 v0, 16, v14
	v_cmp_gt_i16_sdwa s[6:7], v0, s15 src0_sel:BYTE_0 src1_sel:DWORD
	s_mov_b64 s[0:1], 0
                                        ; implicit-def: $sgpr20
	s_and_saveexec_b64 s[8:9], s[6:7]
	s_xor_b64 s[6:7], exec, s[8:9]
	s_cbranch_execnz .LBB288_807
; %bb.614:                              ;   in Loop: Header=BB288_434 Depth=1
	s_or_saveexec_b64 s[6:7], s[6:7]
	v_mov_b32_e32 v25, s20
	s_xor_b64 exec, exec, s[6:7]
	s_cbranch_execnz .LBB288_810
.LBB288_615:                            ;   in Loop: Header=BB288_434 Depth=1
	s_or_b64 exec, exec, s[6:7]
	s_and_saveexec_b64 s[6:7], s[0:1]
	s_cbranch_execz .LBB288_617
.LBB288_616:                            ;   in Loop: Header=BB288_434 Depth=1
	v_bfe_u32 v13, v14, 16, 3
	v_ffbh_u32_e32 v25, v13
	v_bfe_u32 v23, v14, 19, 4
	v_min_u32_e32 v25, 32, v25
	v_subrev_u32_e32 v26, 28, v25
	v_sub_u32_e32 v25, 29, v25
	v_cmp_eq_u32_e64 s[0:1], 0, v23
	v_lshlrev_b64 v[26:27], v26, v[0:1]
	v_and_b32_e32 v26, 7, v26
	v_cndmask_b32_e64 v23, v23, v25, s[0:1]
	v_lshlrev_b32_e32 v0, 8, v0
	v_lshl_add_u32 v23, v23, 10, v36
	v_cndmask_b32_e64 v13, v13, v26, s[0:1]
	v_and_or_b32 v0, v0, s23, v23
	v_lshl_or_b32 v0, v13, 7, v0
	v_cvt_f32_f16_e32 v25, v0
.LBB288_617:                            ;   in Loop: Header=BB288_434 Depth=1
	s_or_b64 exec, exec, s[6:7]
	v_lshrrev_b32_e32 v0, 24, v14
	v_cmp_lt_i16_e64 s[0:1], s15, v0
	s_mov_b64 s[6:7], 0
                                        ; implicit-def: $sgpr28
	s_and_saveexec_b64 s[8:9], s[0:1]
	s_xor_b64 s[8:9], exec, s[8:9]
	s_cbranch_execnz .LBB288_811
; %bb.618:                              ;   in Loop: Header=BB288_434 Depth=1
	s_or_saveexec_b64 s[8:9], s[8:9]
	v_mov_b32_e32 v31, s28
	s_xor_b64 exec, exec, s[8:9]
	s_cbranch_execnz .LBB288_814
.LBB288_619:                            ;   in Loop: Header=BB288_434 Depth=1
	s_or_b64 exec, exec, s[8:9]
	s_and_saveexec_b64 s[8:9], s[6:7]
	s_cbranch_execz .LBB288_621
.LBB288_620:                            ;   in Loop: Header=BB288_434 Depth=1
	v_bfe_u32 v13, v14, 24, 3
	v_ffbh_u32_e32 v23, v13
	v_bfe_u32 v14, v14, 27, 4
	v_min_u32_e32 v23, 32, v23
	v_subrev_u32_e32 v26, 28, v23
	v_sub_u32_e32 v23, 29, v23
	v_cmp_eq_u32_e64 s[0:1], 0, v14
	v_lshlrev_b64 v[26:27], v26, v[0:1]
	v_and_b32_e32 v26, 7, v26
	v_cndmask_b32_e64 v14, v14, v23, s[0:1]
	v_lshlrev_b32_e32 v0, 8, v0
	v_lshl_add_u32 v14, v14, 10, v36
	v_cndmask_b32_e64 v13, v13, v26, s[0:1]
	v_and_or_b32 v0, v0, s23, v14
	v_lshl_or_b32 v0, v13, 7, v0
	v_cvt_f32_f16_e32 v31, v0
.LBB288_621:                            ;   in Loop: Header=BB288_434 Depth=1
	s_or_b64 exec, exec, s[8:9]
	v_cmp_gt_i16_sdwa s[6:7], v15, s15 src0_sel:BYTE_0 src1_sel:DWORD
	s_mov_b64 s[0:1], 0
                                        ; implicit-def: $sgpr20
	s_and_saveexec_b64 s[8:9], s[6:7]
	s_xor_b64 s[6:7], exec, s[8:9]
	s_cbranch_execnz .LBB288_815
; %bb.622:                              ;   in Loop: Header=BB288_434 Depth=1
	s_or_saveexec_b64 s[6:7], s[6:7]
	v_mov_b32_e32 v13, s20
	s_xor_b64 exec, exec, s[6:7]
	s_cbranch_execnz .LBB288_818
.LBB288_623:                            ;   in Loop: Header=BB288_434 Depth=1
	s_or_b64 exec, exec, s[6:7]
	v_mov_b32_e32 v0, v15
	s_and_saveexec_b64 s[6:7], s[0:1]
	s_cbranch_execz .LBB288_625
.LBB288_624:                            ;   in Loop: Header=BB288_434 Depth=1
	v_and_b32_e32 v13, 7, v15
	v_ffbh_u32_e32 v13, v13
	v_bfe_u32 v14, v15, 3, 4
	v_min_u32_e32 v13, 32, v13
	v_subrev_u32_e32 v23, 28, v13
	v_sub_u32_e32 v13, 29, v13
	v_cmp_eq_u32_e64 s[0:1], 0, v14
	s_nop 1
	v_cndmask_b32_e64 v13, v14, v13, s[0:1]
	v_cndmask_b32_e64 v14, 0, v23, s[0:1]
	v_lshlrev_b64 v[26:27], v14, v[0:1]
	v_lshlrev_b32_e32 v23, 8, v15
	v_lshl_add_u32 v13, v13, 10, v36
	v_lshlrev_b32_e32 v14, 7, v26
	v_and_or_b32 v13, v23, s23, v13
	v_and_or_b32 v13, v14, s24, v13
	v_cvt_f32_f16_e32 v13, v13
.LBB288_625:                            ;   in Loop: Header=BB288_434 Depth=1
	s_or_b64 exec, exec, s[6:7]
	v_lshrrev_b16_e32 v0, 8, v0
	v_cmp_lt_i16_e64 s[0:1], s15, v0
	s_mov_b64 s[6:7], 0
                                        ; implicit-def: $sgpr28
	s_and_saveexec_b64 s[8:9], s[0:1]
	s_xor_b64 s[8:9], exec, s[8:9]
	s_cbranch_execnz .LBB288_819
; %bb.626:                              ;   in Loop: Header=BB288_434 Depth=1
	s_or_saveexec_b64 s[8:9], s[8:9]
	v_mov_b32_e32 v14, s28
	s_xor_b64 exec, exec, s[8:9]
	s_cbranch_execnz .LBB288_822
.LBB288_627:                            ;   in Loop: Header=BB288_434 Depth=1
	s_or_b64 exec, exec, s[8:9]
	s_and_saveexec_b64 s[8:9], s[6:7]
	s_cbranch_execz .LBB288_629
.LBB288_628:                            ;   in Loop: Header=BB288_434 Depth=1
	v_and_b32_e32 v14, 7, v0
	v_ffbh_u32_e32 v26, v14
	v_min_u32_e32 v28, 32, v26
	v_subrev_u32_e32 v26, 28, v28
	v_bfe_u32 v23, v0, 3, 4
	v_lshlrev_b64 v[26:27], v26, v[0:1]
	v_sub_u32_e32 v27, 29, v28
	v_cmp_eq_u32_e64 s[0:1], 0, v23
	v_and_b32_e32 v26, 7, v26
	v_lshlrev_b32_e32 v0, 8, v0
	v_cndmask_b32_e64 v23, v23, v27, s[0:1]
	v_lshl_add_u32 v23, v23, 10, v36
	v_cndmask_b32_e64 v14, v14, v26, s[0:1]
	v_and_or_b32 v0, v0, s23, v23
	v_lshl_or_b32 v0, v14, 7, v0
	v_cvt_f32_f16_e32 v14, v0
.LBB288_629:                            ;   in Loop: Header=BB288_434 Depth=1
	s_or_b64 exec, exec, s[8:9]
	v_lshrrev_b32_e32 v0, 16, v15
	v_cmp_gt_i16_sdwa s[6:7], v0, s15 src0_sel:BYTE_0 src1_sel:DWORD
	s_mov_b64 s[0:1], 0
                                        ; implicit-def: $sgpr20
	s_and_saveexec_b64 s[8:9], s[6:7]
	s_xor_b64 s[6:7], exec, s[8:9]
	s_cbranch_execnz .LBB288_823
; %bb.630:                              ;   in Loop: Header=BB288_434 Depth=1
	s_or_saveexec_b64 s[6:7], s[6:7]
	v_mov_b32_e32 v26, s20
	s_xor_b64 exec, exec, s[6:7]
	s_cbranch_execnz .LBB288_826
.LBB288_631:                            ;   in Loop: Header=BB288_434 Depth=1
	s_or_b64 exec, exec, s[6:7]
	s_and_saveexec_b64 s[6:7], s[0:1]
	s_cbranch_execz .LBB288_633
.LBB288_632:                            ;   in Loop: Header=BB288_434 Depth=1
	v_bfe_u32 v23, v15, 16, 3
	v_ffbh_u32_e32 v26, v23
	v_min_u32_e32 v32, 32, v26
	v_subrev_u32_e32 v26, 28, v32
	v_bfe_u32 v28, v15, 19, 4
	v_lshlrev_b64 v[26:27], v26, v[0:1]
	v_sub_u32_e32 v27, 29, v32
	v_cmp_eq_u32_e64 s[0:1], 0, v28
	v_and_b32_e32 v26, 7, v26
	v_lshlrev_b32_e32 v0, 8, v0
	v_cndmask_b32_e64 v27, v28, v27, s[0:1]
	v_cndmask_b32_e64 v23, v23, v26, s[0:1]
	v_lshl_add_u32 v26, v27, 10, v36
	v_and_or_b32 v0, v0, s23, v26
	v_lshl_or_b32 v0, v23, 7, v0
	v_cvt_f32_f16_e32 v26, v0
.LBB288_633:                            ;   in Loop: Header=BB288_434 Depth=1
	s_or_b64 exec, exec, s[6:7]
	v_lshrrev_b32_e32 v0, 24, v15
	v_cmp_lt_i16_e64 s[0:1], s15, v0
	s_mov_b64 s[6:7], 0
                                        ; implicit-def: $sgpr28
	s_and_saveexec_b64 s[8:9], s[0:1]
	s_xor_b64 s[8:9], exec, s[8:9]
	s_cbranch_execnz .LBB288_827
; %bb.634:                              ;   in Loop: Header=BB288_434 Depth=1
	s_or_saveexec_b64 s[8:9], s[8:9]
	v_mov_b32_e32 v27, s28
	s_xor_b64 exec, exec, s[8:9]
	s_cbranch_execnz .LBB288_830
.LBB288_635:                            ;   in Loop: Header=BB288_434 Depth=1
	s_or_b64 exec, exec, s[8:9]
	s_and_saveexec_b64 s[8:9], s[6:7]
	s_cbranch_execz .LBB288_637
.LBB288_636:                            ;   in Loop: Header=BB288_434 Depth=1
	v_bfe_u32 v23, v15, 24, 3
	v_ffbh_u32_e32 v27, v23
	v_bfe_u32 v15, v15, 27, 4
	v_min_u32_e32 v27, 32, v27
	v_subrev_u32_e32 v28, 28, v27
	v_sub_u32_e32 v27, 29, v27
	v_cmp_eq_u32_e64 s[0:1], 0, v15
	v_lshlrev_b64 v[34:35], v28, v[0:1]
	v_and_b32_e32 v28, 7, v34
	v_cndmask_b32_e64 v15, v15, v27, s[0:1]
	v_lshlrev_b32_e32 v0, 8, v0
	v_lshl_add_u32 v15, v15, 10, v36
	v_cndmask_b32_e64 v23, v23, v28, s[0:1]
	v_and_or_b32 v0, v0, s23, v15
	v_lshl_or_b32 v0, v23, 7, v0
	v_cvt_f32_f16_e32 v27, v0
.LBB288_637:                            ;   in Loop: Header=BB288_434 Depth=1
	s_or_b64 exec, exec, s[8:9]
	v_pk_mul_f32 v[30:31], v[12:13], v[30:31] op_sel_hi:[0,1]
	v_pk_mul_f32 v[24:25], v[12:13], v[24:25] op_sel_hi:[0,1]
	v_cvt_f16_f32_e32 v0, v31
	v_cvt_f16_f32_e32 v15, v30
	v_cvt_f16_f32_e32 v23, v25
	v_cvt_f16_f32_e32 v24, v24
	v_fma_mixlo_f16 v14, v12, v14, 0
	v_lshlrev_b32_e32 v14, 16, v14
	v_fma_mixlo_f16 v13, v12, v13, 0
	v_or_b32_sdwa v13, v14, v13 dst_sel:DWORD dst_unused:UNUSED_PAD src0_sel:DWORD src1_sel:WORD_0
	v_fma_mixlo_f16 v14, v12, v26, 0
	v_fma_mixlo_f16 v12, v12, v27, 0
	v_pack_b32_f16 v15, v15, v0
	v_pack_b32_f16 v23, v24, v23
	v_lshlrev_b32_e32 v12, 16, v12
	v_perm_b32 v0, v23, v15, s25
	v_perm_b32 v15, v23, v15, s26
	v_or_b32_sdwa v12, v12, v14 dst_sel:DWORD dst_unused:UNUSED_PAD src0_sel:DWORD src1_sel:WORD_0
	s_and_saveexec_b64 s[0:1], vcc
	s_cbranch_execz .LBB288_432
; %bb.638:                              ;   in Loop: Header=BB288_434 Depth=1
	v_lshrrev_b32_e32 v23, 16, v15
	v_cmp_lt_i32_e32 vcc, v47, v3
	v_accvgpr_read_b32 v24, a8
	v_lshrrev_b32_e32 v12, 16, v12
	v_cndmask_b32_e32 v23, 0, v23, vcc
	v_cmp_lt_i32_e32 vcc, v42, v24
	s_nop 1
	v_cndmask_b32_e32 v15, 0, v15, vcc
	v_perm_b32 v15, v23, v15, s27
	v_lshrrev_b32_e32 v23, 16, v0
	v_cmp_lt_i32_e32 vcc, v46, v3
	s_nop 1
	v_cndmask_b32_e32 v23, 0, v23, vcc
	v_cmp_lt_i32_e32 vcc, v45, v24
	s_nop 1
	v_cndmask_b32_e32 v0, 0, v0, vcc
	v_perm_b32 v0, v23, v0, s27
	v_lshrrev_b32_e32 v23, 16, v13
	v_cmp_lt_i32_e32 vcc, v44, v3
	s_nop 1
	v_cndmask_b32_e32 v23, 0, v23, vcc
	v_cmp_lt_i32_e32 vcc, v43, v24
	s_nop 1
	v_cndmask_b32_e32 v13, 0, v13, vcc
	v_cmp_lt_i32_e32 vcc, v39, v3
	v_perm_b32 v13, v23, v13, s27
	s_nop 0
	v_cndmask_b32_e32 v12, 0, v12, vcc
	v_cmp_lt_i32_e32 vcc, v37, v24
	s_nop 1
	v_cndmask_b32_e32 v14, 0, v14, vcc
	v_perm_b32 v12, v12, v14, s27
	s_branch .LBB288_432
.LBB288_639:                            ;   in Loop: Header=BB288_434 Depth=1
	v_cmp_eq_u16_sdwa s[28:29], v24, s22 src0_sel:BYTE_0 src1_sel:DWORD
	s_mov_b64 s[0:1], -1
                                        ; implicit-def: $sgpr20
	s_and_saveexec_b64 s[8:9], s[28:29]
; %bb.640:                              ;   in Loop: Header=BB288_434 Depth=1
	s_mov_b32 s20, 0x7fc02000
	s_xor_b64 s[0:1], exec, -1
; %bb.641:                              ;   in Loop: Header=BB288_434 Depth=1
	s_or_b64 exec, exec, s[8:9]
	s_and_b64 s[0:1], s[0:1], exec
	s_or_saveexec_b64 s[6:7], s[6:7]
	v_mov_b32_e32 v30, s20
	s_xor_b64 exec, exec, s[6:7]
	s_cbranch_execz .LBB288_437
.LBB288_642:                            ;   in Loop: Header=BB288_434 Depth=1
	v_cmp_ne_u16_sdwa s[8:9], v24, v1 src0_sel:BYTE_0 src1_sel:DWORD
	s_andn2_b64 s[0:1], s[0:1], exec
	s_and_b64 s[8:9], s[8:9], exec
	v_mov_b32_e32 v30, 0
	s_or_b64 s[0:1], s[0:1], s[8:9]
	s_or_b64 exec, exec, s[6:7]
	s_and_saveexec_b64 s[6:7], s[0:1]
	s_cbranch_execnz .LBB288_438
	s_branch .LBB288_439
.LBB288_643:                            ;   in Loop: Header=BB288_434 Depth=1
	v_cmp_eq_u16_e32 vcc, s22, v0
	s_mov_b64 s[0:1], -1
                                        ; implicit-def: $sgpr20
	s_and_saveexec_b64 s[8:9], vcc
; %bb.644:                              ;   in Loop: Header=BB288_434 Depth=1
	s_mov_b32 s20, 0x7fc02000
	s_xor_b64 s[0:1], exec, -1
; %bb.645:                              ;   in Loop: Header=BB288_434 Depth=1
	s_or_b64 exec, exec, s[8:9]
	s_and_b64 s[0:1], s[0:1], exec
	s_or_saveexec_b64 s[6:7], s[6:7]
	v_mov_b32_e32 v34, s20
	s_xor_b64 exec, exec, s[6:7]
	s_cbranch_execz .LBB288_441
.LBB288_646:                            ;   in Loop: Header=BB288_434 Depth=1
	v_cmp_ne_u16_e32 vcc, 0, v0
	s_andn2_b64 s[0:1], s[0:1], exec
	s_and_b64 s[8:9], vcc, exec
	v_mov_b32_e32 v34, 0
	s_or_b64 s[0:1], s[0:1], s[8:9]
	s_or_b64 exec, exec, s[6:7]
	s_and_saveexec_b64 s[6:7], s[0:1]
	s_cbranch_execnz .LBB288_442
	s_branch .LBB288_443
.LBB288_647:                            ;   in Loop: Header=BB288_434 Depth=1
	v_cmp_eq_u16_sdwa s[28:29], v0, s22 src0_sel:BYTE_0 src1_sel:DWORD
	s_mov_b64 s[0:1], -1
                                        ; implicit-def: $sgpr20
	s_and_saveexec_b64 s[8:9], s[28:29]
; %bb.648:                              ;   in Loop: Header=BB288_434 Depth=1
	s_mov_b32 s20, 0x7fc02000
	s_xor_b64 s[0:1], exec, -1
; %bb.649:                              ;   in Loop: Header=BB288_434 Depth=1
	s_or_b64 exec, exec, s[8:9]
	s_and_b64 s[0:1], s[0:1], exec
	s_or_saveexec_b64 s[6:7], s[6:7]
	v_mov_b32_e32 v31, s20
	s_xor_b64 exec, exec, s[6:7]
	s_cbranch_execz .LBB288_445
.LBB288_650:                            ;   in Loop: Header=BB288_434 Depth=1
	v_cmp_ne_u16_sdwa s[8:9], v0, v1 src0_sel:BYTE_0 src1_sel:DWORD
	s_andn2_b64 s[0:1], s[0:1], exec
	s_and_b64 s[8:9], s[8:9], exec
	v_mov_b32_e32 v31, 0
	s_or_b64 s[0:1], s[0:1], s[8:9]
	s_or_b64 exec, exec, s[6:7]
	s_and_saveexec_b64 s[6:7], s[0:1]
	s_cbranch_execnz .LBB288_446
	s_branch .LBB288_447
.LBB288_651:                            ;   in Loop: Header=BB288_434 Depth=1
	v_cmp_eq_u16_e32 vcc, s22, v0
	s_mov_b64 s[0:1], -1
                                        ; implicit-def: $sgpr20
	s_and_saveexec_b64 s[8:9], vcc
; %bb.652:                              ;   in Loop: Header=BB288_434 Depth=1
	s_mov_b32 s20, 0x7fc02000
	s_xor_b64 s[0:1], exec, -1
; %bb.653:                              ;   in Loop: Header=BB288_434 Depth=1
	s_or_b64 exec, exec, s[8:9]
	s_and_b64 s[0:1], s[0:1], exec
	s_or_saveexec_b64 s[6:7], s[6:7]
	v_mov_b32_e32 v35, s20
	s_xor_b64 exec, exec, s[6:7]
	s_cbranch_execz .LBB288_449
.LBB288_654:                            ;   in Loop: Header=BB288_434 Depth=1
	v_cmp_ne_u16_e32 vcc, 0, v0
	s_andn2_b64 s[0:1], s[0:1], exec
	s_and_b64 s[8:9], vcc, exec
	v_mov_b32_e32 v35, 0
	s_or_b64 s[0:1], s[0:1], s[8:9]
	s_or_b64 exec, exec, s[6:7]
	s_and_saveexec_b64 s[6:7], s[0:1]
	s_cbranch_execnz .LBB288_450
	s_branch .LBB288_451
.LBB288_655:                            ;   in Loop: Header=BB288_434 Depth=1
	v_cmp_eq_u16_sdwa s[28:29], v25, s22 src0_sel:BYTE_0 src1_sel:DWORD
	s_mov_b64 s[0:1], -1
                                        ; implicit-def: $sgpr20
	s_and_saveexec_b64 s[8:9], s[28:29]
; %bb.656:                              ;   in Loop: Header=BB288_434 Depth=1
	s_mov_b32 s20, 0x7fc02000
	s_xor_b64 s[0:1], exec, -1
; %bb.657:                              ;   in Loop: Header=BB288_434 Depth=1
	s_or_b64 exec, exec, s[8:9]
	s_and_b64 s[0:1], s[0:1], exec
	s_or_saveexec_b64 s[6:7], s[6:7]
	v_mov_b32_e32 v24, s20
	s_xor_b64 exec, exec, s[6:7]
	s_cbranch_execz .LBB288_453
.LBB288_658:                            ;   in Loop: Header=BB288_434 Depth=1
	v_cmp_ne_u16_sdwa s[8:9], v25, v1 src0_sel:BYTE_0 src1_sel:DWORD
	s_andn2_b64 s[0:1], s[0:1], exec
	s_and_b64 s[8:9], s[8:9], exec
	v_mov_b32_e32 v24, 0
	s_or_b64 s[0:1], s[0:1], s[8:9]
	s_or_b64 exec, exec, s[6:7]
	v_mov_b32_e32 v0, v25
	s_and_saveexec_b64 s[6:7], s[0:1]
	s_cbranch_execnz .LBB288_454
	s_branch .LBB288_455
.LBB288_659:                            ;   in Loop: Header=BB288_434 Depth=1
	v_cmp_eq_u16_e32 vcc, s22, v0
	s_mov_b64 s[0:1], -1
                                        ; implicit-def: $sgpr20
	s_and_saveexec_b64 s[8:9], vcc
; %bb.660:                              ;   in Loop: Header=BB288_434 Depth=1
	s_mov_b32 s20, 0x7fc02000
	s_xor_b64 s[0:1], exec, -1
; %bb.661:                              ;   in Loop: Header=BB288_434 Depth=1
	s_or_b64 exec, exec, s[8:9]
	s_and_b64 s[0:1], s[0:1], exec
	s_or_saveexec_b64 s[6:7], s[6:7]
	v_mov_b32_e32 v26, s20
	s_xor_b64 exec, exec, s[6:7]
	s_cbranch_execz .LBB288_457
.LBB288_662:                            ;   in Loop: Header=BB288_434 Depth=1
	v_cmp_ne_u16_e32 vcc, 0, v0
	s_andn2_b64 s[0:1], s[0:1], exec
	s_and_b64 s[8:9], vcc, exec
	v_mov_b32_e32 v26, 0
	s_or_b64 s[0:1], s[0:1], s[8:9]
	s_or_b64 exec, exec, s[6:7]
	s_and_saveexec_b64 s[6:7], s[0:1]
	s_cbranch_execnz .LBB288_458
	s_branch .LBB288_459
.LBB288_663:                            ;   in Loop: Header=BB288_434 Depth=1
	v_cmp_eq_u16_sdwa s[28:29], v0, s22 src0_sel:BYTE_0 src1_sel:DWORD
	s_mov_b64 s[0:1], -1
                                        ; implicit-def: $sgpr20
	s_and_saveexec_b64 s[8:9], s[28:29]
; %bb.664:                              ;   in Loop: Header=BB288_434 Depth=1
	s_mov_b32 s20, 0x7fc02000
	s_xor_b64 s[0:1], exec, -1
; %bb.665:                              ;   in Loop: Header=BB288_434 Depth=1
	s_or_b64 exec, exec, s[8:9]
	s_and_b64 s[0:1], s[0:1], exec
	s_or_saveexec_b64 s[6:7], s[6:7]
	v_mov_b32_e32 v27, s20
	s_xor_b64 exec, exec, s[6:7]
	s_cbranch_execz .LBB288_461
.LBB288_666:                            ;   in Loop: Header=BB288_434 Depth=1
	v_cmp_ne_u16_sdwa s[8:9], v0, v1 src0_sel:BYTE_0 src1_sel:DWORD
	s_andn2_b64 s[0:1], s[0:1], exec
	s_and_b64 s[8:9], s[8:9], exec
	v_mov_b32_e32 v27, 0
	s_or_b64 s[0:1], s[0:1], s[8:9]
	s_or_b64 exec, exec, s[6:7]
	s_and_saveexec_b64 s[6:7], s[0:1]
	s_cbranch_execnz .LBB288_462
	s_branch .LBB288_463
.LBB288_667:                            ;   in Loop: Header=BB288_434 Depth=1
	v_cmp_eq_u16_e32 vcc, s22, v0
	s_mov_b64 s[0:1], -1
                                        ; implicit-def: $sgpr20
	s_and_saveexec_b64 s[8:9], vcc
; %bb.668:                              ;   in Loop: Header=BB288_434 Depth=1
	s_mov_b32 s20, 0x7fc02000
	s_xor_b64 s[0:1], exec, -1
; %bb.669:                              ;   in Loop: Header=BB288_434 Depth=1
	s_or_b64 exec, exec, s[8:9]
	s_and_b64 s[0:1], s[0:1], exec
	s_or_saveexec_b64 s[6:7], s[6:7]
	v_mov_b32_e32 v37, s20
	s_xor_b64 exec, exec, s[6:7]
	s_cbranch_execz .LBB288_465
.LBB288_670:                            ;   in Loop: Header=BB288_434 Depth=1
	v_cmp_ne_u16_e32 vcc, 0, v0
	s_andn2_b64 s[0:1], s[0:1], exec
	s_and_b64 s[8:9], vcc, exec
	v_mov_b32_e32 v37, 0
	s_or_b64 s[0:1], s[0:1], s[8:9]
	s_or_b64 exec, exec, s[6:7]
	s_and_saveexec_b64 s[6:7], s[0:1]
	s_cbranch_execnz .LBB288_466
	s_branch .LBB288_467
.LBB288_671:                            ;   in Loop: Header=BB288_434 Depth=1
	v_cmp_eq_u16_sdwa s[28:29], v24, s22 src0_sel:BYTE_0 src1_sel:DWORD
	s_mov_b64 s[0:1], -1
                                        ; implicit-def: $sgpr20
	s_and_saveexec_b64 s[8:9], s[28:29]
; %bb.672:                              ;   in Loop: Header=BB288_434 Depth=1
	s_mov_b32 s20, 0x7fc02000
	s_xor_b64 s[0:1], exec, -1
; %bb.673:                              ;   in Loop: Header=BB288_434 Depth=1
	s_or_b64 exec, exec, s[8:9]
	s_and_b64 s[0:1], s[0:1], exec
	s_or_saveexec_b64 s[6:7], s[6:7]
	v_mov_b32_e32 v30, s20
	s_xor_b64 exec, exec, s[6:7]
	s_cbranch_execz .LBB288_471
.LBB288_674:                            ;   in Loop: Header=BB288_434 Depth=1
	v_cmp_ne_u16_sdwa s[8:9], v24, v1 src0_sel:BYTE_0 src1_sel:DWORD
	s_andn2_b64 s[0:1], s[0:1], exec
	s_and_b64 s[8:9], s[8:9], exec
	v_mov_b32_e32 v30, 0
	s_or_b64 s[0:1], s[0:1], s[8:9]
	s_or_b64 exec, exec, s[6:7]
	s_and_saveexec_b64 s[6:7], s[0:1]
	s_cbranch_execnz .LBB288_472
	s_branch .LBB288_473
.LBB288_675:                            ;   in Loop: Header=BB288_434 Depth=1
	v_cmp_eq_u16_e64 s[0:1], s22, v0
	s_mov_b64 s[6:7], -1
                                        ; implicit-def: $sgpr28
	s_and_saveexec_b64 s[20:21], s[0:1]
; %bb.676:                              ;   in Loop: Header=BB288_434 Depth=1
	s_mov_b32 s28, 0x7fc02000
	s_xor_b64 s[6:7], exec, -1
; %bb.677:                              ;   in Loop: Header=BB288_434 Depth=1
	s_or_b64 exec, exec, s[20:21]
	s_and_b64 s[6:7], s[6:7], exec
	s_or_saveexec_b64 s[8:9], s[8:9]
	v_mov_b32_e32 v34, s28
	s_xor_b64 exec, exec, s[8:9]
	s_cbranch_execz .LBB288_475
.LBB288_678:                            ;   in Loop: Header=BB288_434 Depth=1
	v_cmp_ne_u16_e64 s[0:1], 0, v0
	s_andn2_b64 s[6:7], s[6:7], exec
	s_and_b64 s[0:1], s[0:1], exec
	v_mov_b32_e32 v34, 0
	s_or_b64 s[6:7], s[6:7], s[0:1]
	s_or_b64 exec, exec, s[8:9]
	s_and_saveexec_b64 s[8:9], s[6:7]
	s_cbranch_execnz .LBB288_476
	s_branch .LBB288_477
.LBB288_679:                            ;   in Loop: Header=BB288_434 Depth=1
	v_cmp_eq_u16_sdwa s[28:29], v0, s22 src0_sel:BYTE_0 src1_sel:DWORD
	s_mov_b64 s[0:1], -1
                                        ; implicit-def: $sgpr20
	s_and_saveexec_b64 s[8:9], s[28:29]
; %bb.680:                              ;   in Loop: Header=BB288_434 Depth=1
	s_mov_b32 s20, 0x7fc02000
	s_xor_b64 s[0:1], exec, -1
; %bb.681:                              ;   in Loop: Header=BB288_434 Depth=1
	s_or_b64 exec, exec, s[8:9]
	s_and_b64 s[0:1], s[0:1], exec
	s_or_saveexec_b64 s[6:7], s[6:7]
	v_mov_b32_e32 v31, s20
	s_xor_b64 exec, exec, s[6:7]
	s_cbranch_execz .LBB288_479
.LBB288_682:                            ;   in Loop: Header=BB288_434 Depth=1
	v_cmp_ne_u16_sdwa s[8:9], v0, v1 src0_sel:BYTE_0 src1_sel:DWORD
	s_andn2_b64 s[0:1], s[0:1], exec
	s_and_b64 s[8:9], s[8:9], exec
	v_mov_b32_e32 v31, 0
	s_or_b64 s[0:1], s[0:1], s[8:9]
	s_or_b64 exec, exec, s[6:7]
	s_and_saveexec_b64 s[6:7], s[0:1]
	s_cbranch_execnz .LBB288_480
	s_branch .LBB288_481
.LBB288_683:                            ;   in Loop: Header=BB288_434 Depth=1
	v_cmp_eq_u16_e64 s[0:1], s22, v0
	s_mov_b64 s[6:7], -1
                                        ; implicit-def: $sgpr28
	s_and_saveexec_b64 s[20:21], s[0:1]
; %bb.684:                              ;   in Loop: Header=BB288_434 Depth=1
	s_mov_b32 s28, 0x7fc02000
	s_xor_b64 s[6:7], exec, -1
; %bb.685:                              ;   in Loop: Header=BB288_434 Depth=1
	s_or_b64 exec, exec, s[20:21]
	s_and_b64 s[6:7], s[6:7], exec
	s_or_saveexec_b64 s[8:9], s[8:9]
	v_mov_b32_e32 v35, s28
	s_xor_b64 exec, exec, s[8:9]
	s_cbranch_execz .LBB288_483
.LBB288_686:                            ;   in Loop: Header=BB288_434 Depth=1
	v_cmp_ne_u16_e64 s[0:1], 0, v0
	s_andn2_b64 s[6:7], s[6:7], exec
	s_and_b64 s[0:1], s[0:1], exec
	v_mov_b32_e32 v35, 0
	s_or_b64 s[6:7], s[6:7], s[0:1]
	s_or_b64 exec, exec, s[8:9]
	s_and_saveexec_b64 s[8:9], s[6:7]
	s_cbranch_execnz .LBB288_484
	s_branch .LBB288_485
.LBB288_687:                            ;   in Loop: Header=BB288_434 Depth=1
	v_cmp_eq_u16_sdwa s[28:29], v25, s22 src0_sel:BYTE_0 src1_sel:DWORD
	s_mov_b64 s[0:1], -1
                                        ; implicit-def: $sgpr20
	s_and_saveexec_b64 s[8:9], s[28:29]
; %bb.688:                              ;   in Loop: Header=BB288_434 Depth=1
	s_mov_b32 s20, 0x7fc02000
	s_xor_b64 s[0:1], exec, -1
; %bb.689:                              ;   in Loop: Header=BB288_434 Depth=1
	s_or_b64 exec, exec, s[8:9]
	s_and_b64 s[0:1], s[0:1], exec
	s_or_saveexec_b64 s[6:7], s[6:7]
	v_mov_b32_e32 v4, s20
	s_xor_b64 exec, exec, s[6:7]
	s_cbranch_execz .LBB288_487
.LBB288_690:                            ;   in Loop: Header=BB288_434 Depth=1
	v_cmp_ne_u16_sdwa s[8:9], v25, v1 src0_sel:BYTE_0 src1_sel:DWORD
	s_andn2_b64 s[0:1], s[0:1], exec
	s_and_b64 s[8:9], s[8:9], exec
	v_mov_b32_e32 v4, 0
	s_or_b64 s[0:1], s[0:1], s[8:9]
	s_or_b64 exec, exec, s[6:7]
	v_mov_b32_e32 v0, v25
	s_and_saveexec_b64 s[6:7], s[0:1]
	s_cbranch_execnz .LBB288_488
	s_branch .LBB288_489
.LBB288_691:                            ;   in Loop: Header=BB288_434 Depth=1
	v_cmp_eq_u16_e64 s[0:1], s22, v0
	s_mov_b64 s[6:7], -1
                                        ; implicit-def: $sgpr28
	s_and_saveexec_b64 s[20:21], s[0:1]
; %bb.692:                              ;   in Loop: Header=BB288_434 Depth=1
	s_mov_b32 s28, 0x7fc02000
	s_xor_b64 s[6:7], exec, -1
; %bb.693:                              ;   in Loop: Header=BB288_434 Depth=1
	s_or_b64 exec, exec, s[20:21]
	s_and_b64 s[6:7], s[6:7], exec
	s_or_saveexec_b64 s[8:9], s[8:9]
	v_mov_b32_e32 v5, s28
	s_xor_b64 exec, exec, s[8:9]
	s_cbranch_execz .LBB288_491
.LBB288_694:                            ;   in Loop: Header=BB288_434 Depth=1
	v_cmp_ne_u16_e64 s[0:1], 0, v0
	s_andn2_b64 s[6:7], s[6:7], exec
	s_and_b64 s[0:1], s[0:1], exec
	v_mov_b32_e32 v5, 0
	s_or_b64 s[6:7], s[6:7], s[0:1]
	s_or_b64 exec, exec, s[8:9]
	s_and_saveexec_b64 s[8:9], s[6:7]
	s_cbranch_execnz .LBB288_492
	s_branch .LBB288_493
.LBB288_695:                            ;   in Loop: Header=BB288_434 Depth=1
	v_cmp_eq_u16_sdwa s[28:29], v0, s22 src0_sel:BYTE_0 src1_sel:DWORD
	s_mov_b64 s[0:1], -1
                                        ; implicit-def: $sgpr20
	s_and_saveexec_b64 s[8:9], s[28:29]
; %bb.696:                              ;   in Loop: Header=BB288_434 Depth=1
	s_mov_b32 s20, 0x7fc02000
	s_xor_b64 s[0:1], exec, -1
; %bb.697:                              ;   in Loop: Header=BB288_434 Depth=1
	s_or_b64 exec, exec, s[8:9]
	s_and_b64 s[0:1], s[0:1], exec
	s_or_saveexec_b64 s[6:7], s[6:7]
	v_mov_b32_e32 v6, s20
	s_xor_b64 exec, exec, s[6:7]
	s_cbranch_execz .LBB288_495
.LBB288_698:                            ;   in Loop: Header=BB288_434 Depth=1
	v_cmp_ne_u16_sdwa s[8:9], v0, v1 src0_sel:BYTE_0 src1_sel:DWORD
	s_andn2_b64 s[0:1], s[0:1], exec
	s_and_b64 s[8:9], s[8:9], exec
	v_mov_b32_e32 v6, 0
	s_or_b64 s[0:1], s[0:1], s[8:9]
	s_or_b64 exec, exec, s[6:7]
	s_and_saveexec_b64 s[6:7], s[0:1]
	s_cbranch_execnz .LBB288_496
	s_branch .LBB288_497
.LBB288_699:                            ;   in Loop: Header=BB288_434 Depth=1
	v_cmp_eq_u16_e64 s[0:1], s22, v0
	s_mov_b64 s[6:7], -1
                                        ; implicit-def: $sgpr28
	s_and_saveexec_b64 s[20:21], s[0:1]
; %bb.700:                              ;   in Loop: Header=BB288_434 Depth=1
	s_mov_b32 s28, 0x7fc02000
	s_xor_b64 s[6:7], exec, -1
; %bb.701:                              ;   in Loop: Header=BB288_434 Depth=1
	s_or_b64 exec, exec, s[20:21]
	s_and_b64 s[6:7], s[6:7], exec
	s_or_saveexec_b64 s[8:9], s[8:9]
	v_mov_b32_e32 v15, s28
	s_xor_b64 exec, exec, s[8:9]
	s_cbranch_execz .LBB288_499
.LBB288_702:                            ;   in Loop: Header=BB288_434 Depth=1
	v_cmp_ne_u16_e64 s[0:1], 0, v0
	s_andn2_b64 s[6:7], s[6:7], exec
	s_and_b64 s[0:1], s[0:1], exec
	v_mov_b32_e32 v15, 0
	s_or_b64 s[6:7], s[6:7], s[0:1]
	s_or_b64 exec, exec, s[8:9]
	s_and_saveexec_b64 s[8:9], s[6:7]
	s_cbranch_execnz .LBB288_500
	s_branch .LBB288_501
.LBB288_703:                            ;   in Loop: Header=BB288_434 Depth=1
	v_cmp_eq_u16_sdwa s[28:29], v24, s22 src0_sel:BYTE_0 src1_sel:DWORD
	s_mov_b64 s[0:1], -1
                                        ; implicit-def: $sgpr20
	s_and_saveexec_b64 s[8:9], s[28:29]
; %bb.704:                              ;   in Loop: Header=BB288_434 Depth=1
	s_mov_b32 s20, 0x7fc02000
	s_xor_b64 s[0:1], exec, -1
; %bb.705:                              ;   in Loop: Header=BB288_434 Depth=1
	s_or_b64 exec, exec, s[8:9]
	s_and_b64 s[0:1], s[0:1], exec
	s_or_saveexec_b64 s[6:7], s[6:7]
	v_mov_b32_e32 v30, s20
	s_xor_b64 exec, exec, s[6:7]
	s_cbranch_execz .LBB288_505
.LBB288_706:                            ;   in Loop: Header=BB288_434 Depth=1
	v_cmp_ne_u16_sdwa s[8:9], v24, v1 src0_sel:BYTE_0 src1_sel:DWORD
	s_andn2_b64 s[0:1], s[0:1], exec
	s_and_b64 s[8:9], s[8:9], exec
	v_mov_b32_e32 v30, 0
	s_or_b64 s[0:1], s[0:1], s[8:9]
	s_or_b64 exec, exec, s[6:7]
	s_and_saveexec_b64 s[6:7], s[0:1]
	s_cbranch_execnz .LBB288_506
	s_branch .LBB288_507
.LBB288_707:                            ;   in Loop: Header=BB288_434 Depth=1
	v_cmp_eq_u16_e64 s[0:1], s22, v0
	s_mov_b64 s[6:7], -1
                                        ; implicit-def: $sgpr28
	s_and_saveexec_b64 s[20:21], s[0:1]
; %bb.708:                              ;   in Loop: Header=BB288_434 Depth=1
	s_mov_b32 s28, 0x7fc02000
	s_xor_b64 s[6:7], exec, -1
; %bb.709:                              ;   in Loop: Header=BB288_434 Depth=1
	s_or_b64 exec, exec, s[20:21]
	s_and_b64 s[6:7], s[6:7], exec
	s_or_saveexec_b64 s[8:9], s[8:9]
	v_mov_b32_e32 v34, s28
	s_xor_b64 exec, exec, s[8:9]
	s_cbranch_execz .LBB288_509
.LBB288_710:                            ;   in Loop: Header=BB288_434 Depth=1
	v_cmp_ne_u16_e64 s[0:1], 0, v0
	s_andn2_b64 s[6:7], s[6:7], exec
	s_and_b64 s[0:1], s[0:1], exec
	v_mov_b32_e32 v34, 0
	s_or_b64 s[6:7], s[6:7], s[0:1]
	s_or_b64 exec, exec, s[8:9]
	s_and_saveexec_b64 s[8:9], s[6:7]
	s_cbranch_execnz .LBB288_510
	s_branch .LBB288_511
.LBB288_711:                            ;   in Loop: Header=BB288_434 Depth=1
	v_cmp_eq_u16_sdwa s[28:29], v0, s22 src0_sel:BYTE_0 src1_sel:DWORD
	s_mov_b64 s[0:1], -1
                                        ; implicit-def: $sgpr20
	s_and_saveexec_b64 s[8:9], s[28:29]
; %bb.712:                              ;   in Loop: Header=BB288_434 Depth=1
	s_mov_b32 s20, 0x7fc02000
	s_xor_b64 s[0:1], exec, -1
; %bb.713:                              ;   in Loop: Header=BB288_434 Depth=1
	s_or_b64 exec, exec, s[8:9]
	s_and_b64 s[0:1], s[0:1], exec
	s_or_saveexec_b64 s[6:7], s[6:7]
	v_mov_b32_e32 v31, s20
	s_xor_b64 exec, exec, s[6:7]
	s_cbranch_execz .LBB288_513
.LBB288_714:                            ;   in Loop: Header=BB288_434 Depth=1
	v_cmp_ne_u16_sdwa s[8:9], v0, v1 src0_sel:BYTE_0 src1_sel:DWORD
	s_andn2_b64 s[0:1], s[0:1], exec
	s_and_b64 s[8:9], s[8:9], exec
	v_mov_b32_e32 v31, 0
	s_or_b64 s[0:1], s[0:1], s[8:9]
	s_or_b64 exec, exec, s[6:7]
	s_and_saveexec_b64 s[6:7], s[0:1]
	s_cbranch_execnz .LBB288_514
	s_branch .LBB288_515
.LBB288_715:                            ;   in Loop: Header=BB288_434 Depth=1
	v_cmp_eq_u16_e64 s[0:1], s22, v0
	s_mov_b64 s[6:7], -1
                                        ; implicit-def: $sgpr28
	s_and_saveexec_b64 s[20:21], s[0:1]
; %bb.716:                              ;   in Loop: Header=BB288_434 Depth=1
	s_mov_b32 s28, 0x7fc02000
	s_xor_b64 s[6:7], exec, -1
; %bb.717:                              ;   in Loop: Header=BB288_434 Depth=1
	s_or_b64 exec, exec, s[20:21]
	s_and_b64 s[6:7], s[6:7], exec
	s_or_saveexec_b64 s[8:9], s[8:9]
	v_mov_b32_e32 v35, s28
	s_xor_b64 exec, exec, s[8:9]
	s_cbranch_execz .LBB288_517
.LBB288_718:                            ;   in Loop: Header=BB288_434 Depth=1
	v_cmp_ne_u16_e64 s[0:1], 0, v0
	s_andn2_b64 s[6:7], s[6:7], exec
	s_and_b64 s[0:1], s[0:1], exec
	v_mov_b32_e32 v35, 0
	s_or_b64 s[6:7], s[6:7], s[0:1]
	s_or_b64 exec, exec, s[8:9]
	s_and_saveexec_b64 s[8:9], s[6:7]
	s_cbranch_execnz .LBB288_518
	s_branch .LBB288_519
.LBB288_719:                            ;   in Loop: Header=BB288_434 Depth=1
	v_cmp_eq_u16_sdwa s[28:29], v25, s22 src0_sel:BYTE_0 src1_sel:DWORD
	s_mov_b64 s[0:1], -1
                                        ; implicit-def: $sgpr20
	s_and_saveexec_b64 s[8:9], s[28:29]
; %bb.720:                              ;   in Loop: Header=BB288_434 Depth=1
	s_mov_b32 s20, 0x7fc02000
	s_xor_b64 s[0:1], exec, -1
; %bb.721:                              ;   in Loop: Header=BB288_434 Depth=1
	s_or_b64 exec, exec, s[8:9]
	s_and_b64 s[0:1], s[0:1], exec
	s_or_saveexec_b64 s[6:7], s[6:7]
	v_mov_b32_e32 v6, s20
	s_xor_b64 exec, exec, s[6:7]
	s_cbranch_execz .LBB288_521
.LBB288_722:                            ;   in Loop: Header=BB288_434 Depth=1
	v_cmp_ne_u16_sdwa s[8:9], v25, v1 src0_sel:BYTE_0 src1_sel:DWORD
	s_andn2_b64 s[0:1], s[0:1], exec
	s_and_b64 s[8:9], s[8:9], exec
	v_mov_b32_e32 v6, 0
	s_or_b64 s[0:1], s[0:1], s[8:9]
	s_or_b64 exec, exec, s[6:7]
	v_mov_b32_e32 v0, v25
	s_and_saveexec_b64 s[6:7], s[0:1]
	s_cbranch_execnz .LBB288_522
	s_branch .LBB288_523
.LBB288_723:                            ;   in Loop: Header=BB288_434 Depth=1
	v_cmp_eq_u16_e64 s[0:1], s22, v0
	s_mov_b64 s[6:7], -1
                                        ; implicit-def: $sgpr28
	s_and_saveexec_b64 s[20:21], s[0:1]
; %bb.724:                              ;   in Loop: Header=BB288_434 Depth=1
	s_mov_b32 s28, 0x7fc02000
	s_xor_b64 s[6:7], exec, -1
; %bb.725:                              ;   in Loop: Header=BB288_434 Depth=1
	s_or_b64 exec, exec, s[20:21]
	s_and_b64 s[6:7], s[6:7], exec
	s_or_saveexec_b64 s[8:9], s[8:9]
	v_mov_b32_e32 v7, s28
	s_xor_b64 exec, exec, s[8:9]
	s_cbranch_execz .LBB288_525
.LBB288_726:                            ;   in Loop: Header=BB288_434 Depth=1
	v_cmp_ne_u16_e64 s[0:1], 0, v0
	s_andn2_b64 s[6:7], s[6:7], exec
	s_and_b64 s[0:1], s[0:1], exec
	v_mov_b32_e32 v7, 0
	s_or_b64 s[6:7], s[6:7], s[0:1]
	s_or_b64 exec, exec, s[8:9]
	s_and_saveexec_b64 s[8:9], s[6:7]
	s_cbranch_execnz .LBB288_526
	s_branch .LBB288_527
.LBB288_727:                            ;   in Loop: Header=BB288_434 Depth=1
	v_cmp_eq_u16_sdwa s[28:29], v0, s22 src0_sel:BYTE_0 src1_sel:DWORD
	s_mov_b64 s[0:1], -1
                                        ; implicit-def: $sgpr20
	s_and_saveexec_b64 s[8:9], s[28:29]
; %bb.728:                              ;   in Loop: Header=BB288_434 Depth=1
	s_mov_b32 s20, 0x7fc02000
	s_xor_b64 s[0:1], exec, -1
; %bb.729:                              ;   in Loop: Header=BB288_434 Depth=1
	s_or_b64 exec, exec, s[8:9]
	s_and_b64 s[0:1], s[0:1], exec
	s_or_saveexec_b64 s[6:7], s[6:7]
	v_mov_b32_e32 v15, s20
	s_xor_b64 exec, exec, s[6:7]
	s_cbranch_execz .LBB288_529
.LBB288_730:                            ;   in Loop: Header=BB288_434 Depth=1
	v_cmp_ne_u16_sdwa s[8:9], v0, v1 src0_sel:BYTE_0 src1_sel:DWORD
	s_andn2_b64 s[0:1], s[0:1], exec
	s_and_b64 s[8:9], s[8:9], exec
	v_mov_b32_e32 v15, 0
	s_or_b64 s[0:1], s[0:1], s[8:9]
	s_or_b64 exec, exec, s[6:7]
	s_and_saveexec_b64 s[6:7], s[0:1]
	s_cbranch_execnz .LBB288_530
	s_branch .LBB288_531
.LBB288_731:                            ;   in Loop: Header=BB288_434 Depth=1
	v_cmp_eq_u16_e64 s[0:1], s22, v0
	s_mov_b64 s[6:7], -1
                                        ; implicit-def: $sgpr28
	s_and_saveexec_b64 s[20:21], s[0:1]
; %bb.732:                              ;   in Loop: Header=BB288_434 Depth=1
	s_mov_b32 s28, 0x7fc02000
	s_xor_b64 s[6:7], exec, -1
; %bb.733:                              ;   in Loop: Header=BB288_434 Depth=1
	s_or_b64 exec, exec, s[20:21]
	s_and_b64 s[6:7], s[6:7], exec
	s_or_saveexec_b64 s[8:9], s[8:9]
	v_mov_b32_e32 v24, s28
	s_xor_b64 exec, exec, s[8:9]
	s_cbranch_execz .LBB288_533
.LBB288_734:                            ;   in Loop: Header=BB288_434 Depth=1
	v_cmp_ne_u16_e64 s[0:1], 0, v0
	s_andn2_b64 s[6:7], s[6:7], exec
	s_and_b64 s[0:1], s[0:1], exec
	v_mov_b32_e32 v24, 0
	s_or_b64 s[6:7], s[6:7], s[0:1]
	s_or_b64 exec, exec, s[8:9]
	s_and_saveexec_b64 s[8:9], s[6:7]
	s_cbranch_execnz .LBB288_534
	s_branch .LBB288_535
.LBB288_735:                            ;   in Loop: Header=BB288_434 Depth=1
	v_cmp_eq_u16_sdwa s[28:29], v24, s22 src0_sel:BYTE_0 src1_sel:DWORD
	s_mov_b64 s[0:1], -1
                                        ; implicit-def: $sgpr20
	s_and_saveexec_b64 s[8:9], s[28:29]
; %bb.736:                              ;   in Loop: Header=BB288_434 Depth=1
	s_mov_b32 s20, 0x7fc02000
	s_xor_b64 s[0:1], exec, -1
; %bb.737:                              ;   in Loop: Header=BB288_434 Depth=1
	s_or_b64 exec, exec, s[8:9]
	s_and_b64 s[0:1], s[0:1], exec
	s_or_saveexec_b64 s[6:7], s[6:7]
	v_mov_b32_e32 v30, s20
	s_xor_b64 exec, exec, s[6:7]
	s_cbranch_execz .LBB288_539
.LBB288_738:                            ;   in Loop: Header=BB288_434 Depth=1
	v_cmp_ne_u16_sdwa s[8:9], v24, v1 src0_sel:BYTE_0 src1_sel:DWORD
	s_andn2_b64 s[0:1], s[0:1], exec
	s_and_b64 s[8:9], s[8:9], exec
	v_mov_b32_e32 v30, 0
	s_or_b64 s[0:1], s[0:1], s[8:9]
	s_or_b64 exec, exec, s[6:7]
	s_and_saveexec_b64 s[6:7], s[0:1]
	s_cbranch_execnz .LBB288_540
	s_branch .LBB288_541
.LBB288_739:                            ;   in Loop: Header=BB288_434 Depth=1
	v_cmp_eq_u16_e64 s[0:1], s22, v0
	s_mov_b64 s[6:7], -1
                                        ; implicit-def: $sgpr28
	s_and_saveexec_b64 s[20:21], s[0:1]
; %bb.740:                              ;   in Loop: Header=BB288_434 Depth=1
	s_mov_b32 s28, 0x7fc02000
	s_xor_b64 s[6:7], exec, -1
; %bb.741:                              ;   in Loop: Header=BB288_434 Depth=1
	s_or_b64 exec, exec, s[20:21]
	s_and_b64 s[6:7], s[6:7], exec
	s_or_saveexec_b64 s[8:9], s[8:9]
	v_mov_b32_e32 v34, s28
	s_xor_b64 exec, exec, s[8:9]
	s_cbranch_execz .LBB288_543
.LBB288_742:                            ;   in Loop: Header=BB288_434 Depth=1
	v_cmp_ne_u16_e64 s[0:1], 0, v0
	s_andn2_b64 s[6:7], s[6:7], exec
	s_and_b64 s[0:1], s[0:1], exec
	v_mov_b32_e32 v34, 0
	s_or_b64 s[6:7], s[6:7], s[0:1]
	s_or_b64 exec, exec, s[8:9]
	s_and_saveexec_b64 s[8:9], s[6:7]
	s_cbranch_execnz .LBB288_544
	s_branch .LBB288_545
.LBB288_743:                            ;   in Loop: Header=BB288_434 Depth=1
	v_cmp_eq_u16_sdwa s[28:29], v0, s22 src0_sel:BYTE_0 src1_sel:DWORD
	s_mov_b64 s[0:1], -1
                                        ; implicit-def: $sgpr20
	s_and_saveexec_b64 s[8:9], s[28:29]
; %bb.744:                              ;   in Loop: Header=BB288_434 Depth=1
	s_mov_b32 s20, 0x7fc02000
	s_xor_b64 s[0:1], exec, -1
; %bb.745:                              ;   in Loop: Header=BB288_434 Depth=1
	s_or_b64 exec, exec, s[8:9]
	s_and_b64 s[0:1], s[0:1], exec
	s_or_saveexec_b64 s[6:7], s[6:7]
	v_mov_b32_e32 v31, s20
	s_xor_b64 exec, exec, s[6:7]
	s_cbranch_execz .LBB288_547
.LBB288_746:                            ;   in Loop: Header=BB288_434 Depth=1
	v_cmp_ne_u16_sdwa s[8:9], v0, v1 src0_sel:BYTE_0 src1_sel:DWORD
	s_andn2_b64 s[0:1], s[0:1], exec
	s_and_b64 s[8:9], s[8:9], exec
	v_mov_b32_e32 v31, 0
	s_or_b64 s[0:1], s[0:1], s[8:9]
	s_or_b64 exec, exec, s[6:7]
	s_and_saveexec_b64 s[6:7], s[0:1]
	s_cbranch_execnz .LBB288_548
	s_branch .LBB288_549
.LBB288_747:                            ;   in Loop: Header=BB288_434 Depth=1
	v_cmp_eq_u16_e64 s[0:1], s22, v0
	s_mov_b64 s[6:7], -1
                                        ; implicit-def: $sgpr28
	s_and_saveexec_b64 s[20:21], s[0:1]
; %bb.748:                              ;   in Loop: Header=BB288_434 Depth=1
	s_mov_b32 s28, 0x7fc02000
	s_xor_b64 s[6:7], exec, -1
; %bb.749:                              ;   in Loop: Header=BB288_434 Depth=1
	s_or_b64 exec, exec, s[20:21]
	s_and_b64 s[6:7], s[6:7], exec
	s_or_saveexec_b64 s[8:9], s[8:9]
	v_mov_b32_e32 v35, s28
	s_xor_b64 exec, exec, s[8:9]
	s_cbranch_execz .LBB288_551
.LBB288_750:                            ;   in Loop: Header=BB288_434 Depth=1
	v_cmp_ne_u16_e64 s[0:1], 0, v0
	s_andn2_b64 s[6:7], s[6:7], exec
	s_and_b64 s[0:1], s[0:1], exec
	v_mov_b32_e32 v35, 0
	s_or_b64 s[6:7], s[6:7], s[0:1]
	s_or_b64 exec, exec, s[8:9]
	s_and_saveexec_b64 s[8:9], s[6:7]
	s_cbranch_execnz .LBB288_552
	s_branch .LBB288_553
.LBB288_751:                            ;   in Loop: Header=BB288_434 Depth=1
	v_cmp_eq_u16_sdwa s[28:29], v25, s22 src0_sel:BYTE_0 src1_sel:DWORD
	s_mov_b64 s[0:1], -1
                                        ; implicit-def: $sgpr20
	s_and_saveexec_b64 s[8:9], s[28:29]
; %bb.752:                              ;   in Loop: Header=BB288_434 Depth=1
	s_mov_b32 s20, 0x7fc02000
	s_xor_b64 s[0:1], exec, -1
; %bb.753:                              ;   in Loop: Header=BB288_434 Depth=1
	s_or_b64 exec, exec, s[8:9]
	s_and_b64 s[0:1], s[0:1], exec
	s_or_saveexec_b64 s[6:7], s[6:7]
	v_mov_b32_e32 v6, s20
	s_xor_b64 exec, exec, s[6:7]
	s_cbranch_execz .LBB288_555
.LBB288_754:                            ;   in Loop: Header=BB288_434 Depth=1
	v_cmp_ne_u16_sdwa s[8:9], v25, v1 src0_sel:BYTE_0 src1_sel:DWORD
	s_andn2_b64 s[0:1], s[0:1], exec
	s_and_b64 s[8:9], s[8:9], exec
	v_mov_b32_e32 v6, 0
	s_or_b64 s[0:1], s[0:1], s[8:9]
	s_or_b64 exec, exec, s[6:7]
	v_mov_b32_e32 v0, v25
	s_and_saveexec_b64 s[6:7], s[0:1]
	s_cbranch_execnz .LBB288_556
	s_branch .LBB288_557
.LBB288_755:                            ;   in Loop: Header=BB288_434 Depth=1
	v_cmp_eq_u16_e64 s[0:1], s22, v0
	s_mov_b64 s[6:7], -1
                                        ; implicit-def: $sgpr28
	s_and_saveexec_b64 s[20:21], s[0:1]
; %bb.756:                              ;   in Loop: Header=BB288_434 Depth=1
	s_mov_b32 s28, 0x7fc02000
	s_xor_b64 s[6:7], exec, -1
; %bb.757:                              ;   in Loop: Header=BB288_434 Depth=1
	s_or_b64 exec, exec, s[20:21]
	s_and_b64 s[6:7], s[6:7], exec
	s_or_saveexec_b64 s[8:9], s[8:9]
	v_mov_b32_e32 v7, s28
	s_xor_b64 exec, exec, s[8:9]
	s_cbranch_execz .LBB288_559
.LBB288_758:                            ;   in Loop: Header=BB288_434 Depth=1
	v_cmp_ne_u16_e64 s[0:1], 0, v0
	s_andn2_b64 s[6:7], s[6:7], exec
	s_and_b64 s[0:1], s[0:1], exec
	v_mov_b32_e32 v7, 0
	s_or_b64 s[6:7], s[6:7], s[0:1]
	s_or_b64 exec, exec, s[8:9]
	s_and_saveexec_b64 s[8:9], s[6:7]
	s_cbranch_execnz .LBB288_560
	s_branch .LBB288_561
.LBB288_759:                            ;   in Loop: Header=BB288_434 Depth=1
	v_cmp_eq_u16_sdwa s[28:29], v0, s22 src0_sel:BYTE_0 src1_sel:DWORD
	s_mov_b64 s[0:1], -1
                                        ; implicit-def: $sgpr20
	s_and_saveexec_b64 s[8:9], s[28:29]
; %bb.760:                              ;   in Loop: Header=BB288_434 Depth=1
	s_mov_b32 s20, 0x7fc02000
	s_xor_b64 s[0:1], exec, -1
; %bb.761:                              ;   in Loop: Header=BB288_434 Depth=1
	s_or_b64 exec, exec, s[8:9]
	s_and_b64 s[0:1], s[0:1], exec
	s_or_saveexec_b64 s[6:7], s[6:7]
	v_mov_b32_e32 v15, s20
	s_xor_b64 exec, exec, s[6:7]
	s_cbranch_execz .LBB288_563
.LBB288_762:                            ;   in Loop: Header=BB288_434 Depth=1
	v_cmp_ne_u16_sdwa s[8:9], v0, v1 src0_sel:BYTE_0 src1_sel:DWORD
	s_andn2_b64 s[0:1], s[0:1], exec
	s_and_b64 s[8:9], s[8:9], exec
	v_mov_b32_e32 v15, 0
	s_or_b64 s[0:1], s[0:1], s[8:9]
	s_or_b64 exec, exec, s[6:7]
	s_and_saveexec_b64 s[6:7], s[0:1]
	s_cbranch_execnz .LBB288_564
	s_branch .LBB288_565
.LBB288_763:                            ;   in Loop: Header=BB288_434 Depth=1
	v_cmp_eq_u16_e64 s[0:1], s22, v0
	s_mov_b64 s[6:7], -1
                                        ; implicit-def: $sgpr28
	s_and_saveexec_b64 s[20:21], s[0:1]
; %bb.764:                              ;   in Loop: Header=BB288_434 Depth=1
	s_mov_b32 s28, 0x7fc02000
	s_xor_b64 s[6:7], exec, -1
; %bb.765:                              ;   in Loop: Header=BB288_434 Depth=1
	s_or_b64 exec, exec, s[20:21]
	s_and_b64 s[6:7], s[6:7], exec
	s_or_saveexec_b64 s[8:9], s[8:9]
	v_mov_b32_e32 v24, s28
	s_xor_b64 exec, exec, s[8:9]
	s_cbranch_execz .LBB288_567
.LBB288_766:                            ;   in Loop: Header=BB288_434 Depth=1
	v_cmp_ne_u16_e64 s[0:1], 0, v0
	s_andn2_b64 s[6:7], s[6:7], exec
	s_and_b64 s[0:1], s[0:1], exec
	v_mov_b32_e32 v24, 0
	s_or_b64 s[6:7], s[6:7], s[0:1]
	s_or_b64 exec, exec, s[8:9]
	s_and_saveexec_b64 s[8:9], s[6:7]
	s_cbranch_execnz .LBB288_568
	s_branch .LBB288_569
.LBB288_767:                            ;   in Loop: Header=BB288_434 Depth=1
	v_cmp_eq_u16_sdwa s[28:29], v24, s22 src0_sel:BYTE_0 src1_sel:DWORD
	s_mov_b64 s[0:1], -1
                                        ; implicit-def: $sgpr20
	s_and_saveexec_b64 s[8:9], s[28:29]
; %bb.768:                              ;   in Loop: Header=BB288_434 Depth=1
	s_mov_b32 s20, 0x7fc02000
	s_xor_b64 s[0:1], exec, -1
; %bb.769:                              ;   in Loop: Header=BB288_434 Depth=1
	s_or_b64 exec, exec, s[8:9]
	s_and_b64 s[0:1], s[0:1], exec
	s_or_saveexec_b64 s[6:7], s[6:7]
	v_mov_b32_e32 v30, s20
	s_xor_b64 exec, exec, s[6:7]
	s_cbranch_execz .LBB288_573
.LBB288_770:                            ;   in Loop: Header=BB288_434 Depth=1
	v_cmp_ne_u16_sdwa s[8:9], v24, v1 src0_sel:BYTE_0 src1_sel:DWORD
	s_andn2_b64 s[0:1], s[0:1], exec
	s_and_b64 s[8:9], s[8:9], exec
	v_mov_b32_e32 v30, 0
	s_or_b64 s[0:1], s[0:1], s[8:9]
	s_or_b64 exec, exec, s[6:7]
	s_and_saveexec_b64 s[6:7], s[0:1]
	s_cbranch_execnz .LBB288_574
	s_branch .LBB288_575
.LBB288_771:                            ;   in Loop: Header=BB288_434 Depth=1
	v_cmp_eq_u16_e64 s[0:1], s22, v0
	s_mov_b64 s[6:7], -1
                                        ; implicit-def: $sgpr28
	s_and_saveexec_b64 s[20:21], s[0:1]
; %bb.772:                              ;   in Loop: Header=BB288_434 Depth=1
	s_mov_b32 s28, 0x7fc02000
	s_xor_b64 s[6:7], exec, -1
; %bb.773:                              ;   in Loop: Header=BB288_434 Depth=1
	s_or_b64 exec, exec, s[20:21]
	s_and_b64 s[6:7], s[6:7], exec
	s_or_saveexec_b64 s[8:9], s[8:9]
	v_mov_b32_e32 v34, s28
	s_xor_b64 exec, exec, s[8:9]
	s_cbranch_execz .LBB288_577
.LBB288_774:                            ;   in Loop: Header=BB288_434 Depth=1
	v_cmp_ne_u16_e64 s[0:1], 0, v0
	s_andn2_b64 s[6:7], s[6:7], exec
	s_and_b64 s[0:1], s[0:1], exec
	v_mov_b32_e32 v34, 0
	s_or_b64 s[6:7], s[6:7], s[0:1]
	s_or_b64 exec, exec, s[8:9]
	s_and_saveexec_b64 s[8:9], s[6:7]
	s_cbranch_execnz .LBB288_578
	s_branch .LBB288_579
.LBB288_775:                            ;   in Loop: Header=BB288_434 Depth=1
	v_cmp_eq_u16_sdwa s[28:29], v0, s22 src0_sel:BYTE_0 src1_sel:DWORD
	s_mov_b64 s[0:1], -1
                                        ; implicit-def: $sgpr20
	s_and_saveexec_b64 s[8:9], s[28:29]
; %bb.776:                              ;   in Loop: Header=BB288_434 Depth=1
	s_mov_b32 s20, 0x7fc02000
	s_xor_b64 s[0:1], exec, -1
; %bb.777:                              ;   in Loop: Header=BB288_434 Depth=1
	s_or_b64 exec, exec, s[8:9]
	s_and_b64 s[0:1], s[0:1], exec
	s_or_saveexec_b64 s[6:7], s[6:7]
	v_mov_b32_e32 v31, s20
	s_xor_b64 exec, exec, s[6:7]
	s_cbranch_execz .LBB288_581
.LBB288_778:                            ;   in Loop: Header=BB288_434 Depth=1
	v_cmp_ne_u16_sdwa s[8:9], v0, v1 src0_sel:BYTE_0 src1_sel:DWORD
	s_andn2_b64 s[0:1], s[0:1], exec
	s_and_b64 s[8:9], s[8:9], exec
	v_mov_b32_e32 v31, 0
	s_or_b64 s[0:1], s[0:1], s[8:9]
	s_or_b64 exec, exec, s[6:7]
	s_and_saveexec_b64 s[6:7], s[0:1]
	s_cbranch_execnz .LBB288_582
	s_branch .LBB288_583
.LBB288_779:                            ;   in Loop: Header=BB288_434 Depth=1
	v_cmp_eq_u16_e64 s[0:1], s22, v0
	s_mov_b64 s[6:7], -1
                                        ; implicit-def: $sgpr28
	s_and_saveexec_b64 s[20:21], s[0:1]
; %bb.780:                              ;   in Loop: Header=BB288_434 Depth=1
	s_mov_b32 s28, 0x7fc02000
	s_xor_b64 s[6:7], exec, -1
; %bb.781:                              ;   in Loop: Header=BB288_434 Depth=1
	s_or_b64 exec, exec, s[20:21]
	s_and_b64 s[6:7], s[6:7], exec
	s_or_saveexec_b64 s[8:9], s[8:9]
	v_mov_b32_e32 v35, s28
	s_xor_b64 exec, exec, s[8:9]
	s_cbranch_execz .LBB288_585
.LBB288_782:                            ;   in Loop: Header=BB288_434 Depth=1
	v_cmp_ne_u16_e64 s[0:1], 0, v0
	s_andn2_b64 s[6:7], s[6:7], exec
	s_and_b64 s[0:1], s[0:1], exec
	v_mov_b32_e32 v35, 0
	s_or_b64 s[6:7], s[6:7], s[0:1]
	s_or_b64 exec, exec, s[8:9]
	s_and_saveexec_b64 s[8:9], s[6:7]
	s_cbranch_execnz .LBB288_586
	s_branch .LBB288_587
.LBB288_783:                            ;   in Loop: Header=BB288_434 Depth=1
	v_cmp_eq_u16_sdwa s[28:29], v25, s22 src0_sel:BYTE_0 src1_sel:DWORD
	s_mov_b64 s[0:1], -1
                                        ; implicit-def: $sgpr20
	s_and_saveexec_b64 s[8:9], s[28:29]
; %bb.784:                              ;   in Loop: Header=BB288_434 Depth=1
	s_mov_b32 s20, 0x7fc02000
	s_xor_b64 s[0:1], exec, -1
; %bb.785:                              ;   in Loop: Header=BB288_434 Depth=1
	s_or_b64 exec, exec, s[8:9]
	s_and_b64 s[0:1], s[0:1], exec
	s_or_saveexec_b64 s[6:7], s[6:7]
	v_mov_b32_e32 v6, s20
	s_xor_b64 exec, exec, s[6:7]
	s_cbranch_execz .LBB288_589
.LBB288_786:                            ;   in Loop: Header=BB288_434 Depth=1
	v_cmp_ne_u16_sdwa s[8:9], v25, v1 src0_sel:BYTE_0 src1_sel:DWORD
	s_andn2_b64 s[0:1], s[0:1], exec
	s_and_b64 s[8:9], s[8:9], exec
	v_mov_b32_e32 v6, 0
	s_or_b64 s[0:1], s[0:1], s[8:9]
	s_or_b64 exec, exec, s[6:7]
	v_mov_b32_e32 v0, v25
	s_and_saveexec_b64 s[6:7], s[0:1]
	s_cbranch_execnz .LBB288_590
	s_branch .LBB288_591
.LBB288_787:                            ;   in Loop: Header=BB288_434 Depth=1
	v_cmp_eq_u16_e64 s[0:1], s22, v0
	s_mov_b64 s[6:7], -1
                                        ; implicit-def: $sgpr28
	s_and_saveexec_b64 s[20:21], s[0:1]
; %bb.788:                              ;   in Loop: Header=BB288_434 Depth=1
	s_mov_b32 s28, 0x7fc02000
	s_xor_b64 s[6:7], exec, -1
; %bb.789:                              ;   in Loop: Header=BB288_434 Depth=1
	s_or_b64 exec, exec, s[20:21]
	s_and_b64 s[6:7], s[6:7], exec
	s_or_saveexec_b64 s[8:9], s[8:9]
	v_mov_b32_e32 v15, s28
	s_xor_b64 exec, exec, s[8:9]
	s_cbranch_execz .LBB288_593
.LBB288_790:                            ;   in Loop: Header=BB288_434 Depth=1
	v_cmp_ne_u16_e64 s[0:1], 0, v0
	s_andn2_b64 s[6:7], s[6:7], exec
	s_and_b64 s[0:1], s[0:1], exec
	v_mov_b32_e32 v15, 0
	s_or_b64 s[6:7], s[6:7], s[0:1]
	s_or_b64 exec, exec, s[8:9]
	s_and_saveexec_b64 s[8:9], s[6:7]
	s_cbranch_execnz .LBB288_594
	s_branch .LBB288_595
.LBB288_791:                            ;   in Loop: Header=BB288_434 Depth=1
	v_cmp_eq_u16_sdwa s[28:29], v0, s22 src0_sel:BYTE_0 src1_sel:DWORD
	s_mov_b64 s[0:1], -1
                                        ; implicit-def: $sgpr20
	s_and_saveexec_b64 s[8:9], s[28:29]
; %bb.792:                              ;   in Loop: Header=BB288_434 Depth=1
	s_mov_b32 s20, 0x7fc02000
	s_xor_b64 s[0:1], exec, -1
; %bb.793:                              ;   in Loop: Header=BB288_434 Depth=1
	s_or_b64 exec, exec, s[8:9]
	s_and_b64 s[0:1], s[0:1], exec
	s_or_saveexec_b64 s[6:7], s[6:7]
	v_mov_b32_e32 v22, s20
	s_xor_b64 exec, exec, s[6:7]
	s_cbranch_execz .LBB288_597
.LBB288_794:                            ;   in Loop: Header=BB288_434 Depth=1
	v_cmp_ne_u16_sdwa s[8:9], v0, v1 src0_sel:BYTE_0 src1_sel:DWORD
	s_andn2_b64 s[0:1], s[0:1], exec
	s_and_b64 s[8:9], s[8:9], exec
	v_mov_b32_e32 v22, 0
	s_or_b64 s[0:1], s[0:1], s[8:9]
	s_or_b64 exec, exec, s[6:7]
	s_and_saveexec_b64 s[6:7], s[0:1]
	s_cbranch_execnz .LBB288_598
	s_branch .LBB288_599
.LBB288_795:                            ;   in Loop: Header=BB288_434 Depth=1
	v_cmp_eq_u16_e64 s[0:1], s22, v0
	s_mov_b64 s[6:7], -1
                                        ; implicit-def: $sgpr28
	s_and_saveexec_b64 s[20:21], s[0:1]
; %bb.796:                              ;   in Loop: Header=BB288_434 Depth=1
	s_mov_b32 s28, 0x7fc02000
	s_xor_b64 s[6:7], exec, -1
; %bb.797:                              ;   in Loop: Header=BB288_434 Depth=1
	s_or_b64 exec, exec, s[20:21]
	s_and_b64 s[6:7], s[6:7], exec
	s_or_saveexec_b64 s[8:9], s[8:9]
	v_mov_b32_e32 v26, s28
	s_xor_b64 exec, exec, s[8:9]
	s_cbranch_execz .LBB288_601
.LBB288_798:                            ;   in Loop: Header=BB288_434 Depth=1
	v_cmp_ne_u16_e64 s[0:1], 0, v0
	s_andn2_b64 s[6:7], s[6:7], exec
	s_and_b64 s[0:1], s[0:1], exec
	v_mov_b32_e32 v26, 0
	s_or_b64 s[6:7], s[6:7], s[0:1]
	s_or_b64 exec, exec, s[8:9]
	s_and_saveexec_b64 s[8:9], s[6:7]
	s_cbranch_execnz .LBB288_602
	s_branch .LBB288_603
.LBB288_799:                            ;   in Loop: Header=BB288_434 Depth=1
	v_cmp_eq_u16_sdwa s[28:29], v14, s22 src0_sel:BYTE_0 src1_sel:DWORD
	s_mov_b64 s[0:1], -1
                                        ; implicit-def: $sgpr20
	s_and_saveexec_b64 s[8:9], s[28:29]
; %bb.800:                              ;   in Loop: Header=BB288_434 Depth=1
	s_mov_b32 s20, 0x7fc02000
	s_xor_b64 s[0:1], exec, -1
; %bb.801:                              ;   in Loop: Header=BB288_434 Depth=1
	s_or_b64 exec, exec, s[8:9]
	s_and_b64 s[0:1], s[0:1], exec
	s_or_saveexec_b64 s[6:7], s[6:7]
	v_mov_b32_e32 v24, s20
	s_xor_b64 exec, exec, s[6:7]
	s_cbranch_execz .LBB288_607
.LBB288_802:                            ;   in Loop: Header=BB288_434 Depth=1
	v_cmp_ne_u16_sdwa s[8:9], v14, v1 src0_sel:BYTE_0 src1_sel:DWORD
	s_andn2_b64 s[0:1], s[0:1], exec
	s_and_b64 s[8:9], s[8:9], exec
	v_mov_b32_e32 v24, 0
	s_or_b64 s[0:1], s[0:1], s[8:9]
	s_or_b64 exec, exec, s[6:7]
	s_and_saveexec_b64 s[6:7], s[0:1]
	s_cbranch_execnz .LBB288_608
	s_branch .LBB288_609
.LBB288_803:                            ;   in Loop: Header=BB288_434 Depth=1
	v_cmp_eq_u16_e64 s[0:1], s22, v0
	s_mov_b64 s[6:7], -1
                                        ; implicit-def: $sgpr28
	s_and_saveexec_b64 s[20:21], s[0:1]
; %bb.804:                              ;   in Loop: Header=BB288_434 Depth=1
	s_mov_b32 s28, 0x7fc02000
	s_xor_b64 s[6:7], exec, -1
; %bb.805:                              ;   in Loop: Header=BB288_434 Depth=1
	s_or_b64 exec, exec, s[20:21]
	s_and_b64 s[6:7], s[6:7], exec
	s_or_saveexec_b64 s[8:9], s[8:9]
	v_mov_b32_e32 v30, s28
	s_xor_b64 exec, exec, s[8:9]
	s_cbranch_execz .LBB288_611
.LBB288_806:                            ;   in Loop: Header=BB288_434 Depth=1
	v_cmp_ne_u16_e64 s[0:1], 0, v0
	s_andn2_b64 s[6:7], s[6:7], exec
	s_and_b64 s[0:1], s[0:1], exec
	v_mov_b32_e32 v30, 0
	s_or_b64 s[6:7], s[6:7], s[0:1]
	s_or_b64 exec, exec, s[8:9]
	s_and_saveexec_b64 s[8:9], s[6:7]
	s_cbranch_execnz .LBB288_612
	s_branch .LBB288_613
.LBB288_807:                            ;   in Loop: Header=BB288_434 Depth=1
	v_cmp_eq_u16_sdwa s[28:29], v0, s22 src0_sel:BYTE_0 src1_sel:DWORD
	s_mov_b64 s[0:1], -1
                                        ; implicit-def: $sgpr20
	s_and_saveexec_b64 s[8:9], s[28:29]
; %bb.808:                              ;   in Loop: Header=BB288_434 Depth=1
	s_mov_b32 s20, 0x7fc02000
	s_xor_b64 s[0:1], exec, -1
; %bb.809:                              ;   in Loop: Header=BB288_434 Depth=1
	s_or_b64 exec, exec, s[8:9]
	s_and_b64 s[0:1], s[0:1], exec
	s_or_saveexec_b64 s[6:7], s[6:7]
	v_mov_b32_e32 v25, s20
	s_xor_b64 exec, exec, s[6:7]
	s_cbranch_execz .LBB288_615
.LBB288_810:                            ;   in Loop: Header=BB288_434 Depth=1
	v_cmp_ne_u16_sdwa s[8:9], v0, v1 src0_sel:BYTE_0 src1_sel:DWORD
	s_andn2_b64 s[0:1], s[0:1], exec
	s_and_b64 s[8:9], s[8:9], exec
	v_mov_b32_e32 v25, 0
	s_or_b64 s[0:1], s[0:1], s[8:9]
	s_or_b64 exec, exec, s[6:7]
	s_and_saveexec_b64 s[6:7], s[0:1]
	s_cbranch_execnz .LBB288_616
	s_branch .LBB288_617
.LBB288_811:                            ;   in Loop: Header=BB288_434 Depth=1
	v_cmp_eq_u16_e64 s[0:1], s22, v0
	s_mov_b64 s[6:7], -1
                                        ; implicit-def: $sgpr28
	s_and_saveexec_b64 s[20:21], s[0:1]
; %bb.812:                              ;   in Loop: Header=BB288_434 Depth=1
	s_mov_b32 s28, 0x7fc02000
	s_xor_b64 s[6:7], exec, -1
; %bb.813:                              ;   in Loop: Header=BB288_434 Depth=1
	s_or_b64 exec, exec, s[20:21]
	s_and_b64 s[6:7], s[6:7], exec
	s_or_saveexec_b64 s[8:9], s[8:9]
	v_mov_b32_e32 v31, s28
	s_xor_b64 exec, exec, s[8:9]
	s_cbranch_execz .LBB288_619
.LBB288_814:                            ;   in Loop: Header=BB288_434 Depth=1
	v_cmp_ne_u16_e64 s[0:1], 0, v0
	s_andn2_b64 s[6:7], s[6:7], exec
	s_and_b64 s[0:1], s[0:1], exec
	v_mov_b32_e32 v31, 0
	s_or_b64 s[6:7], s[6:7], s[0:1]
	s_or_b64 exec, exec, s[8:9]
	s_and_saveexec_b64 s[8:9], s[6:7]
	s_cbranch_execnz .LBB288_620
	s_branch .LBB288_621
.LBB288_815:                            ;   in Loop: Header=BB288_434 Depth=1
	v_cmp_eq_u16_sdwa s[28:29], v15, s22 src0_sel:BYTE_0 src1_sel:DWORD
	s_mov_b64 s[0:1], -1
                                        ; implicit-def: $sgpr20
	s_and_saveexec_b64 s[8:9], s[28:29]
; %bb.816:                              ;   in Loop: Header=BB288_434 Depth=1
	s_mov_b32 s20, 0x7fc02000
	s_xor_b64 s[0:1], exec, -1
; %bb.817:                              ;   in Loop: Header=BB288_434 Depth=1
	s_or_b64 exec, exec, s[8:9]
	s_and_b64 s[0:1], s[0:1], exec
	s_or_saveexec_b64 s[6:7], s[6:7]
	v_mov_b32_e32 v13, s20
	s_xor_b64 exec, exec, s[6:7]
	s_cbranch_execz .LBB288_623
.LBB288_818:                            ;   in Loop: Header=BB288_434 Depth=1
	v_cmp_ne_u16_sdwa s[8:9], v15, v1 src0_sel:BYTE_0 src1_sel:DWORD
	s_andn2_b64 s[0:1], s[0:1], exec
	s_and_b64 s[8:9], s[8:9], exec
	v_mov_b32_e32 v13, 0
	s_or_b64 s[0:1], s[0:1], s[8:9]
	s_or_b64 exec, exec, s[6:7]
	v_mov_b32_e32 v0, v15
	s_and_saveexec_b64 s[6:7], s[0:1]
	s_cbranch_execnz .LBB288_624
	s_branch .LBB288_625
.LBB288_819:                            ;   in Loop: Header=BB288_434 Depth=1
	v_cmp_eq_u16_e64 s[0:1], s22, v0
	s_mov_b64 s[6:7], -1
                                        ; implicit-def: $sgpr28
	s_and_saveexec_b64 s[20:21], s[0:1]
; %bb.820:                              ;   in Loop: Header=BB288_434 Depth=1
	s_mov_b32 s28, 0x7fc02000
	s_xor_b64 s[6:7], exec, -1
; %bb.821:                              ;   in Loop: Header=BB288_434 Depth=1
	s_or_b64 exec, exec, s[20:21]
	s_and_b64 s[6:7], s[6:7], exec
	s_or_saveexec_b64 s[8:9], s[8:9]
	v_mov_b32_e32 v14, s28
	s_xor_b64 exec, exec, s[8:9]
	s_cbranch_execz .LBB288_627
.LBB288_822:                            ;   in Loop: Header=BB288_434 Depth=1
	v_cmp_ne_u16_e64 s[0:1], 0, v0
	s_andn2_b64 s[6:7], s[6:7], exec
	s_and_b64 s[0:1], s[0:1], exec
	v_mov_b32_e32 v14, 0
	s_or_b64 s[6:7], s[6:7], s[0:1]
	s_or_b64 exec, exec, s[8:9]
	s_and_saveexec_b64 s[8:9], s[6:7]
	s_cbranch_execnz .LBB288_628
	s_branch .LBB288_629
.LBB288_823:                            ;   in Loop: Header=BB288_434 Depth=1
	v_cmp_eq_u16_sdwa s[28:29], v0, s22 src0_sel:BYTE_0 src1_sel:DWORD
	s_mov_b64 s[0:1], -1
                                        ; implicit-def: $sgpr20
	s_and_saveexec_b64 s[8:9], s[28:29]
; %bb.824:                              ;   in Loop: Header=BB288_434 Depth=1
	s_mov_b32 s20, 0x7fc02000
	s_xor_b64 s[0:1], exec, -1
; %bb.825:                              ;   in Loop: Header=BB288_434 Depth=1
	s_or_b64 exec, exec, s[8:9]
	s_and_b64 s[0:1], s[0:1], exec
	s_or_saveexec_b64 s[6:7], s[6:7]
	v_mov_b32_e32 v26, s20
	s_xor_b64 exec, exec, s[6:7]
	s_cbranch_execz .LBB288_631
.LBB288_826:                            ;   in Loop: Header=BB288_434 Depth=1
	v_cmp_ne_u16_sdwa s[8:9], v0, v1 src0_sel:BYTE_0 src1_sel:DWORD
	s_andn2_b64 s[0:1], s[0:1], exec
	s_and_b64 s[8:9], s[8:9], exec
	v_mov_b32_e32 v26, 0
	s_or_b64 s[0:1], s[0:1], s[8:9]
	s_or_b64 exec, exec, s[6:7]
	s_and_saveexec_b64 s[6:7], s[0:1]
	s_cbranch_execnz .LBB288_632
	s_branch .LBB288_633
.LBB288_827:                            ;   in Loop: Header=BB288_434 Depth=1
	v_cmp_eq_u16_e64 s[0:1], s22, v0
	s_mov_b64 s[6:7], -1
                                        ; implicit-def: $sgpr28
	s_and_saveexec_b64 s[20:21], s[0:1]
; %bb.828:                              ;   in Loop: Header=BB288_434 Depth=1
	s_mov_b32 s28, 0x7fc02000
	s_xor_b64 s[6:7], exec, -1
; %bb.829:                              ;   in Loop: Header=BB288_434 Depth=1
	s_or_b64 exec, exec, s[20:21]
	s_and_b64 s[6:7], s[6:7], exec
	s_or_saveexec_b64 s[8:9], s[8:9]
	v_mov_b32_e32 v27, s28
	s_xor_b64 exec, exec, s[8:9]
	s_cbranch_execz .LBB288_635
.LBB288_830:                            ;   in Loop: Header=BB288_434 Depth=1
	v_cmp_ne_u16_e64 s[0:1], 0, v0
	s_andn2_b64 s[6:7], s[6:7], exec
	s_and_b64 s[0:1], s[0:1], exec
	v_mov_b32_e32 v27, 0
	s_or_b64 s[6:7], s[6:7], s[0:1]
	s_or_b64 exec, exec, s[8:9]
	s_and_saveexec_b64 s[8:9], s[6:7]
	s_cbranch_execnz .LBB288_636
	s_branch .LBB288_637
.LBB288_831:
	s_or_b64 exec, exec, s[18:19]
.LBB288_832:
	s_or_b64 exec, exec, s[12:13]
	ds_bpermute_b32 v0, v49, v16
	ds_bpermute_b32 v1, v49, v17
	;; [unrolled: 1-line block ×6, first 2 shown]
	s_waitcnt lgkmcnt(0)
	v_pk_add_f32 v[0:1], v[16:17], v[0:1]
	ds_bpermute_b32 v6, v50, v0
	v_pk_add_f32 v[4:5], v[20:21], v[4:5]
	ds_bpermute_b32 v7, v50, v1
	ds_bpermute_b32 v10, v50, v4
	;; [unrolled: 1-line block ×3, first 2 shown]
	v_pk_add_f32 v[2:3], v[18:19], v[2:3]
	ds_bpermute_b32 v8, v50, v2
	ds_bpermute_b32 v9, v50, v3
	s_waitcnt lgkmcnt(0)
	v_pk_add_f32 v[6:7], v[0:1], v[6:7]
	v_pk_add_f32 v[0:1], v[4:5], v[10:11]
	v_accvgpr_read_b32 v4, a2
	v_and_b32_e32 v4, 0x3c3, v4
	v_pk_add_f32 v[2:3], v[2:3], v[8:9]
	v_cmp_eq_u32_e32 vcc, 64, v4
	s_barrier
	s_and_saveexec_b64 s[0:1], vcc
	s_cbranch_execz .LBB288_834
; %bb.833:
	v_add_u32_e32 v5, s3, v48
	ds_write2_b32 v5, v6, v7 offset1:16
	ds_write2_b32 v5, v2, v3 offset0:32 offset1:48
	ds_write2_b32 v5, v0, v1 offset0:64 offset1:80
.LBB288_834:
	s_or_b64 exec, exec, s[0:1]
	v_accvgpr_read_b32 v5, a2
	s_waitcnt lgkmcnt(0)
	s_barrier
	v_cmp_gt_u32_e32 vcc, 64, v5
	s_mov_b64 s[0:1], exec
	v_accvgpr_read_b32 v11, a1
	s_and_b64 s[4:5], s[0:1], vcc
	v_accvgpr_read_b32 v10, a0
	s_mov_b64 exec, s[4:5]
	s_cbranch_execz .LBB288_843
; %bb.835:
	v_accvgpr_read_b32 v5, a2
	v_lshrrev_b32_e32 v5, 2, v5
	v_cmp_eq_u32_e32 vcc, 0, v40
	v_lshl_add_u32 v5, v5, 2, s3
	s_and_saveexec_b64 s[4:5], vcc
	s_cbranch_execnz .LBB288_846
; %bb.836:
	s_or_b64 exec, exec, s[4:5]
	s_and_saveexec_b64 s[4:5], vcc
	s_cbranch_execnz .LBB288_847
.LBB288_837:
	s_or_b64 exec, exec, s[4:5]
	s_and_saveexec_b64 s[4:5], vcc
	s_cbranch_execnz .LBB288_848
.LBB288_838:
	s_or_b64 exec, exec, s[4:5]
	s_and_saveexec_b64 s[4:5], vcc
	s_cbranch_execnz .LBB288_849
.LBB288_839:
	s_or_b64 exec, exec, s[4:5]
	s_and_saveexec_b64 s[4:5], vcc
	s_cbranch_execnz .LBB288_850
.LBB288_840:
	s_or_b64 exec, exec, s[4:5]
	s_and_saveexec_b64 s[4:5], vcc
	s_cbranch_execz .LBB288_842
.LBB288_841:
	ds_read_b32 v5, v5 offset:320
	s_waitcnt lgkmcnt(0)
	v_add_f32_e32 v1, v1, v5
.LBB288_842:
	s_or_b64 exec, exec, s[4:5]
.LBB288_843:
	s_or_b64 exec, exec, s[0:1]
	v_cmp_eq_u32_e32 vcc, 0, v4
	s_barrier
	s_and_b64 exec, exec, vcc
	s_cbranch_execz .LBB288_845
; %bb.844:
	s_mul_i32 s0, s2, 0x60
	s_mul_i32 s2, s16, s17
	;; [unrolled: 1-line block ×3, first 2 shown]
	s_ashr_i32 s1, s0, 31
	s_ashr_i32 s3, s2, 31
	;; [unrolled: 1-line block ×3, first 2 shown]
	s_lshl_b64 s[0:1], s[0:1], 1
	s_lshl_b64 s[2:3], s[2:3], 1
	;; [unrolled: 1-line block ×3, first 2 shown]
	s_add_u32 s2, s4, s2
	s_addc_u32 s3, s5, s3
	s_add_u32 s0, s2, s0
	s_addc_u32 s1, s3, s1
	v_accvgpr_read_b32 v8, a2
	v_lshl_add_u64 v[4:5], s[0:1], 0, v[10:11]
	v_lshrrev_b32_e32 v8, 1, v8
	v_mov_b32_e32 v9, 0
	v_lshl_add_u64 v[4:5], v[4:5], 0, v[8:9]
	;;#ASMSTART
	v_cvt_f16_f32 v6, v6;

	;;#ASMEND
	flat_store_short v[4:5], v6
	;;#ASMSTART
	v_cvt_f16_f32 v6, v7;

	;;#ASMEND
	flat_store_short v[4:5], v6 offset:32
	;;#ASMSTART
	v_cvt_f16_f32 v2, v2;

	;;#ASMEND
	flat_store_short v[4:5], v2 offset:64
	;; [unrolled: 5-line block ×5, first 2 shown]
.LBB288_845:
	s_or_b64 exec, exec, s[10:11]
	scratch_load_dword a49, off, s32 offset:8 ; 4-byte Folded Reload
	scratch_load_dword a48, off, s32 offset:12 ; 4-byte Folded Reload
	;; [unrolled: 1-line block ×33, first 2 shown]
	v_readlane_b32 s30, v63, 6
	v_readlane_b32 s31, v63, 7
	;; [unrolled: 1-line block ×8, first 2 shown]
	s_or_saveexec_b64 s[0:1], -1
	scratch_load_dword v63, off, s32 offset:148 ; 4-byte Folded Reload
	s_mov_b64 exec, s[0:1]
	s_waitcnt vmcnt(0) lgkmcnt(0)
	s_setpc_b64 s[30:31]
.LBB288_846:
	ds_read_b32 v8, v5
	s_waitcnt lgkmcnt(0)
	v_add_f32_e32 v6, v6, v8
	s_or_b64 exec, exec, s[4:5]
	s_and_saveexec_b64 s[4:5], vcc
	s_cbranch_execz .LBB288_837
.LBB288_847:
	ds_read_b32 v8, v5 offset:64
	s_waitcnt lgkmcnt(0)
	v_add_f32_e32 v7, v7, v8
	s_or_b64 exec, exec, s[4:5]
	s_and_saveexec_b64 s[4:5], vcc
	s_cbranch_execz .LBB288_838
.LBB288_848:
	ds_read_b32 v8, v5 offset:128
	s_waitcnt lgkmcnt(0)
	v_add_f32_e32 v2, v2, v8
	s_or_b64 exec, exec, s[4:5]
	s_and_saveexec_b64 s[4:5], vcc
	s_cbranch_execz .LBB288_839
.LBB288_849:
	ds_read_b32 v8, v5 offset:192
	s_waitcnt lgkmcnt(0)
	v_add_f32_e32 v3, v3, v8
	s_or_b64 exec, exec, s[4:5]
	s_and_saveexec_b64 s[4:5], vcc
	s_cbranch_execz .LBB288_840
.LBB288_850:
	ds_read_b32 v8, v5 offset:256
	s_waitcnt lgkmcnt(0)
	v_add_f32_e32 v0, v0, v8
	s_or_b64 exec, exec, s[4:5]
	s_and_saveexec_b64 s[4:5], vcc
	s_cbranch_execnz .LBB288_841
	s_branch .LBB288_842
.Lfunc_end288:
	.size	_ZN4vllm22paged_attention_kernelIthLi96ELi32ELi128ELNS_18Fp8KVCacheDataTypeE1ELb1ELi512EEEvPfS2_PT_PKS3_PKT0_S9_ifPKiSB_iPKfiiiSD_SD_iiiii, .Lfunc_end288-_ZN4vllm22paged_attention_kernelIthLi96ELi32ELi128ELNS_18Fp8KVCacheDataTypeE1ELb1ELi512EEEvPfS2_PT_PKS3_PKT0_S9_ifPKiSB_iPKfiiiSD_SD_iiiii
                                        ; -- End function
	.section	.AMDGPU.csdata,"",@progbits
; Function info:
; codeLenInByte = 36232
; NumSgprs: 46
; NumVgprs: 64
; NumAgprs: 50
; TotalNumVgprs: 114
; ScratchSize: 156
; MemoryBound: 0
	.section	.text._ZN4vllm25paged_attention_v2_kernelIthLi96ELi32ELi128ELNS_18Fp8KVCacheDataTypeE1ELb1ELi512EEEvPfS2_PT_PKS3_PKT0_S9_ifPKiSB_iPKfiiiSD_SD_iiiii,"axG",@progbits,_ZN4vllm25paged_attention_v2_kernelIthLi96ELi32ELi128ELNS_18Fp8KVCacheDataTypeE1ELb1ELi512EEEvPfS2_PT_PKS3_PKT0_S9_ifPKiSB_iPKfiiiSD_SD_iiiii,comdat
	.protected	_ZN4vllm25paged_attention_v2_kernelIthLi96ELi32ELi128ELNS_18Fp8KVCacheDataTypeE1ELb1ELi512EEEvPfS2_PT_PKS3_PKT0_S9_ifPKiSB_iPKfiiiSD_SD_iiiii ; -- Begin function _ZN4vllm25paged_attention_v2_kernelIthLi96ELi32ELi128ELNS_18Fp8KVCacheDataTypeE1ELb1ELi512EEEvPfS2_PT_PKS3_PKT0_S9_ifPKiSB_iPKfiiiSD_SD_iiiii
	.globl	_ZN4vllm25paged_attention_v2_kernelIthLi96ELi32ELi128ELNS_18Fp8KVCacheDataTypeE1ELb1ELi512EEEvPfS2_PT_PKS3_PKT0_S9_ifPKiSB_iPKfiiiSD_SD_iiiii
	.p2align	8
	.type	_ZN4vllm25paged_attention_v2_kernelIthLi96ELi32ELi128ELNS_18Fp8KVCacheDataTypeE1ELb1ELi512EEEvPfS2_PT_PKS3_PKT0_S9_ifPKiSB_iPKfiiiSD_SD_iiiii,@function
_ZN4vllm25paged_attention_v2_kernelIthLi96ELi32ELi128ELNS_18Fp8KVCacheDataTypeE1ELb1ELi512EEEvPfS2_PT_PKS3_PKT0_S9_ifPKiSB_iPKfiiiSD_SD_iiiii: ; @_ZN4vllm25paged_attention_v2_kernelIthLi96ELi32ELi128ELNS_18Fp8KVCacheDataTypeE1ELb1ELi512EEEvPfS2_PT_PKS3_PKT0_S9_ifPKiSB_iPKfiiiSD_SD_iiiii
; %bb.0:
	s_load_dwordx8 s[24:31], s[0:1], 0x0
	s_load_dwordx8 s[16:23], s[0:1], 0x20
	s_load_dwordx2 s[6:7], s[0:1], 0x40
	s_load_dwordx4 s[44:47], s[0:1], 0x78
	s_load_dword s5, s[0:1], 0x88
	s_load_dwordx2 s[10:11], s[0:1], 0x50
	s_load_dword s33, s[0:1], 0x48
	s_load_dwordx8 s[36:43], s[0:1], 0x58
	s_mov_b32 s32, 0
	s_waitcnt lgkmcnt(0)
	v_mov_b32_e32 v2, s47
	v_mov_b32_e32 v3, s5
	s_add_u32 s8, s0, 0x90
	scratch_store_dwordx2 off, v[2:3], s32
	s_addc_u32 s9, s1, 0
	s_mov_b32 s12, s2
	s_mov_b32 s13, s3
	;; [unrolled: 1-line block ×4, first 2 shown]
	v_mov_b32_e32 v31, v0
	v_mov_b32_e32 v0, s24
	;; [unrolled: 1-line block ×32, first 2 shown]
	s_getpc_b64 s[0:1]
	s_add_u32 s0, s0, _ZN4vllm22paged_attention_kernelIthLi96ELi32ELi128ELNS_18Fp8KVCacheDataTypeE1ELb1ELi512EEEvPfS2_PT_PKS3_PKT0_S9_ifPKiSB_iPKfiiiSD_SD_iiiii@rel32@lo+4
	s_addc_u32 s1, s1, _ZN4vllm22paged_attention_kernelIthLi96ELi32ELi128ELNS_18Fp8KVCacheDataTypeE1ELb1ELi512EEEvPfS2_PT_PKS3_PKT0_S9_ifPKiSB_iPKfiiiSD_SD_iiiii@rel32@hi+12
	s_swappc_b64 s[30:31], s[0:1]
	s_endpgm
	.section	.rodata,"a",@progbits
	.p2align	6, 0x0
	.amdhsa_kernel _ZN4vllm25paged_attention_v2_kernelIthLi96ELi32ELi128ELNS_18Fp8KVCacheDataTypeE1ELb1ELi512EEEvPfS2_PT_PKS3_PKT0_S9_ifPKiSB_iPKfiiiSD_SD_iiiii
		.amdhsa_group_segment_fixed_size 208
		.amdhsa_private_segment_fixed_size 156
		.amdhsa_kernarg_size 400
		.amdhsa_user_sgpr_count 2
		.amdhsa_user_sgpr_dispatch_ptr 0
		.amdhsa_user_sgpr_queue_ptr 0
		.amdhsa_user_sgpr_kernarg_segment_ptr 1
		.amdhsa_user_sgpr_dispatch_id 0
		.amdhsa_user_sgpr_kernarg_preload_length 0
		.amdhsa_user_sgpr_kernarg_preload_offset 0
		.amdhsa_user_sgpr_private_segment_size 0
		.amdhsa_uses_dynamic_stack 0
		.amdhsa_enable_private_segment 1
		.amdhsa_system_sgpr_workgroup_id_x 1
		.amdhsa_system_sgpr_workgroup_id_y 1
		.amdhsa_system_sgpr_workgroup_id_z 1
		.amdhsa_system_sgpr_workgroup_info 0
		.amdhsa_system_vgpr_workitem_id 0
		.amdhsa_next_free_vgpr 114
		.amdhsa_next_free_sgpr 48
		.amdhsa_accum_offset 64
		.amdhsa_reserve_vcc 1
		.amdhsa_float_round_mode_32 0
		.amdhsa_float_round_mode_16_64 0
		.amdhsa_float_denorm_mode_32 3
		.amdhsa_float_denorm_mode_16_64 3
		.amdhsa_dx10_clamp 1
		.amdhsa_ieee_mode 1
		.amdhsa_fp16_overflow 0
		.amdhsa_tg_split 0
		.amdhsa_exception_fp_ieee_invalid_op 0
		.amdhsa_exception_fp_denorm_src 0
		.amdhsa_exception_fp_ieee_div_zero 0
		.amdhsa_exception_fp_ieee_overflow 0
		.amdhsa_exception_fp_ieee_underflow 0
		.amdhsa_exception_fp_ieee_inexact 0
		.amdhsa_exception_int_div_zero 0
	.end_amdhsa_kernel
	.section	.text._ZN4vllm25paged_attention_v2_kernelIthLi96ELi32ELi128ELNS_18Fp8KVCacheDataTypeE1ELb1ELi512EEEvPfS2_PT_PKS3_PKT0_S9_ifPKiSB_iPKfiiiSD_SD_iiiii,"axG",@progbits,_ZN4vllm25paged_attention_v2_kernelIthLi96ELi32ELi128ELNS_18Fp8KVCacheDataTypeE1ELb1ELi512EEEvPfS2_PT_PKS3_PKT0_S9_ifPKiSB_iPKfiiiSD_SD_iiiii,comdat
.Lfunc_end289:
	.size	_ZN4vllm25paged_attention_v2_kernelIthLi96ELi32ELi128ELNS_18Fp8KVCacheDataTypeE1ELb1ELi512EEEvPfS2_PT_PKS3_PKT0_S9_ifPKiSB_iPKfiiiSD_SD_iiiii, .Lfunc_end289-_ZN4vllm25paged_attention_v2_kernelIthLi96ELi32ELi128ELNS_18Fp8KVCacheDataTypeE1ELb1ELi512EEEvPfS2_PT_PKS3_PKT0_S9_ifPKiSB_iPKfiiiSD_SD_iiiii
                                        ; -- End function
	.section	.AMDGPU.csdata,"",@progbits
; Kernel info:
; codeLenInByte = 272
; NumSgprs: 54
; NumVgprs: 64
; NumAgprs: 50
; TotalNumVgprs: 114
; ScratchSize: 156
; MemoryBound: 0
; FloatMode: 240
; IeeeMode: 1
; LDSByteSize: 208 bytes/workgroup (compile time only)
; SGPRBlocks: 6
; VGPRBlocks: 14
; NumSGPRsForWavesPerEU: 54
; NumVGPRsForWavesPerEU: 114
; AccumOffset: 64
; Occupancy: 4
; WaveLimiterHint : 1
; COMPUTE_PGM_RSRC2:SCRATCH_EN: 1
; COMPUTE_PGM_RSRC2:USER_SGPR: 2
; COMPUTE_PGM_RSRC2:TRAP_HANDLER: 0
; COMPUTE_PGM_RSRC2:TGID_X_EN: 1
; COMPUTE_PGM_RSRC2:TGID_Y_EN: 1
; COMPUTE_PGM_RSRC2:TGID_Z_EN: 1
; COMPUTE_PGM_RSRC2:TIDIG_COMP_CNT: 0
; COMPUTE_PGM_RSRC3_GFX90A:ACCUM_OFFSET: 15
; COMPUTE_PGM_RSRC3_GFX90A:TG_SPLIT: 0
	.text
	.p2align	2                               ; -- Begin function _ZN4vllm22paged_attention_kernelIthLi112ELi32ELi128ELNS_18Fp8KVCacheDataTypeE1ELb1ELi512EEEvPfS2_PT_PKS3_PKT0_S9_ifPKiSB_iPKfiiiSD_SD_iiiii
	.type	_ZN4vllm22paged_attention_kernelIthLi112ELi32ELi128ELNS_18Fp8KVCacheDataTypeE1ELb1ELi512EEEvPfS2_PT_PKS3_PKT0_S9_ifPKiSB_iPKfiiiSD_SD_iiiii,@function
_ZN4vllm22paged_attention_kernelIthLi112ELi32ELi128ELNS_18Fp8KVCacheDataTypeE1ELb1ELi512EEEvPfS2_PT_PKS3_PKT0_S9_ifPKiSB_iPKfiiiSD_SD_iiiii: ; @_ZN4vllm22paged_attention_kernelIthLi112ELi32ELi128ELNS_18Fp8KVCacheDataTypeE1ELb1ELi512EEEvPfS2_PT_PKS3_PKT0_S9_ifPKiSB_iPKfiiiSD_SD_iiiii
; %bb.0:
	s_waitcnt vmcnt(0) expcnt(0) lgkmcnt(0)
	s_or_saveexec_b64 s[0:1], -1
	scratch_store_dword off, v63, s32 offset:188 ; 4-byte Folded Spill
	s_mov_b64 exec, s[0:1]
	scratch_store_dword off, v40, s32 offset:176 ; 4-byte Folded Spill
	scratch_store_dword off, v41, s32 offset:172 ; 4-byte Folded Spill
	;; [unrolled: 1-line block ×43, first 2 shown]
	v_writelane_b32 v63, s34, 0
	v_writelane_b32 v63, s35, 1
	;; [unrolled: 1-line block ×7, first 2 shown]
	s_nop 1
	v_writelane_b32 v63, s31, 7
	s_mov_b32 s20, s13
	v_accvgpr_write_b32 a19, v11
	s_ashr_i32 s21, s13, 31
	v_accvgpr_write_b32 a17, v15
	v_accvgpr_write_b32 a18, v10
	v_lshl_add_u64 v[10:11], s[20:21], 2, v[16:17]
	v_accvgpr_write_b32 a16, v14
	v_accvgpr_write_b32 a34, v13
	scratch_load_dword v13, off, s32 offset:4
	s_nop 0
	flat_load_dword v10, v[10:11]
	s_nop 0
	scratch_load_dword v14, off, s32
	v_accvgpr_write_b32 a4, v26
	v_accvgpr_write_b32 a33, v25
	s_lshl_b32 s21, s14, 9
	v_accvgpr_write_b32 a35, v30
	v_accvgpr_write_b32 a5, v27
	;; [unrolled: 1-line block ×4, first 2 shown]
	v_mov_b32_e32 v33, v20
	v_mov_b32_e32 v32, v19
	s_waitcnt vmcnt(0) lgkmcnt(0)
	v_accvgpr_write_b32 a8, v10
	v_cmp_lt_i32_e32 vcc, s21, v10
	s_and_saveexec_b64 s[16:17], vcc
	s_cbranch_execz .LBB290_976
; %bb.1:
	v_accvgpr_write_b32 a23, v3
	v_accvgpr_write_b32 a22, v2
	v_sub_u32_e32 v2, 0, v12
	v_max_i32_e32 v2, v12, v2
	v_cvt_f32_u32_e32 v3, v2
	s_load_dword s0, s[8:9], 0x10
	s_load_dword s2, s[8:9], 0x0
	v_accvgpr_write_b32 a0, v4
	v_accvgpr_write_b32 a1, v5
	v_rcp_iflag_f32_e32 v3, v3
	s_waitcnt lgkmcnt(0)
	s_lshr_b32 s0, s0, 16
	s_cmp_lg_u32 s0, 0
	s_cselect_b64 s[0:1], -1, 0
	v_mul_f32_e32 v3, 0x4f7ffffe, v3
	v_cvt_u32_f32_e32 v3, v3
	v_sub_u32_e32 v5, 0, v2
	s_cmp_lg_u64 s[0:1], 0
	s_mov_b32 s10, s15
	v_mul_lo_u32 v5, v5, v3
	s_addc_u32 s15, s2, 0
	v_mul_hi_u32 v5, v3, v5
	s_abs_i32 s0, s15
	v_add_u32_e32 v3, v3, v5
	v_mul_hi_u32 v3, s0, v3
	v_mul_lo_u32 v5, v3, v2
	v_sub_u32_e32 v5, s0, v5
	v_add_u32_e32 v10, 1, v3
	v_cmp_ge_u32_e32 vcc, v5, v2
	v_xor_b32_e32 v4, s15, v12
	v_ashrrev_i32_e32 v4, 31, v4
	v_cndmask_b32_e32 v3, v3, v10, vcc
	v_sub_u32_e32 v10, v5, v2
	v_cndmask_b32_e32 v5, v5, v10, vcc
	v_add_u32_e32 v10, 1, v3
	v_cmp_ge_u32_e32 vcc, v5, v2
	v_accvgpr_write_b32 a21, v1
	s_abs_i32 s2, s12
	v_cndmask_b32_e32 v2, v3, v10, vcc
	v_xor_b32_e32 v2, v2, v4
	v_sub_u32_e32 v2, v2, v4
	v_sub_u32_e32 v3, 0, v2
	v_max_i32_e32 v3, v2, v3
	v_cvt_f32_u32_e32 v4, v3
	v_sub_u32_e32 v5, 0, v3
	v_accvgpr_write_b32 a20, v0
	v_cmp_ne_u64_e32 vcc, 0, v[32:33]
	v_rcp_iflag_f32_e32 v4, v4
	v_mov_b32_e32 v0, 0
	scratch_store_dword off, v0, s32 offset:184 ; 4-byte Folded Spill
	v_mul_f32_e32 v4, 0x4f7ffffe, v4
	v_cvt_u32_f32_e32 v4, v4
	v_mul_lo_u32 v5, v5, v4
	v_mul_hi_u32 v5, v4, v5
	v_add_u32_e32 v4, v4, v5
	v_mad_u64_u32 v[34:35], s[0:1], s2, v4, 0
	s_and_saveexec_b64 s[0:1], vcc
	s_cbranch_execz .LBB290_3
; %bb.2:
	s_ashr_i32 s13, s12, 31
	v_lshl_add_u64 v[4:5], s[12:13], 2, v[32:33]
	flat_load_dword v0, v[4:5]
	s_waitcnt vmcnt(0) lgkmcnt(0)
	scratch_store_dword off, v0, s32 offset:184 ; 4-byte Folded Spill
.LBB290_3:
	s_or_b64 exec, exec, s[0:1]
	v_and_b32_e32 v5, 0x3ff, v31
	v_lshlrev_b32_e32 v0, 3, v5
	s_ashr_i32 s3, s12, 31
	v_ashrrev_i32_e32 v4, 31, v2
	v_and_b32_e32 v2, 1, v5
	s_movk_i32 s4, 0x70
	s_mul_i32 s18, s12, 0x70
	v_cmp_gt_u32_e32 vcc, 28, v5
	v_accvgpr_write_b32 a2, v5
	v_accvgpr_write_b32 a24, v0
	s_and_saveexec_b64 s[0:1], vcc
	s_cbranch_execz .LBB290_5
; %bb.4:
	v_mul_lo_u32 v10, s20, v21
	v_ashrrev_i32_e32 v11, 31, v10
	v_lshl_add_u64 v[6:7], v[10:11], 1, v[6:7]
	s_ashr_i32 s19, s18, 31
	v_lshl_add_u64 v[6:7], s[18:19], 1, v[6:7]
	v_accvgpr_read_b32 v0, a24
	v_mov_b32_e32 v1, 0
	v_lshl_add_u64 v[6:7], v[6:7], 0, v[0:1]
	flat_load_dwordx2 v[6:7], v[6:7]
	v_accvgpr_read_b32 v5, a2
	v_lshlrev_b32_e32 v5, 2, v5
	v_and_b32_e32 v5, 0xff8, v5
	v_mad_u32_u24 v5, v2, s4, v5
	s_waitcnt vmcnt(0) lgkmcnt(0)
	ds_write_b64 v5, v[6:7]
.LBB290_5:
	s_or_b64 exec, exec, s[0:1]
	v_mul_lo_u32 v5, v35, v3
	v_sub_u32_e32 v5, s2, v5
	v_add_u32_e32 v6, 1, v35
	v_cmp_ge_u32_e32 vcc, v5, v3
	v_sub_u32_e32 v7, v5, v3
	v_xor_b32_e32 v4, s3, v4
	v_cndmask_b32_e32 v6, v35, v6, vcc
	v_cndmask_b32_e32 v5, v5, v7, vcc
	v_add_u32_e32 v7, 1, v6
	v_cmp_ge_u32_e32 vcc, v5, v3
	v_sub_u32_e32 v5, 0, v14
	s_waitcnt lgkmcnt(0)
	v_cndmask_b32_e32 v3, v6, v7, vcc
	v_max_i32_e32 v6, v14, v5
	v_cvt_f32_u32_e32 v5, v6
	v_xor_b32_e32 v3, v3, v4
	v_sub_u32_e32 v32, v3, v4
	v_accvgpr_read_b32 v4, a8
	v_rcp_iflag_f32_e32 v3, v5
	v_accvgpr_write_b32 a3, v6
	v_sub_u32_e32 v6, 0, v6
	v_add_u32_e32 v4, -1, v4
	v_mul_f32_e32 v3, 0x4f7ffffe, v3
	v_cvt_u32_f32_e32 v5, v3
	v_sub_u32_e32 v3, 0, v4
	v_max_i32_e32 v3, v4, v3
	v_cmp_gt_i32_e32 vcc, 0, v13
	v_mul_lo_u32 v6, v6, v5
	v_mul_hi_u32 v6, v5, v6
	v_add_u32_e32 v5, v5, v6
	v_accvgpr_write_b32 a7, v5
	v_mad_u64_u32 v[34:35], s[0:1], v3, v5, 0
	s_barrier
	s_waitcnt lgkmcnt(0)
                                        ; implicit-def: $agpr10
	s_and_saveexec_b64 s[0:1], vcc
	s_xor_b64 s[0:1], exec, s[0:1]
; %bb.6:
	v_mad_u64_u32 v[6:7], s[2:3], v28, v12, v[32:33]
	v_mul_lo_u32 v0, v6, v13
	v_sub_u32_e32 v0, 1, v0
	v_accvgpr_write_b32 a10, v0
                                        ; implicit-def: $vgpr28
                                        ; implicit-def: $vgpr13
; %bb.7:
	s_or_saveexec_b64 s[0:1], s[0:1]
	v_ashrrev_i32_e32 v1, 31, v14
	v_ashrrev_i32_e32 v4, 31, v4
	v_accvgpr_write_b32 a9, v1
	s_xor_b64 exec, exec, s[0:1]
; %bb.8:
	v_mul_lo_u32 v1, s15, v28
	v_add_u32_e32 v1, s12, v1
	v_mad_u64_u32 v[0:1], s[2:3], v1, v13, 1
	v_accvgpr_write_b32 a10, v0
; %bb.9:
	s_or_b64 exec, exec, s[0:1]
	v_mul_lo_u32 v0, s20, v18
	v_ashrrev_i32_e32 v1, 31, v0
	v_accvgpr_write_b32 a27, v1
	v_accvgpr_read_b32 v5, a3
	v_accvgpr_write_b32 a26, v0
	v_mul_lo_u32 v1, v35, v5
	v_accvgpr_read_b32 v0, a9
	v_sub_u32_e32 v1, v3, v1
	v_xor_b32_e32 v0, v4, v0
	v_add_u32_e32 v3, 1, v35
	v_cmp_ge_u32_e32 vcc, v1, v5
	v_sub_u32_e32 v4, v1, v5
	s_lshl_b32 s19, s14, 4
	v_cndmask_b32_e32 v3, v35, v3, vcc
	v_cndmask_b32_e32 v1, v1, v4, vcc
	v_add_u32_e32 v4, 1, v3
	v_cmp_ge_u32_e32 vcc, v1, v5
	s_add_i32 s0, s19, 16
	s_load_dword s34, s[8:9], 0x14
	s_load_dword s13, s[8:9], 0x8
	v_cndmask_b32_e32 v1, v3, v4, vcc
	v_xor_b32_e32 v1, v1, v0
	v_accvgpr_read_b32 v4, a8
	v_sub_u32_e32 v0, v1, v0
	v_add_u32_e32 v1, 31, v4
	v_ashrrev_i32_e32 v3, 31, v1
	v_lshrrev_b32_e32 v3, 27, v3
	v_add_u32_e32 v1, v1, v3
	v_ashrrev_i32_e32 v1, 5, v1
	v_accvgpr_write_b32 a28, v1
	v_min_i32_e32 v3, s0, v1
	v_accvgpr_read_b32 v1, a2
	v_lshrrev_b32_e32 v1, 6, v1
	v_sub_u32_e32 v0, v0, v29
	v_or_b32_e32 v4, s19, v1
	v_accvgpr_write_b32 a14, v0
	v_mul_lo_u32 v6, v32, v23
	v_accvgpr_read_b32 v0, a35
	v_ashrrev_i32_e32 v5, 31, v4
	v_ashrrev_i32_e32 v7, 31, v6
	v_sub_u32_e32 v0, 0, v0
	v_accvgpr_write_b32 a13, v5
	v_accvgpr_write_b32 a31, v7
	;; [unrolled: 1-line block ×4, first 2 shown]
	v_lshl_add_u32 v0, v1, 5, s21
	v_mbcnt_lo_u32_b32 v1, -1, 0
	v_accvgpr_write_b32 a11, v3
	v_cmp_lt_i32_e64 s[0:1], v4, v3
	v_mov_b32_e32 v3, 0xff7fffff
	v_accvgpr_write_b32 a12, v4
	v_accvgpr_write_b32 a30, v6
	;; [unrolled: 1-line block ×3, first 2 shown]
	scratch_store_dword off, v3, s32 offset:180 ; 4-byte Folded Spill
	s_mov_b64 s[8:9], exec
	s_and_b64 s[2:3], s[8:9], s[0:1]
	v_accvgpr_write_b32 a15, v0
	s_mov_b64 exec, s[2:3]
	s_cbranch_execz .LBB290_467
; %bb.10:
	v_accvgpr_read_b32 v0, a2
	v_bfe_u32 v6, v0, 1, 5
	v_accvgpr_read_b32 v0, a30
	v_accvgpr_read_b32 v1, a31
	v_lshl_add_u64 v[0:1], v[8:9], 0, v[0:1]
	v_lshlrev_b32_e32 v8, 4, v6
	v_mov_b32_e32 v9, 0
	v_lshl_add_u64 v[0:1], v[0:1], 0, v[8:9]
	v_accvgpr_write_b32 a39, v1
	v_accvgpr_write_b32 a38, v0
	v_mul_u32_u24_e32 v0, 0x70, v2
	v_accvgpr_write_b32 a42, v0
	v_accvgpr_read_b32 v0, a35
	v_accvgpr_read_b32 v1, a29
	v_cmp_eq_u32_e32 vcc, 0, v2
	v_lshlrev_b32_e32 v4, 2, v2
	v_max_i32_e32 v2, v0, v1
	scratch_load_dword v1, off, s32 offset:184 ; 4-byte Folded Reload
	v_cvt_f32_u32_e32 v0, v2
	v_mov_b32_e32 v5, v9
	v_accvgpr_write_b32 a41, v5
	v_accvgpr_write_b32 a43, v2
	v_rcp_iflag_f32_e32 v0, v0
	v_accvgpr_write_b32 a40, v4
	v_accvgpr_read_b32 v4, a26
	v_accvgpr_read_b32 v5, a27
	v_mul_f32_e32 v0, 0x4f7ffffe, v0
	v_cvt_u32_f32_e32 v0, v0
	s_ashr_i32 s11, s10, 31
	s_lshl_b64 s[4:5], s[10:11], 2
	s_getpc_b64 s[6:7]
	s_add_u32 s6, s6, llvm.amdgcn.dynlds.offset.table@rel32@lo+4
	s_addc_u32 s7, s7, llvm.amdgcn.dynlds.offset.table@rel32@hi+12
	s_add_u32 s22, s4, s6
	s_addc_u32 s23, s5, s7
	s_load_dword s11, s[22:23], 0x0
	v_accvgpr_write_b32 a37, v6
	s_mov_b64 s[24:25], 0
	s_movk_i32 s35, 0x7f
	s_movk_i32 s36, 0x80
	s_mov_b32 s37, 0x8000
	s_waitcnt vmcnt(0)
	v_cmp_neq_f32_e64 s[2:3], 0, v1
	v_sub_u32_e32 v1, 0, v2
	v_mul_lo_u32 v1, v1, v0
	v_mul_hi_u32 v1, v0, v1
	v_accvgpr_read_b32 v2, a12
	v_add_u32_e32 v0, v0, v1
	v_accvgpr_read_b32 v3, a13
	v_accvgpr_write_b32 a44, v0
	v_lshlrev_b64 v[0:1], 2, v[2:3]
	v_lshl_add_u64 v[0:1], v[4:5], 2, v[0:1]
	v_accvgpr_read_b32 v4, a16
	v_accvgpr_read_b32 v5, a17
	v_lshl_add_u64 v[0:1], v[4:5], 0, v[0:1]
	v_accvgpr_write_b32 a47, v1
	v_accvgpr_write_b32 a46, v0
	v_accvgpr_read_b32 v1, a25
	v_lshlrev_b32_e32 v0, 2, v6
	v_lshl_or_b32 v0, v1, 7, v0
	v_accvgpr_write_b32 a48, v0
	v_accvgpr_read_b32 v0, a8
	v_sub_u32_e32 v0, v6, v0
	v_add_u32_e32 v0, 1, v0
	v_accvgpr_write_b32 a49, v0
	v_accvgpr_read_b32 v0, a36
	v_lshl_add_u32 v3, v1, 5, s21
	v_mbcnt_hi_u32_b32 v0, -1, v0
	v_mov_b32_e32 v1, v3
	v_accvgpr_write_b32 a50, v0
	v_mov_b32_e32 v0, 0xff7fffff
	scratch_store_dword off, v0, s32 offset:180 ; 4-byte Folded Spill
	s_branch .LBB290_13
.LBB290_11:                             ;   in Loop: Header=BB290_13 Depth=1
	s_or_b64 exec, exec, s[26:27]
.LBB290_12:                             ;   in Loop: Header=BB290_13 Depth=1
	s_or_b64 exec, exec, s[6:7]
	s_waitcnt lgkmcnt(0)
	v_accvgpr_read_b32 v0, a46
	v_accvgpr_read_b32 v1, a47
	v_lshl_add_u64 v[0:1], v[0:1], 0, 8
	v_accvgpr_read_b32 v2, a51
	v_accvgpr_write_b32 a47, v1
	v_add_u32_e32 v2, 2, v2
	v_accvgpr_write_b32 a46, v0
	v_accvgpr_read_b32 v0, a11
	v_cmp_ge_i32_e64 s[4:5], v2, v0
	v_accvgpr_read_b32 v0, a48
	v_accvgpr_read_b32 v1, a45
	v_add_u32_e32 v0, 0x100, v0
	v_add_u32_e32 v1, 64, v1
	s_or_b64 s[24:25], s[4:5], s[24:25]
	v_accvgpr_write_b32 a48, v0
	s_andn2_b64 exec, exec, s[24:25]
	s_cbranch_execz .LBB290_466
.LBB290_13:                             ; =>This Inner Loop Header: Depth=1
	v_accvgpr_write_b32 a51, v2
	v_ashrrev_i32_e32 v0, 31, v1
	v_mov_b32_e32 v2, v1
	v_accvgpr_read_b32 v1, a9
	v_xor_b32_e32 v0, v0, v1
	v_sub_u32_e32 v1, 0, v2
	v_accvgpr_write_b32 a45, v2
	v_max_i32_e32 v1, v2, v1
	v_accvgpr_read_b32 v2, a7
	v_mul_hi_u32 v2, v1, v2
	v_accvgpr_read_b32 v4, a3
	v_mul_lo_u32 v3, v2, v4
	v_sub_u32_e32 v1, v1, v3
	v_add_u32_e32 v3, 1, v2
	v_cmp_ge_u32_e64 s[4:5], v1, v4
	s_nop 1
	v_cndmask_b32_e64 v2, v2, v3, s[4:5]
	v_sub_u32_e32 v3, v1, v4
	v_cndmask_b32_e64 v1, v1, v3, s[4:5]
	v_add_u32_e32 v3, 1, v2
	v_cmp_ge_u32_e64 s[4:5], v1, v4
	v_accvgpr_read_b32 v4, a44
	s_nop 0
	v_cndmask_b32_e64 v1, v2, v3, s[4:5]
	v_xor_b32_e32 v1, v1, v0
	v_sub_u32_e32 v0, v1, v0
	v_accvgpr_read_b32 v2, a10
	v_add_u32_e32 v1, v0, v2
	v_sub_u32_e32 v3, 0, v1
	v_ashrrev_i32_e32 v2, 31, v1
	v_max_i32_e32 v1, v1, v3
	v_mul_hi_u32 v3, v1, v4
	v_accvgpr_read_b32 v4, a43
	v_mul_lo_u32 v3, v3, v4
	v_sub_u32_e32 v1, v1, v3
	v_sub_u32_e32 v3, v1, v4
	v_cmp_ge_u32_e64 s[4:5], v1, v4
	s_nop 1
	v_cndmask_b32_e64 v1, v1, v3, s[4:5]
	v_sub_u32_e32 v3, v1, v4
	v_cmp_ge_u32_e64 s[4:5], v1, v4
	s_nop 1
	v_cndmask_b32_e64 v1, v1, v3, s[4:5]
	v_xor_b32_e32 v1, v1, v2
	v_sub_u32_e32 v1, v1, v2
	v_cmp_ne_u32_e64 s[4:5], 0, v1
	v_accvgpr_read_b32 v1, a14
	v_cmp_le_i32_e64 s[6:7], v0, v1
	s_and_b64 s[4:5], s[4:5], s[6:7]
	s_and_b64 s[26:27], vcc, s[4:5]
	s_and_saveexec_b64 s[6:7], s[26:27]
	s_cbranch_execz .LBB290_15
; %bb.14:                               ;   in Loop: Header=BB290_13 Depth=1
	v_accvgpr_read_b32 v0, a48
	s_waitcnt lgkmcnt(0)
	v_add_u32_e32 v0, s11, v0
	v_mov_b32_e32 v1, 0xff7fffff
	ds_write_b32 v0, v1
.LBB290_15:                             ;   in Loop: Header=BB290_13 Depth=1
	s_or_b64 exec, exec, s[6:7]
	s_xor_b64 s[4:5], s[4:5], -1
	s_and_saveexec_b64 s[6:7], s[4:5]
	s_cbranch_execz .LBB290_12
; %bb.16:                               ;   in Loop: Header=BB290_13 Depth=1
	v_accvgpr_read_b32 v0, a46
	v_accvgpr_read_b32 v1, a47
	flat_load_dword v0, v[0:1]
	v_accvgpr_read_b32 v4, a38
	v_accvgpr_read_b32 v2, a6
	;; [unrolled: 1-line block ×3, first 2 shown]
                                        ; implicit-def: $sgpr30
	s_waitcnt vmcnt(0) lgkmcnt(0)
	v_mad_i64_i32 v[0:1], s[4:5], v0, v2, v[4:5]
	v_accvgpr_read_b32 v2, a40
	v_accvgpr_read_b32 v3, a41
	v_lshl_add_u64 v[38:39], v[0:1], 0, v[2:3]
	v_accvgpr_read_b32 v0, a32
	flat_load_dword v50, v[38:39]
	v_accvgpr_read_b32 v1, a33
	flat_load_dword v61, v[0:1]
	s_mov_b64 s[4:5], 0
	s_waitcnt vmcnt(0) lgkmcnt(0)
	v_cmp_gt_i16_sdwa s[26:27], v50, s35 src0_sel:BYTE_0 src1_sel:DWORD
	s_and_saveexec_b64 s[28:29], s[26:27]
	s_xor_b64 s[26:27], exec, s[28:29]
	s_cbranch_execnz .LBB290_246
; %bb.17:                               ;   in Loop: Header=BB290_13 Depth=1
	s_or_saveexec_b64 s[26:27], s[26:27]
	v_mov_b32_e32 v0, s30
	s_xor_b64 exec, exec, s[26:27]
	s_cbranch_execnz .LBB290_249
.LBB290_18:                             ;   in Loop: Header=BB290_13 Depth=1
	s_or_b64 exec, exec, s[26:27]
	s_and_saveexec_b64 s[26:27], s[4:5]
	s_cbranch_execz .LBB290_20
.LBB290_19:                             ;   in Loop: Header=BB290_13 Depth=1
	v_and_b32_e32 v2, 7, v50
	v_ffbh_u32_e32 v0, v2
	v_min_u32_e32 v4, 32, v0
	v_subrev_u32_e32 v0, 28, v4
	v_bfe_u32 v3, v50, 3, 4
	v_lshlrev_b64 v[0:1], v0, v[50:51]
	v_sub_u32_e32 v1, 29, v4
	v_cmp_eq_u32_e64 s[4:5], 0, v3
	v_and_b32_e32 v0, 7, v0
	s_nop 0
	v_cndmask_b32_e64 v1, v3, v1, s[4:5]
	v_mov_b32_e32 v3, 0x1c00
	v_cndmask_b32_e64 v0, v2, v0, s[4:5]
	v_lshlrev_b32_e32 v2, 8, v50
	v_lshl_add_u32 v1, v1, 10, v3
	v_and_or_b32 v1, v2, s37, v1
	v_lshl_or_b32 v0, v0, 7, v1
	v_cvt_f32_f16_e32 v0, v0
.LBB290_20:                             ;   in Loop: Header=BB290_13 Depth=1
	s_or_b64 exec, exec, s[26:27]
	v_lshrrev_b16_e32 v8, 8, v50
	v_accvgpr_write_b32 a59, v0
	v_cmp_lt_i16_e64 s[4:5], s35, v8
	s_mov_b64 s[26:27], 0
                                        ; implicit-def: $sgpr38
	s_and_saveexec_b64 s[28:29], s[4:5]
	s_xor_b64 s[28:29], exec, s[28:29]
	s_cbranch_execnz .LBB290_250
; %bb.21:                               ;   in Loop: Header=BB290_13 Depth=1
	s_or_saveexec_b64 s[28:29], s[28:29]
	v_mov_b32_e32 v16, s38
	s_xor_b64 exec, exec, s[28:29]
	s_cbranch_execnz .LBB290_253
.LBB290_22:                             ;   in Loop: Header=BB290_13 Depth=1
	s_or_b64 exec, exec, s[28:29]
	s_and_saveexec_b64 s[28:29], s[26:27]
	s_cbranch_execz .LBB290_24
.LBB290_23:                             ;   in Loop: Header=BB290_13 Depth=1
	v_and_b32_e32 v2, 7, v8
	v_ffbh_u32_e32 v0, v2
	v_min_u32_e32 v4, 32, v0
	v_subrev_u32_e32 v0, 28, v4
	v_bfe_u32 v3, v8, 3, 4
	v_lshlrev_b64 v[0:1], v0, v[8:9]
	v_sub_u32_e32 v1, 29, v4
	v_cmp_eq_u32_e64 s[4:5], 0, v3
	v_and_b32_e32 v0, 7, v0
	s_nop 0
	v_cndmask_b32_e64 v1, v3, v1, s[4:5]
	v_mov_b32_e32 v3, 0x1c00
	v_cndmask_b32_e64 v0, v2, v0, s[4:5]
	v_lshlrev_b32_e32 v2, 8, v8
	v_lshl_add_u32 v1, v1, 10, v3
	v_and_or_b32 v1, v2, s37, v1
	v_lshl_or_b32 v0, v0, 7, v1
	v_cvt_f32_f16_e32 v16, v0
.LBB290_24:                             ;   in Loop: Header=BB290_13 Depth=1
	s_or_b64 exec, exec, s[28:29]
	v_lshrrev_b32_e32 v8, 16, v50
	v_cmp_gt_i16_sdwa s[26:27], v8, s35 src0_sel:BYTE_0 src1_sel:DWORD
	s_mov_b64 s[4:5], 0
                                        ; implicit-def: $sgpr30
	s_and_saveexec_b64 s[28:29], s[26:27]
	s_xor_b64 s[26:27], exec, s[28:29]
	s_cbranch_execnz .LBB290_254
; %bb.25:                               ;   in Loop: Header=BB290_13 Depth=1
	s_or_saveexec_b64 s[26:27], s[26:27]
	v_mov_b32_e32 v11, s30
	s_xor_b64 exec, exec, s[26:27]
	s_cbranch_execnz .LBB290_257
.LBB290_26:                             ;   in Loop: Header=BB290_13 Depth=1
	s_or_b64 exec, exec, s[26:27]
	s_and_saveexec_b64 s[26:27], s[4:5]
	s_cbranch_execz .LBB290_28
.LBB290_27:                             ;   in Loop: Header=BB290_13 Depth=1
	v_bfe_u32 v2, v50, 16, 3
	v_ffbh_u32_e32 v0, v2
	v_min_u32_e32 v4, 32, v0
	v_subrev_u32_e32 v0, 28, v4
	v_bfe_u32 v3, v50, 19, 4
	v_lshlrev_b64 v[0:1], v0, v[8:9]
	v_sub_u32_e32 v1, 29, v4
	v_cmp_eq_u32_e64 s[4:5], 0, v3
	v_and_b32_e32 v0, 7, v0
	s_nop 0
	v_cndmask_b32_e64 v1, v3, v1, s[4:5]
	v_mov_b32_e32 v3, 0x1c00
	v_cndmask_b32_e64 v0, v2, v0, s[4:5]
	v_lshlrev_b32_e32 v2, 8, v8
	v_lshl_add_u32 v1, v1, 10, v3
	v_and_or_b32 v1, v2, s37, v1
	v_lshl_or_b32 v0, v0, 7, v1
	v_cvt_f32_f16_e32 v11, v0
.LBB290_28:                             ;   in Loop: Header=BB290_13 Depth=1
	s_or_b64 exec, exec, s[26:27]
	v_lshrrev_b32_e32 v8, 24, v50
	v_cmp_lt_i16_e64 s[4:5], s35, v8
	s_mov_b64 s[26:27], 0
                                        ; implicit-def: $sgpr38
	s_and_saveexec_b64 s[28:29], s[4:5]
	s_xor_b64 s[28:29], exec, s[28:29]
	s_cbranch_execnz .LBB290_258
; %bb.29:                               ;   in Loop: Header=BB290_13 Depth=1
	s_or_saveexec_b64 s[28:29], s[28:29]
	v_mov_b32_e32 v23, s38
	s_xor_b64 exec, exec, s[28:29]
	s_cbranch_execnz .LBB290_261
.LBB290_30:                             ;   in Loop: Header=BB290_13 Depth=1
	s_or_b64 exec, exec, s[28:29]
	s_and_saveexec_b64 s[28:29], s[26:27]
	s_cbranch_execz .LBB290_32
.LBB290_31:                             ;   in Loop: Header=BB290_13 Depth=1
	v_bfe_u32 v2, v50, 24, 3
	v_ffbh_u32_e32 v0, v2
	v_min_u32_e32 v4, 32, v0
	v_subrev_u32_e32 v0, 28, v4
	v_bfe_u32 v3, v50, 27, 4
	v_lshlrev_b64 v[0:1], v0, v[8:9]
	v_sub_u32_e32 v1, 29, v4
	v_cmp_eq_u32_e64 s[4:5], 0, v3
	v_and_b32_e32 v0, 7, v0
	s_nop 0
	v_cndmask_b32_e64 v1, v3, v1, s[4:5]
	v_mov_b32_e32 v3, 0x1c00
	v_cndmask_b32_e64 v0, v2, v0, s[4:5]
	v_lshlrev_b32_e32 v2, 8, v8
	v_lshl_add_u32 v1, v1, 10, v3
	v_and_or_b32 v1, v2, s37, v1
	v_lshl_or_b32 v0, v0, 7, v1
	v_cvt_f32_f16_e32 v23, v0
.LBB290_32:                             ;   in Loop: Header=BB290_13 Depth=1
	s_or_b64 exec, exec, s[28:29]
	flat_load_dword v50, v[38:39] offset:8
	s_mov_b64 s[4:5], 0
                                        ; implicit-def: $sgpr30
	s_waitcnt vmcnt(0) lgkmcnt(0)
	v_cmp_gt_i16_sdwa s[26:27], v50, s35 src0_sel:BYTE_0 src1_sel:DWORD
	s_and_saveexec_b64 s[28:29], s[26:27]
	s_xor_b64 s[26:27], exec, s[28:29]
	s_cbranch_execnz .LBB290_262
; %bb.33:                               ;   in Loop: Header=BB290_13 Depth=1
	s_or_saveexec_b64 s[26:27], s[26:27]
	v_mov_b32_e32 v28, s30
	s_xor_b64 exec, exec, s[26:27]
	s_cbranch_execnz .LBB290_265
.LBB290_34:                             ;   in Loop: Header=BB290_13 Depth=1
	s_or_b64 exec, exec, s[26:27]
	s_and_saveexec_b64 s[26:27], s[4:5]
	s_cbranch_execz .LBB290_36
.LBB290_35:                             ;   in Loop: Header=BB290_13 Depth=1
	v_and_b32_e32 v2, 7, v50
	v_ffbh_u32_e32 v0, v2
	v_min_u32_e32 v4, 32, v0
	v_subrev_u32_e32 v0, 28, v4
	v_bfe_u32 v3, v50, 3, 4
	v_lshlrev_b64 v[0:1], v0, v[50:51]
	v_sub_u32_e32 v1, 29, v4
	v_cmp_eq_u32_e64 s[4:5], 0, v3
	v_and_b32_e32 v0, 7, v0
	s_nop 0
	v_cndmask_b32_e64 v1, v3, v1, s[4:5]
	v_mov_b32_e32 v3, 0x1c00
	v_cndmask_b32_e64 v0, v2, v0, s[4:5]
	v_lshlrev_b32_e32 v2, 8, v50
	v_lshl_add_u32 v1, v1, 10, v3
	v_and_or_b32 v1, v2, s37, v1
	v_lshl_or_b32 v0, v0, 7, v1
	v_cvt_f32_f16_e32 v28, v0
.LBB290_36:                             ;   in Loop: Header=BB290_13 Depth=1
	s_or_b64 exec, exec, s[26:27]
	v_lshrrev_b16_e32 v8, 8, v50
	v_cmp_lt_i16_e64 s[4:5], s35, v8
	s_mov_b64 s[26:27], 0
                                        ; implicit-def: $sgpr38
	s_and_saveexec_b64 s[28:29], s[4:5]
	s_xor_b64 s[28:29], exec, s[28:29]
	s_cbranch_execnz .LBB290_266
; %bb.37:                               ;   in Loop: Header=BB290_13 Depth=1
	s_or_saveexec_b64 s[28:29], s[28:29]
	v_mov_b32_e32 v36, s38
	s_xor_b64 exec, exec, s[28:29]
	s_cbranch_execnz .LBB290_269
.LBB290_38:                             ;   in Loop: Header=BB290_13 Depth=1
	s_or_b64 exec, exec, s[28:29]
	s_and_saveexec_b64 s[28:29], s[26:27]
	s_cbranch_execz .LBB290_40
.LBB290_39:                             ;   in Loop: Header=BB290_13 Depth=1
	v_and_b32_e32 v2, 7, v8
	v_ffbh_u32_e32 v0, v2
	v_min_u32_e32 v4, 32, v0
	v_subrev_u32_e32 v0, 28, v4
	v_bfe_u32 v3, v8, 3, 4
	v_lshlrev_b64 v[0:1], v0, v[8:9]
	v_sub_u32_e32 v1, 29, v4
	v_cmp_eq_u32_e64 s[4:5], 0, v3
	v_and_b32_e32 v0, 7, v0
	s_nop 0
	v_cndmask_b32_e64 v1, v3, v1, s[4:5]
	v_mov_b32_e32 v3, 0x1c00
	v_cndmask_b32_e64 v0, v2, v0, s[4:5]
	v_lshlrev_b32_e32 v2, 8, v8
	v_lshl_add_u32 v1, v1, 10, v3
	v_and_or_b32 v1, v2, s37, v1
	v_lshl_or_b32 v0, v0, 7, v1
	v_cvt_f32_f16_e32 v36, v0
.LBB290_40:                             ;   in Loop: Header=BB290_13 Depth=1
	s_or_b64 exec, exec, s[28:29]
	v_lshrrev_b32_e32 v8, 16, v50
	v_cmp_gt_i16_sdwa s[26:27], v8, s35 src0_sel:BYTE_0 src1_sel:DWORD
	s_mov_b64 s[4:5], 0
                                        ; implicit-def: $sgpr30
	s_and_saveexec_b64 s[28:29], s[26:27]
	s_xor_b64 s[26:27], exec, s[28:29]
	s_cbranch_execnz .LBB290_270
; %bb.41:                               ;   in Loop: Header=BB290_13 Depth=1
	s_or_saveexec_b64 s[26:27], s[26:27]
	v_mov_b32_e32 v37, s30
	s_xor_b64 exec, exec, s[26:27]
	s_cbranch_execnz .LBB290_273
.LBB290_42:                             ;   in Loop: Header=BB290_13 Depth=1
	s_or_b64 exec, exec, s[26:27]
	s_and_saveexec_b64 s[26:27], s[4:5]
	s_cbranch_execz .LBB290_44
.LBB290_43:                             ;   in Loop: Header=BB290_13 Depth=1
	v_bfe_u32 v2, v50, 16, 3
	v_ffbh_u32_e32 v0, v2
	v_min_u32_e32 v4, 32, v0
	v_subrev_u32_e32 v0, 28, v4
	v_bfe_u32 v3, v50, 19, 4
	v_lshlrev_b64 v[0:1], v0, v[8:9]
	v_sub_u32_e32 v1, 29, v4
	v_cmp_eq_u32_e64 s[4:5], 0, v3
	v_and_b32_e32 v0, 7, v0
	s_nop 0
	v_cndmask_b32_e64 v1, v3, v1, s[4:5]
	v_mov_b32_e32 v3, 0x1c00
	v_cndmask_b32_e64 v0, v2, v0, s[4:5]
	v_lshlrev_b32_e32 v2, 8, v8
	v_lshl_add_u32 v1, v1, 10, v3
	v_and_or_b32 v1, v2, s37, v1
	v_lshl_or_b32 v0, v0, 7, v1
	v_cvt_f32_f16_e32 v37, v0
.LBB290_44:                             ;   in Loop: Header=BB290_13 Depth=1
	s_or_b64 exec, exec, s[26:27]
	v_lshrrev_b32_e32 v8, 24, v50
	v_cmp_lt_i16_e64 s[4:5], s35, v8
	s_mov_b64 s[26:27], 0
                                        ; implicit-def: $sgpr38
	s_and_saveexec_b64 s[28:29], s[4:5]
	s_xor_b64 s[28:29], exec, s[28:29]
	s_cbranch_execnz .LBB290_274
; %bb.45:                               ;   in Loop: Header=BB290_13 Depth=1
	s_or_saveexec_b64 s[28:29], s[28:29]
	v_mov_b32_e32 v29, s38
	s_xor_b64 exec, exec, s[28:29]
	s_cbranch_execnz .LBB290_277
.LBB290_46:                             ;   in Loop: Header=BB290_13 Depth=1
	s_or_b64 exec, exec, s[28:29]
	s_and_saveexec_b64 s[28:29], s[26:27]
	s_cbranch_execz .LBB290_48
.LBB290_47:                             ;   in Loop: Header=BB290_13 Depth=1
	v_bfe_u32 v2, v50, 24, 3
	v_ffbh_u32_e32 v0, v2
	v_min_u32_e32 v4, 32, v0
	v_subrev_u32_e32 v0, 28, v4
	v_bfe_u32 v3, v50, 27, 4
	v_lshlrev_b64 v[0:1], v0, v[8:9]
	v_sub_u32_e32 v1, 29, v4
	v_cmp_eq_u32_e64 s[4:5], 0, v3
	v_and_b32_e32 v0, 7, v0
	s_nop 0
	v_cndmask_b32_e64 v1, v3, v1, s[4:5]
	v_mov_b32_e32 v3, 0x1c00
	v_cndmask_b32_e64 v0, v2, v0, s[4:5]
	v_lshlrev_b32_e32 v2, 8, v8
	v_lshl_add_u32 v1, v1, 10, v3
	v_and_or_b32 v1, v2, s37, v1
	v_lshl_or_b32 v0, v0, 7, v1
	v_cvt_f32_f16_e32 v29, v0
.LBB290_48:                             ;   in Loop: Header=BB290_13 Depth=1
	s_or_b64 exec, exec, s[28:29]
	flat_load_dword v50, v[38:39] offset:512
	s_mov_b64 s[4:5], 0
                                        ; implicit-def: $sgpr30
	s_waitcnt vmcnt(0) lgkmcnt(0)
	v_cmp_gt_i16_sdwa s[26:27], v50, s35 src0_sel:BYTE_0 src1_sel:DWORD
	s_and_saveexec_b64 s[28:29], s[26:27]
	s_xor_b64 s[26:27], exec, s[28:29]
	s_cbranch_execnz .LBB290_278
; %bb.49:                               ;   in Loop: Header=BB290_13 Depth=1
	s_or_saveexec_b64 s[26:27], s[26:27]
	v_mov_b32_e32 v46, s30
	s_xor_b64 exec, exec, s[26:27]
	s_cbranch_execnz .LBB290_281
.LBB290_50:                             ;   in Loop: Header=BB290_13 Depth=1
	s_or_b64 exec, exec, s[26:27]
	s_and_saveexec_b64 s[26:27], s[4:5]
	s_cbranch_execz .LBB290_52
.LBB290_51:                             ;   in Loop: Header=BB290_13 Depth=1
	v_and_b32_e32 v2, 7, v50
	v_ffbh_u32_e32 v0, v2
	v_min_u32_e32 v4, 32, v0
	v_subrev_u32_e32 v0, 28, v4
	v_bfe_u32 v3, v50, 3, 4
	v_lshlrev_b64 v[0:1], v0, v[50:51]
	v_sub_u32_e32 v1, 29, v4
	v_cmp_eq_u32_e64 s[4:5], 0, v3
	v_and_b32_e32 v0, 7, v0
	s_nop 0
	v_cndmask_b32_e64 v1, v3, v1, s[4:5]
	v_mov_b32_e32 v3, 0x1c00
	v_cndmask_b32_e64 v0, v2, v0, s[4:5]
	v_lshlrev_b32_e32 v2, 8, v50
	v_lshl_add_u32 v1, v1, 10, v3
	v_and_or_b32 v1, v2, s37, v1
	v_lshl_or_b32 v0, v0, 7, v1
	v_cvt_f32_f16_e32 v46, v0
.LBB290_52:                             ;   in Loop: Header=BB290_13 Depth=1
	s_or_b64 exec, exec, s[26:27]
	v_lshrrev_b16_e32 v8, 8, v50
	v_cmp_lt_i16_e64 s[4:5], s35, v8
	s_mov_b64 s[26:27], 0
                                        ; implicit-def: $sgpr38
	s_and_saveexec_b64 s[28:29], s[4:5]
	s_xor_b64 s[28:29], exec, s[28:29]
	s_cbranch_execnz .LBB290_282
; %bb.53:                               ;   in Loop: Header=BB290_13 Depth=1
	s_or_saveexec_b64 s[28:29], s[28:29]
	v_mov_b32_e32 v58, s38
	s_xor_b64 exec, exec, s[28:29]
	s_cbranch_execnz .LBB290_285
.LBB290_54:                             ;   in Loop: Header=BB290_13 Depth=1
	s_or_b64 exec, exec, s[28:29]
	s_and_saveexec_b64 s[28:29], s[26:27]
	s_cbranch_execz .LBB290_56
.LBB290_55:                             ;   in Loop: Header=BB290_13 Depth=1
	v_and_b32_e32 v2, 7, v8
	v_ffbh_u32_e32 v0, v2
	v_min_u32_e32 v4, 32, v0
	v_subrev_u32_e32 v0, 28, v4
	v_bfe_u32 v3, v8, 3, 4
	v_lshlrev_b64 v[0:1], v0, v[8:9]
	v_sub_u32_e32 v1, 29, v4
	v_cmp_eq_u32_e64 s[4:5], 0, v3
	v_and_b32_e32 v0, 7, v0
	s_nop 0
	v_cndmask_b32_e64 v1, v3, v1, s[4:5]
	v_mov_b32_e32 v3, 0x1c00
	v_cndmask_b32_e64 v0, v2, v0, s[4:5]
	v_lshlrev_b32_e32 v2, 8, v8
	v_lshl_add_u32 v1, v1, 10, v3
	v_and_or_b32 v1, v2, s37, v1
	v_lshl_or_b32 v0, v0, 7, v1
	v_cvt_f32_f16_e32 v58, v0
.LBB290_56:                             ;   in Loop: Header=BB290_13 Depth=1
	s_or_b64 exec, exec, s[28:29]
	v_lshrrev_b32_e32 v8, 16, v50
	v_cmp_gt_i16_sdwa s[26:27], v8, s35 src0_sel:BYTE_0 src1_sel:DWORD
	s_mov_b64 s[4:5], 0
                                        ; implicit-def: $sgpr30
	s_and_saveexec_b64 s[28:29], s[26:27]
	s_xor_b64 s[26:27], exec, s[28:29]
	s_cbranch_execnz .LBB290_286
; %bb.57:                               ;   in Loop: Header=BB290_13 Depth=1
	s_or_saveexec_b64 s[26:27], s[26:27]
	v_mov_b32_e32 v30, s30
	s_xor_b64 exec, exec, s[26:27]
	s_cbranch_execnz .LBB290_289
.LBB290_58:                             ;   in Loop: Header=BB290_13 Depth=1
	s_or_b64 exec, exec, s[26:27]
	s_and_saveexec_b64 s[26:27], s[4:5]
	s_cbranch_execz .LBB290_60
.LBB290_59:                             ;   in Loop: Header=BB290_13 Depth=1
	v_bfe_u32 v2, v50, 16, 3
	v_ffbh_u32_e32 v0, v2
	v_min_u32_e32 v4, 32, v0
	v_subrev_u32_e32 v0, 28, v4
	v_bfe_u32 v3, v50, 19, 4
	v_lshlrev_b64 v[0:1], v0, v[8:9]
	v_sub_u32_e32 v1, 29, v4
	v_cmp_eq_u32_e64 s[4:5], 0, v3
	v_and_b32_e32 v0, 7, v0
	s_nop 0
	v_cndmask_b32_e64 v1, v3, v1, s[4:5]
	v_mov_b32_e32 v3, 0x1c00
	v_cndmask_b32_e64 v0, v2, v0, s[4:5]
	v_lshlrev_b32_e32 v2, 8, v8
	v_lshl_add_u32 v1, v1, 10, v3
	v_and_or_b32 v1, v2, s37, v1
	v_lshl_or_b32 v0, v0, 7, v1
	v_cvt_f32_f16_e32 v30, v0
.LBB290_60:                             ;   in Loop: Header=BB290_13 Depth=1
	s_or_b64 exec, exec, s[26:27]
	v_lshrrev_b32_e32 v8, 24, v50
	v_cmp_lt_i16_e64 s[4:5], s35, v8
	s_mov_b64 s[26:27], 0
                                        ; implicit-def: $sgpr38
	s_and_saveexec_b64 s[28:29], s[4:5]
	s_xor_b64 s[28:29], exec, s[28:29]
	s_cbranch_execnz .LBB290_290
; %bb.61:                               ;   in Loop: Header=BB290_13 Depth=1
	s_or_saveexec_b64 s[28:29], s[28:29]
	v_mov_b32_e32 v54, s38
	s_xor_b64 exec, exec, s[28:29]
	s_cbranch_execnz .LBB290_293
.LBB290_62:                             ;   in Loop: Header=BB290_13 Depth=1
	s_or_b64 exec, exec, s[28:29]
	s_and_saveexec_b64 s[28:29], s[26:27]
	s_cbranch_execz .LBB290_64
.LBB290_63:                             ;   in Loop: Header=BB290_13 Depth=1
	v_bfe_u32 v2, v50, 24, 3
	v_ffbh_u32_e32 v0, v2
	v_min_u32_e32 v4, 32, v0
	v_subrev_u32_e32 v0, 28, v4
	v_bfe_u32 v3, v50, 27, 4
	v_lshlrev_b64 v[0:1], v0, v[8:9]
	v_sub_u32_e32 v1, 29, v4
	v_cmp_eq_u32_e64 s[4:5], 0, v3
	v_and_b32_e32 v0, 7, v0
	s_nop 0
	v_cndmask_b32_e64 v1, v3, v1, s[4:5]
	v_mov_b32_e32 v3, 0x1c00
	v_cndmask_b32_e64 v0, v2, v0, s[4:5]
	v_lshlrev_b32_e32 v2, 8, v8
	v_lshl_add_u32 v1, v1, 10, v3
	v_and_or_b32 v1, v2, s37, v1
	v_lshl_or_b32 v0, v0, 7, v1
	v_cvt_f32_f16_e32 v54, v0
.LBB290_64:                             ;   in Loop: Header=BB290_13 Depth=1
	s_or_b64 exec, exec, s[28:29]
	flat_load_dword v50, v[38:39] offset:520
	s_mov_b64 s[4:5], 0
                                        ; implicit-def: $sgpr30
	s_waitcnt vmcnt(0) lgkmcnt(0)
	v_cmp_gt_i16_sdwa s[26:27], v50, s35 src0_sel:BYTE_0 src1_sel:DWORD
	s_and_saveexec_b64 s[28:29], s[26:27]
	s_xor_b64 s[26:27], exec, s[28:29]
	s_cbranch_execnz .LBB290_294
; %bb.65:                               ;   in Loop: Header=BB290_13 Depth=1
	s_or_saveexec_b64 s[26:27], s[26:27]
	v_mov_b32_e32 v47, s30
	s_xor_b64 exec, exec, s[26:27]
	s_cbranch_execnz .LBB290_297
.LBB290_66:                             ;   in Loop: Header=BB290_13 Depth=1
	s_or_b64 exec, exec, s[26:27]
	s_and_saveexec_b64 s[26:27], s[4:5]
	s_cbranch_execz .LBB290_68
.LBB290_67:                             ;   in Loop: Header=BB290_13 Depth=1
	v_and_b32_e32 v2, 7, v50
	v_ffbh_u32_e32 v0, v2
	v_min_u32_e32 v4, 32, v0
	v_subrev_u32_e32 v0, 28, v4
	v_bfe_u32 v3, v50, 3, 4
	v_lshlrev_b64 v[0:1], v0, v[50:51]
	v_sub_u32_e32 v1, 29, v4
	v_cmp_eq_u32_e64 s[4:5], 0, v3
	v_and_b32_e32 v0, 7, v0
	s_nop 0
	v_cndmask_b32_e64 v1, v3, v1, s[4:5]
	v_mov_b32_e32 v3, 0x1c00
	v_cndmask_b32_e64 v0, v2, v0, s[4:5]
	v_lshlrev_b32_e32 v2, 8, v50
	v_lshl_add_u32 v1, v1, 10, v3
	v_and_or_b32 v1, v2, s37, v1
	v_lshl_or_b32 v0, v0, 7, v1
	v_cvt_f32_f16_e32 v47, v0
.LBB290_68:                             ;   in Loop: Header=BB290_13 Depth=1
	s_or_b64 exec, exec, s[26:27]
	v_lshrrev_b16_e32 v8, 8, v50
	v_cmp_lt_i16_e64 s[4:5], s35, v8
	s_mov_b64 s[26:27], 0
                                        ; implicit-def: $sgpr38
	s_and_saveexec_b64 s[28:29], s[4:5]
	s_xor_b64 s[28:29], exec, s[28:29]
	s_cbranch_execnz .LBB290_298
; %bb.69:                               ;   in Loop: Header=BB290_13 Depth=1
	s_or_saveexec_b64 s[28:29], s[28:29]
	v_mov_b32_e32 v60, s38
	s_xor_b64 exec, exec, s[28:29]
	s_cbranch_execnz .LBB290_301
.LBB290_70:                             ;   in Loop: Header=BB290_13 Depth=1
	s_or_b64 exec, exec, s[28:29]
	s_and_saveexec_b64 s[28:29], s[26:27]
	s_cbranch_execz .LBB290_72
.LBB290_71:                             ;   in Loop: Header=BB290_13 Depth=1
	v_and_b32_e32 v2, 7, v8
	v_ffbh_u32_e32 v0, v2
	v_min_u32_e32 v4, 32, v0
	v_subrev_u32_e32 v0, 28, v4
	v_bfe_u32 v3, v8, 3, 4
	v_lshlrev_b64 v[0:1], v0, v[8:9]
	v_sub_u32_e32 v1, 29, v4
	v_cmp_eq_u32_e64 s[4:5], 0, v3
	v_and_b32_e32 v0, 7, v0
	s_nop 0
	v_cndmask_b32_e64 v1, v3, v1, s[4:5]
	v_mov_b32_e32 v3, 0x1c00
	v_cndmask_b32_e64 v0, v2, v0, s[4:5]
	v_lshlrev_b32_e32 v2, 8, v8
	v_lshl_add_u32 v1, v1, 10, v3
	v_and_or_b32 v1, v2, s37, v1
	v_lshl_or_b32 v0, v0, 7, v1
	v_cvt_f32_f16_e32 v60, v0
.LBB290_72:                             ;   in Loop: Header=BB290_13 Depth=1
	s_or_b64 exec, exec, s[28:29]
	v_lshrrev_b32_e32 v8, 16, v50
	v_cmp_gt_i16_sdwa s[26:27], v8, s35 src0_sel:BYTE_0 src1_sel:DWORD
	s_mov_b64 s[4:5], 0
                                        ; implicit-def: $sgpr30
	s_and_saveexec_b64 s[28:29], s[26:27]
	s_xor_b64 s[26:27], exec, s[28:29]
	s_cbranch_execnz .LBB290_302
; %bb.73:                               ;   in Loop: Header=BB290_13 Depth=1
	s_or_saveexec_b64 s[26:27], s[26:27]
	v_mov_b32_e32 v43, s30
	s_xor_b64 exec, exec, s[26:27]
	s_cbranch_execnz .LBB290_305
.LBB290_74:                             ;   in Loop: Header=BB290_13 Depth=1
	s_or_b64 exec, exec, s[26:27]
	s_and_saveexec_b64 s[26:27], s[4:5]
	s_cbranch_execz .LBB290_76
.LBB290_75:                             ;   in Loop: Header=BB290_13 Depth=1
	v_bfe_u32 v2, v50, 16, 3
	v_ffbh_u32_e32 v0, v2
	v_min_u32_e32 v4, 32, v0
	v_subrev_u32_e32 v0, 28, v4
	v_bfe_u32 v3, v50, 19, 4
	v_lshlrev_b64 v[0:1], v0, v[8:9]
	v_sub_u32_e32 v1, 29, v4
	v_cmp_eq_u32_e64 s[4:5], 0, v3
	v_and_b32_e32 v0, 7, v0
	s_nop 0
	v_cndmask_b32_e64 v1, v3, v1, s[4:5]
	v_mov_b32_e32 v3, 0x1c00
	v_cndmask_b32_e64 v0, v2, v0, s[4:5]
	v_lshlrev_b32_e32 v2, 8, v8
	v_lshl_add_u32 v1, v1, 10, v3
	v_and_or_b32 v1, v2, s37, v1
	v_lshl_or_b32 v0, v0, 7, v1
	v_cvt_f32_f16_e32 v43, v0
.LBB290_76:                             ;   in Loop: Header=BB290_13 Depth=1
	s_or_b64 exec, exec, s[26:27]
	v_lshrrev_b32_e32 v8, 24, v50
	v_cmp_lt_i16_e64 s[4:5], s35, v8
	s_mov_b64 s[26:27], 0
                                        ; implicit-def: $sgpr38
	s_and_saveexec_b64 s[28:29], s[4:5]
	s_xor_b64 s[28:29], exec, s[28:29]
	s_cbranch_execnz .LBB290_306
; %bb.77:                               ;   in Loop: Header=BB290_13 Depth=1
	s_or_saveexec_b64 s[28:29], s[28:29]
	v_mov_b32_e32 v45, s38
	s_xor_b64 exec, exec, s[28:29]
	s_cbranch_execnz .LBB290_309
.LBB290_78:                             ;   in Loop: Header=BB290_13 Depth=1
	s_or_b64 exec, exec, s[28:29]
	s_and_saveexec_b64 s[28:29], s[26:27]
	s_cbranch_execz .LBB290_80
.LBB290_79:                             ;   in Loop: Header=BB290_13 Depth=1
	v_bfe_u32 v2, v50, 24, 3
	v_ffbh_u32_e32 v0, v2
	v_min_u32_e32 v4, 32, v0
	v_subrev_u32_e32 v0, 28, v4
	v_bfe_u32 v3, v50, 27, 4
	v_lshlrev_b64 v[0:1], v0, v[8:9]
	v_sub_u32_e32 v1, 29, v4
	v_cmp_eq_u32_e64 s[4:5], 0, v3
	v_and_b32_e32 v0, 7, v0
	s_nop 0
	v_cndmask_b32_e64 v1, v3, v1, s[4:5]
	v_mov_b32_e32 v3, 0x1c00
	v_cndmask_b32_e64 v0, v2, v0, s[4:5]
	v_lshlrev_b32_e32 v2, 8, v8
	v_lshl_add_u32 v1, v1, 10, v3
	v_and_or_b32 v1, v2, s37, v1
	v_lshl_or_b32 v0, v0, 7, v1
	v_cvt_f32_f16_e32 v45, v0
.LBB290_80:                             ;   in Loop: Header=BB290_13 Depth=1
	s_or_b64 exec, exec, s[28:29]
	flat_load_dword v50, v[38:39] offset:1024
	s_mov_b64 s[4:5], 0
                                        ; implicit-def: $sgpr30
	s_waitcnt vmcnt(0) lgkmcnt(0)
	v_cmp_gt_i16_sdwa s[26:27], v50, s35 src0_sel:BYTE_0 src1_sel:DWORD
	s_and_saveexec_b64 s[28:29], s[26:27]
	s_xor_b64 s[26:27], exec, s[28:29]
	s_cbranch_execnz .LBB290_310
; %bb.81:                               ;   in Loop: Header=BB290_13 Depth=1
	s_or_saveexec_b64 s[26:27], s[26:27]
	v_mov_b32_e32 v0, s30
	s_xor_b64 exec, exec, s[26:27]
	s_cbranch_execnz .LBB290_313
.LBB290_82:                             ;   in Loop: Header=BB290_13 Depth=1
	s_or_b64 exec, exec, s[26:27]
	s_and_saveexec_b64 s[26:27], s[4:5]
	s_cbranch_execz .LBB290_84
.LBB290_83:                             ;   in Loop: Header=BB290_13 Depth=1
	v_and_b32_e32 v2, 7, v50
	v_ffbh_u32_e32 v0, v2
	v_min_u32_e32 v4, 32, v0
	v_subrev_u32_e32 v0, 28, v4
	v_bfe_u32 v3, v50, 3, 4
	v_lshlrev_b64 v[0:1], v0, v[50:51]
	v_sub_u32_e32 v1, 29, v4
	v_cmp_eq_u32_e64 s[4:5], 0, v3
	v_and_b32_e32 v0, 7, v0
	s_nop 0
	v_cndmask_b32_e64 v1, v3, v1, s[4:5]
	v_mov_b32_e32 v3, 0x1c00
	v_cndmask_b32_e64 v0, v2, v0, s[4:5]
	v_lshlrev_b32_e32 v2, 8, v50
	v_lshl_add_u32 v1, v1, 10, v3
	v_and_or_b32 v1, v2, s37, v1
	v_lshl_or_b32 v0, v0, 7, v1
	v_cvt_f32_f16_e32 v0, v0
.LBB290_84:                             ;   in Loop: Header=BB290_13 Depth=1
	s_or_b64 exec, exec, s[26:27]
	v_lshrrev_b16_e32 v8, 8, v50
	v_accvgpr_write_b32 a57, v0
	v_cmp_lt_i16_e64 s[4:5], s35, v8
	s_mov_b64 s[26:27], 0
                                        ; implicit-def: $sgpr38
	s_and_saveexec_b64 s[28:29], s[4:5]
	s_xor_b64 s[28:29], exec, s[28:29]
	s_cbranch_execnz .LBB290_314
; %bb.85:                               ;   in Loop: Header=BB290_13 Depth=1
	s_or_saveexec_b64 s[28:29], s[28:29]
	v_mov_b32_e32 v57, s38
	s_xor_b64 exec, exec, s[28:29]
	s_cbranch_execnz .LBB290_317
.LBB290_86:                             ;   in Loop: Header=BB290_13 Depth=1
	s_or_b64 exec, exec, s[28:29]
	s_and_saveexec_b64 s[28:29], s[26:27]
	s_cbranch_execz .LBB290_88
.LBB290_87:                             ;   in Loop: Header=BB290_13 Depth=1
	v_and_b32_e32 v2, 7, v8
	v_ffbh_u32_e32 v0, v2
	v_min_u32_e32 v4, 32, v0
	v_subrev_u32_e32 v0, 28, v4
	v_bfe_u32 v3, v8, 3, 4
	v_lshlrev_b64 v[0:1], v0, v[8:9]
	v_sub_u32_e32 v1, 29, v4
	v_cmp_eq_u32_e64 s[4:5], 0, v3
	v_and_b32_e32 v0, 7, v0
	s_nop 0
	v_cndmask_b32_e64 v1, v3, v1, s[4:5]
	v_mov_b32_e32 v3, 0x1c00
	v_cndmask_b32_e64 v0, v2, v0, s[4:5]
	v_lshlrev_b32_e32 v2, 8, v8
	v_lshl_add_u32 v1, v1, 10, v3
	v_and_or_b32 v1, v2, s37, v1
	v_lshl_or_b32 v0, v0, 7, v1
	v_cvt_f32_f16_e32 v57, v0
.LBB290_88:                             ;   in Loop: Header=BB290_13 Depth=1
	s_or_b64 exec, exec, s[28:29]
	v_lshrrev_b32_e32 v8, 16, v50
	v_cmp_gt_i16_sdwa s[26:27], v8, s35 src0_sel:BYTE_0 src1_sel:DWORD
	s_mov_b64 s[4:5], 0
                                        ; implicit-def: $sgpr30
	s_and_saveexec_b64 s[28:29], s[26:27]
	s_xor_b64 s[26:27], exec, s[28:29]
	s_cbranch_execnz .LBB290_318
; %bb.89:                               ;   in Loop: Header=BB290_13 Depth=1
	s_or_saveexec_b64 s[26:27], s[26:27]
	v_mov_b32_e32 v19, s30
	s_xor_b64 exec, exec, s[26:27]
	s_cbranch_execnz .LBB290_321
.LBB290_90:                             ;   in Loop: Header=BB290_13 Depth=1
	s_or_b64 exec, exec, s[26:27]
	s_and_saveexec_b64 s[26:27], s[4:5]
	s_cbranch_execz .LBB290_92
.LBB290_91:                             ;   in Loop: Header=BB290_13 Depth=1
	v_bfe_u32 v2, v50, 16, 3
	v_ffbh_u32_e32 v0, v2
	v_min_u32_e32 v4, 32, v0
	v_subrev_u32_e32 v0, 28, v4
	v_bfe_u32 v3, v50, 19, 4
	v_lshlrev_b64 v[0:1], v0, v[8:9]
	v_sub_u32_e32 v1, 29, v4
	v_cmp_eq_u32_e64 s[4:5], 0, v3
	v_and_b32_e32 v0, 7, v0
	s_nop 0
	v_cndmask_b32_e64 v1, v3, v1, s[4:5]
	v_mov_b32_e32 v3, 0x1c00
	v_cndmask_b32_e64 v0, v2, v0, s[4:5]
	v_lshlrev_b32_e32 v2, 8, v8
	v_lshl_add_u32 v1, v1, 10, v3
	v_and_or_b32 v1, v2, s37, v1
	v_lshl_or_b32 v0, v0, 7, v1
	v_cvt_f32_f16_e32 v19, v0
.LBB290_92:                             ;   in Loop: Header=BB290_13 Depth=1
	s_or_b64 exec, exec, s[26:27]
	v_lshrrev_b32_e32 v8, 24, v50
	v_cmp_lt_i16_e64 s[4:5], s35, v8
	s_mov_b64 s[26:27], 0
                                        ; implicit-def: $sgpr38
	s_and_saveexec_b64 s[28:29], s[4:5]
	s_xor_b64 s[28:29], exec, s[28:29]
	s_cbranch_execnz .LBB290_322
; %bb.93:                               ;   in Loop: Header=BB290_13 Depth=1
	s_or_saveexec_b64 s[28:29], s[28:29]
	v_mov_b32_e32 v10, s38
	s_xor_b64 exec, exec, s[28:29]
	s_cbranch_execnz .LBB290_325
.LBB290_94:                             ;   in Loop: Header=BB290_13 Depth=1
	s_or_b64 exec, exec, s[28:29]
	s_and_saveexec_b64 s[28:29], s[26:27]
	s_cbranch_execz .LBB290_96
.LBB290_95:                             ;   in Loop: Header=BB290_13 Depth=1
	v_bfe_u32 v2, v50, 24, 3
	v_ffbh_u32_e32 v0, v2
	v_min_u32_e32 v4, 32, v0
	v_subrev_u32_e32 v0, 28, v4
	v_bfe_u32 v3, v50, 27, 4
	v_lshlrev_b64 v[0:1], v0, v[8:9]
	v_sub_u32_e32 v1, 29, v4
	v_cmp_eq_u32_e64 s[4:5], 0, v3
	v_and_b32_e32 v0, 7, v0
	s_nop 0
	v_cndmask_b32_e64 v1, v3, v1, s[4:5]
	v_mov_b32_e32 v3, 0x1c00
	v_cndmask_b32_e64 v0, v2, v0, s[4:5]
	v_lshlrev_b32_e32 v2, 8, v8
	v_lshl_add_u32 v1, v1, 10, v3
	v_and_or_b32 v1, v2, s37, v1
	v_lshl_or_b32 v0, v0, 7, v1
	v_cvt_f32_f16_e32 v10, v0
.LBB290_96:                             ;   in Loop: Header=BB290_13 Depth=1
	s_or_b64 exec, exec, s[28:29]
	flat_load_dword v50, v[38:39] offset:1032
	s_mov_b64 s[4:5], 0
                                        ; implicit-def: $sgpr30
	s_waitcnt vmcnt(0) lgkmcnt(0)
	v_cmp_gt_i16_sdwa s[26:27], v50, s35 src0_sel:BYTE_0 src1_sel:DWORD
	s_and_saveexec_b64 s[28:29], s[26:27]
	s_xor_b64 s[26:27], exec, s[28:29]
	s_cbranch_execnz .LBB290_326
; %bb.97:                               ;   in Loop: Header=BB290_13 Depth=1
	s_or_saveexec_b64 s[26:27], s[26:27]
	v_mov_b32_e32 v1, s30
	s_xor_b64 exec, exec, s[26:27]
	s_cbranch_execnz .LBB290_329
.LBB290_98:                             ;   in Loop: Header=BB290_13 Depth=1
	s_or_b64 exec, exec, s[26:27]
	s_and_saveexec_b64 s[26:27], s[4:5]
	s_cbranch_execz .LBB290_100
.LBB290_99:                             ;   in Loop: Header=BB290_13 Depth=1
	v_and_b32_e32 v2, 7, v50
	v_ffbh_u32_e32 v0, v2
	v_min_u32_e32 v4, 32, v0
	v_subrev_u32_e32 v0, 28, v4
	v_bfe_u32 v3, v50, 3, 4
	v_lshlrev_b64 v[0:1], v0, v[50:51]
	v_sub_u32_e32 v1, 29, v4
	v_cmp_eq_u32_e64 s[4:5], 0, v3
	v_and_b32_e32 v0, 7, v0
	s_nop 0
	v_cndmask_b32_e64 v1, v3, v1, s[4:5]
	v_mov_b32_e32 v3, 0x1c00
	v_cndmask_b32_e64 v0, v2, v0, s[4:5]
	v_lshlrev_b32_e32 v2, 8, v50
	v_lshl_add_u32 v1, v1, 10, v3
	v_and_or_b32 v1, v2, s37, v1
	v_lshl_or_b32 v0, v0, 7, v1
	v_cvt_f32_f16_e32 v1, v0
.LBB290_100:                            ;   in Loop: Header=BB290_13 Depth=1
	s_or_b64 exec, exec, s[26:27]
	v_lshrrev_b16_e32 v8, 8, v50
	v_cmp_lt_i16_e64 s[4:5], s35, v8
	s_mov_b64 s[26:27], 0
                                        ; implicit-def: $sgpr38
	s_and_saveexec_b64 s[28:29], s[4:5]
	s_xor_b64 s[28:29], exec, s[28:29]
	s_cbranch_execnz .LBB290_330
; %bb.101:                              ;   in Loop: Header=BB290_13 Depth=1
	s_or_saveexec_b64 s[28:29], s[28:29]
	v_mov_b32_e32 v0, s38
	s_xor_b64 exec, exec, s[28:29]
	s_cbranch_execnz .LBB290_333
.LBB290_102:                            ;   in Loop: Header=BB290_13 Depth=1
	s_or_b64 exec, exec, s[28:29]
	s_and_saveexec_b64 s[28:29], s[26:27]
	s_cbranch_execz .LBB290_104
.LBB290_103:                            ;   in Loop: Header=BB290_13 Depth=1
	v_and_b32_e32 v0, 7, v8
	v_ffbh_u32_e32 v2, v0
	v_min_u32_e32 v5, 32, v2
	v_subrev_u32_e32 v2, 28, v5
	v_bfe_u32 v4, v8, 3, 4
	v_lshlrev_b64 v[2:3], v2, v[8:9]
	v_sub_u32_e32 v3, 29, v5
	v_cmp_eq_u32_e64 s[4:5], 0, v4
	v_and_b32_e32 v2, 7, v2
	s_nop 0
	v_cndmask_b32_e64 v3, v4, v3, s[4:5]
	v_mov_b32_e32 v4, 0x1c00
	v_cndmask_b32_e64 v0, v0, v2, s[4:5]
	v_lshlrev_b32_e32 v2, 8, v8
	v_lshl_add_u32 v3, v3, 10, v4
	v_and_or_b32 v2, v2, s37, v3
	v_lshl_or_b32 v0, v0, 7, v2
	v_cvt_f32_f16_e32 v0, v0
.LBB290_104:                            ;   in Loop: Header=BB290_13 Depth=1
	s_or_b64 exec, exec, s[28:29]
	v_lshrrev_b32_e32 v8, 16, v50
	v_cmp_gt_i16_sdwa s[26:27], v8, s35 src0_sel:BYTE_0 src1_sel:DWORD
	s_mov_b64 s[4:5], 0
                                        ; implicit-def: $sgpr30
	s_and_saveexec_b64 s[28:29], s[26:27]
	s_xor_b64 s[26:27], exec, s[28:29]
	s_cbranch_execnz .LBB290_334
; %bb.105:                              ;   in Loop: Header=BB290_13 Depth=1
	s_or_saveexec_b64 s[26:27], s[26:27]
	v_mov_b32_e32 v3, s30
	s_xor_b64 exec, exec, s[26:27]
	s_cbranch_execnz .LBB290_337
.LBB290_106:                            ;   in Loop: Header=BB290_13 Depth=1
	s_or_b64 exec, exec, s[26:27]
	s_and_saveexec_b64 s[26:27], s[4:5]
	s_cbranch_execz .LBB290_108
.LBB290_107:                            ;   in Loop: Header=BB290_13 Depth=1
	v_bfe_u32 v4, v50, 16, 3
	v_ffbh_u32_e32 v2, v4
	v_min_u32_e32 v6, 32, v2
	v_subrev_u32_e32 v2, 28, v6
	v_bfe_u32 v5, v50, 19, 4
	v_lshlrev_b64 v[2:3], v2, v[8:9]
	v_sub_u32_e32 v3, 29, v6
	v_cmp_eq_u32_e64 s[4:5], 0, v5
	v_and_b32_e32 v2, 7, v2
	s_nop 0
	v_cndmask_b32_e64 v3, v5, v3, s[4:5]
	v_mov_b32_e32 v5, 0x1c00
	v_cndmask_b32_e64 v2, v4, v2, s[4:5]
	v_lshlrev_b32_e32 v4, 8, v8
	v_lshl_add_u32 v3, v3, 10, v5
	v_and_or_b32 v3, v4, s37, v3
	v_lshl_or_b32 v2, v2, 7, v3
	v_cvt_f32_f16_e32 v3, v2
.LBB290_108:                            ;   in Loop: Header=BB290_13 Depth=1
	s_or_b64 exec, exec, s[26:27]
	v_lshrrev_b32_e32 v8, 24, v50
	v_cmp_lt_i16_e64 s[4:5], s35, v8
	s_mov_b64 s[26:27], 0
                                        ; implicit-def: $sgpr38
	s_and_saveexec_b64 s[28:29], s[4:5]
	s_xor_b64 s[28:29], exec, s[28:29]
	s_cbranch_execnz .LBB290_338
; %bb.109:                              ;   in Loop: Header=BB290_13 Depth=1
	s_or_saveexec_b64 s[28:29], s[28:29]
	v_mov_b32_e32 v18, s38
	s_xor_b64 exec, exec, s[28:29]
	s_cbranch_execnz .LBB290_341
.LBB290_110:                            ;   in Loop: Header=BB290_13 Depth=1
	s_or_b64 exec, exec, s[28:29]
	s_and_saveexec_b64 s[28:29], s[26:27]
	s_cbranch_execz .LBB290_112
.LBB290_111:                            ;   in Loop: Header=BB290_13 Depth=1
	v_bfe_u32 v2, v50, 24, 3
	v_ffbh_u32_e32 v5, v2
	v_min_u32_e32 v5, 32, v5
	v_subrev_u32_e32 v6, 28, v5
	v_bfe_u32 v4, v50, 27, 4
	v_lshlrev_b64 v[6:7], v6, v[8:9]
	v_sub_u32_e32 v5, 29, v5
	v_and_b32_e32 v6, 7, v6
	v_cmp_eq_u32_e64 s[4:5], 0, v4
	s_nop 1
	v_cndmask_b32_e64 v4, v4, v5, s[4:5]
	v_cndmask_b32_e64 v2, v2, v6, s[4:5]
	v_mov_b32_e32 v6, 0x1c00
	v_lshlrev_b32_e32 v5, 8, v8
	v_lshl_add_u32 v4, v4, 10, v6
	v_and_or_b32 v4, v5, s37, v4
	v_lshl_or_b32 v2, v2, 7, v4
	v_cvt_f32_f16_e32 v18, v2
.LBB290_112:                            ;   in Loop: Header=BB290_13 Depth=1
	s_or_b64 exec, exec, s[28:29]
	flat_load_dword v50, v[38:39] offset:1536
	s_mov_b64 s[4:5], 0
                                        ; implicit-def: $sgpr30
	s_waitcnt vmcnt(0) lgkmcnt(0)
	v_cmp_gt_i16_sdwa s[26:27], v50, s35 src0_sel:BYTE_0 src1_sel:DWORD
	s_and_saveexec_b64 s[28:29], s[26:27]
	s_xor_b64 s[26:27], exec, s[28:29]
	s_cbranch_execnz .LBB290_342
; %bb.113:                              ;   in Loop: Header=BB290_13 Depth=1
	s_or_saveexec_b64 s[26:27], s[26:27]
	v_mov_b32_e32 v13, s30
	s_xor_b64 exec, exec, s[26:27]
	s_cbranch_execnz .LBB290_345
.LBB290_114:                            ;   in Loop: Header=BB290_13 Depth=1
	s_or_b64 exec, exec, s[26:27]
	s_and_saveexec_b64 s[26:27], s[4:5]
	s_cbranch_execz .LBB290_116
.LBB290_115:                            ;   in Loop: Header=BB290_13 Depth=1
	v_and_b32_e32 v4, 7, v50
	v_ffbh_u32_e32 v6, v4
	v_min_u32_e32 v8, 32, v6
	v_subrev_u32_e32 v6, 28, v8
	v_bfe_u32 v5, v50, 3, 4
	v_lshlrev_b64 v[6:7], v6, v[50:51]
	v_sub_u32_e32 v7, 29, v8
	v_cmp_eq_u32_e64 s[4:5], 0, v5
	v_and_b32_e32 v6, 7, v6
	v_mov_b32_e32 v2, 0x1c00
	v_cndmask_b32_e64 v5, v5, v7, s[4:5]
	v_cndmask_b32_e64 v4, v4, v6, s[4:5]
	v_lshlrev_b32_e32 v6, 8, v50
	v_lshl_add_u32 v5, v5, 10, v2
	v_and_or_b32 v5, v6, s37, v5
	v_lshl_or_b32 v4, v4, 7, v5
	v_cvt_f32_f16_e32 v13, v4
.LBB290_116:                            ;   in Loop: Header=BB290_13 Depth=1
	s_or_b64 exec, exec, s[26:27]
	v_lshrrev_b16_e32 v8, 8, v50
	v_cmp_lt_i16_e64 s[4:5], s35, v8
	s_mov_b64 s[26:27], 0
                                        ; implicit-def: $sgpr38
	s_and_saveexec_b64 s[28:29], s[4:5]
	s_xor_b64 s[28:29], exec, s[28:29]
	s_cbranch_execnz .LBB290_346
; %bb.117:                              ;   in Loop: Header=BB290_13 Depth=1
	s_or_saveexec_b64 s[28:29], s[28:29]
	v_mov_b32_e32 v53, s38
	s_xor_b64 exec, exec, s[28:29]
	s_cbranch_execnz .LBB290_349
.LBB290_118:                            ;   in Loop: Header=BB290_13 Depth=1
	s_or_b64 exec, exec, s[28:29]
	s_and_saveexec_b64 s[28:29], s[26:27]
	s_cbranch_execz .LBB290_120
.LBB290_119:                            ;   in Loop: Header=BB290_13 Depth=1
	v_and_b32_e32 v4, 7, v8
	v_ffbh_u32_e32 v6, v4
	v_min_u32_e32 v12, 32, v6
	v_subrev_u32_e32 v6, 28, v12
	v_bfe_u32 v5, v8, 3, 4
	v_lshlrev_b64 v[6:7], v6, v[8:9]
	v_sub_u32_e32 v7, 29, v12
	v_cmp_eq_u32_e64 s[4:5], 0, v5
	v_and_b32_e32 v6, 7, v6
	v_mov_b32_e32 v2, 0x1c00
	v_cndmask_b32_e64 v5, v5, v7, s[4:5]
	v_cndmask_b32_e64 v4, v4, v6, s[4:5]
	v_lshlrev_b32_e32 v6, 8, v8
	v_lshl_add_u32 v5, v5, 10, v2
	v_and_or_b32 v5, v6, s37, v5
	v_lshl_or_b32 v4, v4, 7, v5
	v_cvt_f32_f16_e32 v53, v4
.LBB290_120:                            ;   in Loop: Header=BB290_13 Depth=1
	s_or_b64 exec, exec, s[28:29]
	v_lshrrev_b32_e32 v8, 16, v50
	v_cmp_gt_i16_sdwa s[26:27], v8, s35 src0_sel:BYTE_0 src1_sel:DWORD
	s_mov_b64 s[4:5], 0
                                        ; implicit-def: $sgpr30
	s_and_saveexec_b64 s[28:29], s[26:27]
	s_xor_b64 s[26:27], exec, s[28:29]
	s_cbranch_execnz .LBB290_350
; %bb.121:                              ;   in Loop: Header=BB290_13 Depth=1
	s_or_saveexec_b64 s[26:27], s[26:27]
	v_mov_b32_e32 v51, s30
	s_xor_b64 exec, exec, s[26:27]
	s_cbranch_execnz .LBB290_353
.LBB290_122:                            ;   in Loop: Header=BB290_13 Depth=1
	s_or_b64 exec, exec, s[26:27]
	s_and_saveexec_b64 s[26:27], s[4:5]
	s_cbranch_execz .LBB290_124
.LBB290_123:                            ;   in Loop: Header=BB290_13 Depth=1
	v_bfe_u32 v4, v50, 16, 3
	v_ffbh_u32_e32 v6, v4
	v_min_u32_e32 v12, 32, v6
	v_subrev_u32_e32 v6, 28, v12
	v_bfe_u32 v5, v50, 19, 4
	v_lshlrev_b64 v[6:7], v6, v[8:9]
	v_sub_u32_e32 v7, 29, v12
	v_cmp_eq_u32_e64 s[4:5], 0, v5
	v_and_b32_e32 v6, 7, v6
	v_mov_b32_e32 v2, 0x1c00
	v_cndmask_b32_e64 v5, v5, v7, s[4:5]
	v_cndmask_b32_e64 v4, v4, v6, s[4:5]
	v_lshlrev_b32_e32 v6, 8, v8
	v_lshl_add_u32 v5, v5, 10, v2
	v_and_or_b32 v5, v6, s37, v5
	v_lshl_or_b32 v4, v4, 7, v5
	v_cvt_f32_f16_e32 v51, v4
.LBB290_124:                            ;   in Loop: Header=BB290_13 Depth=1
	s_or_b64 exec, exec, s[26:27]
	v_lshrrev_b32_e32 v8, 24, v50
	v_cmp_lt_i16_e64 s[4:5], s35, v8
	s_mov_b64 s[26:27], 0
                                        ; implicit-def: $sgpr38
	s_and_saveexec_b64 s[28:29], s[4:5]
	s_xor_b64 s[28:29], exec, s[28:29]
	s_cbranch_execnz .LBB290_354
; %bb.125:                              ;   in Loop: Header=BB290_13 Depth=1
	s_or_saveexec_b64 s[28:29], s[28:29]
	v_mov_b32_e32 v52, s38
	s_xor_b64 exec, exec, s[28:29]
	s_cbranch_execnz .LBB290_357
.LBB290_126:                            ;   in Loop: Header=BB290_13 Depth=1
	s_or_b64 exec, exec, s[28:29]
	s_and_saveexec_b64 s[28:29], s[26:27]
	s_cbranch_execz .LBB290_128
.LBB290_127:                            ;   in Loop: Header=BB290_13 Depth=1
	v_bfe_u32 v4, v50, 24, 3
	v_ffbh_u32_e32 v6, v4
	v_min_u32_e32 v12, 32, v6
	v_subrev_u32_e32 v6, 28, v12
	v_bfe_u32 v5, v50, 27, 4
	v_lshlrev_b64 v[6:7], v6, v[8:9]
	v_sub_u32_e32 v7, 29, v12
	v_cmp_eq_u32_e64 s[4:5], 0, v5
	v_and_b32_e32 v6, 7, v6
	v_mov_b32_e32 v2, 0x1c00
	v_cndmask_b32_e64 v5, v5, v7, s[4:5]
	v_cndmask_b32_e64 v4, v4, v6, s[4:5]
	v_lshlrev_b32_e32 v6, 8, v8
	v_lshl_add_u32 v5, v5, 10, v2
	v_and_or_b32 v5, v6, s37, v5
	v_lshl_or_b32 v4, v4, 7, v5
	v_cvt_f32_f16_e32 v52, v4
.LBB290_128:                            ;   in Loop: Header=BB290_13 Depth=1
	s_or_b64 exec, exec, s[28:29]
	flat_load_dword v50, v[38:39] offset:1544
	s_mov_b64 s[4:5], 0
                                        ; implicit-def: $sgpr30
	s_waitcnt vmcnt(0) lgkmcnt(0)
	v_cmp_gt_i16_sdwa s[26:27], v50, s35 src0_sel:BYTE_0 src1_sel:DWORD
	s_and_saveexec_b64 s[28:29], s[26:27]
	s_xor_b64 s[26:27], exec, s[28:29]
	s_cbranch_execnz .LBB290_358
; %bb.129:                              ;   in Loop: Header=BB290_13 Depth=1
	s_or_saveexec_b64 s[26:27], s[26:27]
	v_mov_b32_e32 v7, s30
	s_xor_b64 exec, exec, s[26:27]
	s_cbranch_execnz .LBB290_361
.LBB290_130:                            ;   in Loop: Header=BB290_13 Depth=1
	s_or_b64 exec, exec, s[26:27]
	s_and_saveexec_b64 s[26:27], s[4:5]
	s_cbranch_execz .LBB290_132
.LBB290_131:                            ;   in Loop: Header=BB290_13 Depth=1
	v_and_b32_e32 v4, 7, v50
	v_ffbh_u32_e32 v6, v4
	v_min_u32_e32 v8, 32, v6
	v_subrev_u32_e32 v6, 28, v8
	v_bfe_u32 v5, v50, 3, 4
	v_lshlrev_b64 v[6:7], v6, v[50:51]
	v_sub_u32_e32 v7, 29, v8
	v_cmp_eq_u32_e64 s[4:5], 0, v5
	v_and_b32_e32 v6, 7, v6
	v_mov_b32_e32 v2, 0x1c00
	v_cndmask_b32_e64 v5, v5, v7, s[4:5]
	v_cndmask_b32_e64 v4, v4, v6, s[4:5]
	v_lshlrev_b32_e32 v6, 8, v50
	v_lshl_add_u32 v5, v5, 10, v2
	v_and_or_b32 v5, v6, s37, v5
	v_lshl_or_b32 v4, v4, 7, v5
	v_cvt_f32_f16_e32 v7, v4
.LBB290_132:                            ;   in Loop: Header=BB290_13 Depth=1
	s_or_b64 exec, exec, s[26:27]
	v_lshrrev_b16_e32 v8, 8, v50
	v_cmp_lt_i16_e64 s[4:5], s35, v8
	s_mov_b64 s[26:27], 0
                                        ; implicit-def: $sgpr38
	s_and_saveexec_b64 s[28:29], s[4:5]
	s_xor_b64 s[28:29], exec, s[28:29]
	s_cbranch_execnz .LBB290_362
; %bb.133:                              ;   in Loop: Header=BB290_13 Depth=1
	s_or_saveexec_b64 s[28:29], s[28:29]
	v_mov_b32_e32 v12, s38
	s_xor_b64 exec, exec, s[28:29]
	s_cbranch_execnz .LBB290_365
.LBB290_134:                            ;   in Loop: Header=BB290_13 Depth=1
	s_or_b64 exec, exec, s[28:29]
	s_and_saveexec_b64 s[28:29], s[26:27]
	s_cbranch_execz .LBB290_136
.LBB290_135:                            ;   in Loop: Header=BB290_13 Depth=1
	v_and_b32_e32 v4, 7, v8
	v_ffbh_u32_e32 v6, v4
	v_bfe_u32 v5, v8, 3, 4
	v_min_u32_e32 v6, 32, v6
	v_subrev_u32_e32 v12, 28, v6
	v_sub_u32_e32 v6, 29, v6
	v_cmp_eq_u32_e64 s[4:5], 0, v5
	v_lshlrev_b64 v[14:15], v12, v[8:9]
	v_mov_b32_e32 v2, 0x1c00
	v_cndmask_b32_e64 v5, v5, v6, s[4:5]
	v_and_b32_e32 v12, 7, v14
	v_lshlrev_b32_e32 v6, 8, v8
	v_lshl_add_u32 v5, v5, 10, v2
	v_cndmask_b32_e64 v4, v4, v12, s[4:5]
	v_and_or_b32 v5, v6, s37, v5
	v_lshl_or_b32 v4, v4, 7, v5
	v_cvt_f32_f16_e32 v12, v4
.LBB290_136:                            ;   in Loop: Header=BB290_13 Depth=1
	s_or_b64 exec, exec, s[28:29]
	v_lshrrev_b32_e32 v8, 16, v50
	v_cmp_gt_i16_sdwa s[26:27], v8, s35 src0_sel:BYTE_0 src1_sel:DWORD
	s_mov_b64 s[4:5], 0
                                        ; implicit-def: $sgpr30
	s_and_saveexec_b64 s[28:29], s[26:27]
	s_xor_b64 s[26:27], exec, s[28:29]
	s_cbranch_execnz .LBB290_366
; %bb.137:                              ;   in Loop: Header=BB290_13 Depth=1
	s_or_saveexec_b64 s[26:27], s[26:27]
	v_mov_b32_e32 v15, s30
	s_xor_b64 exec, exec, s[26:27]
	s_cbranch_execnz .LBB290_369
.LBB290_138:                            ;   in Loop: Header=BB290_13 Depth=1
	s_or_b64 exec, exec, s[26:27]
	s_and_saveexec_b64 s[26:27], s[4:5]
	s_cbranch_execz .LBB290_140
.LBB290_139:                            ;   in Loop: Header=BB290_13 Depth=1
	v_bfe_u32 v4, v50, 16, 3
	v_ffbh_u32_e32 v6, v4
	v_bfe_u32 v5, v50, 19, 4
	v_min_u32_e32 v6, 32, v6
	v_subrev_u32_e32 v14, 28, v6
	v_sub_u32_e32 v6, 29, v6
	v_cmp_eq_u32_e64 s[4:5], 0, v5
	v_lshlrev_b64 v[14:15], v14, v[8:9]
	v_mov_b32_e32 v2, 0x1c00
	v_cndmask_b32_e64 v5, v5, v6, s[4:5]
	v_and_b32_e32 v14, 7, v14
	v_lshlrev_b32_e32 v6, 8, v8
	v_lshl_add_u32 v5, v5, 10, v2
	v_cndmask_b32_e64 v4, v4, v14, s[4:5]
	v_and_or_b32 v5, v6, s37, v5
	v_lshl_or_b32 v4, v4, 7, v5
	v_cvt_f32_f16_e32 v15, v4
.LBB290_140:                            ;   in Loop: Header=BB290_13 Depth=1
	s_or_b64 exec, exec, s[26:27]
	v_lshrrev_b32_e32 v8, 24, v50
	v_cmp_lt_i16_e64 s[4:5], s35, v8
	s_mov_b64 s[26:27], 0
                                        ; implicit-def: $sgpr38
	s_and_saveexec_b64 s[28:29], s[4:5]
	s_xor_b64 s[28:29], exec, s[28:29]
	s_cbranch_execnz .LBB290_370
; %bb.141:                              ;   in Loop: Header=BB290_13 Depth=1
	s_or_saveexec_b64 s[28:29], s[28:29]
	v_mov_b32_e32 v14, s38
	s_xor_b64 exec, exec, s[28:29]
	s_cbranch_execnz .LBB290_373
.LBB290_142:                            ;   in Loop: Header=BB290_13 Depth=1
	s_or_b64 exec, exec, s[28:29]
	s_and_saveexec_b64 s[28:29], s[26:27]
	s_cbranch_execz .LBB290_144
.LBB290_143:                            ;   in Loop: Header=BB290_13 Depth=1
	v_bfe_u32 v4, v50, 24, 3
	v_ffbh_u32_e32 v6, v4
	v_bfe_u32 v5, v50, 27, 4
	v_min_u32_e32 v6, 32, v6
	v_subrev_u32_e32 v14, 28, v6
	v_sub_u32_e32 v6, 29, v6
	v_cmp_eq_u32_e64 s[4:5], 0, v5
	v_lshlrev_b64 v[20:21], v14, v[8:9]
	v_mov_b32_e32 v2, 0x1c00
	v_cndmask_b32_e64 v5, v5, v6, s[4:5]
	v_and_b32_e32 v14, 7, v20
	v_lshlrev_b32_e32 v6, 8, v8
	v_lshl_add_u32 v5, v5, 10, v2
	v_cndmask_b32_e64 v4, v4, v14, s[4:5]
	v_and_or_b32 v5, v6, s37, v5
	v_lshl_or_b32 v4, v4, 7, v5
	v_cvt_f32_f16_e32 v14, v4
.LBB290_144:                            ;   in Loop: Header=BB290_13 Depth=1
	s_or_b64 exec, exec, s[28:29]
	flat_load_dword v50, v[38:39] offset:2048
	s_mov_b64 s[4:5], 0
                                        ; implicit-def: $sgpr30
	s_waitcnt vmcnt(0) lgkmcnt(0)
	v_cmp_gt_i16_sdwa s[26:27], v50, s35 src0_sel:BYTE_0 src1_sel:DWORD
	s_and_saveexec_b64 s[28:29], s[26:27]
	s_xor_b64 s[26:27], exec, s[28:29]
	s_cbranch_execnz .LBB290_374
; %bb.145:                              ;   in Loop: Header=BB290_13 Depth=1
	s_or_saveexec_b64 s[26:27], s[26:27]
	v_mov_b32_e32 v32, s30
	s_xor_b64 exec, exec, s[26:27]
	s_cbranch_execnz .LBB290_377
.LBB290_146:                            ;   in Loop: Header=BB290_13 Depth=1
	s_or_b64 exec, exec, s[26:27]
	s_and_saveexec_b64 s[26:27], s[4:5]
	s_cbranch_execz .LBB290_148
.LBB290_147:                            ;   in Loop: Header=BB290_13 Depth=1
	v_and_b32_e32 v4, 7, v50
	v_ffbh_u32_e32 v6, v4
	v_bfe_u32 v5, v50, 3, 4
	v_min_u32_e32 v6, 32, v6
	v_subrev_u32_e32 v8, 28, v6
	v_sub_u32_e32 v6, 29, v6
	v_cmp_eq_u32_e64 s[4:5], 0, v5
	v_lshlrev_b64 v[20:21], v8, v[50:51]
	v_mov_b32_e32 v2, 0x1c00
	v_cndmask_b32_e64 v5, v5, v6, s[4:5]
	v_and_b32_e32 v8, 7, v20
	v_lshlrev_b32_e32 v6, 8, v50
	v_lshl_add_u32 v5, v5, 10, v2
	v_cndmask_b32_e64 v4, v4, v8, s[4:5]
	v_and_or_b32 v5, v6, s37, v5
	v_lshl_or_b32 v4, v4, 7, v5
	v_cvt_f32_f16_e32 v32, v4
.LBB290_148:                            ;   in Loop: Header=BB290_13 Depth=1
	s_or_b64 exec, exec, s[26:27]
	v_lshrrev_b16_e32 v8, 8, v50
	v_cmp_lt_i16_e64 s[4:5], s35, v8
	s_mov_b64 s[26:27], 0
                                        ; implicit-def: $sgpr38
	s_and_saveexec_b64 s[28:29], s[4:5]
	s_xor_b64 s[28:29], exec, s[28:29]
	s_cbranch_execnz .LBB290_378
; %bb.149:                              ;   in Loop: Header=BB290_13 Depth=1
	s_or_saveexec_b64 s[28:29], s[28:29]
	v_mov_b32_e32 v33, s38
	s_xor_b64 exec, exec, s[28:29]
	s_cbranch_execnz .LBB290_381
.LBB290_150:                            ;   in Loop: Header=BB290_13 Depth=1
	s_or_b64 exec, exec, s[28:29]
	s_and_saveexec_b64 s[28:29], s[26:27]
	s_cbranch_execz .LBB290_152
.LBB290_151:                            ;   in Loop: Header=BB290_13 Depth=1
	v_and_b32_e32 v4, 7, v8
	v_ffbh_u32_e32 v6, v4
	v_bfe_u32 v5, v8, 3, 4
	v_min_u32_e32 v6, 32, v6
	v_subrev_u32_e32 v17, 28, v6
	v_sub_u32_e32 v6, 29, v6
	v_cmp_eq_u32_e64 s[4:5], 0, v5
	v_lshlrev_b64 v[20:21], v17, v[8:9]
	v_mov_b32_e32 v2, 0x1c00
	v_cndmask_b32_e64 v5, v5, v6, s[4:5]
	v_and_b32_e32 v17, 7, v20
	v_lshlrev_b32_e32 v6, 8, v8
	v_lshl_add_u32 v5, v5, 10, v2
	v_cndmask_b32_e64 v4, v4, v17, s[4:5]
	v_and_or_b32 v5, v6, s37, v5
	v_lshl_or_b32 v4, v4, 7, v5
	v_cvt_f32_f16_e32 v33, v4
.LBB290_152:                            ;   in Loop: Header=BB290_13 Depth=1
	s_or_b64 exec, exec, s[28:29]
	v_lshrrev_b32_e32 v8, 16, v50
	v_cmp_gt_i16_sdwa s[26:27], v8, s35 src0_sel:BYTE_0 src1_sel:DWORD
	s_mov_b64 s[4:5], 0
                                        ; implicit-def: $sgpr30
	s_and_saveexec_b64 s[28:29], s[26:27]
	s_xor_b64 s[26:27], exec, s[28:29]
	s_cbranch_execnz .LBB290_382
; %bb.153:                              ;   in Loop: Header=BB290_13 Depth=1
	s_or_saveexec_b64 s[26:27], s[26:27]
	v_mov_b32_e32 v34, s30
	s_xor_b64 exec, exec, s[26:27]
	s_cbranch_execnz .LBB290_385
.LBB290_154:                            ;   in Loop: Header=BB290_13 Depth=1
	s_or_b64 exec, exec, s[26:27]
	s_and_saveexec_b64 s[26:27], s[4:5]
	s_cbranch_execz .LBB290_156
.LBB290_155:                            ;   in Loop: Header=BB290_13 Depth=1
	v_bfe_u32 v4, v50, 16, 3
	v_ffbh_u32_e32 v6, v4
	v_bfe_u32 v5, v50, 19, 4
	v_min_u32_e32 v6, 32, v6
	v_subrev_u32_e32 v17, 28, v6
	v_sub_u32_e32 v6, 29, v6
	v_cmp_eq_u32_e64 s[4:5], 0, v5
	v_lshlrev_b64 v[20:21], v17, v[8:9]
	v_mov_b32_e32 v2, 0x1c00
	v_cndmask_b32_e64 v5, v5, v6, s[4:5]
	v_and_b32_e32 v17, 7, v20
	v_lshlrev_b32_e32 v6, 8, v8
	v_lshl_add_u32 v5, v5, 10, v2
	v_cndmask_b32_e64 v4, v4, v17, s[4:5]
	v_and_or_b32 v5, v6, s37, v5
	v_lshl_or_b32 v4, v4, 7, v5
	v_cvt_f32_f16_e32 v34, v4
.LBB290_156:                            ;   in Loop: Header=BB290_13 Depth=1
	s_or_b64 exec, exec, s[26:27]
	v_lshrrev_b32_e32 v8, 24, v50
	v_cmp_lt_i16_e64 s[4:5], s35, v8
	s_mov_b64 s[26:27], 0
                                        ; implicit-def: $sgpr38
	s_and_saveexec_b64 s[28:29], s[4:5]
	s_xor_b64 s[28:29], exec, s[28:29]
	s_cbranch_execnz .LBB290_386
; %bb.157:                              ;   in Loop: Header=BB290_13 Depth=1
	s_or_saveexec_b64 s[28:29], s[28:29]
	v_mov_b32_e32 v35, s38
	s_xor_b64 exec, exec, s[28:29]
	s_cbranch_execnz .LBB290_389
.LBB290_158:                            ;   in Loop: Header=BB290_13 Depth=1
	s_or_b64 exec, exec, s[28:29]
	s_and_saveexec_b64 s[28:29], s[26:27]
	s_cbranch_execz .LBB290_160
.LBB290_159:                            ;   in Loop: Header=BB290_13 Depth=1
	v_bfe_u32 v4, v50, 24, 3
	v_ffbh_u32_e32 v6, v4
	v_bfe_u32 v5, v50, 27, 4
	v_min_u32_e32 v6, 32, v6
	v_subrev_u32_e32 v17, 28, v6
	v_sub_u32_e32 v6, 29, v6
	v_cmp_eq_u32_e64 s[4:5], 0, v5
	v_lshlrev_b64 v[20:21], v17, v[8:9]
	v_mov_b32_e32 v2, 0x1c00
	v_cndmask_b32_e64 v5, v5, v6, s[4:5]
	v_and_b32_e32 v17, 7, v20
	v_lshlrev_b32_e32 v6, 8, v8
	v_lshl_add_u32 v5, v5, 10, v2
	v_cndmask_b32_e64 v4, v4, v17, s[4:5]
	v_and_or_b32 v5, v6, s37, v5
	v_lshl_or_b32 v4, v4, 7, v5
	v_cvt_f32_f16_e32 v35, v4
.LBB290_160:                            ;   in Loop: Header=BB290_13 Depth=1
	s_or_b64 exec, exec, s[28:29]
	flat_load_dword v50, v[38:39] offset:2056
	s_mov_b64 s[4:5], 0
                                        ; implicit-def: $sgpr30
	s_waitcnt vmcnt(0) lgkmcnt(0)
	v_cmp_gt_i16_sdwa s[26:27], v50, s35 src0_sel:BYTE_0 src1_sel:DWORD
	s_and_saveexec_b64 s[28:29], s[26:27]
	s_xor_b64 s[26:27], exec, s[28:29]
	s_cbranch_execnz .LBB290_390
; %bb.161:                              ;   in Loop: Header=BB290_13 Depth=1
	s_or_saveexec_b64 s[26:27], s[26:27]
	v_mov_b32_e32 v59, s30
	s_xor_b64 exec, exec, s[26:27]
	s_cbranch_execnz .LBB290_393
.LBB290_162:                            ;   in Loop: Header=BB290_13 Depth=1
	s_or_b64 exec, exec, s[26:27]
	s_and_saveexec_b64 s[26:27], s[4:5]
	s_cbranch_execz .LBB290_164
.LBB290_163:                            ;   in Loop: Header=BB290_13 Depth=1
	v_and_b32_e32 v4, 7, v50
	v_ffbh_u32_e32 v6, v4
	v_bfe_u32 v5, v50, 3, 4
	v_min_u32_e32 v6, 32, v6
	v_subrev_u32_e32 v8, 28, v6
	v_sub_u32_e32 v6, 29, v6
	v_cmp_eq_u32_e64 s[4:5], 0, v5
	v_lshlrev_b64 v[20:21], v8, v[50:51]
	v_mov_b32_e32 v2, 0x1c00
	v_cndmask_b32_e64 v5, v5, v6, s[4:5]
	v_and_b32_e32 v8, 7, v20
	v_lshlrev_b32_e32 v6, 8, v50
	v_lshl_add_u32 v5, v5, 10, v2
	v_cndmask_b32_e64 v4, v4, v8, s[4:5]
	v_and_or_b32 v5, v6, s37, v5
	v_lshl_or_b32 v4, v4, 7, v5
	v_cvt_f32_f16_e32 v59, v4
.LBB290_164:                            ;   in Loop: Header=BB290_13 Depth=1
	s_or_b64 exec, exec, s[26:27]
	v_lshrrev_b16_e32 v8, 8, v50
	v_cmp_lt_i16_e64 s[4:5], s35, v8
	s_mov_b64 s[26:27], 0
                                        ; implicit-def: $sgpr38
	s_and_saveexec_b64 s[28:29], s[4:5]
	s_xor_b64 s[28:29], exec, s[28:29]
	s_cbranch_execnz .LBB290_394
; %bb.165:                              ;   in Loop: Header=BB290_13 Depth=1
	s_or_saveexec_b64 s[28:29], s[28:29]
	v_mov_b32_e32 v22, s38
	s_xor_b64 exec, exec, s[28:29]
	s_cbranch_execnz .LBB290_397
.LBB290_166:                            ;   in Loop: Header=BB290_13 Depth=1
	s_or_b64 exec, exec, s[28:29]
	s_and_saveexec_b64 s[28:29], s[26:27]
	s_cbranch_execz .LBB290_168
.LBB290_167:                            ;   in Loop: Header=BB290_13 Depth=1
	v_and_b32_e32 v4, 7, v8
	v_ffbh_u32_e32 v6, v4
	v_bfe_u32 v5, v8, 3, 4
	v_min_u32_e32 v6, 32, v6
	v_subrev_u32_e32 v17, 28, v6
	v_sub_u32_e32 v6, 29, v6
	v_cmp_eq_u32_e64 s[4:5], 0, v5
	v_lshlrev_b64 v[20:21], v17, v[8:9]
	v_mov_b32_e32 v2, 0x1c00
	v_cndmask_b32_e64 v5, v5, v6, s[4:5]
	v_and_b32_e32 v17, 7, v20
	v_lshlrev_b32_e32 v6, 8, v8
	v_lshl_add_u32 v5, v5, 10, v2
	v_cndmask_b32_e64 v4, v4, v17, s[4:5]
	v_and_or_b32 v5, v6, s37, v5
	v_lshl_or_b32 v4, v4, 7, v5
	v_cvt_f32_f16_e32 v22, v4
.LBB290_168:                            ;   in Loop: Header=BB290_13 Depth=1
	s_or_b64 exec, exec, s[28:29]
	v_lshrrev_b32_e32 v8, 16, v50
	v_cmp_gt_i16_sdwa s[26:27], v8, s35 src0_sel:BYTE_0 src1_sel:DWORD
	s_mov_b64 s[4:5], 0
                                        ; implicit-def: $sgpr30
	s_and_saveexec_b64 s[28:29], s[26:27]
	s_xor_b64 s[26:27], exec, s[28:29]
	s_cbranch_execnz .LBB290_398
; %bb.169:                              ;   in Loop: Header=BB290_13 Depth=1
	s_or_saveexec_b64 s[26:27], s[26:27]
	v_mov_b32_e32 v6, s30
	s_xor_b64 exec, exec, s[26:27]
	s_cbranch_execnz .LBB290_401
.LBB290_170:                            ;   in Loop: Header=BB290_13 Depth=1
	s_or_b64 exec, exec, s[26:27]
	s_and_saveexec_b64 s[26:27], s[4:5]
	s_cbranch_execz .LBB290_172
.LBB290_171:                            ;   in Loop: Header=BB290_13 Depth=1
	v_bfe_u32 v4, v50, 16, 3
	v_ffbh_u32_e32 v6, v4
	v_bfe_u32 v5, v50, 19, 4
	v_min_u32_e32 v6, 32, v6
	v_subrev_u32_e32 v17, 28, v6
	v_sub_u32_e32 v6, 29, v6
	v_cmp_eq_u32_e64 s[4:5], 0, v5
	v_lshlrev_b64 v[20:21], v17, v[8:9]
	v_mov_b32_e32 v2, 0x1c00
	v_cndmask_b32_e64 v5, v5, v6, s[4:5]
	v_and_b32_e32 v17, 7, v20
	v_lshlrev_b32_e32 v6, 8, v8
	v_lshl_add_u32 v5, v5, 10, v2
	v_cndmask_b32_e64 v4, v4, v17, s[4:5]
	v_and_or_b32 v5, v6, s37, v5
	v_lshl_or_b32 v4, v4, 7, v5
	v_cvt_f32_f16_e32 v6, v4
.LBB290_172:                            ;   in Loop: Header=BB290_13 Depth=1
	s_or_b64 exec, exec, s[26:27]
	v_lshrrev_b32_e32 v8, 24, v50
	v_cmp_lt_i16_e64 s[4:5], s35, v8
	s_mov_b64 s[26:27], 0
                                        ; implicit-def: $sgpr38
	s_and_saveexec_b64 s[28:29], s[4:5]
	s_xor_b64 s[28:29], exec, s[28:29]
	s_cbranch_execnz .LBB290_402
; %bb.173:                              ;   in Loop: Header=BB290_13 Depth=1
	s_or_saveexec_b64 s[28:29], s[28:29]
	v_mov_b32_e32 v44, s38
	s_xor_b64 exec, exec, s[28:29]
	s_cbranch_execnz .LBB290_405
.LBB290_174:                            ;   in Loop: Header=BB290_13 Depth=1
	s_or_b64 exec, exec, s[28:29]
	s_and_saveexec_b64 s[28:29], s[26:27]
	s_cbranch_execz .LBB290_176
.LBB290_175:                            ;   in Loop: Header=BB290_13 Depth=1
	v_bfe_u32 v4, v50, 24, 3
	v_ffbh_u32_e32 v17, v4
	v_bfe_u32 v5, v50, 27, 4
	v_min_u32_e32 v17, 32, v17
	v_subrev_u32_e32 v20, 28, v17
	v_sub_u32_e32 v17, 29, v17
	v_cmp_eq_u32_e64 s[4:5], 0, v5
	v_lshlrev_b64 v[20:21], v20, v[8:9]
	v_mov_b32_e32 v2, 0x1c00
	v_cndmask_b32_e64 v5, v5, v17, s[4:5]
	v_and_b32_e32 v20, 7, v20
	v_lshlrev_b32_e32 v8, 8, v8
	v_lshl_add_u32 v5, v5, 10, v2
	v_cndmask_b32_e64 v4, v4, v20, s[4:5]
	v_and_or_b32 v5, v8, s37, v5
	v_lshl_or_b32 v4, v4, 7, v5
	v_cvt_f32_f16_e32 v44, v4
.LBB290_176:                            ;   in Loop: Header=BB290_13 Depth=1
	s_or_b64 exec, exec, s[28:29]
	flat_load_dword v50, v[38:39] offset:2560
	s_mov_b64 s[4:5], 0
                                        ; implicit-def: $sgpr30
	s_waitcnt vmcnt(0) lgkmcnt(0)
	v_cmp_gt_i16_sdwa s[26:27], v50, s35 src0_sel:BYTE_0 src1_sel:DWORD
	s_and_saveexec_b64 s[28:29], s[26:27]
	s_xor_b64 s[26:27], exec, s[28:29]
	s_cbranch_execnz .LBB290_406
; %bb.177:                              ;   in Loop: Header=BB290_13 Depth=1
	s_or_saveexec_b64 s[26:27], s[26:27]
	v_mov_b32_e32 v25, s30
	s_xor_b64 exec, exec, s[26:27]
	s_cbranch_execnz .LBB290_409
.LBB290_178:                            ;   in Loop: Header=BB290_13 Depth=1
	s_or_b64 exec, exec, s[26:27]
	s_and_saveexec_b64 s[26:27], s[4:5]
	s_cbranch_execz .LBB290_180
.LBB290_179:                            ;   in Loop: Header=BB290_13 Depth=1
	v_and_b32_e32 v4, 7, v50
	v_ffbh_u32_e32 v8, v4
	v_bfe_u32 v5, v50, 3, 4
	v_min_u32_e32 v8, 32, v8
	v_subrev_u32_e32 v17, 28, v8
	v_sub_u32_e32 v8, 29, v8
	v_cmp_eq_u32_e64 s[4:5], 0, v5
	v_lshlrev_b64 v[20:21], v17, v[50:51]
	v_mov_b32_e32 v2, 0x1c00
	v_cndmask_b32_e64 v5, v5, v8, s[4:5]
	v_and_b32_e32 v17, 7, v20
	v_lshlrev_b32_e32 v8, 8, v50
	v_lshl_add_u32 v5, v5, 10, v2
	v_cndmask_b32_e64 v4, v4, v17, s[4:5]
	v_and_or_b32 v5, v8, s37, v5
	v_lshl_or_b32 v4, v4, 7, v5
	v_cvt_f32_f16_e32 v25, v4
.LBB290_180:                            ;   in Loop: Header=BB290_13 Depth=1
	s_or_b64 exec, exec, s[26:27]
	v_lshrrev_b16_e32 v8, 8, v50
	v_cmp_lt_i16_e64 s[4:5], s35, v8
	s_mov_b64 s[26:27], 0
                                        ; implicit-def: $sgpr38
	s_and_saveexec_b64 s[28:29], s[4:5]
	s_xor_b64 s[28:29], exec, s[28:29]
	s_cbranch_execnz .LBB290_410
; %bb.181:                              ;   in Loop: Header=BB290_13 Depth=1
	s_or_saveexec_b64 s[28:29], s[28:29]
	v_mov_b32_e32 v24, s38
	s_xor_b64 exec, exec, s[28:29]
	s_cbranch_execnz .LBB290_413
.LBB290_182:                            ;   in Loop: Header=BB290_13 Depth=1
	s_or_b64 exec, exec, s[28:29]
	s_and_saveexec_b64 s[28:29], s[26:27]
	s_cbranch_execz .LBB290_184
.LBB290_183:                            ;   in Loop: Header=BB290_13 Depth=1
	v_and_b32_e32 v4, 7, v8
	v_ffbh_u32_e32 v17, v4
	v_bfe_u32 v5, v8, 3, 4
	v_min_u32_e32 v17, 32, v17
	v_subrev_u32_e32 v20, 28, v17
	v_sub_u32_e32 v17, 29, v17
	v_cmp_eq_u32_e64 s[4:5], 0, v5
	v_lshlrev_b64 v[20:21], v20, v[8:9]
	v_mov_b32_e32 v2, 0x1c00
	v_cndmask_b32_e64 v5, v5, v17, s[4:5]
	v_and_b32_e32 v20, 7, v20
	v_lshlrev_b32_e32 v8, 8, v8
	v_lshl_add_u32 v5, v5, 10, v2
	v_cndmask_b32_e64 v4, v4, v20, s[4:5]
	v_and_or_b32 v5, v8, s37, v5
	v_lshl_or_b32 v4, v4, 7, v5
	v_cvt_f32_f16_e32 v24, v4
.LBB290_184:                            ;   in Loop: Header=BB290_13 Depth=1
	s_or_b64 exec, exec, s[28:29]
	v_lshrrev_b32_e32 v8, 16, v50
	v_cmp_gt_i16_sdwa s[26:27], v8, s35 src0_sel:BYTE_0 src1_sel:DWORD
	s_mov_b64 s[4:5], 0
                                        ; implicit-def: $sgpr30
	s_and_saveexec_b64 s[28:29], s[26:27]
	s_xor_b64 s[26:27], exec, s[28:29]
	s_cbranch_execnz .LBB290_414
; %bb.185:                              ;   in Loop: Header=BB290_13 Depth=1
	s_or_saveexec_b64 s[26:27], s[26:27]
	v_mov_b32_e32 v62, s30
	s_xor_b64 exec, exec, s[26:27]
	s_cbranch_execnz .LBB290_417
.LBB290_186:                            ;   in Loop: Header=BB290_13 Depth=1
	s_or_b64 exec, exec, s[26:27]
	s_and_saveexec_b64 s[26:27], s[4:5]
	s_cbranch_execz .LBB290_188
.LBB290_187:                            ;   in Loop: Header=BB290_13 Depth=1
	v_bfe_u32 v4, v50, 16, 3
	v_ffbh_u32_e32 v17, v4
	v_bfe_u32 v5, v50, 19, 4
	v_min_u32_e32 v17, 32, v17
	v_subrev_u32_e32 v20, 28, v17
	v_sub_u32_e32 v17, 29, v17
	v_cmp_eq_u32_e64 s[4:5], 0, v5
	v_lshlrev_b64 v[20:21], v20, v[8:9]
	v_mov_b32_e32 v2, 0x1c00
	v_cndmask_b32_e64 v5, v5, v17, s[4:5]
	v_and_b32_e32 v20, 7, v20
	v_lshlrev_b32_e32 v8, 8, v8
	v_lshl_add_u32 v5, v5, 10, v2
	v_cndmask_b32_e64 v4, v4, v20, s[4:5]
	v_and_or_b32 v5, v8, s37, v5
	v_lshl_or_b32 v4, v4, 7, v5
	v_cvt_f32_f16_e32 v62, v4
.LBB290_188:                            ;   in Loop: Header=BB290_13 Depth=1
	s_or_b64 exec, exec, s[26:27]
	v_lshrrev_b32_e32 v8, 24, v50
	v_cmp_lt_i16_e64 s[4:5], s35, v8
	s_mov_b64 s[26:27], 0
                                        ; implicit-def: $sgpr38
	s_and_saveexec_b64 s[28:29], s[4:5]
	s_xor_b64 s[28:29], exec, s[28:29]
	s_cbranch_execnz .LBB290_418
; %bb.189:                              ;   in Loop: Header=BB290_13 Depth=1
	s_or_saveexec_b64 s[28:29], s[28:29]
	v_mov_b32_e32 v40, s38
	s_xor_b64 exec, exec, s[28:29]
	s_cbranch_execnz .LBB290_421
.LBB290_190:                            ;   in Loop: Header=BB290_13 Depth=1
	s_or_b64 exec, exec, s[28:29]
	s_and_saveexec_b64 s[28:29], s[26:27]
	s_cbranch_execz .LBB290_192
.LBB290_191:                            ;   in Loop: Header=BB290_13 Depth=1
	v_bfe_u32 v4, v50, 24, 3
	v_ffbh_u32_e32 v17, v4
	v_bfe_u32 v5, v50, 27, 4
	v_min_u32_e32 v17, 32, v17
	v_subrev_u32_e32 v20, 28, v17
	v_sub_u32_e32 v17, 29, v17
	v_cmp_eq_u32_e64 s[4:5], 0, v5
	v_lshlrev_b64 v[20:21], v20, v[8:9]
	v_mov_b32_e32 v2, 0x1c00
	v_cndmask_b32_e64 v5, v5, v17, s[4:5]
	v_and_b32_e32 v20, 7, v20
	v_lshlrev_b32_e32 v8, 8, v8
	v_lshl_add_u32 v5, v5, 10, v2
	v_cndmask_b32_e64 v4, v4, v20, s[4:5]
	v_and_or_b32 v5, v8, s37, v5
	v_lshl_or_b32 v4, v4, 7, v5
	v_cvt_f32_f16_e32 v40, v4
.LBB290_192:                            ;   in Loop: Header=BB290_13 Depth=1
	s_or_b64 exec, exec, s[28:29]
	flat_load_dword v50, v[38:39] offset:2568
	s_mov_b64 s[4:5], 0
                                        ; implicit-def: $sgpr30
	s_waitcnt vmcnt(0) lgkmcnt(0)
	v_cmp_gt_i16_sdwa s[26:27], v50, s35 src0_sel:BYTE_0 src1_sel:DWORD
	s_and_saveexec_b64 s[28:29], s[26:27]
	s_xor_b64 s[26:27], exec, s[28:29]
	s_cbranch_execnz .LBB290_422
; %bb.193:                              ;   in Loop: Header=BB290_13 Depth=1
	s_or_saveexec_b64 s[26:27], s[26:27]
	v_mov_b32_e32 v55, s30
	s_xor_b64 exec, exec, s[26:27]
	s_cbranch_execnz .LBB290_425
.LBB290_194:                            ;   in Loop: Header=BB290_13 Depth=1
	s_or_b64 exec, exec, s[26:27]
	s_and_saveexec_b64 s[26:27], s[4:5]
	s_cbranch_execz .LBB290_196
.LBB290_195:                            ;   in Loop: Header=BB290_13 Depth=1
	v_and_b32_e32 v4, 7, v50
	v_ffbh_u32_e32 v8, v4
	v_bfe_u32 v5, v50, 3, 4
	v_min_u32_e32 v8, 32, v8
	v_subrev_u32_e32 v17, 28, v8
	v_sub_u32_e32 v8, 29, v8
	v_cmp_eq_u32_e64 s[4:5], 0, v5
	v_lshlrev_b64 v[20:21], v17, v[50:51]
	v_mov_b32_e32 v2, 0x1c00
	v_cndmask_b32_e64 v5, v5, v8, s[4:5]
	v_and_b32_e32 v17, 7, v20
	v_lshlrev_b32_e32 v8, 8, v50
	v_lshl_add_u32 v5, v5, 10, v2
	v_cndmask_b32_e64 v4, v4, v17, s[4:5]
	v_and_or_b32 v5, v8, s37, v5
	v_lshl_or_b32 v4, v4, 7, v5
	v_cvt_f32_f16_e32 v55, v4
.LBB290_196:                            ;   in Loop: Header=BB290_13 Depth=1
	s_or_b64 exec, exec, s[26:27]
	v_lshrrev_b16_e32 v8, 8, v50
	v_cmp_lt_i16_e64 s[4:5], s35, v8
	s_mov_b64 s[26:27], 0
                                        ; implicit-def: $sgpr38
	s_and_saveexec_b64 s[28:29], s[4:5]
	s_xor_b64 s[28:29], exec, s[28:29]
	s_cbranch_execnz .LBB290_426
; %bb.197:                              ;   in Loop: Header=BB290_13 Depth=1
	s_or_saveexec_b64 s[28:29], s[28:29]
	v_mov_b32_e32 v41, s38
	s_xor_b64 exec, exec, s[28:29]
	s_cbranch_execnz .LBB290_429
.LBB290_198:                            ;   in Loop: Header=BB290_13 Depth=1
	s_or_b64 exec, exec, s[28:29]
	s_and_saveexec_b64 s[28:29], s[26:27]
	s_cbranch_execz .LBB290_200
.LBB290_199:                            ;   in Loop: Header=BB290_13 Depth=1
	v_and_b32_e32 v4, 7, v8
	v_ffbh_u32_e32 v17, v4
	v_bfe_u32 v5, v8, 3, 4
	v_min_u32_e32 v17, 32, v17
	v_subrev_u32_e32 v20, 28, v17
	v_sub_u32_e32 v17, 29, v17
	v_cmp_eq_u32_e64 s[4:5], 0, v5
	v_lshlrev_b64 v[20:21], v20, v[8:9]
	v_mov_b32_e32 v2, 0x1c00
	v_cndmask_b32_e64 v5, v5, v17, s[4:5]
	v_and_b32_e32 v20, 7, v20
	v_lshlrev_b32_e32 v8, 8, v8
	v_lshl_add_u32 v5, v5, 10, v2
	v_cndmask_b32_e64 v4, v4, v20, s[4:5]
	v_and_or_b32 v5, v8, s37, v5
	v_lshl_or_b32 v4, v4, 7, v5
	v_cvt_f32_f16_e32 v41, v4
.LBB290_200:                            ;   in Loop: Header=BB290_13 Depth=1
	s_or_b64 exec, exec, s[28:29]
	v_lshrrev_b32_e32 v8, 16, v50
	v_cmp_gt_i16_sdwa s[26:27], v8, s35 src0_sel:BYTE_0 src1_sel:DWORD
	s_mov_b64 s[4:5], 0
                                        ; implicit-def: $sgpr30
	s_and_saveexec_b64 s[28:29], s[26:27]
	s_xor_b64 s[26:27], exec, s[28:29]
	s_cbranch_execnz .LBB290_430
; %bb.201:                              ;   in Loop: Header=BB290_13 Depth=1
	s_or_saveexec_b64 s[26:27], s[26:27]
	v_mov_b32_e32 v27, s30
	s_xor_b64 exec, exec, s[26:27]
	s_cbranch_execnz .LBB290_433
.LBB290_202:                            ;   in Loop: Header=BB290_13 Depth=1
	s_or_b64 exec, exec, s[26:27]
	s_and_saveexec_b64 s[26:27], s[4:5]
	s_cbranch_execz .LBB290_204
.LBB290_203:                            ;   in Loop: Header=BB290_13 Depth=1
	v_bfe_u32 v4, v50, 16, 3
	v_ffbh_u32_e32 v17, v4
	v_bfe_u32 v5, v50, 19, 4
	v_min_u32_e32 v17, 32, v17
	v_subrev_u32_e32 v20, 28, v17
	v_sub_u32_e32 v17, 29, v17
	v_cmp_eq_u32_e64 s[4:5], 0, v5
	v_lshlrev_b64 v[20:21], v20, v[8:9]
	v_mov_b32_e32 v2, 0x1c00
	v_cndmask_b32_e64 v5, v5, v17, s[4:5]
	v_and_b32_e32 v20, 7, v20
	v_lshlrev_b32_e32 v8, 8, v8
	v_lshl_add_u32 v5, v5, 10, v2
	v_cndmask_b32_e64 v4, v4, v20, s[4:5]
	v_and_or_b32 v5, v8, s37, v5
	v_lshl_or_b32 v4, v4, 7, v5
	v_cvt_f32_f16_e32 v27, v4
.LBB290_204:                            ;   in Loop: Header=BB290_13 Depth=1
	s_or_b64 exec, exec, s[26:27]
	v_lshrrev_b32_e32 v8, 24, v50
	v_cmp_lt_i16_e64 s[4:5], s35, v8
	s_mov_b64 s[26:27], 0
                                        ; implicit-def: $sgpr38
	s_and_saveexec_b64 s[28:29], s[4:5]
	s_xor_b64 s[28:29], exec, s[28:29]
	s_cbranch_execnz .LBB290_434
; %bb.205:                              ;   in Loop: Header=BB290_13 Depth=1
	s_or_saveexec_b64 s[28:29], s[28:29]
	v_mov_b32_e32 v26, s38
	s_xor_b64 exec, exec, s[28:29]
	s_cbranch_execnz .LBB290_437
.LBB290_206:                            ;   in Loop: Header=BB290_13 Depth=1
	s_or_b64 exec, exec, s[28:29]
	s_and_saveexec_b64 s[28:29], s[26:27]
	s_cbranch_execz .LBB290_208
.LBB290_207:                            ;   in Loop: Header=BB290_13 Depth=1
	v_bfe_u32 v4, v50, 24, 3
	v_ffbh_u32_e32 v17, v4
	v_bfe_u32 v5, v50, 27, 4
	v_min_u32_e32 v17, 32, v17
	v_subrev_u32_e32 v20, 28, v17
	v_sub_u32_e32 v17, 29, v17
	v_cmp_eq_u32_e64 s[4:5], 0, v5
	v_lshlrev_b64 v[20:21], v20, v[8:9]
	v_mov_b32_e32 v2, 0x1c00
	v_cndmask_b32_e64 v5, v5, v17, s[4:5]
	v_and_b32_e32 v20, 7, v20
	v_lshlrev_b32_e32 v8, 8, v8
	v_lshl_add_u32 v5, v5, 10, v2
	v_cndmask_b32_e64 v4, v4, v20, s[4:5]
	v_and_or_b32 v5, v8, s37, v5
	v_lshl_or_b32 v4, v4, 7, v5
	v_cvt_f32_f16_e32 v26, v4
.LBB290_208:                            ;   in Loop: Header=BB290_13 Depth=1
	s_or_b64 exec, exec, s[28:29]
	flat_load_dword v50, v[38:39] offset:3072
	s_mov_b64 s[4:5], 0
                                        ; implicit-def: $sgpr30
	s_waitcnt vmcnt(0) lgkmcnt(0)
	v_cmp_gt_i16_sdwa s[26:27], v50, s35 src0_sel:BYTE_0 src1_sel:DWORD
	s_and_saveexec_b64 s[28:29], s[26:27]
	s_xor_b64 s[26:27], exec, s[28:29]
	s_cbranch_execnz .LBB290_438
; %bb.209:                              ;   in Loop: Header=BB290_13 Depth=1
	s_or_saveexec_b64 s[26:27], s[26:27]
	v_mov_b32_e32 v48, s30
	s_xor_b64 exec, exec, s[26:27]
	s_cbranch_execnz .LBB290_441
.LBB290_210:                            ;   in Loop: Header=BB290_13 Depth=1
	s_or_b64 exec, exec, s[26:27]
	s_and_saveexec_b64 s[26:27], s[4:5]
	s_cbranch_execz .LBB290_212
.LBB290_211:                            ;   in Loop: Header=BB290_13 Depth=1
	v_and_b32_e32 v4, 7, v50
	v_ffbh_u32_e32 v8, v4
	v_bfe_u32 v5, v50, 3, 4
	v_min_u32_e32 v8, 32, v8
	v_subrev_u32_e32 v17, 28, v8
	v_sub_u32_e32 v8, 29, v8
	v_cmp_eq_u32_e64 s[4:5], 0, v5
	v_lshlrev_b64 v[20:21], v17, v[50:51]
	v_mov_b32_e32 v2, 0x1c00
	v_cndmask_b32_e64 v5, v5, v8, s[4:5]
	v_and_b32_e32 v17, 7, v20
	v_lshlrev_b32_e32 v8, 8, v50
	v_lshl_add_u32 v5, v5, 10, v2
	v_cndmask_b32_e64 v4, v4, v17, s[4:5]
	v_and_or_b32 v5, v8, s37, v5
	v_lshl_or_b32 v4, v4, 7, v5
	v_cvt_f32_f16_e32 v48, v4
.LBB290_212:                            ;   in Loop: Header=BB290_13 Depth=1
	s_or_b64 exec, exec, s[26:27]
	v_lshrrev_b16_e32 v8, 8, v50
	v_cmp_lt_i16_e64 s[4:5], s35, v8
	s_mov_b64 s[26:27], 0
                                        ; implicit-def: $sgpr38
	s_and_saveexec_b64 s[28:29], s[4:5]
	s_xor_b64 s[28:29], exec, s[28:29]
	s_cbranch_execnz .LBB290_442
; %bb.213:                              ;   in Loop: Header=BB290_13 Depth=1
	s_or_saveexec_b64 s[28:29], s[28:29]
	v_mov_b32_e32 v49, s38
	s_xor_b64 exec, exec, s[28:29]
	s_cbranch_execnz .LBB290_445
.LBB290_214:                            ;   in Loop: Header=BB290_13 Depth=1
	s_or_b64 exec, exec, s[28:29]
	s_and_saveexec_b64 s[28:29], s[26:27]
	s_cbranch_execz .LBB290_216
.LBB290_215:                            ;   in Loop: Header=BB290_13 Depth=1
	v_and_b32_e32 v4, 7, v8
	v_ffbh_u32_e32 v17, v4
	v_bfe_u32 v5, v8, 3, 4
	v_min_u32_e32 v17, 32, v17
	v_subrev_u32_e32 v20, 28, v17
	v_sub_u32_e32 v17, 29, v17
	v_cmp_eq_u32_e64 s[4:5], 0, v5
	v_lshlrev_b64 v[20:21], v20, v[8:9]
	v_mov_b32_e32 v2, 0x1c00
	v_cndmask_b32_e64 v5, v5, v17, s[4:5]
	v_and_b32_e32 v20, 7, v20
	v_lshlrev_b32_e32 v8, 8, v8
	v_lshl_add_u32 v5, v5, 10, v2
	v_cndmask_b32_e64 v4, v4, v20, s[4:5]
	v_and_or_b32 v5, v8, s37, v5
	v_lshl_or_b32 v4, v4, 7, v5
	v_cvt_f32_f16_e32 v49, v4
.LBB290_216:                            ;   in Loop: Header=BB290_13 Depth=1
	s_or_b64 exec, exec, s[28:29]
	v_lshrrev_b32_e32 v8, 16, v50
	v_cmp_gt_i16_sdwa s[26:27], v8, s35 src0_sel:BYTE_0 src1_sel:DWORD
	s_mov_b64 s[4:5], 0
                                        ; implicit-def: $sgpr30
	s_and_saveexec_b64 s[28:29], s[26:27]
	s_xor_b64 s[26:27], exec, s[28:29]
	s_cbranch_execnz .LBB290_446
; %bb.217:                              ;   in Loop: Header=BB290_13 Depth=1
	s_or_saveexec_b64 s[26:27], s[26:27]
	v_mov_b32_e32 v56, s30
	s_xor_b64 exec, exec, s[26:27]
	s_cbranch_execnz .LBB290_449
.LBB290_218:                            ;   in Loop: Header=BB290_13 Depth=1
	s_or_b64 exec, exec, s[26:27]
	s_and_saveexec_b64 s[26:27], s[4:5]
	s_cbranch_execz .LBB290_220
.LBB290_219:                            ;   in Loop: Header=BB290_13 Depth=1
	v_bfe_u32 v4, v50, 16, 3
	v_ffbh_u32_e32 v17, v4
	v_bfe_u32 v5, v50, 19, 4
	v_min_u32_e32 v17, 32, v17
	v_subrev_u32_e32 v20, 28, v17
	v_sub_u32_e32 v17, 29, v17
	v_cmp_eq_u32_e64 s[4:5], 0, v5
	v_lshlrev_b64 v[20:21], v20, v[8:9]
	v_mov_b32_e32 v2, 0x1c00
	v_cndmask_b32_e64 v5, v5, v17, s[4:5]
	v_and_b32_e32 v20, 7, v20
	v_lshlrev_b32_e32 v8, 8, v8
	v_lshl_add_u32 v5, v5, 10, v2
	v_cndmask_b32_e64 v4, v4, v20, s[4:5]
	v_and_or_b32 v5, v8, s37, v5
	v_lshl_or_b32 v4, v4, 7, v5
	v_cvt_f32_f16_e32 v56, v4
.LBB290_220:                            ;   in Loop: Header=BB290_13 Depth=1
	s_or_b64 exec, exec, s[26:27]
	v_lshrrev_b32_e32 v8, 24, v50
	v_cmp_lt_i16_e64 s[4:5], s35, v8
	s_mov_b64 s[26:27], 0
                                        ; implicit-def: $sgpr38
	s_and_saveexec_b64 s[28:29], s[4:5]
	s_xor_b64 s[28:29], exec, s[28:29]
	s_cbranch_execnz .LBB290_450
; %bb.221:                              ;   in Loop: Header=BB290_13 Depth=1
	s_or_saveexec_b64 s[28:29], s[28:29]
	v_mov_b32_e32 v21, s38
	s_xor_b64 exec, exec, s[28:29]
	s_cbranch_execnz .LBB290_453
.LBB290_222:                            ;   in Loop: Header=BB290_13 Depth=1
	s_or_b64 exec, exec, s[28:29]
	s_and_saveexec_b64 s[28:29], s[26:27]
	s_cbranch_execz .LBB290_224
.LBB290_223:                            ;   in Loop: Header=BB290_13 Depth=1
	v_bfe_u32 v4, v50, 24, 3
	v_ffbh_u32_e32 v17, v4
	v_bfe_u32 v5, v50, 27, 4
	v_min_u32_e32 v17, 32, v17
	v_subrev_u32_e32 v20, 28, v17
	v_sub_u32_e32 v17, 29, v17
	v_cmp_eq_u32_e64 s[4:5], 0, v5
	v_lshlrev_b64 v[20:21], v20, v[8:9]
	v_mov_b32_e32 v2, 0x1c00
	v_cndmask_b32_e64 v5, v5, v17, s[4:5]
	v_and_b32_e32 v20, 7, v20
	v_lshlrev_b32_e32 v8, 8, v8
	v_lshl_add_u32 v5, v5, 10, v2
	v_cndmask_b32_e64 v4, v4, v20, s[4:5]
	v_and_or_b32 v5, v8, s37, v5
	v_lshl_or_b32 v4, v4, 7, v5
	v_cvt_f32_f16_e32 v21, v4
.LBB290_224:                            ;   in Loop: Header=BB290_13 Depth=1
	s_or_b64 exec, exec, s[28:29]
	flat_load_dword v38, v[38:39] offset:3080
	s_mov_b64 s[4:5], 0
                                        ; implicit-def: $sgpr30
	s_waitcnt vmcnt(0) lgkmcnt(0)
	v_cmp_gt_i16_sdwa s[26:27], v38, s35 src0_sel:BYTE_0 src1_sel:DWORD
	s_and_saveexec_b64 s[28:29], s[26:27]
	s_xor_b64 s[26:27], exec, s[28:29]
	s_cbranch_execnz .LBB290_454
; %bb.225:                              ;   in Loop: Header=BB290_13 Depth=1
	s_or_saveexec_b64 s[26:27], s[26:27]
	v_mov_b32_e32 v39, s30
	s_xor_b64 exec, exec, s[26:27]
	s_cbranch_execnz .LBB290_457
.LBB290_226:                            ;   in Loop: Header=BB290_13 Depth=1
	s_or_b64 exec, exec, s[26:27]
	s_and_saveexec_b64 s[26:27], s[4:5]
	s_cbranch_execz .LBB290_228
.LBB290_227:                            ;   in Loop: Header=BB290_13 Depth=1
	v_and_b32_e32 v8, 7, v38
	v_ffbh_u32_e32 v4, v8
	v_min_u32_e32 v20, 32, v4
	v_subrev_u32_e32 v4, 28, v20
	v_bfe_u32 v17, v38, 3, 4
	v_lshlrev_b64 v[4:5], v4, v[38:39]
	v_sub_u32_e32 v5, 29, v20
	v_cmp_eq_u32_e64 s[4:5], 0, v17
	v_and_b32_e32 v4, 7, v4
	v_mov_b32_e32 v2, 0x1c00
	v_cndmask_b32_e64 v5, v17, v5, s[4:5]
	v_cndmask_b32_e64 v4, v8, v4, s[4:5]
	v_lshlrev_b32_e32 v8, 8, v38
	v_lshl_add_u32 v5, v5, 10, v2
	v_and_or_b32 v5, v8, s37, v5
	v_lshl_or_b32 v4, v4, 7, v5
	v_cvt_f32_f16_e32 v39, v4
.LBB290_228:                            ;   in Loop: Header=BB290_13 Depth=1
	s_or_b64 exec, exec, s[26:27]
	v_lshrrev_b16_e32 v8, 8, v38
	v_cmp_lt_i16_e64 s[4:5], s35, v8
	s_mov_b64 s[26:27], 0
                                        ; implicit-def: $sgpr38
	s_and_saveexec_b64 s[28:29], s[4:5]
	s_xor_b64 s[28:29], exec, s[28:29]
	s_cbranch_execnz .LBB290_458
; %bb.229:                              ;   in Loop: Header=BB290_13 Depth=1
	s_or_saveexec_b64 s[28:29], s[28:29]
	v_mov_b32_e32 v42, s38
	s_xor_b64 exec, exec, s[28:29]
	s_cbranch_execnz .LBB290_461
.LBB290_230:                            ;   in Loop: Header=BB290_13 Depth=1
	s_or_b64 exec, exec, s[28:29]
	s_and_saveexec_b64 s[28:29], s[26:27]
	s_cbranch_execz .LBB290_232
.LBB290_231:                            ;   in Loop: Header=BB290_13 Depth=1
	v_and_b32_e32 v17, 7, v8
	v_ffbh_u32_e32 v4, v17
	v_min_u32_e32 v31, 32, v4
	v_subrev_u32_e32 v4, 28, v31
	v_bfe_u32 v20, v8, 3, 4
	v_lshlrev_b64 v[4:5], v4, v[8:9]
	v_sub_u32_e32 v5, 29, v31
	v_cmp_eq_u32_e64 s[4:5], 0, v20
	v_mov_b32_e32 v2, 0x1c00
	v_and_b32_e32 v4, 7, v4
	v_cndmask_b32_e64 v5, v20, v5, s[4:5]
	v_lshlrev_b32_e32 v8, 8, v8
	v_lshl_add_u32 v5, v5, 10, v2
	v_cndmask_b32_e64 v4, v17, v4, s[4:5]
	v_and_or_b32 v5, v8, s37, v5
	v_lshl_or_b32 v4, v4, 7, v5
	v_cvt_f32_f16_e32 v42, v4
.LBB290_232:                            ;   in Loop: Header=BB290_13 Depth=1
	s_or_b64 exec, exec, s[28:29]
	v_lshrrev_b32_e32 v8, 16, v38
	v_cmp_gt_i16_sdwa s[26:27], v8, s35 src0_sel:BYTE_0 src1_sel:DWORD
	s_mov_b64 s[4:5], 0
                                        ; implicit-def: $sgpr30
	s_and_saveexec_b64 s[28:29], s[26:27]
	s_xor_b64 s[26:27], exec, s[28:29]
	s_cbranch_execnz .LBB290_462
; %bb.233:                              ;   in Loop: Header=BB290_13 Depth=1
	s_or_saveexec_b64 s[26:27], s[26:27]
	v_mov_b32_e32 v20, s30
	s_xor_b64 exec, exec, s[26:27]
	s_cbranch_execnz .LBB290_465
.LBB290_234:                            ;   in Loop: Header=BB290_13 Depth=1
	s_or_b64 exec, exec, s[26:27]
	s_and_saveexec_b64 s[26:27], s[4:5]
	s_cbranch_execz .LBB290_236
.LBB290_235:                            ;   in Loop: Header=BB290_13 Depth=1
	v_bfe_u32 v17, v38, 16, 3
	v_ffbh_u32_e32 v4, v17
	v_min_u32_e32 v31, 32, v4
	v_subrev_u32_e32 v4, 28, v31
	v_bfe_u32 v20, v38, 19, 4
	v_lshlrev_b64 v[4:5], v4, v[8:9]
	v_sub_u32_e32 v5, 29, v31
	v_cmp_eq_u32_e64 s[4:5], 0, v20
	v_mov_b32_e32 v2, 0x1c00
	v_and_b32_e32 v4, 7, v4
	v_cndmask_b32_e64 v5, v20, v5, s[4:5]
	v_lshlrev_b32_e32 v8, 8, v8
	v_lshl_add_u32 v5, v5, 10, v2
	v_cndmask_b32_e64 v4, v17, v4, s[4:5]
	v_and_or_b32 v5, v8, s37, v5
	v_lshl_or_b32 v4, v4, 7, v5
	v_cvt_f32_f16_e32 v20, v4
.LBB290_236:                            ;   in Loop: Header=BB290_13 Depth=1
	s_or_b64 exec, exec, s[26:27]
	v_lshrrev_b32_e32 v8, 24, v38
	v_cmp_lt_i16_e64 s[4:5], s35, v8
	s_mov_b64 s[26:27], 0
                                        ; implicit-def: $sgpr38
	s_and_saveexec_b64 s[28:29], s[4:5]
	s_xor_b64 s[28:29], exec, s[28:29]
	s_cbranch_execz .LBB290_240
; %bb.237:                              ;   in Loop: Header=BB290_13 Depth=1
	v_cmp_eq_u16_e64 s[4:5], s36, v8
	s_mov_b64 s[26:27], -1
                                        ; implicit-def: $sgpr38
	s_and_saveexec_b64 s[30:31], s[4:5]
; %bb.238:                              ;   in Loop: Header=BB290_13 Depth=1
	s_mov_b32 s38, 0x7fc02000
	s_xor_b64 s[26:27], exec, -1
; %bb.239:                              ;   in Loop: Header=BB290_13 Depth=1
	s_or_b64 exec, exec, s[30:31]
	s_and_b64 s[26:27], s[26:27], exec
.LBB290_240:                            ;   in Loop: Header=BB290_13 Depth=1
	s_or_saveexec_b64 s[28:29], s[28:29]
	v_mov_b32_e32 v17, s38
	s_xor_b64 exec, exec, s[28:29]
; %bb.241:                              ;   in Loop: Header=BB290_13 Depth=1
	v_cmp_ne_u16_e64 s[4:5], 0, v8
	s_andn2_b64 s[26:27], s[26:27], exec
	s_and_b64 s[4:5], s[4:5], exec
	v_mov_b32_e32 v17, 0
	s_or_b64 s[26:27], s[26:27], s[4:5]
; %bb.242:                              ;   in Loop: Header=BB290_13 Depth=1
	s_or_b64 exec, exec, s[28:29]
	v_accvgpr_write_b32 a58, v57
	v_accvgpr_write_b32 a56, v45
	;; [unrolled: 1-line block ×6, first 2 shown]
	s_and_saveexec_b64 s[28:29], s[26:27]
	s_cbranch_execz .LBB290_244
; %bb.243:                              ;   in Loop: Header=BB290_13 Depth=1
	v_bfe_u32 v17, v38, 24, 3
	v_ffbh_u32_e32 v4, v17
	v_bfe_u32 v31, v38, 27, 4
	v_min_u32_e32 v38, 32, v4
	v_subrev_u32_e32 v4, 28, v38
	v_lshlrev_b64 v[4:5], v4, v[8:9]
	v_sub_u32_e32 v5, 29, v38
	v_cmp_eq_u32_e64 s[4:5], 0, v31
	v_mov_b32_e32 v2, 0x1c00
	v_and_b32_e32 v4, 7, v4
	v_cndmask_b32_e64 v5, v31, v5, s[4:5]
	v_lshlrev_b32_e32 v8, 8, v8
	v_lshl_add_u32 v5, v5, 10, v2
	v_cndmask_b32_e64 v4, v17, v4, s[4:5]
	v_and_or_b32 v5, v8, s37, v5
	v_lshl_or_b32 v4, v4, 7, v5
	v_cvt_f32_f16_e32 v17, v4
.LBB290_244:                            ;   in Loop: Header=BB290_13 Depth=1
	s_or_b64 exec, exec, s[28:29]
	v_accvgpr_read_b32 v30, a42
	ds_read_b64 v[4:5], v30
	v_accvgpr_read_b32 v2, a59
	v_fma_mixlo_f16 v38, v61, v28, 0
	v_fma_mixlo_f16 v28, v61, v2, 0
	;; [unrolled: 1-line block ×3, first 2 shown]
	s_waitcnt lgkmcnt(0)
	v_lshrrev_b32_e32 v8, 16, v4
	v_and_b32_e32 v4, 0xffff, v4
	;;#ASMSTART
	v_cvt_f32_f16 v16, v4;
	;;#ASMEND
	v_and_b32_e32 v4, 0xffff, v28
	v_fma_mixlo_f16 v29, v61, v11, 0
	;;#ASMSTART
	v_cvt_f32_f16 v54, v8;
	;;#ASMEND
	;;#ASMSTART
	v_cvt_f32_f16 v28, v4;
	;;#ASMEND
	v_and_b32_e32 v4, 0xffff, v50
	v_fma_mixlo_f16 v57, v61, v23, 0
	;;#ASMSTART
	v_cvt_f32_f16 v50, v4;
	;;#ASMEND
	v_and_b32_e32 v4, 0xffff, v29
	v_lshrrev_b32_e32 v31, 16, v5
	v_and_b32_e32 v5, 0xffff, v5
	;;#ASMSTART
	v_cvt_f32_f16 v11, v5;
	;;#ASMEND
	;;#ASMSTART
	v_cvt_f32_f16 v45, v31;
	;;#ASMEND
	;;#ASMSTART
	v_cvt_f32_f16 v29, v4;
	;;#ASMEND
	v_and_b32_e32 v4, 0xffff, v57
	;;#ASMSTART
	v_cvt_f32_f16 v57, v4;
	;;#ASMEND
	ds_read_b64 v[4:5], v30 offset:8
	v_and_b32_e32 v31, 0xffff, v38
	v_fma_mixlo_f16 v23, v61, v60, 0
	v_fma_mixlo_f16 v60, v61, v46, 0
	;; [unrolled: 1-line block ×3, first 2 shown]
	s_waitcnt lgkmcnt(0)
	v_and_b32_e32 v8, 0xffff, v4
	;;#ASMSTART
	v_cvt_f32_f16 v8, v8;
	;;#ASMEND
	v_lshrrev_b32_e32 v4, 16, v4
	;;#ASMSTART
	v_cvt_f32_f16 v4, v4;
	;;#ASMEND
	;;#ASMSTART
	v_cvt_f32_f16 v31, v31;
	;;#ASMEND
	v_fma_mixlo_f16 v59, v61, v59, 0
	v_mul_f32_e32 v8, v8, v31
	v_fmac_f32_e32 v8, v16, v28
	v_fma_mixlo_f16 v28, v61, v36, 0
	v_and_b32_e32 v28, 0xffff, v28
	;;#ASMSTART
	v_cvt_f32_f16 v28, v28;
	;;#ASMEND
	v_fma_mixlo_f16 v36, v61, v47, 0
	v_mul_f32_e32 v38, v4, v28
	v_lshrrev_b32_e32 v4, 16, v5
	v_and_b32_e32 v5, 0xffff, v5
	v_fma_mixlo_f16 v28, v61, v37, 0
	;;#ASMSTART
	v_cvt_f32_f16 v5, v5;
	;;#ASMEND
	;;#ASMSTART
	v_cvt_f32_f16 v2, v4;
	;;#ASMEND
	v_and_b32_e32 v4, 0xffff, v28
	v_fma_mixlo_f16 v28, v61, v0, 0
	v_accvgpr_read_b32 v0, a58
	v_fma_mixlo_f16 v43, v61, v0, 0
	v_accvgpr_read_b32 v0, a57
	;; [unrolled: 2-line block ×6, first 2 shown]
	v_fmac_f32_e32 v38, v54, v50
	v_fma_mixlo_f16 v54, v61, v1, 0
	v_fma_mixlo_f16 v1, v61, v0, 0
	v_accvgpr_read_b32 v0, a52
	v_fma_mixlo_f16 v0, v61, v0, 0
	;;#ASMSTART
	v_cvt_f32_f16 v4, v4;
	;;#ASMEND
	v_and_b32_e32 v0, 0xffff, v0
	v_mul_f32_e32 v50, v5, v4
	v_fma_mixlo_f16 v5, v61, v25, 0
	v_fma_mixlo_f16 v25, v61, v62, 0
	;; [unrolled: 1-line block ×10, first 2 shown]
	;;#ASMSTART
	v_cvt_f32_f16 v0, v0;
	;;#ASMEND
	v_fmac_f32_e32 v50, v11, v29
	ds_read_b64 v[10:11], v30 offset:16
	v_fma_mixlo_f16 v31, v61, v48, 0
	v_fma_mixlo_f16 v48, v61, v56, 0
	;; [unrolled: 1-line block ×16, first 2 shown]
	s_waitcnt lgkmcnt(0)
	v_lshrrev_b32_e32 v20, 16, v10
	v_and_b32_e32 v10, 0xffff, v10
	;;#ASMSTART
	v_cvt_f32_f16 v29, v10;
	;;#ASMEND
	v_and_b32_e32 v10, 0xffff, v60
	v_fma_mixlo_f16 v4, v61, v21, 0
	v_mul_f32_e32 v0, v2, v0
	;;#ASMSTART
	v_cvt_f32_f16 v20, v20;
	;;#ASMEND
	;;#ASMSTART
	v_cvt_f32_f16 v2, v10;
	;;#ASMEND
	v_and_b32_e32 v10, 0xffff, v58
	v_accvgpr_write_b32 a59, v4
	v_fma_mixlo_f16 v4, v61, v39, 0
	;;#ASMSTART
	v_cvt_f32_f16 v39, v10;
	;;#ASMEND
	v_lshrrev_b32_e32 v10, 16, v11
	v_fma_mixlo_f16 v21, v61, v42, 0
	v_fmac_f32_e32 v0, v45, v57
	v_and_b32_e32 v11, 0xffff, v11
	;;#ASMSTART
	v_cvt_f32_f16 v42, v11;
	;;#ASMEND
	;;#ASMSTART
	v_cvt_f32_f16 v45, v10;
	;;#ASMEND
	v_and_b32_e32 v10, 0xffff, v46
	v_and_b32_e32 v1, 0xffff, v1
	;;#ASMSTART
	v_cvt_f32_f16 v46, v10;
	;;#ASMEND
	;;#ASMSTART
	v_cvt_f32_f16 v1, v1;
	;;#ASMEND
	ds_read_b64 v[10:11], v30 offset:24
	v_fmac_f32_e32 v0, v45, v1
	v_fmac_f32_e32 v38, v20, v39
	v_fmac_f32_e32 v8, v29, v2
	v_fmac_f32_e32 v50, v42, v46
	s_waitcnt lgkmcnt(0)
	v_lshrrev_b32_e32 v1, 16, v10
	v_and_b32_e32 v10, 0xffff, v10
	;;#ASMSTART
	v_cvt_f32_f16 v20, v10;
	;;#ASMEND
	v_and_b32_e32 v10, 0xffff, v36
	;;#ASMSTART
	v_cvt_f32_f16 v1, v1;
	;;#ASMEND
	;;#ASMSTART
	v_cvt_f32_f16 v29, v10;
	;;#ASMEND
	v_and_b32_e32 v10, 0xffff, v23
	;;#ASMSTART
	v_cvt_f32_f16 v23, v10;
	;;#ASMEND
	v_lshrrev_b32_e32 v10, 16, v11
	v_and_b32_e32 v11, 0xffff, v11
	;;#ASMSTART
	v_cvt_f32_f16 v2, v11;
	;;#ASMEND
	;;#ASMSTART
	v_cvt_f32_f16 v36, v10;
	;;#ASMEND
	v_and_b32_e32 v10, 0xffff, v37
	;;#ASMSTART
	v_cvt_f32_f16 v37, v10;
	;;#ASMEND
	v_and_b32_e32 v10, 0xffff, v47
	;;#ASMSTART
	v_cvt_f32_f16 v39, v10;
	;;#ASMEND
	ds_read_b64 v[10:11], v30 offset:32
	v_fmac_f32_e32 v38, v1, v23
	v_fmac_f32_e32 v8, v20, v29
	v_fmac_f32_e32 v50, v2, v37
	v_fmac_f32_e32 v0, v36, v39
	s_waitcnt lgkmcnt(0)
	v_lshrrev_b32_e32 v1, 16, v10
	v_and_b32_e32 v10, 0xffff, v10
	;;#ASMSTART
	v_cvt_f32_f16 v20, v10;
	;;#ASMEND
	v_and_b32_e32 v10, 0xffff, v16
	;;#ASMSTART
	v_cvt_f32_f16 v1, v1;
	;;#ASMEND
	;;#ASMSTART
	v_cvt_f32_f16 v16, v10;
	;;#ASMEND
	v_and_b32_e32 v10, 0xffff, v43
	;;#ASMSTART
	v_cvt_f32_f16 v23, v10;
	;;#ASMEND
	v_lshrrev_b32_e32 v10, 16, v11
	v_and_b32_e32 v11, 0xffff, v11
	;;#ASMSTART
	v_cvt_f32_f16 v29, v11;
	;;#ASMEND
	;;#ASMSTART
	v_cvt_f32_f16 v2, v10;
	;;#ASMEND
	v_and_b32_e32 v10, 0xffff, v18
	;;#ASMSTART
	v_cvt_f32_f16 v18, v10;
	;;#ASMEND
	v_and_b32_e32 v10, 0xffff, v19
	;; [unrolled: 38-line block ×4, first 2 shown]
	;;#ASMSTART
	v_cvt_f32_f16 v13, v10;
	;;#ASMEND
	ds_read_b64 v[10:11], v30 offset:56
	v_fmac_f32_e32 v38, v1, v15
	v_fmac_f32_e32 v0, v20, v13
	;; [unrolled: 1-line block ×4, first 2 shown]
	s_waitcnt lgkmcnt(0)
	v_lshrrev_b32_e32 v1, 16, v10
	v_and_b32_e32 v10, 0xffff, v10
	;;#ASMSTART
	v_cvt_f32_f16 v13, v10;
	;;#ASMEND
	v_and_b32_e32 v10, 0xffff, v35
	;;#ASMSTART
	v_cvt_f32_f16 v1, v1;
	;;#ASMEND
	;;#ASMSTART
	v_cvt_f32_f16 v14, v10;
	;;#ASMEND
	v_and_b32_e32 v10, 0xffff, v34
	;;#ASMSTART
	v_cvt_f32_f16 v15, v10;
	;;#ASMEND
	v_lshrrev_b32_e32 v10, 16, v11
	v_and_b32_e32 v11, 0xffff, v11
	;;#ASMSTART
	v_cvt_f32_f16 v16, v11;
	;;#ASMEND
	;;#ASMSTART
	v_cvt_f32_f16 v18, v10;
	;;#ASMEND
	v_and_b32_e32 v10, 0xffff, v12
	v_and_b32_e32 v7, 0xffff, v7
	;;#ASMSTART
	v_cvt_f32_f16 v12, v10;
	;;#ASMEND
	;;#ASMSTART
	v_cvt_f32_f16 v7, v7;
	;;#ASMEND
	ds_read_b64 v[10:11], v30 offset:64
	v_fmac_f32_e32 v38, v1, v15
	v_fmac_f32_e32 v0, v18, v7
	;; [unrolled: 1-line block ×4, first 2 shown]
	s_waitcnt lgkmcnt(0)
	v_lshrrev_b32_e32 v1, 16, v10
	v_and_b32_e32 v7, 0xffff, v10
	v_and_b32_e32 v10, 0xffff, v62
	;;#ASMSTART
	v_cvt_f32_f16 v7, v7;
	;;#ASMEND
	;;#ASMSTART
	v_cvt_f32_f16 v1, v1;
	;;#ASMEND
	;; [unrolled: 3-line block ×3, first 2 shown]
	v_and_b32_e32 v10, 0xffff, v44
	;;#ASMSTART
	v_cvt_f32_f16 v13, v10;
	;;#ASMEND
	v_lshrrev_b32_e32 v10, 16, v11
	v_and_b32_e32 v11, 0xffff, v11
	;;#ASMSTART
	v_cvt_f32_f16 v14, v11;
	;;#ASMEND
	;;#ASMSTART
	v_cvt_f32_f16 v15, v10;
	;;#ASMEND
	v_and_b32_e32 v10, 0xffff, v33
	;;#ASMSTART
	v_cvt_f32_f16 v16, v10;
	;;#ASMEND
	v_and_b32_e32 v10, 0xffff, v32
	;;#ASMSTART
	v_cvt_f32_f16 v18, v10;
	;;#ASMEND
	ds_read_b64 v[10:11], v30 offset:72
	v_fmac_f32_e32 v8, v7, v12
	v_fmac_f32_e32 v38, v1, v13
	;; [unrolled: 1-line block ×3, first 2 shown]
	v_and_b32_e32 v6, 0xffff, v6
	s_waitcnt lgkmcnt(0)
	v_and_b32_e32 v7, 0xffff, v10
	v_lshrrev_b32_e32 v1, 16, v10
	;;#ASMSTART
	v_cvt_f32_f16 v10, v7;
	;;#ASMEND
	v_and_b32_e32 v7, 0xffff, v59
	;;#ASMSTART
	v_cvt_f32_f16 v1, v1;
	;;#ASMEND
	;;#ASMSTART
	v_cvt_f32_f16 v12, v7;
	;;#ASMEND
	v_and_b32_e32 v7, 0xffff, v40
	;;#ASMSTART
	v_cvt_f32_f16 v13, v7;
	;;#ASMEND
	v_lshrrev_b32_e32 v7, 16, v11
	v_and_b32_e32 v11, 0xffff, v11
	;;#ASMSTART
	v_cvt_f32_f16 v11, v11;
	;;#ASMEND
	;;#ASMSTART
	v_cvt_f32_f16 v14, v7;
	;;#ASMEND
	v_and_b32_e32 v7, 0xffff, v22
	v_fmac_f32_e32 v0, v15, v18
	;;#ASMSTART
	v_cvt_f32_f16 v15, v7;
	;;#ASMEND
	;;#ASMSTART
	v_cvt_f32_f16 v16, v6;
	;;#ASMEND
	ds_read_b64 v[6:7], v30 offset:80
	v_fmac_f32_e32 v38, v1, v13
	v_fmac_f32_e32 v8, v10, v12
	v_and_b32_e32 v5, 0xffff, v5
	v_fmac_f32_e32 v50, v11, v15
	s_waitcnt lgkmcnt(0)
	v_lshrrev_b32_e32 v1, 16, v6
	v_and_b32_e32 v6, 0xffff, v6
	;;#ASMSTART
	v_cvt_f32_f16 v10, v6;
	;;#ASMEND
	v_and_b32_e32 v6, 0xffff, v56
	;;#ASMSTART
	v_cvt_f32_f16 v1, v1;
	;;#ASMEND
	;;#ASMSTART
	v_cvt_f32_f16 v5, v5;
	;;#ASMEND
	;; [unrolled: 3-line block ×3, first 2 shown]
	v_lshrrev_b32_e32 v6, 16, v7
	v_and_b32_e32 v7, 0xffff, v7
	;;#ASMSTART
	v_cvt_f32_f16 v12, v7;
	;;#ASMEND
	;;#ASMSTART
	v_cvt_f32_f16 v13, v6;
	;;#ASMEND
	v_and_b32_e32 v6, 0xffff, v25
	v_fmac_f32_e32 v0, v14, v16
	;;#ASMSTART
	v_cvt_f32_f16 v14, v6;
	;;#ASMEND
	v_and_b32_e32 v6, 0xffff, v24
	;;#ASMSTART
	v_cvt_f32_f16 v15, v6;
	;;#ASMEND
	ds_read_b64 v[6:7], v30 offset:88
	v_fma_mixlo_f16 v55, v61, v55, 0
	v_fma_mixlo_f16 v41, v61, v41, 0
	v_fmac_f32_e32 v8, v10, v5
	v_fmac_f32_e32 v38, v1, v11
	s_waitcnt lgkmcnt(0)
	v_lshrrev_b32_e32 v1, 16, v6
	v_and_b32_e32 v5, 0xffff, v6
	v_and_b32_e32 v6, 0xffff, v55
	;;#ASMSTART
	v_cvt_f32_f16 v5, v5;
	;;#ASMEND
	;;#ASMSTART
	v_cvt_f32_f16 v1, v1;
	;;#ASMEND
	;; [unrolled: 3-line block ×3, first 2 shown]
	v_and_b32_e32 v6, 0xffff, v41
	v_fma_mixlo_f16 v27, v61, v27, 0
	;;#ASMSTART
	v_cvt_f32_f16 v11, v6;
	;;#ASMEND
	v_lshrrev_b32_e32 v6, 16, v7
	v_fma_mixlo_f16 v26, v61, v26, 0
	v_fmac_f32_e32 v50, v12, v14
	v_fmac_f32_e32 v0, v13, v15
	v_and_b32_e32 v7, 0xffff, v7
	;;#ASMSTART
	v_cvt_f32_f16 v12, v7;
	;;#ASMEND
	;;#ASMSTART
	v_cvt_f32_f16 v13, v6;
	;;#ASMEND
	v_and_b32_e32 v6, 0xffff, v27
	;;#ASMSTART
	v_cvt_f32_f16 v14, v6;
	;;#ASMEND
	v_and_b32_e32 v6, 0xffff, v26
	;;#ASMSTART
	v_cvt_f32_f16 v15, v6;
	;;#ASMEND
	ds_read_b64 v[6:7], v30 offset:96
	v_fma_mixlo_f16 v49, v61, v49, 0
	v_fmac_f32_e32 v8, v5, v10
	v_fmac_f32_e32 v38, v1, v11
	;; [unrolled: 1-line block ×3, first 2 shown]
	s_waitcnt lgkmcnt(0)
	v_lshrrev_b32_e32 v1, 16, v6
	v_and_b32_e32 v5, 0xffff, v6
	v_and_b32_e32 v6, 0xffff, v31
	;;#ASMSTART
	v_cvt_f32_f16 v5, v5;
	;;#ASMEND
	;;#ASMSTART
	v_cvt_f32_f16 v1, v1;
	;;#ASMEND
	;; [unrolled: 3-line block ×3, first 2 shown]
	v_and_b32_e32 v6, 0xffff, v49
	;;#ASMSTART
	v_cvt_f32_f16 v11, v6;
	;;#ASMEND
	v_lshrrev_b32_e32 v6, 16, v7
	v_fmac_f32_e32 v0, v13, v15
	v_and_b32_e32 v7, 0xffff, v7
	;;#ASMSTART
	v_cvt_f32_f16 v12, v7;
	;;#ASMEND
	;;#ASMSTART
	v_cvt_f32_f16 v13, v6;
	;;#ASMEND
	v_and_b32_e32 v6, 0xffff, v48
	v_accvgpr_read_b32 v2, a59
	;;#ASMSTART
	v_cvt_f32_f16 v14, v6;
	;;#ASMEND
	v_and_b32_e32 v6, 0xffff, v2
	;;#ASMSTART
	v_cvt_f32_f16 v15, v6;
	;;#ASMEND
	ds_read_b64 v[6:7], v30 offset:104
	v_fmac_f32_e32 v8, v5, v10
	v_fmac_f32_e32 v38, v1, v11
	v_and_b32_e32 v4, 0xffff, v4
	v_and_b32_e32 v2, 0xffff, v21
	s_waitcnt lgkmcnt(0)
	v_lshrrev_b32_e32 v1, 16, v6
	v_and_b32_e32 v5, 0xffff, v6
	;;#ASMSTART
	v_cvt_f32_f16 v5, v5;
	;;#ASMEND
	;;#ASMSTART
	v_cvt_f32_f16 v1, v1;
	;;#ASMEND
	;; [unrolled: 3-line block ×4, first 2 shown]
	v_fma_mixlo_f16 v17, v61, v17, 0
	v_fmac_f32_e32 v38, v1, v2
	v_lshrrev_b32_e32 v1, 16, v7
	v_and_b32_e32 v2, 0xffff, v7
	v_and_b32_e32 v3, 0xffff, v3
	v_fmac_f32_e32 v50, v12, v14
	v_fmac_f32_e32 v0, v13, v15
	;; [unrolled: 1-line block ×3, first 2 shown]
	;;#ASMSTART
	v_cvt_f32_f16 v2, v2;
	;;#ASMEND
	;;#ASMSTART
	v_cvt_f32_f16 v1, v1;
	;;#ASMEND
	;; [unrolled: 3-line block ×3, first 2 shown]
	v_and_b32_e32 v4, 0xffff, v17
	;;#ASMSTART
	v_cvt_f32_f16 v4, v4;
	;;#ASMEND
	v_fmac_f32_e32 v50, v2, v3
	v_fmac_f32_e32 v0, v1, v4
	v_add_f32_e32 v1, v8, v38
	v_accvgpr_read_b32 v3, a50
	v_add_f32_e32 v1, v1, v50
	v_and_b32_e32 v2, 64, v3
	v_add_f32_e32 v0, v0, v1
	v_xor_b32_e32 v1, 1, v3
	v_add_u32_e32 v2, 64, v2
	v_cmp_lt_i32_e64 s[4:5], v1, v2
	s_nop 1
	v_cndmask_b32_e64 v1, v3, v1, s[4:5]
	v_lshlrev_b32_e32 v1, 2, v1
	ds_bpermute_b32 v1, v1, v0
	s_and_saveexec_b64 s[26:27], vcc
	s_cbranch_execz .LBB290_11
; %bb.245:                              ;   in Loop: Header=BB290_13 Depth=1
	v_accvgpr_read_b32 v4, a45
	v_accvgpr_read_b32 v2, a49
	v_accvgpr_read_b32 v3, a37
	v_add_u32_e32 v2, v2, v4
	v_add_u32_e32 v3, v3, v4
	scratch_load_dword v4, off, s32 offset:184 ; 4-byte Folded Reload
	v_cvt_f32_i32_e32 v2, v2
	s_waitcnt lgkmcnt(0)
	v_add_f32_e32 v0, v0, v1
	v_accvgpr_read_b32 v1, a34
	s_load_dword s4, s[22:23], 0x0
	s_waitcnt vmcnt(0)
	v_mul_f32_e32 v2, v4, v2
	v_cndmask_b32_e64 v2, 0, v2, s[2:3]
	v_fmac_f32_e32 v2, v0, v1
	scratch_load_dword v1, off, s32 offset:180 ; 4-byte Folded Reload
	v_accvgpr_read_b32 v4, a48
	v_accvgpr_read_b32 v0, a8
	s_waitcnt lgkmcnt(0)
	v_add_u32_e32 v4, s4, v4
	v_cmp_lt_i32_e64 s[4:5], v3, v0
	s_nop 1
	v_cndmask_b32_e64 v0, 0, v2, s[4:5]
	ds_write_b32 v4, v0
	s_waitcnt vmcnt(0)
	v_max_f32_e32 v0, v1, v1
	v_max_f32_e32 v0, v0, v2
	v_cndmask_b32_e64 v1, v1, v0, s[4:5]
	scratch_store_dword off, v1, s32 offset:180 ; 4-byte Folded Spill
	s_branch .LBB290_11
.LBB290_246:                            ;   in Loop: Header=BB290_13 Depth=1
	v_cmp_eq_u16_sdwa s[38:39], v50, s36 src0_sel:BYTE_0 src1_sel:DWORD
	s_mov_b64 s[4:5], -1
                                        ; implicit-def: $sgpr30
	s_and_saveexec_b64 s[28:29], s[38:39]
; %bb.247:                              ;   in Loop: Header=BB290_13 Depth=1
	s_mov_b32 s30, 0x7fc02000
	s_xor_b64 s[4:5], exec, -1
; %bb.248:                              ;   in Loop: Header=BB290_13 Depth=1
	s_or_b64 exec, exec, s[28:29]
	s_and_b64 s[4:5], s[4:5], exec
	s_or_saveexec_b64 s[26:27], s[26:27]
	v_mov_b32_e32 v0, s30
	s_xor_b64 exec, exec, s[26:27]
	s_cbranch_execz .LBB290_18
.LBB290_249:                            ;   in Loop: Header=BB290_13 Depth=1
	v_cmp_ne_u16_sdwa s[28:29], v50, v9 src0_sel:BYTE_0 src1_sel:DWORD
	s_andn2_b64 s[4:5], s[4:5], exec
	s_and_b64 s[28:29], s[28:29], exec
	v_mov_b32_e32 v0, 0
	s_or_b64 s[4:5], s[4:5], s[28:29]
	s_or_b64 exec, exec, s[26:27]
	s_and_saveexec_b64 s[26:27], s[4:5]
	s_cbranch_execnz .LBB290_19
	s_branch .LBB290_20
.LBB290_250:                            ;   in Loop: Header=BB290_13 Depth=1
	v_cmp_eq_u16_e64 s[4:5], s36, v8
	s_mov_b64 s[26:27], -1
                                        ; implicit-def: $sgpr38
	s_and_saveexec_b64 s[30:31], s[4:5]
; %bb.251:                              ;   in Loop: Header=BB290_13 Depth=1
	s_mov_b32 s38, 0x7fc02000
	s_xor_b64 s[26:27], exec, -1
; %bb.252:                              ;   in Loop: Header=BB290_13 Depth=1
	s_or_b64 exec, exec, s[30:31]
	s_and_b64 s[26:27], s[26:27], exec
	s_or_saveexec_b64 s[28:29], s[28:29]
	v_mov_b32_e32 v16, s38
	s_xor_b64 exec, exec, s[28:29]
	s_cbranch_execz .LBB290_22
.LBB290_253:                            ;   in Loop: Header=BB290_13 Depth=1
	v_cmp_ne_u16_e64 s[4:5], 0, v8
	s_andn2_b64 s[26:27], s[26:27], exec
	s_and_b64 s[4:5], s[4:5], exec
	v_mov_b32_e32 v16, 0
	s_or_b64 s[26:27], s[26:27], s[4:5]
	s_or_b64 exec, exec, s[28:29]
	s_and_saveexec_b64 s[28:29], s[26:27]
	s_cbranch_execnz .LBB290_23
	s_branch .LBB290_24
.LBB290_254:                            ;   in Loop: Header=BB290_13 Depth=1
	v_cmp_eq_u16_sdwa s[38:39], v8, s36 src0_sel:BYTE_0 src1_sel:DWORD
	s_mov_b64 s[4:5], -1
                                        ; implicit-def: $sgpr30
	s_and_saveexec_b64 s[28:29], s[38:39]
; %bb.255:                              ;   in Loop: Header=BB290_13 Depth=1
	s_mov_b32 s30, 0x7fc02000
	s_xor_b64 s[4:5], exec, -1
; %bb.256:                              ;   in Loop: Header=BB290_13 Depth=1
	s_or_b64 exec, exec, s[28:29]
	s_and_b64 s[4:5], s[4:5], exec
	s_or_saveexec_b64 s[26:27], s[26:27]
	v_mov_b32_e32 v11, s30
	s_xor_b64 exec, exec, s[26:27]
	s_cbranch_execz .LBB290_26
.LBB290_257:                            ;   in Loop: Header=BB290_13 Depth=1
	v_cmp_ne_u16_sdwa s[28:29], v8, v9 src0_sel:BYTE_0 src1_sel:DWORD
	s_andn2_b64 s[4:5], s[4:5], exec
	s_and_b64 s[28:29], s[28:29], exec
	v_mov_b32_e32 v11, 0
	s_or_b64 s[4:5], s[4:5], s[28:29]
	s_or_b64 exec, exec, s[26:27]
	s_and_saveexec_b64 s[26:27], s[4:5]
	s_cbranch_execnz .LBB290_27
	s_branch .LBB290_28
.LBB290_258:                            ;   in Loop: Header=BB290_13 Depth=1
	v_cmp_eq_u16_e64 s[4:5], s36, v8
	s_mov_b64 s[26:27], -1
                                        ; implicit-def: $sgpr38
	s_and_saveexec_b64 s[30:31], s[4:5]
; %bb.259:                              ;   in Loop: Header=BB290_13 Depth=1
	s_mov_b32 s38, 0x7fc02000
	s_xor_b64 s[26:27], exec, -1
; %bb.260:                              ;   in Loop: Header=BB290_13 Depth=1
	s_or_b64 exec, exec, s[30:31]
	s_and_b64 s[26:27], s[26:27], exec
	s_or_saveexec_b64 s[28:29], s[28:29]
	v_mov_b32_e32 v23, s38
	s_xor_b64 exec, exec, s[28:29]
	s_cbranch_execz .LBB290_30
.LBB290_261:                            ;   in Loop: Header=BB290_13 Depth=1
	v_cmp_ne_u16_e64 s[4:5], 0, v8
	s_andn2_b64 s[26:27], s[26:27], exec
	s_and_b64 s[4:5], s[4:5], exec
	v_mov_b32_e32 v23, 0
	s_or_b64 s[26:27], s[26:27], s[4:5]
	s_or_b64 exec, exec, s[28:29]
	s_and_saveexec_b64 s[28:29], s[26:27]
	s_cbranch_execnz .LBB290_31
	s_branch .LBB290_32
.LBB290_262:                            ;   in Loop: Header=BB290_13 Depth=1
	v_cmp_eq_u16_sdwa s[38:39], v50, s36 src0_sel:BYTE_0 src1_sel:DWORD
	s_mov_b64 s[4:5], -1
                                        ; implicit-def: $sgpr30
	s_and_saveexec_b64 s[28:29], s[38:39]
; %bb.263:                              ;   in Loop: Header=BB290_13 Depth=1
	s_mov_b32 s30, 0x7fc02000
	s_xor_b64 s[4:5], exec, -1
; %bb.264:                              ;   in Loop: Header=BB290_13 Depth=1
	s_or_b64 exec, exec, s[28:29]
	s_and_b64 s[4:5], s[4:5], exec
	s_or_saveexec_b64 s[26:27], s[26:27]
	v_mov_b32_e32 v28, s30
	s_xor_b64 exec, exec, s[26:27]
	s_cbranch_execz .LBB290_34
.LBB290_265:                            ;   in Loop: Header=BB290_13 Depth=1
	v_cmp_ne_u16_sdwa s[28:29], v50, v9 src0_sel:BYTE_0 src1_sel:DWORD
	s_andn2_b64 s[4:5], s[4:5], exec
	s_and_b64 s[28:29], s[28:29], exec
	v_mov_b32_e32 v28, 0
	s_or_b64 s[4:5], s[4:5], s[28:29]
	s_or_b64 exec, exec, s[26:27]
	s_and_saveexec_b64 s[26:27], s[4:5]
	s_cbranch_execnz .LBB290_35
	s_branch .LBB290_36
.LBB290_266:                            ;   in Loop: Header=BB290_13 Depth=1
	v_cmp_eq_u16_e64 s[4:5], s36, v8
	s_mov_b64 s[26:27], -1
                                        ; implicit-def: $sgpr38
	s_and_saveexec_b64 s[30:31], s[4:5]
; %bb.267:                              ;   in Loop: Header=BB290_13 Depth=1
	s_mov_b32 s38, 0x7fc02000
	s_xor_b64 s[26:27], exec, -1
; %bb.268:                              ;   in Loop: Header=BB290_13 Depth=1
	s_or_b64 exec, exec, s[30:31]
	s_and_b64 s[26:27], s[26:27], exec
	s_or_saveexec_b64 s[28:29], s[28:29]
	v_mov_b32_e32 v36, s38
	s_xor_b64 exec, exec, s[28:29]
	s_cbranch_execz .LBB290_38
.LBB290_269:                            ;   in Loop: Header=BB290_13 Depth=1
	v_cmp_ne_u16_e64 s[4:5], 0, v8
	s_andn2_b64 s[26:27], s[26:27], exec
	s_and_b64 s[4:5], s[4:5], exec
	v_mov_b32_e32 v36, 0
	s_or_b64 s[26:27], s[26:27], s[4:5]
	s_or_b64 exec, exec, s[28:29]
	s_and_saveexec_b64 s[28:29], s[26:27]
	s_cbranch_execnz .LBB290_39
	s_branch .LBB290_40
.LBB290_270:                            ;   in Loop: Header=BB290_13 Depth=1
	v_cmp_eq_u16_sdwa s[38:39], v8, s36 src0_sel:BYTE_0 src1_sel:DWORD
	s_mov_b64 s[4:5], -1
                                        ; implicit-def: $sgpr30
	s_and_saveexec_b64 s[28:29], s[38:39]
; %bb.271:                              ;   in Loop: Header=BB290_13 Depth=1
	s_mov_b32 s30, 0x7fc02000
	s_xor_b64 s[4:5], exec, -1
; %bb.272:                              ;   in Loop: Header=BB290_13 Depth=1
	s_or_b64 exec, exec, s[28:29]
	s_and_b64 s[4:5], s[4:5], exec
	s_or_saveexec_b64 s[26:27], s[26:27]
	v_mov_b32_e32 v37, s30
	s_xor_b64 exec, exec, s[26:27]
	s_cbranch_execz .LBB290_42
.LBB290_273:                            ;   in Loop: Header=BB290_13 Depth=1
	v_cmp_ne_u16_sdwa s[28:29], v8, v9 src0_sel:BYTE_0 src1_sel:DWORD
	s_andn2_b64 s[4:5], s[4:5], exec
	s_and_b64 s[28:29], s[28:29], exec
	v_mov_b32_e32 v37, 0
	s_or_b64 s[4:5], s[4:5], s[28:29]
	s_or_b64 exec, exec, s[26:27]
	s_and_saveexec_b64 s[26:27], s[4:5]
	s_cbranch_execnz .LBB290_43
	s_branch .LBB290_44
.LBB290_274:                            ;   in Loop: Header=BB290_13 Depth=1
	v_cmp_eq_u16_e64 s[4:5], s36, v8
	s_mov_b64 s[26:27], -1
                                        ; implicit-def: $sgpr38
	s_and_saveexec_b64 s[30:31], s[4:5]
; %bb.275:                              ;   in Loop: Header=BB290_13 Depth=1
	s_mov_b32 s38, 0x7fc02000
	s_xor_b64 s[26:27], exec, -1
; %bb.276:                              ;   in Loop: Header=BB290_13 Depth=1
	s_or_b64 exec, exec, s[30:31]
	s_and_b64 s[26:27], s[26:27], exec
	s_or_saveexec_b64 s[28:29], s[28:29]
	v_mov_b32_e32 v29, s38
	s_xor_b64 exec, exec, s[28:29]
	s_cbranch_execz .LBB290_46
.LBB290_277:                            ;   in Loop: Header=BB290_13 Depth=1
	v_cmp_ne_u16_e64 s[4:5], 0, v8
	s_andn2_b64 s[26:27], s[26:27], exec
	s_and_b64 s[4:5], s[4:5], exec
	v_mov_b32_e32 v29, 0
	s_or_b64 s[26:27], s[26:27], s[4:5]
	s_or_b64 exec, exec, s[28:29]
	s_and_saveexec_b64 s[28:29], s[26:27]
	s_cbranch_execnz .LBB290_47
	s_branch .LBB290_48
.LBB290_278:                            ;   in Loop: Header=BB290_13 Depth=1
	v_cmp_eq_u16_sdwa s[38:39], v50, s36 src0_sel:BYTE_0 src1_sel:DWORD
	s_mov_b64 s[4:5], -1
                                        ; implicit-def: $sgpr30
	s_and_saveexec_b64 s[28:29], s[38:39]
; %bb.279:                              ;   in Loop: Header=BB290_13 Depth=1
	s_mov_b32 s30, 0x7fc02000
	s_xor_b64 s[4:5], exec, -1
; %bb.280:                              ;   in Loop: Header=BB290_13 Depth=1
	s_or_b64 exec, exec, s[28:29]
	s_and_b64 s[4:5], s[4:5], exec
	s_or_saveexec_b64 s[26:27], s[26:27]
	v_mov_b32_e32 v46, s30
	s_xor_b64 exec, exec, s[26:27]
	s_cbranch_execz .LBB290_50
.LBB290_281:                            ;   in Loop: Header=BB290_13 Depth=1
	v_cmp_ne_u16_sdwa s[28:29], v50, v9 src0_sel:BYTE_0 src1_sel:DWORD
	s_andn2_b64 s[4:5], s[4:5], exec
	s_and_b64 s[28:29], s[28:29], exec
	v_mov_b32_e32 v46, 0
	s_or_b64 s[4:5], s[4:5], s[28:29]
	s_or_b64 exec, exec, s[26:27]
	s_and_saveexec_b64 s[26:27], s[4:5]
	s_cbranch_execnz .LBB290_51
	s_branch .LBB290_52
.LBB290_282:                            ;   in Loop: Header=BB290_13 Depth=1
	v_cmp_eq_u16_e64 s[4:5], s36, v8
	s_mov_b64 s[26:27], -1
                                        ; implicit-def: $sgpr38
	s_and_saveexec_b64 s[30:31], s[4:5]
; %bb.283:                              ;   in Loop: Header=BB290_13 Depth=1
	s_mov_b32 s38, 0x7fc02000
	s_xor_b64 s[26:27], exec, -1
; %bb.284:                              ;   in Loop: Header=BB290_13 Depth=1
	s_or_b64 exec, exec, s[30:31]
	s_and_b64 s[26:27], s[26:27], exec
	s_or_saveexec_b64 s[28:29], s[28:29]
	v_mov_b32_e32 v58, s38
	s_xor_b64 exec, exec, s[28:29]
	s_cbranch_execz .LBB290_54
.LBB290_285:                            ;   in Loop: Header=BB290_13 Depth=1
	v_cmp_ne_u16_e64 s[4:5], 0, v8
	s_andn2_b64 s[26:27], s[26:27], exec
	s_and_b64 s[4:5], s[4:5], exec
	v_mov_b32_e32 v58, 0
	s_or_b64 s[26:27], s[26:27], s[4:5]
	s_or_b64 exec, exec, s[28:29]
	s_and_saveexec_b64 s[28:29], s[26:27]
	s_cbranch_execnz .LBB290_55
	s_branch .LBB290_56
.LBB290_286:                            ;   in Loop: Header=BB290_13 Depth=1
	v_cmp_eq_u16_sdwa s[38:39], v8, s36 src0_sel:BYTE_0 src1_sel:DWORD
	s_mov_b64 s[4:5], -1
                                        ; implicit-def: $sgpr30
	s_and_saveexec_b64 s[28:29], s[38:39]
; %bb.287:                              ;   in Loop: Header=BB290_13 Depth=1
	s_mov_b32 s30, 0x7fc02000
	s_xor_b64 s[4:5], exec, -1
; %bb.288:                              ;   in Loop: Header=BB290_13 Depth=1
	s_or_b64 exec, exec, s[28:29]
	s_and_b64 s[4:5], s[4:5], exec
	s_or_saveexec_b64 s[26:27], s[26:27]
	v_mov_b32_e32 v30, s30
	s_xor_b64 exec, exec, s[26:27]
	s_cbranch_execz .LBB290_58
.LBB290_289:                            ;   in Loop: Header=BB290_13 Depth=1
	v_cmp_ne_u16_sdwa s[28:29], v8, v9 src0_sel:BYTE_0 src1_sel:DWORD
	s_andn2_b64 s[4:5], s[4:5], exec
	s_and_b64 s[28:29], s[28:29], exec
	v_mov_b32_e32 v30, 0
	s_or_b64 s[4:5], s[4:5], s[28:29]
	s_or_b64 exec, exec, s[26:27]
	s_and_saveexec_b64 s[26:27], s[4:5]
	s_cbranch_execnz .LBB290_59
	s_branch .LBB290_60
.LBB290_290:                            ;   in Loop: Header=BB290_13 Depth=1
	v_cmp_eq_u16_e64 s[4:5], s36, v8
	s_mov_b64 s[26:27], -1
                                        ; implicit-def: $sgpr38
	s_and_saveexec_b64 s[30:31], s[4:5]
; %bb.291:                              ;   in Loop: Header=BB290_13 Depth=1
	s_mov_b32 s38, 0x7fc02000
	s_xor_b64 s[26:27], exec, -1
; %bb.292:                              ;   in Loop: Header=BB290_13 Depth=1
	s_or_b64 exec, exec, s[30:31]
	s_and_b64 s[26:27], s[26:27], exec
	s_or_saveexec_b64 s[28:29], s[28:29]
	v_mov_b32_e32 v54, s38
	s_xor_b64 exec, exec, s[28:29]
	s_cbranch_execz .LBB290_62
.LBB290_293:                            ;   in Loop: Header=BB290_13 Depth=1
	v_cmp_ne_u16_e64 s[4:5], 0, v8
	s_andn2_b64 s[26:27], s[26:27], exec
	s_and_b64 s[4:5], s[4:5], exec
	v_mov_b32_e32 v54, 0
	s_or_b64 s[26:27], s[26:27], s[4:5]
	s_or_b64 exec, exec, s[28:29]
	s_and_saveexec_b64 s[28:29], s[26:27]
	s_cbranch_execnz .LBB290_63
	s_branch .LBB290_64
.LBB290_294:                            ;   in Loop: Header=BB290_13 Depth=1
	v_cmp_eq_u16_sdwa s[38:39], v50, s36 src0_sel:BYTE_0 src1_sel:DWORD
	s_mov_b64 s[4:5], -1
                                        ; implicit-def: $sgpr30
	s_and_saveexec_b64 s[28:29], s[38:39]
; %bb.295:                              ;   in Loop: Header=BB290_13 Depth=1
	s_mov_b32 s30, 0x7fc02000
	s_xor_b64 s[4:5], exec, -1
; %bb.296:                              ;   in Loop: Header=BB290_13 Depth=1
	s_or_b64 exec, exec, s[28:29]
	s_and_b64 s[4:5], s[4:5], exec
	s_or_saveexec_b64 s[26:27], s[26:27]
	v_mov_b32_e32 v47, s30
	s_xor_b64 exec, exec, s[26:27]
	s_cbranch_execz .LBB290_66
.LBB290_297:                            ;   in Loop: Header=BB290_13 Depth=1
	v_cmp_ne_u16_sdwa s[28:29], v50, v9 src0_sel:BYTE_0 src1_sel:DWORD
	s_andn2_b64 s[4:5], s[4:5], exec
	s_and_b64 s[28:29], s[28:29], exec
	v_mov_b32_e32 v47, 0
	s_or_b64 s[4:5], s[4:5], s[28:29]
	s_or_b64 exec, exec, s[26:27]
	s_and_saveexec_b64 s[26:27], s[4:5]
	s_cbranch_execnz .LBB290_67
	s_branch .LBB290_68
.LBB290_298:                            ;   in Loop: Header=BB290_13 Depth=1
	v_cmp_eq_u16_e64 s[4:5], s36, v8
	s_mov_b64 s[26:27], -1
                                        ; implicit-def: $sgpr38
	s_and_saveexec_b64 s[30:31], s[4:5]
; %bb.299:                              ;   in Loop: Header=BB290_13 Depth=1
	s_mov_b32 s38, 0x7fc02000
	s_xor_b64 s[26:27], exec, -1
; %bb.300:                              ;   in Loop: Header=BB290_13 Depth=1
	s_or_b64 exec, exec, s[30:31]
	s_and_b64 s[26:27], s[26:27], exec
	s_or_saveexec_b64 s[28:29], s[28:29]
	v_mov_b32_e32 v60, s38
	s_xor_b64 exec, exec, s[28:29]
	s_cbranch_execz .LBB290_70
.LBB290_301:                            ;   in Loop: Header=BB290_13 Depth=1
	v_cmp_ne_u16_e64 s[4:5], 0, v8
	s_andn2_b64 s[26:27], s[26:27], exec
	s_and_b64 s[4:5], s[4:5], exec
	v_mov_b32_e32 v60, 0
	s_or_b64 s[26:27], s[26:27], s[4:5]
	s_or_b64 exec, exec, s[28:29]
	s_and_saveexec_b64 s[28:29], s[26:27]
	s_cbranch_execnz .LBB290_71
	s_branch .LBB290_72
.LBB290_302:                            ;   in Loop: Header=BB290_13 Depth=1
	v_cmp_eq_u16_sdwa s[38:39], v8, s36 src0_sel:BYTE_0 src1_sel:DWORD
	s_mov_b64 s[4:5], -1
                                        ; implicit-def: $sgpr30
	s_and_saveexec_b64 s[28:29], s[38:39]
; %bb.303:                              ;   in Loop: Header=BB290_13 Depth=1
	s_mov_b32 s30, 0x7fc02000
	s_xor_b64 s[4:5], exec, -1
; %bb.304:                              ;   in Loop: Header=BB290_13 Depth=1
	s_or_b64 exec, exec, s[28:29]
	s_and_b64 s[4:5], s[4:5], exec
	s_or_saveexec_b64 s[26:27], s[26:27]
	v_mov_b32_e32 v43, s30
	s_xor_b64 exec, exec, s[26:27]
	s_cbranch_execz .LBB290_74
.LBB290_305:                            ;   in Loop: Header=BB290_13 Depth=1
	v_cmp_ne_u16_sdwa s[28:29], v8, v9 src0_sel:BYTE_0 src1_sel:DWORD
	s_andn2_b64 s[4:5], s[4:5], exec
	s_and_b64 s[28:29], s[28:29], exec
	v_mov_b32_e32 v43, 0
	s_or_b64 s[4:5], s[4:5], s[28:29]
	s_or_b64 exec, exec, s[26:27]
	s_and_saveexec_b64 s[26:27], s[4:5]
	s_cbranch_execnz .LBB290_75
	s_branch .LBB290_76
.LBB290_306:                            ;   in Loop: Header=BB290_13 Depth=1
	v_cmp_eq_u16_e64 s[4:5], s36, v8
	s_mov_b64 s[26:27], -1
                                        ; implicit-def: $sgpr38
	s_and_saveexec_b64 s[30:31], s[4:5]
; %bb.307:                              ;   in Loop: Header=BB290_13 Depth=1
	s_mov_b32 s38, 0x7fc02000
	s_xor_b64 s[26:27], exec, -1
; %bb.308:                              ;   in Loop: Header=BB290_13 Depth=1
	s_or_b64 exec, exec, s[30:31]
	s_and_b64 s[26:27], s[26:27], exec
	s_or_saveexec_b64 s[28:29], s[28:29]
	v_mov_b32_e32 v45, s38
	s_xor_b64 exec, exec, s[28:29]
	s_cbranch_execz .LBB290_78
.LBB290_309:                            ;   in Loop: Header=BB290_13 Depth=1
	v_cmp_ne_u16_e64 s[4:5], 0, v8
	s_andn2_b64 s[26:27], s[26:27], exec
	s_and_b64 s[4:5], s[4:5], exec
	v_mov_b32_e32 v45, 0
	s_or_b64 s[26:27], s[26:27], s[4:5]
	s_or_b64 exec, exec, s[28:29]
	s_and_saveexec_b64 s[28:29], s[26:27]
	s_cbranch_execnz .LBB290_79
	s_branch .LBB290_80
.LBB290_310:                            ;   in Loop: Header=BB290_13 Depth=1
	v_cmp_eq_u16_sdwa s[38:39], v50, s36 src0_sel:BYTE_0 src1_sel:DWORD
	s_mov_b64 s[4:5], -1
                                        ; implicit-def: $sgpr30
	s_and_saveexec_b64 s[28:29], s[38:39]
; %bb.311:                              ;   in Loop: Header=BB290_13 Depth=1
	s_mov_b32 s30, 0x7fc02000
	s_xor_b64 s[4:5], exec, -1
; %bb.312:                              ;   in Loop: Header=BB290_13 Depth=1
	s_or_b64 exec, exec, s[28:29]
	s_and_b64 s[4:5], s[4:5], exec
	s_or_saveexec_b64 s[26:27], s[26:27]
	v_mov_b32_e32 v0, s30
	s_xor_b64 exec, exec, s[26:27]
	s_cbranch_execz .LBB290_82
.LBB290_313:                            ;   in Loop: Header=BB290_13 Depth=1
	v_cmp_ne_u16_sdwa s[28:29], v50, v9 src0_sel:BYTE_0 src1_sel:DWORD
	s_andn2_b64 s[4:5], s[4:5], exec
	s_and_b64 s[28:29], s[28:29], exec
	v_mov_b32_e32 v0, 0
	s_or_b64 s[4:5], s[4:5], s[28:29]
	s_or_b64 exec, exec, s[26:27]
	s_and_saveexec_b64 s[26:27], s[4:5]
	s_cbranch_execnz .LBB290_83
	s_branch .LBB290_84
.LBB290_314:                            ;   in Loop: Header=BB290_13 Depth=1
	v_cmp_eq_u16_e64 s[4:5], s36, v8
	s_mov_b64 s[26:27], -1
                                        ; implicit-def: $sgpr38
	s_and_saveexec_b64 s[30:31], s[4:5]
; %bb.315:                              ;   in Loop: Header=BB290_13 Depth=1
	s_mov_b32 s38, 0x7fc02000
	s_xor_b64 s[26:27], exec, -1
; %bb.316:                              ;   in Loop: Header=BB290_13 Depth=1
	s_or_b64 exec, exec, s[30:31]
	s_and_b64 s[26:27], s[26:27], exec
	s_or_saveexec_b64 s[28:29], s[28:29]
	v_mov_b32_e32 v57, s38
	s_xor_b64 exec, exec, s[28:29]
	s_cbranch_execz .LBB290_86
.LBB290_317:                            ;   in Loop: Header=BB290_13 Depth=1
	v_cmp_ne_u16_e64 s[4:5], 0, v8
	s_andn2_b64 s[26:27], s[26:27], exec
	s_and_b64 s[4:5], s[4:5], exec
	v_mov_b32_e32 v57, 0
	s_or_b64 s[26:27], s[26:27], s[4:5]
	s_or_b64 exec, exec, s[28:29]
	s_and_saveexec_b64 s[28:29], s[26:27]
	s_cbranch_execnz .LBB290_87
	s_branch .LBB290_88
.LBB290_318:                            ;   in Loop: Header=BB290_13 Depth=1
	v_cmp_eq_u16_sdwa s[38:39], v8, s36 src0_sel:BYTE_0 src1_sel:DWORD
	s_mov_b64 s[4:5], -1
                                        ; implicit-def: $sgpr30
	s_and_saveexec_b64 s[28:29], s[38:39]
; %bb.319:                              ;   in Loop: Header=BB290_13 Depth=1
	s_mov_b32 s30, 0x7fc02000
	s_xor_b64 s[4:5], exec, -1
; %bb.320:                              ;   in Loop: Header=BB290_13 Depth=1
	s_or_b64 exec, exec, s[28:29]
	s_and_b64 s[4:5], s[4:5], exec
	s_or_saveexec_b64 s[26:27], s[26:27]
	v_mov_b32_e32 v19, s30
	s_xor_b64 exec, exec, s[26:27]
	s_cbranch_execz .LBB290_90
.LBB290_321:                            ;   in Loop: Header=BB290_13 Depth=1
	v_cmp_ne_u16_sdwa s[28:29], v8, v9 src0_sel:BYTE_0 src1_sel:DWORD
	s_andn2_b64 s[4:5], s[4:5], exec
	s_and_b64 s[28:29], s[28:29], exec
	v_mov_b32_e32 v19, 0
	s_or_b64 s[4:5], s[4:5], s[28:29]
	s_or_b64 exec, exec, s[26:27]
	s_and_saveexec_b64 s[26:27], s[4:5]
	s_cbranch_execnz .LBB290_91
	s_branch .LBB290_92
.LBB290_322:                            ;   in Loop: Header=BB290_13 Depth=1
	v_cmp_eq_u16_e64 s[4:5], s36, v8
	s_mov_b64 s[26:27], -1
                                        ; implicit-def: $sgpr38
	s_and_saveexec_b64 s[30:31], s[4:5]
; %bb.323:                              ;   in Loop: Header=BB290_13 Depth=1
	s_mov_b32 s38, 0x7fc02000
	s_xor_b64 s[26:27], exec, -1
; %bb.324:                              ;   in Loop: Header=BB290_13 Depth=1
	s_or_b64 exec, exec, s[30:31]
	s_and_b64 s[26:27], s[26:27], exec
	s_or_saveexec_b64 s[28:29], s[28:29]
	v_mov_b32_e32 v10, s38
	s_xor_b64 exec, exec, s[28:29]
	s_cbranch_execz .LBB290_94
.LBB290_325:                            ;   in Loop: Header=BB290_13 Depth=1
	v_cmp_ne_u16_e64 s[4:5], 0, v8
	s_andn2_b64 s[26:27], s[26:27], exec
	s_and_b64 s[4:5], s[4:5], exec
	v_mov_b32_e32 v10, 0
	s_or_b64 s[26:27], s[26:27], s[4:5]
	s_or_b64 exec, exec, s[28:29]
	s_and_saveexec_b64 s[28:29], s[26:27]
	s_cbranch_execnz .LBB290_95
	s_branch .LBB290_96
.LBB290_326:                            ;   in Loop: Header=BB290_13 Depth=1
	v_cmp_eq_u16_sdwa s[38:39], v50, s36 src0_sel:BYTE_0 src1_sel:DWORD
	s_mov_b64 s[4:5], -1
                                        ; implicit-def: $sgpr30
	s_and_saveexec_b64 s[28:29], s[38:39]
; %bb.327:                              ;   in Loop: Header=BB290_13 Depth=1
	s_mov_b32 s30, 0x7fc02000
	s_xor_b64 s[4:5], exec, -1
; %bb.328:                              ;   in Loop: Header=BB290_13 Depth=1
	s_or_b64 exec, exec, s[28:29]
	s_and_b64 s[4:5], s[4:5], exec
	s_or_saveexec_b64 s[26:27], s[26:27]
	v_mov_b32_e32 v1, s30
	s_xor_b64 exec, exec, s[26:27]
	s_cbranch_execz .LBB290_98
.LBB290_329:                            ;   in Loop: Header=BB290_13 Depth=1
	v_cmp_ne_u16_sdwa s[28:29], v50, v9 src0_sel:BYTE_0 src1_sel:DWORD
	s_andn2_b64 s[4:5], s[4:5], exec
	s_and_b64 s[28:29], s[28:29], exec
	v_mov_b32_e32 v1, 0
	s_or_b64 s[4:5], s[4:5], s[28:29]
	s_or_b64 exec, exec, s[26:27]
	s_and_saveexec_b64 s[26:27], s[4:5]
	s_cbranch_execnz .LBB290_99
	s_branch .LBB290_100
.LBB290_330:                            ;   in Loop: Header=BB290_13 Depth=1
	v_cmp_eq_u16_e64 s[4:5], s36, v8
	s_mov_b64 s[26:27], -1
                                        ; implicit-def: $sgpr38
	s_and_saveexec_b64 s[30:31], s[4:5]
; %bb.331:                              ;   in Loop: Header=BB290_13 Depth=1
	s_mov_b32 s38, 0x7fc02000
	s_xor_b64 s[26:27], exec, -1
; %bb.332:                              ;   in Loop: Header=BB290_13 Depth=1
	s_or_b64 exec, exec, s[30:31]
	s_and_b64 s[26:27], s[26:27], exec
	s_or_saveexec_b64 s[28:29], s[28:29]
	v_mov_b32_e32 v0, s38
	s_xor_b64 exec, exec, s[28:29]
	s_cbranch_execz .LBB290_102
.LBB290_333:                            ;   in Loop: Header=BB290_13 Depth=1
	v_cmp_ne_u16_e64 s[4:5], 0, v8
	s_andn2_b64 s[26:27], s[26:27], exec
	s_and_b64 s[4:5], s[4:5], exec
	v_mov_b32_e32 v0, 0
	s_or_b64 s[26:27], s[26:27], s[4:5]
	s_or_b64 exec, exec, s[28:29]
	s_and_saveexec_b64 s[28:29], s[26:27]
	s_cbranch_execnz .LBB290_103
	s_branch .LBB290_104
.LBB290_334:                            ;   in Loop: Header=BB290_13 Depth=1
	v_cmp_eq_u16_sdwa s[38:39], v8, s36 src0_sel:BYTE_0 src1_sel:DWORD
	s_mov_b64 s[4:5], -1
                                        ; implicit-def: $sgpr30
	s_and_saveexec_b64 s[28:29], s[38:39]
; %bb.335:                              ;   in Loop: Header=BB290_13 Depth=1
	s_mov_b32 s30, 0x7fc02000
	s_xor_b64 s[4:5], exec, -1
; %bb.336:                              ;   in Loop: Header=BB290_13 Depth=1
	s_or_b64 exec, exec, s[28:29]
	s_and_b64 s[4:5], s[4:5], exec
	s_or_saveexec_b64 s[26:27], s[26:27]
	v_mov_b32_e32 v3, s30
	s_xor_b64 exec, exec, s[26:27]
	s_cbranch_execz .LBB290_106
.LBB290_337:                            ;   in Loop: Header=BB290_13 Depth=1
	v_cmp_ne_u16_sdwa s[28:29], v8, v9 src0_sel:BYTE_0 src1_sel:DWORD
	s_andn2_b64 s[4:5], s[4:5], exec
	s_and_b64 s[28:29], s[28:29], exec
	v_mov_b32_e32 v3, 0
	s_or_b64 s[4:5], s[4:5], s[28:29]
	s_or_b64 exec, exec, s[26:27]
	s_and_saveexec_b64 s[26:27], s[4:5]
	s_cbranch_execnz .LBB290_107
	s_branch .LBB290_108
.LBB290_338:                            ;   in Loop: Header=BB290_13 Depth=1
	v_cmp_eq_u16_e64 s[4:5], s36, v8
	s_mov_b64 s[26:27], -1
                                        ; implicit-def: $sgpr38
	s_and_saveexec_b64 s[30:31], s[4:5]
; %bb.339:                              ;   in Loop: Header=BB290_13 Depth=1
	s_mov_b32 s38, 0x7fc02000
	s_xor_b64 s[26:27], exec, -1
; %bb.340:                              ;   in Loop: Header=BB290_13 Depth=1
	s_or_b64 exec, exec, s[30:31]
	s_and_b64 s[26:27], s[26:27], exec
	s_or_saveexec_b64 s[28:29], s[28:29]
	v_mov_b32_e32 v18, s38
	s_xor_b64 exec, exec, s[28:29]
	s_cbranch_execz .LBB290_110
.LBB290_341:                            ;   in Loop: Header=BB290_13 Depth=1
	v_cmp_ne_u16_e64 s[4:5], 0, v8
	s_andn2_b64 s[26:27], s[26:27], exec
	s_and_b64 s[4:5], s[4:5], exec
	v_mov_b32_e32 v18, 0
	s_or_b64 s[26:27], s[26:27], s[4:5]
	s_or_b64 exec, exec, s[28:29]
	s_and_saveexec_b64 s[28:29], s[26:27]
	s_cbranch_execnz .LBB290_111
	s_branch .LBB290_112
.LBB290_342:                            ;   in Loop: Header=BB290_13 Depth=1
	v_cmp_eq_u16_sdwa s[38:39], v50, s36 src0_sel:BYTE_0 src1_sel:DWORD
	s_mov_b64 s[4:5], -1
                                        ; implicit-def: $sgpr30
	s_and_saveexec_b64 s[28:29], s[38:39]
; %bb.343:                              ;   in Loop: Header=BB290_13 Depth=1
	s_mov_b32 s30, 0x7fc02000
	s_xor_b64 s[4:5], exec, -1
; %bb.344:                              ;   in Loop: Header=BB290_13 Depth=1
	s_or_b64 exec, exec, s[28:29]
	s_and_b64 s[4:5], s[4:5], exec
	s_or_saveexec_b64 s[26:27], s[26:27]
	v_mov_b32_e32 v13, s30
	s_xor_b64 exec, exec, s[26:27]
	s_cbranch_execz .LBB290_114
.LBB290_345:                            ;   in Loop: Header=BB290_13 Depth=1
	v_cmp_ne_u16_sdwa s[28:29], v50, v9 src0_sel:BYTE_0 src1_sel:DWORD
	s_andn2_b64 s[4:5], s[4:5], exec
	s_and_b64 s[28:29], s[28:29], exec
	v_mov_b32_e32 v13, 0
	s_or_b64 s[4:5], s[4:5], s[28:29]
	s_or_b64 exec, exec, s[26:27]
	s_and_saveexec_b64 s[26:27], s[4:5]
	s_cbranch_execnz .LBB290_115
	s_branch .LBB290_116
.LBB290_346:                            ;   in Loop: Header=BB290_13 Depth=1
	v_cmp_eq_u16_e64 s[4:5], s36, v8
	s_mov_b64 s[26:27], -1
                                        ; implicit-def: $sgpr38
	s_and_saveexec_b64 s[30:31], s[4:5]
; %bb.347:                              ;   in Loop: Header=BB290_13 Depth=1
	s_mov_b32 s38, 0x7fc02000
	s_xor_b64 s[26:27], exec, -1
; %bb.348:                              ;   in Loop: Header=BB290_13 Depth=1
	s_or_b64 exec, exec, s[30:31]
	s_and_b64 s[26:27], s[26:27], exec
	s_or_saveexec_b64 s[28:29], s[28:29]
	v_mov_b32_e32 v53, s38
	s_xor_b64 exec, exec, s[28:29]
	s_cbranch_execz .LBB290_118
.LBB290_349:                            ;   in Loop: Header=BB290_13 Depth=1
	v_cmp_ne_u16_e64 s[4:5], 0, v8
	s_andn2_b64 s[26:27], s[26:27], exec
	s_and_b64 s[4:5], s[4:5], exec
	v_mov_b32_e32 v53, 0
	s_or_b64 s[26:27], s[26:27], s[4:5]
	s_or_b64 exec, exec, s[28:29]
	s_and_saveexec_b64 s[28:29], s[26:27]
	s_cbranch_execnz .LBB290_119
	s_branch .LBB290_120
.LBB290_350:                            ;   in Loop: Header=BB290_13 Depth=1
	v_cmp_eq_u16_sdwa s[38:39], v8, s36 src0_sel:BYTE_0 src1_sel:DWORD
	s_mov_b64 s[4:5], -1
                                        ; implicit-def: $sgpr30
	s_and_saveexec_b64 s[28:29], s[38:39]
; %bb.351:                              ;   in Loop: Header=BB290_13 Depth=1
	s_mov_b32 s30, 0x7fc02000
	s_xor_b64 s[4:5], exec, -1
; %bb.352:                              ;   in Loop: Header=BB290_13 Depth=1
	s_or_b64 exec, exec, s[28:29]
	s_and_b64 s[4:5], s[4:5], exec
	s_or_saveexec_b64 s[26:27], s[26:27]
	v_mov_b32_e32 v51, s30
	s_xor_b64 exec, exec, s[26:27]
	s_cbranch_execz .LBB290_122
.LBB290_353:                            ;   in Loop: Header=BB290_13 Depth=1
	v_cmp_ne_u16_sdwa s[28:29], v8, v9 src0_sel:BYTE_0 src1_sel:DWORD
	s_andn2_b64 s[4:5], s[4:5], exec
	s_and_b64 s[28:29], s[28:29], exec
	v_mov_b32_e32 v51, 0
	s_or_b64 s[4:5], s[4:5], s[28:29]
	s_or_b64 exec, exec, s[26:27]
	s_and_saveexec_b64 s[26:27], s[4:5]
	s_cbranch_execnz .LBB290_123
	s_branch .LBB290_124
.LBB290_354:                            ;   in Loop: Header=BB290_13 Depth=1
	v_cmp_eq_u16_e64 s[4:5], s36, v8
	s_mov_b64 s[26:27], -1
                                        ; implicit-def: $sgpr38
	s_and_saveexec_b64 s[30:31], s[4:5]
; %bb.355:                              ;   in Loop: Header=BB290_13 Depth=1
	s_mov_b32 s38, 0x7fc02000
	s_xor_b64 s[26:27], exec, -1
; %bb.356:                              ;   in Loop: Header=BB290_13 Depth=1
	s_or_b64 exec, exec, s[30:31]
	s_and_b64 s[26:27], s[26:27], exec
	s_or_saveexec_b64 s[28:29], s[28:29]
	v_mov_b32_e32 v52, s38
	s_xor_b64 exec, exec, s[28:29]
	s_cbranch_execz .LBB290_126
.LBB290_357:                            ;   in Loop: Header=BB290_13 Depth=1
	v_cmp_ne_u16_e64 s[4:5], 0, v8
	s_andn2_b64 s[26:27], s[26:27], exec
	s_and_b64 s[4:5], s[4:5], exec
	v_mov_b32_e32 v52, 0
	s_or_b64 s[26:27], s[26:27], s[4:5]
	s_or_b64 exec, exec, s[28:29]
	s_and_saveexec_b64 s[28:29], s[26:27]
	s_cbranch_execnz .LBB290_127
	s_branch .LBB290_128
.LBB290_358:                            ;   in Loop: Header=BB290_13 Depth=1
	v_cmp_eq_u16_sdwa s[38:39], v50, s36 src0_sel:BYTE_0 src1_sel:DWORD
	s_mov_b64 s[4:5], -1
                                        ; implicit-def: $sgpr30
	s_and_saveexec_b64 s[28:29], s[38:39]
; %bb.359:                              ;   in Loop: Header=BB290_13 Depth=1
	s_mov_b32 s30, 0x7fc02000
	s_xor_b64 s[4:5], exec, -1
; %bb.360:                              ;   in Loop: Header=BB290_13 Depth=1
	s_or_b64 exec, exec, s[28:29]
	s_and_b64 s[4:5], s[4:5], exec
	s_or_saveexec_b64 s[26:27], s[26:27]
	v_mov_b32_e32 v7, s30
	s_xor_b64 exec, exec, s[26:27]
	s_cbranch_execz .LBB290_130
.LBB290_361:                            ;   in Loop: Header=BB290_13 Depth=1
	v_cmp_ne_u16_sdwa s[28:29], v50, v9 src0_sel:BYTE_0 src1_sel:DWORD
	s_andn2_b64 s[4:5], s[4:5], exec
	s_and_b64 s[28:29], s[28:29], exec
	v_mov_b32_e32 v7, 0
	s_or_b64 s[4:5], s[4:5], s[28:29]
	s_or_b64 exec, exec, s[26:27]
	s_and_saveexec_b64 s[26:27], s[4:5]
	s_cbranch_execnz .LBB290_131
	s_branch .LBB290_132
.LBB290_362:                            ;   in Loop: Header=BB290_13 Depth=1
	v_cmp_eq_u16_e64 s[4:5], s36, v8
	s_mov_b64 s[26:27], -1
                                        ; implicit-def: $sgpr38
	s_and_saveexec_b64 s[30:31], s[4:5]
; %bb.363:                              ;   in Loop: Header=BB290_13 Depth=1
	s_mov_b32 s38, 0x7fc02000
	s_xor_b64 s[26:27], exec, -1
; %bb.364:                              ;   in Loop: Header=BB290_13 Depth=1
	s_or_b64 exec, exec, s[30:31]
	s_and_b64 s[26:27], s[26:27], exec
	s_or_saveexec_b64 s[28:29], s[28:29]
	v_mov_b32_e32 v12, s38
	s_xor_b64 exec, exec, s[28:29]
	s_cbranch_execz .LBB290_134
.LBB290_365:                            ;   in Loop: Header=BB290_13 Depth=1
	v_cmp_ne_u16_e64 s[4:5], 0, v8
	s_andn2_b64 s[26:27], s[26:27], exec
	s_and_b64 s[4:5], s[4:5], exec
	v_mov_b32_e32 v12, 0
	s_or_b64 s[26:27], s[26:27], s[4:5]
	s_or_b64 exec, exec, s[28:29]
	s_and_saveexec_b64 s[28:29], s[26:27]
	s_cbranch_execnz .LBB290_135
	s_branch .LBB290_136
.LBB290_366:                            ;   in Loop: Header=BB290_13 Depth=1
	v_cmp_eq_u16_sdwa s[38:39], v8, s36 src0_sel:BYTE_0 src1_sel:DWORD
	s_mov_b64 s[4:5], -1
                                        ; implicit-def: $sgpr30
	s_and_saveexec_b64 s[28:29], s[38:39]
; %bb.367:                              ;   in Loop: Header=BB290_13 Depth=1
	s_mov_b32 s30, 0x7fc02000
	s_xor_b64 s[4:5], exec, -1
; %bb.368:                              ;   in Loop: Header=BB290_13 Depth=1
	s_or_b64 exec, exec, s[28:29]
	s_and_b64 s[4:5], s[4:5], exec
	s_or_saveexec_b64 s[26:27], s[26:27]
	v_mov_b32_e32 v15, s30
	s_xor_b64 exec, exec, s[26:27]
	s_cbranch_execz .LBB290_138
.LBB290_369:                            ;   in Loop: Header=BB290_13 Depth=1
	v_cmp_ne_u16_sdwa s[28:29], v8, v9 src0_sel:BYTE_0 src1_sel:DWORD
	s_andn2_b64 s[4:5], s[4:5], exec
	s_and_b64 s[28:29], s[28:29], exec
	v_mov_b32_e32 v15, 0
	s_or_b64 s[4:5], s[4:5], s[28:29]
	s_or_b64 exec, exec, s[26:27]
	s_and_saveexec_b64 s[26:27], s[4:5]
	s_cbranch_execnz .LBB290_139
	s_branch .LBB290_140
.LBB290_370:                            ;   in Loop: Header=BB290_13 Depth=1
	v_cmp_eq_u16_e64 s[4:5], s36, v8
	s_mov_b64 s[26:27], -1
                                        ; implicit-def: $sgpr38
	s_and_saveexec_b64 s[30:31], s[4:5]
; %bb.371:                              ;   in Loop: Header=BB290_13 Depth=1
	s_mov_b32 s38, 0x7fc02000
	s_xor_b64 s[26:27], exec, -1
; %bb.372:                              ;   in Loop: Header=BB290_13 Depth=1
	s_or_b64 exec, exec, s[30:31]
	s_and_b64 s[26:27], s[26:27], exec
	s_or_saveexec_b64 s[28:29], s[28:29]
	v_mov_b32_e32 v14, s38
	s_xor_b64 exec, exec, s[28:29]
	s_cbranch_execz .LBB290_142
.LBB290_373:                            ;   in Loop: Header=BB290_13 Depth=1
	v_cmp_ne_u16_e64 s[4:5], 0, v8
	s_andn2_b64 s[26:27], s[26:27], exec
	s_and_b64 s[4:5], s[4:5], exec
	v_mov_b32_e32 v14, 0
	s_or_b64 s[26:27], s[26:27], s[4:5]
	s_or_b64 exec, exec, s[28:29]
	s_and_saveexec_b64 s[28:29], s[26:27]
	s_cbranch_execnz .LBB290_143
	s_branch .LBB290_144
.LBB290_374:                            ;   in Loop: Header=BB290_13 Depth=1
	v_cmp_eq_u16_sdwa s[38:39], v50, s36 src0_sel:BYTE_0 src1_sel:DWORD
	s_mov_b64 s[4:5], -1
                                        ; implicit-def: $sgpr30
	s_and_saveexec_b64 s[28:29], s[38:39]
; %bb.375:                              ;   in Loop: Header=BB290_13 Depth=1
	s_mov_b32 s30, 0x7fc02000
	s_xor_b64 s[4:5], exec, -1
; %bb.376:                              ;   in Loop: Header=BB290_13 Depth=1
	s_or_b64 exec, exec, s[28:29]
	s_and_b64 s[4:5], s[4:5], exec
	s_or_saveexec_b64 s[26:27], s[26:27]
	v_mov_b32_e32 v32, s30
	s_xor_b64 exec, exec, s[26:27]
	s_cbranch_execz .LBB290_146
.LBB290_377:                            ;   in Loop: Header=BB290_13 Depth=1
	v_cmp_ne_u16_sdwa s[28:29], v50, v9 src0_sel:BYTE_0 src1_sel:DWORD
	s_andn2_b64 s[4:5], s[4:5], exec
	s_and_b64 s[28:29], s[28:29], exec
	v_mov_b32_e32 v32, 0
	s_or_b64 s[4:5], s[4:5], s[28:29]
	s_or_b64 exec, exec, s[26:27]
	s_and_saveexec_b64 s[26:27], s[4:5]
	s_cbranch_execnz .LBB290_147
	s_branch .LBB290_148
.LBB290_378:                            ;   in Loop: Header=BB290_13 Depth=1
	v_cmp_eq_u16_e64 s[4:5], s36, v8
	s_mov_b64 s[26:27], -1
                                        ; implicit-def: $sgpr38
	s_and_saveexec_b64 s[30:31], s[4:5]
; %bb.379:                              ;   in Loop: Header=BB290_13 Depth=1
	s_mov_b32 s38, 0x7fc02000
	s_xor_b64 s[26:27], exec, -1
; %bb.380:                              ;   in Loop: Header=BB290_13 Depth=1
	s_or_b64 exec, exec, s[30:31]
	s_and_b64 s[26:27], s[26:27], exec
	s_or_saveexec_b64 s[28:29], s[28:29]
	v_mov_b32_e32 v33, s38
	s_xor_b64 exec, exec, s[28:29]
	s_cbranch_execz .LBB290_150
.LBB290_381:                            ;   in Loop: Header=BB290_13 Depth=1
	v_cmp_ne_u16_e64 s[4:5], 0, v8
	s_andn2_b64 s[26:27], s[26:27], exec
	s_and_b64 s[4:5], s[4:5], exec
	v_mov_b32_e32 v33, 0
	s_or_b64 s[26:27], s[26:27], s[4:5]
	s_or_b64 exec, exec, s[28:29]
	s_and_saveexec_b64 s[28:29], s[26:27]
	s_cbranch_execnz .LBB290_151
	s_branch .LBB290_152
.LBB290_382:                            ;   in Loop: Header=BB290_13 Depth=1
	v_cmp_eq_u16_sdwa s[38:39], v8, s36 src0_sel:BYTE_0 src1_sel:DWORD
	s_mov_b64 s[4:5], -1
                                        ; implicit-def: $sgpr30
	s_and_saveexec_b64 s[28:29], s[38:39]
; %bb.383:                              ;   in Loop: Header=BB290_13 Depth=1
	s_mov_b32 s30, 0x7fc02000
	s_xor_b64 s[4:5], exec, -1
; %bb.384:                              ;   in Loop: Header=BB290_13 Depth=1
	s_or_b64 exec, exec, s[28:29]
	s_and_b64 s[4:5], s[4:5], exec
	s_or_saveexec_b64 s[26:27], s[26:27]
	v_mov_b32_e32 v34, s30
	s_xor_b64 exec, exec, s[26:27]
	s_cbranch_execz .LBB290_154
.LBB290_385:                            ;   in Loop: Header=BB290_13 Depth=1
	v_cmp_ne_u16_sdwa s[28:29], v8, v9 src0_sel:BYTE_0 src1_sel:DWORD
	s_andn2_b64 s[4:5], s[4:5], exec
	s_and_b64 s[28:29], s[28:29], exec
	v_mov_b32_e32 v34, 0
	s_or_b64 s[4:5], s[4:5], s[28:29]
	s_or_b64 exec, exec, s[26:27]
	s_and_saveexec_b64 s[26:27], s[4:5]
	s_cbranch_execnz .LBB290_155
	s_branch .LBB290_156
.LBB290_386:                            ;   in Loop: Header=BB290_13 Depth=1
	v_cmp_eq_u16_e64 s[4:5], s36, v8
	s_mov_b64 s[26:27], -1
                                        ; implicit-def: $sgpr38
	s_and_saveexec_b64 s[30:31], s[4:5]
; %bb.387:                              ;   in Loop: Header=BB290_13 Depth=1
	s_mov_b32 s38, 0x7fc02000
	s_xor_b64 s[26:27], exec, -1
; %bb.388:                              ;   in Loop: Header=BB290_13 Depth=1
	s_or_b64 exec, exec, s[30:31]
	s_and_b64 s[26:27], s[26:27], exec
	s_or_saveexec_b64 s[28:29], s[28:29]
	v_mov_b32_e32 v35, s38
	s_xor_b64 exec, exec, s[28:29]
	s_cbranch_execz .LBB290_158
.LBB290_389:                            ;   in Loop: Header=BB290_13 Depth=1
	v_cmp_ne_u16_e64 s[4:5], 0, v8
	s_andn2_b64 s[26:27], s[26:27], exec
	s_and_b64 s[4:5], s[4:5], exec
	v_mov_b32_e32 v35, 0
	s_or_b64 s[26:27], s[26:27], s[4:5]
	s_or_b64 exec, exec, s[28:29]
	s_and_saveexec_b64 s[28:29], s[26:27]
	s_cbranch_execnz .LBB290_159
	s_branch .LBB290_160
.LBB290_390:                            ;   in Loop: Header=BB290_13 Depth=1
	v_cmp_eq_u16_sdwa s[38:39], v50, s36 src0_sel:BYTE_0 src1_sel:DWORD
	s_mov_b64 s[4:5], -1
                                        ; implicit-def: $sgpr30
	s_and_saveexec_b64 s[28:29], s[38:39]
; %bb.391:                              ;   in Loop: Header=BB290_13 Depth=1
	s_mov_b32 s30, 0x7fc02000
	s_xor_b64 s[4:5], exec, -1
; %bb.392:                              ;   in Loop: Header=BB290_13 Depth=1
	s_or_b64 exec, exec, s[28:29]
	s_and_b64 s[4:5], s[4:5], exec
	s_or_saveexec_b64 s[26:27], s[26:27]
	v_mov_b32_e32 v59, s30
	s_xor_b64 exec, exec, s[26:27]
	s_cbranch_execz .LBB290_162
.LBB290_393:                            ;   in Loop: Header=BB290_13 Depth=1
	v_cmp_ne_u16_sdwa s[28:29], v50, v9 src0_sel:BYTE_0 src1_sel:DWORD
	s_andn2_b64 s[4:5], s[4:5], exec
	s_and_b64 s[28:29], s[28:29], exec
	v_mov_b32_e32 v59, 0
	s_or_b64 s[4:5], s[4:5], s[28:29]
	s_or_b64 exec, exec, s[26:27]
	s_and_saveexec_b64 s[26:27], s[4:5]
	s_cbranch_execnz .LBB290_163
	s_branch .LBB290_164
.LBB290_394:                            ;   in Loop: Header=BB290_13 Depth=1
	v_cmp_eq_u16_e64 s[4:5], s36, v8
	s_mov_b64 s[26:27], -1
                                        ; implicit-def: $sgpr38
	s_and_saveexec_b64 s[30:31], s[4:5]
; %bb.395:                              ;   in Loop: Header=BB290_13 Depth=1
	s_mov_b32 s38, 0x7fc02000
	s_xor_b64 s[26:27], exec, -1
; %bb.396:                              ;   in Loop: Header=BB290_13 Depth=1
	s_or_b64 exec, exec, s[30:31]
	s_and_b64 s[26:27], s[26:27], exec
	s_or_saveexec_b64 s[28:29], s[28:29]
	v_mov_b32_e32 v22, s38
	s_xor_b64 exec, exec, s[28:29]
	s_cbranch_execz .LBB290_166
.LBB290_397:                            ;   in Loop: Header=BB290_13 Depth=1
	v_cmp_ne_u16_e64 s[4:5], 0, v8
	s_andn2_b64 s[26:27], s[26:27], exec
	s_and_b64 s[4:5], s[4:5], exec
	v_mov_b32_e32 v22, 0
	s_or_b64 s[26:27], s[26:27], s[4:5]
	s_or_b64 exec, exec, s[28:29]
	s_and_saveexec_b64 s[28:29], s[26:27]
	s_cbranch_execnz .LBB290_167
	s_branch .LBB290_168
.LBB290_398:                            ;   in Loop: Header=BB290_13 Depth=1
	v_cmp_eq_u16_sdwa s[38:39], v8, s36 src0_sel:BYTE_0 src1_sel:DWORD
	s_mov_b64 s[4:5], -1
                                        ; implicit-def: $sgpr30
	s_and_saveexec_b64 s[28:29], s[38:39]
; %bb.399:                              ;   in Loop: Header=BB290_13 Depth=1
	s_mov_b32 s30, 0x7fc02000
	s_xor_b64 s[4:5], exec, -1
; %bb.400:                              ;   in Loop: Header=BB290_13 Depth=1
	s_or_b64 exec, exec, s[28:29]
	s_and_b64 s[4:5], s[4:5], exec
	s_or_saveexec_b64 s[26:27], s[26:27]
	v_mov_b32_e32 v6, s30
	s_xor_b64 exec, exec, s[26:27]
	s_cbranch_execz .LBB290_170
.LBB290_401:                            ;   in Loop: Header=BB290_13 Depth=1
	v_cmp_ne_u16_sdwa s[28:29], v8, v9 src0_sel:BYTE_0 src1_sel:DWORD
	s_andn2_b64 s[4:5], s[4:5], exec
	s_and_b64 s[28:29], s[28:29], exec
	v_mov_b32_e32 v6, 0
	s_or_b64 s[4:5], s[4:5], s[28:29]
	s_or_b64 exec, exec, s[26:27]
	s_and_saveexec_b64 s[26:27], s[4:5]
	s_cbranch_execnz .LBB290_171
	s_branch .LBB290_172
.LBB290_402:                            ;   in Loop: Header=BB290_13 Depth=1
	v_cmp_eq_u16_e64 s[4:5], s36, v8
	s_mov_b64 s[26:27], -1
                                        ; implicit-def: $sgpr38
	s_and_saveexec_b64 s[30:31], s[4:5]
; %bb.403:                              ;   in Loop: Header=BB290_13 Depth=1
	s_mov_b32 s38, 0x7fc02000
	s_xor_b64 s[26:27], exec, -1
; %bb.404:                              ;   in Loop: Header=BB290_13 Depth=1
	s_or_b64 exec, exec, s[30:31]
	s_and_b64 s[26:27], s[26:27], exec
	s_or_saveexec_b64 s[28:29], s[28:29]
	v_mov_b32_e32 v44, s38
	s_xor_b64 exec, exec, s[28:29]
	s_cbranch_execz .LBB290_174
.LBB290_405:                            ;   in Loop: Header=BB290_13 Depth=1
	v_cmp_ne_u16_e64 s[4:5], 0, v8
	s_andn2_b64 s[26:27], s[26:27], exec
	s_and_b64 s[4:5], s[4:5], exec
	v_mov_b32_e32 v44, 0
	s_or_b64 s[26:27], s[26:27], s[4:5]
	s_or_b64 exec, exec, s[28:29]
	s_and_saveexec_b64 s[28:29], s[26:27]
	s_cbranch_execnz .LBB290_175
	s_branch .LBB290_176
.LBB290_406:                            ;   in Loop: Header=BB290_13 Depth=1
	v_cmp_eq_u16_sdwa s[38:39], v50, s36 src0_sel:BYTE_0 src1_sel:DWORD
	s_mov_b64 s[4:5], -1
                                        ; implicit-def: $sgpr30
	s_and_saveexec_b64 s[28:29], s[38:39]
; %bb.407:                              ;   in Loop: Header=BB290_13 Depth=1
	s_mov_b32 s30, 0x7fc02000
	s_xor_b64 s[4:5], exec, -1
; %bb.408:                              ;   in Loop: Header=BB290_13 Depth=1
	s_or_b64 exec, exec, s[28:29]
	s_and_b64 s[4:5], s[4:5], exec
	s_or_saveexec_b64 s[26:27], s[26:27]
	v_mov_b32_e32 v25, s30
	s_xor_b64 exec, exec, s[26:27]
	s_cbranch_execz .LBB290_178
.LBB290_409:                            ;   in Loop: Header=BB290_13 Depth=1
	v_cmp_ne_u16_sdwa s[28:29], v50, v9 src0_sel:BYTE_0 src1_sel:DWORD
	s_andn2_b64 s[4:5], s[4:5], exec
	s_and_b64 s[28:29], s[28:29], exec
	v_mov_b32_e32 v25, 0
	s_or_b64 s[4:5], s[4:5], s[28:29]
	s_or_b64 exec, exec, s[26:27]
	s_and_saveexec_b64 s[26:27], s[4:5]
	s_cbranch_execnz .LBB290_179
	s_branch .LBB290_180
.LBB290_410:                            ;   in Loop: Header=BB290_13 Depth=1
	v_cmp_eq_u16_e64 s[4:5], s36, v8
	s_mov_b64 s[26:27], -1
                                        ; implicit-def: $sgpr38
	s_and_saveexec_b64 s[30:31], s[4:5]
; %bb.411:                              ;   in Loop: Header=BB290_13 Depth=1
	s_mov_b32 s38, 0x7fc02000
	s_xor_b64 s[26:27], exec, -1
; %bb.412:                              ;   in Loop: Header=BB290_13 Depth=1
	s_or_b64 exec, exec, s[30:31]
	s_and_b64 s[26:27], s[26:27], exec
	s_or_saveexec_b64 s[28:29], s[28:29]
	v_mov_b32_e32 v24, s38
	s_xor_b64 exec, exec, s[28:29]
	s_cbranch_execz .LBB290_182
.LBB290_413:                            ;   in Loop: Header=BB290_13 Depth=1
	v_cmp_ne_u16_e64 s[4:5], 0, v8
	s_andn2_b64 s[26:27], s[26:27], exec
	s_and_b64 s[4:5], s[4:5], exec
	v_mov_b32_e32 v24, 0
	s_or_b64 s[26:27], s[26:27], s[4:5]
	s_or_b64 exec, exec, s[28:29]
	s_and_saveexec_b64 s[28:29], s[26:27]
	s_cbranch_execnz .LBB290_183
	s_branch .LBB290_184
.LBB290_414:                            ;   in Loop: Header=BB290_13 Depth=1
	v_cmp_eq_u16_sdwa s[38:39], v8, s36 src0_sel:BYTE_0 src1_sel:DWORD
	s_mov_b64 s[4:5], -1
                                        ; implicit-def: $sgpr30
	s_and_saveexec_b64 s[28:29], s[38:39]
; %bb.415:                              ;   in Loop: Header=BB290_13 Depth=1
	s_mov_b32 s30, 0x7fc02000
	s_xor_b64 s[4:5], exec, -1
; %bb.416:                              ;   in Loop: Header=BB290_13 Depth=1
	s_or_b64 exec, exec, s[28:29]
	s_and_b64 s[4:5], s[4:5], exec
	s_or_saveexec_b64 s[26:27], s[26:27]
	v_mov_b32_e32 v62, s30
	s_xor_b64 exec, exec, s[26:27]
	s_cbranch_execz .LBB290_186
.LBB290_417:                            ;   in Loop: Header=BB290_13 Depth=1
	v_cmp_ne_u16_sdwa s[28:29], v8, v9 src0_sel:BYTE_0 src1_sel:DWORD
	s_andn2_b64 s[4:5], s[4:5], exec
	s_and_b64 s[28:29], s[28:29], exec
	v_mov_b32_e32 v62, 0
	s_or_b64 s[4:5], s[4:5], s[28:29]
	s_or_b64 exec, exec, s[26:27]
	s_and_saveexec_b64 s[26:27], s[4:5]
	s_cbranch_execnz .LBB290_187
	s_branch .LBB290_188
.LBB290_418:                            ;   in Loop: Header=BB290_13 Depth=1
	v_cmp_eq_u16_e64 s[4:5], s36, v8
	s_mov_b64 s[26:27], -1
                                        ; implicit-def: $sgpr38
	s_and_saveexec_b64 s[30:31], s[4:5]
; %bb.419:                              ;   in Loop: Header=BB290_13 Depth=1
	s_mov_b32 s38, 0x7fc02000
	s_xor_b64 s[26:27], exec, -1
; %bb.420:                              ;   in Loop: Header=BB290_13 Depth=1
	s_or_b64 exec, exec, s[30:31]
	s_and_b64 s[26:27], s[26:27], exec
	s_or_saveexec_b64 s[28:29], s[28:29]
	v_mov_b32_e32 v40, s38
	s_xor_b64 exec, exec, s[28:29]
	s_cbranch_execz .LBB290_190
.LBB290_421:                            ;   in Loop: Header=BB290_13 Depth=1
	v_cmp_ne_u16_e64 s[4:5], 0, v8
	s_andn2_b64 s[26:27], s[26:27], exec
	s_and_b64 s[4:5], s[4:5], exec
	v_mov_b32_e32 v40, 0
	s_or_b64 s[26:27], s[26:27], s[4:5]
	s_or_b64 exec, exec, s[28:29]
	s_and_saveexec_b64 s[28:29], s[26:27]
	s_cbranch_execnz .LBB290_191
	s_branch .LBB290_192
.LBB290_422:                            ;   in Loop: Header=BB290_13 Depth=1
	v_cmp_eq_u16_sdwa s[38:39], v50, s36 src0_sel:BYTE_0 src1_sel:DWORD
	s_mov_b64 s[4:5], -1
                                        ; implicit-def: $sgpr30
	s_and_saveexec_b64 s[28:29], s[38:39]
; %bb.423:                              ;   in Loop: Header=BB290_13 Depth=1
	s_mov_b32 s30, 0x7fc02000
	s_xor_b64 s[4:5], exec, -1
; %bb.424:                              ;   in Loop: Header=BB290_13 Depth=1
	s_or_b64 exec, exec, s[28:29]
	s_and_b64 s[4:5], s[4:5], exec
	s_or_saveexec_b64 s[26:27], s[26:27]
	v_mov_b32_e32 v55, s30
	s_xor_b64 exec, exec, s[26:27]
	s_cbranch_execz .LBB290_194
.LBB290_425:                            ;   in Loop: Header=BB290_13 Depth=1
	v_cmp_ne_u16_sdwa s[28:29], v50, v9 src0_sel:BYTE_0 src1_sel:DWORD
	s_andn2_b64 s[4:5], s[4:5], exec
	s_and_b64 s[28:29], s[28:29], exec
	v_mov_b32_e32 v55, 0
	s_or_b64 s[4:5], s[4:5], s[28:29]
	s_or_b64 exec, exec, s[26:27]
	s_and_saveexec_b64 s[26:27], s[4:5]
	s_cbranch_execnz .LBB290_195
	s_branch .LBB290_196
.LBB290_426:                            ;   in Loop: Header=BB290_13 Depth=1
	v_cmp_eq_u16_e64 s[4:5], s36, v8
	s_mov_b64 s[26:27], -1
                                        ; implicit-def: $sgpr38
	s_and_saveexec_b64 s[30:31], s[4:5]
; %bb.427:                              ;   in Loop: Header=BB290_13 Depth=1
	s_mov_b32 s38, 0x7fc02000
	s_xor_b64 s[26:27], exec, -1
; %bb.428:                              ;   in Loop: Header=BB290_13 Depth=1
	s_or_b64 exec, exec, s[30:31]
	s_and_b64 s[26:27], s[26:27], exec
	s_or_saveexec_b64 s[28:29], s[28:29]
	v_mov_b32_e32 v41, s38
	s_xor_b64 exec, exec, s[28:29]
	s_cbranch_execz .LBB290_198
.LBB290_429:                            ;   in Loop: Header=BB290_13 Depth=1
	v_cmp_ne_u16_e64 s[4:5], 0, v8
	s_andn2_b64 s[26:27], s[26:27], exec
	s_and_b64 s[4:5], s[4:5], exec
	v_mov_b32_e32 v41, 0
	s_or_b64 s[26:27], s[26:27], s[4:5]
	s_or_b64 exec, exec, s[28:29]
	s_and_saveexec_b64 s[28:29], s[26:27]
	s_cbranch_execnz .LBB290_199
	s_branch .LBB290_200
.LBB290_430:                            ;   in Loop: Header=BB290_13 Depth=1
	v_cmp_eq_u16_sdwa s[38:39], v8, s36 src0_sel:BYTE_0 src1_sel:DWORD
	s_mov_b64 s[4:5], -1
                                        ; implicit-def: $sgpr30
	s_and_saveexec_b64 s[28:29], s[38:39]
; %bb.431:                              ;   in Loop: Header=BB290_13 Depth=1
	s_mov_b32 s30, 0x7fc02000
	s_xor_b64 s[4:5], exec, -1
; %bb.432:                              ;   in Loop: Header=BB290_13 Depth=1
	s_or_b64 exec, exec, s[28:29]
	s_and_b64 s[4:5], s[4:5], exec
	s_or_saveexec_b64 s[26:27], s[26:27]
	v_mov_b32_e32 v27, s30
	s_xor_b64 exec, exec, s[26:27]
	s_cbranch_execz .LBB290_202
.LBB290_433:                            ;   in Loop: Header=BB290_13 Depth=1
	v_cmp_ne_u16_sdwa s[28:29], v8, v9 src0_sel:BYTE_0 src1_sel:DWORD
	s_andn2_b64 s[4:5], s[4:5], exec
	s_and_b64 s[28:29], s[28:29], exec
	v_mov_b32_e32 v27, 0
	s_or_b64 s[4:5], s[4:5], s[28:29]
	s_or_b64 exec, exec, s[26:27]
	s_and_saveexec_b64 s[26:27], s[4:5]
	s_cbranch_execnz .LBB290_203
	s_branch .LBB290_204
.LBB290_434:                            ;   in Loop: Header=BB290_13 Depth=1
	v_cmp_eq_u16_e64 s[4:5], s36, v8
	s_mov_b64 s[26:27], -1
                                        ; implicit-def: $sgpr38
	s_and_saveexec_b64 s[30:31], s[4:5]
; %bb.435:                              ;   in Loop: Header=BB290_13 Depth=1
	s_mov_b32 s38, 0x7fc02000
	s_xor_b64 s[26:27], exec, -1
; %bb.436:                              ;   in Loop: Header=BB290_13 Depth=1
	s_or_b64 exec, exec, s[30:31]
	s_and_b64 s[26:27], s[26:27], exec
	s_or_saveexec_b64 s[28:29], s[28:29]
	v_mov_b32_e32 v26, s38
	s_xor_b64 exec, exec, s[28:29]
	s_cbranch_execz .LBB290_206
.LBB290_437:                            ;   in Loop: Header=BB290_13 Depth=1
	v_cmp_ne_u16_e64 s[4:5], 0, v8
	s_andn2_b64 s[26:27], s[26:27], exec
	s_and_b64 s[4:5], s[4:5], exec
	v_mov_b32_e32 v26, 0
	s_or_b64 s[26:27], s[26:27], s[4:5]
	s_or_b64 exec, exec, s[28:29]
	s_and_saveexec_b64 s[28:29], s[26:27]
	s_cbranch_execnz .LBB290_207
	s_branch .LBB290_208
.LBB290_438:                            ;   in Loop: Header=BB290_13 Depth=1
	v_cmp_eq_u16_sdwa s[38:39], v50, s36 src0_sel:BYTE_0 src1_sel:DWORD
	s_mov_b64 s[4:5], -1
                                        ; implicit-def: $sgpr30
	s_and_saveexec_b64 s[28:29], s[38:39]
; %bb.439:                              ;   in Loop: Header=BB290_13 Depth=1
	s_mov_b32 s30, 0x7fc02000
	s_xor_b64 s[4:5], exec, -1
; %bb.440:                              ;   in Loop: Header=BB290_13 Depth=1
	s_or_b64 exec, exec, s[28:29]
	s_and_b64 s[4:5], s[4:5], exec
	s_or_saveexec_b64 s[26:27], s[26:27]
	v_mov_b32_e32 v48, s30
	s_xor_b64 exec, exec, s[26:27]
	s_cbranch_execz .LBB290_210
.LBB290_441:                            ;   in Loop: Header=BB290_13 Depth=1
	v_cmp_ne_u16_sdwa s[28:29], v50, v9 src0_sel:BYTE_0 src1_sel:DWORD
	s_andn2_b64 s[4:5], s[4:5], exec
	s_and_b64 s[28:29], s[28:29], exec
	v_mov_b32_e32 v48, 0
	s_or_b64 s[4:5], s[4:5], s[28:29]
	s_or_b64 exec, exec, s[26:27]
	s_and_saveexec_b64 s[26:27], s[4:5]
	s_cbranch_execnz .LBB290_211
	s_branch .LBB290_212
.LBB290_442:                            ;   in Loop: Header=BB290_13 Depth=1
	v_cmp_eq_u16_e64 s[4:5], s36, v8
	s_mov_b64 s[26:27], -1
                                        ; implicit-def: $sgpr38
	s_and_saveexec_b64 s[30:31], s[4:5]
; %bb.443:                              ;   in Loop: Header=BB290_13 Depth=1
	s_mov_b32 s38, 0x7fc02000
	s_xor_b64 s[26:27], exec, -1
; %bb.444:                              ;   in Loop: Header=BB290_13 Depth=1
	s_or_b64 exec, exec, s[30:31]
	s_and_b64 s[26:27], s[26:27], exec
	s_or_saveexec_b64 s[28:29], s[28:29]
	v_mov_b32_e32 v49, s38
	s_xor_b64 exec, exec, s[28:29]
	s_cbranch_execz .LBB290_214
.LBB290_445:                            ;   in Loop: Header=BB290_13 Depth=1
	v_cmp_ne_u16_e64 s[4:5], 0, v8
	s_andn2_b64 s[26:27], s[26:27], exec
	s_and_b64 s[4:5], s[4:5], exec
	v_mov_b32_e32 v49, 0
	s_or_b64 s[26:27], s[26:27], s[4:5]
	s_or_b64 exec, exec, s[28:29]
	s_and_saveexec_b64 s[28:29], s[26:27]
	s_cbranch_execnz .LBB290_215
	s_branch .LBB290_216
.LBB290_446:                            ;   in Loop: Header=BB290_13 Depth=1
	v_cmp_eq_u16_sdwa s[38:39], v8, s36 src0_sel:BYTE_0 src1_sel:DWORD
	s_mov_b64 s[4:5], -1
                                        ; implicit-def: $sgpr30
	s_and_saveexec_b64 s[28:29], s[38:39]
; %bb.447:                              ;   in Loop: Header=BB290_13 Depth=1
	s_mov_b32 s30, 0x7fc02000
	s_xor_b64 s[4:5], exec, -1
; %bb.448:                              ;   in Loop: Header=BB290_13 Depth=1
	s_or_b64 exec, exec, s[28:29]
	s_and_b64 s[4:5], s[4:5], exec
	s_or_saveexec_b64 s[26:27], s[26:27]
	v_mov_b32_e32 v56, s30
	s_xor_b64 exec, exec, s[26:27]
	s_cbranch_execz .LBB290_218
.LBB290_449:                            ;   in Loop: Header=BB290_13 Depth=1
	v_cmp_ne_u16_sdwa s[28:29], v8, v9 src0_sel:BYTE_0 src1_sel:DWORD
	s_andn2_b64 s[4:5], s[4:5], exec
	s_and_b64 s[28:29], s[28:29], exec
	v_mov_b32_e32 v56, 0
	s_or_b64 s[4:5], s[4:5], s[28:29]
	s_or_b64 exec, exec, s[26:27]
	s_and_saveexec_b64 s[26:27], s[4:5]
	s_cbranch_execnz .LBB290_219
	s_branch .LBB290_220
.LBB290_450:                            ;   in Loop: Header=BB290_13 Depth=1
	v_cmp_eq_u16_e64 s[4:5], s36, v8
	s_mov_b64 s[26:27], -1
                                        ; implicit-def: $sgpr38
	s_and_saveexec_b64 s[30:31], s[4:5]
; %bb.451:                              ;   in Loop: Header=BB290_13 Depth=1
	s_mov_b32 s38, 0x7fc02000
	s_xor_b64 s[26:27], exec, -1
; %bb.452:                              ;   in Loop: Header=BB290_13 Depth=1
	s_or_b64 exec, exec, s[30:31]
	s_and_b64 s[26:27], s[26:27], exec
	s_or_saveexec_b64 s[28:29], s[28:29]
	v_mov_b32_e32 v21, s38
	s_xor_b64 exec, exec, s[28:29]
	s_cbranch_execz .LBB290_222
.LBB290_453:                            ;   in Loop: Header=BB290_13 Depth=1
	v_cmp_ne_u16_e64 s[4:5], 0, v8
	s_andn2_b64 s[26:27], s[26:27], exec
	s_and_b64 s[4:5], s[4:5], exec
	v_mov_b32_e32 v21, 0
	s_or_b64 s[26:27], s[26:27], s[4:5]
	s_or_b64 exec, exec, s[28:29]
	s_and_saveexec_b64 s[28:29], s[26:27]
	s_cbranch_execnz .LBB290_223
	s_branch .LBB290_224
.LBB290_454:                            ;   in Loop: Header=BB290_13 Depth=1
	v_cmp_eq_u16_sdwa s[38:39], v38, s36 src0_sel:BYTE_0 src1_sel:DWORD
	s_mov_b64 s[4:5], -1
                                        ; implicit-def: $sgpr30
	s_and_saveexec_b64 s[28:29], s[38:39]
; %bb.455:                              ;   in Loop: Header=BB290_13 Depth=1
	s_mov_b32 s30, 0x7fc02000
	s_xor_b64 s[4:5], exec, -1
; %bb.456:                              ;   in Loop: Header=BB290_13 Depth=1
	s_or_b64 exec, exec, s[28:29]
	s_and_b64 s[4:5], s[4:5], exec
	s_or_saveexec_b64 s[26:27], s[26:27]
	v_mov_b32_e32 v39, s30
	s_xor_b64 exec, exec, s[26:27]
	s_cbranch_execz .LBB290_226
.LBB290_457:                            ;   in Loop: Header=BB290_13 Depth=1
	v_cmp_ne_u16_sdwa s[28:29], v38, v9 src0_sel:BYTE_0 src1_sel:DWORD
	s_andn2_b64 s[4:5], s[4:5], exec
	s_and_b64 s[28:29], s[28:29], exec
	v_mov_b32_e32 v39, 0
	s_or_b64 s[4:5], s[4:5], s[28:29]
	s_or_b64 exec, exec, s[26:27]
	s_and_saveexec_b64 s[26:27], s[4:5]
	s_cbranch_execnz .LBB290_227
	s_branch .LBB290_228
.LBB290_458:                            ;   in Loop: Header=BB290_13 Depth=1
	v_cmp_eq_u16_e64 s[4:5], s36, v8
	s_mov_b64 s[26:27], -1
                                        ; implicit-def: $sgpr38
	s_and_saveexec_b64 s[30:31], s[4:5]
; %bb.459:                              ;   in Loop: Header=BB290_13 Depth=1
	s_mov_b32 s38, 0x7fc02000
	s_xor_b64 s[26:27], exec, -1
; %bb.460:                              ;   in Loop: Header=BB290_13 Depth=1
	s_or_b64 exec, exec, s[30:31]
	s_and_b64 s[26:27], s[26:27], exec
	s_or_saveexec_b64 s[28:29], s[28:29]
	v_mov_b32_e32 v42, s38
	s_xor_b64 exec, exec, s[28:29]
	s_cbranch_execz .LBB290_230
.LBB290_461:                            ;   in Loop: Header=BB290_13 Depth=1
	v_cmp_ne_u16_e64 s[4:5], 0, v8
	s_andn2_b64 s[26:27], s[26:27], exec
	s_and_b64 s[4:5], s[4:5], exec
	v_mov_b32_e32 v42, 0
	s_or_b64 s[26:27], s[26:27], s[4:5]
	s_or_b64 exec, exec, s[28:29]
	s_and_saveexec_b64 s[28:29], s[26:27]
	s_cbranch_execnz .LBB290_231
	s_branch .LBB290_232
.LBB290_462:                            ;   in Loop: Header=BB290_13 Depth=1
	v_cmp_eq_u16_sdwa s[38:39], v8, s36 src0_sel:BYTE_0 src1_sel:DWORD
	s_mov_b64 s[4:5], -1
                                        ; implicit-def: $sgpr30
	s_and_saveexec_b64 s[28:29], s[38:39]
; %bb.463:                              ;   in Loop: Header=BB290_13 Depth=1
	s_mov_b32 s30, 0x7fc02000
	s_xor_b64 s[4:5], exec, -1
; %bb.464:                              ;   in Loop: Header=BB290_13 Depth=1
	s_or_b64 exec, exec, s[28:29]
	s_and_b64 s[4:5], s[4:5], exec
	s_or_saveexec_b64 s[26:27], s[26:27]
	v_mov_b32_e32 v20, s30
	s_xor_b64 exec, exec, s[26:27]
	s_cbranch_execz .LBB290_234
.LBB290_465:                            ;   in Loop: Header=BB290_13 Depth=1
	v_cmp_ne_u16_sdwa s[28:29], v8, v9 src0_sel:BYTE_0 src1_sel:DWORD
	s_andn2_b64 s[4:5], s[4:5], exec
	s_and_b64 s[28:29], s[28:29], exec
	v_mov_b32_e32 v20, 0
	s_or_b64 s[4:5], s[4:5], s[28:29]
	s_or_b64 exec, exec, s[26:27]
	s_and_saveexec_b64 s[26:27], s[4:5]
	s_cbranch_execnz .LBB290_235
	s_branch .LBB290_236
.LBB290_466:
	s_or_b64 exec, exec, s[24:25]
.LBB290_467:
	s_or_b64 exec, exec, s[8:9]
	scratch_load_dword v4, off, s32 offset:180 ; 4-byte Folded Reload
	v_accvgpr_read_b32 v0, a36
	v_mbcnt_hi_u32_b32 v0, -1, v0
	v_and_b32_e32 v1, 64, v0
	v_add_u32_e32 v1, 64, v1
	v_xor_b32_e32 v2, 32, v0
	v_cmp_lt_i32_e32 vcc, v2, v1
	v_xor_b32_e32 v5, 16, v0
	v_xor_b32_e32 v6, 8, v0
	v_cndmask_b32_e32 v2, v0, v2, vcc
	v_lshlrev_b32_e32 v2, 2, v2
	v_cmp_lt_i32_e32 vcc, v5, v1
	v_xor_b32_e32 v7, 4, v0
	v_xor_b32_e32 v8, 2, v0
	s_waitcnt lgkmcnt(0)
	s_lshr_b32 s24, s34, 16
	s_waitcnt vmcnt(0)
	ds_bpermute_b32 v3, v2, v4
	v_max_f32_e32 v4, v4, v4
	s_waitcnt lgkmcnt(0)
	v_max_f32_e32 v3, v3, v3
	v_max_f32_e32 v4, v4, v3
	v_cndmask_b32_e32 v3, v0, v5, vcc
	v_lshlrev_b32_e32 v3, 2, v3
	ds_bpermute_b32 v5, v3, v4
	v_cmp_lt_i32_e32 vcc, v6, v1
	s_waitcnt lgkmcnt(0)
	v_max_f32_e32 v5, v5, v5
	v_max_f32_e32 v5, v4, v5
	v_cndmask_b32_e32 v4, v0, v6, vcc
	v_lshlrev_b32_e32 v4, 2, v4
	ds_bpermute_b32 v6, v4, v5
	v_cmp_lt_i32_e32 vcc, v7, v1
	;; [unrolled: 7-line block ×3, first 2 shown]
	s_waitcnt lgkmcnt(0)
	v_max_f32_e32 v7, v7, v7
	v_max_f32_e32 v7, v6, v7
	v_cndmask_b32_e32 v6, v0, v8, vcc
	v_lshlrev_b32_e32 v50, 2, v6
	ds_bpermute_b32 v8, v50, v7
	v_accvgpr_read_b32 v6, a2
	v_and_b32_e32 v39, 63, v6
	v_accvgpr_read_b32 v6, a25
	v_cmp_eq_u32_e32 vcc, 0, v39
	v_lshlrev_b32_e32 v6, 2, v6
	s_and_saveexec_b64 s[2:3], vcc
	s_cbranch_execz .LBB290_469
; %bb.468:
	s_waitcnt lgkmcnt(0)
	v_max_f32_e32 v8, v8, v8
	v_max_f32_e32 v7, v7, v7
	;; [unrolled: 1-line block ×3, first 2 shown]
	ds_write_b32 v6, v7 offset:224
.LBB290_469:
	s_or_b64 exec, exec, s[2:3]
	v_cmp_gt_u32_e64 s[2:3], 2, v39
	s_waitcnt lgkmcnt(0)
	v_mov_b32_e32 v8, 0xff7fffff
	v_lshlrev_b32_e32 v7, 2, v39
	s_barrier
	s_and_saveexec_b64 s[4:5], s[2:3]
	s_cbranch_execz .LBB290_471
; %bb.470:
	ds_read_b32 v8, v7 offset:224
.LBB290_471:
	s_or_b64 exec, exec, s[4:5]
	v_xor_b32_e32 v9, 1, v0
	v_cmp_lt_i32_e64 s[4:5], v9, v1
	v_accvgpr_read_b32 v10, a8
	s_nop 0
	v_cndmask_b32_e64 v1, v0, v9, s[4:5]
	v_lshlrev_b32_e32 v54, 2, v1
	s_waitcnt lgkmcnt(0)
	ds_bpermute_b32 v1, v54, v8
	v_max_f32_e32 v8, v8, v8
	v_lshlrev_b32_e32 v0, 2, v0
	v_accvgpr_read_b32 v9, a11
	v_subrev_u32_e32 v9, s19, v9
	s_waitcnt lgkmcnt(0)
	v_max_f32_e32 v1, v1, v1
	v_max_f32_e32 v1, v8, v1
	v_and_b32_e32 v8, 0x100, v0
	ds_bpermute_b32 v0, v8, v1
	v_lshl_add_u32 v9, v9, 5, s21
	v_min_i32_e32 v9, v9, v10
	v_subrev_u32_e32 v1, s21, v9
	v_accvgpr_read_b32 v10, a2
	v_cmp_lt_i32_e64 s[4:5], v10, v1
	v_mov_b32_e32 v10, 0
	s_and_saveexec_b64 s[8:9], s[4:5]
	s_cbranch_execz .LBB290_475
; %bb.472:
	s_ashr_i32 s11, s10, 31
	s_lshl_b64 s[6:7], s[10:11], 2
	s_getpc_b64 s[22:23]
	s_add_u32 s22, s22, llvm.amdgcn.dynlds.offset.table@rel32@lo+4
	s_addc_u32 s23, s23, llvm.amdgcn.dynlds.offset.table@rel32@hi+12
	s_add_u32 s6, s6, s22
	s_addc_u32 s7, s7, s23
	s_load_dword s6, s[6:7], 0x0
	v_accvgpr_read_b32 v12, a2
	s_mov_b64 s[22:23], 0
	v_mov_b32_e32 v10, 0
	s_waitcnt lgkmcnt(0)
	v_lshl_add_u32 v11, v12, 2, s6
.LBB290_473:                            ; =>This Inner Loop Header: Depth=1
	ds_read_b32 v13, v11
	v_add_u32_e32 v12, 0x80, v12
	v_cmp_ge_i32_e64 s[6:7], v12, v1
	s_or_b64 s[22:23], s[6:7], s[22:23]
	s_waitcnt lgkmcnt(0)
	v_sub_f32_e32 v13, v13, v0
	v_mul_f32_e32 v13, 0x3fb8aa3b, v13
	v_exp_f32_e32 v13, v13
	ds_write_b32 v11, v13
	v_add_f32_e32 v10, v10, v13
	v_add_u32_e32 v11, 0x200, v11
	s_andn2_b64 exec, exec, s[22:23]
	s_cbranch_execnz .LBB290_473
; %bb.474:
	s_or_b64 exec, exec, s[22:23]
.LBB290_475:
	s_or_b64 exec, exec, s[8:9]
	ds_bpermute_b32 v2, v2, v10
	s_waitcnt lgkmcnt(0)
	v_add_f32_e32 v2, v10, v2
	ds_bpermute_b32 v3, v3, v2
	s_waitcnt lgkmcnt(0)
	v_add_f32_e32 v2, v2, v3
	;; [unrolled: 3-line block ×6, first 2 shown]
	s_and_saveexec_b64 s[6:7], vcc
	s_cbranch_execz .LBB290_477
; %bb.476:
	ds_write_b32 v6, v2 offset:232
.LBB290_477:
	s_or_b64 exec, exec, s[6:7]
	s_waitcnt lgkmcnt(0)
	s_barrier
	s_mov_b64 s[6:7], exec
	v_accvgpr_read_b32 v10, a20
	s_and_b64 s[2:3], s[6:7], s[2:3]
	v_accvgpr_read_b32 v11, a21
	s_mov_b64 exec, s[2:3]
	s_cbranch_execz .LBB290_479
; %bb.478:
	ds_read_b32 v2, v7 offset:232
.LBB290_479:
	s_or_b64 exec, exec, s[6:7]
	s_waitcnt lgkmcnt(0)
	ds_bpermute_b32 v3, v54, v2
	s_waitcnt lgkmcnt(0)
	v_add_f32_e32 v2, v2, v3
	ds_bpermute_b32 v2, v8, v2
	s_and_saveexec_b64 s[2:3], s[4:5]
	s_cbranch_execz .LBB290_492
; %bb.480:
	s_waitcnt lgkmcnt(0)
	v_add_f32_e32 v3, 0x358637bd, v2
	v_div_scale_f32 v4, s[4:5], v3, v3, 1.0
	v_rcp_f32_e32 v5, v4
	v_div_scale_f32 v6, vcc, 1.0, v3, 1.0
	s_movk_i32 s4, 0x7f
	v_fma_f32 v7, -v4, v5, 1.0
	v_fmac_f32_e32 v5, v7, v5
	v_mul_f32_e32 v7, v6, v5
	v_fma_f32 v8, -v4, v7, v6
	v_fmac_f32_e32 v7, v8, v5
	v_fma_f32 v4, -v4, v7, v6
	v_div_fmas_f32 v4, v4, v5, v7
	v_accvgpr_read_b32 v5, a2
	v_div_fixup_f32 v8, v4, v3, 1.0
	v_xad_u32 v3, v5, -1, v9
	v_subrev_u32_e32 v4, s21, v3
	v_cmp_lt_u32_e32 vcc, s4, v4
	s_mov_b64 s[6:7], -1
	v_accvgpr_read_b32 v3, a2
	s_and_saveexec_b64 s[4:5], vcc
	s_cbranch_execz .LBB290_489
; %bb.481:
	v_lshrrev_b32_e32 v3, 7, v4
	v_add_u32_e32 v5, -1, v3
	v_lshrrev_b32_e32 v4, 1, v5
	v_mov_b32_e32 v9, v8
	v_add_u32_e32 v4, 1, v4
	v_cmp_lt_u32_e32 vcc, 13, v5
	v_mov_b32_e32 v7, 0
	s_and_saveexec_b64 s[6:7], vcc
	s_cbranch_execz .LBB290_485
; %bb.482:
	s_ashr_i32 s11, s10, 31
	s_lshl_b64 s[8:9], s[10:11], 2
	s_getpc_b64 s[22:23]
	s_add_u32 s22, s22, llvm.amdgcn.dynlds.offset.table@rel32@lo+4
	s_addc_u32 s23, s23, llvm.amdgcn.dynlds.offset.table@rel32@hi+12
	s_add_u32 s8, s8, s22
	s_addc_u32 s9, s9, s23
	s_load_dword s8, s[8:9], 0x0
	v_accvgpr_read_b32 v6, a2
	v_and_b32_e32 v5, -8, v4
	s_mov_b32 s11, 0
	s_waitcnt lgkmcnt(0)
	v_lshl_add_u32 v6, v6, 2, s8
	s_mov_b64 s[8:9], 0
.LBB290_483:                            ; =>This Inner Loop Header: Depth=1
	ds_read2st64_b32 v[10:11], v6 offset1:2
	ds_read2st64_b32 v[12:13], v6 offset0:4 offset1:6
	ds_read2st64_b32 v[14:15], v6 offset0:8 offset1:10
	;; [unrolled: 1-line block ×3, first 2 shown]
	v_add_u32_e32 v5, -8, v5
	s_waitcnt lgkmcnt(3)
	v_pk_mul_f32 v[10:11], v[8:9], v[10:11]
	s_waitcnt lgkmcnt(2)
	v_pk_mul_f32 v[12:13], v[8:9], v[12:13]
	ds_write2st64_b32 v6, v10, v11 offset1:2
	ds_write2st64_b32 v6, v12, v13 offset0:4 offset1:6
	ds_read2st64_b32 v[12:13], v6 offset0:16 offset1:18
	s_waitcnt lgkmcnt(4)
	v_pk_mul_f32 v[10:11], v[8:9], v[14:15]
	ds_write2st64_b32 v6, v10, v11 offset0:8 offset1:10
	s_waitcnt lgkmcnt(4)
	v_pk_mul_f32 v[10:11], v[8:9], v[20:21]
	ds_write2st64_b32 v6, v10, v11 offset0:12 offset1:14
	ds_read2st64_b32 v[10:11], v6 offset0:20 offset1:22
	s_waitcnt lgkmcnt(3)
	v_pk_mul_f32 v[12:13], v[8:9], v[12:13]
	ds_read2st64_b32 v[14:15], v6 offset0:24 offset1:26
	ds_write2st64_b32 v6, v12, v13 offset0:16 offset1:18
	ds_read2st64_b32 v[12:13], v6 offset0:28 offset1:30
	s_waitcnt lgkmcnt(3)
	v_pk_mul_f32 v[10:11], v[8:9], v[10:11]
	ds_write2st64_b32 v6, v10, v11 offset0:20 offset1:22
	s_waitcnt lgkmcnt(3)
	v_pk_mul_f32 v[10:11], v[8:9], v[14:15]
	ds_write2st64_b32 v6, v10, v11 offset0:24 offset1:26
	s_waitcnt lgkmcnt(2)
	v_pk_mul_f32 v[10:11], v[8:9], v[12:13]
	s_add_i32 s11, s11, 16
	v_cmp_eq_u32_e32 vcc, 0, v5
	ds_write2st64_b32 v6, v10, v11 offset0:28 offset1:30
	v_add_u32_e32 v6, 0x2000, v6
	s_or_b64 s[8:9], vcc, s[8:9]
	v_mov_b32_e32 v7, s11
	s_andn2_b64 exec, exec, s[8:9]
	s_cbranch_execnz .LBB290_483
; %bb.484:
	s_or_b64 exec, exec, s[8:9]
	v_accvgpr_read_b32 v10, a20
	v_accvgpr_read_b32 v11, a21
.LBB290_485:
	s_or_b64 exec, exec, s[6:7]
	v_and_b32_e32 v4, 7, v4
	v_cmp_ne_u32_e32 vcc, 0, v4
	s_and_saveexec_b64 s[6:7], vcc
	s_cbranch_execz .LBB290_488
; %bb.486:
	s_ashr_i32 s11, s10, 31
	s_lshl_b64 s[8:9], s[10:11], 2
	s_getpc_b64 s[22:23]
	s_add_u32 s22, s22, llvm.amdgcn.dynlds.offset.table@rel32@lo+4
	s_addc_u32 s23, s23, llvm.amdgcn.dynlds.offset.table@rel32@hi+12
	s_add_u32 s8, s8, s22
	s_addc_u32 s9, s9, s23
	s_load_dword s8, s[8:9], 0x0
	v_accvgpr_read_b32 v6, a2
	v_lshlrev_b32_e32 v5, 9, v7
	v_lshlrev_b32_e32 v6, 2, v6
	s_waitcnt lgkmcnt(0)
	v_add3_u32 v5, v5, v6, s8
	s_mov_b64 s[8:9], 0
.LBB290_487:                            ; =>This Inner Loop Header: Depth=1
	ds_read2st64_b32 v[6:7], v5 offset1:2
	v_add_u32_e32 v4, -1, v4
	v_cmp_eq_u32_e32 vcc, 0, v4
	s_or_b64 s[8:9], vcc, s[8:9]
	s_waitcnt lgkmcnt(0)
	v_pk_mul_f32 v[6:7], v[8:9], v[6:7]
	ds_write2st64_b32 v5, v6, v7 offset1:2
	v_add_u32_e32 v5, 0x400, v5
	s_andn2_b64 exec, exec, s[8:9]
	s_cbranch_execnz .LBB290_487
.LBB290_488:
	s_or_b64 exec, exec, s[6:7]
	v_add_u32_e32 v4, 1, v3
	v_and_b32_e32 v5, 0x3fffffe, v4
	v_accvgpr_read_b32 v3, a2
	v_cmp_ne_u32_e32 vcc, v4, v5
	v_lshl_add_u32 v3, v5, 7, v3
	s_orn2_b64 s[6:7], vcc, exec
.LBB290_489:
	s_or_b64 exec, exec, s[4:5]
	s_and_b64 exec, exec, s[6:7]
	s_cbranch_execz .LBB290_492
; %bb.490:
	s_ashr_i32 s11, s10, 31
	s_lshl_b64 s[4:5], s[10:11], 2
	s_getpc_b64 s[6:7]
	s_add_u32 s6, s6, llvm.amdgcn.dynlds.offset.table@rel32@lo+4
	s_addc_u32 s7, s7, llvm.amdgcn.dynlds.offset.table@rel32@hi+12
	s_add_u32 s4, s4, s6
	s_addc_u32 s5, s5, s7
	s_load_dword s4, s[4:5], 0x0
	s_waitcnt lgkmcnt(0)
	v_lshl_add_u32 v4, v3, 2, s4
	s_mov_b64 s[4:5], 0
.LBB290_491:                            ; =>This Inner Loop Header: Depth=1
	ds_read_b32 v5, v4
	v_add_u32_e32 v3, 0x80, v3
	v_cmp_ge_i32_e32 vcc, v3, v1
	s_or_b64 s[4:5], vcc, s[4:5]
	s_waitcnt lgkmcnt(0)
	v_mul_f32_e32 v5, v8, v5
	ds_write_b32 v4, v5
	v_add_u32_e32 v4, 0x200, v4
	s_andn2_b64 exec, exec, s[4:5]
	s_cbranch_execnz .LBB290_491
.LBB290_492:
	s_or_b64 exec, exec, s[2:3]
	v_cmp_ne_u16_e64 s[2:3], s24, 0
	s_cmp_lg_u64 s[2:3], 0
	s_addc_u32 s19, s13, 0
	v_accvgpr_read_b32 v1, a2
	s_mul_i32 s2, s19, s20
	v_cmp_eq_u32_e32 vcc, 0, v1
	s_mul_i32 s2, s2, s15
	s_waitcnt lgkmcnt(0)
	s_barrier
	s_and_saveexec_b64 s[4:5], vcc
	s_cbranch_execz .LBB290_494
; %bb.493:
	s_mul_i32 s8, s19, s12
	s_ashr_i32 s3, s2, 31
	s_ashr_i32 s9, s8, 31
	;; [unrolled: 1-line block ×3, first 2 shown]
	s_lshl_b64 s[6:7], s[2:3], 2
	s_lshl_b64 s[8:9], s[8:9], 2
	;; [unrolled: 1-line block ×3, first 2 shown]
	s_add_u32 s3, s12, s8
	s_addc_u32 s8, s13, s9
	s_add_u32 s6, s3, s6
	v_accvgpr_read_b32 v4, a22
	s_addc_u32 s7, s8, s7
	v_accvgpr_read_b32 v5, a23
	v_lshl_add_u64 v[4:5], s[6:7], 0, v[4:5]
	flat_store_dword v[4:5], v0
	v_lshl_add_u64 v[0:1], s[6:7], 0, v[10:11]
	flat_store_dword v[0:1], v2
.LBB290_494:
	s_or_b64 exec, exec, s[4:5]
	s_ashr_i32 s11, s10, 31
	s_lshl_b64 s[4:5], s[10:11], 2
	s_getpc_b64 s[6:7]
	s_add_u32 s6, s6, llvm.amdgcn.dynlds.offset.table@rel32@lo+4
	s_addc_u32 s7, s7, llvm.amdgcn.dynlds.offset.table@rel32@hi+12
	s_add_u32 s12, s4, s6
	s_addc_u32 s13, s5, s7
	s_load_dword s3, s[12:13], 0x0
	v_accvgpr_read_b32 v0, a2
	s_mov_b32 s4, 0
	v_mov_b32_e32 v38, 0
	v_and_b32_e32 v16, 3, v0
	v_mov_b32_e32 v37, 0
	v_mov_b32_e32 v36, 0
	;; [unrolled: 1-line block ×6, first 2 shown]
	s_and_saveexec_b64 s[20:21], s[0:1]
	s_cbranch_execz .LBB290_962
; %bb.495:
	v_accvgpr_read_b32 v30, a35
	v_accvgpr_read_b32 v0, a29
	v_max_i32_e32 v30, v30, v0
	v_cvt_f32_u32_e32 v0, v30
	v_accvgpr_read_b32 v2, a18
	v_accvgpr_read_b32 v4, a30
	;; [unrolled: 1-line block ×4, first 2 shown]
	v_lshl_add_u64 v[4:5], v[2:3], 0, v[4:5]
	v_rcp_iflag_f32_e32 v2, v0
	v_accvgpr_read_b32 v6, a24
	v_accvgpr_read_b32 v1, a28
	v_and_b32_e32 v40, 24, v6
	v_mul_f32_e32 v2, 0x4f7ffffe, v2
	v_cvt_u32_f32_e32 v2, v2
	v_add_u32_e32 v55, -1, v1
	v_and_b32_e32 v0, 0x1f8, v6
	v_mov_b32_e32 v1, 0
	v_accvgpr_read_b32 v6, a12
	v_accvgpr_read_b32 v7, a13
	v_lshl_add_u64 v[8:9], v[4:5], 0, v[0:1]
	v_accvgpr_read_b32 v4, a26
	v_lshlrev_b64 v[6:7], 2, v[6:7]
	v_sub_u32_e32 v10, 0, v30
	v_accvgpr_read_b32 v5, a27
	v_mul_lo_u32 v0, v10, v2
	v_lshl_add_u64 v[4:5], v[4:5], 2, v[6:7]
	v_accvgpr_read_b32 v6, a16
	v_mul_hi_u32 v0, v2, v0
	v_accvgpr_read_b32 v7, a17
	v_add_u32_e32 v2, v2, v0
	v_lshl_add_u64 v[10:11], v[6:7], 0, v[4:5]
	v_lshlrev_b32_e32 v0, 5, v16
	v_accvgpr_read_b32 v4, a25
	s_mov_b32 s10, s4
	v_lshl_or_b32 v0, v4, 7, v0
	s_mov_b32 s5, s4
	s_mov_b32 s6, s4
	;; [unrolled: 1-line block ×5, first 2 shown]
	v_mov_b32_e32 v38, s10
	v_accvgpr_read_b32 v3, a8
	v_accvgpr_write_b32 a16, v16
	s_waitcnt lgkmcnt(0)
	v_add_u32_e32 v19, s3, v0
	s_mov_b64 s[22:23], 0
	v_mov_b32_e32 v37, s9
	v_mov_b32_e32 v36, s8
	;; [unrolled: 1-line block ×6, first 2 shown]
	s_movk_i32 s15, 0x7f
	s_movk_i32 s24, 0x80
	s_mov_b32 s25, 0x8000
	s_movk_i32 s26, 0x380
	s_mov_b32 s27, 0x3020706
	s_mov_b32 s28, 0x1000504
	;; [unrolled: 1-line block ×3, first 2 shown]
	v_mov_b32_e32 v48, 0x1c00
	v_accvgpr_read_b32 v5, a15
	s_branch .LBB290_498
.LBB290_496:                            ;   in Loop: Header=BB290_498 Depth=1
	s_or_b64 exec, exec, s[0:1]
	v_add_f32_e32 v4, v4, v5
	v_add_f32_e32 v33, v33, v4
	;; [unrolled: 1-line block ×10, first 2 shown]
	;;#ASMSTART
	v_pk_mul_f16 v4, v60, v15;

	;;#ASMEND
	;;#ASMSTART
	v_pk_mul_f16 v0, v59, v0;

	;;#ASMEND
	;; [unrolled: 4-line block ×4, first 2 shown]
	v_add_f32_e32 v14, v61, v62
	;;#ASMSTART
	v_pk_add_f16 v0, v4, v0;

	;;#ASMEND
	v_add_f32_e32 v32, v32, v14
	;;#ASMSTART
	v_pk_add_f16 v0, v0, v5;

	;;#ASMEND
	s_nop 0
	;;#ASMSTART
	v_pk_add_f16 v0, v0, v6;

	;;#ASMEND
	s_nop 0
	v_lshrrev_b32_e32 v4, 16, v0
	v_and_b32_e32 v0, 0xffff, v0
	;;#ASMSTART
	v_cvt_f32_f16 v0, v0;
	;;#ASMEND
	;;#ASMSTART
	v_cvt_f32_f16 v4, v4;
	;;#ASMEND
	s_nop 0
	v_add_f32_e32 v0, v0, v4
	v_add_f32_e32 v38, v38, v0
.LBB290_497:                            ;   in Loop: Header=BB290_498 Depth=1
	s_or_b64 exec, exec, s[4:5]
	v_accvgpr_read_b32 v4, a12
	v_add_u32_e32 v4, 2, v4
	v_accvgpr_read_b32 v0, a11
	v_accvgpr_read_b32 v5, a13
	v_cmp_ge_i32_e32 vcc, v4, v0
	v_lshl_add_u64 v[10:11], v[10:11], 0, 8
	v_add_u32_e32 v5, 64, v5
	v_accvgpr_write_b32 a12, v4
	s_or_b64 s[22:23], vcc, s[22:23]
	v_add_u32_e32 v19, 0x100, v19
	s_andn2_b64 exec, exec, s[22:23]
	s_cbranch_execz .LBB290_961
.LBB290_498:                            ; =>This Inner Loop Header: Depth=1
	v_ashrrev_i32_e32 v0, 31, v5
	v_accvgpr_read_b32 v4, a9
	v_xor_b32_e32 v0, v0, v4
	v_sub_u32_e32 v4, 0, v5
	v_accvgpr_write_b32 a13, v5
	v_max_i32_e32 v4, v5, v4
	v_accvgpr_read_b32 v5, a7
	v_mul_hi_u32 v5, v4, v5
	v_accvgpr_read_b32 v7, a3
	v_mul_lo_u32 v6, v5, v7
	v_sub_u32_e32 v4, v4, v6
	v_add_u32_e32 v6, 1, v5
	v_cmp_ge_u32_e32 vcc, v4, v7
	s_nop 1
	v_cndmask_b32_e32 v5, v5, v6, vcc
	v_sub_u32_e32 v6, v4, v7
	v_cndmask_b32_e32 v4, v4, v6, vcc
	v_add_u32_e32 v6, 1, v5
	v_cmp_ge_u32_e32 vcc, v4, v7
	s_nop 1
	v_cndmask_b32_e32 v4, v5, v6, vcc
	v_xor_b32_e32 v4, v4, v0
	v_sub_u32_e32 v0, v4, v0
	v_accvgpr_read_b32 v4, a10
	v_add_u32_e32 v4, v0, v4
	v_sub_u32_e32 v6, 0, v4
	v_ashrrev_i32_e32 v5, 31, v4
	v_max_i32_e32 v4, v4, v6
	v_mul_hi_u32 v6, v4, v2
	v_mul_lo_u32 v6, v6, v30
	v_sub_u32_e32 v4, v4, v6
	v_sub_u32_e32 v6, v4, v30
	v_cmp_ge_u32_e32 vcc, v4, v30
	s_nop 1
	v_cndmask_b32_e32 v4, v4, v6, vcc
	v_sub_u32_e32 v6, v4, v30
	v_cmp_ge_u32_e32 vcc, v4, v30
	s_nop 1
	v_cndmask_b32_e32 v4, v4, v6, vcc
	v_xor_b32_e32 v4, v4, v5
	v_sub_u32_e32 v4, v4, v5
	v_cmp_eq_u32_e32 vcc, 0, v4
	v_accvgpr_read_b32 v4, a14
	v_cmp_gt_i32_e64 s[0:1], v0, v4
	s_or_b64 s[0:1], vcc, s[0:1]
	s_and_saveexec_b64 s[4:5], s[0:1]
	s_cbranch_execz .LBB290_497
; %bb.499:                              ;   in Loop: Header=BB290_498 Depth=1
	ds_read2_b64 v[4:7], v19 offset1:1
	ds_read2_b64 v[24:27], v19 offset0:2 offset1:3
	v_accvgpr_read_b32 v12, a6
                                        ; implicit-def: $sgpr10
	s_waitcnt lgkmcnt(0)
	;;#ASMSTART
	v_cvt_f16_f32 v4, v4;

	;;#ASMEND
	;;#ASMSTART
	v_cvt_f16_f32 v5, v5;

	;;#ASMEND
	;; [unrolled: 4-line block ×8, first 2 shown]
	flat_load_dword v0, v[10:11]
	v_accvgpr_read_b32 v25, a5
	v_accvgpr_read_b32 v24, a4
	flat_load_dword v14, v[24:25]
	s_waitcnt vmcnt(0) lgkmcnt(0)
	v_mad_i64_i32 v[12:13], s[0:1], v0, v12, v[8:9]
	flat_load_dwordx2 v[20:21], v[12:13]
	s_mov_b64 s[0:1], 0
	s_waitcnt vmcnt(0) lgkmcnt(0)
	v_cmp_gt_i16_sdwa s[6:7], v20, s15 src0_sel:BYTE_0 src1_sel:DWORD
	s_and_saveexec_b64 s[8:9], s[6:7]
	s_xor_b64 s[6:7], exec, s[8:9]
	s_cbranch_execnz .LBB290_737
; %bb.500:                              ;   in Loop: Header=BB290_498 Depth=1
	s_or_saveexec_b64 s[6:7], s[6:7]
	v_mov_b32_e32 v24, s10
	s_xor_b64 exec, exec, s[6:7]
	s_cbranch_execnz .LBB290_740
.LBB290_501:                            ;   in Loop: Header=BB290_498 Depth=1
	s_or_b64 exec, exec, s[6:7]
	s_and_saveexec_b64 s[6:7], s[0:1]
	s_cbranch_execz .LBB290_503
.LBB290_502:                            ;   in Loop: Header=BB290_498 Depth=1
	v_and_b32_e32 v0, 7, v20
	v_ffbh_u32_e32 v0, v0
	v_bfe_u32 v16, v20, 3, 4
	v_min_u32_e32 v0, 32, v0
	v_subrev_u32_e32 v18, 28, v0
	v_sub_u32_e32 v0, 29, v0
	v_cmp_eq_u32_e32 vcc, 0, v16
	s_nop 1
	v_cndmask_b32_e32 v0, v16, v0, vcc
	v_cndmask_b32_e32 v16, 0, v18, vcc
	v_lshlrev_b64 v[24:25], v16, v[20:21]
	v_lshlrev_b32_e32 v18, 8, v20
	v_lshl_add_u32 v0, v0, 10, v48
	v_lshlrev_b32_e32 v16, 7, v24
	v_and_or_b32 v0, v18, s25, v0
	v_and_or_b32 v0, v16, s26, v0
	v_cvt_f32_f16_e32 v24, v0
.LBB290_503:                            ;   in Loop: Header=BB290_498 Depth=1
	s_or_b64 exec, exec, s[6:7]
	v_lshrrev_b16_e32 v0, 8, v20
	v_cmp_lt_i16_e32 vcc, s15, v0
	s_mov_b64 s[0:1], 0
                                        ; implicit-def: $sgpr10
	s_and_saveexec_b64 s[6:7], vcc
	s_xor_b64 s[6:7], exec, s[6:7]
	s_cbranch_execnz .LBB290_741
; %bb.504:                              ;   in Loop: Header=BB290_498 Depth=1
	s_or_saveexec_b64 s[6:7], s[6:7]
	v_mov_b32_e32 v28, s10
	s_xor_b64 exec, exec, s[6:7]
	s_cbranch_execnz .LBB290_744
.LBB290_505:                            ;   in Loop: Header=BB290_498 Depth=1
	s_or_b64 exec, exec, s[6:7]
	s_and_saveexec_b64 s[6:7], s[0:1]
	s_cbranch_execz .LBB290_507
.LBB290_506:                            ;   in Loop: Header=BB290_498 Depth=1
	v_and_b32_e32 v16, 7, v0
	v_ffbh_u32_e32 v23, v16
	v_bfe_u32 v18, v0, 3, 4
	v_min_u32_e32 v23, 32, v23
	v_subrev_u32_e32 v25, 28, v23
	v_sub_u32_e32 v23, 29, v23
	v_cmp_eq_u32_e32 vcc, 0, v18
	v_lshlrev_b64 v[28:29], v25, v[0:1]
	v_and_b32_e32 v25, 7, v28
	v_cndmask_b32_e32 v18, v18, v23, vcc
	v_lshlrev_b32_e32 v0, 8, v0
	v_lshl_add_u32 v18, v18, 10, v48
	v_cndmask_b32_e32 v16, v16, v25, vcc
	v_and_or_b32 v0, v0, s25, v18
	v_lshl_or_b32 v0, v16, 7, v0
	v_cvt_f32_f16_e32 v28, v0
.LBB290_507:                            ;   in Loop: Header=BB290_498 Depth=1
	s_or_b64 exec, exec, s[6:7]
	v_lshrrev_b32_e32 v0, 16, v20
	v_cmp_gt_i16_sdwa s[6:7], v0, s15 src0_sel:BYTE_0 src1_sel:DWORD
	s_mov_b64 s[0:1], 0
                                        ; implicit-def: $sgpr10
	s_and_saveexec_b64 s[8:9], s[6:7]
	s_xor_b64 s[6:7], exec, s[8:9]
	s_cbranch_execnz .LBB290_745
; %bb.508:                              ;   in Loop: Header=BB290_498 Depth=1
	s_or_saveexec_b64 s[6:7], s[6:7]
	v_mov_b32_e32 v25, s10
	s_xor_b64 exec, exec, s[6:7]
	s_cbranch_execnz .LBB290_748
.LBB290_509:                            ;   in Loop: Header=BB290_498 Depth=1
	s_or_b64 exec, exec, s[6:7]
	s_and_saveexec_b64 s[6:7], s[0:1]
	s_cbranch_execz .LBB290_511
.LBB290_510:                            ;   in Loop: Header=BB290_498 Depth=1
	v_bfe_u32 v16, v20, 16, 3
	v_ffbh_u32_e32 v23, v16
	v_bfe_u32 v18, v20, 19, 4
	v_min_u32_e32 v23, 32, v23
	v_subrev_u32_e32 v25, 28, v23
	v_sub_u32_e32 v23, 29, v23
	v_cmp_eq_u32_e32 vcc, 0, v18
	v_lshlrev_b64 v[52:53], v25, v[0:1]
	v_and_b32_e32 v25, 7, v52
	v_cndmask_b32_e32 v18, v18, v23, vcc
	v_lshlrev_b32_e32 v0, 8, v0
	v_lshl_add_u32 v18, v18, 10, v48
	v_cndmask_b32_e32 v16, v16, v25, vcc
	v_and_or_b32 v0, v0, s25, v18
	v_lshl_or_b32 v0, v16, 7, v0
	v_cvt_f32_f16_e32 v25, v0
.LBB290_511:                            ;   in Loop: Header=BB290_498 Depth=1
	s_or_b64 exec, exec, s[6:7]
	v_lshrrev_b32_e32 v0, 24, v20
	v_cmp_lt_i16_e32 vcc, s15, v0
	s_mov_b64 s[0:1], 0
                                        ; implicit-def: $sgpr10
	s_and_saveexec_b64 s[6:7], vcc
	s_xor_b64 s[6:7], exec, s[6:7]
	s_cbranch_execnz .LBB290_749
; %bb.512:                              ;   in Loop: Header=BB290_498 Depth=1
	s_or_saveexec_b64 s[6:7], s[6:7]
	v_mov_b32_e32 v29, s10
	s_xor_b64 exec, exec, s[6:7]
	s_cbranch_execnz .LBB290_752
.LBB290_513:                            ;   in Loop: Header=BB290_498 Depth=1
	s_or_b64 exec, exec, s[6:7]
	s_and_saveexec_b64 s[6:7], s[0:1]
	s_cbranch_execz .LBB290_515
.LBB290_514:                            ;   in Loop: Header=BB290_498 Depth=1
	v_bfe_u32 v16, v20, 24, 3
	v_bfe_u32 v18, v20, 27, 4
	v_ffbh_u32_e32 v20, v16
	v_min_u32_e32 v20, 32, v20
	v_subrev_u32_e32 v23, 28, v20
	v_sub_u32_e32 v20, 29, v20
	v_cmp_eq_u32_e32 vcc, 0, v18
	v_lshlrev_b64 v[52:53], v23, v[0:1]
	v_and_b32_e32 v23, 7, v52
	v_cndmask_b32_e32 v18, v18, v20, vcc
	v_lshlrev_b32_e32 v0, 8, v0
	v_lshl_add_u32 v18, v18, 10, v48
	v_cndmask_b32_e32 v16, v16, v23, vcc
	v_and_or_b32 v0, v0, s25, v18
	v_lshl_or_b32 v0, v16, 7, v0
	v_cvt_f32_f16_e32 v29, v0
.LBB290_515:                            ;   in Loop: Header=BB290_498 Depth=1
	s_or_b64 exec, exec, s[6:7]
	v_cmp_gt_i16_sdwa s[6:7], v21, s15 src0_sel:BYTE_0 src1_sel:DWORD
	s_mov_b64 s[0:1], 0
                                        ; implicit-def: $sgpr10
	s_and_saveexec_b64 s[8:9], s[6:7]
	s_xor_b64 s[6:7], exec, s[8:9]
	s_cbranch_execnz .LBB290_753
; %bb.516:                              ;   in Loop: Header=BB290_498 Depth=1
	s_or_saveexec_b64 s[6:7], s[6:7]
	v_mov_b32_e32 v20, s10
	s_xor_b64 exec, exec, s[6:7]
	s_cbranch_execnz .LBB290_756
.LBB290_517:                            ;   in Loop: Header=BB290_498 Depth=1
	s_or_b64 exec, exec, s[6:7]
	v_mov_b32_e32 v0, v21
	s_and_saveexec_b64 s[6:7], s[0:1]
	s_cbranch_execz .LBB290_519
.LBB290_518:                            ;   in Loop: Header=BB290_498 Depth=1
	v_and_b32_e32 v16, 7, v21
	v_ffbh_u32_e32 v16, v16
	v_bfe_u32 v18, v21, 3, 4
	v_min_u32_e32 v16, 32, v16
	v_subrev_u32_e32 v20, 28, v16
	v_sub_u32_e32 v16, 29, v16
	v_cmp_eq_u32_e32 vcc, 0, v18
	s_nop 1
	v_cndmask_b32_e32 v16, v18, v16, vcc
	v_cndmask_b32_e32 v18, 0, v20, vcc
	v_lshlrev_b64 v[52:53], v18, v[0:1]
	v_lshlrev_b32_e32 v20, 8, v21
	v_lshl_add_u32 v16, v16, 10, v48
	v_lshlrev_b32_e32 v18, 7, v52
	v_and_or_b32 v16, v20, s25, v16
	v_and_or_b32 v16, v18, s26, v16
	v_cvt_f32_f16_e32 v20, v16
.LBB290_519:                            ;   in Loop: Header=BB290_498 Depth=1
	s_or_b64 exec, exec, s[6:7]
	v_lshrrev_b16_e32 v0, 8, v0
	v_cmp_lt_i16_e32 vcc, s15, v0
	s_mov_b64 s[0:1], 0
                                        ; implicit-def: $sgpr10
	s_and_saveexec_b64 s[6:7], vcc
	s_xor_b64 s[6:7], exec, s[6:7]
	s_cbranch_execnz .LBB290_757
; %bb.520:                              ;   in Loop: Header=BB290_498 Depth=1
	s_or_saveexec_b64 s[6:7], s[6:7]
	v_mov_b32_e32 v27, s10
	s_xor_b64 exec, exec, s[6:7]
	s_cbranch_execnz .LBB290_760
.LBB290_521:                            ;   in Loop: Header=BB290_498 Depth=1
	s_or_b64 exec, exec, s[6:7]
	s_and_saveexec_b64 s[6:7], s[0:1]
	s_cbranch_execz .LBB290_523
.LBB290_522:                            ;   in Loop: Header=BB290_498 Depth=1
	v_and_b32_e32 v16, 7, v0
	v_ffbh_u32_e32 v23, v16
	v_bfe_u32 v18, v0, 3, 4
	v_min_u32_e32 v23, 32, v23
	v_subrev_u32_e32 v27, 28, v23
	v_sub_u32_e32 v23, 29, v23
	v_cmp_eq_u32_e32 vcc, 0, v18
	v_lshlrev_b64 v[52:53], v27, v[0:1]
	v_and_b32_e32 v27, 7, v52
	v_cndmask_b32_e32 v18, v18, v23, vcc
	v_lshlrev_b32_e32 v0, 8, v0
	v_lshl_add_u32 v18, v18, 10, v48
	v_cndmask_b32_e32 v16, v16, v27, vcc
	v_and_or_b32 v0, v0, s25, v18
	v_lshl_or_b32 v0, v16, 7, v0
	v_cvt_f32_f16_e32 v27, v0
.LBB290_523:                            ;   in Loop: Header=BB290_498 Depth=1
	s_or_b64 exec, exec, s[6:7]
	v_lshrrev_b32_e32 v0, 16, v21
	v_cmp_gt_i16_sdwa s[6:7], v0, s15 src0_sel:BYTE_0 src1_sel:DWORD
	s_mov_b64 s[0:1], 0
                                        ; implicit-def: $sgpr10
	s_and_saveexec_b64 s[8:9], s[6:7]
	s_xor_b64 s[6:7], exec, s[8:9]
	s_cbranch_execnz .LBB290_761
; %bb.524:                              ;   in Loop: Header=BB290_498 Depth=1
	s_or_saveexec_b64 s[6:7], s[6:7]
	v_mov_b32_e32 v31, s10
	s_xor_b64 exec, exec, s[6:7]
	s_cbranch_execnz .LBB290_764
.LBB290_525:                            ;   in Loop: Header=BB290_498 Depth=1
	s_or_b64 exec, exec, s[6:7]
	s_and_saveexec_b64 s[6:7], s[0:1]
	s_cbranch_execz .LBB290_527
.LBB290_526:                            ;   in Loop: Header=BB290_498 Depth=1
	v_bfe_u32 v16, v21, 16, 3
	v_ffbh_u32_e32 v23, v16
	v_bfe_u32 v18, v21, 19, 4
	v_min_u32_e32 v23, 32, v23
	v_subrev_u32_e32 v31, 28, v23
	v_sub_u32_e32 v23, 29, v23
	v_cmp_eq_u32_e32 vcc, 0, v18
	v_lshlrev_b64 v[52:53], v31, v[0:1]
	v_and_b32_e32 v31, 7, v52
	v_cndmask_b32_e32 v18, v18, v23, vcc
	v_lshlrev_b32_e32 v0, 8, v0
	v_lshl_add_u32 v18, v18, 10, v48
	v_cndmask_b32_e32 v16, v16, v31, vcc
	v_and_or_b32 v0, v0, s25, v18
	v_lshl_or_b32 v0, v16, 7, v0
	v_cvt_f32_f16_e32 v31, v0
.LBB290_527:                            ;   in Loop: Header=BB290_498 Depth=1
	s_or_b64 exec, exec, s[6:7]
	v_lshrrev_b32_e32 v0, 24, v21
	v_cmp_lt_i16_e32 vcc, s15, v0
	s_mov_b64 s[0:1], 0
                                        ; implicit-def: $sgpr10
	s_and_saveexec_b64 s[6:7], vcc
	s_xor_b64 s[6:7], exec, s[6:7]
	s_cbranch_execnz .LBB290_765
; %bb.528:                              ;   in Loop: Header=BB290_498 Depth=1
	s_or_saveexec_b64 s[6:7], s[6:7]
	v_mov_b32_e32 v49, s10
	s_xor_b64 exec, exec, s[6:7]
	s_cbranch_execnz .LBB290_768
.LBB290_529:                            ;   in Loop: Header=BB290_498 Depth=1
	s_or_b64 exec, exec, s[6:7]
	s_and_saveexec_b64 s[6:7], s[0:1]
	s_cbranch_execz .LBB290_531
.LBB290_530:                            ;   in Loop: Header=BB290_498 Depth=1
	v_bfe_u32 v16, v21, 24, 3
	v_bfe_u32 v18, v21, 27, 4
	v_ffbh_u32_e32 v21, v16
	v_min_u32_e32 v21, 32, v21
	v_subrev_u32_e32 v23, 28, v21
	v_sub_u32_e32 v21, 29, v21
	v_cmp_eq_u32_e32 vcc, 0, v18
	v_lshlrev_b64 v[52:53], v23, v[0:1]
	v_and_b32_e32 v23, 7, v52
	v_cndmask_b32_e32 v18, v18, v21, vcc
	v_lshlrev_b32_e32 v0, 8, v0
	v_lshl_add_u32 v18, v18, 10, v48
	v_cndmask_b32_e32 v16, v16, v23, vcc
	v_and_or_b32 v0, v0, s25, v18
	v_lshl_or_b32 v0, v16, 7, v0
	v_cvt_f32_f16_e32 v49, v0
.LBB290_531:                            ;   in Loop: Header=BB290_498 Depth=1
	s_or_b64 exec, exec, s[6:7]
	v_pk_mul_f32 v[28:29], v[14:15], v[28:29] op_sel_hi:[0,1]
	v_pk_mul_f32 v[24:25], v[14:15], v[24:25] op_sel_hi:[0,1]
	v_cvt_f16_f32_e32 v0, v29
	v_cvt_f16_f32_e32 v16, v28
	;; [unrolled: 1-line block ×4, first 2 shown]
	v_accvgpr_read_b32 v24, a12
	v_pack_b32_f16 v16, v16, v0
	v_accvgpr_read_b32 v23, a13
	v_pack_b32_f16 v18, v21, v18
	v_cmp_eq_u32_e32 vcc, v55, v24
	v_perm_b32 v0, v18, v16, s27
	v_perm_b32 v21, v18, v16, s28
	v_fma_mixlo_f16 v16, v14, v27, 0
	v_fma_mixlo_f16 v18, v14, v20, 0
	;; [unrolled: 1-line block ×4, first 2 shown]
	v_add_u32_e32 v43, v40, v23
	v_lshlrev_b32_e32 v16, 16, v16
	v_lshlrev_b32_e32 v14, 16, v14
	v_or_b32_sdwa v20, v16, v18 dst_sel:DWORD dst_unused:UNUSED_PAD src0_sel:DWORD src1_sel:WORD_0
	v_or_b32_sdwa v14, v14, v24 dst_sel:DWORD dst_unused:UNUSED_PAD src0_sel:DWORD src1_sel:WORD_0
	v_add_u32_e32 v56, 1, v43
	v_or_b32_e32 v47, 3, v43
	v_or_b32_e32 v46, 2, v43
	;; [unrolled: 1-line block ×6, first 2 shown]
	s_and_saveexec_b64 s[6:7], vcc
	s_cbranch_execz .LBB290_533
; %bb.532:                              ;   in Loop: Header=BB290_498 Depth=1
	v_lshrrev_b32_e32 v16, 16, v21
	v_cmp_lt_i32_e64 s[0:1], v56, v3
	v_accvgpr_read_b32 v28, a8
	v_lshrrev_b32_e32 v14, 16, v14
	v_cndmask_b32_e64 v16, 0, v16, s[0:1]
	v_cmp_lt_i32_e64 s[0:1], v43, v28
	s_nop 1
	v_cndmask_b32_e64 v18, 0, v21, s[0:1]
	v_perm_b32 v21, v16, v18, s29
	v_lshrrev_b32_e32 v16, 16, v0
	v_cmp_lt_i32_e64 s[0:1], v47, v3
	s_nop 1
	v_cndmask_b32_e64 v16, 0, v16, s[0:1]
	v_cmp_lt_i32_e64 s[0:1], v46, v28
	s_nop 1
	v_cndmask_b32_e64 v0, 0, v0, s[0:1]
	v_perm_b32 v0, v16, v0, s29
	v_lshrrev_b32_e32 v16, 16, v20
	v_cmp_lt_i32_e64 s[0:1], v45, v3
	s_nop 1
	v_cndmask_b32_e64 v16, 0, v16, s[0:1]
	v_cmp_lt_i32_e64 s[0:1], v44, v28
	s_nop 1
	v_cndmask_b32_e64 v18, 0, v20, s[0:1]
	v_cmp_lt_i32_e64 s[0:1], v42, v3
	v_perm_b32 v20, v16, v18, s29
	s_nop 0
	v_cndmask_b32_e64 v14, 0, v14, s[0:1]
	v_cmp_lt_i32_e64 s[0:1], v49, v28
	s_nop 1
	v_cndmask_b32_e64 v16, 0, v24, s[0:1]
	v_perm_b32 v14, v14, v16, s29
.LBB290_533:                            ;   in Loop: Header=BB290_498 Depth=1
	s_or_b64 exec, exec, s[6:7]
	v_and_b32_e32 v4, 0xffff, v4
	v_lshl_or_b32 v60, v5, 16, v4
	v_and_b32_e32 v4, 0xffff, v6
	v_lshl_or_b32 v59, v7, 16, v4
	;; [unrolled: 2-line block ×4, first 2 shown]
	;;#ASMSTART
	v_pk_mul_f16 v4, v60, v21;

	;;#ASMEND
	;;#ASMSTART
	v_pk_mul_f16 v0, v59, v0;

	;;#ASMEND
	;; [unrolled: 4-line block ×4, first 2 shown]
	s_mov_b64 s[0:1], 0
	;;#ASMSTART
	v_pk_add_f16 v0, v4, v0;

	;;#ASMEND
                                        ; implicit-def: $sgpr10
	s_nop 0
	;;#ASMSTART
	v_pk_add_f16 v0, v0, v5;

	;;#ASMEND
	s_nop 0
	;;#ASMSTART
	v_pk_add_f16 v0, v0, v6;

	;;#ASMEND
	s_nop 0
	v_lshrrev_b32_e32 v4, 16, v0
	v_and_b32_e32 v0, 0xffff, v0
	;;#ASMSTART
	v_cvt_f32_f16 v61, v0;
	;;#ASMEND
	;;#ASMSTART
	v_cvt_f32_f16 v62, v4;
	;;#ASMEND
	v_accvgpr_read_b32 v4, a4
	flat_load_dwordx2 v[20:21], v[12:13] offset:512
	v_accvgpr_read_b32 v5, a5
	flat_load_dword v14, v[4:5]
	s_waitcnt vmcnt(0) lgkmcnt(0)
	v_cmp_gt_i16_sdwa s[6:7], v20, s15 src0_sel:BYTE_0 src1_sel:DWORD
	s_and_saveexec_b64 s[8:9], s[6:7]
	s_xor_b64 s[6:7], exec, s[8:9]
	s_cbranch_execnz .LBB290_769
; %bb.534:                              ;   in Loop: Header=BB290_498 Depth=1
	s_or_saveexec_b64 s[6:7], s[6:7]
	v_mov_b32_e32 v24, s10
	s_xor_b64 exec, exec, s[6:7]
	s_cbranch_execnz .LBB290_772
.LBB290_535:                            ;   in Loop: Header=BB290_498 Depth=1
	s_or_b64 exec, exec, s[6:7]
	s_and_saveexec_b64 s[6:7], s[0:1]
	s_cbranch_execz .LBB290_537
.LBB290_536:                            ;   in Loop: Header=BB290_498 Depth=1
	v_and_b32_e32 v0, 7, v20
	v_ffbh_u32_e32 v0, v0
	v_bfe_u32 v4, v20, 3, 4
	v_min_u32_e32 v0, 32, v0
	v_subrev_u32_e32 v5, 28, v0
	v_sub_u32_e32 v0, 29, v0
	v_cmp_eq_u32_e64 s[0:1], 0, v4
	s_nop 1
	v_cndmask_b32_e64 v0, v4, v0, s[0:1]
	v_cndmask_b32_e64 v4, 0, v5, s[0:1]
	v_lshlrev_b64 v[4:5], v4, v[20:21]
	v_lshlrev_b32_e32 v5, 8, v20
	v_lshl_add_u32 v0, v0, 10, v48
	v_lshlrev_b32_e32 v4, 7, v4
	v_and_or_b32 v0, v5, s25, v0
	v_and_or_b32 v0, v4, s26, v0
	v_cvt_f32_f16_e32 v24, v0
.LBB290_537:                            ;   in Loop: Header=BB290_498 Depth=1
	s_or_b64 exec, exec, s[6:7]
	v_lshrrev_b16_e32 v0, 8, v20
	v_cmp_lt_i16_e64 s[0:1], s15, v0
	s_mov_b64 s[6:7], 0
                                        ; implicit-def: $sgpr30
	s_and_saveexec_b64 s[8:9], s[0:1]
	s_xor_b64 s[8:9], exec, s[8:9]
	s_cbranch_execnz .LBB290_773
; %bb.538:                              ;   in Loop: Header=BB290_498 Depth=1
	s_or_saveexec_b64 s[8:9], s[8:9]
	v_mov_b32_e32 v28, s30
	s_xor_b64 exec, exec, s[8:9]
	s_cbranch_execnz .LBB290_776
.LBB290_539:                            ;   in Loop: Header=BB290_498 Depth=1
	s_or_b64 exec, exec, s[8:9]
	s_and_saveexec_b64 s[8:9], s[6:7]
	s_cbranch_execz .LBB290_541
.LBB290_540:                            ;   in Loop: Header=BB290_498 Depth=1
	v_and_b32_e32 v6, 7, v0
	v_ffbh_u32_e32 v4, v6
	v_min_u32_e32 v15, 32, v4
	v_subrev_u32_e32 v4, 28, v15
	v_bfe_u32 v7, v0, 3, 4
	v_lshlrev_b64 v[4:5], v4, v[0:1]
	v_sub_u32_e32 v5, 29, v15
	v_cmp_eq_u32_e64 s[0:1], 0, v7
	v_and_b32_e32 v4, 7, v4
	v_lshlrev_b32_e32 v0, 8, v0
	v_cndmask_b32_e64 v5, v7, v5, s[0:1]
	v_lshl_add_u32 v5, v5, 10, v48
	v_cndmask_b32_e64 v4, v6, v4, s[0:1]
	v_and_or_b32 v0, v0, s25, v5
	v_lshl_or_b32 v0, v4, 7, v0
	v_cvt_f32_f16_e32 v28, v0
.LBB290_541:                            ;   in Loop: Header=BB290_498 Depth=1
	s_or_b64 exec, exec, s[8:9]
	v_lshrrev_b32_e32 v0, 16, v20
	v_cmp_gt_i16_sdwa s[6:7], v0, s15 src0_sel:BYTE_0 src1_sel:DWORD
	s_mov_b64 s[0:1], 0
                                        ; implicit-def: $sgpr10
	s_and_saveexec_b64 s[8:9], s[6:7]
	s_xor_b64 s[6:7], exec, s[8:9]
	s_cbranch_execnz .LBB290_777
; %bb.542:                              ;   in Loop: Header=BB290_498 Depth=1
	s_or_saveexec_b64 s[6:7], s[6:7]
	v_mov_b32_e32 v25, s10
	s_xor_b64 exec, exec, s[6:7]
	s_cbranch_execnz .LBB290_780
.LBB290_543:                            ;   in Loop: Header=BB290_498 Depth=1
	s_or_b64 exec, exec, s[6:7]
	s_and_saveexec_b64 s[6:7], s[0:1]
	s_cbranch_execz .LBB290_545
.LBB290_544:                            ;   in Loop: Header=BB290_498 Depth=1
	v_bfe_u32 v6, v20, 16, 3
	v_ffbh_u32_e32 v4, v6
	v_min_u32_e32 v15, 32, v4
	v_subrev_u32_e32 v4, 28, v15
	v_bfe_u32 v7, v20, 19, 4
	v_lshlrev_b64 v[4:5], v4, v[0:1]
	v_sub_u32_e32 v5, 29, v15
	v_cmp_eq_u32_e64 s[0:1], 0, v7
	v_and_b32_e32 v4, 7, v4
	v_lshlrev_b32_e32 v0, 8, v0
	v_cndmask_b32_e64 v5, v7, v5, s[0:1]
	v_lshl_add_u32 v5, v5, 10, v48
	v_cndmask_b32_e64 v4, v6, v4, s[0:1]
	v_and_or_b32 v0, v0, s25, v5
	v_lshl_or_b32 v0, v4, 7, v0
	v_cvt_f32_f16_e32 v25, v0
.LBB290_545:                            ;   in Loop: Header=BB290_498 Depth=1
	s_or_b64 exec, exec, s[6:7]
	v_lshrrev_b32_e32 v0, 24, v20
	v_cmp_lt_i16_e64 s[0:1], s15, v0
	s_mov_b64 s[6:7], 0
                                        ; implicit-def: $sgpr30
	s_and_saveexec_b64 s[8:9], s[0:1]
	s_xor_b64 s[8:9], exec, s[8:9]
	s_cbranch_execnz .LBB290_781
; %bb.546:                              ;   in Loop: Header=BB290_498 Depth=1
	s_or_saveexec_b64 s[8:9], s[8:9]
	v_mov_b32_e32 v29, s30
	s_xor_b64 exec, exec, s[8:9]
	s_cbranch_execnz .LBB290_784
.LBB290_547:                            ;   in Loop: Header=BB290_498 Depth=1
	s_or_b64 exec, exec, s[8:9]
	s_and_saveexec_b64 s[8:9], s[6:7]
	s_cbranch_execz .LBB290_549
.LBB290_548:                            ;   in Loop: Header=BB290_498 Depth=1
	v_bfe_u32 v6, v20, 24, 3
	v_ffbh_u32_e32 v4, v6
	v_min_u32_e32 v15, 32, v4
	v_subrev_u32_e32 v4, 28, v15
	v_bfe_u32 v7, v20, 27, 4
	v_lshlrev_b64 v[4:5], v4, v[0:1]
	v_sub_u32_e32 v5, 29, v15
	v_cmp_eq_u32_e64 s[0:1], 0, v7
	v_and_b32_e32 v4, 7, v4
	v_lshlrev_b32_e32 v0, 8, v0
	v_cndmask_b32_e64 v5, v7, v5, s[0:1]
	v_lshl_add_u32 v5, v5, 10, v48
	v_cndmask_b32_e64 v4, v6, v4, s[0:1]
	v_and_or_b32 v0, v0, s25, v5
	v_lshl_or_b32 v0, v4, 7, v0
	v_cvt_f32_f16_e32 v29, v0
.LBB290_549:                            ;   in Loop: Header=BB290_498 Depth=1
	s_or_b64 exec, exec, s[8:9]
	v_cmp_gt_i16_sdwa s[6:7], v21, s15 src0_sel:BYTE_0 src1_sel:DWORD
	s_mov_b64 s[0:1], 0
                                        ; implicit-def: $sgpr10
	s_and_saveexec_b64 s[8:9], s[6:7]
	s_xor_b64 s[6:7], exec, s[8:9]
	s_cbranch_execnz .LBB290_785
; %bb.550:                              ;   in Loop: Header=BB290_498 Depth=1
	s_or_saveexec_b64 s[6:7], s[6:7]
	v_mov_b32_e32 v4, s10
	s_xor_b64 exec, exec, s[6:7]
	s_cbranch_execnz .LBB290_788
.LBB290_551:                            ;   in Loop: Header=BB290_498 Depth=1
	s_or_b64 exec, exec, s[6:7]
	v_mov_b32_e32 v0, v21
	s_and_saveexec_b64 s[6:7], s[0:1]
	s_cbranch_execz .LBB290_553
.LBB290_552:                            ;   in Loop: Header=BB290_498 Depth=1
	v_and_b32_e32 v4, 7, v21
	v_ffbh_u32_e32 v4, v4
	v_bfe_u32 v5, v21, 3, 4
	v_min_u32_e32 v4, 32, v4
	v_subrev_u32_e32 v6, 28, v4
	v_sub_u32_e32 v4, 29, v4
	v_cmp_eq_u32_e64 s[0:1], 0, v5
	s_nop 1
	v_cndmask_b32_e64 v7, v5, v4, s[0:1]
	v_cndmask_b32_e64 v4, 0, v6, s[0:1]
	v_lshlrev_b64 v[4:5], v4, v[0:1]
	v_lshlrev_b32_e32 v5, 8, v21
	v_lshl_add_u32 v6, v7, 10, v48
	v_lshlrev_b32_e32 v4, 7, v4
	v_and_or_b32 v5, v5, s25, v6
	v_and_or_b32 v4, v4, s26, v5
	v_cvt_f32_f16_e32 v4, v4
.LBB290_553:                            ;   in Loop: Header=BB290_498 Depth=1
	s_or_b64 exec, exec, s[6:7]
	v_lshrrev_b16_e32 v0, 8, v0
	v_cmp_lt_i16_e64 s[0:1], s15, v0
	s_mov_b64 s[6:7], 0
                                        ; implicit-def: $sgpr30
	s_and_saveexec_b64 s[8:9], s[0:1]
	s_xor_b64 s[8:9], exec, s[8:9]
	s_cbranch_execnz .LBB290_789
; %bb.554:                              ;   in Loop: Header=BB290_498 Depth=1
	s_or_saveexec_b64 s[8:9], s[8:9]
	v_mov_b32_e32 v5, s30
	s_xor_b64 exec, exec, s[8:9]
	s_cbranch_execnz .LBB290_792
.LBB290_555:                            ;   in Loop: Header=BB290_498 Depth=1
	s_or_b64 exec, exec, s[8:9]
	s_and_saveexec_b64 s[8:9], s[6:7]
	s_cbranch_execz .LBB290_557
.LBB290_556:                            ;   in Loop: Header=BB290_498 Depth=1
	v_and_b32_e32 v5, 7, v0
	v_ffbh_u32_e32 v6, v5
	v_min_u32_e32 v16, 32, v6
	v_subrev_u32_e32 v6, 28, v16
	v_bfe_u32 v15, v0, 3, 4
	v_lshlrev_b64 v[6:7], v6, v[0:1]
	v_sub_u32_e32 v7, 29, v16
	v_cmp_eq_u32_e64 s[0:1], 0, v15
	v_and_b32_e32 v6, 7, v6
	v_lshlrev_b32_e32 v0, 8, v0
	v_cndmask_b32_e64 v7, v15, v7, s[0:1]
	v_cndmask_b32_e64 v5, v5, v6, s[0:1]
	v_lshl_add_u32 v6, v7, 10, v48
	v_and_or_b32 v0, v0, s25, v6
	v_lshl_or_b32 v0, v5, 7, v0
	v_cvt_f32_f16_e32 v5, v0
.LBB290_557:                            ;   in Loop: Header=BB290_498 Depth=1
	s_or_b64 exec, exec, s[8:9]
	v_lshrrev_b32_e32 v0, 16, v21
	v_cmp_gt_i16_sdwa s[6:7], v0, s15 src0_sel:BYTE_0 src1_sel:DWORD
	s_mov_b64 s[0:1], 0
                                        ; implicit-def: $sgpr10
	s_and_saveexec_b64 s[8:9], s[6:7]
	s_xor_b64 s[6:7], exec, s[8:9]
	s_cbranch_execnz .LBB290_793
; %bb.558:                              ;   in Loop: Header=BB290_498 Depth=1
	s_or_saveexec_b64 s[6:7], s[6:7]
	v_mov_b32_e32 v6, s10
	s_xor_b64 exec, exec, s[6:7]
	s_cbranch_execnz .LBB290_796
.LBB290_559:                            ;   in Loop: Header=BB290_498 Depth=1
	s_or_b64 exec, exec, s[6:7]
	s_and_saveexec_b64 s[6:7], s[0:1]
	s_cbranch_execz .LBB290_561
.LBB290_560:                            ;   in Loop: Header=BB290_498 Depth=1
	v_bfe_u32 v15, v21, 16, 3
	v_ffbh_u32_e32 v6, v15
	v_min_u32_e32 v17, 32, v6
	v_subrev_u32_e32 v6, 28, v17
	v_bfe_u32 v16, v21, 19, 4
	v_lshlrev_b64 v[6:7], v6, v[0:1]
	v_sub_u32_e32 v7, 29, v17
	v_cmp_eq_u32_e64 s[0:1], 0, v16
	v_and_b32_e32 v6, 7, v6
	v_lshlrev_b32_e32 v0, 8, v0
	v_cndmask_b32_e64 v7, v16, v7, s[0:1]
	v_lshl_add_u32 v7, v7, 10, v48
	v_cndmask_b32_e64 v6, v15, v6, s[0:1]
	v_and_or_b32 v0, v0, s25, v7
	v_lshl_or_b32 v0, v6, 7, v0
	v_cvt_f32_f16_e32 v6, v0
.LBB290_561:                            ;   in Loop: Header=BB290_498 Depth=1
	s_or_b64 exec, exec, s[6:7]
	v_lshrrev_b32_e32 v0, 24, v21
	v_cmp_lt_i16_e64 s[0:1], s15, v0
	s_mov_b64 s[6:7], 0
                                        ; implicit-def: $sgpr30
	s_and_saveexec_b64 s[8:9], s[0:1]
	s_xor_b64 s[8:9], exec, s[8:9]
	s_cbranch_execnz .LBB290_797
; %bb.562:                              ;   in Loop: Header=BB290_498 Depth=1
	s_or_saveexec_b64 s[8:9], s[8:9]
	v_mov_b32_e32 v15, s30
	s_xor_b64 exec, exec, s[8:9]
	s_cbranch_execnz .LBB290_800
.LBB290_563:                            ;   in Loop: Header=BB290_498 Depth=1
	s_or_b64 exec, exec, s[8:9]
	s_and_saveexec_b64 s[8:9], s[6:7]
	s_cbranch_execz .LBB290_565
.LBB290_564:                            ;   in Loop: Header=BB290_498 Depth=1
	v_bfe_u32 v7, v21, 24, 3
	v_ffbh_u32_e32 v16, v7
	v_bfe_u32 v15, v21, 27, 4
	v_min_u32_e32 v16, 32, v16
	v_subrev_u32_e32 v17, 28, v16
	v_sub_u32_e32 v16, 29, v16
	v_cmp_eq_u32_e64 s[0:1], 0, v15
	v_lshlrev_b64 v[20:21], v17, v[0:1]
	v_and_b32_e32 v17, 7, v20
	v_cndmask_b32_e64 v15, v15, v16, s[0:1]
	v_lshlrev_b32_e32 v0, 8, v0
	v_lshl_add_u32 v15, v15, 10, v48
	v_cndmask_b32_e64 v7, v7, v17, s[0:1]
	v_and_or_b32 v0, v0, s25, v15
	v_lshl_or_b32 v0, v7, 7, v0
	v_cvt_f32_f16_e32 v15, v0
.LBB290_565:                            ;   in Loop: Header=BB290_498 Depth=1
	s_or_b64 exec, exec, s[8:9]
	v_pk_mul_f32 v[20:21], v[14:15], v[28:29] op_sel_hi:[0,1]
	v_pk_mul_f32 v[24:25], v[14:15], v[24:25] op_sel_hi:[0,1]
	v_cvt_f16_f32_e32 v0, v21
	v_cvt_f16_f32_e32 v7, v20
	;; [unrolled: 1-line block ×4, first 2 shown]
	v_fma_mixlo_f16 v5, v14, v5, 0
	v_lshlrev_b32_e32 v5, 16, v5
	v_fma_mixlo_f16 v4, v14, v4, 0
	v_or_b32_sdwa v4, v5, v4 dst_sel:DWORD dst_unused:UNUSED_PAD src0_sel:DWORD src1_sel:WORD_0
	v_fma_mixlo_f16 v5, v14, v15, 0
	v_pack_b32_f16 v7, v7, v0
	v_pack_b32_f16 v16, v17, v16
	v_fma_mixlo_f16 v6, v14, v6, 0
	v_lshlrev_b32_e32 v5, 16, v5
	v_perm_b32 v0, v16, v7, s27
	v_perm_b32 v7, v16, v7, s28
	v_or_b32_sdwa v5, v5, v6 dst_sel:DWORD dst_unused:UNUSED_PAD src0_sel:DWORD src1_sel:WORD_0
	s_and_saveexec_b64 s[6:7], vcc
	s_cbranch_execz .LBB290_567
; %bb.566:                              ;   in Loop: Header=BB290_498 Depth=1
	v_lshrrev_b32_e32 v14, 16, v7
	v_cmp_lt_i32_e64 s[0:1], v56, v3
	v_accvgpr_read_b32 v16, a8
	v_lshrrev_b32_e32 v5, 16, v5
	v_cndmask_b32_e64 v14, 0, v14, s[0:1]
	v_cmp_lt_i32_e64 s[0:1], v43, v16
	s_nop 1
	v_cndmask_b32_e64 v7, 0, v7, s[0:1]
	v_perm_b32 v7, v14, v7, s29
	v_lshrrev_b32_e32 v14, 16, v0
	v_cmp_lt_i32_e64 s[0:1], v47, v3
	s_nop 1
	v_cndmask_b32_e64 v14, 0, v14, s[0:1]
	v_cmp_lt_i32_e64 s[0:1], v46, v16
	s_nop 1
	v_cndmask_b32_e64 v0, 0, v0, s[0:1]
	v_perm_b32 v0, v14, v0, s29
	v_lshrrev_b32_e32 v14, 16, v4
	v_cmp_lt_i32_e64 s[0:1], v45, v3
	s_nop 1
	v_cndmask_b32_e64 v14, 0, v14, s[0:1]
	v_cmp_lt_i32_e64 s[0:1], v44, v16
	s_nop 1
	v_cndmask_b32_e64 v4, 0, v4, s[0:1]
	v_cmp_lt_i32_e64 s[0:1], v42, v3
	v_perm_b32 v4, v14, v4, s29
	s_nop 0
	v_cndmask_b32_e64 v5, 0, v5, s[0:1]
	v_cmp_lt_i32_e64 s[0:1], v49, v16
	s_nop 1
	v_cndmask_b32_e64 v6, 0, v6, s[0:1]
	v_perm_b32 v5, v5, v6, s29
.LBB290_567:                            ;   in Loop: Header=BB290_498 Depth=1
	s_or_b64 exec, exec, s[6:7]
	;;#ASMSTART
	v_pk_mul_f16 v6, v60, v7;

	;;#ASMEND
	;;#ASMSTART
	v_pk_mul_f16 v0, v59, v0;

	;;#ASMEND
	;; [unrolled: 4-line block ×4, first 2 shown]
	s_mov_b64 s[0:1], 0
	;;#ASMSTART
	v_pk_add_f16 v0, v6, v0;

	;;#ASMEND
	v_accvgpr_read_b32 v7, a5
	;;#ASMSTART
	v_pk_add_f16 v0, v0, v4;

	;;#ASMEND
	v_accvgpr_read_b32 v6, a4
	;;#ASMSTART
	v_pk_add_f16 v0, v0, v5;

	;;#ASMEND
                                        ; implicit-def: $sgpr10
	s_nop 0
	v_lshrrev_b32_e32 v5, 16, v0
	v_and_b32_e32 v0, 0xffff, v0
	;;#ASMSTART
	v_cvt_f32_f16 v4, v0;
	;;#ASMEND
	;;#ASMSTART
	v_cvt_f32_f16 v5, v5;
	;;#ASMEND
	flat_load_dwordx2 v[20:21], v[12:13] offset:1024
	flat_load_dword v14, v[6:7]
	s_waitcnt vmcnt(0) lgkmcnt(0)
	v_cmp_gt_i16_sdwa s[6:7], v20, s15 src0_sel:BYTE_0 src1_sel:DWORD
	s_and_saveexec_b64 s[8:9], s[6:7]
	s_xor_b64 s[6:7], exec, s[8:9]
	s_cbranch_execnz .LBB290_801
; %bb.568:                              ;   in Loop: Header=BB290_498 Depth=1
	s_or_saveexec_b64 s[6:7], s[6:7]
	v_mov_b32_e32 v24, s10
	s_xor_b64 exec, exec, s[6:7]
	s_cbranch_execnz .LBB290_804
.LBB290_569:                            ;   in Loop: Header=BB290_498 Depth=1
	s_or_b64 exec, exec, s[6:7]
	s_and_saveexec_b64 s[6:7], s[0:1]
	s_cbranch_execz .LBB290_571
.LBB290_570:                            ;   in Loop: Header=BB290_498 Depth=1
	v_and_b32_e32 v0, 7, v20
	v_ffbh_u32_e32 v0, v0
	v_bfe_u32 v6, v20, 3, 4
	v_min_u32_e32 v0, 32, v0
	v_subrev_u32_e32 v7, 28, v0
	v_sub_u32_e32 v0, 29, v0
	v_cmp_eq_u32_e64 s[0:1], 0, v6
	s_nop 1
	v_cndmask_b32_e64 v0, v6, v0, s[0:1]
	v_cndmask_b32_e64 v6, 0, v7, s[0:1]
	v_lshlrev_b64 v[6:7], v6, v[20:21]
	v_lshlrev_b32_e32 v7, 8, v20
	v_lshl_add_u32 v0, v0, 10, v48
	v_lshlrev_b32_e32 v6, 7, v6
	v_and_or_b32 v0, v7, s25, v0
	v_and_or_b32 v0, v6, s26, v0
	v_cvt_f32_f16_e32 v24, v0
.LBB290_571:                            ;   in Loop: Header=BB290_498 Depth=1
	s_or_b64 exec, exec, s[6:7]
	v_lshrrev_b16_e32 v0, 8, v20
	v_cmp_lt_i16_e64 s[0:1], s15, v0
	s_mov_b64 s[6:7], 0
                                        ; implicit-def: $sgpr30
	s_and_saveexec_b64 s[8:9], s[0:1]
	s_xor_b64 s[8:9], exec, s[8:9]
	s_cbranch_execnz .LBB290_805
; %bb.572:                              ;   in Loop: Header=BB290_498 Depth=1
	s_or_saveexec_b64 s[8:9], s[8:9]
	v_mov_b32_e32 v28, s30
	s_xor_b64 exec, exec, s[8:9]
	s_cbranch_execnz .LBB290_808
.LBB290_573:                            ;   in Loop: Header=BB290_498 Depth=1
	s_or_b64 exec, exec, s[8:9]
	s_and_saveexec_b64 s[8:9], s[6:7]
	s_cbranch_execz .LBB290_575
.LBB290_574:                            ;   in Loop: Header=BB290_498 Depth=1
	v_and_b32_e32 v15, 7, v0
	v_ffbh_u32_e32 v6, v15
	v_min_u32_e32 v17, 32, v6
	v_subrev_u32_e32 v6, 28, v17
	v_bfe_u32 v16, v0, 3, 4
	v_lshlrev_b64 v[6:7], v6, v[0:1]
	v_sub_u32_e32 v7, 29, v17
	v_cmp_eq_u32_e64 s[0:1], 0, v16
	v_and_b32_e32 v6, 7, v6
	v_lshlrev_b32_e32 v0, 8, v0
	v_cndmask_b32_e64 v7, v16, v7, s[0:1]
	v_lshl_add_u32 v7, v7, 10, v48
	v_cndmask_b32_e64 v6, v15, v6, s[0:1]
	v_and_or_b32 v0, v0, s25, v7
	v_lshl_or_b32 v0, v6, 7, v0
	v_cvt_f32_f16_e32 v28, v0
.LBB290_575:                            ;   in Loop: Header=BB290_498 Depth=1
	s_or_b64 exec, exec, s[8:9]
	v_lshrrev_b32_e32 v0, 16, v20
	v_cmp_gt_i16_sdwa s[6:7], v0, s15 src0_sel:BYTE_0 src1_sel:DWORD
	s_mov_b64 s[0:1], 0
                                        ; implicit-def: $sgpr10
	s_and_saveexec_b64 s[8:9], s[6:7]
	s_xor_b64 s[6:7], exec, s[8:9]
	s_cbranch_execnz .LBB290_809
; %bb.576:                              ;   in Loop: Header=BB290_498 Depth=1
	s_or_saveexec_b64 s[6:7], s[6:7]
	v_mov_b32_e32 v25, s10
	s_xor_b64 exec, exec, s[6:7]
	s_cbranch_execnz .LBB290_812
.LBB290_577:                            ;   in Loop: Header=BB290_498 Depth=1
	s_or_b64 exec, exec, s[6:7]
	s_and_saveexec_b64 s[6:7], s[0:1]
	s_cbranch_execz .LBB290_579
.LBB290_578:                            ;   in Loop: Header=BB290_498 Depth=1
	v_bfe_u32 v15, v20, 16, 3
	v_ffbh_u32_e32 v6, v15
	v_min_u32_e32 v17, 32, v6
	v_subrev_u32_e32 v6, 28, v17
	v_bfe_u32 v16, v20, 19, 4
	v_lshlrev_b64 v[6:7], v6, v[0:1]
	v_sub_u32_e32 v7, 29, v17
	v_cmp_eq_u32_e64 s[0:1], 0, v16
	v_and_b32_e32 v6, 7, v6
	v_lshlrev_b32_e32 v0, 8, v0
	v_cndmask_b32_e64 v7, v16, v7, s[0:1]
	v_lshl_add_u32 v7, v7, 10, v48
	v_cndmask_b32_e64 v6, v15, v6, s[0:1]
	v_and_or_b32 v0, v0, s25, v7
	v_lshl_or_b32 v0, v6, 7, v0
	v_cvt_f32_f16_e32 v25, v0
.LBB290_579:                            ;   in Loop: Header=BB290_498 Depth=1
	s_or_b64 exec, exec, s[6:7]
	v_lshrrev_b32_e32 v0, 24, v20
	v_cmp_lt_i16_e64 s[0:1], s15, v0
	s_mov_b64 s[6:7], 0
                                        ; implicit-def: $sgpr30
	s_and_saveexec_b64 s[8:9], s[0:1]
	s_xor_b64 s[8:9], exec, s[8:9]
	s_cbranch_execnz .LBB290_813
; %bb.580:                              ;   in Loop: Header=BB290_498 Depth=1
	s_or_saveexec_b64 s[8:9], s[8:9]
	v_mov_b32_e32 v29, s30
	s_xor_b64 exec, exec, s[8:9]
	s_cbranch_execnz .LBB290_816
.LBB290_581:                            ;   in Loop: Header=BB290_498 Depth=1
	s_or_b64 exec, exec, s[8:9]
	s_and_saveexec_b64 s[8:9], s[6:7]
	s_cbranch_execz .LBB290_583
.LBB290_582:                            ;   in Loop: Header=BB290_498 Depth=1
	v_bfe_u32 v15, v20, 24, 3
	v_ffbh_u32_e32 v6, v15
	v_min_u32_e32 v17, 32, v6
	v_subrev_u32_e32 v6, 28, v17
	v_bfe_u32 v16, v20, 27, 4
	v_lshlrev_b64 v[6:7], v6, v[0:1]
	v_sub_u32_e32 v7, 29, v17
	v_cmp_eq_u32_e64 s[0:1], 0, v16
	v_and_b32_e32 v6, 7, v6
	v_lshlrev_b32_e32 v0, 8, v0
	v_cndmask_b32_e64 v7, v16, v7, s[0:1]
	v_lshl_add_u32 v7, v7, 10, v48
	v_cndmask_b32_e64 v6, v15, v6, s[0:1]
	v_and_or_b32 v0, v0, s25, v7
	v_lshl_or_b32 v0, v6, 7, v0
	v_cvt_f32_f16_e32 v29, v0
.LBB290_583:                            ;   in Loop: Header=BB290_498 Depth=1
	s_or_b64 exec, exec, s[8:9]
	v_cmp_gt_i16_sdwa s[6:7], v21, s15 src0_sel:BYTE_0 src1_sel:DWORD
	s_mov_b64 s[0:1], 0
                                        ; implicit-def: $sgpr10
	s_and_saveexec_b64 s[8:9], s[6:7]
	s_xor_b64 s[6:7], exec, s[8:9]
	s_cbranch_execnz .LBB290_817
; %bb.584:                              ;   in Loop: Header=BB290_498 Depth=1
	s_or_saveexec_b64 s[6:7], s[6:7]
	v_mov_b32_e32 v6, s10
	s_xor_b64 exec, exec, s[6:7]
	s_cbranch_execnz .LBB290_820
.LBB290_585:                            ;   in Loop: Header=BB290_498 Depth=1
	s_or_b64 exec, exec, s[6:7]
	v_mov_b32_e32 v0, v21
	s_and_saveexec_b64 s[6:7], s[0:1]
	s_cbranch_execz .LBB290_587
.LBB290_586:                            ;   in Loop: Header=BB290_498 Depth=1
	v_and_b32_e32 v6, 7, v21
	v_ffbh_u32_e32 v6, v6
	v_bfe_u32 v7, v21, 3, 4
	v_min_u32_e32 v6, 32, v6
	v_subrev_u32_e32 v15, 28, v6
	v_sub_u32_e32 v6, 29, v6
	v_cmp_eq_u32_e64 s[0:1], 0, v7
	s_nop 1
	v_cndmask_b32_e64 v16, v7, v6, s[0:1]
	v_cndmask_b32_e64 v6, 0, v15, s[0:1]
	v_lshlrev_b64 v[6:7], v6, v[0:1]
	v_lshlrev_b32_e32 v7, 8, v21
	v_lshl_add_u32 v15, v16, 10, v48
	v_lshlrev_b32_e32 v6, 7, v6
	v_and_or_b32 v7, v7, s25, v15
	v_and_or_b32 v6, v6, s26, v7
	v_cvt_f32_f16_e32 v6, v6
.LBB290_587:                            ;   in Loop: Header=BB290_498 Depth=1
	s_or_b64 exec, exec, s[6:7]
	v_lshrrev_b16_e32 v0, 8, v0
	v_cmp_lt_i16_e64 s[0:1], s15, v0
	s_mov_b64 s[6:7], 0
                                        ; implicit-def: $sgpr30
	s_and_saveexec_b64 s[8:9], s[0:1]
	s_xor_b64 s[8:9], exec, s[8:9]
	s_cbranch_execnz .LBB290_821
; %bb.588:                              ;   in Loop: Header=BB290_498 Depth=1
	s_or_saveexec_b64 s[8:9], s[8:9]
	v_mov_b32_e32 v7, s30
	s_xor_b64 exec, exec, s[8:9]
	s_cbranch_execnz .LBB290_824
.LBB290_589:                            ;   in Loop: Header=BB290_498 Depth=1
	s_or_b64 exec, exec, s[8:9]
	s_and_saveexec_b64 s[8:9], s[6:7]
	s_cbranch_execz .LBB290_591
.LBB290_590:                            ;   in Loop: Header=BB290_498 Depth=1
	v_and_b32_e32 v7, 7, v0
	v_ffbh_u32_e32 v16, v7
	v_bfe_u32 v15, v0, 3, 4
	v_min_u32_e32 v16, 32, v16
	v_subrev_u32_e32 v17, 28, v16
	v_sub_u32_e32 v16, 29, v16
	v_cmp_eq_u32_e64 s[0:1], 0, v15
	v_lshlrev_b64 v[26:27], v17, v[0:1]
	v_and_b32_e32 v17, 7, v26
	v_cndmask_b32_e64 v15, v15, v16, s[0:1]
	v_lshlrev_b32_e32 v0, 8, v0
	v_lshl_add_u32 v15, v15, 10, v48
	v_cndmask_b32_e64 v7, v7, v17, s[0:1]
	v_and_or_b32 v0, v0, s25, v15
	v_lshl_or_b32 v0, v7, 7, v0
	v_cvt_f32_f16_e32 v7, v0
.LBB290_591:                            ;   in Loop: Header=BB290_498 Depth=1
	s_or_b64 exec, exec, s[8:9]
	v_lshrrev_b32_e32 v0, 16, v21
	v_cmp_gt_i16_sdwa s[6:7], v0, s15 src0_sel:BYTE_0 src1_sel:DWORD
	s_mov_b64 s[0:1], 0
                                        ; implicit-def: $sgpr10
	s_and_saveexec_b64 s[8:9], s[6:7]
	s_xor_b64 s[6:7], exec, s[8:9]
	s_cbranch_execnz .LBB290_825
; %bb.592:                              ;   in Loop: Header=BB290_498 Depth=1
	s_or_saveexec_b64 s[6:7], s[6:7]
	v_mov_b32_e32 v15, s10
	s_xor_b64 exec, exec, s[6:7]
	s_cbranch_execnz .LBB290_828
.LBB290_593:                            ;   in Loop: Header=BB290_498 Depth=1
	s_or_b64 exec, exec, s[6:7]
	s_and_saveexec_b64 s[6:7], s[0:1]
	s_cbranch_execz .LBB290_595
.LBB290_594:                            ;   in Loop: Header=BB290_498 Depth=1
	v_bfe_u32 v15, v21, 16, 3
	v_ffbh_u32_e32 v17, v15
	v_bfe_u32 v16, v21, 19, 4
	v_min_u32_e32 v17, 32, v17
	v_subrev_u32_e32 v18, 28, v17
	v_sub_u32_e32 v17, 29, v17
	v_cmp_eq_u32_e64 s[0:1], 0, v16
	v_lshlrev_b64 v[26:27], v18, v[0:1]
	v_and_b32_e32 v18, 7, v26
	v_cndmask_b32_e64 v16, v16, v17, s[0:1]
	v_lshlrev_b32_e32 v0, 8, v0
	v_lshl_add_u32 v16, v16, 10, v48
	v_cndmask_b32_e64 v15, v15, v18, s[0:1]
	v_and_or_b32 v0, v0, s25, v16
	v_lshl_or_b32 v0, v15, 7, v0
	v_cvt_f32_f16_e32 v15, v0
.LBB290_595:                            ;   in Loop: Header=BB290_498 Depth=1
	s_or_b64 exec, exec, s[6:7]
	v_lshrrev_b32_e32 v0, 24, v21
	v_cmp_lt_i16_e64 s[0:1], s15, v0
	s_mov_b64 s[6:7], 0
                                        ; implicit-def: $sgpr30
	s_and_saveexec_b64 s[8:9], s[0:1]
	s_xor_b64 s[8:9], exec, s[8:9]
	s_cbranch_execnz .LBB290_829
; %bb.596:                              ;   in Loop: Header=BB290_498 Depth=1
	s_or_saveexec_b64 s[8:9], s[8:9]
	v_mov_b32_e32 v20, s30
	s_xor_b64 exec, exec, s[8:9]
	s_cbranch_execnz .LBB290_832
.LBB290_597:                            ;   in Loop: Header=BB290_498 Depth=1
	s_or_b64 exec, exec, s[8:9]
	s_and_saveexec_b64 s[8:9], s[6:7]
	s_cbranch_execz .LBB290_599
.LBB290_598:                            ;   in Loop: Header=BB290_498 Depth=1
	v_bfe_u32 v16, v21, 24, 3
	v_ffbh_u32_e32 v18, v16
	v_bfe_u32 v17, v21, 27, 4
	v_min_u32_e32 v18, 32, v18
	v_subrev_u32_e32 v20, 28, v18
	v_sub_u32_e32 v18, 29, v18
	v_cmp_eq_u32_e64 s[0:1], 0, v17
	v_lshlrev_b64 v[20:21], v20, v[0:1]
	v_and_b32_e32 v20, 7, v20
	v_cndmask_b32_e64 v17, v17, v18, s[0:1]
	v_lshlrev_b32_e32 v0, 8, v0
	v_lshl_add_u32 v17, v17, 10, v48
	v_cndmask_b32_e64 v16, v16, v20, s[0:1]
	v_and_or_b32 v0, v0, s25, v17
	v_lshl_or_b32 v0, v16, 7, v0
	v_cvt_f32_f16_e32 v20, v0
.LBB290_599:                            ;   in Loop: Header=BB290_498 Depth=1
	s_or_b64 exec, exec, s[8:9]
	v_pk_mul_f32 v[26:27], v[14:15], v[28:29] op_sel_hi:[0,1]
	v_pk_mul_f32 v[24:25], v[14:15], v[24:25] op_sel_hi:[0,1]
	v_cvt_f16_f32_e32 v0, v27
	v_cvt_f16_f32_e32 v16, v26
	;; [unrolled: 1-line block ×4, first 2 shown]
	v_fma_mixlo_f16 v7, v14, v7, 0
	v_lshlrev_b32_e32 v7, 16, v7
	v_fma_mixlo_f16 v6, v14, v6, 0
	v_or_b32_sdwa v6, v7, v6 dst_sel:DWORD dst_unused:UNUSED_PAD src0_sel:DWORD src1_sel:WORD_0
	v_fma_mixlo_f16 v7, v14, v20, 0
	v_pack_b32_f16 v16, v16, v0
	v_pack_b32_f16 v17, v18, v17
	v_fma_mixlo_f16 v15, v14, v15, 0
	v_lshlrev_b32_e32 v7, 16, v7
	v_perm_b32 v0, v17, v16, s27
	v_perm_b32 v17, v17, v16, s28
	v_or_b32_sdwa v7, v7, v15 dst_sel:DWORD dst_unused:UNUSED_PAD src0_sel:DWORD src1_sel:WORD_0
	s_and_saveexec_b64 s[6:7], vcc
	s_cbranch_execz .LBB290_601
; %bb.600:                              ;   in Loop: Header=BB290_498 Depth=1
	v_lshrrev_b32_e32 v14, 16, v17
	v_cmp_lt_i32_e64 s[0:1], v56, v3
	v_accvgpr_read_b32 v18, a8
	v_lshrrev_b32_e32 v7, 16, v7
	v_cndmask_b32_e64 v14, 0, v14, s[0:1]
	v_cmp_lt_i32_e64 s[0:1], v43, v18
	s_nop 1
	v_cndmask_b32_e64 v16, 0, v17, s[0:1]
	v_perm_b32 v17, v14, v16, s29
	v_lshrrev_b32_e32 v14, 16, v0
	v_cmp_lt_i32_e64 s[0:1], v47, v3
	s_nop 1
	v_cndmask_b32_e64 v14, 0, v14, s[0:1]
	v_cmp_lt_i32_e64 s[0:1], v46, v18
	s_nop 1
	v_cndmask_b32_e64 v0, 0, v0, s[0:1]
	v_perm_b32 v0, v14, v0, s29
	v_lshrrev_b32_e32 v14, 16, v6
	v_cmp_lt_i32_e64 s[0:1], v45, v3
	s_nop 1
	v_cndmask_b32_e64 v14, 0, v14, s[0:1]
	v_cmp_lt_i32_e64 s[0:1], v44, v18
	s_nop 1
	v_cndmask_b32_e64 v6, 0, v6, s[0:1]
	v_cmp_lt_i32_e64 s[0:1], v42, v3
	v_perm_b32 v6, v14, v6, s29
	s_nop 0
	v_cndmask_b32_e64 v7, 0, v7, s[0:1]
	v_cmp_lt_i32_e64 s[0:1], v49, v18
	s_nop 1
	v_cndmask_b32_e64 v14, 0, v15, s[0:1]
	v_perm_b32 v7, v7, v14, s29
.LBB290_601:                            ;   in Loop: Header=BB290_498 Depth=1
	s_or_b64 exec, exec, s[6:7]
	;;#ASMSTART
	v_pk_mul_f16 v14, v60, v17;

	;;#ASMEND
	;;#ASMSTART
	v_pk_mul_f16 v0, v59, v0;

	;;#ASMEND
	;; [unrolled: 4-line block ×4, first 2 shown]
	s_mov_b64 s[0:1], 0
	;;#ASMSTART
	v_pk_add_f16 v0, v14, v0;

	;;#ASMEND
                                        ; implicit-def: $sgpr10
	s_nop 0
	;;#ASMSTART
	v_pk_add_f16 v0, v0, v6;

	;;#ASMEND
	s_nop 0
	;;#ASMSTART
	v_pk_add_f16 v0, v0, v7;

	;;#ASMEND
	s_nop 0
	v_lshrrev_b32_e32 v6, 16, v0
	v_and_b32_e32 v0, 0xffff, v0
	;;#ASMSTART
	v_cvt_f32_f16 v17, v0;
	;;#ASMEND
	;;#ASMSTART
	v_cvt_f32_f16 v41, v6;
	;;#ASMEND
	v_accvgpr_read_b32 v7, a5
	flat_load_dwordx2 v[20:21], v[12:13] offset:1536
	v_accvgpr_read_b32 v6, a4
	flat_load_dword v14, v[6:7]
	s_waitcnt vmcnt(0) lgkmcnt(0)
	v_cmp_gt_i16_sdwa s[6:7], v20, s15 src0_sel:BYTE_0 src1_sel:DWORD
	s_and_saveexec_b64 s[8:9], s[6:7]
	s_xor_b64 s[6:7], exec, s[8:9]
	s_cbranch_execnz .LBB290_833
; %bb.602:                              ;   in Loop: Header=BB290_498 Depth=1
	s_or_saveexec_b64 s[6:7], s[6:7]
	v_mov_b32_e32 v24, s10
	s_xor_b64 exec, exec, s[6:7]
	s_cbranch_execnz .LBB290_836
.LBB290_603:                            ;   in Loop: Header=BB290_498 Depth=1
	s_or_b64 exec, exec, s[6:7]
	s_and_saveexec_b64 s[6:7], s[0:1]
	s_cbranch_execz .LBB290_605
.LBB290_604:                            ;   in Loop: Header=BB290_498 Depth=1
	v_and_b32_e32 v0, 7, v20
	v_ffbh_u32_e32 v0, v0
	v_bfe_u32 v6, v20, 3, 4
	v_min_u32_e32 v0, 32, v0
	v_subrev_u32_e32 v7, 28, v0
	v_sub_u32_e32 v0, 29, v0
	v_cmp_eq_u32_e64 s[0:1], 0, v6
	s_nop 1
	v_cndmask_b32_e64 v0, v6, v0, s[0:1]
	v_cndmask_b32_e64 v6, 0, v7, s[0:1]
	v_lshlrev_b64 v[6:7], v6, v[20:21]
	v_lshlrev_b32_e32 v7, 8, v20
	v_lshl_add_u32 v0, v0, 10, v48
	v_lshlrev_b32_e32 v6, 7, v6
	v_and_or_b32 v0, v7, s25, v0
	v_and_or_b32 v0, v6, s26, v0
	v_cvt_f32_f16_e32 v24, v0
.LBB290_605:                            ;   in Loop: Header=BB290_498 Depth=1
	s_or_b64 exec, exec, s[6:7]
	v_lshrrev_b16_e32 v0, 8, v20
	v_cmp_lt_i16_e64 s[0:1], s15, v0
	s_mov_b64 s[6:7], 0
                                        ; implicit-def: $sgpr30
	s_and_saveexec_b64 s[8:9], s[0:1]
	s_xor_b64 s[8:9], exec, s[8:9]
	s_cbranch_execnz .LBB290_837
; %bb.606:                              ;   in Loop: Header=BB290_498 Depth=1
	s_or_saveexec_b64 s[8:9], s[8:9]
	v_mov_b32_e32 v28, s30
	s_xor_b64 exec, exec, s[8:9]
	s_cbranch_execnz .LBB290_840
.LBB290_607:                            ;   in Loop: Header=BB290_498 Depth=1
	s_or_b64 exec, exec, s[8:9]
	s_and_saveexec_b64 s[8:9], s[6:7]
	s_cbranch_execz .LBB290_609
.LBB290_608:                            ;   in Loop: Header=BB290_498 Depth=1
	v_and_b32_e32 v15, 7, v0
	v_ffbh_u32_e32 v6, v15
	v_min_u32_e32 v18, 32, v6
	v_subrev_u32_e32 v6, 28, v18
	v_bfe_u32 v16, v0, 3, 4
	v_lshlrev_b64 v[6:7], v6, v[0:1]
	v_sub_u32_e32 v7, 29, v18
	v_cmp_eq_u32_e64 s[0:1], 0, v16
	v_and_b32_e32 v6, 7, v6
	v_lshlrev_b32_e32 v0, 8, v0
	v_cndmask_b32_e64 v7, v16, v7, s[0:1]
	v_lshl_add_u32 v7, v7, 10, v48
	v_cndmask_b32_e64 v6, v15, v6, s[0:1]
	v_and_or_b32 v0, v0, s25, v7
	v_lshl_or_b32 v0, v6, 7, v0
	v_cvt_f32_f16_e32 v28, v0
.LBB290_609:                            ;   in Loop: Header=BB290_498 Depth=1
	s_or_b64 exec, exec, s[8:9]
	v_lshrrev_b32_e32 v0, 16, v20
	v_cmp_gt_i16_sdwa s[6:7], v0, s15 src0_sel:BYTE_0 src1_sel:DWORD
	s_mov_b64 s[0:1], 0
                                        ; implicit-def: $sgpr10
	s_and_saveexec_b64 s[8:9], s[6:7]
	s_xor_b64 s[6:7], exec, s[8:9]
	s_cbranch_execnz .LBB290_841
; %bb.610:                              ;   in Loop: Header=BB290_498 Depth=1
	s_or_saveexec_b64 s[6:7], s[6:7]
	v_mov_b32_e32 v25, s10
	s_xor_b64 exec, exec, s[6:7]
	s_cbranch_execnz .LBB290_844
.LBB290_611:                            ;   in Loop: Header=BB290_498 Depth=1
	s_or_b64 exec, exec, s[6:7]
	s_and_saveexec_b64 s[6:7], s[0:1]
	s_cbranch_execz .LBB290_613
.LBB290_612:                            ;   in Loop: Header=BB290_498 Depth=1
	v_bfe_u32 v15, v20, 16, 3
	v_ffbh_u32_e32 v6, v15
	v_min_u32_e32 v18, 32, v6
	v_subrev_u32_e32 v6, 28, v18
	v_bfe_u32 v16, v20, 19, 4
	v_lshlrev_b64 v[6:7], v6, v[0:1]
	v_sub_u32_e32 v7, 29, v18
	v_cmp_eq_u32_e64 s[0:1], 0, v16
	v_and_b32_e32 v6, 7, v6
	v_lshlrev_b32_e32 v0, 8, v0
	v_cndmask_b32_e64 v7, v16, v7, s[0:1]
	v_lshl_add_u32 v7, v7, 10, v48
	v_cndmask_b32_e64 v6, v15, v6, s[0:1]
	v_and_or_b32 v0, v0, s25, v7
	v_lshl_or_b32 v0, v6, 7, v0
	v_cvt_f32_f16_e32 v25, v0
.LBB290_613:                            ;   in Loop: Header=BB290_498 Depth=1
	s_or_b64 exec, exec, s[6:7]
	v_lshrrev_b32_e32 v0, 24, v20
	v_cmp_lt_i16_e64 s[0:1], s15, v0
	s_mov_b64 s[6:7], 0
                                        ; implicit-def: $sgpr30
	s_and_saveexec_b64 s[8:9], s[0:1]
	s_xor_b64 s[8:9], exec, s[8:9]
	s_cbranch_execnz .LBB290_845
; %bb.614:                              ;   in Loop: Header=BB290_498 Depth=1
	s_or_saveexec_b64 s[8:9], s[8:9]
	v_mov_b32_e32 v29, s30
	s_xor_b64 exec, exec, s[8:9]
	s_cbranch_execnz .LBB290_848
.LBB290_615:                            ;   in Loop: Header=BB290_498 Depth=1
	s_or_b64 exec, exec, s[8:9]
	s_and_saveexec_b64 s[8:9], s[6:7]
	s_cbranch_execz .LBB290_617
.LBB290_616:                            ;   in Loop: Header=BB290_498 Depth=1
	v_bfe_u32 v15, v20, 24, 3
	v_ffbh_u32_e32 v6, v15
	v_min_u32_e32 v18, 32, v6
	v_subrev_u32_e32 v6, 28, v18
	v_bfe_u32 v16, v20, 27, 4
	v_lshlrev_b64 v[6:7], v6, v[0:1]
	v_sub_u32_e32 v7, 29, v18
	v_cmp_eq_u32_e64 s[0:1], 0, v16
	v_and_b32_e32 v6, 7, v6
	v_lshlrev_b32_e32 v0, 8, v0
	v_cndmask_b32_e64 v7, v16, v7, s[0:1]
	v_lshl_add_u32 v7, v7, 10, v48
	v_cndmask_b32_e64 v6, v15, v6, s[0:1]
	v_and_or_b32 v0, v0, s25, v7
	v_lshl_or_b32 v0, v6, 7, v0
	v_cvt_f32_f16_e32 v29, v0
.LBB290_617:                            ;   in Loop: Header=BB290_498 Depth=1
	s_or_b64 exec, exec, s[8:9]
	v_cmp_gt_i16_sdwa s[6:7], v21, s15 src0_sel:BYTE_0 src1_sel:DWORD
	s_mov_b64 s[0:1], 0
                                        ; implicit-def: $sgpr10
	s_and_saveexec_b64 s[8:9], s[6:7]
	s_xor_b64 s[6:7], exec, s[8:9]
	s_cbranch_execnz .LBB290_849
; %bb.618:                              ;   in Loop: Header=BB290_498 Depth=1
	s_or_saveexec_b64 s[6:7], s[6:7]
	v_mov_b32_e32 v6, s10
	s_xor_b64 exec, exec, s[6:7]
	s_cbranch_execnz .LBB290_852
.LBB290_619:                            ;   in Loop: Header=BB290_498 Depth=1
	s_or_b64 exec, exec, s[6:7]
	v_mov_b32_e32 v0, v21
	s_and_saveexec_b64 s[6:7], s[0:1]
	s_cbranch_execz .LBB290_621
.LBB290_620:                            ;   in Loop: Header=BB290_498 Depth=1
	v_and_b32_e32 v6, 7, v21
	v_ffbh_u32_e32 v6, v6
	v_bfe_u32 v7, v21, 3, 4
	v_min_u32_e32 v6, 32, v6
	v_subrev_u32_e32 v15, 28, v6
	v_sub_u32_e32 v6, 29, v6
	v_cmp_eq_u32_e64 s[0:1], 0, v7
	s_nop 1
	v_cndmask_b32_e64 v16, v7, v6, s[0:1]
	v_cndmask_b32_e64 v6, 0, v15, s[0:1]
	v_lshlrev_b64 v[6:7], v6, v[0:1]
	v_lshlrev_b32_e32 v7, 8, v21
	v_lshl_add_u32 v15, v16, 10, v48
	v_lshlrev_b32_e32 v6, 7, v6
	v_and_or_b32 v7, v7, s25, v15
	v_and_or_b32 v6, v6, s26, v7
	v_cvt_f32_f16_e32 v6, v6
.LBB290_621:                            ;   in Loop: Header=BB290_498 Depth=1
	s_or_b64 exec, exec, s[6:7]
	v_lshrrev_b16_e32 v0, 8, v0
	v_cmp_lt_i16_e64 s[0:1], s15, v0
	s_mov_b64 s[6:7], 0
                                        ; implicit-def: $sgpr30
	s_and_saveexec_b64 s[8:9], s[0:1]
	s_xor_b64 s[8:9], exec, s[8:9]
	s_cbranch_execnz .LBB290_853
; %bb.622:                              ;   in Loop: Header=BB290_498 Depth=1
	s_or_saveexec_b64 s[8:9], s[8:9]
	v_mov_b32_e32 v7, s30
	s_xor_b64 exec, exec, s[8:9]
	s_cbranch_execnz .LBB290_856
.LBB290_623:                            ;   in Loop: Header=BB290_498 Depth=1
	s_or_b64 exec, exec, s[8:9]
	s_and_saveexec_b64 s[8:9], s[6:7]
	s_cbranch_execz .LBB290_625
.LBB290_624:                            ;   in Loop: Header=BB290_498 Depth=1
	v_and_b32_e32 v7, 7, v0
	v_ffbh_u32_e32 v16, v7
	v_bfe_u32 v15, v0, 3, 4
	v_min_u32_e32 v16, 32, v16
	v_subrev_u32_e32 v18, 28, v16
	v_sub_u32_e32 v16, 29, v16
	v_cmp_eq_u32_e64 s[0:1], 0, v15
	v_lshlrev_b64 v[26:27], v18, v[0:1]
	v_and_b32_e32 v18, 7, v26
	v_cndmask_b32_e64 v15, v15, v16, s[0:1]
	v_lshlrev_b32_e32 v0, 8, v0
	v_lshl_add_u32 v15, v15, 10, v48
	v_cndmask_b32_e64 v7, v7, v18, s[0:1]
	v_and_or_b32 v0, v0, s25, v15
	v_lshl_or_b32 v0, v7, 7, v0
	v_cvt_f32_f16_e32 v7, v0
.LBB290_625:                            ;   in Loop: Header=BB290_498 Depth=1
	s_or_b64 exec, exec, s[8:9]
	v_lshrrev_b32_e32 v0, 16, v21
	v_cmp_gt_i16_sdwa s[6:7], v0, s15 src0_sel:BYTE_0 src1_sel:DWORD
	s_mov_b64 s[0:1], 0
                                        ; implicit-def: $sgpr10
	s_and_saveexec_b64 s[8:9], s[6:7]
	s_xor_b64 s[6:7], exec, s[8:9]
	s_cbranch_execnz .LBB290_857
; %bb.626:                              ;   in Loop: Header=BB290_498 Depth=1
	s_or_saveexec_b64 s[6:7], s[6:7]
	v_mov_b32_e32 v15, s10
	s_xor_b64 exec, exec, s[6:7]
	s_cbranch_execnz .LBB290_860
.LBB290_627:                            ;   in Loop: Header=BB290_498 Depth=1
	s_or_b64 exec, exec, s[6:7]
	s_and_saveexec_b64 s[6:7], s[0:1]
	s_cbranch_execz .LBB290_629
.LBB290_628:                            ;   in Loop: Header=BB290_498 Depth=1
	v_bfe_u32 v15, v21, 16, 3
	v_ffbh_u32_e32 v18, v15
	v_bfe_u32 v16, v21, 19, 4
	v_min_u32_e32 v18, 32, v18
	v_subrev_u32_e32 v20, 28, v18
	v_sub_u32_e32 v18, 29, v18
	v_cmp_eq_u32_e64 s[0:1], 0, v16
	v_lshlrev_b64 v[26:27], v20, v[0:1]
	v_and_b32_e32 v20, 7, v26
	v_cndmask_b32_e64 v16, v16, v18, s[0:1]
	v_lshlrev_b32_e32 v0, 8, v0
	v_lshl_add_u32 v16, v16, 10, v48
	v_cndmask_b32_e64 v15, v15, v20, s[0:1]
	v_and_or_b32 v0, v0, s25, v16
	v_lshl_or_b32 v0, v15, 7, v0
	v_cvt_f32_f16_e32 v15, v0
.LBB290_629:                            ;   in Loop: Header=BB290_498 Depth=1
	s_or_b64 exec, exec, s[6:7]
	v_lshrrev_b32_e32 v0, 24, v21
	v_cmp_lt_i16_e64 s[0:1], s15, v0
	s_mov_b64 s[6:7], 0
                                        ; implicit-def: $sgpr30
	s_and_saveexec_b64 s[8:9], s[0:1]
	s_xor_b64 s[8:9], exec, s[8:9]
	s_cbranch_execnz .LBB290_861
; %bb.630:                              ;   in Loop: Header=BB290_498 Depth=1
	s_or_saveexec_b64 s[8:9], s[8:9]
	v_mov_b32_e32 v22, s30
	s_xor_b64 exec, exec, s[8:9]
	s_cbranch_execnz .LBB290_864
.LBB290_631:                            ;   in Loop: Header=BB290_498 Depth=1
	s_or_b64 exec, exec, s[8:9]
	s_and_saveexec_b64 s[8:9], s[6:7]
	s_cbranch_execz .LBB290_633
.LBB290_632:                            ;   in Loop: Header=BB290_498 Depth=1
	v_bfe_u32 v16, v21, 24, 3
	v_ffbh_u32_e32 v20, v16
	v_min_u32_e32 v22, 32, v20
	v_subrev_u32_e32 v20, 28, v22
	v_bfe_u32 v18, v21, 27, 4
	v_lshlrev_b64 v[20:21], v20, v[0:1]
	v_sub_u32_e32 v21, 29, v22
	v_cmp_eq_u32_e64 s[0:1], 0, v18
	v_and_b32_e32 v20, 7, v20
	v_lshlrev_b32_e32 v0, 8, v0
	v_cndmask_b32_e64 v18, v18, v21, s[0:1]
	v_lshl_add_u32 v18, v18, 10, v48
	v_cndmask_b32_e64 v16, v16, v20, s[0:1]
	v_and_or_b32 v0, v0, s25, v18
	v_lshl_or_b32 v0, v16, 7, v0
	v_cvt_f32_f16_e32 v22, v0
.LBB290_633:                            ;   in Loop: Header=BB290_498 Depth=1
	s_or_b64 exec, exec, s[8:9]
	v_pk_mul_f32 v[20:21], v[14:15], v[28:29] op_sel_hi:[0,1]
	v_pk_mul_f32 v[24:25], v[14:15], v[24:25] op_sel_hi:[0,1]
	v_cvt_f16_f32_e32 v0, v21
	v_cvt_f16_f32_e32 v16, v20
	;; [unrolled: 1-line block ×4, first 2 shown]
	v_fma_mixlo_f16 v7, v14, v7, 0
	v_lshlrev_b32_e32 v7, 16, v7
	v_fma_mixlo_f16 v6, v14, v6, 0
	v_or_b32_sdwa v6, v7, v6 dst_sel:DWORD dst_unused:UNUSED_PAD src0_sel:DWORD src1_sel:WORD_0
	v_fma_mixlo_f16 v7, v14, v22, 0
	v_pack_b32_f16 v16, v16, v0
	v_pack_b32_f16 v18, v20, v18
	v_fma_mixlo_f16 v15, v14, v15, 0
	v_lshlrev_b32_e32 v7, 16, v7
	v_perm_b32 v0, v18, v16, s27
	v_perm_b32 v20, v18, v16, s28
	v_or_b32_sdwa v7, v7, v15 dst_sel:DWORD dst_unused:UNUSED_PAD src0_sel:DWORD src1_sel:WORD_0
	s_and_saveexec_b64 s[6:7], vcc
	s_cbranch_execz .LBB290_635
; %bb.634:                              ;   in Loop: Header=BB290_498 Depth=1
	v_lshrrev_b32_e32 v14, 16, v20
	v_cmp_lt_i32_e64 s[0:1], v56, v3
	v_accvgpr_read_b32 v18, a8
	v_lshrrev_b32_e32 v7, 16, v7
	v_cndmask_b32_e64 v14, 0, v14, s[0:1]
	v_cmp_lt_i32_e64 s[0:1], v43, v18
	s_nop 1
	v_cndmask_b32_e64 v16, 0, v20, s[0:1]
	v_perm_b32 v20, v14, v16, s29
	v_lshrrev_b32_e32 v14, 16, v0
	v_cmp_lt_i32_e64 s[0:1], v47, v3
	s_nop 1
	v_cndmask_b32_e64 v14, 0, v14, s[0:1]
	v_cmp_lt_i32_e64 s[0:1], v46, v18
	s_nop 1
	v_cndmask_b32_e64 v0, 0, v0, s[0:1]
	v_perm_b32 v0, v14, v0, s29
	v_lshrrev_b32_e32 v14, 16, v6
	v_cmp_lt_i32_e64 s[0:1], v45, v3
	s_nop 1
	v_cndmask_b32_e64 v14, 0, v14, s[0:1]
	v_cmp_lt_i32_e64 s[0:1], v44, v18
	s_nop 1
	v_cndmask_b32_e64 v6, 0, v6, s[0:1]
	v_cmp_lt_i32_e64 s[0:1], v42, v3
	v_perm_b32 v6, v14, v6, s29
	s_nop 0
	v_cndmask_b32_e64 v7, 0, v7, s[0:1]
	v_cmp_lt_i32_e64 s[0:1], v49, v18
	s_nop 1
	v_cndmask_b32_e64 v14, 0, v15, s[0:1]
	v_perm_b32 v7, v7, v14, s29
.LBB290_635:                            ;   in Loop: Header=BB290_498 Depth=1
	s_or_b64 exec, exec, s[6:7]
	;;#ASMSTART
	v_pk_mul_f16 v14, v60, v20;

	;;#ASMEND
	;;#ASMSTART
	v_pk_mul_f16 v0, v59, v0;

	;;#ASMEND
	;; [unrolled: 4-line block ×4, first 2 shown]
	s_mov_b64 s[0:1], 0
	;;#ASMSTART
	v_pk_add_f16 v0, v14, v0;

	;;#ASMEND
	v_accvgpr_read_b32 v15, a5
	;;#ASMSTART
	v_pk_add_f16 v0, v0, v6;

	;;#ASMEND
	v_accvgpr_read_b32 v14, a4
	;;#ASMSTART
	v_pk_add_f16 v0, v0, v7;

	;;#ASMEND
                                        ; implicit-def: $sgpr10
	s_nop 0
	v_lshrrev_b32_e32 v6, 16, v0
	v_and_b32_e32 v0, 0xffff, v0
	;;#ASMSTART
	v_cvt_f32_f16 v7, v0;
	;;#ASMEND
	;;#ASMSTART
	v_cvt_f32_f16 v51, v6;
	;;#ASMEND
	flat_load_dwordx2 v[20:21], v[12:13] offset:2048
	s_waitcnt vmcnt(0) lgkmcnt(0)
	v_cmp_gt_i16_sdwa s[6:7], v20, s15 src0_sel:BYTE_0 src1_sel:DWORD
	flat_load_dword v14, v[14:15]
	s_and_saveexec_b64 s[8:9], s[6:7]
	s_xor_b64 s[6:7], exec, s[8:9]
	s_cbranch_execnz .LBB290_865
; %bb.636:                              ;   in Loop: Header=BB290_498 Depth=1
	s_or_saveexec_b64 s[6:7], s[6:7]
	v_mov_b32_e32 v24, s10
	s_xor_b64 exec, exec, s[6:7]
	s_cbranch_execnz .LBB290_868
.LBB290_637:                            ;   in Loop: Header=BB290_498 Depth=1
	s_or_b64 exec, exec, s[6:7]
	s_and_saveexec_b64 s[6:7], s[0:1]
	s_cbranch_execz .LBB290_639
.LBB290_638:                            ;   in Loop: Header=BB290_498 Depth=1
	v_and_b32_e32 v0, 7, v20
	v_ffbh_u32_e32 v0, v0
	v_bfe_u32 v6, v20, 3, 4
	v_min_u32_e32 v0, 32, v0
	v_subrev_u32_e32 v15, 28, v0
	v_sub_u32_e32 v0, 29, v0
	v_cmp_eq_u32_e64 s[0:1], 0, v6
	s_nop 1
	v_cndmask_b32_e64 v0, v6, v0, s[0:1]
	v_cndmask_b32_e64 v6, 0, v15, s[0:1]
	v_lshlrev_b64 v[24:25], v6, v[20:21]
	v_lshlrev_b32_e32 v15, 8, v20
	v_lshl_add_u32 v0, v0, 10, v48
	v_lshlrev_b32_e32 v6, 7, v24
	v_and_or_b32 v0, v15, s25, v0
	v_and_or_b32 v0, v6, s26, v0
	v_cvt_f32_f16_e32 v24, v0
.LBB290_639:                            ;   in Loop: Header=BB290_498 Depth=1
	s_or_b64 exec, exec, s[6:7]
	v_lshrrev_b16_e32 v0, 8, v20
	v_cmp_lt_i16_e64 s[0:1], s15, v0
	s_mov_b64 s[6:7], 0
                                        ; implicit-def: $sgpr30
	s_and_saveexec_b64 s[8:9], s[0:1]
	s_xor_b64 s[8:9], exec, s[8:9]
	s_cbranch_execnz .LBB290_869
; %bb.640:                              ;   in Loop: Header=BB290_498 Depth=1
	s_or_saveexec_b64 s[8:9], s[8:9]
	v_mov_b32_e32 v28, s30
	s_xor_b64 exec, exec, s[8:9]
	s_cbranch_execnz .LBB290_872
.LBB290_641:                            ;   in Loop: Header=BB290_498 Depth=1
	s_or_b64 exec, exec, s[8:9]
	s_and_saveexec_b64 s[8:9], s[6:7]
	s_cbranch_execz .LBB290_643
.LBB290_642:                            ;   in Loop: Header=BB290_498 Depth=1
	v_and_b32_e32 v6, 7, v0
	v_ffbh_u32_e32 v16, v6
	v_bfe_u32 v15, v0, 3, 4
	v_min_u32_e32 v16, 32, v16
	v_subrev_u32_e32 v18, 28, v16
	v_sub_u32_e32 v16, 29, v16
	v_cmp_eq_u32_e64 s[0:1], 0, v15
	v_lshlrev_b64 v[26:27], v18, v[0:1]
	v_and_b32_e32 v18, 7, v26
	v_cndmask_b32_e64 v15, v15, v16, s[0:1]
	v_lshlrev_b32_e32 v0, 8, v0
	v_lshl_add_u32 v15, v15, 10, v48
	v_cndmask_b32_e64 v6, v6, v18, s[0:1]
	v_and_or_b32 v0, v0, s25, v15
	v_lshl_or_b32 v0, v6, 7, v0
	v_cvt_f32_f16_e32 v28, v0
.LBB290_643:                            ;   in Loop: Header=BB290_498 Depth=1
	s_or_b64 exec, exec, s[8:9]
	v_lshrrev_b32_e32 v0, 16, v20
	v_cmp_gt_i16_sdwa s[6:7], v0, s15 src0_sel:BYTE_0 src1_sel:DWORD
	s_mov_b64 s[0:1], 0
                                        ; implicit-def: $sgpr10
	s_and_saveexec_b64 s[8:9], s[6:7]
	s_xor_b64 s[6:7], exec, s[8:9]
	s_cbranch_execnz .LBB290_873
; %bb.644:                              ;   in Loop: Header=BB290_498 Depth=1
	s_or_saveexec_b64 s[6:7], s[6:7]
	v_mov_b32_e32 v25, s10
	s_xor_b64 exec, exec, s[6:7]
	s_cbranch_execnz .LBB290_876
.LBB290_645:                            ;   in Loop: Header=BB290_498 Depth=1
	s_or_b64 exec, exec, s[6:7]
	s_and_saveexec_b64 s[6:7], s[0:1]
	s_cbranch_execz .LBB290_647
.LBB290_646:                            ;   in Loop: Header=BB290_498 Depth=1
	v_bfe_u32 v6, v20, 16, 3
	v_ffbh_u32_e32 v16, v6
	v_bfe_u32 v15, v20, 19, 4
	v_min_u32_e32 v16, 32, v16
	v_subrev_u32_e32 v18, 28, v16
	v_sub_u32_e32 v16, 29, v16
	v_cmp_eq_u32_e64 s[0:1], 0, v15
	v_lshlrev_b64 v[26:27], v18, v[0:1]
	v_and_b32_e32 v18, 7, v26
	v_cndmask_b32_e64 v15, v15, v16, s[0:1]
	v_lshlrev_b32_e32 v0, 8, v0
	v_lshl_add_u32 v15, v15, 10, v48
	v_cndmask_b32_e64 v6, v6, v18, s[0:1]
	v_and_or_b32 v0, v0, s25, v15
	v_lshl_or_b32 v0, v6, 7, v0
	v_cvt_f32_f16_e32 v25, v0
.LBB290_647:                            ;   in Loop: Header=BB290_498 Depth=1
	s_or_b64 exec, exec, s[6:7]
	v_lshrrev_b32_e32 v0, 24, v20
	v_cmp_lt_i16_e64 s[0:1], s15, v0
	s_mov_b64 s[6:7], 0
                                        ; implicit-def: $sgpr30
	s_and_saveexec_b64 s[8:9], s[0:1]
	s_xor_b64 s[8:9], exec, s[8:9]
	s_cbranch_execnz .LBB290_877
; %bb.648:                              ;   in Loop: Header=BB290_498 Depth=1
	s_or_saveexec_b64 s[8:9], s[8:9]
	v_mov_b32_e32 v29, s30
	s_xor_b64 exec, exec, s[8:9]
	s_cbranch_execnz .LBB290_880
.LBB290_649:                            ;   in Loop: Header=BB290_498 Depth=1
	s_or_b64 exec, exec, s[8:9]
	s_and_saveexec_b64 s[8:9], s[6:7]
	s_cbranch_execz .LBB290_651
.LBB290_650:                            ;   in Loop: Header=BB290_498 Depth=1
	v_bfe_u32 v6, v20, 24, 3
	v_ffbh_u32_e32 v16, v6
	v_bfe_u32 v15, v20, 27, 4
	v_min_u32_e32 v16, 32, v16
	v_subrev_u32_e32 v18, 28, v16
	v_sub_u32_e32 v16, 29, v16
	v_cmp_eq_u32_e64 s[0:1], 0, v15
	v_lshlrev_b64 v[26:27], v18, v[0:1]
	v_and_b32_e32 v18, 7, v26
	v_cndmask_b32_e64 v15, v15, v16, s[0:1]
	v_lshlrev_b32_e32 v0, 8, v0
	v_lshl_add_u32 v15, v15, 10, v48
	v_cndmask_b32_e64 v6, v6, v18, s[0:1]
	v_and_or_b32 v0, v0, s25, v15
	v_lshl_or_b32 v0, v6, 7, v0
	v_cvt_f32_f16_e32 v29, v0
.LBB290_651:                            ;   in Loop: Header=BB290_498 Depth=1
	s_or_b64 exec, exec, s[8:9]
	v_cmp_gt_i16_sdwa s[6:7], v21, s15 src0_sel:BYTE_0 src1_sel:DWORD
	s_mov_b64 s[0:1], 0
                                        ; implicit-def: $sgpr10
	s_and_saveexec_b64 s[8:9], s[6:7]
	s_xor_b64 s[6:7], exec, s[8:9]
	s_cbranch_execnz .LBB290_881
; %bb.652:                              ;   in Loop: Header=BB290_498 Depth=1
	s_or_saveexec_b64 s[6:7], s[6:7]
	v_mov_b32_e32 v6, s10
	s_xor_b64 exec, exec, s[6:7]
	s_cbranch_execnz .LBB290_884
.LBB290_653:                            ;   in Loop: Header=BB290_498 Depth=1
	s_or_b64 exec, exec, s[6:7]
	v_mov_b32_e32 v0, v21
	s_and_saveexec_b64 s[6:7], s[0:1]
	s_cbranch_execz .LBB290_655
.LBB290_654:                            ;   in Loop: Header=BB290_498 Depth=1
	v_and_b32_e32 v6, 7, v21
	v_ffbh_u32_e32 v6, v6
	v_bfe_u32 v15, v21, 3, 4
	v_min_u32_e32 v6, 32, v6
	v_subrev_u32_e32 v16, 28, v6
	v_sub_u32_e32 v6, 29, v6
	v_cmp_eq_u32_e64 s[0:1], 0, v15
	s_nop 1
	v_cndmask_b32_e64 v6, v15, v6, s[0:1]
	v_cndmask_b32_e64 v15, 0, v16, s[0:1]
	v_lshlrev_b64 v[26:27], v15, v[0:1]
	v_lshlrev_b32_e32 v16, 8, v21
	v_lshl_add_u32 v6, v6, 10, v48
	v_lshlrev_b32_e32 v15, 7, v26
	v_and_or_b32 v6, v16, s25, v6
	v_and_or_b32 v6, v15, s26, v6
	v_cvt_f32_f16_e32 v6, v6
.LBB290_655:                            ;   in Loop: Header=BB290_498 Depth=1
	s_or_b64 exec, exec, s[6:7]
	v_lshrrev_b16_e32 v0, 8, v0
	v_cmp_lt_i16_e64 s[0:1], s15, v0
	s_mov_b64 s[6:7], 0
                                        ; implicit-def: $sgpr30
	s_and_saveexec_b64 s[8:9], s[0:1]
	s_xor_b64 s[8:9], exec, s[8:9]
	s_cbranch_execnz .LBB290_885
; %bb.656:                              ;   in Loop: Header=BB290_498 Depth=1
	s_or_saveexec_b64 s[8:9], s[8:9]
	v_mov_b32_e32 v15, s30
	s_xor_b64 exec, exec, s[8:9]
	s_cbranch_execnz .LBB290_888
.LBB290_657:                            ;   in Loop: Header=BB290_498 Depth=1
	s_or_b64 exec, exec, s[8:9]
	s_and_saveexec_b64 s[8:9], s[6:7]
	s_cbranch_execz .LBB290_659
.LBB290_658:                            ;   in Loop: Header=BB290_498 Depth=1
	v_and_b32_e32 v15, 7, v0
	v_ffbh_u32_e32 v18, v15
	v_bfe_u32 v16, v0, 3, 4
	v_min_u32_e32 v18, 32, v18
	v_subrev_u32_e32 v20, 28, v18
	v_sub_u32_e32 v18, 29, v18
	v_cmp_eq_u32_e64 s[0:1], 0, v16
	v_lshlrev_b64 v[26:27], v20, v[0:1]
	v_and_b32_e32 v20, 7, v26
	v_cndmask_b32_e64 v16, v16, v18, s[0:1]
	v_lshlrev_b32_e32 v0, 8, v0
	v_lshl_add_u32 v16, v16, 10, v48
	v_cndmask_b32_e64 v15, v15, v20, s[0:1]
	v_and_or_b32 v0, v0, s25, v16
	v_lshl_or_b32 v0, v15, 7, v0
	v_cvt_f32_f16_e32 v15, v0
.LBB290_659:                            ;   in Loop: Header=BB290_498 Depth=1
	s_or_b64 exec, exec, s[8:9]
	v_lshrrev_b32_e32 v0, 16, v21
	v_cmp_gt_i16_sdwa s[6:7], v0, s15 src0_sel:BYTE_0 src1_sel:DWORD
	s_mov_b64 s[0:1], 0
                                        ; implicit-def: $sgpr10
	s_and_saveexec_b64 s[8:9], s[6:7]
	s_xor_b64 s[6:7], exec, s[8:9]
	s_cbranch_execnz .LBB290_889
; %bb.660:                              ;   in Loop: Header=BB290_498 Depth=1
	s_or_saveexec_b64 s[6:7], s[6:7]
	v_mov_b32_e32 v20, s10
	s_xor_b64 exec, exec, s[6:7]
	s_cbranch_execnz .LBB290_892
.LBB290_661:                            ;   in Loop: Header=BB290_498 Depth=1
	s_or_b64 exec, exec, s[6:7]
	s_and_saveexec_b64 s[6:7], s[0:1]
	s_cbranch_execz .LBB290_663
.LBB290_662:                            ;   in Loop: Header=BB290_498 Depth=1
	v_bfe_u32 v16, v21, 16, 3
	v_ffbh_u32_e32 v20, v16
	v_bfe_u32 v18, v21, 19, 4
	v_min_u32_e32 v20, 32, v20
	v_subrev_u32_e32 v22, 28, v20
	v_sub_u32_e32 v20, 29, v20
	v_cmp_eq_u32_e64 s[0:1], 0, v18
	v_lshlrev_b64 v[26:27], v22, v[0:1]
	v_and_b32_e32 v22, 7, v26
	v_cndmask_b32_e64 v18, v18, v20, s[0:1]
	v_lshlrev_b32_e32 v0, 8, v0
	v_lshl_add_u32 v18, v18, 10, v48
	v_cndmask_b32_e64 v16, v16, v22, s[0:1]
	v_and_or_b32 v0, v0, s25, v18
	v_lshl_or_b32 v0, v16, 7, v0
	v_cvt_f32_f16_e32 v20, v0
.LBB290_663:                            ;   in Loop: Header=BB290_498 Depth=1
	s_or_b64 exec, exec, s[6:7]
	v_lshrrev_b32_e32 v0, 24, v21
	v_cmp_lt_i16_e64 s[0:1], s15, v0
	s_mov_b64 s[6:7], 0
                                        ; implicit-def: $sgpr30
	s_and_saveexec_b64 s[8:9], s[0:1]
	s_xor_b64 s[8:9], exec, s[8:9]
	s_cbranch_execnz .LBB290_893
; %bb.664:                              ;   in Loop: Header=BB290_498 Depth=1
	s_or_saveexec_b64 s[8:9], s[8:9]
	v_mov_b32_e32 v22, s30
	s_xor_b64 exec, exec, s[8:9]
	s_cbranch_execnz .LBB290_896
.LBB290_665:                            ;   in Loop: Header=BB290_498 Depth=1
	s_or_b64 exec, exec, s[8:9]
	s_and_saveexec_b64 s[8:9], s[6:7]
	s_cbranch_execz .LBB290_667
.LBB290_666:                            ;   in Loop: Header=BB290_498 Depth=1
	v_bfe_u32 v16, v21, 24, 3
	v_bfe_u32 v18, v21, 27, 4
	v_ffbh_u32_e32 v21, v16
	v_min_u32_e32 v21, 32, v21
	v_subrev_u32_e32 v22, 28, v21
	v_sub_u32_e32 v21, 29, v21
	v_cmp_eq_u32_e64 s[0:1], 0, v18
	v_lshlrev_b64 v[26:27], v22, v[0:1]
	v_and_b32_e32 v22, 7, v26
	v_cndmask_b32_e64 v18, v18, v21, s[0:1]
	v_lshlrev_b32_e32 v0, 8, v0
	v_lshl_add_u32 v18, v18, 10, v48
	v_cndmask_b32_e64 v16, v16, v22, s[0:1]
	v_and_or_b32 v0, v0, s25, v18
	v_lshl_or_b32 v0, v16, 7, v0
	v_cvt_f32_f16_e32 v22, v0
.LBB290_667:                            ;   in Loop: Header=BB290_498 Depth=1
	s_or_b64 exec, exec, s[8:9]
	s_waitcnt vmcnt(0) lgkmcnt(0)
	v_pk_mul_f32 v[26:27], v[14:15], v[28:29] op_sel_hi:[0,1]
	v_pk_mul_f32 v[24:25], v[14:15], v[24:25] op_sel_hi:[0,1]
	v_cvt_f16_f32_e32 v0, v27
	v_cvt_f16_f32_e32 v16, v26
	;; [unrolled: 1-line block ×4, first 2 shown]
	v_fma_mixlo_f16 v15, v14, v15, 0
	v_lshlrev_b32_e32 v15, 16, v15
	v_fma_mixlo_f16 v6, v14, v6, 0
	v_or_b32_sdwa v6, v15, v6 dst_sel:DWORD dst_unused:UNUSED_PAD src0_sel:DWORD src1_sel:WORD_0
	v_fma_mixlo_f16 v15, v14, v20, 0
	v_fma_mixlo_f16 v14, v14, v22, 0
	v_pack_b32_f16 v16, v16, v0
	v_pack_b32_f16 v18, v21, v18
	v_lshlrev_b32_e32 v14, 16, v14
	v_perm_b32 v0, v18, v16, s27
	v_perm_b32 v21, v18, v16, s28
	v_or_b32_sdwa v14, v14, v15 dst_sel:DWORD dst_unused:UNUSED_PAD src0_sel:DWORD src1_sel:WORD_0
	s_and_saveexec_b64 s[6:7], vcc
	s_cbranch_execz .LBB290_669
; %bb.668:                              ;   in Loop: Header=BB290_498 Depth=1
	v_lshrrev_b32_e32 v16, 16, v21
	v_cmp_lt_i32_e64 s[0:1], v56, v3
	v_accvgpr_read_b32 v20, a8
	v_lshrrev_b32_e32 v14, 16, v14
	v_cndmask_b32_e64 v16, 0, v16, s[0:1]
	v_cmp_lt_i32_e64 s[0:1], v43, v20
	s_nop 1
	v_cndmask_b32_e64 v18, 0, v21, s[0:1]
	v_perm_b32 v21, v16, v18, s29
	v_lshrrev_b32_e32 v16, 16, v0
	v_cmp_lt_i32_e64 s[0:1], v47, v3
	s_nop 1
	v_cndmask_b32_e64 v16, 0, v16, s[0:1]
	v_cmp_lt_i32_e64 s[0:1], v46, v20
	s_nop 1
	v_cndmask_b32_e64 v0, 0, v0, s[0:1]
	v_perm_b32 v0, v16, v0, s29
	v_lshrrev_b32_e32 v16, 16, v6
	v_cmp_lt_i32_e64 s[0:1], v45, v3
	s_nop 1
	v_cndmask_b32_e64 v16, 0, v16, s[0:1]
	v_cmp_lt_i32_e64 s[0:1], v44, v20
	s_nop 1
	v_cndmask_b32_e64 v6, 0, v6, s[0:1]
	v_cmp_lt_i32_e64 s[0:1], v42, v3
	v_perm_b32 v6, v16, v6, s29
	s_nop 0
	v_cndmask_b32_e64 v14, 0, v14, s[0:1]
	v_cmp_lt_i32_e64 s[0:1], v49, v20
	s_nop 1
	v_cndmask_b32_e64 v15, 0, v15, s[0:1]
	v_perm_b32 v14, v14, v15, s29
.LBB290_669:                            ;   in Loop: Header=BB290_498 Depth=1
	s_or_b64 exec, exec, s[6:7]
	;;#ASMSTART
	v_pk_mul_f16 v15, v60, v21;

	;;#ASMEND
	;;#ASMSTART
	v_pk_mul_f16 v0, v59, v0;

	;;#ASMEND
	;; [unrolled: 4-line block ×4, first 2 shown]
	s_mov_b64 s[0:1], 0
	;;#ASMSTART
	v_pk_add_f16 v0, v15, v0;

	;;#ASMEND
                                        ; implicit-def: $sgpr10
	s_nop 0
	;;#ASMSTART
	v_pk_add_f16 v0, v0, v6;

	;;#ASMEND
	s_nop 0
	;;#ASMSTART
	v_pk_add_f16 v0, v0, v14;

	;;#ASMEND
	s_nop 0
	v_lshrrev_b32_e32 v14, 16, v0
	v_and_b32_e32 v0, 0xffff, v0
	;;#ASMSTART
	v_cvt_f32_f16 v6, v0;
	;;#ASMEND
	;;#ASMSTART
	v_cvt_f32_f16 v22, v14;
	;;#ASMEND
	v_accvgpr_read_b32 v15, a5
	flat_load_dwordx2 v[20:21], v[12:13] offset:2560
	v_accvgpr_read_b32 v14, a4
	flat_load_dword v14, v[14:15]
	s_waitcnt vmcnt(0) lgkmcnt(0)
	v_cmp_gt_i16_sdwa s[6:7], v20, s15 src0_sel:BYTE_0 src1_sel:DWORD
	s_and_saveexec_b64 s[8:9], s[6:7]
	s_xor_b64 s[6:7], exec, s[8:9]
	s_cbranch_execnz .LBB290_897
; %bb.670:                              ;   in Loop: Header=BB290_498 Depth=1
	s_or_saveexec_b64 s[6:7], s[6:7]
	v_mov_b32_e32 v24, s10
	s_xor_b64 exec, exec, s[6:7]
	s_cbranch_execnz .LBB290_900
.LBB290_671:                            ;   in Loop: Header=BB290_498 Depth=1
	s_or_b64 exec, exec, s[6:7]
	s_and_saveexec_b64 s[6:7], s[0:1]
	s_cbranch_execz .LBB290_673
.LBB290_672:                            ;   in Loop: Header=BB290_498 Depth=1
	v_and_b32_e32 v0, 7, v20
	v_ffbh_u32_e32 v0, v0
	v_bfe_u32 v15, v20, 3, 4
	v_min_u32_e32 v0, 32, v0
	v_subrev_u32_e32 v16, 28, v0
	v_sub_u32_e32 v0, 29, v0
	v_cmp_eq_u32_e64 s[0:1], 0, v15
	s_nop 1
	v_cndmask_b32_e64 v0, v15, v0, s[0:1]
	v_cndmask_b32_e64 v15, 0, v16, s[0:1]
	v_lshlrev_b64 v[24:25], v15, v[20:21]
	v_lshlrev_b32_e32 v16, 8, v20
	v_lshl_add_u32 v0, v0, 10, v48
	v_lshlrev_b32_e32 v15, 7, v24
	v_and_or_b32 v0, v16, s25, v0
	v_and_or_b32 v0, v15, s26, v0
	v_cvt_f32_f16_e32 v24, v0
.LBB290_673:                            ;   in Loop: Header=BB290_498 Depth=1
	s_or_b64 exec, exec, s[6:7]
	v_lshrrev_b16_e32 v0, 8, v20
	v_cmp_lt_i16_e64 s[0:1], s15, v0
	s_mov_b64 s[6:7], 0
                                        ; implicit-def: $sgpr30
	s_and_saveexec_b64 s[8:9], s[0:1]
	s_xor_b64 s[8:9], exec, s[8:9]
	s_cbranch_execnz .LBB290_901
; %bb.674:                              ;   in Loop: Header=BB290_498 Depth=1
	s_or_saveexec_b64 s[8:9], s[8:9]
	v_mov_b32_e32 v28, s30
	s_xor_b64 exec, exec, s[8:9]
	s_cbranch_execnz .LBB290_904
.LBB290_675:                            ;   in Loop: Header=BB290_498 Depth=1
	s_or_b64 exec, exec, s[8:9]
	s_and_saveexec_b64 s[8:9], s[6:7]
	s_cbranch_execz .LBB290_677
.LBB290_676:                            ;   in Loop: Header=BB290_498 Depth=1
	v_and_b32_e32 v15, 7, v0
	v_ffbh_u32_e32 v18, v15
	v_bfe_u32 v16, v0, 3, 4
	v_min_u32_e32 v18, 32, v18
	v_subrev_u32_e32 v23, 28, v18
	v_sub_u32_e32 v18, 29, v18
	v_cmp_eq_u32_e64 s[0:1], 0, v16
	v_lshlrev_b64 v[26:27], v23, v[0:1]
	v_and_b32_e32 v23, 7, v26
	v_cndmask_b32_e64 v16, v16, v18, s[0:1]
	v_lshlrev_b32_e32 v0, 8, v0
	v_lshl_add_u32 v16, v16, 10, v48
	v_cndmask_b32_e64 v15, v15, v23, s[0:1]
	v_and_or_b32 v0, v0, s25, v16
	v_lshl_or_b32 v0, v15, 7, v0
	v_cvt_f32_f16_e32 v28, v0
.LBB290_677:                            ;   in Loop: Header=BB290_498 Depth=1
	s_or_b64 exec, exec, s[8:9]
	v_lshrrev_b32_e32 v0, 16, v20
	v_cmp_gt_i16_sdwa s[6:7], v0, s15 src0_sel:BYTE_0 src1_sel:DWORD
	s_mov_b64 s[0:1], 0
                                        ; implicit-def: $sgpr10
	s_and_saveexec_b64 s[8:9], s[6:7]
	s_xor_b64 s[6:7], exec, s[8:9]
	s_cbranch_execnz .LBB290_905
; %bb.678:                              ;   in Loop: Header=BB290_498 Depth=1
	s_or_saveexec_b64 s[6:7], s[6:7]
	v_mov_b32_e32 v25, s10
	s_xor_b64 exec, exec, s[6:7]
	s_cbranch_execnz .LBB290_908
.LBB290_679:                            ;   in Loop: Header=BB290_498 Depth=1
	s_or_b64 exec, exec, s[6:7]
	s_and_saveexec_b64 s[6:7], s[0:1]
	s_cbranch_execz .LBB290_681
.LBB290_680:                            ;   in Loop: Header=BB290_498 Depth=1
	v_bfe_u32 v15, v20, 16, 3
	v_ffbh_u32_e32 v18, v15
	v_bfe_u32 v16, v20, 19, 4
	v_min_u32_e32 v18, 32, v18
	v_subrev_u32_e32 v23, 28, v18
	v_sub_u32_e32 v18, 29, v18
	v_cmp_eq_u32_e64 s[0:1], 0, v16
	v_lshlrev_b64 v[26:27], v23, v[0:1]
	v_and_b32_e32 v23, 7, v26
	v_cndmask_b32_e64 v16, v16, v18, s[0:1]
	v_lshlrev_b32_e32 v0, 8, v0
	v_lshl_add_u32 v16, v16, 10, v48
	v_cndmask_b32_e64 v15, v15, v23, s[0:1]
	v_and_or_b32 v0, v0, s25, v16
	v_lshl_or_b32 v0, v15, 7, v0
	v_cvt_f32_f16_e32 v25, v0
.LBB290_681:                            ;   in Loop: Header=BB290_498 Depth=1
	s_or_b64 exec, exec, s[6:7]
	v_lshrrev_b32_e32 v0, 24, v20
	v_cmp_lt_i16_e64 s[0:1], s15, v0
	s_mov_b64 s[6:7], 0
                                        ; implicit-def: $sgpr30
	s_and_saveexec_b64 s[8:9], s[0:1]
	s_xor_b64 s[8:9], exec, s[8:9]
	s_cbranch_execnz .LBB290_909
; %bb.682:                              ;   in Loop: Header=BB290_498 Depth=1
	s_or_saveexec_b64 s[8:9], s[8:9]
	v_mov_b32_e32 v29, s30
	s_xor_b64 exec, exec, s[8:9]
	s_cbranch_execnz .LBB290_912
.LBB290_683:                            ;   in Loop: Header=BB290_498 Depth=1
	s_or_b64 exec, exec, s[8:9]
	s_and_saveexec_b64 s[8:9], s[6:7]
	s_cbranch_execz .LBB290_685
.LBB290_684:                            ;   in Loop: Header=BB290_498 Depth=1
	v_bfe_u32 v15, v20, 24, 3
	v_ffbh_u32_e32 v18, v15
	v_bfe_u32 v16, v20, 27, 4
	v_min_u32_e32 v18, 32, v18
	v_subrev_u32_e32 v20, 28, v18
	v_sub_u32_e32 v18, 29, v18
	v_cmp_eq_u32_e64 s[0:1], 0, v16
	v_lshlrev_b64 v[26:27], v20, v[0:1]
	v_and_b32_e32 v20, 7, v26
	v_cndmask_b32_e64 v16, v16, v18, s[0:1]
	v_lshlrev_b32_e32 v0, 8, v0
	v_lshl_add_u32 v16, v16, 10, v48
	v_cndmask_b32_e64 v15, v15, v20, s[0:1]
	v_and_or_b32 v0, v0, s25, v16
	v_lshl_or_b32 v0, v15, 7, v0
	v_cvt_f32_f16_e32 v29, v0
.LBB290_685:                            ;   in Loop: Header=BB290_498 Depth=1
	s_or_b64 exec, exec, s[8:9]
	v_cmp_gt_i16_sdwa s[6:7], v21, s15 src0_sel:BYTE_0 src1_sel:DWORD
	s_mov_b64 s[0:1], 0
                                        ; implicit-def: $sgpr10
	s_and_saveexec_b64 s[8:9], s[6:7]
	s_xor_b64 s[6:7], exec, s[8:9]
	s_cbranch_execnz .LBB290_913
; %bb.686:                              ;   in Loop: Header=BB290_498 Depth=1
	s_or_saveexec_b64 s[6:7], s[6:7]
	v_mov_b32_e32 v15, s10
	s_xor_b64 exec, exec, s[6:7]
	s_cbranch_execnz .LBB290_916
.LBB290_687:                            ;   in Loop: Header=BB290_498 Depth=1
	s_or_b64 exec, exec, s[6:7]
	v_mov_b32_e32 v0, v21
	s_and_saveexec_b64 s[6:7], s[0:1]
	s_cbranch_execz .LBB290_689
.LBB290_688:                            ;   in Loop: Header=BB290_498 Depth=1
	v_and_b32_e32 v15, 7, v21
	v_ffbh_u32_e32 v15, v15
	v_bfe_u32 v16, v21, 3, 4
	v_min_u32_e32 v15, 32, v15
	v_subrev_u32_e32 v18, 28, v15
	v_sub_u32_e32 v15, 29, v15
	v_cmp_eq_u32_e64 s[0:1], 0, v16
	s_nop 1
	v_cndmask_b32_e64 v15, v16, v15, s[0:1]
	v_cndmask_b32_e64 v16, 0, v18, s[0:1]
	v_lshlrev_b64 v[26:27], v16, v[0:1]
	v_lshlrev_b32_e32 v18, 8, v21
	v_lshl_add_u32 v15, v15, 10, v48
	v_lshlrev_b32_e32 v16, 7, v26
	v_and_or_b32 v15, v18, s25, v15
	v_and_or_b32 v15, v16, s26, v15
	v_cvt_f32_f16_e32 v15, v15
.LBB290_689:                            ;   in Loop: Header=BB290_498 Depth=1
	s_or_b64 exec, exec, s[6:7]
	v_lshrrev_b16_e32 v0, 8, v0
	v_cmp_lt_i16_e64 s[0:1], s15, v0
	s_mov_b64 s[6:7], 0
                                        ; implicit-def: $sgpr30
	s_and_saveexec_b64 s[8:9], s[0:1]
	s_xor_b64 s[8:9], exec, s[8:9]
	s_cbranch_execnz .LBB290_917
; %bb.690:                              ;   in Loop: Header=BB290_498 Depth=1
	s_or_saveexec_b64 s[8:9], s[8:9]
	v_mov_b32_e32 v20, s30
	s_xor_b64 exec, exec, s[8:9]
	s_cbranch_execnz .LBB290_920
.LBB290_691:                            ;   in Loop: Header=BB290_498 Depth=1
	s_or_b64 exec, exec, s[8:9]
	s_and_saveexec_b64 s[8:9], s[6:7]
	s_cbranch_execz .LBB290_693
.LBB290_692:                            ;   in Loop: Header=BB290_498 Depth=1
	v_and_b32_e32 v16, 7, v0
	v_ffbh_u32_e32 v20, v16
	v_bfe_u32 v18, v0, 3, 4
	v_min_u32_e32 v20, 32, v20
	v_subrev_u32_e32 v23, 28, v20
	v_sub_u32_e32 v20, 29, v20
	v_cmp_eq_u32_e64 s[0:1], 0, v18
	v_lshlrev_b64 v[26:27], v23, v[0:1]
	v_and_b32_e32 v23, 7, v26
	v_cndmask_b32_e64 v18, v18, v20, s[0:1]
	v_lshlrev_b32_e32 v0, 8, v0
	v_lshl_add_u32 v18, v18, 10, v48
	v_cndmask_b32_e64 v16, v16, v23, s[0:1]
	v_and_or_b32 v0, v0, s25, v18
	v_lshl_or_b32 v0, v16, 7, v0
	v_cvt_f32_f16_e32 v20, v0
.LBB290_693:                            ;   in Loop: Header=BB290_498 Depth=1
	s_or_b64 exec, exec, s[8:9]
	v_lshrrev_b32_e32 v0, 16, v21
	v_cmp_gt_i16_sdwa s[6:7], v0, s15 src0_sel:BYTE_0 src1_sel:DWORD
	s_mov_b64 s[0:1], 0
                                        ; implicit-def: $sgpr10
	s_and_saveexec_b64 s[8:9], s[6:7]
	s_xor_b64 s[6:7], exec, s[8:9]
	s_cbranch_execnz .LBB290_921
; %bb.694:                              ;   in Loop: Header=BB290_498 Depth=1
	s_or_saveexec_b64 s[6:7], s[6:7]
	v_mov_b32_e32 v26, s10
	s_xor_b64 exec, exec, s[6:7]
	s_cbranch_execnz .LBB290_924
.LBB290_695:                            ;   in Loop: Header=BB290_498 Depth=1
	s_or_b64 exec, exec, s[6:7]
	s_and_saveexec_b64 s[6:7], s[0:1]
	s_cbranch_execz .LBB290_697
.LBB290_696:                            ;   in Loop: Header=BB290_498 Depth=1
	v_bfe_u32 v16, v21, 16, 3
	v_ffbh_u32_e32 v23, v16
	v_bfe_u32 v18, v21, 19, 4
	v_min_u32_e32 v23, 32, v23
	v_subrev_u32_e32 v26, 28, v23
	v_sub_u32_e32 v23, 29, v23
	v_cmp_eq_u32_e64 s[0:1], 0, v18
	v_lshlrev_b64 v[26:27], v26, v[0:1]
	v_and_b32_e32 v26, 7, v26
	v_cndmask_b32_e64 v18, v18, v23, s[0:1]
	v_lshlrev_b32_e32 v0, 8, v0
	v_lshl_add_u32 v18, v18, 10, v48
	v_cndmask_b32_e64 v16, v16, v26, s[0:1]
	v_and_or_b32 v0, v0, s25, v18
	v_lshl_or_b32 v0, v16, 7, v0
	v_cvt_f32_f16_e32 v26, v0
.LBB290_697:                            ;   in Loop: Header=BB290_498 Depth=1
	s_or_b64 exec, exec, s[6:7]
	v_lshrrev_b32_e32 v0, 24, v21
	v_cmp_lt_i16_e64 s[0:1], s15, v0
	s_mov_b64 s[6:7], 0
                                        ; implicit-def: $sgpr30
	s_and_saveexec_b64 s[8:9], s[0:1]
	s_xor_b64 s[8:9], exec, s[8:9]
	s_cbranch_execnz .LBB290_925
; %bb.698:                              ;   in Loop: Header=BB290_498 Depth=1
	s_or_saveexec_b64 s[8:9], s[8:9]
	v_mov_b32_e32 v27, s30
	s_xor_b64 exec, exec, s[8:9]
	s_cbranch_execnz .LBB290_928
.LBB290_699:                            ;   in Loop: Header=BB290_498 Depth=1
	s_or_b64 exec, exec, s[8:9]
	s_and_saveexec_b64 s[8:9], s[6:7]
	s_cbranch_execz .LBB290_701
.LBB290_700:                            ;   in Loop: Header=BB290_498 Depth=1
	v_bfe_u32 v16, v21, 24, 3
	v_bfe_u32 v18, v21, 27, 4
	v_ffbh_u32_e32 v21, v16
	v_min_u32_e32 v21, 32, v21
	v_subrev_u32_e32 v23, 28, v21
	v_sub_u32_e32 v21, 29, v21
	v_cmp_eq_u32_e64 s[0:1], 0, v18
	v_lshlrev_b64 v[52:53], v23, v[0:1]
	v_and_b32_e32 v23, 7, v52
	v_cndmask_b32_e64 v18, v18, v21, s[0:1]
	v_lshlrev_b32_e32 v0, 8, v0
	v_lshl_add_u32 v18, v18, 10, v48
	v_cndmask_b32_e64 v16, v16, v23, s[0:1]
	v_and_or_b32 v0, v0, s25, v18
	v_lshl_or_b32 v0, v16, 7, v0
	v_cvt_f32_f16_e32 v27, v0
.LBB290_701:                            ;   in Loop: Header=BB290_498 Depth=1
	s_or_b64 exec, exec, s[8:9]
	v_pk_mul_f32 v[28:29], v[14:15], v[28:29] op_sel_hi:[0,1]
	v_pk_mul_f32 v[24:25], v[14:15], v[24:25] op_sel_hi:[0,1]
	v_cvt_f16_f32_e32 v0, v29
	v_cvt_f16_f32_e32 v16, v28
	;; [unrolled: 1-line block ×4, first 2 shown]
	v_fma_mixlo_f16 v15, v14, v15, 0
	v_pack_b32_f16 v16, v16, v0
	v_pack_b32_f16 v18, v21, v18
	v_perm_b32 v0, v18, v16, s27
	v_perm_b32 v21, v18, v16, s28
	v_fma_mixlo_f16 v16, v14, v20, 0
	v_fma_mixlo_f16 v20, v14, v26, 0
	;; [unrolled: 1-line block ×3, first 2 shown]
	v_lshlrev_b32_e32 v16, 16, v16
	v_lshlrev_b32_e32 v14, 16, v14
	v_or_b32_sdwa v15, v16, v15 dst_sel:DWORD dst_unused:UNUSED_PAD src0_sel:DWORD src1_sel:WORD_0
	v_or_b32_sdwa v14, v14, v20 dst_sel:DWORD dst_unused:UNUSED_PAD src0_sel:DWORD src1_sel:WORD_0
	s_and_saveexec_b64 s[6:7], vcc
	s_cbranch_execz .LBB290_703
; %bb.702:                              ;   in Loop: Header=BB290_498 Depth=1
	v_lshrrev_b32_e32 v16, 16, v21
	v_cmp_lt_i32_e64 s[0:1], v56, v3
	v_accvgpr_read_b32 v24, a8
	v_lshrrev_b32_e32 v14, 16, v14
	v_cndmask_b32_e64 v16, 0, v16, s[0:1]
	v_cmp_lt_i32_e64 s[0:1], v43, v24
	s_nop 1
	v_cndmask_b32_e64 v18, 0, v21, s[0:1]
	v_perm_b32 v21, v16, v18, s29
	v_lshrrev_b32_e32 v16, 16, v0
	v_cmp_lt_i32_e64 s[0:1], v47, v3
	s_nop 1
	v_cndmask_b32_e64 v16, 0, v16, s[0:1]
	v_cmp_lt_i32_e64 s[0:1], v46, v24
	s_nop 1
	v_cndmask_b32_e64 v0, 0, v0, s[0:1]
	v_perm_b32 v0, v16, v0, s29
	v_lshrrev_b32_e32 v16, 16, v15
	v_cmp_lt_i32_e64 s[0:1], v45, v3
	s_nop 1
	v_cndmask_b32_e64 v16, 0, v16, s[0:1]
	v_cmp_lt_i32_e64 s[0:1], v44, v24
	s_nop 1
	v_cndmask_b32_e64 v15, 0, v15, s[0:1]
	v_cmp_lt_i32_e64 s[0:1], v42, v3
	v_perm_b32 v15, v16, v15, s29
	s_nop 0
	v_cndmask_b32_e64 v14, 0, v14, s[0:1]
	v_cmp_lt_i32_e64 s[0:1], v49, v24
	s_nop 1
	v_cndmask_b32_e64 v16, 0, v20, s[0:1]
	v_perm_b32 v14, v14, v16, s29
.LBB290_703:                            ;   in Loop: Header=BB290_498 Depth=1
	s_or_b64 exec, exec, s[6:7]
	;;#ASMSTART
	v_pk_mul_f16 v16, v60, v21;

	;;#ASMEND
	;;#ASMSTART
	v_pk_mul_f16 v0, v59, v0;

	;;#ASMEND
	;; [unrolled: 4-line block ×4, first 2 shown]
	s_mov_b64 s[0:1], 0
	;;#ASMSTART
	v_pk_add_f16 v0, v16, v0;

	;;#ASMEND
                                        ; implicit-def: $sgpr10
	s_nop 0
	;;#ASMSTART
	v_pk_add_f16 v0, v0, v15;

	;;#ASMEND
	s_nop 0
	;;#ASMSTART
	v_pk_add_f16 v0, v0, v14;

	;;#ASMEND
	s_nop 0
	v_lshrrev_b32_e32 v14, 16, v0
	v_and_b32_e32 v0, 0xffff, v0
	;;#ASMSTART
	v_cvt_f32_f16 v26, v0;
	;;#ASMEND
	;;#ASMSTART
	v_cvt_f32_f16 v27, v14;
	;;#ASMEND
	flat_load_dwordx2 v[14:15], v[12:13] offset:3072
	v_accvgpr_read_b32 v13, a5
	v_accvgpr_read_b32 v12, a4
	flat_load_dword v12, v[12:13]
	s_waitcnt vmcnt(0) lgkmcnt(0)
	v_cmp_gt_i16_sdwa s[6:7], v14, s15 src0_sel:BYTE_0 src1_sel:DWORD
	s_and_saveexec_b64 s[8:9], s[6:7]
	s_xor_b64 s[6:7], exec, s[8:9]
	s_cbranch_execnz .LBB290_929
; %bb.704:                              ;   in Loop: Header=BB290_498 Depth=1
	s_or_saveexec_b64 s[6:7], s[6:7]
	v_mov_b32_e32 v20, s10
	s_xor_b64 exec, exec, s[6:7]
	s_cbranch_execnz .LBB290_932
.LBB290_705:                            ;   in Loop: Header=BB290_498 Depth=1
	s_or_b64 exec, exec, s[6:7]
	s_and_saveexec_b64 s[6:7], s[0:1]
	s_cbranch_execz .LBB290_707
.LBB290_706:                            ;   in Loop: Header=BB290_498 Depth=1
	v_and_b32_e32 v0, 7, v14
	v_ffbh_u32_e32 v0, v0
	v_bfe_u32 v13, v14, 3, 4
	v_min_u32_e32 v0, 32, v0
	v_subrev_u32_e32 v16, 28, v0
	v_sub_u32_e32 v0, 29, v0
	v_cmp_eq_u32_e64 s[0:1], 0, v13
	s_nop 1
	v_cndmask_b32_e64 v0, v13, v0, s[0:1]
	v_cndmask_b32_e64 v13, 0, v16, s[0:1]
	v_lshlrev_b64 v[20:21], v13, v[14:15]
	v_lshlrev_b32_e32 v16, 8, v14
	v_lshl_add_u32 v0, v0, 10, v48
	v_lshlrev_b32_e32 v13, 7, v20
	v_and_or_b32 v0, v16, s25, v0
	v_and_or_b32 v0, v13, s26, v0
	v_cvt_f32_f16_e32 v20, v0
.LBB290_707:                            ;   in Loop: Header=BB290_498 Depth=1
	s_or_b64 exec, exec, s[6:7]
	v_lshrrev_b16_e32 v0, 8, v14
	v_cmp_lt_i16_e64 s[0:1], s15, v0
	s_mov_b64 s[6:7], 0
                                        ; implicit-def: $sgpr30
	s_and_saveexec_b64 s[8:9], s[0:1]
	s_xor_b64 s[8:9], exec, s[8:9]
	s_cbranch_execnz .LBB290_933
; %bb.708:                              ;   in Loop: Header=BB290_498 Depth=1
	s_or_saveexec_b64 s[8:9], s[8:9]
	v_mov_b32_e32 v24, s30
	s_xor_b64 exec, exec, s[8:9]
	s_cbranch_execnz .LBB290_936
.LBB290_709:                            ;   in Loop: Header=BB290_498 Depth=1
	s_or_b64 exec, exec, s[8:9]
	s_and_saveexec_b64 s[8:9], s[6:7]
	s_cbranch_execz .LBB290_711
.LBB290_710:                            ;   in Loop: Header=BB290_498 Depth=1
	v_and_b32_e32 v13, 7, v0
	v_ffbh_u32_e32 v18, v13
	v_bfe_u32 v16, v0, 3, 4
	v_min_u32_e32 v18, 32, v18
	v_subrev_u32_e32 v21, 28, v18
	v_sub_u32_e32 v18, 29, v18
	v_cmp_eq_u32_e64 s[0:1], 0, v16
	v_lshlrev_b64 v[24:25], v21, v[0:1]
	v_and_b32_e32 v21, 7, v24
	v_cndmask_b32_e64 v16, v16, v18, s[0:1]
	v_lshlrev_b32_e32 v0, 8, v0
	v_lshl_add_u32 v16, v16, 10, v48
	v_cndmask_b32_e64 v13, v13, v21, s[0:1]
	v_and_or_b32 v0, v0, s25, v16
	v_lshl_or_b32 v0, v13, 7, v0
	v_cvt_f32_f16_e32 v24, v0
.LBB290_711:                            ;   in Loop: Header=BB290_498 Depth=1
	s_or_b64 exec, exec, s[8:9]
	v_lshrrev_b32_e32 v0, 16, v14
	v_cmp_gt_i16_sdwa s[6:7], v0, s15 src0_sel:BYTE_0 src1_sel:DWORD
	s_mov_b64 s[0:1], 0
                                        ; implicit-def: $sgpr10
	s_and_saveexec_b64 s[8:9], s[6:7]
	s_xor_b64 s[6:7], exec, s[8:9]
	s_cbranch_execnz .LBB290_937
; %bb.712:                              ;   in Loop: Header=BB290_498 Depth=1
	s_or_saveexec_b64 s[6:7], s[6:7]
	v_mov_b32_e32 v21, s10
	s_xor_b64 exec, exec, s[6:7]
	s_cbranch_execnz .LBB290_940
.LBB290_713:                            ;   in Loop: Header=BB290_498 Depth=1
	s_or_b64 exec, exec, s[6:7]
	s_and_saveexec_b64 s[6:7], s[0:1]
	s_cbranch_execz .LBB290_715
.LBB290_714:                            ;   in Loop: Header=BB290_498 Depth=1
	v_bfe_u32 v13, v14, 16, 3
	v_ffbh_u32_e32 v18, v13
	v_bfe_u32 v16, v14, 19, 4
	v_min_u32_e32 v18, 32, v18
	v_subrev_u32_e32 v21, 28, v18
	v_sub_u32_e32 v18, 29, v18
	v_cmp_eq_u32_e64 s[0:1], 0, v16
	v_lshlrev_b64 v[28:29], v21, v[0:1]
	v_and_b32_e32 v21, 7, v28
	v_cndmask_b32_e64 v16, v16, v18, s[0:1]
	v_lshlrev_b32_e32 v0, 8, v0
	v_lshl_add_u32 v16, v16, 10, v48
	v_cndmask_b32_e64 v13, v13, v21, s[0:1]
	v_and_or_b32 v0, v0, s25, v16
	v_lshl_or_b32 v0, v13, 7, v0
	v_cvt_f32_f16_e32 v21, v0
.LBB290_715:                            ;   in Loop: Header=BB290_498 Depth=1
	s_or_b64 exec, exec, s[6:7]
	v_lshrrev_b32_e32 v0, 24, v14
	v_cmp_lt_i16_e64 s[0:1], s15, v0
	s_mov_b64 s[6:7], 0
                                        ; implicit-def: $sgpr30
	s_and_saveexec_b64 s[8:9], s[0:1]
	s_xor_b64 s[8:9], exec, s[8:9]
	s_cbranch_execnz .LBB290_941
; %bb.716:                              ;   in Loop: Header=BB290_498 Depth=1
	s_or_saveexec_b64 s[8:9], s[8:9]
	v_mov_b32_e32 v25, s30
	s_xor_b64 exec, exec, s[8:9]
	s_cbranch_execnz .LBB290_944
.LBB290_717:                            ;   in Loop: Header=BB290_498 Depth=1
	s_or_b64 exec, exec, s[8:9]
	s_and_saveexec_b64 s[8:9], s[6:7]
	s_cbranch_execz .LBB290_719
.LBB290_718:                            ;   in Loop: Header=BB290_498 Depth=1
	v_bfe_u32 v13, v14, 24, 3
	v_ffbh_u32_e32 v16, v13
	v_bfe_u32 v14, v14, 27, 4
	v_min_u32_e32 v16, 32, v16
	v_subrev_u32_e32 v18, 28, v16
	v_sub_u32_e32 v16, 29, v16
	v_cmp_eq_u32_e64 s[0:1], 0, v14
	v_lshlrev_b64 v[28:29], v18, v[0:1]
	v_and_b32_e32 v18, 7, v28
	v_cndmask_b32_e64 v14, v14, v16, s[0:1]
	v_lshlrev_b32_e32 v0, 8, v0
	v_lshl_add_u32 v14, v14, 10, v48
	v_cndmask_b32_e64 v13, v13, v18, s[0:1]
	v_and_or_b32 v0, v0, s25, v14
	v_lshl_or_b32 v0, v13, 7, v0
	v_cvt_f32_f16_e32 v25, v0
.LBB290_719:                            ;   in Loop: Header=BB290_498 Depth=1
	s_or_b64 exec, exec, s[8:9]
	v_cmp_gt_i16_sdwa s[6:7], v15, s15 src0_sel:BYTE_0 src1_sel:DWORD
	s_mov_b64 s[0:1], 0
                                        ; implicit-def: $sgpr10
	s_and_saveexec_b64 s[8:9], s[6:7]
	s_xor_b64 s[6:7], exec, s[8:9]
	s_cbranch_execnz .LBB290_945
; %bb.720:                              ;   in Loop: Header=BB290_498 Depth=1
	s_or_saveexec_b64 s[6:7], s[6:7]
	v_mov_b32_e32 v13, s10
	s_xor_b64 exec, exec, s[6:7]
	s_cbranch_execnz .LBB290_948
.LBB290_721:                            ;   in Loop: Header=BB290_498 Depth=1
	s_or_b64 exec, exec, s[6:7]
	v_mov_b32_e32 v0, v15
	s_and_saveexec_b64 s[6:7], s[0:1]
	s_cbranch_execz .LBB290_723
.LBB290_722:                            ;   in Loop: Header=BB290_498 Depth=1
	v_and_b32_e32 v13, 7, v15
	v_ffbh_u32_e32 v13, v13
	v_bfe_u32 v14, v15, 3, 4
	v_min_u32_e32 v13, 32, v13
	v_subrev_u32_e32 v16, 28, v13
	v_sub_u32_e32 v13, 29, v13
	v_cmp_eq_u32_e64 s[0:1], 0, v14
	s_nop 1
	v_cndmask_b32_e64 v13, v14, v13, s[0:1]
	v_cndmask_b32_e64 v14, 0, v16, s[0:1]
	v_lshlrev_b64 v[28:29], v14, v[0:1]
	v_lshlrev_b32_e32 v16, 8, v15
	v_lshl_add_u32 v13, v13, 10, v48
	v_lshlrev_b32_e32 v14, 7, v28
	v_and_or_b32 v13, v16, s25, v13
	v_and_or_b32 v13, v14, s26, v13
	v_cvt_f32_f16_e32 v13, v13
.LBB290_723:                            ;   in Loop: Header=BB290_498 Depth=1
	s_or_b64 exec, exec, s[6:7]
	v_lshrrev_b16_e32 v0, 8, v0
	v_cmp_lt_i16_e64 s[0:1], s15, v0
	s_mov_b64 s[6:7], 0
                                        ; implicit-def: $sgpr30
	s_and_saveexec_b64 s[8:9], s[0:1]
	s_xor_b64 s[8:9], exec, s[8:9]
	s_cbranch_execnz .LBB290_949
; %bb.724:                              ;   in Loop: Header=BB290_498 Depth=1
	s_or_saveexec_b64 s[8:9], s[8:9]
	v_mov_b32_e32 v14, s30
	s_xor_b64 exec, exec, s[8:9]
	s_cbranch_execnz .LBB290_952
.LBB290_725:                            ;   in Loop: Header=BB290_498 Depth=1
	s_or_b64 exec, exec, s[8:9]
	s_and_saveexec_b64 s[8:9], s[6:7]
	s_cbranch_execz .LBB290_727
.LBB290_726:                            ;   in Loop: Header=BB290_498 Depth=1
	v_and_b32_e32 v14, 7, v0
	v_ffbh_u32_e32 v18, v14
	v_bfe_u32 v16, v0, 3, 4
	v_min_u32_e32 v18, 32, v18
	v_subrev_u32_e32 v23, 28, v18
	v_sub_u32_e32 v18, 29, v18
	v_cmp_eq_u32_e64 s[0:1], 0, v16
	v_lshlrev_b64 v[28:29], v23, v[0:1]
	v_and_b32_e32 v23, 7, v28
	v_cndmask_b32_e64 v16, v16, v18, s[0:1]
	v_lshlrev_b32_e32 v0, 8, v0
	v_lshl_add_u32 v16, v16, 10, v48
	v_cndmask_b32_e64 v14, v14, v23, s[0:1]
	v_and_or_b32 v0, v0, s25, v16
	v_lshl_or_b32 v0, v14, 7, v0
	v_cvt_f32_f16_e32 v14, v0
.LBB290_727:                            ;   in Loop: Header=BB290_498 Depth=1
	s_or_b64 exec, exec, s[8:9]
	v_lshrrev_b32_e32 v0, 16, v15
	v_cmp_gt_i16_sdwa s[6:7], v0, s15 src0_sel:BYTE_0 src1_sel:DWORD
	s_mov_b64 s[0:1], 0
                                        ; implicit-def: $sgpr10
	s_and_saveexec_b64 s[8:9], s[6:7]
	s_xor_b64 s[6:7], exec, s[8:9]
	s_cbranch_execnz .LBB290_953
; %bb.728:                              ;   in Loop: Header=BB290_498 Depth=1
	s_or_saveexec_b64 s[6:7], s[6:7]
	v_mov_b32_e32 v28, s10
	s_xor_b64 exec, exec, s[6:7]
	s_cbranch_execnz .LBB290_956
.LBB290_729:                            ;   in Loop: Header=BB290_498 Depth=1
	s_or_b64 exec, exec, s[6:7]
	s_and_saveexec_b64 s[6:7], s[0:1]
	s_cbranch_execz .LBB290_731
.LBB290_730:                            ;   in Loop: Header=BB290_498 Depth=1
	v_bfe_u32 v16, v15, 16, 3
	v_ffbh_u32_e32 v23, v16
	v_bfe_u32 v18, v15, 19, 4
	v_min_u32_e32 v23, 32, v23
	v_subrev_u32_e32 v28, 28, v23
	v_sub_u32_e32 v23, 29, v23
	v_cmp_eq_u32_e64 s[0:1], 0, v18
	v_lshlrev_b64 v[28:29], v28, v[0:1]
	v_and_b32_e32 v28, 7, v28
	v_cndmask_b32_e64 v18, v18, v23, s[0:1]
	v_lshlrev_b32_e32 v0, 8, v0
	v_lshl_add_u32 v18, v18, 10, v48
	v_cndmask_b32_e64 v16, v16, v28, s[0:1]
	v_and_or_b32 v0, v0, s25, v18
	v_lshl_or_b32 v0, v16, 7, v0
	v_cvt_f32_f16_e32 v28, v0
.LBB290_731:                            ;   in Loop: Header=BB290_498 Depth=1
	s_or_b64 exec, exec, s[6:7]
	v_lshrrev_b32_e32 v0, 24, v15
	v_cmp_lt_i16_e64 s[0:1], s15, v0
	s_mov_b64 s[6:7], 0
                                        ; implicit-def: $sgpr30
	s_and_saveexec_b64 s[8:9], s[0:1]
	s_xor_b64 s[8:9], exec, s[8:9]
	s_cbranch_execnz .LBB290_957
; %bb.732:                              ;   in Loop: Header=BB290_498 Depth=1
	s_or_saveexec_b64 s[8:9], s[8:9]
	v_mov_b32_e32 v29, s30
	s_xor_b64 exec, exec, s[8:9]
	s_cbranch_execnz .LBB290_960
.LBB290_733:                            ;   in Loop: Header=BB290_498 Depth=1
	s_or_b64 exec, exec, s[8:9]
	s_and_saveexec_b64 s[8:9], s[6:7]
	s_cbranch_execz .LBB290_735
.LBB290_734:                            ;   in Loop: Header=BB290_498 Depth=1
	v_bfe_u32 v16, v15, 24, 3
	v_ffbh_u32_e32 v18, v16
	v_bfe_u32 v15, v15, 27, 4
	v_min_u32_e32 v18, 32, v18
	v_subrev_u32_e32 v23, 28, v18
	v_sub_u32_e32 v18, 29, v18
	v_cmp_eq_u32_e64 s[0:1], 0, v15
	v_lshlrev_b64 v[52:53], v23, v[0:1]
	v_and_b32_e32 v23, 7, v52
	v_cndmask_b32_e64 v15, v15, v18, s[0:1]
	v_lshlrev_b32_e32 v0, 8, v0
	v_lshl_add_u32 v15, v15, 10, v48
	v_cndmask_b32_e64 v16, v16, v23, s[0:1]
	v_and_or_b32 v0, v0, s25, v15
	v_lshl_or_b32 v0, v16, 7, v0
	v_cvt_f32_f16_e32 v29, v0
.LBB290_735:                            ;   in Loop: Header=BB290_498 Depth=1
	s_or_b64 exec, exec, s[8:9]
	v_pk_mul_f32 v[24:25], v[12:13], v[24:25] op_sel_hi:[0,1]
	v_pk_mul_f32 v[20:21], v[12:13], v[20:21] op_sel_hi:[0,1]
	v_cvt_f16_f32_e32 v0, v25
	v_cvt_f16_f32_e32 v15, v24
	;; [unrolled: 1-line block ×4, first 2 shown]
	v_fma_mixlo_f16 v14, v12, v14, 0
	v_lshlrev_b32_e32 v14, 16, v14
	v_fma_mixlo_f16 v13, v12, v13, 0
	v_or_b32_sdwa v13, v14, v13 dst_sel:DWORD dst_unused:UNUSED_PAD src0_sel:DWORD src1_sel:WORD_0
	v_fma_mixlo_f16 v14, v12, v28, 0
	v_fma_mixlo_f16 v12, v12, v29, 0
	v_pack_b32_f16 v15, v15, v0
	v_pack_b32_f16 v16, v18, v16
	v_lshlrev_b32_e32 v12, 16, v12
	v_perm_b32 v0, v16, v15, s27
	v_perm_b32 v15, v16, v15, s28
	v_or_b32_sdwa v12, v12, v14 dst_sel:DWORD dst_unused:UNUSED_PAD src0_sel:DWORD src1_sel:WORD_0
	s_and_saveexec_b64 s[0:1], vcc
	s_cbranch_execz .LBB290_496
; %bb.736:                              ;   in Loop: Header=BB290_498 Depth=1
	v_lshrrev_b32_e32 v16, 16, v15
	v_cmp_lt_i32_e32 vcc, v56, v3
	v_accvgpr_read_b32 v18, a8
	v_lshrrev_b32_e32 v12, 16, v12
	v_cndmask_b32_e32 v16, 0, v16, vcc
	v_cmp_lt_i32_e32 vcc, v43, v18
	s_nop 1
	v_cndmask_b32_e32 v15, 0, v15, vcc
	v_perm_b32 v15, v16, v15, s29
	v_lshrrev_b32_e32 v16, 16, v0
	v_cmp_lt_i32_e32 vcc, v47, v3
	s_nop 1
	v_cndmask_b32_e32 v16, 0, v16, vcc
	v_cmp_lt_i32_e32 vcc, v46, v18
	s_nop 1
	v_cndmask_b32_e32 v0, 0, v0, vcc
	v_perm_b32 v0, v16, v0, s29
	v_lshrrev_b32_e32 v16, 16, v13
	v_cmp_lt_i32_e32 vcc, v45, v3
	s_nop 1
	v_cndmask_b32_e32 v16, 0, v16, vcc
	v_cmp_lt_i32_e32 vcc, v44, v18
	s_nop 1
	v_cndmask_b32_e32 v13, 0, v13, vcc
	v_cmp_lt_i32_e32 vcc, v42, v3
	v_perm_b32 v13, v16, v13, s29
	s_nop 0
	v_cndmask_b32_e32 v12, 0, v12, vcc
	v_cmp_lt_i32_e32 vcc, v49, v18
	s_nop 1
	v_cndmask_b32_e32 v14, 0, v14, vcc
	v_perm_b32 v12, v12, v14, s29
	s_branch .LBB290_496
.LBB290_737:                            ;   in Loop: Header=BB290_498 Depth=1
	v_cmp_eq_u16_sdwa vcc, v20, s24 src0_sel:BYTE_0 src1_sel:DWORD
	s_mov_b64 s[0:1], -1
                                        ; implicit-def: $sgpr10
	s_and_saveexec_b64 s[8:9], vcc
; %bb.738:                              ;   in Loop: Header=BB290_498 Depth=1
	s_mov_b32 s10, 0x7fc02000
	s_xor_b64 s[0:1], exec, -1
; %bb.739:                              ;   in Loop: Header=BB290_498 Depth=1
	s_or_b64 exec, exec, s[8:9]
	s_and_b64 s[0:1], s[0:1], exec
	s_or_saveexec_b64 s[6:7], s[6:7]
	v_mov_b32_e32 v24, s10
	s_xor_b64 exec, exec, s[6:7]
	s_cbranch_execz .LBB290_501
.LBB290_740:                            ;   in Loop: Header=BB290_498 Depth=1
	v_cmp_ne_u16_sdwa s[8:9], v20, v1 src0_sel:BYTE_0 src1_sel:DWORD
	s_andn2_b64 s[0:1], s[0:1], exec
	s_and_b64 s[8:9], s[8:9], exec
	v_mov_b32_e32 v24, 0
	s_or_b64 s[0:1], s[0:1], s[8:9]
	s_or_b64 exec, exec, s[6:7]
	s_and_saveexec_b64 s[6:7], s[0:1]
	s_cbranch_execnz .LBB290_502
	s_branch .LBB290_503
.LBB290_741:                            ;   in Loop: Header=BB290_498 Depth=1
	v_cmp_eq_u16_e32 vcc, s24, v0
	s_mov_b64 s[0:1], -1
                                        ; implicit-def: $sgpr10
	s_and_saveexec_b64 s[8:9], vcc
; %bb.742:                              ;   in Loop: Header=BB290_498 Depth=1
	s_mov_b32 s10, 0x7fc02000
	s_xor_b64 s[0:1], exec, -1
; %bb.743:                              ;   in Loop: Header=BB290_498 Depth=1
	s_or_b64 exec, exec, s[8:9]
	s_and_b64 s[0:1], s[0:1], exec
	s_or_saveexec_b64 s[6:7], s[6:7]
	v_mov_b32_e32 v28, s10
	s_xor_b64 exec, exec, s[6:7]
	s_cbranch_execz .LBB290_505
.LBB290_744:                            ;   in Loop: Header=BB290_498 Depth=1
	v_cmp_ne_u16_e32 vcc, 0, v0
	s_andn2_b64 s[0:1], s[0:1], exec
	s_and_b64 s[8:9], vcc, exec
	v_mov_b32_e32 v28, 0
	s_or_b64 s[0:1], s[0:1], s[8:9]
	s_or_b64 exec, exec, s[6:7]
	s_and_saveexec_b64 s[6:7], s[0:1]
	s_cbranch_execnz .LBB290_506
	s_branch .LBB290_507
.LBB290_745:                            ;   in Loop: Header=BB290_498 Depth=1
	v_cmp_eq_u16_sdwa vcc, v0, s24 src0_sel:BYTE_0 src1_sel:DWORD
	s_mov_b64 s[0:1], -1
                                        ; implicit-def: $sgpr10
	s_and_saveexec_b64 s[8:9], vcc
; %bb.746:                              ;   in Loop: Header=BB290_498 Depth=1
	s_mov_b32 s10, 0x7fc02000
	s_xor_b64 s[0:1], exec, -1
; %bb.747:                              ;   in Loop: Header=BB290_498 Depth=1
	s_or_b64 exec, exec, s[8:9]
	s_and_b64 s[0:1], s[0:1], exec
	s_or_saveexec_b64 s[6:7], s[6:7]
	v_mov_b32_e32 v25, s10
	s_xor_b64 exec, exec, s[6:7]
	s_cbranch_execz .LBB290_509
.LBB290_748:                            ;   in Loop: Header=BB290_498 Depth=1
	v_cmp_ne_u16_sdwa s[8:9], v0, v1 src0_sel:BYTE_0 src1_sel:DWORD
	s_andn2_b64 s[0:1], s[0:1], exec
	s_and_b64 s[8:9], s[8:9], exec
	v_mov_b32_e32 v25, 0
	s_or_b64 s[0:1], s[0:1], s[8:9]
	s_or_b64 exec, exec, s[6:7]
	s_and_saveexec_b64 s[6:7], s[0:1]
	s_cbranch_execnz .LBB290_510
	s_branch .LBB290_511
.LBB290_749:                            ;   in Loop: Header=BB290_498 Depth=1
	v_cmp_eq_u16_e32 vcc, s24, v0
	s_mov_b64 s[0:1], -1
                                        ; implicit-def: $sgpr10
	s_and_saveexec_b64 s[8:9], vcc
; %bb.750:                              ;   in Loop: Header=BB290_498 Depth=1
	s_mov_b32 s10, 0x7fc02000
	s_xor_b64 s[0:1], exec, -1
; %bb.751:                              ;   in Loop: Header=BB290_498 Depth=1
	s_or_b64 exec, exec, s[8:9]
	s_and_b64 s[0:1], s[0:1], exec
	s_or_saveexec_b64 s[6:7], s[6:7]
	v_mov_b32_e32 v29, s10
	s_xor_b64 exec, exec, s[6:7]
	s_cbranch_execz .LBB290_513
.LBB290_752:                            ;   in Loop: Header=BB290_498 Depth=1
	v_cmp_ne_u16_e32 vcc, 0, v0
	s_andn2_b64 s[0:1], s[0:1], exec
	s_and_b64 s[8:9], vcc, exec
	v_mov_b32_e32 v29, 0
	s_or_b64 s[0:1], s[0:1], s[8:9]
	s_or_b64 exec, exec, s[6:7]
	s_and_saveexec_b64 s[6:7], s[0:1]
	s_cbranch_execnz .LBB290_514
	s_branch .LBB290_515
.LBB290_753:                            ;   in Loop: Header=BB290_498 Depth=1
	v_cmp_eq_u16_sdwa vcc, v21, s24 src0_sel:BYTE_0 src1_sel:DWORD
	s_mov_b64 s[0:1], -1
                                        ; implicit-def: $sgpr10
	s_and_saveexec_b64 s[8:9], vcc
; %bb.754:                              ;   in Loop: Header=BB290_498 Depth=1
	s_mov_b32 s10, 0x7fc02000
	s_xor_b64 s[0:1], exec, -1
; %bb.755:                              ;   in Loop: Header=BB290_498 Depth=1
	s_or_b64 exec, exec, s[8:9]
	s_and_b64 s[0:1], s[0:1], exec
	s_or_saveexec_b64 s[6:7], s[6:7]
	v_mov_b32_e32 v20, s10
	s_xor_b64 exec, exec, s[6:7]
	s_cbranch_execz .LBB290_517
.LBB290_756:                            ;   in Loop: Header=BB290_498 Depth=1
	v_cmp_ne_u16_sdwa s[8:9], v21, v1 src0_sel:BYTE_0 src1_sel:DWORD
	s_andn2_b64 s[0:1], s[0:1], exec
	s_and_b64 s[8:9], s[8:9], exec
	v_mov_b32_e32 v20, 0
	s_or_b64 s[0:1], s[0:1], s[8:9]
	s_or_b64 exec, exec, s[6:7]
	v_mov_b32_e32 v0, v21
	s_and_saveexec_b64 s[6:7], s[0:1]
	s_cbranch_execnz .LBB290_518
	s_branch .LBB290_519
.LBB290_757:                            ;   in Loop: Header=BB290_498 Depth=1
	v_cmp_eq_u16_e32 vcc, s24, v0
	s_mov_b64 s[0:1], -1
                                        ; implicit-def: $sgpr10
	s_and_saveexec_b64 s[8:9], vcc
; %bb.758:                              ;   in Loop: Header=BB290_498 Depth=1
	s_mov_b32 s10, 0x7fc02000
	s_xor_b64 s[0:1], exec, -1
; %bb.759:                              ;   in Loop: Header=BB290_498 Depth=1
	s_or_b64 exec, exec, s[8:9]
	s_and_b64 s[0:1], s[0:1], exec
	s_or_saveexec_b64 s[6:7], s[6:7]
	v_mov_b32_e32 v27, s10
	s_xor_b64 exec, exec, s[6:7]
	s_cbranch_execz .LBB290_521
.LBB290_760:                            ;   in Loop: Header=BB290_498 Depth=1
	v_cmp_ne_u16_e32 vcc, 0, v0
	s_andn2_b64 s[0:1], s[0:1], exec
	s_and_b64 s[8:9], vcc, exec
	v_mov_b32_e32 v27, 0
	s_or_b64 s[0:1], s[0:1], s[8:9]
	s_or_b64 exec, exec, s[6:7]
	s_and_saveexec_b64 s[6:7], s[0:1]
	s_cbranch_execnz .LBB290_522
	s_branch .LBB290_523
.LBB290_761:                            ;   in Loop: Header=BB290_498 Depth=1
	v_cmp_eq_u16_sdwa vcc, v0, s24 src0_sel:BYTE_0 src1_sel:DWORD
	s_mov_b64 s[0:1], -1
                                        ; implicit-def: $sgpr10
	s_and_saveexec_b64 s[8:9], vcc
; %bb.762:                              ;   in Loop: Header=BB290_498 Depth=1
	s_mov_b32 s10, 0x7fc02000
	s_xor_b64 s[0:1], exec, -1
; %bb.763:                              ;   in Loop: Header=BB290_498 Depth=1
	s_or_b64 exec, exec, s[8:9]
	s_and_b64 s[0:1], s[0:1], exec
	s_or_saveexec_b64 s[6:7], s[6:7]
	v_mov_b32_e32 v31, s10
	s_xor_b64 exec, exec, s[6:7]
	s_cbranch_execz .LBB290_525
.LBB290_764:                            ;   in Loop: Header=BB290_498 Depth=1
	v_cmp_ne_u16_sdwa s[8:9], v0, v1 src0_sel:BYTE_0 src1_sel:DWORD
	s_andn2_b64 s[0:1], s[0:1], exec
	s_and_b64 s[8:9], s[8:9], exec
	v_mov_b32_e32 v31, 0
	s_or_b64 s[0:1], s[0:1], s[8:9]
	s_or_b64 exec, exec, s[6:7]
	s_and_saveexec_b64 s[6:7], s[0:1]
	s_cbranch_execnz .LBB290_526
	s_branch .LBB290_527
.LBB290_765:                            ;   in Loop: Header=BB290_498 Depth=1
	v_cmp_eq_u16_e32 vcc, s24, v0
	s_mov_b64 s[0:1], -1
                                        ; implicit-def: $sgpr10
	s_and_saveexec_b64 s[8:9], vcc
; %bb.766:                              ;   in Loop: Header=BB290_498 Depth=1
	s_mov_b32 s10, 0x7fc02000
	s_xor_b64 s[0:1], exec, -1
; %bb.767:                              ;   in Loop: Header=BB290_498 Depth=1
	s_or_b64 exec, exec, s[8:9]
	s_and_b64 s[0:1], s[0:1], exec
	s_or_saveexec_b64 s[6:7], s[6:7]
	v_mov_b32_e32 v49, s10
	s_xor_b64 exec, exec, s[6:7]
	s_cbranch_execz .LBB290_529
.LBB290_768:                            ;   in Loop: Header=BB290_498 Depth=1
	v_cmp_ne_u16_e32 vcc, 0, v0
	s_andn2_b64 s[0:1], s[0:1], exec
	s_and_b64 s[8:9], vcc, exec
	v_mov_b32_e32 v49, 0
	s_or_b64 s[0:1], s[0:1], s[8:9]
	s_or_b64 exec, exec, s[6:7]
	s_and_saveexec_b64 s[6:7], s[0:1]
	s_cbranch_execnz .LBB290_530
	s_branch .LBB290_531
.LBB290_769:                            ;   in Loop: Header=BB290_498 Depth=1
	v_cmp_eq_u16_sdwa s[30:31], v20, s24 src0_sel:BYTE_0 src1_sel:DWORD
	s_mov_b64 s[0:1], -1
                                        ; implicit-def: $sgpr10
	s_and_saveexec_b64 s[8:9], s[30:31]
; %bb.770:                              ;   in Loop: Header=BB290_498 Depth=1
	s_mov_b32 s10, 0x7fc02000
	s_xor_b64 s[0:1], exec, -1
; %bb.771:                              ;   in Loop: Header=BB290_498 Depth=1
	s_or_b64 exec, exec, s[8:9]
	s_and_b64 s[0:1], s[0:1], exec
	s_or_saveexec_b64 s[6:7], s[6:7]
	v_mov_b32_e32 v24, s10
	s_xor_b64 exec, exec, s[6:7]
	s_cbranch_execz .LBB290_535
.LBB290_772:                            ;   in Loop: Header=BB290_498 Depth=1
	v_cmp_ne_u16_sdwa s[8:9], v20, v1 src0_sel:BYTE_0 src1_sel:DWORD
	s_andn2_b64 s[0:1], s[0:1], exec
	s_and_b64 s[8:9], s[8:9], exec
	v_mov_b32_e32 v24, 0
	s_or_b64 s[0:1], s[0:1], s[8:9]
	s_or_b64 exec, exec, s[6:7]
	s_and_saveexec_b64 s[6:7], s[0:1]
	s_cbranch_execnz .LBB290_536
	s_branch .LBB290_537
.LBB290_773:                            ;   in Loop: Header=BB290_498 Depth=1
	v_cmp_eq_u16_e64 s[0:1], s24, v0
	s_mov_b64 s[6:7], -1
                                        ; implicit-def: $sgpr30
	s_and_saveexec_b64 s[10:11], s[0:1]
; %bb.774:                              ;   in Loop: Header=BB290_498 Depth=1
	s_mov_b32 s30, 0x7fc02000
	s_xor_b64 s[6:7], exec, -1
; %bb.775:                              ;   in Loop: Header=BB290_498 Depth=1
	s_or_b64 exec, exec, s[10:11]
	s_and_b64 s[6:7], s[6:7], exec
	s_or_saveexec_b64 s[8:9], s[8:9]
	v_mov_b32_e32 v28, s30
	s_xor_b64 exec, exec, s[8:9]
	s_cbranch_execz .LBB290_539
.LBB290_776:                            ;   in Loop: Header=BB290_498 Depth=1
	v_cmp_ne_u16_e64 s[0:1], 0, v0
	s_andn2_b64 s[6:7], s[6:7], exec
	s_and_b64 s[0:1], s[0:1], exec
	v_mov_b32_e32 v28, 0
	s_or_b64 s[6:7], s[6:7], s[0:1]
	s_or_b64 exec, exec, s[8:9]
	s_and_saveexec_b64 s[8:9], s[6:7]
	s_cbranch_execnz .LBB290_540
	s_branch .LBB290_541
.LBB290_777:                            ;   in Loop: Header=BB290_498 Depth=1
	v_cmp_eq_u16_sdwa s[30:31], v0, s24 src0_sel:BYTE_0 src1_sel:DWORD
	s_mov_b64 s[0:1], -1
                                        ; implicit-def: $sgpr10
	s_and_saveexec_b64 s[8:9], s[30:31]
; %bb.778:                              ;   in Loop: Header=BB290_498 Depth=1
	s_mov_b32 s10, 0x7fc02000
	s_xor_b64 s[0:1], exec, -1
; %bb.779:                              ;   in Loop: Header=BB290_498 Depth=1
	s_or_b64 exec, exec, s[8:9]
	s_and_b64 s[0:1], s[0:1], exec
	s_or_saveexec_b64 s[6:7], s[6:7]
	v_mov_b32_e32 v25, s10
	s_xor_b64 exec, exec, s[6:7]
	s_cbranch_execz .LBB290_543
.LBB290_780:                            ;   in Loop: Header=BB290_498 Depth=1
	v_cmp_ne_u16_sdwa s[8:9], v0, v1 src0_sel:BYTE_0 src1_sel:DWORD
	s_andn2_b64 s[0:1], s[0:1], exec
	s_and_b64 s[8:9], s[8:9], exec
	v_mov_b32_e32 v25, 0
	s_or_b64 s[0:1], s[0:1], s[8:9]
	s_or_b64 exec, exec, s[6:7]
	s_and_saveexec_b64 s[6:7], s[0:1]
	s_cbranch_execnz .LBB290_544
	s_branch .LBB290_545
.LBB290_781:                            ;   in Loop: Header=BB290_498 Depth=1
	v_cmp_eq_u16_e64 s[0:1], s24, v0
	s_mov_b64 s[6:7], -1
                                        ; implicit-def: $sgpr30
	s_and_saveexec_b64 s[10:11], s[0:1]
; %bb.782:                              ;   in Loop: Header=BB290_498 Depth=1
	s_mov_b32 s30, 0x7fc02000
	s_xor_b64 s[6:7], exec, -1
; %bb.783:                              ;   in Loop: Header=BB290_498 Depth=1
	s_or_b64 exec, exec, s[10:11]
	s_and_b64 s[6:7], s[6:7], exec
	s_or_saveexec_b64 s[8:9], s[8:9]
	v_mov_b32_e32 v29, s30
	s_xor_b64 exec, exec, s[8:9]
	s_cbranch_execz .LBB290_547
.LBB290_784:                            ;   in Loop: Header=BB290_498 Depth=1
	v_cmp_ne_u16_e64 s[0:1], 0, v0
	s_andn2_b64 s[6:7], s[6:7], exec
	s_and_b64 s[0:1], s[0:1], exec
	v_mov_b32_e32 v29, 0
	s_or_b64 s[6:7], s[6:7], s[0:1]
	s_or_b64 exec, exec, s[8:9]
	s_and_saveexec_b64 s[8:9], s[6:7]
	s_cbranch_execnz .LBB290_548
	s_branch .LBB290_549
.LBB290_785:                            ;   in Loop: Header=BB290_498 Depth=1
	v_cmp_eq_u16_sdwa s[30:31], v21, s24 src0_sel:BYTE_0 src1_sel:DWORD
	s_mov_b64 s[0:1], -1
                                        ; implicit-def: $sgpr10
	s_and_saveexec_b64 s[8:9], s[30:31]
; %bb.786:                              ;   in Loop: Header=BB290_498 Depth=1
	s_mov_b32 s10, 0x7fc02000
	s_xor_b64 s[0:1], exec, -1
; %bb.787:                              ;   in Loop: Header=BB290_498 Depth=1
	s_or_b64 exec, exec, s[8:9]
	s_and_b64 s[0:1], s[0:1], exec
	s_or_saveexec_b64 s[6:7], s[6:7]
	v_mov_b32_e32 v4, s10
	s_xor_b64 exec, exec, s[6:7]
	s_cbranch_execz .LBB290_551
.LBB290_788:                            ;   in Loop: Header=BB290_498 Depth=1
	v_cmp_ne_u16_sdwa s[8:9], v21, v1 src0_sel:BYTE_0 src1_sel:DWORD
	s_andn2_b64 s[0:1], s[0:1], exec
	s_and_b64 s[8:9], s[8:9], exec
	v_mov_b32_e32 v4, 0
	s_or_b64 s[0:1], s[0:1], s[8:9]
	s_or_b64 exec, exec, s[6:7]
	v_mov_b32_e32 v0, v21
	s_and_saveexec_b64 s[6:7], s[0:1]
	s_cbranch_execnz .LBB290_552
	s_branch .LBB290_553
.LBB290_789:                            ;   in Loop: Header=BB290_498 Depth=1
	v_cmp_eq_u16_e64 s[0:1], s24, v0
	s_mov_b64 s[6:7], -1
                                        ; implicit-def: $sgpr30
	s_and_saveexec_b64 s[10:11], s[0:1]
; %bb.790:                              ;   in Loop: Header=BB290_498 Depth=1
	s_mov_b32 s30, 0x7fc02000
	s_xor_b64 s[6:7], exec, -1
; %bb.791:                              ;   in Loop: Header=BB290_498 Depth=1
	s_or_b64 exec, exec, s[10:11]
	s_and_b64 s[6:7], s[6:7], exec
	s_or_saveexec_b64 s[8:9], s[8:9]
	v_mov_b32_e32 v5, s30
	s_xor_b64 exec, exec, s[8:9]
	s_cbranch_execz .LBB290_555
.LBB290_792:                            ;   in Loop: Header=BB290_498 Depth=1
	v_cmp_ne_u16_e64 s[0:1], 0, v0
	s_andn2_b64 s[6:7], s[6:7], exec
	s_and_b64 s[0:1], s[0:1], exec
	v_mov_b32_e32 v5, 0
	s_or_b64 s[6:7], s[6:7], s[0:1]
	s_or_b64 exec, exec, s[8:9]
	s_and_saveexec_b64 s[8:9], s[6:7]
	s_cbranch_execnz .LBB290_556
	s_branch .LBB290_557
.LBB290_793:                            ;   in Loop: Header=BB290_498 Depth=1
	v_cmp_eq_u16_sdwa s[30:31], v0, s24 src0_sel:BYTE_0 src1_sel:DWORD
	s_mov_b64 s[0:1], -1
                                        ; implicit-def: $sgpr10
	s_and_saveexec_b64 s[8:9], s[30:31]
; %bb.794:                              ;   in Loop: Header=BB290_498 Depth=1
	s_mov_b32 s10, 0x7fc02000
	s_xor_b64 s[0:1], exec, -1
; %bb.795:                              ;   in Loop: Header=BB290_498 Depth=1
	s_or_b64 exec, exec, s[8:9]
	s_and_b64 s[0:1], s[0:1], exec
	s_or_saveexec_b64 s[6:7], s[6:7]
	v_mov_b32_e32 v6, s10
	s_xor_b64 exec, exec, s[6:7]
	s_cbranch_execz .LBB290_559
.LBB290_796:                            ;   in Loop: Header=BB290_498 Depth=1
	v_cmp_ne_u16_sdwa s[8:9], v0, v1 src0_sel:BYTE_0 src1_sel:DWORD
	s_andn2_b64 s[0:1], s[0:1], exec
	s_and_b64 s[8:9], s[8:9], exec
	v_mov_b32_e32 v6, 0
	s_or_b64 s[0:1], s[0:1], s[8:9]
	s_or_b64 exec, exec, s[6:7]
	s_and_saveexec_b64 s[6:7], s[0:1]
	s_cbranch_execnz .LBB290_560
	s_branch .LBB290_561
.LBB290_797:                            ;   in Loop: Header=BB290_498 Depth=1
	v_cmp_eq_u16_e64 s[0:1], s24, v0
	s_mov_b64 s[6:7], -1
                                        ; implicit-def: $sgpr30
	s_and_saveexec_b64 s[10:11], s[0:1]
; %bb.798:                              ;   in Loop: Header=BB290_498 Depth=1
	s_mov_b32 s30, 0x7fc02000
	s_xor_b64 s[6:7], exec, -1
; %bb.799:                              ;   in Loop: Header=BB290_498 Depth=1
	s_or_b64 exec, exec, s[10:11]
	s_and_b64 s[6:7], s[6:7], exec
	s_or_saveexec_b64 s[8:9], s[8:9]
	v_mov_b32_e32 v15, s30
	s_xor_b64 exec, exec, s[8:9]
	s_cbranch_execz .LBB290_563
.LBB290_800:                            ;   in Loop: Header=BB290_498 Depth=1
	v_cmp_ne_u16_e64 s[0:1], 0, v0
	s_andn2_b64 s[6:7], s[6:7], exec
	s_and_b64 s[0:1], s[0:1], exec
	v_mov_b32_e32 v15, 0
	s_or_b64 s[6:7], s[6:7], s[0:1]
	s_or_b64 exec, exec, s[8:9]
	s_and_saveexec_b64 s[8:9], s[6:7]
	s_cbranch_execnz .LBB290_564
	s_branch .LBB290_565
.LBB290_801:                            ;   in Loop: Header=BB290_498 Depth=1
	v_cmp_eq_u16_sdwa s[30:31], v20, s24 src0_sel:BYTE_0 src1_sel:DWORD
	s_mov_b64 s[0:1], -1
                                        ; implicit-def: $sgpr10
	s_and_saveexec_b64 s[8:9], s[30:31]
; %bb.802:                              ;   in Loop: Header=BB290_498 Depth=1
	s_mov_b32 s10, 0x7fc02000
	s_xor_b64 s[0:1], exec, -1
; %bb.803:                              ;   in Loop: Header=BB290_498 Depth=1
	s_or_b64 exec, exec, s[8:9]
	s_and_b64 s[0:1], s[0:1], exec
	s_or_saveexec_b64 s[6:7], s[6:7]
	v_mov_b32_e32 v24, s10
	s_xor_b64 exec, exec, s[6:7]
	s_cbranch_execz .LBB290_569
.LBB290_804:                            ;   in Loop: Header=BB290_498 Depth=1
	v_cmp_ne_u16_sdwa s[8:9], v20, v1 src0_sel:BYTE_0 src1_sel:DWORD
	s_andn2_b64 s[0:1], s[0:1], exec
	s_and_b64 s[8:9], s[8:9], exec
	v_mov_b32_e32 v24, 0
	s_or_b64 s[0:1], s[0:1], s[8:9]
	s_or_b64 exec, exec, s[6:7]
	s_and_saveexec_b64 s[6:7], s[0:1]
	s_cbranch_execnz .LBB290_570
	s_branch .LBB290_571
.LBB290_805:                            ;   in Loop: Header=BB290_498 Depth=1
	v_cmp_eq_u16_e64 s[0:1], s24, v0
	s_mov_b64 s[6:7], -1
                                        ; implicit-def: $sgpr30
	s_and_saveexec_b64 s[10:11], s[0:1]
; %bb.806:                              ;   in Loop: Header=BB290_498 Depth=1
	s_mov_b32 s30, 0x7fc02000
	s_xor_b64 s[6:7], exec, -1
; %bb.807:                              ;   in Loop: Header=BB290_498 Depth=1
	s_or_b64 exec, exec, s[10:11]
	s_and_b64 s[6:7], s[6:7], exec
	s_or_saveexec_b64 s[8:9], s[8:9]
	v_mov_b32_e32 v28, s30
	s_xor_b64 exec, exec, s[8:9]
	s_cbranch_execz .LBB290_573
.LBB290_808:                            ;   in Loop: Header=BB290_498 Depth=1
	v_cmp_ne_u16_e64 s[0:1], 0, v0
	s_andn2_b64 s[6:7], s[6:7], exec
	s_and_b64 s[0:1], s[0:1], exec
	v_mov_b32_e32 v28, 0
	s_or_b64 s[6:7], s[6:7], s[0:1]
	s_or_b64 exec, exec, s[8:9]
	s_and_saveexec_b64 s[8:9], s[6:7]
	s_cbranch_execnz .LBB290_574
	s_branch .LBB290_575
.LBB290_809:                            ;   in Loop: Header=BB290_498 Depth=1
	v_cmp_eq_u16_sdwa s[30:31], v0, s24 src0_sel:BYTE_0 src1_sel:DWORD
	s_mov_b64 s[0:1], -1
                                        ; implicit-def: $sgpr10
	s_and_saveexec_b64 s[8:9], s[30:31]
; %bb.810:                              ;   in Loop: Header=BB290_498 Depth=1
	s_mov_b32 s10, 0x7fc02000
	s_xor_b64 s[0:1], exec, -1
; %bb.811:                              ;   in Loop: Header=BB290_498 Depth=1
	s_or_b64 exec, exec, s[8:9]
	s_and_b64 s[0:1], s[0:1], exec
	s_or_saveexec_b64 s[6:7], s[6:7]
	v_mov_b32_e32 v25, s10
	s_xor_b64 exec, exec, s[6:7]
	s_cbranch_execz .LBB290_577
.LBB290_812:                            ;   in Loop: Header=BB290_498 Depth=1
	v_cmp_ne_u16_sdwa s[8:9], v0, v1 src0_sel:BYTE_0 src1_sel:DWORD
	s_andn2_b64 s[0:1], s[0:1], exec
	s_and_b64 s[8:9], s[8:9], exec
	v_mov_b32_e32 v25, 0
	s_or_b64 s[0:1], s[0:1], s[8:9]
	s_or_b64 exec, exec, s[6:7]
	s_and_saveexec_b64 s[6:7], s[0:1]
	s_cbranch_execnz .LBB290_578
	s_branch .LBB290_579
.LBB290_813:                            ;   in Loop: Header=BB290_498 Depth=1
	v_cmp_eq_u16_e64 s[0:1], s24, v0
	s_mov_b64 s[6:7], -1
                                        ; implicit-def: $sgpr30
	s_and_saveexec_b64 s[10:11], s[0:1]
; %bb.814:                              ;   in Loop: Header=BB290_498 Depth=1
	s_mov_b32 s30, 0x7fc02000
	s_xor_b64 s[6:7], exec, -1
; %bb.815:                              ;   in Loop: Header=BB290_498 Depth=1
	s_or_b64 exec, exec, s[10:11]
	s_and_b64 s[6:7], s[6:7], exec
	s_or_saveexec_b64 s[8:9], s[8:9]
	v_mov_b32_e32 v29, s30
	s_xor_b64 exec, exec, s[8:9]
	s_cbranch_execz .LBB290_581
.LBB290_816:                            ;   in Loop: Header=BB290_498 Depth=1
	v_cmp_ne_u16_e64 s[0:1], 0, v0
	s_andn2_b64 s[6:7], s[6:7], exec
	s_and_b64 s[0:1], s[0:1], exec
	v_mov_b32_e32 v29, 0
	s_or_b64 s[6:7], s[6:7], s[0:1]
	s_or_b64 exec, exec, s[8:9]
	s_and_saveexec_b64 s[8:9], s[6:7]
	s_cbranch_execnz .LBB290_582
	s_branch .LBB290_583
.LBB290_817:                            ;   in Loop: Header=BB290_498 Depth=1
	v_cmp_eq_u16_sdwa s[30:31], v21, s24 src0_sel:BYTE_0 src1_sel:DWORD
	s_mov_b64 s[0:1], -1
                                        ; implicit-def: $sgpr10
	s_and_saveexec_b64 s[8:9], s[30:31]
; %bb.818:                              ;   in Loop: Header=BB290_498 Depth=1
	s_mov_b32 s10, 0x7fc02000
	s_xor_b64 s[0:1], exec, -1
; %bb.819:                              ;   in Loop: Header=BB290_498 Depth=1
	s_or_b64 exec, exec, s[8:9]
	s_and_b64 s[0:1], s[0:1], exec
	s_or_saveexec_b64 s[6:7], s[6:7]
	v_mov_b32_e32 v6, s10
	s_xor_b64 exec, exec, s[6:7]
	s_cbranch_execz .LBB290_585
.LBB290_820:                            ;   in Loop: Header=BB290_498 Depth=1
	v_cmp_ne_u16_sdwa s[8:9], v21, v1 src0_sel:BYTE_0 src1_sel:DWORD
	s_andn2_b64 s[0:1], s[0:1], exec
	s_and_b64 s[8:9], s[8:9], exec
	v_mov_b32_e32 v6, 0
	s_or_b64 s[0:1], s[0:1], s[8:9]
	s_or_b64 exec, exec, s[6:7]
	v_mov_b32_e32 v0, v21
	s_and_saveexec_b64 s[6:7], s[0:1]
	s_cbranch_execnz .LBB290_586
	s_branch .LBB290_587
.LBB290_821:                            ;   in Loop: Header=BB290_498 Depth=1
	v_cmp_eq_u16_e64 s[0:1], s24, v0
	s_mov_b64 s[6:7], -1
                                        ; implicit-def: $sgpr30
	s_and_saveexec_b64 s[10:11], s[0:1]
; %bb.822:                              ;   in Loop: Header=BB290_498 Depth=1
	s_mov_b32 s30, 0x7fc02000
	s_xor_b64 s[6:7], exec, -1
; %bb.823:                              ;   in Loop: Header=BB290_498 Depth=1
	s_or_b64 exec, exec, s[10:11]
	s_and_b64 s[6:7], s[6:7], exec
	s_or_saveexec_b64 s[8:9], s[8:9]
	v_mov_b32_e32 v7, s30
	s_xor_b64 exec, exec, s[8:9]
	s_cbranch_execz .LBB290_589
.LBB290_824:                            ;   in Loop: Header=BB290_498 Depth=1
	v_cmp_ne_u16_e64 s[0:1], 0, v0
	s_andn2_b64 s[6:7], s[6:7], exec
	s_and_b64 s[0:1], s[0:1], exec
	v_mov_b32_e32 v7, 0
	s_or_b64 s[6:7], s[6:7], s[0:1]
	s_or_b64 exec, exec, s[8:9]
	s_and_saveexec_b64 s[8:9], s[6:7]
	s_cbranch_execnz .LBB290_590
	s_branch .LBB290_591
.LBB290_825:                            ;   in Loop: Header=BB290_498 Depth=1
	v_cmp_eq_u16_sdwa s[30:31], v0, s24 src0_sel:BYTE_0 src1_sel:DWORD
	s_mov_b64 s[0:1], -1
                                        ; implicit-def: $sgpr10
	s_and_saveexec_b64 s[8:9], s[30:31]
; %bb.826:                              ;   in Loop: Header=BB290_498 Depth=1
	s_mov_b32 s10, 0x7fc02000
	s_xor_b64 s[0:1], exec, -1
; %bb.827:                              ;   in Loop: Header=BB290_498 Depth=1
	s_or_b64 exec, exec, s[8:9]
	s_and_b64 s[0:1], s[0:1], exec
	s_or_saveexec_b64 s[6:7], s[6:7]
	v_mov_b32_e32 v15, s10
	s_xor_b64 exec, exec, s[6:7]
	s_cbranch_execz .LBB290_593
.LBB290_828:                            ;   in Loop: Header=BB290_498 Depth=1
	v_cmp_ne_u16_sdwa s[8:9], v0, v1 src0_sel:BYTE_0 src1_sel:DWORD
	s_andn2_b64 s[0:1], s[0:1], exec
	s_and_b64 s[8:9], s[8:9], exec
	v_mov_b32_e32 v15, 0
	s_or_b64 s[0:1], s[0:1], s[8:9]
	s_or_b64 exec, exec, s[6:7]
	s_and_saveexec_b64 s[6:7], s[0:1]
	s_cbranch_execnz .LBB290_594
	s_branch .LBB290_595
.LBB290_829:                            ;   in Loop: Header=BB290_498 Depth=1
	v_cmp_eq_u16_e64 s[0:1], s24, v0
	s_mov_b64 s[6:7], -1
                                        ; implicit-def: $sgpr30
	s_and_saveexec_b64 s[10:11], s[0:1]
; %bb.830:                              ;   in Loop: Header=BB290_498 Depth=1
	s_mov_b32 s30, 0x7fc02000
	s_xor_b64 s[6:7], exec, -1
; %bb.831:                              ;   in Loop: Header=BB290_498 Depth=1
	s_or_b64 exec, exec, s[10:11]
	s_and_b64 s[6:7], s[6:7], exec
	s_or_saveexec_b64 s[8:9], s[8:9]
	v_mov_b32_e32 v20, s30
	s_xor_b64 exec, exec, s[8:9]
	s_cbranch_execz .LBB290_597
.LBB290_832:                            ;   in Loop: Header=BB290_498 Depth=1
	v_cmp_ne_u16_e64 s[0:1], 0, v0
	s_andn2_b64 s[6:7], s[6:7], exec
	s_and_b64 s[0:1], s[0:1], exec
	v_mov_b32_e32 v20, 0
	s_or_b64 s[6:7], s[6:7], s[0:1]
	s_or_b64 exec, exec, s[8:9]
	s_and_saveexec_b64 s[8:9], s[6:7]
	s_cbranch_execnz .LBB290_598
	s_branch .LBB290_599
.LBB290_833:                            ;   in Loop: Header=BB290_498 Depth=1
	v_cmp_eq_u16_sdwa s[30:31], v20, s24 src0_sel:BYTE_0 src1_sel:DWORD
	s_mov_b64 s[0:1], -1
                                        ; implicit-def: $sgpr10
	s_and_saveexec_b64 s[8:9], s[30:31]
; %bb.834:                              ;   in Loop: Header=BB290_498 Depth=1
	s_mov_b32 s10, 0x7fc02000
	s_xor_b64 s[0:1], exec, -1
; %bb.835:                              ;   in Loop: Header=BB290_498 Depth=1
	s_or_b64 exec, exec, s[8:9]
	s_and_b64 s[0:1], s[0:1], exec
	s_or_saveexec_b64 s[6:7], s[6:7]
	v_mov_b32_e32 v24, s10
	s_xor_b64 exec, exec, s[6:7]
	s_cbranch_execz .LBB290_603
.LBB290_836:                            ;   in Loop: Header=BB290_498 Depth=1
	v_cmp_ne_u16_sdwa s[8:9], v20, v1 src0_sel:BYTE_0 src1_sel:DWORD
	s_andn2_b64 s[0:1], s[0:1], exec
	s_and_b64 s[8:9], s[8:9], exec
	v_mov_b32_e32 v24, 0
	s_or_b64 s[0:1], s[0:1], s[8:9]
	s_or_b64 exec, exec, s[6:7]
	s_and_saveexec_b64 s[6:7], s[0:1]
	s_cbranch_execnz .LBB290_604
	s_branch .LBB290_605
.LBB290_837:                            ;   in Loop: Header=BB290_498 Depth=1
	v_cmp_eq_u16_e64 s[0:1], s24, v0
	s_mov_b64 s[6:7], -1
                                        ; implicit-def: $sgpr30
	s_and_saveexec_b64 s[10:11], s[0:1]
; %bb.838:                              ;   in Loop: Header=BB290_498 Depth=1
	s_mov_b32 s30, 0x7fc02000
	s_xor_b64 s[6:7], exec, -1
; %bb.839:                              ;   in Loop: Header=BB290_498 Depth=1
	s_or_b64 exec, exec, s[10:11]
	s_and_b64 s[6:7], s[6:7], exec
	s_or_saveexec_b64 s[8:9], s[8:9]
	v_mov_b32_e32 v28, s30
	s_xor_b64 exec, exec, s[8:9]
	s_cbranch_execz .LBB290_607
.LBB290_840:                            ;   in Loop: Header=BB290_498 Depth=1
	v_cmp_ne_u16_e64 s[0:1], 0, v0
	s_andn2_b64 s[6:7], s[6:7], exec
	s_and_b64 s[0:1], s[0:1], exec
	v_mov_b32_e32 v28, 0
	s_or_b64 s[6:7], s[6:7], s[0:1]
	s_or_b64 exec, exec, s[8:9]
	s_and_saveexec_b64 s[8:9], s[6:7]
	s_cbranch_execnz .LBB290_608
	s_branch .LBB290_609
.LBB290_841:                            ;   in Loop: Header=BB290_498 Depth=1
	v_cmp_eq_u16_sdwa s[30:31], v0, s24 src0_sel:BYTE_0 src1_sel:DWORD
	s_mov_b64 s[0:1], -1
                                        ; implicit-def: $sgpr10
	s_and_saveexec_b64 s[8:9], s[30:31]
; %bb.842:                              ;   in Loop: Header=BB290_498 Depth=1
	s_mov_b32 s10, 0x7fc02000
	s_xor_b64 s[0:1], exec, -1
; %bb.843:                              ;   in Loop: Header=BB290_498 Depth=1
	s_or_b64 exec, exec, s[8:9]
	s_and_b64 s[0:1], s[0:1], exec
	s_or_saveexec_b64 s[6:7], s[6:7]
	v_mov_b32_e32 v25, s10
	s_xor_b64 exec, exec, s[6:7]
	s_cbranch_execz .LBB290_611
.LBB290_844:                            ;   in Loop: Header=BB290_498 Depth=1
	v_cmp_ne_u16_sdwa s[8:9], v0, v1 src0_sel:BYTE_0 src1_sel:DWORD
	s_andn2_b64 s[0:1], s[0:1], exec
	s_and_b64 s[8:9], s[8:9], exec
	v_mov_b32_e32 v25, 0
	s_or_b64 s[0:1], s[0:1], s[8:9]
	s_or_b64 exec, exec, s[6:7]
	s_and_saveexec_b64 s[6:7], s[0:1]
	s_cbranch_execnz .LBB290_612
	s_branch .LBB290_613
.LBB290_845:                            ;   in Loop: Header=BB290_498 Depth=1
	v_cmp_eq_u16_e64 s[0:1], s24, v0
	s_mov_b64 s[6:7], -1
                                        ; implicit-def: $sgpr30
	s_and_saveexec_b64 s[10:11], s[0:1]
; %bb.846:                              ;   in Loop: Header=BB290_498 Depth=1
	s_mov_b32 s30, 0x7fc02000
	s_xor_b64 s[6:7], exec, -1
; %bb.847:                              ;   in Loop: Header=BB290_498 Depth=1
	s_or_b64 exec, exec, s[10:11]
	s_and_b64 s[6:7], s[6:7], exec
	s_or_saveexec_b64 s[8:9], s[8:9]
	v_mov_b32_e32 v29, s30
	s_xor_b64 exec, exec, s[8:9]
	s_cbranch_execz .LBB290_615
.LBB290_848:                            ;   in Loop: Header=BB290_498 Depth=1
	v_cmp_ne_u16_e64 s[0:1], 0, v0
	s_andn2_b64 s[6:7], s[6:7], exec
	s_and_b64 s[0:1], s[0:1], exec
	v_mov_b32_e32 v29, 0
	s_or_b64 s[6:7], s[6:7], s[0:1]
	s_or_b64 exec, exec, s[8:9]
	s_and_saveexec_b64 s[8:9], s[6:7]
	s_cbranch_execnz .LBB290_616
	s_branch .LBB290_617
.LBB290_849:                            ;   in Loop: Header=BB290_498 Depth=1
	v_cmp_eq_u16_sdwa s[30:31], v21, s24 src0_sel:BYTE_0 src1_sel:DWORD
	s_mov_b64 s[0:1], -1
                                        ; implicit-def: $sgpr10
	s_and_saveexec_b64 s[8:9], s[30:31]
; %bb.850:                              ;   in Loop: Header=BB290_498 Depth=1
	s_mov_b32 s10, 0x7fc02000
	s_xor_b64 s[0:1], exec, -1
; %bb.851:                              ;   in Loop: Header=BB290_498 Depth=1
	s_or_b64 exec, exec, s[8:9]
	s_and_b64 s[0:1], s[0:1], exec
	s_or_saveexec_b64 s[6:7], s[6:7]
	v_mov_b32_e32 v6, s10
	s_xor_b64 exec, exec, s[6:7]
	s_cbranch_execz .LBB290_619
.LBB290_852:                            ;   in Loop: Header=BB290_498 Depth=1
	v_cmp_ne_u16_sdwa s[8:9], v21, v1 src0_sel:BYTE_0 src1_sel:DWORD
	s_andn2_b64 s[0:1], s[0:1], exec
	s_and_b64 s[8:9], s[8:9], exec
	v_mov_b32_e32 v6, 0
	s_or_b64 s[0:1], s[0:1], s[8:9]
	s_or_b64 exec, exec, s[6:7]
	v_mov_b32_e32 v0, v21
	s_and_saveexec_b64 s[6:7], s[0:1]
	s_cbranch_execnz .LBB290_620
	s_branch .LBB290_621
.LBB290_853:                            ;   in Loop: Header=BB290_498 Depth=1
	v_cmp_eq_u16_e64 s[0:1], s24, v0
	s_mov_b64 s[6:7], -1
                                        ; implicit-def: $sgpr30
	s_and_saveexec_b64 s[10:11], s[0:1]
; %bb.854:                              ;   in Loop: Header=BB290_498 Depth=1
	s_mov_b32 s30, 0x7fc02000
	s_xor_b64 s[6:7], exec, -1
; %bb.855:                              ;   in Loop: Header=BB290_498 Depth=1
	s_or_b64 exec, exec, s[10:11]
	s_and_b64 s[6:7], s[6:7], exec
	s_or_saveexec_b64 s[8:9], s[8:9]
	v_mov_b32_e32 v7, s30
	s_xor_b64 exec, exec, s[8:9]
	s_cbranch_execz .LBB290_623
.LBB290_856:                            ;   in Loop: Header=BB290_498 Depth=1
	v_cmp_ne_u16_e64 s[0:1], 0, v0
	s_andn2_b64 s[6:7], s[6:7], exec
	s_and_b64 s[0:1], s[0:1], exec
	v_mov_b32_e32 v7, 0
	s_or_b64 s[6:7], s[6:7], s[0:1]
	s_or_b64 exec, exec, s[8:9]
	s_and_saveexec_b64 s[8:9], s[6:7]
	s_cbranch_execnz .LBB290_624
	s_branch .LBB290_625
.LBB290_857:                            ;   in Loop: Header=BB290_498 Depth=1
	v_cmp_eq_u16_sdwa s[30:31], v0, s24 src0_sel:BYTE_0 src1_sel:DWORD
	s_mov_b64 s[0:1], -1
                                        ; implicit-def: $sgpr10
	s_and_saveexec_b64 s[8:9], s[30:31]
; %bb.858:                              ;   in Loop: Header=BB290_498 Depth=1
	s_mov_b32 s10, 0x7fc02000
	s_xor_b64 s[0:1], exec, -1
; %bb.859:                              ;   in Loop: Header=BB290_498 Depth=1
	s_or_b64 exec, exec, s[8:9]
	s_and_b64 s[0:1], s[0:1], exec
	s_or_saveexec_b64 s[6:7], s[6:7]
	v_mov_b32_e32 v15, s10
	s_xor_b64 exec, exec, s[6:7]
	s_cbranch_execz .LBB290_627
.LBB290_860:                            ;   in Loop: Header=BB290_498 Depth=1
	v_cmp_ne_u16_sdwa s[8:9], v0, v1 src0_sel:BYTE_0 src1_sel:DWORD
	s_andn2_b64 s[0:1], s[0:1], exec
	s_and_b64 s[8:9], s[8:9], exec
	v_mov_b32_e32 v15, 0
	s_or_b64 s[0:1], s[0:1], s[8:9]
	s_or_b64 exec, exec, s[6:7]
	s_and_saveexec_b64 s[6:7], s[0:1]
	s_cbranch_execnz .LBB290_628
	s_branch .LBB290_629
.LBB290_861:                            ;   in Loop: Header=BB290_498 Depth=1
	v_cmp_eq_u16_e64 s[0:1], s24, v0
	s_mov_b64 s[6:7], -1
                                        ; implicit-def: $sgpr30
	s_and_saveexec_b64 s[10:11], s[0:1]
; %bb.862:                              ;   in Loop: Header=BB290_498 Depth=1
	s_mov_b32 s30, 0x7fc02000
	s_xor_b64 s[6:7], exec, -1
; %bb.863:                              ;   in Loop: Header=BB290_498 Depth=1
	s_or_b64 exec, exec, s[10:11]
	s_and_b64 s[6:7], s[6:7], exec
	s_or_saveexec_b64 s[8:9], s[8:9]
	v_mov_b32_e32 v22, s30
	s_xor_b64 exec, exec, s[8:9]
	s_cbranch_execz .LBB290_631
.LBB290_864:                            ;   in Loop: Header=BB290_498 Depth=1
	v_cmp_ne_u16_e64 s[0:1], 0, v0
	s_andn2_b64 s[6:7], s[6:7], exec
	s_and_b64 s[0:1], s[0:1], exec
	v_mov_b32_e32 v22, 0
	s_or_b64 s[6:7], s[6:7], s[0:1]
	s_or_b64 exec, exec, s[8:9]
	s_and_saveexec_b64 s[8:9], s[6:7]
	s_cbranch_execnz .LBB290_632
	s_branch .LBB290_633
.LBB290_865:                            ;   in Loop: Header=BB290_498 Depth=1
	v_cmp_eq_u16_sdwa s[30:31], v20, s24 src0_sel:BYTE_0 src1_sel:DWORD
	s_mov_b64 s[0:1], -1
                                        ; implicit-def: $sgpr10
	s_and_saveexec_b64 s[8:9], s[30:31]
; %bb.866:                              ;   in Loop: Header=BB290_498 Depth=1
	s_mov_b32 s10, 0x7fc02000
	s_xor_b64 s[0:1], exec, -1
; %bb.867:                              ;   in Loop: Header=BB290_498 Depth=1
	s_or_b64 exec, exec, s[8:9]
	s_and_b64 s[0:1], s[0:1], exec
	s_or_saveexec_b64 s[6:7], s[6:7]
	v_mov_b32_e32 v24, s10
	s_xor_b64 exec, exec, s[6:7]
	s_cbranch_execz .LBB290_637
.LBB290_868:                            ;   in Loop: Header=BB290_498 Depth=1
	v_cmp_ne_u16_sdwa s[8:9], v20, v1 src0_sel:BYTE_0 src1_sel:DWORD
	s_andn2_b64 s[0:1], s[0:1], exec
	s_and_b64 s[8:9], s[8:9], exec
	v_mov_b32_e32 v24, 0
	s_or_b64 s[0:1], s[0:1], s[8:9]
	s_or_b64 exec, exec, s[6:7]
	s_and_saveexec_b64 s[6:7], s[0:1]
	s_cbranch_execnz .LBB290_638
	s_branch .LBB290_639
.LBB290_869:                            ;   in Loop: Header=BB290_498 Depth=1
	v_cmp_eq_u16_e64 s[0:1], s24, v0
	s_mov_b64 s[6:7], -1
                                        ; implicit-def: $sgpr30
	s_and_saveexec_b64 s[10:11], s[0:1]
; %bb.870:                              ;   in Loop: Header=BB290_498 Depth=1
	s_mov_b32 s30, 0x7fc02000
	s_xor_b64 s[6:7], exec, -1
; %bb.871:                              ;   in Loop: Header=BB290_498 Depth=1
	s_or_b64 exec, exec, s[10:11]
	s_and_b64 s[6:7], s[6:7], exec
	s_or_saveexec_b64 s[8:9], s[8:9]
	v_mov_b32_e32 v28, s30
	s_xor_b64 exec, exec, s[8:9]
	s_cbranch_execz .LBB290_641
.LBB290_872:                            ;   in Loop: Header=BB290_498 Depth=1
	v_cmp_ne_u16_e64 s[0:1], 0, v0
	s_andn2_b64 s[6:7], s[6:7], exec
	s_and_b64 s[0:1], s[0:1], exec
	v_mov_b32_e32 v28, 0
	s_or_b64 s[6:7], s[6:7], s[0:1]
	s_or_b64 exec, exec, s[8:9]
	s_and_saveexec_b64 s[8:9], s[6:7]
	s_cbranch_execnz .LBB290_642
	s_branch .LBB290_643
.LBB290_873:                            ;   in Loop: Header=BB290_498 Depth=1
	v_cmp_eq_u16_sdwa s[30:31], v0, s24 src0_sel:BYTE_0 src1_sel:DWORD
	s_mov_b64 s[0:1], -1
                                        ; implicit-def: $sgpr10
	s_and_saveexec_b64 s[8:9], s[30:31]
; %bb.874:                              ;   in Loop: Header=BB290_498 Depth=1
	s_mov_b32 s10, 0x7fc02000
	s_xor_b64 s[0:1], exec, -1
; %bb.875:                              ;   in Loop: Header=BB290_498 Depth=1
	s_or_b64 exec, exec, s[8:9]
	s_and_b64 s[0:1], s[0:1], exec
	s_or_saveexec_b64 s[6:7], s[6:7]
	v_mov_b32_e32 v25, s10
	s_xor_b64 exec, exec, s[6:7]
	s_cbranch_execz .LBB290_645
.LBB290_876:                            ;   in Loop: Header=BB290_498 Depth=1
	v_cmp_ne_u16_sdwa s[8:9], v0, v1 src0_sel:BYTE_0 src1_sel:DWORD
	s_andn2_b64 s[0:1], s[0:1], exec
	s_and_b64 s[8:9], s[8:9], exec
	v_mov_b32_e32 v25, 0
	s_or_b64 s[0:1], s[0:1], s[8:9]
	s_or_b64 exec, exec, s[6:7]
	s_and_saveexec_b64 s[6:7], s[0:1]
	s_cbranch_execnz .LBB290_646
	s_branch .LBB290_647
.LBB290_877:                            ;   in Loop: Header=BB290_498 Depth=1
	v_cmp_eq_u16_e64 s[0:1], s24, v0
	s_mov_b64 s[6:7], -1
                                        ; implicit-def: $sgpr30
	s_and_saveexec_b64 s[10:11], s[0:1]
; %bb.878:                              ;   in Loop: Header=BB290_498 Depth=1
	s_mov_b32 s30, 0x7fc02000
	s_xor_b64 s[6:7], exec, -1
; %bb.879:                              ;   in Loop: Header=BB290_498 Depth=1
	s_or_b64 exec, exec, s[10:11]
	s_and_b64 s[6:7], s[6:7], exec
	s_or_saveexec_b64 s[8:9], s[8:9]
	v_mov_b32_e32 v29, s30
	s_xor_b64 exec, exec, s[8:9]
	s_cbranch_execz .LBB290_649
.LBB290_880:                            ;   in Loop: Header=BB290_498 Depth=1
	v_cmp_ne_u16_e64 s[0:1], 0, v0
	s_andn2_b64 s[6:7], s[6:7], exec
	s_and_b64 s[0:1], s[0:1], exec
	v_mov_b32_e32 v29, 0
	s_or_b64 s[6:7], s[6:7], s[0:1]
	s_or_b64 exec, exec, s[8:9]
	s_and_saveexec_b64 s[8:9], s[6:7]
	s_cbranch_execnz .LBB290_650
	s_branch .LBB290_651
.LBB290_881:                            ;   in Loop: Header=BB290_498 Depth=1
	v_cmp_eq_u16_sdwa s[30:31], v21, s24 src0_sel:BYTE_0 src1_sel:DWORD
	s_mov_b64 s[0:1], -1
                                        ; implicit-def: $sgpr10
	s_and_saveexec_b64 s[8:9], s[30:31]
; %bb.882:                              ;   in Loop: Header=BB290_498 Depth=1
	s_mov_b32 s10, 0x7fc02000
	s_xor_b64 s[0:1], exec, -1
; %bb.883:                              ;   in Loop: Header=BB290_498 Depth=1
	s_or_b64 exec, exec, s[8:9]
	s_and_b64 s[0:1], s[0:1], exec
	s_or_saveexec_b64 s[6:7], s[6:7]
	v_mov_b32_e32 v6, s10
	s_xor_b64 exec, exec, s[6:7]
	s_cbranch_execz .LBB290_653
.LBB290_884:                            ;   in Loop: Header=BB290_498 Depth=1
	v_cmp_ne_u16_sdwa s[8:9], v21, v1 src0_sel:BYTE_0 src1_sel:DWORD
	s_andn2_b64 s[0:1], s[0:1], exec
	s_and_b64 s[8:9], s[8:9], exec
	v_mov_b32_e32 v6, 0
	s_or_b64 s[0:1], s[0:1], s[8:9]
	s_or_b64 exec, exec, s[6:7]
	v_mov_b32_e32 v0, v21
	s_and_saveexec_b64 s[6:7], s[0:1]
	s_cbranch_execnz .LBB290_654
	s_branch .LBB290_655
.LBB290_885:                            ;   in Loop: Header=BB290_498 Depth=1
	v_cmp_eq_u16_e64 s[0:1], s24, v0
	s_mov_b64 s[6:7], -1
                                        ; implicit-def: $sgpr30
	s_and_saveexec_b64 s[10:11], s[0:1]
; %bb.886:                              ;   in Loop: Header=BB290_498 Depth=1
	s_mov_b32 s30, 0x7fc02000
	s_xor_b64 s[6:7], exec, -1
; %bb.887:                              ;   in Loop: Header=BB290_498 Depth=1
	s_or_b64 exec, exec, s[10:11]
	s_and_b64 s[6:7], s[6:7], exec
	s_or_saveexec_b64 s[8:9], s[8:9]
	v_mov_b32_e32 v15, s30
	s_xor_b64 exec, exec, s[8:9]
	s_cbranch_execz .LBB290_657
.LBB290_888:                            ;   in Loop: Header=BB290_498 Depth=1
	v_cmp_ne_u16_e64 s[0:1], 0, v0
	s_andn2_b64 s[6:7], s[6:7], exec
	s_and_b64 s[0:1], s[0:1], exec
	v_mov_b32_e32 v15, 0
	s_or_b64 s[6:7], s[6:7], s[0:1]
	s_or_b64 exec, exec, s[8:9]
	s_and_saveexec_b64 s[8:9], s[6:7]
	s_cbranch_execnz .LBB290_658
	s_branch .LBB290_659
.LBB290_889:                            ;   in Loop: Header=BB290_498 Depth=1
	v_cmp_eq_u16_sdwa s[30:31], v0, s24 src0_sel:BYTE_0 src1_sel:DWORD
	s_mov_b64 s[0:1], -1
                                        ; implicit-def: $sgpr10
	s_and_saveexec_b64 s[8:9], s[30:31]
; %bb.890:                              ;   in Loop: Header=BB290_498 Depth=1
	s_mov_b32 s10, 0x7fc02000
	s_xor_b64 s[0:1], exec, -1
; %bb.891:                              ;   in Loop: Header=BB290_498 Depth=1
	s_or_b64 exec, exec, s[8:9]
	s_and_b64 s[0:1], s[0:1], exec
	s_or_saveexec_b64 s[6:7], s[6:7]
	v_mov_b32_e32 v20, s10
	s_xor_b64 exec, exec, s[6:7]
	s_cbranch_execz .LBB290_661
.LBB290_892:                            ;   in Loop: Header=BB290_498 Depth=1
	v_cmp_ne_u16_sdwa s[8:9], v0, v1 src0_sel:BYTE_0 src1_sel:DWORD
	s_andn2_b64 s[0:1], s[0:1], exec
	s_and_b64 s[8:9], s[8:9], exec
	v_mov_b32_e32 v20, 0
	s_or_b64 s[0:1], s[0:1], s[8:9]
	s_or_b64 exec, exec, s[6:7]
	s_and_saveexec_b64 s[6:7], s[0:1]
	s_cbranch_execnz .LBB290_662
	s_branch .LBB290_663
.LBB290_893:                            ;   in Loop: Header=BB290_498 Depth=1
	v_cmp_eq_u16_e64 s[0:1], s24, v0
	s_mov_b64 s[6:7], -1
                                        ; implicit-def: $sgpr30
	s_and_saveexec_b64 s[10:11], s[0:1]
; %bb.894:                              ;   in Loop: Header=BB290_498 Depth=1
	s_mov_b32 s30, 0x7fc02000
	s_xor_b64 s[6:7], exec, -1
; %bb.895:                              ;   in Loop: Header=BB290_498 Depth=1
	s_or_b64 exec, exec, s[10:11]
	s_and_b64 s[6:7], s[6:7], exec
	s_or_saveexec_b64 s[8:9], s[8:9]
	v_mov_b32_e32 v22, s30
	s_xor_b64 exec, exec, s[8:9]
	s_cbranch_execz .LBB290_665
.LBB290_896:                            ;   in Loop: Header=BB290_498 Depth=1
	v_cmp_ne_u16_e64 s[0:1], 0, v0
	s_andn2_b64 s[6:7], s[6:7], exec
	s_and_b64 s[0:1], s[0:1], exec
	v_mov_b32_e32 v22, 0
	s_or_b64 s[6:7], s[6:7], s[0:1]
	s_or_b64 exec, exec, s[8:9]
	s_and_saveexec_b64 s[8:9], s[6:7]
	s_cbranch_execnz .LBB290_666
	s_branch .LBB290_667
.LBB290_897:                            ;   in Loop: Header=BB290_498 Depth=1
	v_cmp_eq_u16_sdwa s[30:31], v20, s24 src0_sel:BYTE_0 src1_sel:DWORD
	s_mov_b64 s[0:1], -1
                                        ; implicit-def: $sgpr10
	s_and_saveexec_b64 s[8:9], s[30:31]
; %bb.898:                              ;   in Loop: Header=BB290_498 Depth=1
	s_mov_b32 s10, 0x7fc02000
	s_xor_b64 s[0:1], exec, -1
; %bb.899:                              ;   in Loop: Header=BB290_498 Depth=1
	s_or_b64 exec, exec, s[8:9]
	s_and_b64 s[0:1], s[0:1], exec
	s_or_saveexec_b64 s[6:7], s[6:7]
	v_mov_b32_e32 v24, s10
	s_xor_b64 exec, exec, s[6:7]
	s_cbranch_execz .LBB290_671
.LBB290_900:                            ;   in Loop: Header=BB290_498 Depth=1
	v_cmp_ne_u16_sdwa s[8:9], v20, v1 src0_sel:BYTE_0 src1_sel:DWORD
	s_andn2_b64 s[0:1], s[0:1], exec
	s_and_b64 s[8:9], s[8:9], exec
	v_mov_b32_e32 v24, 0
	s_or_b64 s[0:1], s[0:1], s[8:9]
	s_or_b64 exec, exec, s[6:7]
	s_and_saveexec_b64 s[6:7], s[0:1]
	s_cbranch_execnz .LBB290_672
	s_branch .LBB290_673
.LBB290_901:                            ;   in Loop: Header=BB290_498 Depth=1
	v_cmp_eq_u16_e64 s[0:1], s24, v0
	s_mov_b64 s[6:7], -1
                                        ; implicit-def: $sgpr30
	s_and_saveexec_b64 s[10:11], s[0:1]
; %bb.902:                              ;   in Loop: Header=BB290_498 Depth=1
	s_mov_b32 s30, 0x7fc02000
	s_xor_b64 s[6:7], exec, -1
; %bb.903:                              ;   in Loop: Header=BB290_498 Depth=1
	s_or_b64 exec, exec, s[10:11]
	s_and_b64 s[6:7], s[6:7], exec
	s_or_saveexec_b64 s[8:9], s[8:9]
	v_mov_b32_e32 v28, s30
	s_xor_b64 exec, exec, s[8:9]
	s_cbranch_execz .LBB290_675
.LBB290_904:                            ;   in Loop: Header=BB290_498 Depth=1
	v_cmp_ne_u16_e64 s[0:1], 0, v0
	s_andn2_b64 s[6:7], s[6:7], exec
	s_and_b64 s[0:1], s[0:1], exec
	v_mov_b32_e32 v28, 0
	s_or_b64 s[6:7], s[6:7], s[0:1]
	s_or_b64 exec, exec, s[8:9]
	s_and_saveexec_b64 s[8:9], s[6:7]
	s_cbranch_execnz .LBB290_676
	s_branch .LBB290_677
.LBB290_905:                            ;   in Loop: Header=BB290_498 Depth=1
	v_cmp_eq_u16_sdwa s[30:31], v0, s24 src0_sel:BYTE_0 src1_sel:DWORD
	s_mov_b64 s[0:1], -1
                                        ; implicit-def: $sgpr10
	s_and_saveexec_b64 s[8:9], s[30:31]
; %bb.906:                              ;   in Loop: Header=BB290_498 Depth=1
	s_mov_b32 s10, 0x7fc02000
	s_xor_b64 s[0:1], exec, -1
; %bb.907:                              ;   in Loop: Header=BB290_498 Depth=1
	s_or_b64 exec, exec, s[8:9]
	s_and_b64 s[0:1], s[0:1], exec
	s_or_saveexec_b64 s[6:7], s[6:7]
	v_mov_b32_e32 v25, s10
	s_xor_b64 exec, exec, s[6:7]
	s_cbranch_execz .LBB290_679
.LBB290_908:                            ;   in Loop: Header=BB290_498 Depth=1
	v_cmp_ne_u16_sdwa s[8:9], v0, v1 src0_sel:BYTE_0 src1_sel:DWORD
	s_andn2_b64 s[0:1], s[0:1], exec
	s_and_b64 s[8:9], s[8:9], exec
	v_mov_b32_e32 v25, 0
	s_or_b64 s[0:1], s[0:1], s[8:9]
	s_or_b64 exec, exec, s[6:7]
	s_and_saveexec_b64 s[6:7], s[0:1]
	s_cbranch_execnz .LBB290_680
	s_branch .LBB290_681
.LBB290_909:                            ;   in Loop: Header=BB290_498 Depth=1
	v_cmp_eq_u16_e64 s[0:1], s24, v0
	s_mov_b64 s[6:7], -1
                                        ; implicit-def: $sgpr30
	s_and_saveexec_b64 s[10:11], s[0:1]
; %bb.910:                              ;   in Loop: Header=BB290_498 Depth=1
	s_mov_b32 s30, 0x7fc02000
	s_xor_b64 s[6:7], exec, -1
; %bb.911:                              ;   in Loop: Header=BB290_498 Depth=1
	s_or_b64 exec, exec, s[10:11]
	s_and_b64 s[6:7], s[6:7], exec
	s_or_saveexec_b64 s[8:9], s[8:9]
	v_mov_b32_e32 v29, s30
	s_xor_b64 exec, exec, s[8:9]
	s_cbranch_execz .LBB290_683
.LBB290_912:                            ;   in Loop: Header=BB290_498 Depth=1
	v_cmp_ne_u16_e64 s[0:1], 0, v0
	s_andn2_b64 s[6:7], s[6:7], exec
	s_and_b64 s[0:1], s[0:1], exec
	v_mov_b32_e32 v29, 0
	s_or_b64 s[6:7], s[6:7], s[0:1]
	s_or_b64 exec, exec, s[8:9]
	s_and_saveexec_b64 s[8:9], s[6:7]
	s_cbranch_execnz .LBB290_684
	s_branch .LBB290_685
.LBB290_913:                            ;   in Loop: Header=BB290_498 Depth=1
	v_cmp_eq_u16_sdwa s[30:31], v21, s24 src0_sel:BYTE_0 src1_sel:DWORD
	s_mov_b64 s[0:1], -1
                                        ; implicit-def: $sgpr10
	s_and_saveexec_b64 s[8:9], s[30:31]
; %bb.914:                              ;   in Loop: Header=BB290_498 Depth=1
	s_mov_b32 s10, 0x7fc02000
	s_xor_b64 s[0:1], exec, -1
; %bb.915:                              ;   in Loop: Header=BB290_498 Depth=1
	s_or_b64 exec, exec, s[8:9]
	s_and_b64 s[0:1], s[0:1], exec
	s_or_saveexec_b64 s[6:7], s[6:7]
	v_mov_b32_e32 v15, s10
	s_xor_b64 exec, exec, s[6:7]
	s_cbranch_execz .LBB290_687
.LBB290_916:                            ;   in Loop: Header=BB290_498 Depth=1
	v_cmp_ne_u16_sdwa s[8:9], v21, v1 src0_sel:BYTE_0 src1_sel:DWORD
	s_andn2_b64 s[0:1], s[0:1], exec
	s_and_b64 s[8:9], s[8:9], exec
	v_mov_b32_e32 v15, 0
	s_or_b64 s[0:1], s[0:1], s[8:9]
	s_or_b64 exec, exec, s[6:7]
	v_mov_b32_e32 v0, v21
	s_and_saveexec_b64 s[6:7], s[0:1]
	s_cbranch_execnz .LBB290_688
	s_branch .LBB290_689
.LBB290_917:                            ;   in Loop: Header=BB290_498 Depth=1
	v_cmp_eq_u16_e64 s[0:1], s24, v0
	s_mov_b64 s[6:7], -1
                                        ; implicit-def: $sgpr30
	s_and_saveexec_b64 s[10:11], s[0:1]
; %bb.918:                              ;   in Loop: Header=BB290_498 Depth=1
	s_mov_b32 s30, 0x7fc02000
	s_xor_b64 s[6:7], exec, -1
; %bb.919:                              ;   in Loop: Header=BB290_498 Depth=1
	s_or_b64 exec, exec, s[10:11]
	s_and_b64 s[6:7], s[6:7], exec
	s_or_saveexec_b64 s[8:9], s[8:9]
	v_mov_b32_e32 v20, s30
	s_xor_b64 exec, exec, s[8:9]
	s_cbranch_execz .LBB290_691
.LBB290_920:                            ;   in Loop: Header=BB290_498 Depth=1
	v_cmp_ne_u16_e64 s[0:1], 0, v0
	s_andn2_b64 s[6:7], s[6:7], exec
	s_and_b64 s[0:1], s[0:1], exec
	v_mov_b32_e32 v20, 0
	s_or_b64 s[6:7], s[6:7], s[0:1]
	s_or_b64 exec, exec, s[8:9]
	s_and_saveexec_b64 s[8:9], s[6:7]
	s_cbranch_execnz .LBB290_692
	s_branch .LBB290_693
.LBB290_921:                            ;   in Loop: Header=BB290_498 Depth=1
	v_cmp_eq_u16_sdwa s[30:31], v0, s24 src0_sel:BYTE_0 src1_sel:DWORD
	s_mov_b64 s[0:1], -1
                                        ; implicit-def: $sgpr10
	s_and_saveexec_b64 s[8:9], s[30:31]
; %bb.922:                              ;   in Loop: Header=BB290_498 Depth=1
	s_mov_b32 s10, 0x7fc02000
	s_xor_b64 s[0:1], exec, -1
; %bb.923:                              ;   in Loop: Header=BB290_498 Depth=1
	s_or_b64 exec, exec, s[8:9]
	s_and_b64 s[0:1], s[0:1], exec
	s_or_saveexec_b64 s[6:7], s[6:7]
	v_mov_b32_e32 v26, s10
	s_xor_b64 exec, exec, s[6:7]
	s_cbranch_execz .LBB290_695
.LBB290_924:                            ;   in Loop: Header=BB290_498 Depth=1
	v_cmp_ne_u16_sdwa s[8:9], v0, v1 src0_sel:BYTE_0 src1_sel:DWORD
	s_andn2_b64 s[0:1], s[0:1], exec
	s_and_b64 s[8:9], s[8:9], exec
	v_mov_b32_e32 v26, 0
	s_or_b64 s[0:1], s[0:1], s[8:9]
	s_or_b64 exec, exec, s[6:7]
	s_and_saveexec_b64 s[6:7], s[0:1]
	s_cbranch_execnz .LBB290_696
	s_branch .LBB290_697
.LBB290_925:                            ;   in Loop: Header=BB290_498 Depth=1
	v_cmp_eq_u16_e64 s[0:1], s24, v0
	s_mov_b64 s[6:7], -1
                                        ; implicit-def: $sgpr30
	s_and_saveexec_b64 s[10:11], s[0:1]
; %bb.926:                              ;   in Loop: Header=BB290_498 Depth=1
	s_mov_b32 s30, 0x7fc02000
	s_xor_b64 s[6:7], exec, -1
; %bb.927:                              ;   in Loop: Header=BB290_498 Depth=1
	s_or_b64 exec, exec, s[10:11]
	s_and_b64 s[6:7], s[6:7], exec
	s_or_saveexec_b64 s[8:9], s[8:9]
	v_mov_b32_e32 v27, s30
	s_xor_b64 exec, exec, s[8:9]
	s_cbranch_execz .LBB290_699
.LBB290_928:                            ;   in Loop: Header=BB290_498 Depth=1
	v_cmp_ne_u16_e64 s[0:1], 0, v0
	s_andn2_b64 s[6:7], s[6:7], exec
	s_and_b64 s[0:1], s[0:1], exec
	v_mov_b32_e32 v27, 0
	s_or_b64 s[6:7], s[6:7], s[0:1]
	s_or_b64 exec, exec, s[8:9]
	s_and_saveexec_b64 s[8:9], s[6:7]
	s_cbranch_execnz .LBB290_700
	s_branch .LBB290_701
.LBB290_929:                            ;   in Loop: Header=BB290_498 Depth=1
	v_cmp_eq_u16_sdwa s[30:31], v14, s24 src0_sel:BYTE_0 src1_sel:DWORD
	s_mov_b64 s[0:1], -1
                                        ; implicit-def: $sgpr10
	s_and_saveexec_b64 s[8:9], s[30:31]
; %bb.930:                              ;   in Loop: Header=BB290_498 Depth=1
	s_mov_b32 s10, 0x7fc02000
	s_xor_b64 s[0:1], exec, -1
; %bb.931:                              ;   in Loop: Header=BB290_498 Depth=1
	s_or_b64 exec, exec, s[8:9]
	s_and_b64 s[0:1], s[0:1], exec
	s_or_saveexec_b64 s[6:7], s[6:7]
	v_mov_b32_e32 v20, s10
	s_xor_b64 exec, exec, s[6:7]
	s_cbranch_execz .LBB290_705
.LBB290_932:                            ;   in Loop: Header=BB290_498 Depth=1
	v_cmp_ne_u16_sdwa s[8:9], v14, v1 src0_sel:BYTE_0 src1_sel:DWORD
	s_andn2_b64 s[0:1], s[0:1], exec
	s_and_b64 s[8:9], s[8:9], exec
	v_mov_b32_e32 v20, 0
	s_or_b64 s[0:1], s[0:1], s[8:9]
	s_or_b64 exec, exec, s[6:7]
	s_and_saveexec_b64 s[6:7], s[0:1]
	s_cbranch_execnz .LBB290_706
	s_branch .LBB290_707
.LBB290_933:                            ;   in Loop: Header=BB290_498 Depth=1
	v_cmp_eq_u16_e64 s[0:1], s24, v0
	s_mov_b64 s[6:7], -1
                                        ; implicit-def: $sgpr30
	s_and_saveexec_b64 s[10:11], s[0:1]
; %bb.934:                              ;   in Loop: Header=BB290_498 Depth=1
	s_mov_b32 s30, 0x7fc02000
	s_xor_b64 s[6:7], exec, -1
; %bb.935:                              ;   in Loop: Header=BB290_498 Depth=1
	s_or_b64 exec, exec, s[10:11]
	s_and_b64 s[6:7], s[6:7], exec
	s_or_saveexec_b64 s[8:9], s[8:9]
	v_mov_b32_e32 v24, s30
	s_xor_b64 exec, exec, s[8:9]
	s_cbranch_execz .LBB290_709
.LBB290_936:                            ;   in Loop: Header=BB290_498 Depth=1
	v_cmp_ne_u16_e64 s[0:1], 0, v0
	s_andn2_b64 s[6:7], s[6:7], exec
	s_and_b64 s[0:1], s[0:1], exec
	v_mov_b32_e32 v24, 0
	s_or_b64 s[6:7], s[6:7], s[0:1]
	s_or_b64 exec, exec, s[8:9]
	s_and_saveexec_b64 s[8:9], s[6:7]
	s_cbranch_execnz .LBB290_710
	s_branch .LBB290_711
.LBB290_937:                            ;   in Loop: Header=BB290_498 Depth=1
	v_cmp_eq_u16_sdwa s[30:31], v0, s24 src0_sel:BYTE_0 src1_sel:DWORD
	s_mov_b64 s[0:1], -1
                                        ; implicit-def: $sgpr10
	s_and_saveexec_b64 s[8:9], s[30:31]
; %bb.938:                              ;   in Loop: Header=BB290_498 Depth=1
	s_mov_b32 s10, 0x7fc02000
	s_xor_b64 s[0:1], exec, -1
; %bb.939:                              ;   in Loop: Header=BB290_498 Depth=1
	s_or_b64 exec, exec, s[8:9]
	s_and_b64 s[0:1], s[0:1], exec
	s_or_saveexec_b64 s[6:7], s[6:7]
	v_mov_b32_e32 v21, s10
	s_xor_b64 exec, exec, s[6:7]
	s_cbranch_execz .LBB290_713
.LBB290_940:                            ;   in Loop: Header=BB290_498 Depth=1
	v_cmp_ne_u16_sdwa s[8:9], v0, v1 src0_sel:BYTE_0 src1_sel:DWORD
	s_andn2_b64 s[0:1], s[0:1], exec
	s_and_b64 s[8:9], s[8:9], exec
	v_mov_b32_e32 v21, 0
	s_or_b64 s[0:1], s[0:1], s[8:9]
	s_or_b64 exec, exec, s[6:7]
	s_and_saveexec_b64 s[6:7], s[0:1]
	s_cbranch_execnz .LBB290_714
	s_branch .LBB290_715
.LBB290_941:                            ;   in Loop: Header=BB290_498 Depth=1
	v_cmp_eq_u16_e64 s[0:1], s24, v0
	s_mov_b64 s[6:7], -1
                                        ; implicit-def: $sgpr30
	s_and_saveexec_b64 s[10:11], s[0:1]
; %bb.942:                              ;   in Loop: Header=BB290_498 Depth=1
	s_mov_b32 s30, 0x7fc02000
	s_xor_b64 s[6:7], exec, -1
; %bb.943:                              ;   in Loop: Header=BB290_498 Depth=1
	s_or_b64 exec, exec, s[10:11]
	s_and_b64 s[6:7], s[6:7], exec
	s_or_saveexec_b64 s[8:9], s[8:9]
	v_mov_b32_e32 v25, s30
	s_xor_b64 exec, exec, s[8:9]
	s_cbranch_execz .LBB290_717
.LBB290_944:                            ;   in Loop: Header=BB290_498 Depth=1
	v_cmp_ne_u16_e64 s[0:1], 0, v0
	s_andn2_b64 s[6:7], s[6:7], exec
	s_and_b64 s[0:1], s[0:1], exec
	v_mov_b32_e32 v25, 0
	s_or_b64 s[6:7], s[6:7], s[0:1]
	s_or_b64 exec, exec, s[8:9]
	s_and_saveexec_b64 s[8:9], s[6:7]
	s_cbranch_execnz .LBB290_718
	s_branch .LBB290_719
.LBB290_945:                            ;   in Loop: Header=BB290_498 Depth=1
	v_cmp_eq_u16_sdwa s[30:31], v15, s24 src0_sel:BYTE_0 src1_sel:DWORD
	s_mov_b64 s[0:1], -1
                                        ; implicit-def: $sgpr10
	s_and_saveexec_b64 s[8:9], s[30:31]
; %bb.946:                              ;   in Loop: Header=BB290_498 Depth=1
	s_mov_b32 s10, 0x7fc02000
	s_xor_b64 s[0:1], exec, -1
; %bb.947:                              ;   in Loop: Header=BB290_498 Depth=1
	s_or_b64 exec, exec, s[8:9]
	s_and_b64 s[0:1], s[0:1], exec
	s_or_saveexec_b64 s[6:7], s[6:7]
	v_mov_b32_e32 v13, s10
	s_xor_b64 exec, exec, s[6:7]
	s_cbranch_execz .LBB290_721
.LBB290_948:                            ;   in Loop: Header=BB290_498 Depth=1
	v_cmp_ne_u16_sdwa s[8:9], v15, v1 src0_sel:BYTE_0 src1_sel:DWORD
	s_andn2_b64 s[0:1], s[0:1], exec
	s_and_b64 s[8:9], s[8:9], exec
	v_mov_b32_e32 v13, 0
	s_or_b64 s[0:1], s[0:1], s[8:9]
	s_or_b64 exec, exec, s[6:7]
	v_mov_b32_e32 v0, v15
	s_and_saveexec_b64 s[6:7], s[0:1]
	s_cbranch_execnz .LBB290_722
	s_branch .LBB290_723
.LBB290_949:                            ;   in Loop: Header=BB290_498 Depth=1
	v_cmp_eq_u16_e64 s[0:1], s24, v0
	s_mov_b64 s[6:7], -1
                                        ; implicit-def: $sgpr30
	s_and_saveexec_b64 s[10:11], s[0:1]
; %bb.950:                              ;   in Loop: Header=BB290_498 Depth=1
	s_mov_b32 s30, 0x7fc02000
	s_xor_b64 s[6:7], exec, -1
; %bb.951:                              ;   in Loop: Header=BB290_498 Depth=1
	s_or_b64 exec, exec, s[10:11]
	s_and_b64 s[6:7], s[6:7], exec
	s_or_saveexec_b64 s[8:9], s[8:9]
	v_mov_b32_e32 v14, s30
	s_xor_b64 exec, exec, s[8:9]
	s_cbranch_execz .LBB290_725
.LBB290_952:                            ;   in Loop: Header=BB290_498 Depth=1
	v_cmp_ne_u16_e64 s[0:1], 0, v0
	s_andn2_b64 s[6:7], s[6:7], exec
	s_and_b64 s[0:1], s[0:1], exec
	v_mov_b32_e32 v14, 0
	s_or_b64 s[6:7], s[6:7], s[0:1]
	s_or_b64 exec, exec, s[8:9]
	s_and_saveexec_b64 s[8:9], s[6:7]
	s_cbranch_execnz .LBB290_726
	s_branch .LBB290_727
.LBB290_953:                            ;   in Loop: Header=BB290_498 Depth=1
	v_cmp_eq_u16_sdwa s[30:31], v0, s24 src0_sel:BYTE_0 src1_sel:DWORD
	s_mov_b64 s[0:1], -1
                                        ; implicit-def: $sgpr10
	s_and_saveexec_b64 s[8:9], s[30:31]
; %bb.954:                              ;   in Loop: Header=BB290_498 Depth=1
	s_mov_b32 s10, 0x7fc02000
	s_xor_b64 s[0:1], exec, -1
; %bb.955:                              ;   in Loop: Header=BB290_498 Depth=1
	s_or_b64 exec, exec, s[8:9]
	s_and_b64 s[0:1], s[0:1], exec
	s_or_saveexec_b64 s[6:7], s[6:7]
	v_mov_b32_e32 v28, s10
	s_xor_b64 exec, exec, s[6:7]
	s_cbranch_execz .LBB290_729
.LBB290_956:                            ;   in Loop: Header=BB290_498 Depth=1
	v_cmp_ne_u16_sdwa s[8:9], v0, v1 src0_sel:BYTE_0 src1_sel:DWORD
	s_andn2_b64 s[0:1], s[0:1], exec
	s_and_b64 s[8:9], s[8:9], exec
	v_mov_b32_e32 v28, 0
	s_or_b64 s[0:1], s[0:1], s[8:9]
	s_or_b64 exec, exec, s[6:7]
	s_and_saveexec_b64 s[6:7], s[0:1]
	s_cbranch_execnz .LBB290_730
	s_branch .LBB290_731
.LBB290_957:                            ;   in Loop: Header=BB290_498 Depth=1
	v_cmp_eq_u16_e64 s[0:1], s24, v0
	s_mov_b64 s[6:7], -1
                                        ; implicit-def: $sgpr30
	s_and_saveexec_b64 s[10:11], s[0:1]
; %bb.958:                              ;   in Loop: Header=BB290_498 Depth=1
	s_mov_b32 s30, 0x7fc02000
	s_xor_b64 s[6:7], exec, -1
; %bb.959:                              ;   in Loop: Header=BB290_498 Depth=1
	s_or_b64 exec, exec, s[10:11]
	s_and_b64 s[6:7], s[6:7], exec
	s_or_saveexec_b64 s[8:9], s[8:9]
	v_mov_b32_e32 v29, s30
	s_xor_b64 exec, exec, s[8:9]
	s_cbranch_execz .LBB290_733
.LBB290_960:                            ;   in Loop: Header=BB290_498 Depth=1
	v_cmp_ne_u16_e64 s[0:1], 0, v0
	s_andn2_b64 s[6:7], s[6:7], exec
	s_and_b64 s[0:1], s[0:1], exec
	v_mov_b32_e32 v29, 0
	s_or_b64 s[6:7], s[6:7], s[0:1]
	s_or_b64 exec, exec, s[8:9]
	s_and_saveexec_b64 s[8:9], s[6:7]
	s_cbranch_execnz .LBB290_734
	s_branch .LBB290_735
.LBB290_961:
	s_or_b64 exec, exec, s[22:23]
	v_accvgpr_read_b32 v16, a16
.LBB290_962:
	s_or_b64 exec, exec, s[20:21]
	ds_bpermute_b32 v0, v50, v32
	ds_bpermute_b32 v1, v50, v33
	;; [unrolled: 1-line block ×7, first 2 shown]
	s_waitcnt lgkmcnt(0)
	v_pk_add_f32 v[0:1], v[32:33], v[0:1]
	ds_bpermute_b32 v4, v54, v0
	ds_bpermute_b32 v5, v54, v1
	v_pk_add_f32 v[2:3], v[34:35], v[2:3]
	v_pk_add_f32 v[6:7], v[36:37], v[6:7]
	v_add_f32_e32 v14, v38, v8
	ds_bpermute_b32 v10, v54, v2
	ds_bpermute_b32 v11, v54, v3
	;; [unrolled: 1-line block ×5, first 2 shown]
	s_waitcnt lgkmcnt(0)
	v_pk_add_f32 v[8:9], v[0:1], v[4:5]
	v_accvgpr_read_b32 v4, a2
	v_and_b32_e32 v4, 0x3c3, v4
	v_pk_add_f32 v[2:3], v[2:3], v[10:11]
	v_pk_add_f32 v[0:1], v[6:7], v[12:13]
	v_add_f32_e32 v6, v14, v15
	v_cmp_eq_u32_e32 vcc, 64, v4
	s_barrier
	s_and_saveexec_b64 s[0:1], vcc
	s_cbranch_execz .LBB290_964
; %bb.963:
	v_add_u32_e32 v5, s3, v39
	ds_write2_b32 v5, v8, v9 offset1:16
	ds_write2_b32 v5, v2, v3 offset0:32 offset1:48
	ds_write2_b32 v5, v0, v1 offset0:64 offset1:80
	ds_write_b32 v5, v6 offset:384
.LBB290_964:
	s_or_b64 exec, exec, s[0:1]
	v_accvgpr_read_b32 v5, a2
	s_waitcnt lgkmcnt(0)
	s_barrier
	v_cmp_gt_u32_e32 vcc, 64, v5
	s_mov_b64 s[0:1], exec
	v_accvgpr_read_b32 v13, a1
	s_and_b64 s[4:5], s[0:1], vcc
	v_accvgpr_read_b32 v12, a0
	s_mov_b64 exec, s[4:5]
	s_cbranch_execz .LBB290_974
; %bb.965:
	v_accvgpr_read_b32 v5, a2
	v_lshrrev_b32_e32 v5, 2, v5
	v_cmp_eq_u32_e32 vcc, 0, v16
	v_lshl_add_u32 v7, v5, 2, s3
	s_and_saveexec_b64 s[4:5], vcc
	s_cbranch_execnz .LBB290_977
; %bb.966:
	s_or_b64 exec, exec, s[4:5]
	s_and_saveexec_b64 s[4:5], vcc
	s_cbranch_execnz .LBB290_978
.LBB290_967:
	s_or_b64 exec, exec, s[4:5]
	s_and_saveexec_b64 s[4:5], vcc
	s_cbranch_execnz .LBB290_979
.LBB290_968:
	s_or_b64 exec, exec, s[4:5]
	s_and_saveexec_b64 s[4:5], vcc
	s_cbranch_execnz .LBB290_980
.LBB290_969:
	s_or_b64 exec, exec, s[4:5]
	s_and_saveexec_b64 s[4:5], vcc
	s_cbranch_execnz .LBB290_981
.LBB290_970:
	s_or_b64 exec, exec, s[4:5]
	s_and_saveexec_b64 s[4:5], vcc
	s_cbranch_execnz .LBB290_982
.LBB290_971:
	s_or_b64 exec, exec, s[4:5]
	s_and_saveexec_b64 s[4:5], vcc
	s_cbranch_execz .LBB290_973
.LBB290_972:
	s_load_dword s3, s[12:13], 0x0
	s_waitcnt lgkmcnt(0)
	v_lshl_add_u32 v5, v5, 2, s3
	ds_read_b32 v5, v5 offset:384
	s_waitcnt lgkmcnt(0)
	v_add_f32_e32 v6, v6, v5
.LBB290_973:
	s_or_b64 exec, exec, s[4:5]
.LBB290_974:
	s_or_b64 exec, exec, s[0:1]
	v_cmp_eq_u32_e32 vcc, 0, v4
	s_barrier
	s_and_b64 exec, exec, vcc
	s_cbranch_execz .LBB290_976
; %bb.975:
	s_mul_i32 s0, s2, 0x70
	s_mul_i32 s2, s18, s19
	;; [unrolled: 1-line block ×3, first 2 shown]
	s_ashr_i32 s1, s0, 31
	s_ashr_i32 s3, s2, 31
	;; [unrolled: 1-line block ×3, first 2 shown]
	s_lshl_b64 s[0:1], s[0:1], 1
	s_lshl_b64 s[2:3], s[2:3], 1
	;; [unrolled: 1-line block ×3, first 2 shown]
	s_add_u32 s2, s4, s2
	s_addc_u32 s3, s5, s3
	s_add_u32 s0, s2, s0
	s_addc_u32 s1, s3, s1
	v_accvgpr_read_b32 v7, a2
	v_lshl_add_u64 v[4:5], s[0:1], 0, v[12:13]
	v_lshrrev_b32_e32 v10, 1, v7
	v_mov_b32_e32 v11, 0
	v_lshl_add_u64 v[4:5], v[4:5], 0, v[10:11]
	;;#ASMSTART
	v_cvt_f16_f32 v7, v8;

	;;#ASMEND
	flat_store_short v[4:5], v7
	;;#ASMSTART
	v_cvt_f16_f32 v7, v9;

	;;#ASMEND
	flat_store_short v[4:5], v7 offset:32
	;;#ASMSTART
	v_cvt_f16_f32 v2, v2;

	;;#ASMEND
	flat_store_short v[4:5], v2 offset:64
	;; [unrolled: 5-line block ×6, first 2 shown]
.LBB290_976:
	s_or_b64 exec, exec, s[16:17]
	scratch_load_dword a59, off, s32 offset:8 ; 4-byte Folded Reload
	scratch_load_dword a58, off, s32 offset:12 ; 4-byte Folded Reload
	;; [unrolled: 1-line block ×43, first 2 shown]
	v_readlane_b32 s30, v63, 6
	v_readlane_b32 s31, v63, 7
	;; [unrolled: 1-line block ×8, first 2 shown]
	s_or_saveexec_b64 s[0:1], -1
	scratch_load_dword v63, off, s32 offset:188 ; 4-byte Folded Reload
	s_mov_b64 exec, s[0:1]
	s_waitcnt vmcnt(0) lgkmcnt(0)
	s_setpc_b64 s[30:31]
.LBB290_977:
	ds_read_b32 v10, v7
	s_waitcnt lgkmcnt(0)
	v_add_f32_e32 v8, v8, v10
	s_or_b64 exec, exec, s[4:5]
	s_and_saveexec_b64 s[4:5], vcc
	s_cbranch_execz .LBB290_967
.LBB290_978:
	ds_read_b32 v10, v7 offset:64
	s_waitcnt lgkmcnt(0)
	v_add_f32_e32 v9, v9, v10
	s_or_b64 exec, exec, s[4:5]
	s_and_saveexec_b64 s[4:5], vcc
	s_cbranch_execz .LBB290_968
.LBB290_979:
	ds_read_b32 v10, v7 offset:128
	s_waitcnt lgkmcnt(0)
	v_add_f32_e32 v2, v2, v10
	s_or_b64 exec, exec, s[4:5]
	s_and_saveexec_b64 s[4:5], vcc
	s_cbranch_execz .LBB290_969
.LBB290_980:
	ds_read_b32 v10, v7 offset:192
	s_waitcnt lgkmcnt(0)
	v_add_f32_e32 v3, v3, v10
	s_or_b64 exec, exec, s[4:5]
	s_and_saveexec_b64 s[4:5], vcc
	s_cbranch_execz .LBB290_970
.LBB290_981:
	ds_read_b32 v7, v7 offset:256
	s_waitcnt lgkmcnt(0)
	v_add_f32_e32 v0, v0, v7
	s_or_b64 exec, exec, s[4:5]
	s_and_saveexec_b64 s[4:5], vcc
	s_cbranch_execz .LBB290_971
.LBB290_982:
	s_load_dword s3, s[12:13], 0x0
	s_waitcnt lgkmcnt(0)
	v_lshl_add_u32 v7, v5, 2, s3
	ds_read_b32 v7, v7 offset:320
	s_waitcnt lgkmcnt(0)
	v_add_f32_e32 v1, v1, v7
	s_or_b64 exec, exec, s[4:5]
	s_and_saveexec_b64 s[4:5], vcc
	s_cbranch_execnz .LBB290_972
	s_branch .LBB290_973
.Lfunc_end290:
	.size	_ZN4vllm22paged_attention_kernelIthLi112ELi32ELi128ELNS_18Fp8KVCacheDataTypeE1ELb1ELi512EEEvPfS2_PT_PKS3_PKT0_S9_ifPKiSB_iPKfiiiSD_SD_iiiii, .Lfunc_end290-_ZN4vllm22paged_attention_kernelIthLi112ELi32ELi128ELNS_18Fp8KVCacheDataTypeE1ELb1ELi512EEEvPfS2_PT_PKS3_PKT0_S9_ifPKiSB_iPKfiiiSD_SD_iiiii
                                        ; -- End function
	.section	.AMDGPU.csdata,"",@progbits
; Function info:
; codeLenInByte = 41724
; NumSgprs: 46
; NumVgprs: 64
; NumAgprs: 60
; TotalNumVgprs: 124
; ScratchSize: 196
; MemoryBound: 0
	.section	.text._ZN4vllm25paged_attention_v2_kernelIthLi112ELi32ELi128ELNS_18Fp8KVCacheDataTypeE1ELb1ELi512EEEvPfS2_PT_PKS3_PKT0_S9_ifPKiSB_iPKfiiiSD_SD_iiiii,"axG",@progbits,_ZN4vllm25paged_attention_v2_kernelIthLi112ELi32ELi128ELNS_18Fp8KVCacheDataTypeE1ELb1ELi512EEEvPfS2_PT_PKS3_PKT0_S9_ifPKiSB_iPKfiiiSD_SD_iiiii,comdat
	.protected	_ZN4vllm25paged_attention_v2_kernelIthLi112ELi32ELi128ELNS_18Fp8KVCacheDataTypeE1ELb1ELi512EEEvPfS2_PT_PKS3_PKT0_S9_ifPKiSB_iPKfiiiSD_SD_iiiii ; -- Begin function _ZN4vllm25paged_attention_v2_kernelIthLi112ELi32ELi128ELNS_18Fp8KVCacheDataTypeE1ELb1ELi512EEEvPfS2_PT_PKS3_PKT0_S9_ifPKiSB_iPKfiiiSD_SD_iiiii
	.globl	_ZN4vllm25paged_attention_v2_kernelIthLi112ELi32ELi128ELNS_18Fp8KVCacheDataTypeE1ELb1ELi512EEEvPfS2_PT_PKS3_PKT0_S9_ifPKiSB_iPKfiiiSD_SD_iiiii
	.p2align	8
	.type	_ZN4vllm25paged_attention_v2_kernelIthLi112ELi32ELi128ELNS_18Fp8KVCacheDataTypeE1ELb1ELi512EEEvPfS2_PT_PKS3_PKT0_S9_ifPKiSB_iPKfiiiSD_SD_iiiii,@function
_ZN4vllm25paged_attention_v2_kernelIthLi112ELi32ELi128ELNS_18Fp8KVCacheDataTypeE1ELb1ELi512EEEvPfS2_PT_PKS3_PKT0_S9_ifPKiSB_iPKfiiiSD_SD_iiiii: ; @_ZN4vllm25paged_attention_v2_kernelIthLi112ELi32ELi128ELNS_18Fp8KVCacheDataTypeE1ELb1ELi512EEEvPfS2_PT_PKS3_PKT0_S9_ifPKiSB_iPKfiiiSD_SD_iiiii
; %bb.0:
	s_load_dwordx8 s[24:31], s[0:1], 0x0
	s_load_dwordx8 s[16:23], s[0:1], 0x20
	s_load_dwordx2 s[6:7], s[0:1], 0x40
	s_load_dwordx4 s[44:47], s[0:1], 0x78
	s_load_dword s5, s[0:1], 0x88
	s_load_dwordx2 s[10:11], s[0:1], 0x50
	s_load_dword s33, s[0:1], 0x48
	s_load_dwordx8 s[36:43], s[0:1], 0x58
	s_mov_b32 s32, 0
	s_waitcnt lgkmcnt(0)
	v_mov_b32_e32 v2, s47
	v_mov_b32_e32 v3, s5
	s_add_u32 s8, s0, 0x90
	scratch_store_dwordx2 off, v[2:3], s32
	s_addc_u32 s9, s1, 0
	s_mov_b32 s12, s2
	s_mov_b32 s13, s3
	;; [unrolled: 1-line block ×4, first 2 shown]
	v_mov_b32_e32 v31, v0
	v_mov_b32_e32 v0, s24
	;; [unrolled: 1-line block ×32, first 2 shown]
	s_getpc_b64 s[0:1]
	s_add_u32 s0, s0, _ZN4vllm22paged_attention_kernelIthLi112ELi32ELi128ELNS_18Fp8KVCacheDataTypeE1ELb1ELi512EEEvPfS2_PT_PKS3_PKT0_S9_ifPKiSB_iPKfiiiSD_SD_iiiii@rel32@lo+4
	s_addc_u32 s1, s1, _ZN4vllm22paged_attention_kernelIthLi112ELi32ELi128ELNS_18Fp8KVCacheDataTypeE1ELb1ELi512EEEvPfS2_PT_PKS3_PKT0_S9_ifPKiSB_iPKfiiiSD_SD_iiiii@rel32@hi+12
	s_swappc_b64 s[30:31], s[0:1]
	s_endpgm
	.section	.rodata,"a",@progbits
	.p2align	6, 0x0
	.amdhsa_kernel _ZN4vllm25paged_attention_v2_kernelIthLi112ELi32ELi128ELNS_18Fp8KVCacheDataTypeE1ELb1ELi512EEEvPfS2_PT_PKS3_PKT0_S9_ifPKiSB_iPKfiiiSD_SD_iiiii
		.amdhsa_group_segment_fixed_size 240
		.amdhsa_private_segment_fixed_size 196
		.amdhsa_kernarg_size 400
		.amdhsa_user_sgpr_count 2
		.amdhsa_user_sgpr_dispatch_ptr 0
		.amdhsa_user_sgpr_queue_ptr 0
		.amdhsa_user_sgpr_kernarg_segment_ptr 1
		.amdhsa_user_sgpr_dispatch_id 0
		.amdhsa_user_sgpr_kernarg_preload_length 0
		.amdhsa_user_sgpr_kernarg_preload_offset 0
		.amdhsa_user_sgpr_private_segment_size 0
		.amdhsa_uses_dynamic_stack 0
		.amdhsa_enable_private_segment 1
		.amdhsa_system_sgpr_workgroup_id_x 1
		.amdhsa_system_sgpr_workgroup_id_y 1
		.amdhsa_system_sgpr_workgroup_id_z 1
		.amdhsa_system_sgpr_workgroup_info 0
		.amdhsa_system_vgpr_workitem_id 0
		.amdhsa_next_free_vgpr 124
		.amdhsa_next_free_sgpr 48
		.amdhsa_accum_offset 64
		.amdhsa_reserve_vcc 1
		.amdhsa_float_round_mode_32 0
		.amdhsa_float_round_mode_16_64 0
		.amdhsa_float_denorm_mode_32 3
		.amdhsa_float_denorm_mode_16_64 3
		.amdhsa_dx10_clamp 1
		.amdhsa_ieee_mode 1
		.amdhsa_fp16_overflow 0
		.amdhsa_tg_split 0
		.amdhsa_exception_fp_ieee_invalid_op 0
		.amdhsa_exception_fp_denorm_src 0
		.amdhsa_exception_fp_ieee_div_zero 0
		.amdhsa_exception_fp_ieee_overflow 0
		.amdhsa_exception_fp_ieee_underflow 0
		.amdhsa_exception_fp_ieee_inexact 0
		.amdhsa_exception_int_div_zero 0
	.end_amdhsa_kernel
	.section	.text._ZN4vllm25paged_attention_v2_kernelIthLi112ELi32ELi128ELNS_18Fp8KVCacheDataTypeE1ELb1ELi512EEEvPfS2_PT_PKS3_PKT0_S9_ifPKiSB_iPKfiiiSD_SD_iiiii,"axG",@progbits,_ZN4vllm25paged_attention_v2_kernelIthLi112ELi32ELi128ELNS_18Fp8KVCacheDataTypeE1ELb1ELi512EEEvPfS2_PT_PKS3_PKT0_S9_ifPKiSB_iPKfiiiSD_SD_iiiii,comdat
.Lfunc_end291:
	.size	_ZN4vllm25paged_attention_v2_kernelIthLi112ELi32ELi128ELNS_18Fp8KVCacheDataTypeE1ELb1ELi512EEEvPfS2_PT_PKS3_PKT0_S9_ifPKiSB_iPKfiiiSD_SD_iiiii, .Lfunc_end291-_ZN4vllm25paged_attention_v2_kernelIthLi112ELi32ELi128ELNS_18Fp8KVCacheDataTypeE1ELb1ELi512EEEvPfS2_PT_PKS3_PKT0_S9_ifPKiSB_iPKfiiiSD_SD_iiiii
                                        ; -- End function
	.section	.AMDGPU.csdata,"",@progbits
; Kernel info:
; codeLenInByte = 272
; NumSgprs: 54
; NumVgprs: 64
; NumAgprs: 60
; TotalNumVgprs: 124
; ScratchSize: 196
; MemoryBound: 0
; FloatMode: 240
; IeeeMode: 1
; LDSByteSize: 240 bytes/workgroup (compile time only)
; SGPRBlocks: 6
; VGPRBlocks: 15
; NumSGPRsForWavesPerEU: 54
; NumVGPRsForWavesPerEU: 124
; AccumOffset: 64
; Occupancy: 4
; WaveLimiterHint : 1
; COMPUTE_PGM_RSRC2:SCRATCH_EN: 1
; COMPUTE_PGM_RSRC2:USER_SGPR: 2
; COMPUTE_PGM_RSRC2:TRAP_HANDLER: 0
; COMPUTE_PGM_RSRC2:TGID_X_EN: 1
; COMPUTE_PGM_RSRC2:TGID_Y_EN: 1
; COMPUTE_PGM_RSRC2:TGID_Z_EN: 1
; COMPUTE_PGM_RSRC2:TIDIG_COMP_CNT: 0
; COMPUTE_PGM_RSRC3_GFX90A:ACCUM_OFFSET: 15
; COMPUTE_PGM_RSRC3_GFX90A:TG_SPLIT: 0
	.text
	.p2align	2                               ; -- Begin function _ZN4vllm22paged_attention_kernelIthLi120ELi32ELi128ELNS_18Fp8KVCacheDataTypeE1ELb1ELi512EEEvPfS2_PT_PKS3_PKT0_S9_ifPKiSB_iPKfiiiSD_SD_iiiii
	.type	_ZN4vllm22paged_attention_kernelIthLi120ELi32ELi128ELNS_18Fp8KVCacheDataTypeE1ELb1ELi512EEEvPfS2_PT_PKS3_PKT0_S9_ifPKiSB_iPKfiiiSD_SD_iiiii,@function
_ZN4vllm22paged_attention_kernelIthLi120ELi32ELi128ELNS_18Fp8KVCacheDataTypeE1ELb1ELi512EEEvPfS2_PT_PKS3_PKT0_S9_ifPKiSB_iPKfiiiSD_SD_iiiii: ; @_ZN4vllm22paged_attention_kernelIthLi120ELi32ELi128ELNS_18Fp8KVCacheDataTypeE1ELb1ELi512EEEvPfS2_PT_PKS3_PKT0_S9_ifPKiSB_iPKfiiiSD_SD_iiiii
; %bb.0:
	s_waitcnt vmcnt(0) expcnt(0) lgkmcnt(0)
	s_or_saveexec_b64 s[0:1], -1
	scratch_store_dword off, v63, s32 offset:200 ; 4-byte Folded Spill
	s_mov_b64 exec, s[0:1]
	scratch_store_dword off, v40, s32 offset:172 ; 4-byte Folded Spill
	scratch_store_dword off, v41, s32 offset:168 ; 4-byte Folded Spill
	;; [unrolled: 1-line block ×42, first 2 shown]
	v_writelane_b32 v63, s34, 0
	v_writelane_b32 v63, s35, 1
	;; [unrolled: 1-line block ×7, first 2 shown]
	s_nop 1
	v_writelane_b32 v63, s31, 7
	s_mov_b32 s20, s13
	v_accvgpr_write_b32 a23, v3
	s_ashr_i32 s21, s13, 31
	v_accvgpr_write_b32 a22, v2
	v_accvgpr_write_b32 a21, v1
	v_lshl_add_u64 v[2:3], s[20:21], 2, v[16:17]
	v_accvgpr_write_b32 a20, v0
	scratch_load_dword v0, off, s32 offset:4
	s_nop 0
	flat_load_dword v2, v[2:3]
	s_nop 0
	scratch_load_dword v1, off, s32
	v_accvgpr_write_b32 a4, v26
	v_accvgpr_write_b32 a33, v25
	v_accvgpr_write_b32 a17, v15
	v_accvgpr_write_b32 a19, v11
	s_lshl_b32 s21, s14, 9
	v_accvgpr_write_b32 a35, v30
	v_accvgpr_write_b32 a5, v27
	;; [unrolled: 1-line block ×4, first 2 shown]
	v_mov_b32_e32 v33, v20
	v_mov_b32_e32 v32, v19
	v_accvgpr_write_b32 a16, v14
	v_accvgpr_write_b32 a34, v13
	;; [unrolled: 1-line block ×3, first 2 shown]
	s_waitcnt vmcnt(0) lgkmcnt(0)
	v_accvgpr_write_b32 a8, v2
	v_cmp_lt_i32_e32 vcc, s21, v2
	s_and_saveexec_b64 s[16:17], vcc
	s_cbranch_execz .LBB292_1084
; %bb.1:
	v_sub_u32_e32 v2, 0, v12
	v_max_i32_e32 v2, v12, v2
	v_cvt_f32_u32_e32 v3, v2
	s_load_dword s0, s[8:9], 0x10
	s_load_dword s2, s[8:9], 0x0
	v_accvgpr_write_b32 a0, v4
	v_accvgpr_write_b32 a1, v5
	v_rcp_iflag_f32_e32 v3, v3
	s_waitcnt lgkmcnt(0)
	s_lshr_b32 s0, s0, 16
	s_cmp_lg_u32 s0, 0
	s_cselect_b64 s[0:1], -1, 0
	v_mul_f32_e32 v3, 0x4f7ffffe, v3
	v_cvt_u32_f32_e32 v3, v3
	v_sub_u32_e32 v5, 0, v2
	s_cmp_lg_u64 s[0:1], 0
	s_mov_b32 s10, s15
	v_mul_lo_u32 v5, v5, v3
	s_addc_u32 s15, s2, 0
	v_mul_hi_u32 v5, v3, v5
	s_abs_i32 s0, s15
	v_add_u32_e32 v3, v3, v5
	v_mul_hi_u32 v3, s0, v3
	v_mul_lo_u32 v5, v3, v2
	v_sub_u32_e32 v5, s0, v5
	v_add_u32_e32 v10, 1, v3
	v_cmp_ge_u32_e32 vcc, v5, v2
	v_xor_b32_e32 v4, s15, v12
	v_ashrrev_i32_e32 v4, 31, v4
	v_cndmask_b32_e32 v3, v3, v10, vcc
	v_sub_u32_e32 v10, v5, v2
	v_cndmask_b32_e32 v5, v5, v10, vcc
	v_add_u32_e32 v10, 1, v3
	v_cmp_ge_u32_e32 vcc, v5, v2
	s_abs_i32 s2, s12
	s_nop 0
	v_cndmask_b32_e32 v2, v3, v10, vcc
	v_xor_b32_e32 v2, v2, v4
	v_sub_u32_e32 v2, v2, v4
	v_sub_u32_e32 v3, 0, v2
	v_max_i32_e32 v3, v2, v3
	v_cvt_f32_u32_e32 v4, v3
	v_sub_u32_e32 v5, 0, v3
	v_cmp_ne_u64_e32 vcc, 0, v[32:33]
	v_rcp_iflag_f32_e32 v4, v4
	s_nop 0
	v_mul_f32_e32 v4, 0x4f7ffffe, v4
	v_cvt_u32_f32_e32 v4, v4
	v_mul_lo_u32 v5, v5, v4
	v_mul_hi_u32 v5, v4, v5
	v_add_u32_e32 v4, v4, v5
	v_mad_u64_u32 v[34:35], s[0:1], s2, v4, 0
	v_mov_b32_e32 v4, 0
	scratch_store_dword off, v4, s32 offset:196 ; 4-byte Folded Spill
	s_and_saveexec_b64 s[0:1], vcc
	s_cbranch_execz .LBB292_3
; %bb.2:
	s_ashr_i32 s13, s12, 31
	v_lshl_add_u64 v[4:5], s[12:13], 2, v[32:33]
	flat_load_dword v4, v[4:5]
	s_waitcnt vmcnt(0) lgkmcnt(0)
	scratch_store_dword off, v4, s32 offset:196 ; 4-byte Folded Spill
.LBB292_3:
	s_or_b64 exec, exec, s[0:1]
	v_and_b32_e32 v5, 0x3ff, v31
	v_lshlrev_b32_e32 v10, 3, v5
	s_ashr_i32 s3, s12, 31
	v_ashrrev_i32_e32 v4, 31, v2
	v_and_b32_e32 v2, 1, v5
	s_movk_i32 s4, 0x78
	s_mul_i32 s18, s12, 0x78
	v_cmp_gt_u32_e32 vcc, 30, v5
	v_accvgpr_write_b32 a2, v5
	v_accvgpr_write_b32 a24, v10
	s_and_saveexec_b64 s[0:1], vcc
	s_cbranch_execz .LBB292_5
; %bb.4:
	v_mul_lo_u32 v10, s20, v21
	v_ashrrev_i32_e32 v11, 31, v10
	v_lshl_add_u64 v[6:7], v[10:11], 1, v[6:7]
	s_ashr_i32 s19, s18, 31
	v_lshl_add_u64 v[6:7], s[18:19], 1, v[6:7]
	v_accvgpr_read_b32 v10, a24
	v_mov_b32_e32 v11, 0
	v_lshl_add_u64 v[6:7], v[6:7], 0, v[10:11]
	flat_load_dwordx2 v[6:7], v[6:7]
	v_accvgpr_read_b32 v5, a2
	v_lshlrev_b32_e32 v5, 2, v5
	v_and_b32_e32 v5, 0xff8, v5
	v_mad_u32_u24 v5, v2, s4, v5
	s_waitcnt vmcnt(0) lgkmcnt(0)
	ds_write_b64 v5, v[6:7]
.LBB292_5:
	s_or_b64 exec, exec, s[0:1]
	v_mul_lo_u32 v5, v35, v3
	v_sub_u32_e32 v5, s2, v5
	v_add_u32_e32 v6, 1, v35
	v_cmp_ge_u32_e32 vcc, v5, v3
	v_sub_u32_e32 v7, v5, v3
	v_xor_b32_e32 v4, s3, v4
	v_cndmask_b32_e32 v6, v35, v6, vcc
	v_cndmask_b32_e32 v5, v5, v7, vcc
	v_add_u32_e32 v7, 1, v6
	v_cmp_ge_u32_e32 vcc, v5, v3
	v_sub_u32_e32 v5, 0, v1
	s_waitcnt lgkmcnt(0)
	v_cndmask_b32_e32 v3, v6, v7, vcc
	v_max_i32_e32 v6, v1, v5
	v_cvt_f32_u32_e32 v5, v6
	v_xor_b32_e32 v3, v3, v4
	v_sub_u32_e32 v32, v3, v4
	v_accvgpr_read_b32 v4, a8
	v_rcp_iflag_f32_e32 v3, v5
	v_accvgpr_write_b32 a3, v6
	v_sub_u32_e32 v6, 0, v6
	v_add_u32_e32 v4, -1, v4
	v_mul_f32_e32 v3, 0x4f7ffffe, v3
	v_cvt_u32_f32_e32 v5, v3
	v_sub_u32_e32 v3, 0, v4
	v_max_i32_e32 v3, v4, v3
	v_cmp_gt_i32_e32 vcc, 0, v0
	v_mul_lo_u32 v6, v6, v5
	v_mul_hi_u32 v6, v5, v6
	v_add_u32_e32 v5, v5, v6
	v_accvgpr_write_b32 a7, v5
	v_mad_u64_u32 v[34:35], s[0:1], v3, v5, 0
	s_barrier
	s_waitcnt lgkmcnt(0)
                                        ; implicit-def: $agpr10
	s_and_saveexec_b64 s[0:1], vcc
	s_xor_b64 s[0:1], exec, s[0:1]
; %bb.6:
	v_mad_u64_u32 v[6:7], s[2:3], v28, v12, v[32:33]
	v_mul_lo_u32 v0, v6, v0
	v_sub_u32_e32 v0, 1, v0
	v_accvgpr_write_b32 a10, v0
                                        ; implicit-def: $vgpr28
                                        ; implicit-def: $vgpr0
; %bb.7:
	s_or_saveexec_b64 s[0:1], s[0:1]
	v_ashrrev_i32_e32 v1, 31, v1
	v_ashrrev_i32_e32 v4, 31, v4
	v_accvgpr_write_b32 a9, v1
	s_xor_b64 exec, exec, s[0:1]
; %bb.8:
	v_mul_lo_u32 v1, s15, v28
	v_add_u32_e32 v1, s12, v1
	v_mad_u64_u32 v[0:1], s[2:3], v1, v0, 1
	v_accvgpr_write_b32 a10, v0
; %bb.9:
	s_or_b64 exec, exec, s[0:1]
	v_mul_lo_u32 v0, s20, v18
	v_ashrrev_i32_e32 v1, 31, v0
	v_accvgpr_write_b32 a27, v1
	v_accvgpr_read_b32 v5, a3
	v_accvgpr_write_b32 a26, v0
	v_mul_lo_u32 v1, v35, v5
	v_accvgpr_read_b32 v0, a9
	v_sub_u32_e32 v1, v3, v1
	v_xor_b32_e32 v0, v4, v0
	v_add_u32_e32 v3, 1, v35
	v_cmp_ge_u32_e32 vcc, v1, v5
	v_sub_u32_e32 v4, v1, v5
	s_lshl_b32 s19, s14, 4
	v_cndmask_b32_e32 v3, v35, v3, vcc
	v_cndmask_b32_e32 v1, v1, v4, vcc
	v_add_u32_e32 v4, 1, v3
	v_cmp_ge_u32_e32 vcc, v1, v5
	s_add_i32 s0, s19, 16
	s_load_dword s34, s[8:9], 0x14
	s_load_dword s13, s[8:9], 0x8
	v_cndmask_b32_e32 v1, v3, v4, vcc
	v_xor_b32_e32 v1, v1, v0
	v_accvgpr_read_b32 v4, a8
	v_sub_u32_e32 v0, v1, v0
	v_add_u32_e32 v1, 31, v4
	v_ashrrev_i32_e32 v3, 31, v1
	v_lshrrev_b32_e32 v3, 27, v3
	v_add_u32_e32 v1, v1, v3
	v_ashrrev_i32_e32 v1, 5, v1
	v_accvgpr_write_b32 a29, v1
	v_min_i32_e32 v3, s0, v1
	v_accvgpr_read_b32 v1, a2
	v_lshrrev_b32_e32 v1, 6, v1
	v_sub_u32_e32 v0, v0, v29
	v_or_b32_e32 v4, s19, v1
	v_accvgpr_write_b32 a14, v0
	v_mul_lo_u32 v6, v32, v23
	v_accvgpr_read_b32 v0, a35
	v_ashrrev_i32_e32 v5, 31, v4
	v_ashrrev_i32_e32 v7, 31, v6
	v_sub_u32_e32 v0, 0, v0
	v_accvgpr_write_b32 a13, v5
	v_accvgpr_write_b32 a31, v7
	;; [unrolled: 1-line block ×4, first 2 shown]
	v_lshl_add_u32 v0, v1, 5, s21
	v_mbcnt_lo_u32_b32 v1, -1, 0
	v_accvgpr_write_b32 a11, v3
	v_cmp_lt_i32_e64 s[0:1], v4, v3
	v_mov_b32_e32 v3, 0xff7fffff
	v_accvgpr_write_b32 a12, v4
	v_accvgpr_write_b32 a30, v6
	;; [unrolled: 1-line block ×3, first 2 shown]
	scratch_store_dword off, v3, s32 offset:192 ; 4-byte Folded Spill
	s_mov_b64 s[8:9], exec
	s_and_b64 s[2:3], s[8:9], s[0:1]
	v_accvgpr_write_b32 a15, v0
	s_mov_b64 exec, s[2:3]
	s_cbranch_execz .LBB292_499
; %bb.10:
	v_accvgpr_read_b32 v0, a2
	v_bfe_u32 v6, v0, 1, 5
	v_accvgpr_read_b32 v0, a30
	v_accvgpr_read_b32 v1, a31
	v_lshl_add_u64 v[0:1], v[8:9], 0, v[0:1]
	v_lshlrev_b32_e32 v8, 4, v6
	v_mov_b32_e32 v9, 0
	v_lshl_add_u64 v[0:1], v[0:1], 0, v[8:9]
	v_accvgpr_write_b32 a39, v1
	v_accvgpr_write_b32 a38, v0
	v_mul_u32_u24_e32 v0, 0x78, v2
	v_accvgpr_write_b32 a42, v0
	v_accvgpr_read_b32 v0, a35
	v_accvgpr_read_b32 v1, a28
	v_cmp_eq_u32_e32 vcc, 0, v2
	v_lshlrev_b32_e32 v4, 2, v2
	v_max_i32_e32 v2, v0, v1
	scratch_load_dword v1, off, s32 offset:196 ; 4-byte Folded Reload
	v_cvt_f32_u32_e32 v0, v2
	v_mov_b32_e32 v5, v9
	v_accvgpr_write_b32 a41, v5
	v_accvgpr_write_b32 a43, v2
	v_rcp_iflag_f32_e32 v0, v0
	v_accvgpr_write_b32 a40, v4
	v_accvgpr_read_b32 v4, a26
	v_accvgpr_read_b32 v5, a27
	v_mul_f32_e32 v0, 0x4f7ffffe, v0
	v_cvt_u32_f32_e32 v0, v0
	s_ashr_i32 s11, s10, 31
	s_lshl_b64 s[4:5], s[10:11], 2
	s_getpc_b64 s[6:7]
	s_add_u32 s6, s6, llvm.amdgcn.dynlds.offset.table@rel32@lo+4
	s_addc_u32 s7, s7, llvm.amdgcn.dynlds.offset.table@rel32@hi+12
	s_add_u32 s22, s4, s6
	s_addc_u32 s23, s5, s7
	s_load_dword s11, s[22:23], 0x0
	v_accvgpr_write_b32 a37, v6
	s_mov_b64 s[24:25], 0
	s_movk_i32 s35, 0x7f
	s_movk_i32 s36, 0x80
	s_mov_b32 s37, 0x8000
	s_waitcnt vmcnt(0)
	v_cmp_neq_f32_e64 s[2:3], 0, v1
	v_sub_u32_e32 v1, 0, v2
	v_mul_lo_u32 v1, v1, v0
	v_mul_hi_u32 v1, v0, v1
	v_accvgpr_read_b32 v2, a12
	v_add_u32_e32 v0, v0, v1
	v_accvgpr_read_b32 v3, a13
	v_accvgpr_write_b32 a44, v0
	v_lshlrev_b64 v[0:1], 2, v[2:3]
	v_lshl_add_u64 v[0:1], v[4:5], 2, v[0:1]
	v_accvgpr_read_b32 v4, a16
	v_accvgpr_read_b32 v5, a17
	v_lshl_add_u64 v[0:1], v[4:5], 0, v[0:1]
	v_accvgpr_write_b32 a47, v1
	v_accvgpr_write_b32 a46, v0
	v_accvgpr_read_b32 v1, a25
	v_lshlrev_b32_e32 v0, 2, v6
	v_lshl_or_b32 v0, v1, 7, v0
	v_accvgpr_write_b32 a48, v0
	v_accvgpr_read_b32 v0, a8
	v_sub_u32_e32 v0, v6, v0
	v_add_u32_e32 v0, 1, v0
	v_accvgpr_write_b32 a49, v0
	v_accvgpr_read_b32 v0, a36
	v_lshl_add_u32 v3, v1, 5, s21
	v_mbcnt_hi_u32_b32 v0, -1, v0
	v_mov_b32_e32 v1, v3
	v_accvgpr_write_b32 a50, v0
	v_mov_b32_e32 v0, 0xff7fffff
	scratch_store_dword off, v0, s32 offset:192 ; 4-byte Folded Spill
	s_branch .LBB292_13
.LBB292_11:                             ;   in Loop: Header=BB292_13 Depth=1
	s_or_b64 exec, exec, s[26:27]
.LBB292_12:                             ;   in Loop: Header=BB292_13 Depth=1
	s_or_b64 exec, exec, s[6:7]
	s_waitcnt lgkmcnt(0)
	v_accvgpr_read_b32 v0, a46
	v_accvgpr_read_b32 v1, a47
	v_lshl_add_u64 v[0:1], v[0:1], 0, 8
	v_accvgpr_read_b32 v2, a51
	v_accvgpr_write_b32 a47, v1
	v_add_u32_e32 v2, 2, v2
	v_accvgpr_write_b32 a46, v0
	v_accvgpr_read_b32 v0, a11
	v_cmp_ge_i32_e64 s[4:5], v2, v0
	v_accvgpr_read_b32 v0, a48
	v_accvgpr_read_b32 v1, a45
	v_add_u32_e32 v0, 0x100, v0
	v_add_u32_e32 v1, 64, v1
	s_or_b64 s[24:25], s[4:5], s[24:25]
	v_accvgpr_write_b32 a48, v0
	s_andn2_b64 exec, exec, s[24:25]
	s_cbranch_execz .LBB292_498
.LBB292_13:                             ; =>This Inner Loop Header: Depth=1
	v_accvgpr_write_b32 a51, v2
	v_ashrrev_i32_e32 v0, 31, v1
	v_mov_b32_e32 v2, v1
	v_accvgpr_read_b32 v1, a9
	v_xor_b32_e32 v0, v0, v1
	v_sub_u32_e32 v1, 0, v2
	v_accvgpr_write_b32 a45, v2
	v_max_i32_e32 v1, v2, v1
	v_accvgpr_read_b32 v2, a7
	v_mul_hi_u32 v2, v1, v2
	v_accvgpr_read_b32 v4, a3
	v_mul_lo_u32 v3, v2, v4
	v_sub_u32_e32 v1, v1, v3
	v_add_u32_e32 v3, 1, v2
	v_cmp_ge_u32_e64 s[4:5], v1, v4
	s_nop 1
	v_cndmask_b32_e64 v2, v2, v3, s[4:5]
	v_sub_u32_e32 v3, v1, v4
	v_cndmask_b32_e64 v1, v1, v3, s[4:5]
	v_add_u32_e32 v3, 1, v2
	v_cmp_ge_u32_e64 s[4:5], v1, v4
	v_accvgpr_read_b32 v4, a44
	s_nop 0
	v_cndmask_b32_e64 v1, v2, v3, s[4:5]
	v_xor_b32_e32 v1, v1, v0
	v_sub_u32_e32 v0, v1, v0
	v_accvgpr_read_b32 v2, a10
	v_add_u32_e32 v1, v0, v2
	v_sub_u32_e32 v3, 0, v1
	v_ashrrev_i32_e32 v2, 31, v1
	v_max_i32_e32 v1, v1, v3
	v_mul_hi_u32 v3, v1, v4
	v_accvgpr_read_b32 v4, a43
	v_mul_lo_u32 v3, v3, v4
	v_sub_u32_e32 v1, v1, v3
	v_sub_u32_e32 v3, v1, v4
	v_cmp_ge_u32_e64 s[4:5], v1, v4
	s_nop 1
	v_cndmask_b32_e64 v1, v1, v3, s[4:5]
	v_sub_u32_e32 v3, v1, v4
	v_cmp_ge_u32_e64 s[4:5], v1, v4
	s_nop 1
	v_cndmask_b32_e64 v1, v1, v3, s[4:5]
	v_xor_b32_e32 v1, v1, v2
	v_sub_u32_e32 v1, v1, v2
	v_cmp_ne_u32_e64 s[4:5], 0, v1
	v_accvgpr_read_b32 v1, a14
	v_cmp_le_i32_e64 s[6:7], v0, v1
	s_and_b64 s[4:5], s[4:5], s[6:7]
	s_and_b64 s[26:27], vcc, s[4:5]
	s_and_saveexec_b64 s[6:7], s[26:27]
	s_cbranch_execz .LBB292_15
; %bb.14:                               ;   in Loop: Header=BB292_13 Depth=1
	v_accvgpr_read_b32 v0, a48
	s_waitcnt lgkmcnt(0)
	v_add_u32_e32 v0, s11, v0
	v_mov_b32_e32 v1, 0xff7fffff
	ds_write_b32 v0, v1
.LBB292_15:                             ;   in Loop: Header=BB292_13 Depth=1
	s_or_b64 exec, exec, s[6:7]
	s_xor_b64 s[4:5], s[4:5], -1
	s_and_saveexec_b64 s[6:7], s[4:5]
	s_cbranch_execz .LBB292_12
; %bb.16:                               ;   in Loop: Header=BB292_13 Depth=1
	v_accvgpr_read_b32 v0, a46
	v_accvgpr_read_b32 v1, a47
	flat_load_dword v0, v[0:1]
	v_accvgpr_read_b32 v4, a38
	v_accvgpr_read_b32 v2, a6
	;; [unrolled: 1-line block ×3, first 2 shown]
                                        ; implicit-def: $sgpr30
	s_waitcnt vmcnt(0) lgkmcnt(0)
	v_mad_i64_i32 v[0:1], s[4:5], v0, v2, v[4:5]
	v_accvgpr_read_b32 v2, a40
	v_accvgpr_read_b32 v3, a41
	v_lshl_add_u64 v[38:39], v[0:1], 0, v[2:3]
	v_accvgpr_read_b32 v0, a32
	flat_load_dword v50, v[38:39]
	v_accvgpr_read_b32 v1, a33
	flat_load_dword v61, v[0:1]
	s_mov_b64 s[4:5], 0
	s_waitcnt vmcnt(0) lgkmcnt(0)
	v_cmp_gt_i16_sdwa s[26:27], v50, s35 src0_sel:BYTE_0 src1_sel:DWORD
	s_and_saveexec_b64 s[28:29], s[26:27]
	s_xor_b64 s[26:27], exec, s[28:29]
	s_cbranch_execnz .LBB292_278
; %bb.17:                               ;   in Loop: Header=BB292_13 Depth=1
	s_or_saveexec_b64 s[26:27], s[26:27]
	v_mov_b32_e32 v0, s30
	s_xor_b64 exec, exec, s[26:27]
	s_cbranch_execnz .LBB292_281
.LBB292_18:                             ;   in Loop: Header=BB292_13 Depth=1
	s_or_b64 exec, exec, s[26:27]
	s_and_saveexec_b64 s[26:27], s[4:5]
	s_cbranch_execz .LBB292_20
.LBB292_19:                             ;   in Loop: Header=BB292_13 Depth=1
	v_and_b32_e32 v2, 7, v50
	v_ffbh_u32_e32 v0, v2
	v_min_u32_e32 v4, 32, v0
	v_subrev_u32_e32 v0, 28, v4
	v_bfe_u32 v3, v50, 3, 4
	v_lshlrev_b64 v[0:1], v0, v[50:51]
	v_sub_u32_e32 v1, 29, v4
	v_cmp_eq_u32_e64 s[4:5], 0, v3
	v_and_b32_e32 v0, 7, v0
	s_nop 0
	v_cndmask_b32_e64 v1, v3, v1, s[4:5]
	v_mov_b32_e32 v3, 0x1c00
	v_cndmask_b32_e64 v0, v2, v0, s[4:5]
	v_lshlrev_b32_e32 v2, 8, v50
	v_lshl_add_u32 v1, v1, 10, v3
	v_and_or_b32 v1, v2, s37, v1
	v_lshl_or_b32 v0, v0, 7, v1
	v_cvt_f32_f16_e32 v0, v0
.LBB292_20:                             ;   in Loop: Header=BB292_13 Depth=1
	s_or_b64 exec, exec, s[26:27]
	v_lshrrev_b16_e32 v8, 8, v50
	v_accvgpr_write_b32 a55, v0
	v_cmp_lt_i16_e64 s[4:5], s35, v8
	s_mov_b64 s[26:27], 0
                                        ; implicit-def: $sgpr38
	s_and_saveexec_b64 s[28:29], s[4:5]
	s_xor_b64 s[28:29], exec, s[28:29]
	s_cbranch_execnz .LBB292_282
; %bb.21:                               ;   in Loop: Header=BB292_13 Depth=1
	s_or_saveexec_b64 s[28:29], s[28:29]
	v_mov_b32_e32 v13, s38
	s_xor_b64 exec, exec, s[28:29]
	s_cbranch_execnz .LBB292_285
.LBB292_22:                             ;   in Loop: Header=BB292_13 Depth=1
	s_or_b64 exec, exec, s[28:29]
	s_and_saveexec_b64 s[28:29], s[26:27]
	s_cbranch_execz .LBB292_24
.LBB292_23:                             ;   in Loop: Header=BB292_13 Depth=1
	v_and_b32_e32 v2, 7, v8
	v_ffbh_u32_e32 v0, v2
	v_min_u32_e32 v4, 32, v0
	v_subrev_u32_e32 v0, 28, v4
	v_bfe_u32 v3, v8, 3, 4
	v_lshlrev_b64 v[0:1], v0, v[8:9]
	v_sub_u32_e32 v1, 29, v4
	v_cmp_eq_u32_e64 s[4:5], 0, v3
	v_and_b32_e32 v0, 7, v0
	s_nop 0
	v_cndmask_b32_e64 v1, v3, v1, s[4:5]
	v_mov_b32_e32 v3, 0x1c00
	v_cndmask_b32_e64 v0, v2, v0, s[4:5]
	v_lshlrev_b32_e32 v2, 8, v8
	v_lshl_add_u32 v1, v1, 10, v3
	v_and_or_b32 v1, v2, s37, v1
	v_lshl_or_b32 v0, v0, 7, v1
	v_cvt_f32_f16_e32 v13, v0
.LBB292_24:                             ;   in Loop: Header=BB292_13 Depth=1
	s_or_b64 exec, exec, s[28:29]
	v_lshrrev_b32_e32 v8, 16, v50
	v_cmp_gt_i16_sdwa s[26:27], v8, s35 src0_sel:BYTE_0 src1_sel:DWORD
	s_mov_b64 s[4:5], 0
                                        ; implicit-def: $sgpr30
	s_and_saveexec_b64 s[28:29], s[26:27]
	s_xor_b64 s[26:27], exec, s[28:29]
	s_cbranch_execz .LBB292_28
; %bb.25:                               ;   in Loop: Header=BB292_13 Depth=1
	v_cmp_eq_u16_sdwa s[38:39], v8, s36 src0_sel:BYTE_0 src1_sel:DWORD
	s_mov_b64 s[4:5], -1
                                        ; implicit-def: $sgpr30
	s_and_saveexec_b64 s[28:29], s[38:39]
; %bb.26:                               ;   in Loop: Header=BB292_13 Depth=1
	s_mov_b32 s30, 0x7fc02000
	s_xor_b64 s[4:5], exec, -1
; %bb.27:                               ;   in Loop: Header=BB292_13 Depth=1
	s_or_b64 exec, exec, s[28:29]
	s_and_b64 s[4:5], s[4:5], exec
.LBB292_28:                             ;   in Loop: Header=BB292_13 Depth=1
	s_or_saveexec_b64 s[26:27], s[26:27]
	v_mov_b32_e32 v0, s30
	scratch_store_dword off, v0, s32 offset:180 ; 4-byte Folded Spill
	s_xor_b64 exec, exec, s[26:27]
	s_cbranch_execz .LBB292_30
; %bb.29:                               ;   in Loop: Header=BB292_13 Depth=1
	v_cmp_ne_u16_sdwa s[28:29], v8, v9 src0_sel:BYTE_0 src1_sel:DWORD
	s_andn2_b64 s[4:5], s[4:5], exec
	s_and_b64 s[28:29], s[28:29], exec
	v_mov_b32_e32 v0, 0
	s_or_b64 s[4:5], s[4:5], s[28:29]
	scratch_store_dword off, v0, s32 offset:180 ; 4-byte Folded Spill
.LBB292_30:                             ;   in Loop: Header=BB292_13 Depth=1
	s_or_b64 exec, exec, s[26:27]
	s_and_saveexec_b64 s[26:27], s[4:5]
	s_cbranch_execz .LBB292_32
; %bb.31:                               ;   in Loop: Header=BB292_13 Depth=1
	v_bfe_u32 v2, v50, 16, 3
	v_ffbh_u32_e32 v0, v2
	v_min_u32_e32 v4, 32, v0
	v_subrev_u32_e32 v0, 28, v4
	v_bfe_u32 v3, v50, 19, 4
	v_lshlrev_b64 v[0:1], v0, v[8:9]
	v_sub_u32_e32 v1, 29, v4
	v_cmp_eq_u32_e64 s[4:5], 0, v3
	v_and_b32_e32 v0, 7, v0
	s_nop 0
	v_cndmask_b32_e64 v1, v3, v1, s[4:5]
	v_mov_b32_e32 v3, 0x1c00
	v_cndmask_b32_e64 v0, v2, v0, s[4:5]
	v_lshlrev_b32_e32 v2, 8, v8
	v_lshl_add_u32 v1, v1, 10, v3
	v_and_or_b32 v1, v2, s37, v1
	v_lshl_or_b32 v0, v0, 7, v1
	v_cvt_f32_f16_e32 v0, v0
	scratch_store_dword off, v0, s32 offset:180 ; 4-byte Folded Spill
.LBB292_32:                             ;   in Loop: Header=BB292_13 Depth=1
	s_or_b64 exec, exec, s[26:27]
	v_lshrrev_b32_e32 v8, 24, v50
	v_cmp_lt_i16_e64 s[4:5], s35, v8
	s_mov_b64 s[26:27], 0
                                        ; implicit-def: $sgpr38
	s_and_saveexec_b64 s[28:29], s[4:5]
	s_xor_b64 s[28:29], exec, s[28:29]
	s_cbranch_execz .LBB292_36
; %bb.33:                               ;   in Loop: Header=BB292_13 Depth=1
	v_cmp_eq_u16_e64 s[4:5], s36, v8
	s_mov_b64 s[26:27], -1
                                        ; implicit-def: $sgpr38
	s_and_saveexec_b64 s[30:31], s[4:5]
; %bb.34:                               ;   in Loop: Header=BB292_13 Depth=1
	s_mov_b32 s38, 0x7fc02000
	s_xor_b64 s[26:27], exec, -1
; %bb.35:                               ;   in Loop: Header=BB292_13 Depth=1
	s_or_b64 exec, exec, s[30:31]
	s_and_b64 s[26:27], s[26:27], exec
.LBB292_36:                             ;   in Loop: Header=BB292_13 Depth=1
	s_or_saveexec_b64 s[28:29], s[28:29]
	v_mov_b32_e32 v0, s38
	scratch_store_dword off, v0, s32 offset:184 ; 4-byte Folded Spill
	s_xor_b64 exec, exec, s[28:29]
	s_cbranch_execz .LBB292_38
; %bb.37:                               ;   in Loop: Header=BB292_13 Depth=1
	v_cmp_ne_u16_e64 s[4:5], 0, v8
	s_andn2_b64 s[26:27], s[26:27], exec
	s_and_b64 s[4:5], s[4:5], exec
	v_mov_b32_e32 v0, 0
	s_or_b64 s[26:27], s[26:27], s[4:5]
	scratch_store_dword off, v0, s32 offset:184 ; 4-byte Folded Spill
.LBB292_38:                             ;   in Loop: Header=BB292_13 Depth=1
	s_or_b64 exec, exec, s[28:29]
	s_and_saveexec_b64 s[28:29], s[26:27]
	s_cbranch_execz .LBB292_40
; %bb.39:                               ;   in Loop: Header=BB292_13 Depth=1
	v_bfe_u32 v2, v50, 24, 3
	v_ffbh_u32_e32 v0, v2
	v_min_u32_e32 v4, 32, v0
	v_subrev_u32_e32 v0, 28, v4
	v_bfe_u32 v3, v50, 27, 4
	v_lshlrev_b64 v[0:1], v0, v[8:9]
	v_sub_u32_e32 v1, 29, v4
	v_cmp_eq_u32_e64 s[4:5], 0, v3
	v_and_b32_e32 v0, 7, v0
	s_nop 0
	v_cndmask_b32_e64 v1, v3, v1, s[4:5]
	v_mov_b32_e32 v3, 0x1c00
	v_cndmask_b32_e64 v0, v2, v0, s[4:5]
	v_lshlrev_b32_e32 v2, 8, v8
	v_lshl_add_u32 v1, v1, 10, v3
	v_and_or_b32 v1, v2, s37, v1
	v_lshl_or_b32 v0, v0, 7, v1
	v_cvt_f32_f16_e32 v0, v0
	scratch_store_dword off, v0, s32 offset:184 ; 4-byte Folded Spill
.LBB292_40:                             ;   in Loop: Header=BB292_13 Depth=1
	s_or_b64 exec, exec, s[28:29]
	flat_load_dword v50, v[38:39] offset:8
	s_mov_b64 s[4:5], 0
                                        ; implicit-def: $sgpr30
	s_waitcnt vmcnt(0) lgkmcnt(0)
	v_cmp_gt_i16_sdwa s[26:27], v50, s35 src0_sel:BYTE_0 src1_sel:DWORD
	s_and_saveexec_b64 s[28:29], s[26:27]
	s_xor_b64 s[26:27], exec, s[28:29]
	s_cbranch_execnz .LBB292_286
; %bb.41:                               ;   in Loop: Header=BB292_13 Depth=1
	s_or_saveexec_b64 s[26:27], s[26:27]
	v_mov_b32_e32 v0, s30
	s_xor_b64 exec, exec, s[26:27]
	s_cbranch_execnz .LBB292_289
.LBB292_42:                             ;   in Loop: Header=BB292_13 Depth=1
	s_or_b64 exec, exec, s[26:27]
	s_and_saveexec_b64 s[26:27], s[4:5]
	s_cbranch_execz .LBB292_44
.LBB292_43:                             ;   in Loop: Header=BB292_13 Depth=1
	v_and_b32_e32 v2, 7, v50
	v_ffbh_u32_e32 v0, v2
	v_min_u32_e32 v4, 32, v0
	v_subrev_u32_e32 v0, 28, v4
	v_bfe_u32 v3, v50, 3, 4
	v_lshlrev_b64 v[0:1], v0, v[50:51]
	v_sub_u32_e32 v1, 29, v4
	v_cmp_eq_u32_e64 s[4:5], 0, v3
	v_and_b32_e32 v0, 7, v0
	s_nop 0
	v_cndmask_b32_e64 v1, v3, v1, s[4:5]
	v_mov_b32_e32 v3, 0x1c00
	v_cndmask_b32_e64 v0, v2, v0, s[4:5]
	v_lshlrev_b32_e32 v2, 8, v50
	v_lshl_add_u32 v1, v1, 10, v3
	v_and_or_b32 v1, v2, s37, v1
	v_lshl_or_b32 v0, v0, 7, v1
	v_cvt_f32_f16_e32 v0, v0
.LBB292_44:                             ;   in Loop: Header=BB292_13 Depth=1
	s_or_b64 exec, exec, s[26:27]
	v_lshrrev_b16_e32 v8, 8, v50
	v_accvgpr_write_b32 a57, v0
	v_cmp_lt_i16_e64 s[4:5], s35, v8
	s_mov_b64 s[26:27], 0
                                        ; implicit-def: $sgpr38
	s_and_saveexec_b64 s[28:29], s[4:5]
	s_xor_b64 s[28:29], exec, s[28:29]
	s_cbranch_execz .LBB292_48
; %bb.45:                               ;   in Loop: Header=BB292_13 Depth=1
	v_cmp_eq_u16_e64 s[4:5], s36, v8
	s_mov_b64 s[26:27], -1
                                        ; implicit-def: $sgpr38
	s_and_saveexec_b64 s[30:31], s[4:5]
; %bb.46:                               ;   in Loop: Header=BB292_13 Depth=1
	s_mov_b32 s38, 0x7fc02000
	s_xor_b64 s[26:27], exec, -1
; %bb.47:                               ;   in Loop: Header=BB292_13 Depth=1
	s_or_b64 exec, exec, s[30:31]
	s_and_b64 s[26:27], s[26:27], exec
.LBB292_48:                             ;   in Loop: Header=BB292_13 Depth=1
	s_or_saveexec_b64 s[28:29], s[28:29]
	v_mov_b32_e32 v0, s38
	scratch_store_dword off, v0, s32 offset:188 ; 4-byte Folded Spill
	s_xor_b64 exec, exec, s[28:29]
	s_cbranch_execz .LBB292_50
; %bb.49:                               ;   in Loop: Header=BB292_13 Depth=1
	v_cmp_ne_u16_e64 s[4:5], 0, v8
	s_andn2_b64 s[26:27], s[26:27], exec
	s_and_b64 s[4:5], s[4:5], exec
	v_mov_b32_e32 v0, 0
	s_or_b64 s[26:27], s[26:27], s[4:5]
	scratch_store_dword off, v0, s32 offset:188 ; 4-byte Folded Spill
.LBB292_50:                             ;   in Loop: Header=BB292_13 Depth=1
	s_or_b64 exec, exec, s[28:29]
	s_and_saveexec_b64 s[28:29], s[26:27]
	s_cbranch_execz .LBB292_52
; %bb.51:                               ;   in Loop: Header=BB292_13 Depth=1
	v_and_b32_e32 v2, 7, v8
	v_ffbh_u32_e32 v0, v2
	v_min_u32_e32 v4, 32, v0
	v_subrev_u32_e32 v0, 28, v4
	v_bfe_u32 v3, v8, 3, 4
	v_lshlrev_b64 v[0:1], v0, v[8:9]
	v_sub_u32_e32 v1, 29, v4
	v_cmp_eq_u32_e64 s[4:5], 0, v3
	v_and_b32_e32 v0, 7, v0
	s_nop 0
	v_cndmask_b32_e64 v1, v3, v1, s[4:5]
	v_mov_b32_e32 v3, 0x1c00
	v_cndmask_b32_e64 v0, v2, v0, s[4:5]
	v_lshlrev_b32_e32 v2, 8, v8
	v_lshl_add_u32 v1, v1, 10, v3
	v_and_or_b32 v1, v2, s37, v1
	v_lshl_or_b32 v0, v0, 7, v1
	v_cvt_f32_f16_e32 v0, v0
	scratch_store_dword off, v0, s32 offset:188 ; 4-byte Folded Spill
.LBB292_52:                             ;   in Loop: Header=BB292_13 Depth=1
	s_or_b64 exec, exec, s[28:29]
	v_lshrrev_b32_e32 v8, 16, v50
	v_cmp_gt_i16_sdwa s[26:27], v8, s35 src0_sel:BYTE_0 src1_sel:DWORD
	s_mov_b64 s[4:5], 0
                                        ; implicit-def: $sgpr30
	s_and_saveexec_b64 s[28:29], s[26:27]
	s_xor_b64 s[26:27], exec, s[28:29]
	s_cbranch_execnz .LBB292_290
; %bb.53:                               ;   in Loop: Header=BB292_13 Depth=1
	s_or_saveexec_b64 s[26:27], s[26:27]
	v_mov_b32_e32 v43, s30
	s_xor_b64 exec, exec, s[26:27]
	s_cbranch_execnz .LBB292_293
.LBB292_54:                             ;   in Loop: Header=BB292_13 Depth=1
	s_or_b64 exec, exec, s[26:27]
	s_and_saveexec_b64 s[26:27], s[4:5]
	s_cbranch_execz .LBB292_56
.LBB292_55:                             ;   in Loop: Header=BB292_13 Depth=1
	v_bfe_u32 v2, v50, 16, 3
	v_ffbh_u32_e32 v0, v2
	v_min_u32_e32 v4, 32, v0
	v_subrev_u32_e32 v0, 28, v4
	v_bfe_u32 v3, v50, 19, 4
	v_lshlrev_b64 v[0:1], v0, v[8:9]
	v_sub_u32_e32 v1, 29, v4
	v_cmp_eq_u32_e64 s[4:5], 0, v3
	v_and_b32_e32 v0, 7, v0
	s_nop 0
	v_cndmask_b32_e64 v1, v3, v1, s[4:5]
	v_mov_b32_e32 v3, 0x1c00
	v_cndmask_b32_e64 v0, v2, v0, s[4:5]
	v_lshlrev_b32_e32 v2, 8, v8
	v_lshl_add_u32 v1, v1, 10, v3
	v_and_or_b32 v1, v2, s37, v1
	v_lshl_or_b32 v0, v0, 7, v1
	v_cvt_f32_f16_e32 v43, v0
.LBB292_56:                             ;   in Loop: Header=BB292_13 Depth=1
	s_or_b64 exec, exec, s[26:27]
	v_lshrrev_b32_e32 v8, 24, v50
	v_cmp_lt_i16_e64 s[4:5], s35, v8
	s_mov_b64 s[26:27], 0
                                        ; implicit-def: $sgpr38
	s_and_saveexec_b64 s[28:29], s[4:5]
	s_xor_b64 s[28:29], exec, s[28:29]
	s_cbranch_execnz .LBB292_294
; %bb.57:                               ;   in Loop: Header=BB292_13 Depth=1
	s_or_saveexec_b64 s[28:29], s[28:29]
	v_mov_b32_e32 v18, s38
	s_xor_b64 exec, exec, s[28:29]
	s_cbranch_execnz .LBB292_297
.LBB292_58:                             ;   in Loop: Header=BB292_13 Depth=1
	s_or_b64 exec, exec, s[28:29]
	s_and_saveexec_b64 s[28:29], s[26:27]
	s_cbranch_execz .LBB292_60
.LBB292_59:                             ;   in Loop: Header=BB292_13 Depth=1
	v_bfe_u32 v2, v50, 24, 3
	v_ffbh_u32_e32 v0, v2
	v_min_u32_e32 v4, 32, v0
	v_subrev_u32_e32 v0, 28, v4
	v_bfe_u32 v3, v50, 27, 4
	v_lshlrev_b64 v[0:1], v0, v[8:9]
	v_sub_u32_e32 v1, 29, v4
	v_cmp_eq_u32_e64 s[4:5], 0, v3
	v_and_b32_e32 v0, 7, v0
	s_nop 0
	v_cndmask_b32_e64 v1, v3, v1, s[4:5]
	v_mov_b32_e32 v3, 0x1c00
	v_cndmask_b32_e64 v0, v2, v0, s[4:5]
	v_lshlrev_b32_e32 v2, 8, v8
	v_lshl_add_u32 v1, v1, 10, v3
	v_and_or_b32 v1, v2, s37, v1
	v_lshl_or_b32 v0, v0, 7, v1
	v_cvt_f32_f16_e32 v18, v0
.LBB292_60:                             ;   in Loop: Header=BB292_13 Depth=1
	s_or_b64 exec, exec, s[28:29]
	flat_load_dword v50, v[38:39] offset:512
	s_mov_b64 s[4:5], 0
                                        ; implicit-def: $sgpr30
	s_waitcnt vmcnt(0) lgkmcnt(0)
	v_cmp_gt_i16_sdwa s[26:27], v50, s35 src0_sel:BYTE_0 src1_sel:DWORD
	s_and_saveexec_b64 s[28:29], s[26:27]
	s_xor_b64 s[26:27], exec, s[28:29]
	s_cbranch_execnz .LBB292_298
; %bb.61:                               ;   in Loop: Header=BB292_13 Depth=1
	s_or_saveexec_b64 s[26:27], s[26:27]
	v_mov_b32_e32 v47, s30
	s_xor_b64 exec, exec, s[26:27]
	s_cbranch_execnz .LBB292_301
.LBB292_62:                             ;   in Loop: Header=BB292_13 Depth=1
	s_or_b64 exec, exec, s[26:27]
	s_and_saveexec_b64 s[26:27], s[4:5]
	s_cbranch_execz .LBB292_64
.LBB292_63:                             ;   in Loop: Header=BB292_13 Depth=1
	v_and_b32_e32 v2, 7, v50
	v_ffbh_u32_e32 v0, v2
	v_min_u32_e32 v4, 32, v0
	v_subrev_u32_e32 v0, 28, v4
	v_bfe_u32 v3, v50, 3, 4
	v_lshlrev_b64 v[0:1], v0, v[50:51]
	v_sub_u32_e32 v1, 29, v4
	v_cmp_eq_u32_e64 s[4:5], 0, v3
	v_and_b32_e32 v0, 7, v0
	s_nop 0
	v_cndmask_b32_e64 v1, v3, v1, s[4:5]
	v_mov_b32_e32 v3, 0x1c00
	v_cndmask_b32_e64 v0, v2, v0, s[4:5]
	v_lshlrev_b32_e32 v2, 8, v50
	v_lshl_add_u32 v1, v1, 10, v3
	v_and_or_b32 v1, v2, s37, v1
	v_lshl_or_b32 v0, v0, 7, v1
	v_cvt_f32_f16_e32 v47, v0
.LBB292_64:                             ;   in Loop: Header=BB292_13 Depth=1
	s_or_b64 exec, exec, s[26:27]
	v_lshrrev_b16_e32 v8, 8, v50
	v_cmp_lt_i16_e64 s[4:5], s35, v8
	s_mov_b64 s[26:27], 0
                                        ; implicit-def: $sgpr38
	s_and_saveexec_b64 s[28:29], s[4:5]
	s_xor_b64 s[28:29], exec, s[28:29]
	s_cbranch_execz .LBB292_68
; %bb.65:                               ;   in Loop: Header=BB292_13 Depth=1
	v_cmp_eq_u16_e64 s[4:5], s36, v8
	s_mov_b64 s[26:27], -1
                                        ; implicit-def: $sgpr38
	s_and_saveexec_b64 s[30:31], s[4:5]
; %bb.66:                               ;   in Loop: Header=BB292_13 Depth=1
	s_mov_b32 s38, 0x7fc02000
	s_xor_b64 s[26:27], exec, -1
; %bb.67:                               ;   in Loop: Header=BB292_13 Depth=1
	s_or_b64 exec, exec, s[30:31]
	s_and_b64 s[26:27], s[26:27], exec
.LBB292_68:                             ;   in Loop: Header=BB292_13 Depth=1
	s_or_saveexec_b64 s[28:29], s[28:29]
	v_mov_b32_e32 v0, s38
	scratch_store_dword off, v0, s32 offset:176 ; 4-byte Folded Spill
	s_xor_b64 exec, exec, s[28:29]
	s_cbranch_execz .LBB292_70
; %bb.69:                               ;   in Loop: Header=BB292_13 Depth=1
	v_cmp_ne_u16_e64 s[4:5], 0, v8
	s_andn2_b64 s[26:27], s[26:27], exec
	s_and_b64 s[4:5], s[4:5], exec
	v_mov_b32_e32 v0, 0
	s_or_b64 s[26:27], s[26:27], s[4:5]
	scratch_store_dword off, v0, s32 offset:176 ; 4-byte Folded Spill
.LBB292_70:                             ;   in Loop: Header=BB292_13 Depth=1
	s_or_b64 exec, exec, s[28:29]
	s_and_saveexec_b64 s[28:29], s[26:27]
	s_cbranch_execz .LBB292_72
; %bb.71:                               ;   in Loop: Header=BB292_13 Depth=1
	v_and_b32_e32 v2, 7, v8
	v_ffbh_u32_e32 v0, v2
	v_min_u32_e32 v4, 32, v0
	v_subrev_u32_e32 v0, 28, v4
	v_bfe_u32 v3, v8, 3, 4
	v_lshlrev_b64 v[0:1], v0, v[8:9]
	v_sub_u32_e32 v1, 29, v4
	v_cmp_eq_u32_e64 s[4:5], 0, v3
	v_and_b32_e32 v0, 7, v0
	s_nop 0
	v_cndmask_b32_e64 v1, v3, v1, s[4:5]
	v_mov_b32_e32 v3, 0x1c00
	v_cndmask_b32_e64 v0, v2, v0, s[4:5]
	v_lshlrev_b32_e32 v2, 8, v8
	v_lshl_add_u32 v1, v1, 10, v3
	v_and_or_b32 v1, v2, s37, v1
	v_lshl_or_b32 v0, v0, 7, v1
	v_cvt_f32_f16_e32 v0, v0
	scratch_store_dword off, v0, s32 offset:176 ; 4-byte Folded Spill
.LBB292_72:                             ;   in Loop: Header=BB292_13 Depth=1
	s_or_b64 exec, exec, s[28:29]
	v_lshrrev_b32_e32 v8, 16, v50
	v_cmp_gt_i16_sdwa s[26:27], v8, s35 src0_sel:BYTE_0 src1_sel:DWORD
	s_mov_b64 s[4:5], 0
                                        ; implicit-def: $sgpr30
	s_and_saveexec_b64 s[28:29], s[26:27]
	s_xor_b64 s[26:27], exec, s[28:29]
	s_cbranch_execnz .LBB292_302
; %bb.73:                               ;   in Loop: Header=BB292_13 Depth=1
	s_or_saveexec_b64 s[26:27], s[26:27]
	v_mov_b32_e32 v30, s30
	s_xor_b64 exec, exec, s[26:27]
	s_cbranch_execnz .LBB292_305
.LBB292_74:                             ;   in Loop: Header=BB292_13 Depth=1
	s_or_b64 exec, exec, s[26:27]
	s_and_saveexec_b64 s[26:27], s[4:5]
	s_cbranch_execz .LBB292_76
.LBB292_75:                             ;   in Loop: Header=BB292_13 Depth=1
	v_bfe_u32 v2, v50, 16, 3
	v_ffbh_u32_e32 v0, v2
	v_min_u32_e32 v4, 32, v0
	v_subrev_u32_e32 v0, 28, v4
	v_bfe_u32 v3, v50, 19, 4
	v_lshlrev_b64 v[0:1], v0, v[8:9]
	v_sub_u32_e32 v1, 29, v4
	v_cmp_eq_u32_e64 s[4:5], 0, v3
	v_and_b32_e32 v0, 7, v0
	s_nop 0
	v_cndmask_b32_e64 v1, v3, v1, s[4:5]
	v_mov_b32_e32 v3, 0x1c00
	v_cndmask_b32_e64 v0, v2, v0, s[4:5]
	v_lshlrev_b32_e32 v2, 8, v8
	v_lshl_add_u32 v1, v1, 10, v3
	v_and_or_b32 v1, v2, s37, v1
	v_lshl_or_b32 v0, v0, 7, v1
	v_cvt_f32_f16_e32 v30, v0
.LBB292_76:                             ;   in Loop: Header=BB292_13 Depth=1
	s_or_b64 exec, exec, s[26:27]
	v_lshrrev_b32_e32 v8, 24, v50
	v_cmp_lt_i16_e64 s[4:5], s35, v8
	s_mov_b64 s[26:27], 0
                                        ; implicit-def: $sgpr38
	s_and_saveexec_b64 s[28:29], s[4:5]
	s_xor_b64 s[28:29], exec, s[28:29]
	s_cbranch_execnz .LBB292_306
; %bb.77:                               ;   in Loop: Header=BB292_13 Depth=1
	s_or_saveexec_b64 s[28:29], s[28:29]
	v_mov_b32_e32 v51, s38
	s_xor_b64 exec, exec, s[28:29]
	s_cbranch_execnz .LBB292_309
.LBB292_78:                             ;   in Loop: Header=BB292_13 Depth=1
	s_or_b64 exec, exec, s[28:29]
	s_and_saveexec_b64 s[28:29], s[26:27]
	s_cbranch_execz .LBB292_80
.LBB292_79:                             ;   in Loop: Header=BB292_13 Depth=1
	v_bfe_u32 v2, v50, 24, 3
	v_ffbh_u32_e32 v0, v2
	v_min_u32_e32 v4, 32, v0
	v_subrev_u32_e32 v0, 28, v4
	v_bfe_u32 v3, v50, 27, 4
	v_lshlrev_b64 v[0:1], v0, v[8:9]
	v_sub_u32_e32 v1, 29, v4
	v_cmp_eq_u32_e64 s[4:5], 0, v3
	v_and_b32_e32 v0, 7, v0
	s_nop 0
	v_cndmask_b32_e64 v1, v3, v1, s[4:5]
	v_mov_b32_e32 v3, 0x1c00
	v_cndmask_b32_e64 v0, v2, v0, s[4:5]
	v_lshlrev_b32_e32 v2, 8, v8
	v_lshl_add_u32 v1, v1, 10, v3
	v_and_or_b32 v1, v2, s37, v1
	v_lshl_or_b32 v0, v0, 7, v1
	v_cvt_f32_f16_e32 v51, v0
.LBB292_80:                             ;   in Loop: Header=BB292_13 Depth=1
	s_or_b64 exec, exec, s[28:29]
	flat_load_dword v50, v[38:39] offset:520
	s_mov_b64 s[4:5], 0
                                        ; implicit-def: $sgpr30
	s_waitcnt vmcnt(0) lgkmcnt(0)
	v_cmp_gt_i16_sdwa s[26:27], v50, s35 src0_sel:BYTE_0 src1_sel:DWORD
	s_and_saveexec_b64 s[28:29], s[26:27]
	s_xor_b64 s[26:27], exec, s[28:29]
	s_cbranch_execnz .LBB292_310
; %bb.81:                               ;   in Loop: Header=BB292_13 Depth=1
	s_or_saveexec_b64 s[26:27], s[26:27]
	v_mov_b32_e32 v60, s30
	s_xor_b64 exec, exec, s[26:27]
	s_cbranch_execnz .LBB292_313
.LBB292_82:                             ;   in Loop: Header=BB292_13 Depth=1
	s_or_b64 exec, exec, s[26:27]
	s_and_saveexec_b64 s[26:27], s[4:5]
	s_cbranch_execz .LBB292_84
.LBB292_83:                             ;   in Loop: Header=BB292_13 Depth=1
	v_and_b32_e32 v2, 7, v50
	v_ffbh_u32_e32 v0, v2
	v_min_u32_e32 v4, 32, v0
	v_subrev_u32_e32 v0, 28, v4
	v_bfe_u32 v3, v50, 3, 4
	v_lshlrev_b64 v[0:1], v0, v[50:51]
	v_sub_u32_e32 v1, 29, v4
	v_cmp_eq_u32_e64 s[4:5], 0, v3
	v_and_b32_e32 v0, 7, v0
	s_nop 0
	v_cndmask_b32_e64 v1, v3, v1, s[4:5]
	v_mov_b32_e32 v3, 0x1c00
	v_cndmask_b32_e64 v0, v2, v0, s[4:5]
	v_lshlrev_b32_e32 v2, 8, v50
	v_lshl_add_u32 v1, v1, 10, v3
	v_and_or_b32 v1, v2, s37, v1
	v_lshl_or_b32 v0, v0, 7, v1
	v_cvt_f32_f16_e32 v60, v0
.LBB292_84:                             ;   in Loop: Header=BB292_13 Depth=1
	s_or_b64 exec, exec, s[26:27]
	v_lshrrev_b16_e32 v8, 8, v50
	v_cmp_lt_i16_e64 s[4:5], s35, v8
	s_mov_b64 s[26:27], 0
                                        ; implicit-def: $sgpr38
	s_and_saveexec_b64 s[28:29], s[4:5]
	s_xor_b64 s[28:29], exec, s[28:29]
	s_cbranch_execnz .LBB292_314
; %bb.85:                               ;   in Loop: Header=BB292_13 Depth=1
	s_or_saveexec_b64 s[28:29], s[28:29]
	v_mov_b32_e32 v45, s38
	s_xor_b64 exec, exec, s[28:29]
	s_cbranch_execnz .LBB292_317
.LBB292_86:                             ;   in Loop: Header=BB292_13 Depth=1
	s_or_b64 exec, exec, s[28:29]
	s_and_saveexec_b64 s[28:29], s[26:27]
	s_cbranch_execz .LBB292_88
.LBB292_87:                             ;   in Loop: Header=BB292_13 Depth=1
	v_and_b32_e32 v2, 7, v8
	v_ffbh_u32_e32 v0, v2
	v_min_u32_e32 v4, 32, v0
	v_subrev_u32_e32 v0, 28, v4
	v_bfe_u32 v3, v8, 3, 4
	v_lshlrev_b64 v[0:1], v0, v[8:9]
	v_sub_u32_e32 v1, 29, v4
	v_cmp_eq_u32_e64 s[4:5], 0, v3
	v_and_b32_e32 v0, 7, v0
	s_nop 0
	v_cndmask_b32_e64 v1, v3, v1, s[4:5]
	v_mov_b32_e32 v3, 0x1c00
	v_cndmask_b32_e64 v0, v2, v0, s[4:5]
	v_lshlrev_b32_e32 v2, 8, v8
	v_lshl_add_u32 v1, v1, 10, v3
	v_and_or_b32 v1, v2, s37, v1
	v_lshl_or_b32 v0, v0, 7, v1
	v_cvt_f32_f16_e32 v45, v0
.LBB292_88:                             ;   in Loop: Header=BB292_13 Depth=1
	s_or_b64 exec, exec, s[28:29]
	v_lshrrev_b32_e32 v8, 16, v50
	v_cmp_gt_i16_sdwa s[26:27], v8, s35 src0_sel:BYTE_0 src1_sel:DWORD
	s_mov_b64 s[4:5], 0
                                        ; implicit-def: $sgpr30
	s_and_saveexec_b64 s[28:29], s[26:27]
	s_xor_b64 s[26:27], exec, s[28:29]
	s_cbranch_execnz .LBB292_318
; %bb.89:                               ;   in Loop: Header=BB292_13 Depth=1
	s_or_saveexec_b64 s[26:27], s[26:27]
	v_mov_b32_e32 v46, s30
	s_xor_b64 exec, exec, s[26:27]
	s_cbranch_execnz .LBB292_321
.LBB292_90:                             ;   in Loop: Header=BB292_13 Depth=1
	s_or_b64 exec, exec, s[26:27]
	s_and_saveexec_b64 s[26:27], s[4:5]
	s_cbranch_execz .LBB292_92
.LBB292_91:                             ;   in Loop: Header=BB292_13 Depth=1
	v_bfe_u32 v2, v50, 16, 3
	v_ffbh_u32_e32 v0, v2
	v_min_u32_e32 v4, 32, v0
	v_subrev_u32_e32 v0, 28, v4
	v_bfe_u32 v3, v50, 19, 4
	v_lshlrev_b64 v[0:1], v0, v[8:9]
	v_sub_u32_e32 v1, 29, v4
	v_cmp_eq_u32_e64 s[4:5], 0, v3
	v_and_b32_e32 v0, 7, v0
	s_nop 0
	v_cndmask_b32_e64 v1, v3, v1, s[4:5]
	v_mov_b32_e32 v3, 0x1c00
	v_cndmask_b32_e64 v0, v2, v0, s[4:5]
	v_lshlrev_b32_e32 v2, 8, v8
	v_lshl_add_u32 v1, v1, 10, v3
	v_and_or_b32 v1, v2, s37, v1
	v_lshl_or_b32 v0, v0, 7, v1
	v_cvt_f32_f16_e32 v46, v0
.LBB292_92:                             ;   in Loop: Header=BB292_13 Depth=1
	s_or_b64 exec, exec, s[26:27]
	v_lshrrev_b32_e32 v8, 24, v50
	v_cmp_lt_i16_e64 s[4:5], s35, v8
	s_mov_b64 s[26:27], 0
                                        ; implicit-def: $sgpr38
	s_and_saveexec_b64 s[28:29], s[4:5]
	s_xor_b64 s[28:29], exec, s[28:29]
	s_cbranch_execnz .LBB292_322
; %bb.93:                               ;   in Loop: Header=BB292_13 Depth=1
	s_or_saveexec_b64 s[28:29], s[28:29]
	v_mov_b32_e32 v58, s38
	s_xor_b64 exec, exec, s[28:29]
	s_cbranch_execnz .LBB292_325
.LBB292_94:                             ;   in Loop: Header=BB292_13 Depth=1
	s_or_b64 exec, exec, s[28:29]
	s_and_saveexec_b64 s[28:29], s[26:27]
	s_cbranch_execz .LBB292_96
.LBB292_95:                             ;   in Loop: Header=BB292_13 Depth=1
	v_bfe_u32 v2, v50, 24, 3
	v_ffbh_u32_e32 v0, v2
	v_min_u32_e32 v4, 32, v0
	v_subrev_u32_e32 v0, 28, v4
	v_bfe_u32 v3, v50, 27, 4
	v_lshlrev_b64 v[0:1], v0, v[8:9]
	v_sub_u32_e32 v1, 29, v4
	v_cmp_eq_u32_e64 s[4:5], 0, v3
	v_and_b32_e32 v0, 7, v0
	s_nop 0
	v_cndmask_b32_e64 v1, v3, v1, s[4:5]
	v_mov_b32_e32 v3, 0x1c00
	v_cndmask_b32_e64 v0, v2, v0, s[4:5]
	v_lshlrev_b32_e32 v2, 8, v8
	v_lshl_add_u32 v1, v1, 10, v3
	v_and_or_b32 v1, v2, s37, v1
	v_lshl_or_b32 v0, v0, 7, v1
	v_cvt_f32_f16_e32 v58, v0
.LBB292_96:                             ;   in Loop: Header=BB292_13 Depth=1
	s_or_b64 exec, exec, s[28:29]
	flat_load_dword v50, v[38:39] offset:1024
	s_mov_b64 s[4:5], 0
                                        ; implicit-def: $sgpr30
	s_waitcnt vmcnt(0) lgkmcnt(0)
	v_cmp_gt_i16_sdwa s[26:27], v50, s35 src0_sel:BYTE_0 src1_sel:DWORD
	s_and_saveexec_b64 s[28:29], s[26:27]
	s_xor_b64 s[26:27], exec, s[28:29]
	s_cbranch_execnz .LBB292_326
; %bb.97:                               ;   in Loop: Header=BB292_13 Depth=1
	s_or_saveexec_b64 s[26:27], s[26:27]
	v_mov_b32_e32 v0, s30
	s_xor_b64 exec, exec, s[26:27]
	s_cbranch_execnz .LBB292_329
.LBB292_98:                             ;   in Loop: Header=BB292_13 Depth=1
	s_or_b64 exec, exec, s[26:27]
	s_and_saveexec_b64 s[26:27], s[4:5]
	s_cbranch_execz .LBB292_100
.LBB292_99:                             ;   in Loop: Header=BB292_13 Depth=1
	v_and_b32_e32 v2, 7, v50
	v_ffbh_u32_e32 v0, v2
	v_min_u32_e32 v4, 32, v0
	v_subrev_u32_e32 v0, 28, v4
	v_bfe_u32 v3, v50, 3, 4
	v_lshlrev_b64 v[0:1], v0, v[50:51]
	v_sub_u32_e32 v1, 29, v4
	v_cmp_eq_u32_e64 s[4:5], 0, v3
	v_and_b32_e32 v0, 7, v0
	s_nop 0
	v_cndmask_b32_e64 v1, v3, v1, s[4:5]
	v_mov_b32_e32 v3, 0x1c00
	v_cndmask_b32_e64 v0, v2, v0, s[4:5]
	v_lshlrev_b32_e32 v2, 8, v50
	v_lshl_add_u32 v1, v1, 10, v3
	v_and_or_b32 v1, v2, s37, v1
	v_lshl_or_b32 v0, v0, 7, v1
	v_cvt_f32_f16_e32 v0, v0
.LBB292_100:                            ;   in Loop: Header=BB292_13 Depth=1
	s_or_b64 exec, exec, s[26:27]
	v_lshrrev_b16_e32 v8, 8, v50
	v_accvgpr_write_b32 a56, v0
	v_cmp_lt_i16_e64 s[4:5], s35, v8
	s_mov_b64 s[26:27], 0
                                        ; implicit-def: $sgpr38
	s_and_saveexec_b64 s[28:29], s[4:5]
	s_xor_b64 s[28:29], exec, s[28:29]
	s_cbranch_execnz .LBB292_330
; %bb.101:                              ;   in Loop: Header=BB292_13 Depth=1
	s_or_saveexec_b64 s[28:29], s[28:29]
	v_mov_b32_e32 v19, s38
	s_xor_b64 exec, exec, s[28:29]
	s_cbranch_execnz .LBB292_333
.LBB292_102:                            ;   in Loop: Header=BB292_13 Depth=1
	s_or_b64 exec, exec, s[28:29]
	s_and_saveexec_b64 s[28:29], s[26:27]
	s_cbranch_execz .LBB292_104
.LBB292_103:                            ;   in Loop: Header=BB292_13 Depth=1
	v_and_b32_e32 v2, 7, v8
	v_ffbh_u32_e32 v0, v2
	v_min_u32_e32 v4, 32, v0
	v_subrev_u32_e32 v0, 28, v4
	v_bfe_u32 v3, v8, 3, 4
	v_lshlrev_b64 v[0:1], v0, v[8:9]
	v_sub_u32_e32 v1, 29, v4
	v_cmp_eq_u32_e64 s[4:5], 0, v3
	v_and_b32_e32 v0, 7, v0
	s_nop 0
	v_cndmask_b32_e64 v1, v3, v1, s[4:5]
	v_mov_b32_e32 v3, 0x1c00
	v_cndmask_b32_e64 v0, v2, v0, s[4:5]
	v_lshlrev_b32_e32 v2, 8, v8
	v_lshl_add_u32 v1, v1, 10, v3
	v_and_or_b32 v1, v2, s37, v1
	v_lshl_or_b32 v0, v0, 7, v1
	v_cvt_f32_f16_e32 v19, v0
.LBB292_104:                            ;   in Loop: Header=BB292_13 Depth=1
	s_or_b64 exec, exec, s[28:29]
	v_lshrrev_b32_e32 v8, 16, v50
	v_cmp_gt_i16_sdwa s[26:27], v8, s35 src0_sel:BYTE_0 src1_sel:DWORD
	s_mov_b64 s[4:5], 0
                                        ; implicit-def: $sgpr30
	s_and_saveexec_b64 s[28:29], s[26:27]
	s_xor_b64 s[26:27], exec, s[28:29]
	s_cbranch_execnz .LBB292_334
; %bb.105:                              ;   in Loop: Header=BB292_13 Depth=1
	s_or_saveexec_b64 s[26:27], s[26:27]
	v_mov_b32_e32 v23, s30
	s_xor_b64 exec, exec, s[26:27]
	s_cbranch_execnz .LBB292_337
.LBB292_106:                            ;   in Loop: Header=BB292_13 Depth=1
	s_or_b64 exec, exec, s[26:27]
	s_and_saveexec_b64 s[26:27], s[4:5]
	s_cbranch_execz .LBB292_108
.LBB292_107:                            ;   in Loop: Header=BB292_13 Depth=1
	v_bfe_u32 v2, v50, 16, 3
	v_ffbh_u32_e32 v0, v2
	v_min_u32_e32 v4, 32, v0
	v_subrev_u32_e32 v0, 28, v4
	v_bfe_u32 v3, v50, 19, 4
	v_lshlrev_b64 v[0:1], v0, v[8:9]
	v_sub_u32_e32 v1, 29, v4
	v_cmp_eq_u32_e64 s[4:5], 0, v3
	v_and_b32_e32 v0, 7, v0
	s_nop 0
	v_cndmask_b32_e64 v1, v3, v1, s[4:5]
	v_mov_b32_e32 v3, 0x1c00
	v_cndmask_b32_e64 v0, v2, v0, s[4:5]
	v_lshlrev_b32_e32 v2, 8, v8
	v_lshl_add_u32 v1, v1, 10, v3
	v_and_or_b32 v1, v2, s37, v1
	v_lshl_or_b32 v0, v0, 7, v1
	v_cvt_f32_f16_e32 v23, v0
.LBB292_108:                            ;   in Loop: Header=BB292_13 Depth=1
	s_or_b64 exec, exec, s[26:27]
	v_lshrrev_b32_e32 v8, 24, v50
	v_cmp_lt_i16_e64 s[4:5], s35, v8
	s_mov_b64 s[26:27], 0
                                        ; implicit-def: $sgpr38
	s_and_saveexec_b64 s[28:29], s[4:5]
	s_xor_b64 s[28:29], exec, s[28:29]
	s_cbranch_execnz .LBB292_338
; %bb.109:                              ;   in Loop: Header=BB292_13 Depth=1
	s_or_saveexec_b64 s[28:29], s[28:29]
	v_mov_b32_e32 v36, s38
	s_xor_b64 exec, exec, s[28:29]
	s_cbranch_execnz .LBB292_341
.LBB292_110:                            ;   in Loop: Header=BB292_13 Depth=1
	s_or_b64 exec, exec, s[28:29]
	s_and_saveexec_b64 s[28:29], s[26:27]
	s_cbranch_execz .LBB292_112
.LBB292_111:                            ;   in Loop: Header=BB292_13 Depth=1
	v_bfe_u32 v2, v50, 24, 3
	v_ffbh_u32_e32 v0, v2
	v_min_u32_e32 v4, 32, v0
	v_subrev_u32_e32 v0, 28, v4
	v_bfe_u32 v3, v50, 27, 4
	v_lshlrev_b64 v[0:1], v0, v[8:9]
	v_sub_u32_e32 v1, 29, v4
	v_cmp_eq_u32_e64 s[4:5], 0, v3
	v_and_b32_e32 v0, 7, v0
	s_nop 0
	v_cndmask_b32_e64 v1, v3, v1, s[4:5]
	v_mov_b32_e32 v3, 0x1c00
	v_cndmask_b32_e64 v0, v2, v0, s[4:5]
	v_lshlrev_b32_e32 v2, 8, v8
	v_lshl_add_u32 v1, v1, 10, v3
	v_and_or_b32 v1, v2, s37, v1
	v_lshl_or_b32 v0, v0, 7, v1
	v_cvt_f32_f16_e32 v36, v0
.LBB292_112:                            ;   in Loop: Header=BB292_13 Depth=1
	s_or_b64 exec, exec, s[28:29]
	flat_load_dword v50, v[38:39] offset:1032
	s_mov_b64 s[4:5], 0
                                        ; implicit-def: $sgpr30
	s_waitcnt vmcnt(0) lgkmcnt(0)
	v_cmp_gt_i16_sdwa s[26:27], v50, s35 src0_sel:BYTE_0 src1_sel:DWORD
	s_and_saveexec_b64 s[28:29], s[26:27]
	s_xor_b64 s[26:27], exec, s[28:29]
	s_cbranch_execnz .LBB292_342
; %bb.113:                              ;   in Loop: Header=BB292_13 Depth=1
	s_or_saveexec_b64 s[26:27], s[26:27]
	v_mov_b32_e32 v0, s30
	s_xor_b64 exec, exec, s[26:27]
	s_cbranch_execnz .LBB292_345
.LBB292_114:                            ;   in Loop: Header=BB292_13 Depth=1
	s_or_b64 exec, exec, s[26:27]
	s_and_saveexec_b64 s[26:27], s[4:5]
	s_cbranch_execz .LBB292_116
.LBB292_115:                            ;   in Loop: Header=BB292_13 Depth=1
	v_and_b32_e32 v2, 7, v50
	v_ffbh_u32_e32 v0, v2
	v_min_u32_e32 v4, 32, v0
	v_subrev_u32_e32 v0, 28, v4
	v_bfe_u32 v3, v50, 3, 4
	v_lshlrev_b64 v[0:1], v0, v[50:51]
	v_sub_u32_e32 v1, 29, v4
	v_cmp_eq_u32_e64 s[4:5], 0, v3
	v_and_b32_e32 v0, 7, v0
	s_nop 0
	v_cndmask_b32_e64 v1, v3, v1, s[4:5]
	v_mov_b32_e32 v3, 0x1c00
	v_cndmask_b32_e64 v0, v2, v0, s[4:5]
	v_lshlrev_b32_e32 v2, 8, v50
	v_lshl_add_u32 v1, v1, 10, v3
	v_and_or_b32 v1, v2, s37, v1
	v_lshl_or_b32 v0, v0, 7, v1
	v_cvt_f32_f16_e32 v0, v0
.LBB292_116:                            ;   in Loop: Header=BB292_13 Depth=1
	s_or_b64 exec, exec, s[26:27]
	v_lshrrev_b16_e32 v8, 8, v50
	v_accvgpr_write_b32 a58, v0
	v_cmp_lt_i16_e64 s[4:5], s35, v8
	s_mov_b64 s[26:27], 0
                                        ; implicit-def: $sgpr38
	s_and_saveexec_b64 s[28:29], s[4:5]
	s_xor_b64 s[28:29], exec, s[28:29]
	s_cbranch_execnz .LBB292_346
; %bb.117:                              ;   in Loop: Header=BB292_13 Depth=1
	s_or_saveexec_b64 s[28:29], s[28:29]
	v_mov_b32_e32 v37, s38
	s_xor_b64 exec, exec, s[28:29]
	s_cbranch_execnz .LBB292_349
.LBB292_118:                            ;   in Loop: Header=BB292_13 Depth=1
	s_or_b64 exec, exec, s[28:29]
	s_and_saveexec_b64 s[28:29], s[26:27]
	s_cbranch_execz .LBB292_120
.LBB292_119:                            ;   in Loop: Header=BB292_13 Depth=1
	v_and_b32_e32 v2, 7, v8
	v_ffbh_u32_e32 v0, v2
	v_min_u32_e32 v4, 32, v0
	v_subrev_u32_e32 v0, 28, v4
	v_bfe_u32 v3, v8, 3, 4
	v_lshlrev_b64 v[0:1], v0, v[8:9]
	v_sub_u32_e32 v1, 29, v4
	v_cmp_eq_u32_e64 s[4:5], 0, v3
	v_and_b32_e32 v0, 7, v0
	s_nop 0
	v_cndmask_b32_e64 v1, v3, v1, s[4:5]
	v_mov_b32_e32 v3, 0x1c00
	v_cndmask_b32_e64 v0, v2, v0, s[4:5]
	v_lshlrev_b32_e32 v2, 8, v8
	v_lshl_add_u32 v1, v1, 10, v3
	v_and_or_b32 v1, v2, s37, v1
	v_lshl_or_b32 v0, v0, 7, v1
	v_cvt_f32_f16_e32 v37, v0
.LBB292_120:                            ;   in Loop: Header=BB292_13 Depth=1
	s_or_b64 exec, exec, s[28:29]
	v_lshrrev_b32_e32 v8, 16, v50
	v_cmp_gt_i16_sdwa s[26:27], v8, s35 src0_sel:BYTE_0 src1_sel:DWORD
	s_mov_b64 s[4:5], 0
                                        ; implicit-def: $sgpr30
	s_and_saveexec_b64 s[28:29], s[26:27]
	s_xor_b64 s[26:27], exec, s[28:29]
	s_cbranch_execnz .LBB292_350
; %bb.121:                              ;   in Loop: Header=BB292_13 Depth=1
	s_or_saveexec_b64 s[26:27], s[26:27]
	v_mov_b32_e32 v16, s30
	s_xor_b64 exec, exec, s[26:27]
	s_cbranch_execnz .LBB292_353
.LBB292_122:                            ;   in Loop: Header=BB292_13 Depth=1
	s_or_b64 exec, exec, s[26:27]
	s_and_saveexec_b64 s[26:27], s[4:5]
	s_cbranch_execz .LBB292_124
.LBB292_123:                            ;   in Loop: Header=BB292_13 Depth=1
	v_bfe_u32 v0, v50, 16, 3
	v_ffbh_u32_e32 v2, v0
	v_min_u32_e32 v5, 32, v2
	v_subrev_u32_e32 v2, 28, v5
	v_bfe_u32 v4, v50, 19, 4
	v_lshlrev_b64 v[2:3], v2, v[8:9]
	v_sub_u32_e32 v3, 29, v5
	v_cmp_eq_u32_e64 s[4:5], 0, v4
	v_and_b32_e32 v2, 7, v2
	v_mov_b32_e32 v1, 0x1c00
	v_cndmask_b32_e64 v3, v4, v3, s[4:5]
	v_cndmask_b32_e64 v0, v0, v2, s[4:5]
	v_lshlrev_b32_e32 v2, 8, v8
	v_lshl_add_u32 v3, v3, 10, v1
	v_and_or_b32 v2, v2, s37, v3
	v_lshl_or_b32 v0, v0, 7, v2
	v_cvt_f32_f16_e32 v16, v0
.LBB292_124:                            ;   in Loop: Header=BB292_13 Depth=1
	s_or_b64 exec, exec, s[26:27]
	v_lshrrev_b32_e32 v8, 24, v50
	v_cmp_lt_i16_e64 s[4:5], s35, v8
	s_mov_b64 s[26:27], 0
                                        ; implicit-def: $sgpr38
	s_and_saveexec_b64 s[28:29], s[4:5]
	s_xor_b64 s[28:29], exec, s[28:29]
	s_cbranch_execnz .LBB292_354
; %bb.125:                              ;   in Loop: Header=BB292_13 Depth=1
	s_or_saveexec_b64 s[28:29], s[28:29]
	v_mov_b32_e32 v3, s38
	s_xor_b64 exec, exec, s[28:29]
	s_cbranch_execnz .LBB292_357
.LBB292_126:                            ;   in Loop: Header=BB292_13 Depth=1
	s_or_b64 exec, exec, s[28:29]
	s_and_saveexec_b64 s[28:29], s[26:27]
	s_cbranch_execz .LBB292_128
.LBB292_127:                            ;   in Loop: Header=BB292_13 Depth=1
	v_bfe_u32 v4, v50, 24, 3
	v_ffbh_u32_e32 v2, v4
	v_min_u32_e32 v6, 32, v2
	v_subrev_u32_e32 v2, 28, v6
	v_bfe_u32 v5, v50, 27, 4
	v_lshlrev_b64 v[2:3], v2, v[8:9]
	v_sub_u32_e32 v3, 29, v6
	v_cmp_eq_u32_e64 s[4:5], 0, v5
	v_and_b32_e32 v2, 7, v2
	v_mov_b32_e32 v0, 0x1c00
	v_cndmask_b32_e64 v3, v5, v3, s[4:5]
	v_cndmask_b32_e64 v2, v4, v2, s[4:5]
	v_lshlrev_b32_e32 v4, 8, v8
	v_lshl_add_u32 v3, v3, 10, v0
	v_and_or_b32 v3, v4, s37, v3
	v_lshl_or_b32 v2, v2, 7, v3
	v_cvt_f32_f16_e32 v3, v2
.LBB292_128:                            ;   in Loop: Header=BB292_13 Depth=1
	s_or_b64 exec, exec, s[28:29]
	flat_load_dword v50, v[38:39] offset:1536
	s_mov_b64 s[4:5], 0
                                        ; implicit-def: $sgpr30
	s_waitcnt vmcnt(0) lgkmcnt(0)
	v_cmp_gt_i16_sdwa s[26:27], v50, s35 src0_sel:BYTE_0 src1_sel:DWORD
	s_and_saveexec_b64 s[28:29], s[26:27]
	s_xor_b64 s[26:27], exec, s[28:29]
	s_cbranch_execnz .LBB292_358
; %bb.129:                              ;   in Loop: Header=BB292_13 Depth=1
	s_or_saveexec_b64 s[26:27], s[26:27]
	v_mov_b32_e32 v2, s30
	s_xor_b64 exec, exec, s[26:27]
	s_cbranch_execnz .LBB292_361
.LBB292_130:                            ;   in Loop: Header=BB292_13 Depth=1
	s_or_b64 exec, exec, s[26:27]
	s_and_saveexec_b64 s[26:27], s[4:5]
	s_cbranch_execz .LBB292_132
.LBB292_131:                            ;   in Loop: Header=BB292_13 Depth=1
	v_and_b32_e32 v2, 7, v50
	v_ffbh_u32_e32 v4, v2
	v_min_u32_e32 v7, 32, v4
	v_subrev_u32_e32 v4, 28, v7
	v_bfe_u32 v6, v50, 3, 4
	v_lshlrev_b64 v[4:5], v4, v[50:51]
	v_sub_u32_e32 v5, 29, v7
	v_cmp_eq_u32_e64 s[4:5], 0, v6
	v_and_b32_e32 v4, 7, v4
	v_mov_b32_e32 v0, 0x1c00
	v_cndmask_b32_e64 v5, v6, v5, s[4:5]
	v_cndmask_b32_e64 v2, v2, v4, s[4:5]
	v_lshlrev_b32_e32 v4, 8, v50
	v_lshl_add_u32 v5, v5, 10, v0
	v_and_or_b32 v4, v4, s37, v5
	v_lshl_or_b32 v2, v2, 7, v4
	v_cvt_f32_f16_e32 v2, v2
.LBB292_132:                            ;   in Loop: Header=BB292_13 Depth=1
	s_or_b64 exec, exec, s[26:27]
	v_lshrrev_b16_e32 v8, 8, v50
	v_cmp_lt_i16_e64 s[4:5], s35, v8
	s_mov_b64 s[26:27], 0
                                        ; implicit-def: $sgpr38
	s_and_saveexec_b64 s[28:29], s[4:5]
	s_xor_b64 s[28:29], exec, s[28:29]
	s_cbranch_execnz .LBB292_362
; %bb.133:                              ;   in Loop: Header=BB292_13 Depth=1
	s_or_saveexec_b64 s[28:29], s[28:29]
	v_mov_b32_e32 v40, s38
	s_xor_b64 exec, exec, s[28:29]
	s_cbranch_execnz .LBB292_365
.LBB292_134:                            ;   in Loop: Header=BB292_13 Depth=1
	s_or_b64 exec, exec, s[28:29]
	s_and_saveexec_b64 s[28:29], s[26:27]
	s_cbranch_execz .LBB292_136
.LBB292_135:                            ;   in Loop: Header=BB292_13 Depth=1
	v_and_b32_e32 v6, 7, v8
	v_ffbh_u32_e32 v4, v6
	v_min_u32_e32 v10, 32, v4
	v_subrev_u32_e32 v4, 28, v10
	v_bfe_u32 v7, v8, 3, 4
	v_lshlrev_b64 v[4:5], v4, v[8:9]
	v_sub_u32_e32 v5, 29, v10
	v_cmp_eq_u32_e64 s[4:5], 0, v7
	v_and_b32_e32 v4, 7, v4
	v_mov_b32_e32 v0, 0x1c00
	v_cndmask_b32_e64 v5, v7, v5, s[4:5]
	v_cndmask_b32_e64 v4, v6, v4, s[4:5]
	v_lshlrev_b32_e32 v6, 8, v8
	v_lshl_add_u32 v5, v5, 10, v0
	v_and_or_b32 v5, v6, s37, v5
	v_lshl_or_b32 v4, v4, 7, v5
	v_cvt_f32_f16_e32 v40, v4
.LBB292_136:                            ;   in Loop: Header=BB292_13 Depth=1
	s_or_b64 exec, exec, s[28:29]
	v_lshrrev_b32_e32 v8, 16, v50
	v_cmp_gt_i16_sdwa s[26:27], v8, s35 src0_sel:BYTE_0 src1_sel:DWORD
	s_mov_b64 s[4:5], 0
                                        ; implicit-def: $sgpr30
	s_and_saveexec_b64 s[28:29], s[26:27]
	s_xor_b64 s[26:27], exec, s[28:29]
	s_cbranch_execnz .LBB292_366
; %bb.137:                              ;   in Loop: Header=BB292_13 Depth=1
	s_or_saveexec_b64 s[26:27], s[26:27]
	v_mov_b32_e32 v53, s30
	s_xor_b64 exec, exec, s[26:27]
	s_cbranch_execnz .LBB292_369
.LBB292_138:                            ;   in Loop: Header=BB292_13 Depth=1
	s_or_b64 exec, exec, s[26:27]
	s_and_saveexec_b64 s[26:27], s[4:5]
	s_cbranch_execz .LBB292_140
.LBB292_139:                            ;   in Loop: Header=BB292_13 Depth=1
	v_bfe_u32 v6, v50, 16, 3
	v_ffbh_u32_e32 v4, v6
	v_min_u32_e32 v10, 32, v4
	v_subrev_u32_e32 v4, 28, v10
	v_bfe_u32 v7, v50, 19, 4
	v_lshlrev_b64 v[4:5], v4, v[8:9]
	v_sub_u32_e32 v5, 29, v10
	v_cmp_eq_u32_e64 s[4:5], 0, v7
	v_and_b32_e32 v4, 7, v4
	v_mov_b32_e32 v0, 0x1c00
	v_cndmask_b32_e64 v5, v7, v5, s[4:5]
	v_cndmask_b32_e64 v4, v6, v4, s[4:5]
	v_lshlrev_b32_e32 v6, 8, v8
	v_lshl_add_u32 v5, v5, 10, v0
	v_and_or_b32 v5, v6, s37, v5
	v_lshl_or_b32 v4, v4, 7, v5
	v_cvt_f32_f16_e32 v53, v4
.LBB292_140:                            ;   in Loop: Header=BB292_13 Depth=1
	s_or_b64 exec, exec, s[26:27]
	v_lshrrev_b32_e32 v8, 24, v50
	v_cmp_lt_i16_e64 s[4:5], s35, v8
	s_mov_b64 s[26:27], 0
                                        ; implicit-def: $sgpr38
	s_and_saveexec_b64 s[28:29], s[4:5]
	s_xor_b64 s[28:29], exec, s[28:29]
	s_cbranch_execnz .LBB292_370
; %bb.141:                              ;   in Loop: Header=BB292_13 Depth=1
	s_or_saveexec_b64 s[28:29], s[28:29]
	v_mov_b32_e32 v54, s38
	s_xor_b64 exec, exec, s[28:29]
	s_cbranch_execnz .LBB292_373
.LBB292_142:                            ;   in Loop: Header=BB292_13 Depth=1
	s_or_b64 exec, exec, s[28:29]
	s_and_saveexec_b64 s[28:29], s[26:27]
	s_cbranch_execz .LBB292_144
.LBB292_143:                            ;   in Loop: Header=BB292_13 Depth=1
	v_bfe_u32 v6, v50, 24, 3
	v_ffbh_u32_e32 v4, v6
	v_min_u32_e32 v10, 32, v4
	v_subrev_u32_e32 v4, 28, v10
	v_bfe_u32 v7, v50, 27, 4
	v_lshlrev_b64 v[4:5], v4, v[8:9]
	v_sub_u32_e32 v5, 29, v10
	v_cmp_eq_u32_e64 s[4:5], 0, v7
	v_and_b32_e32 v4, 7, v4
	v_mov_b32_e32 v0, 0x1c00
	v_cndmask_b32_e64 v5, v7, v5, s[4:5]
	v_cndmask_b32_e64 v4, v6, v4, s[4:5]
	v_lshlrev_b32_e32 v6, 8, v8
	v_lshl_add_u32 v5, v5, 10, v0
	v_and_or_b32 v5, v6, s37, v5
	v_lshl_or_b32 v4, v4, 7, v5
	v_cvt_f32_f16_e32 v54, v4
.LBB292_144:                            ;   in Loop: Header=BB292_13 Depth=1
	s_or_b64 exec, exec, s[28:29]
	flat_load_dword v50, v[38:39] offset:1544
	s_mov_b64 s[4:5], 0
                                        ; implicit-def: $sgpr30
	s_waitcnt vmcnt(0) lgkmcnt(0)
	v_cmp_gt_i16_sdwa s[26:27], v50, s35 src0_sel:BYTE_0 src1_sel:DWORD
	s_and_saveexec_b64 s[28:29], s[26:27]
	s_xor_b64 s[26:27], exec, s[28:29]
	s_cbranch_execnz .LBB292_374
; %bb.145:                              ;   in Loop: Header=BB292_13 Depth=1
	s_or_saveexec_b64 s[26:27], s[26:27]
	v_mov_b32_e32 v55, s30
	s_xor_b64 exec, exec, s[26:27]
	s_cbranch_execnz .LBB292_377
.LBB292_146:                            ;   in Loop: Header=BB292_13 Depth=1
	s_or_b64 exec, exec, s[26:27]
	s_and_saveexec_b64 s[26:27], s[4:5]
	s_cbranch_execz .LBB292_148
.LBB292_147:                            ;   in Loop: Header=BB292_13 Depth=1
	v_and_b32_e32 v6, 7, v50
	v_ffbh_u32_e32 v4, v6
	v_min_u32_e32 v8, 32, v4
	v_subrev_u32_e32 v4, 28, v8
	v_bfe_u32 v7, v50, 3, 4
	v_lshlrev_b64 v[4:5], v4, v[50:51]
	v_sub_u32_e32 v5, 29, v8
	v_cmp_eq_u32_e64 s[4:5], 0, v7
	v_and_b32_e32 v4, 7, v4
	v_mov_b32_e32 v0, 0x1c00
	v_cndmask_b32_e64 v5, v7, v5, s[4:5]
	v_cndmask_b32_e64 v4, v6, v4, s[4:5]
	v_lshlrev_b32_e32 v6, 8, v50
	v_lshl_add_u32 v5, v5, 10, v0
	v_and_or_b32 v5, v6, s37, v5
	v_lshl_or_b32 v4, v4, 7, v5
	v_cvt_f32_f16_e32 v55, v4
.LBB292_148:                            ;   in Loop: Header=BB292_13 Depth=1
	s_or_b64 exec, exec, s[26:27]
	v_lshrrev_b16_e32 v8, 8, v50
	v_cmp_lt_i16_e64 s[4:5], s35, v8
	s_mov_b64 s[26:27], 0
                                        ; implicit-def: $sgpr38
	s_and_saveexec_b64 s[28:29], s[4:5]
	s_xor_b64 s[28:29], exec, s[28:29]
	s_cbranch_execnz .LBB292_378
; %bb.149:                              ;   in Loop: Header=BB292_13 Depth=1
	s_or_saveexec_b64 s[28:29], s[28:29]
	v_mov_b32_e32 v12, s38
	s_xor_b64 exec, exec, s[28:29]
	s_cbranch_execnz .LBB292_381
.LBB292_150:                            ;   in Loop: Header=BB292_13 Depth=1
	s_or_b64 exec, exec, s[28:29]
	s_and_saveexec_b64 s[28:29], s[26:27]
	s_cbranch_execz .LBB292_152
.LBB292_151:                            ;   in Loop: Header=BB292_13 Depth=1
	v_and_b32_e32 v6, 7, v8
	v_ffbh_u32_e32 v4, v6
	v_min_u32_e32 v10, 32, v4
	v_subrev_u32_e32 v4, 28, v10
	v_bfe_u32 v7, v8, 3, 4
	v_lshlrev_b64 v[4:5], v4, v[8:9]
	v_sub_u32_e32 v5, 29, v10
	v_cmp_eq_u32_e64 s[4:5], 0, v7
	v_and_b32_e32 v4, 7, v4
	v_mov_b32_e32 v0, 0x1c00
	v_cndmask_b32_e64 v5, v7, v5, s[4:5]
	v_cndmask_b32_e64 v4, v6, v4, s[4:5]
	v_lshlrev_b32_e32 v6, 8, v8
	v_lshl_add_u32 v5, v5, 10, v0
	v_and_or_b32 v5, v6, s37, v5
	v_lshl_or_b32 v4, v4, 7, v5
	v_cvt_f32_f16_e32 v12, v4
.LBB292_152:                            ;   in Loop: Header=BB292_13 Depth=1
	s_or_b64 exec, exec, s[28:29]
	v_lshrrev_b32_e32 v8, 16, v50
	v_cmp_gt_i16_sdwa s[26:27], v8, s35 src0_sel:BYTE_0 src1_sel:DWORD
	s_mov_b64 s[4:5], 0
                                        ; implicit-def: $sgpr30
	s_and_saveexec_b64 s[28:29], s[26:27]
	s_xor_b64 s[26:27], exec, s[28:29]
	s_cbranch_execnz .LBB292_382
; %bb.153:                              ;   in Loop: Header=BB292_13 Depth=1
	s_or_saveexec_b64 s[26:27], s[26:27]
	v_mov_b32_e32 v15, s30
	s_xor_b64 exec, exec, s[26:27]
	s_cbranch_execnz .LBB292_385
.LBB292_154:                            ;   in Loop: Header=BB292_13 Depth=1
	s_or_b64 exec, exec, s[26:27]
	s_and_saveexec_b64 s[26:27], s[4:5]
	s_cbranch_execz .LBB292_156
.LBB292_155:                            ;   in Loop: Header=BB292_13 Depth=1
	v_bfe_u32 v6, v50, 16, 3
	v_ffbh_u32_e32 v4, v6
	v_min_u32_e32 v10, 32, v4
	v_subrev_u32_e32 v4, 28, v10
	v_bfe_u32 v7, v50, 19, 4
	v_lshlrev_b64 v[4:5], v4, v[8:9]
	v_sub_u32_e32 v5, 29, v10
	v_cmp_eq_u32_e64 s[4:5], 0, v7
	v_and_b32_e32 v4, 7, v4
	v_mov_b32_e32 v0, 0x1c00
	v_cndmask_b32_e64 v5, v7, v5, s[4:5]
	v_cndmask_b32_e64 v4, v6, v4, s[4:5]
	v_lshlrev_b32_e32 v6, 8, v8
	v_lshl_add_u32 v5, v5, 10, v0
	v_and_or_b32 v5, v6, s37, v5
	v_lshl_or_b32 v4, v4, 7, v5
	v_cvt_f32_f16_e32 v15, v4
.LBB292_156:                            ;   in Loop: Header=BB292_13 Depth=1
	s_or_b64 exec, exec, s[26:27]
	v_lshrrev_b32_e32 v8, 24, v50
	v_cmp_lt_i16_e64 s[4:5], s35, v8
	s_mov_b64 s[26:27], 0
                                        ; implicit-def: $sgpr38
	s_and_saveexec_b64 s[28:29], s[4:5]
	s_xor_b64 s[28:29], exec, s[28:29]
	s_cbranch_execnz .LBB292_386
; %bb.157:                              ;   in Loop: Header=BB292_13 Depth=1
	s_or_saveexec_b64 s[28:29], s[28:29]
	v_mov_b32_e32 v14, s38
	s_xor_b64 exec, exec, s[28:29]
	s_cbranch_execnz .LBB292_389
.LBB292_158:                            ;   in Loop: Header=BB292_13 Depth=1
	s_or_b64 exec, exec, s[28:29]
	s_and_saveexec_b64 s[28:29], s[26:27]
	s_cbranch_execz .LBB292_160
.LBB292_159:                            ;   in Loop: Header=BB292_13 Depth=1
	v_bfe_u32 v6, v50, 24, 3
	v_ffbh_u32_e32 v4, v6
	v_min_u32_e32 v10, 32, v4
	v_subrev_u32_e32 v4, 28, v10
	v_bfe_u32 v7, v50, 27, 4
	v_lshlrev_b64 v[4:5], v4, v[8:9]
	v_sub_u32_e32 v5, 29, v10
	v_cmp_eq_u32_e64 s[4:5], 0, v7
	v_and_b32_e32 v4, 7, v4
	v_mov_b32_e32 v0, 0x1c00
	v_cndmask_b32_e64 v5, v7, v5, s[4:5]
	v_cndmask_b32_e64 v4, v6, v4, s[4:5]
	v_lshlrev_b32_e32 v6, 8, v8
	v_lshl_add_u32 v5, v5, 10, v0
	v_and_or_b32 v5, v6, s37, v5
	v_lshl_or_b32 v4, v4, 7, v5
	v_cvt_f32_f16_e32 v14, v4
.LBB292_160:                            ;   in Loop: Header=BB292_13 Depth=1
	s_or_b64 exec, exec, s[28:29]
	flat_load_dword v50, v[38:39] offset:2048
	s_mov_b64 s[4:5], 0
                                        ; implicit-def: $sgpr30
	s_waitcnt vmcnt(0) lgkmcnt(0)
	v_cmp_gt_i16_sdwa s[26:27], v50, s35 src0_sel:BYTE_0 src1_sel:DWORD
	s_and_saveexec_b64 s[28:29], s[26:27]
	s_xor_b64 s[26:27], exec, s[28:29]
	s_cbranch_execnz .LBB292_390
; %bb.161:                              ;   in Loop: Header=BB292_13 Depth=1
	s_or_saveexec_b64 s[26:27], s[26:27]
	v_mov_b32_e32 v32, s30
	s_xor_b64 exec, exec, s[26:27]
	s_cbranch_execnz .LBB292_393
.LBB292_162:                            ;   in Loop: Header=BB292_13 Depth=1
	s_or_b64 exec, exec, s[26:27]
	s_and_saveexec_b64 s[26:27], s[4:5]
	s_cbranch_execz .LBB292_164
.LBB292_163:                            ;   in Loop: Header=BB292_13 Depth=1
	v_and_b32_e32 v6, 7, v50
	v_ffbh_u32_e32 v4, v6
	v_min_u32_e32 v8, 32, v4
	v_subrev_u32_e32 v4, 28, v8
	v_bfe_u32 v7, v50, 3, 4
	v_lshlrev_b64 v[4:5], v4, v[50:51]
	v_sub_u32_e32 v5, 29, v8
	v_cmp_eq_u32_e64 s[4:5], 0, v7
	v_and_b32_e32 v4, 7, v4
	v_mov_b32_e32 v0, 0x1c00
	v_cndmask_b32_e64 v5, v7, v5, s[4:5]
	v_cndmask_b32_e64 v4, v6, v4, s[4:5]
	v_lshlrev_b32_e32 v6, 8, v50
	v_lshl_add_u32 v5, v5, 10, v0
	v_and_or_b32 v5, v6, s37, v5
	v_lshl_or_b32 v4, v4, 7, v5
	v_cvt_f32_f16_e32 v32, v4
.LBB292_164:                            ;   in Loop: Header=BB292_13 Depth=1
	s_or_b64 exec, exec, s[26:27]
	v_lshrrev_b16_e32 v8, 8, v50
	v_cmp_lt_i16_e64 s[4:5], s35, v8
	s_mov_b64 s[26:27], 0
                                        ; implicit-def: $sgpr38
	s_and_saveexec_b64 s[28:29], s[4:5]
	s_xor_b64 s[28:29], exec, s[28:29]
	s_cbranch_execnz .LBB292_394
; %bb.165:                              ;   in Loop: Header=BB292_13 Depth=1
	s_or_saveexec_b64 s[28:29], s[28:29]
	v_mov_b32_e32 v33, s38
	s_xor_b64 exec, exec, s[28:29]
	s_cbranch_execnz .LBB292_397
.LBB292_166:                            ;   in Loop: Header=BB292_13 Depth=1
	s_or_b64 exec, exec, s[28:29]
	s_and_saveexec_b64 s[28:29], s[26:27]
	s_cbranch_execz .LBB292_168
.LBB292_167:                            ;   in Loop: Header=BB292_13 Depth=1
	v_and_b32_e32 v6, 7, v8
	v_ffbh_u32_e32 v4, v6
	v_min_u32_e32 v10, 32, v4
	v_subrev_u32_e32 v4, 28, v10
	v_bfe_u32 v7, v8, 3, 4
	v_lshlrev_b64 v[4:5], v4, v[8:9]
	v_sub_u32_e32 v5, 29, v10
	v_cmp_eq_u32_e64 s[4:5], 0, v7
	v_and_b32_e32 v4, 7, v4
	v_mov_b32_e32 v0, 0x1c00
	v_cndmask_b32_e64 v5, v7, v5, s[4:5]
	v_cndmask_b32_e64 v4, v6, v4, s[4:5]
	v_lshlrev_b32_e32 v6, 8, v8
	v_lshl_add_u32 v5, v5, 10, v0
	v_and_or_b32 v5, v6, s37, v5
	v_lshl_or_b32 v4, v4, 7, v5
	v_cvt_f32_f16_e32 v33, v4
.LBB292_168:                            ;   in Loop: Header=BB292_13 Depth=1
	s_or_b64 exec, exec, s[28:29]
	v_lshrrev_b32_e32 v8, 16, v50
	v_cmp_gt_i16_sdwa s[26:27], v8, s35 src0_sel:BYTE_0 src1_sel:DWORD
	s_mov_b64 s[4:5], 0
                                        ; implicit-def: $sgpr30
	s_and_saveexec_b64 s[28:29], s[26:27]
	s_xor_b64 s[26:27], exec, s[28:29]
	s_cbranch_execnz .LBB292_398
; %bb.169:                              ;   in Loop: Header=BB292_13 Depth=1
	s_or_saveexec_b64 s[26:27], s[26:27]
	v_mov_b32_e32 v34, s30
	s_xor_b64 exec, exec, s[26:27]
	s_cbranch_execnz .LBB292_401
.LBB292_170:                            ;   in Loop: Header=BB292_13 Depth=1
	s_or_b64 exec, exec, s[26:27]
	s_and_saveexec_b64 s[26:27], s[4:5]
	s_cbranch_execz .LBB292_172
.LBB292_171:                            ;   in Loop: Header=BB292_13 Depth=1
	v_bfe_u32 v6, v50, 16, 3
	v_ffbh_u32_e32 v4, v6
	v_min_u32_e32 v10, 32, v4
	v_subrev_u32_e32 v4, 28, v10
	v_bfe_u32 v7, v50, 19, 4
	v_lshlrev_b64 v[4:5], v4, v[8:9]
	v_sub_u32_e32 v5, 29, v10
	v_cmp_eq_u32_e64 s[4:5], 0, v7
	v_and_b32_e32 v4, 7, v4
	v_mov_b32_e32 v0, 0x1c00
	v_cndmask_b32_e64 v5, v7, v5, s[4:5]
	v_cndmask_b32_e64 v4, v6, v4, s[4:5]
	v_lshlrev_b32_e32 v6, 8, v8
	v_lshl_add_u32 v5, v5, 10, v0
	v_and_or_b32 v5, v6, s37, v5
	v_lshl_or_b32 v4, v4, 7, v5
	v_cvt_f32_f16_e32 v34, v4
.LBB292_172:                            ;   in Loop: Header=BB292_13 Depth=1
	s_or_b64 exec, exec, s[26:27]
	v_lshrrev_b32_e32 v8, 24, v50
	v_cmp_lt_i16_e64 s[4:5], s35, v8
	s_mov_b64 s[26:27], 0
                                        ; implicit-def: $sgpr38
	s_and_saveexec_b64 s[28:29], s[4:5]
	s_xor_b64 s[28:29], exec, s[28:29]
	s_cbranch_execnz .LBB292_402
; %bb.173:                              ;   in Loop: Header=BB292_13 Depth=1
	s_or_saveexec_b64 s[28:29], s[28:29]
	v_mov_b32_e32 v35, s38
	s_xor_b64 exec, exec, s[28:29]
	s_cbranch_execnz .LBB292_405
.LBB292_174:                            ;   in Loop: Header=BB292_13 Depth=1
	s_or_b64 exec, exec, s[28:29]
	s_and_saveexec_b64 s[28:29], s[26:27]
	s_cbranch_execz .LBB292_176
.LBB292_175:                            ;   in Loop: Header=BB292_13 Depth=1
	v_bfe_u32 v6, v50, 24, 3
	v_ffbh_u32_e32 v4, v6
	v_min_u32_e32 v10, 32, v4
	v_subrev_u32_e32 v4, 28, v10
	v_bfe_u32 v7, v50, 27, 4
	v_lshlrev_b64 v[4:5], v4, v[8:9]
	v_sub_u32_e32 v5, 29, v10
	v_cmp_eq_u32_e64 s[4:5], 0, v7
	v_and_b32_e32 v4, 7, v4
	v_mov_b32_e32 v0, 0x1c00
	v_cndmask_b32_e64 v5, v7, v5, s[4:5]
	v_cndmask_b32_e64 v4, v6, v4, s[4:5]
	v_lshlrev_b32_e32 v6, 8, v8
	v_lshl_add_u32 v5, v5, 10, v0
	v_and_or_b32 v5, v6, s37, v5
	v_lshl_or_b32 v4, v4, 7, v5
	v_cvt_f32_f16_e32 v35, v4
.LBB292_176:                            ;   in Loop: Header=BB292_13 Depth=1
	s_or_b64 exec, exec, s[28:29]
	flat_load_dword v50, v[38:39] offset:2056
	s_mov_b64 s[4:5], 0
                                        ; implicit-def: $sgpr30
	s_waitcnt vmcnt(0) lgkmcnt(0)
	v_cmp_gt_i16_sdwa s[26:27], v50, s35 src0_sel:BYTE_0 src1_sel:DWORD
	s_and_saveexec_b64 s[28:29], s[26:27]
	s_xor_b64 s[26:27], exec, s[28:29]
	s_cbranch_execnz .LBB292_406
; %bb.177:                              ;   in Loop: Header=BB292_13 Depth=1
	s_or_saveexec_b64 s[26:27], s[26:27]
	v_mov_b32_e32 v59, s30
	s_xor_b64 exec, exec, s[26:27]
	s_cbranch_execnz .LBB292_409
.LBB292_178:                            ;   in Loop: Header=BB292_13 Depth=1
	s_or_b64 exec, exec, s[26:27]
	s_and_saveexec_b64 s[26:27], s[4:5]
	s_cbranch_execz .LBB292_180
.LBB292_179:                            ;   in Loop: Header=BB292_13 Depth=1
	v_and_b32_e32 v6, 7, v50
	v_ffbh_u32_e32 v4, v6
	v_min_u32_e32 v8, 32, v4
	v_subrev_u32_e32 v4, 28, v8
	v_bfe_u32 v7, v50, 3, 4
	v_lshlrev_b64 v[4:5], v4, v[50:51]
	v_sub_u32_e32 v5, 29, v8
	v_cmp_eq_u32_e64 s[4:5], 0, v7
	v_and_b32_e32 v4, 7, v4
	v_mov_b32_e32 v0, 0x1c00
	v_cndmask_b32_e64 v5, v7, v5, s[4:5]
	v_cndmask_b32_e64 v4, v6, v4, s[4:5]
	v_lshlrev_b32_e32 v6, 8, v50
	v_lshl_add_u32 v5, v5, 10, v0
	v_and_or_b32 v5, v6, s37, v5
	v_lshl_or_b32 v4, v4, 7, v5
	v_cvt_f32_f16_e32 v59, v4
.LBB292_180:                            ;   in Loop: Header=BB292_13 Depth=1
	s_or_b64 exec, exec, s[26:27]
	v_lshrrev_b16_e32 v8, 8, v50
	v_cmp_lt_i16_e64 s[4:5], s35, v8
	s_mov_b64 s[26:27], 0
                                        ; implicit-def: $sgpr38
	s_and_saveexec_b64 s[28:29], s[4:5]
	s_xor_b64 s[28:29], exec, s[28:29]
	s_cbranch_execnz .LBB292_410
; %bb.181:                              ;   in Loop: Header=BB292_13 Depth=1
	s_or_saveexec_b64 s[28:29], s[28:29]
	v_mov_b32_e32 v22, s38
	s_xor_b64 exec, exec, s[28:29]
	s_cbranch_execnz .LBB292_413
.LBB292_182:                            ;   in Loop: Header=BB292_13 Depth=1
	s_or_b64 exec, exec, s[28:29]
	s_and_saveexec_b64 s[28:29], s[26:27]
	s_cbranch_execz .LBB292_184
.LBB292_183:                            ;   in Loop: Header=BB292_13 Depth=1
	v_and_b32_e32 v6, 7, v8
	v_ffbh_u32_e32 v4, v6
	v_min_u32_e32 v10, 32, v4
	v_subrev_u32_e32 v4, 28, v10
	v_bfe_u32 v7, v8, 3, 4
	v_lshlrev_b64 v[4:5], v4, v[8:9]
	v_sub_u32_e32 v5, 29, v10
	v_cmp_eq_u32_e64 s[4:5], 0, v7
	v_and_b32_e32 v4, 7, v4
	v_mov_b32_e32 v0, 0x1c00
	v_cndmask_b32_e64 v5, v7, v5, s[4:5]
	v_cndmask_b32_e64 v4, v6, v4, s[4:5]
	v_lshlrev_b32_e32 v6, 8, v8
	v_lshl_add_u32 v5, v5, 10, v0
	v_and_or_b32 v5, v6, s37, v5
	v_lshl_or_b32 v4, v4, 7, v5
	v_cvt_f32_f16_e32 v22, v4
.LBB292_184:                            ;   in Loop: Header=BB292_13 Depth=1
	s_or_b64 exec, exec, s[28:29]
	v_lshrrev_b32_e32 v8, 16, v50
	v_cmp_gt_i16_sdwa s[26:27], v8, s35 src0_sel:BYTE_0 src1_sel:DWORD
	s_mov_b64 s[4:5], 0
                                        ; implicit-def: $sgpr30
	s_and_saveexec_b64 s[28:29], s[26:27]
	s_xor_b64 s[26:27], exec, s[28:29]
	s_cbranch_execnz .LBB292_414
; %bb.185:                              ;   in Loop: Header=BB292_13 Depth=1
	s_or_saveexec_b64 s[26:27], s[26:27]
	v_mov_b32_e32 v6, s30
	s_xor_b64 exec, exec, s[26:27]
	s_cbranch_execnz .LBB292_417
.LBB292_186:                            ;   in Loop: Header=BB292_13 Depth=1
	s_or_b64 exec, exec, s[26:27]
	s_and_saveexec_b64 s[26:27], s[4:5]
	s_cbranch_execz .LBB292_188
.LBB292_187:                            ;   in Loop: Header=BB292_13 Depth=1
	v_bfe_u32 v6, v50, 16, 3
	v_ffbh_u32_e32 v4, v6
	v_min_u32_e32 v10, 32, v4
	v_subrev_u32_e32 v4, 28, v10
	v_bfe_u32 v7, v50, 19, 4
	v_lshlrev_b64 v[4:5], v4, v[8:9]
	v_sub_u32_e32 v5, 29, v10
	v_cmp_eq_u32_e64 s[4:5], 0, v7
	v_and_b32_e32 v4, 7, v4
	v_mov_b32_e32 v0, 0x1c00
	v_cndmask_b32_e64 v5, v7, v5, s[4:5]
	v_cndmask_b32_e64 v4, v6, v4, s[4:5]
	v_lshlrev_b32_e32 v6, 8, v8
	v_lshl_add_u32 v5, v5, 10, v0
	v_and_or_b32 v5, v6, s37, v5
	v_lshl_or_b32 v4, v4, 7, v5
	v_cvt_f32_f16_e32 v6, v4
.LBB292_188:                            ;   in Loop: Header=BB292_13 Depth=1
	s_or_b64 exec, exec, s[26:27]
	v_lshrrev_b32_e32 v8, 24, v50
	v_cmp_lt_i16_e64 s[4:5], s35, v8
	s_mov_b64 s[26:27], 0
                                        ; implicit-def: $sgpr38
	s_and_saveexec_b64 s[28:29], s[4:5]
	s_xor_b64 s[28:29], exec, s[28:29]
	s_cbranch_execnz .LBB292_418
; %bb.189:                              ;   in Loop: Header=BB292_13 Depth=1
	s_or_saveexec_b64 s[28:29], s[28:29]
	v_mov_b32_e32 v44, s38
	s_xor_b64 exec, exec, s[28:29]
	s_cbranch_execnz .LBB292_421
.LBB292_190:                            ;   in Loop: Header=BB292_13 Depth=1
	s_or_b64 exec, exec, s[28:29]
	s_and_saveexec_b64 s[28:29], s[26:27]
	s_cbranch_execz .LBB292_192
.LBB292_191:                            ;   in Loop: Header=BB292_13 Depth=1
	v_bfe_u32 v7, v50, 24, 3
	v_ffbh_u32_e32 v4, v7
	v_min_u32_e32 v11, 32, v4
	v_subrev_u32_e32 v4, 28, v11
	v_bfe_u32 v10, v50, 27, 4
	v_lshlrev_b64 v[4:5], v4, v[8:9]
	v_sub_u32_e32 v5, 29, v11
	v_cmp_eq_u32_e64 s[4:5], 0, v10
	v_and_b32_e32 v4, 7, v4
	v_mov_b32_e32 v0, 0x1c00
	v_cndmask_b32_e64 v5, v10, v5, s[4:5]
	v_cndmask_b32_e64 v4, v7, v4, s[4:5]
	v_lshlrev_b32_e32 v7, 8, v8
	v_lshl_add_u32 v5, v5, 10, v0
	v_and_or_b32 v5, v7, s37, v5
	v_lshl_or_b32 v4, v4, 7, v5
	v_cvt_f32_f16_e32 v44, v4
.LBB292_192:                            ;   in Loop: Header=BB292_13 Depth=1
	s_or_b64 exec, exec, s[28:29]
	flat_load_dword v50, v[38:39] offset:2560
	s_mov_b64 s[4:5], 0
                                        ; implicit-def: $sgpr30
	s_waitcnt vmcnt(0) lgkmcnt(0)
	v_cmp_gt_i16_sdwa s[26:27], v50, s35 src0_sel:BYTE_0 src1_sel:DWORD
	s_and_saveexec_b64 s[28:29], s[26:27]
	s_xor_b64 s[26:27], exec, s[28:29]
	s_cbranch_execnz .LBB292_422
; %bb.193:                              ;   in Loop: Header=BB292_13 Depth=1
	s_or_saveexec_b64 s[26:27], s[26:27]
	v_mov_b32_e32 v25, s30
	s_xor_b64 exec, exec, s[26:27]
	s_cbranch_execnz .LBB292_425
.LBB292_194:                            ;   in Loop: Header=BB292_13 Depth=1
	s_or_b64 exec, exec, s[26:27]
	s_and_saveexec_b64 s[26:27], s[4:5]
	s_cbranch_execz .LBB292_196
.LBB292_195:                            ;   in Loop: Header=BB292_13 Depth=1
	v_and_b32_e32 v7, 7, v50
	v_ffbh_u32_e32 v4, v7
	v_min_u32_e32 v10, 32, v4
	v_subrev_u32_e32 v4, 28, v10
	v_bfe_u32 v8, v50, 3, 4
	v_lshlrev_b64 v[4:5], v4, v[50:51]
	v_sub_u32_e32 v5, 29, v10
	v_cmp_eq_u32_e64 s[4:5], 0, v8
	v_and_b32_e32 v4, 7, v4
	v_mov_b32_e32 v0, 0x1c00
	v_cndmask_b32_e64 v5, v8, v5, s[4:5]
	v_cndmask_b32_e64 v4, v7, v4, s[4:5]
	v_lshlrev_b32_e32 v7, 8, v50
	v_lshl_add_u32 v5, v5, 10, v0
	v_and_or_b32 v5, v7, s37, v5
	v_lshl_or_b32 v4, v4, 7, v5
	v_cvt_f32_f16_e32 v25, v4
.LBB292_196:                            ;   in Loop: Header=BB292_13 Depth=1
	s_or_b64 exec, exec, s[26:27]
	v_lshrrev_b16_e32 v8, 8, v50
	v_cmp_lt_i16_e64 s[4:5], s35, v8
	s_mov_b64 s[26:27], 0
                                        ; implicit-def: $sgpr38
	s_and_saveexec_b64 s[28:29], s[4:5]
	s_xor_b64 s[28:29], exec, s[28:29]
	s_cbranch_execnz .LBB292_426
; %bb.197:                              ;   in Loop: Header=BB292_13 Depth=1
	s_or_saveexec_b64 s[28:29], s[28:29]
	v_mov_b32_e32 v24, s38
	s_xor_b64 exec, exec, s[28:29]
	s_cbranch_execnz .LBB292_429
.LBB292_198:                            ;   in Loop: Header=BB292_13 Depth=1
	s_or_b64 exec, exec, s[28:29]
	s_and_saveexec_b64 s[28:29], s[26:27]
	s_cbranch_execz .LBB292_200
.LBB292_199:                            ;   in Loop: Header=BB292_13 Depth=1
	v_and_b32_e32 v7, 7, v8
	v_ffbh_u32_e32 v4, v7
	v_min_u32_e32 v11, 32, v4
	v_subrev_u32_e32 v4, 28, v11
	v_bfe_u32 v10, v8, 3, 4
	v_lshlrev_b64 v[4:5], v4, v[8:9]
	v_sub_u32_e32 v5, 29, v11
	v_cmp_eq_u32_e64 s[4:5], 0, v10
	v_and_b32_e32 v4, 7, v4
	v_mov_b32_e32 v0, 0x1c00
	v_cndmask_b32_e64 v5, v10, v5, s[4:5]
	v_cndmask_b32_e64 v4, v7, v4, s[4:5]
	v_lshlrev_b32_e32 v7, 8, v8
	v_lshl_add_u32 v5, v5, 10, v0
	v_and_or_b32 v5, v7, s37, v5
	v_lshl_or_b32 v4, v4, 7, v5
	v_cvt_f32_f16_e32 v24, v4
.LBB292_200:                            ;   in Loop: Header=BB292_13 Depth=1
	s_or_b64 exec, exec, s[28:29]
	v_lshrrev_b32_e32 v8, 16, v50
	v_cmp_gt_i16_sdwa s[26:27], v8, s35 src0_sel:BYTE_0 src1_sel:DWORD
	s_mov_b64 s[4:5], 0
                                        ; implicit-def: $sgpr30
	s_and_saveexec_b64 s[28:29], s[26:27]
	s_xor_b64 s[26:27], exec, s[28:29]
	s_cbranch_execnz .LBB292_430
; %bb.201:                              ;   in Loop: Header=BB292_13 Depth=1
	s_or_saveexec_b64 s[26:27], s[26:27]
	v_mov_b32_e32 v62, s30
	s_xor_b64 exec, exec, s[26:27]
	s_cbranch_execnz .LBB292_433
.LBB292_202:                            ;   in Loop: Header=BB292_13 Depth=1
	s_or_b64 exec, exec, s[26:27]
	s_and_saveexec_b64 s[26:27], s[4:5]
	s_cbranch_execz .LBB292_204
.LBB292_203:                            ;   in Loop: Header=BB292_13 Depth=1
	v_bfe_u32 v7, v50, 16, 3
	v_ffbh_u32_e32 v4, v7
	v_min_u32_e32 v11, 32, v4
	v_subrev_u32_e32 v4, 28, v11
	v_bfe_u32 v10, v50, 19, 4
	v_lshlrev_b64 v[4:5], v4, v[8:9]
	v_sub_u32_e32 v5, 29, v11
	v_cmp_eq_u32_e64 s[4:5], 0, v10
	v_and_b32_e32 v4, 7, v4
	v_mov_b32_e32 v0, 0x1c00
	v_cndmask_b32_e64 v5, v10, v5, s[4:5]
	v_cndmask_b32_e64 v4, v7, v4, s[4:5]
	v_lshlrev_b32_e32 v7, 8, v8
	v_lshl_add_u32 v5, v5, 10, v0
	v_and_or_b32 v5, v7, s37, v5
	v_lshl_or_b32 v4, v4, 7, v5
	v_cvt_f32_f16_e32 v62, v4
.LBB292_204:                            ;   in Loop: Header=BB292_13 Depth=1
	s_or_b64 exec, exec, s[26:27]
	v_lshrrev_b32_e32 v8, 24, v50
	v_cmp_lt_i16_e64 s[4:5], s35, v8
	s_mov_b64 s[26:27], 0
                                        ; implicit-def: $sgpr38
	s_and_saveexec_b64 s[28:29], s[4:5]
	s_xor_b64 s[28:29], exec, s[28:29]
	s_cbranch_execnz .LBB292_434
; %bb.205:                              ;   in Loop: Header=BB292_13 Depth=1
	s_or_saveexec_b64 s[28:29], s[28:29]
	v_mov_b32_e32 v7, s38
	s_xor_b64 exec, exec, s[28:29]
	s_cbranch_execnz .LBB292_437
.LBB292_206:                            ;   in Loop: Header=BB292_13 Depth=1
	s_or_b64 exec, exec, s[28:29]
	s_and_saveexec_b64 s[28:29], s[26:27]
	s_cbranch_execz .LBB292_208
.LBB292_207:                            ;   in Loop: Header=BB292_13 Depth=1
	v_bfe_u32 v7, v50, 24, 3
	v_ffbh_u32_e32 v4, v7
	v_min_u32_e32 v11, 32, v4
	v_subrev_u32_e32 v4, 28, v11
	v_bfe_u32 v10, v50, 27, 4
	v_lshlrev_b64 v[4:5], v4, v[8:9]
	v_sub_u32_e32 v5, 29, v11
	v_cmp_eq_u32_e64 s[4:5], 0, v10
	v_and_b32_e32 v4, 7, v4
	v_mov_b32_e32 v0, 0x1c00
	v_cndmask_b32_e64 v5, v10, v5, s[4:5]
	v_cndmask_b32_e64 v4, v7, v4, s[4:5]
	v_lshlrev_b32_e32 v7, 8, v8
	v_lshl_add_u32 v5, v5, 10, v0
	v_and_or_b32 v5, v7, s37, v5
	v_lshl_or_b32 v4, v4, 7, v5
	v_cvt_f32_f16_e32 v7, v4
.LBB292_208:                            ;   in Loop: Header=BB292_13 Depth=1
	s_or_b64 exec, exec, s[28:29]
	flat_load_dword v50, v[38:39] offset:2568
	s_mov_b64 s[4:5], 0
                                        ; implicit-def: $sgpr30
	s_waitcnt vmcnt(0) lgkmcnt(0)
	v_cmp_gt_i16_sdwa s[26:27], v50, s35 src0_sel:BYTE_0 src1_sel:DWORD
	s_and_saveexec_b64 s[28:29], s[26:27]
	s_xor_b64 s[26:27], exec, s[28:29]
	s_cbranch_execnz .LBB292_438
; %bb.209:                              ;   in Loop: Header=BB292_13 Depth=1
	s_or_saveexec_b64 s[26:27], s[26:27]
	v_mov_b32_e32 v31, s30
	s_xor_b64 exec, exec, s[26:27]
	s_cbranch_execnz .LBB292_441
.LBB292_210:                            ;   in Loop: Header=BB292_13 Depth=1
	s_or_b64 exec, exec, s[26:27]
	s_and_saveexec_b64 s[26:27], s[4:5]
	s_cbranch_execz .LBB292_212
.LBB292_211:                            ;   in Loop: Header=BB292_13 Depth=1
	v_and_b32_e32 v8, 7, v50
	v_ffbh_u32_e32 v4, v8
	v_min_u32_e32 v11, 32, v4
	v_subrev_u32_e32 v4, 28, v11
	v_bfe_u32 v10, v50, 3, 4
	v_lshlrev_b64 v[4:5], v4, v[50:51]
	v_sub_u32_e32 v5, 29, v11
	v_cmp_eq_u32_e64 s[4:5], 0, v10
	v_and_b32_e32 v4, 7, v4
	v_mov_b32_e32 v0, 0x1c00
	v_cndmask_b32_e64 v5, v10, v5, s[4:5]
	v_cndmask_b32_e64 v4, v8, v4, s[4:5]
	v_lshlrev_b32_e32 v8, 8, v50
	v_lshl_add_u32 v5, v5, 10, v0
	v_and_or_b32 v5, v8, s37, v5
	v_lshl_or_b32 v4, v4, 7, v5
	v_cvt_f32_f16_e32 v31, v4
.LBB292_212:                            ;   in Loop: Header=BB292_13 Depth=1
	s_or_b64 exec, exec, s[26:27]
	v_lshrrev_b16_e32 v8, 8, v50
	v_cmp_lt_i16_e64 s[4:5], s35, v8
	s_mov_b64 s[26:27], 0
                                        ; implicit-def: $sgpr38
	s_and_saveexec_b64 s[28:29], s[4:5]
	s_xor_b64 s[28:29], exec, s[28:29]
	s_cbranch_execnz .LBB292_442
; %bb.213:                              ;   in Loop: Header=BB292_13 Depth=1
	s_or_saveexec_b64 s[28:29], s[28:29]
	v_mov_b32_e32 v41, s38
	s_xor_b64 exec, exec, s[28:29]
	s_cbranch_execnz .LBB292_445
.LBB292_214:                            ;   in Loop: Header=BB292_13 Depth=1
	s_or_b64 exec, exec, s[28:29]
	s_and_saveexec_b64 s[28:29], s[26:27]
	s_cbranch_execz .LBB292_216
.LBB292_215:                            ;   in Loop: Header=BB292_13 Depth=1
	v_and_b32_e32 v10, 7, v8
	v_ffbh_u32_e32 v4, v10
	v_min_u32_e32 v17, 32, v4
	v_subrev_u32_e32 v4, 28, v17
	v_bfe_u32 v11, v8, 3, 4
	v_lshlrev_b64 v[4:5], v4, v[8:9]
	v_sub_u32_e32 v5, 29, v17
	v_cmp_eq_u32_e64 s[4:5], 0, v11
	v_mov_b32_e32 v0, 0x1c00
	v_and_b32_e32 v4, 7, v4
	v_cndmask_b32_e64 v5, v11, v5, s[4:5]
	v_lshlrev_b32_e32 v8, 8, v8
	v_lshl_add_u32 v5, v5, 10, v0
	v_cndmask_b32_e64 v4, v10, v4, s[4:5]
	v_and_or_b32 v5, v8, s37, v5
	v_lshl_or_b32 v4, v4, 7, v5
	v_cvt_f32_f16_e32 v41, v4
.LBB292_216:                            ;   in Loop: Header=BB292_13 Depth=1
	s_or_b64 exec, exec, s[28:29]
	v_lshrrev_b32_e32 v8, 16, v50
	v_cmp_gt_i16_sdwa s[26:27], v8, s35 src0_sel:BYTE_0 src1_sel:DWORD
	s_mov_b64 s[4:5], 0
                                        ; implicit-def: $sgpr30
	s_and_saveexec_b64 s[28:29], s[26:27]
	s_xor_b64 s[26:27], exec, s[28:29]
	s_cbranch_execnz .LBB292_446
; %bb.217:                              ;   in Loop: Header=BB292_13 Depth=1
	s_or_saveexec_b64 s[26:27], s[26:27]
	v_mov_b32_e32 v48, s30
	s_xor_b64 exec, exec, s[26:27]
	s_cbranch_execnz .LBB292_449
.LBB292_218:                            ;   in Loop: Header=BB292_13 Depth=1
	s_or_b64 exec, exec, s[26:27]
	s_and_saveexec_b64 s[26:27], s[4:5]
	s_cbranch_execz .LBB292_220
.LBB292_219:                            ;   in Loop: Header=BB292_13 Depth=1
	v_bfe_u32 v10, v50, 16, 3
	v_ffbh_u32_e32 v4, v10
	v_min_u32_e32 v17, 32, v4
	v_subrev_u32_e32 v4, 28, v17
	v_bfe_u32 v11, v50, 19, 4
	v_lshlrev_b64 v[4:5], v4, v[8:9]
	v_sub_u32_e32 v5, 29, v17
	v_cmp_eq_u32_e64 s[4:5], 0, v11
	v_mov_b32_e32 v0, 0x1c00
	v_and_b32_e32 v4, 7, v4
	v_cndmask_b32_e64 v5, v11, v5, s[4:5]
	v_lshlrev_b32_e32 v8, 8, v8
	v_lshl_add_u32 v5, v5, 10, v0
	v_cndmask_b32_e64 v4, v10, v4, s[4:5]
	v_and_or_b32 v5, v8, s37, v5
	v_lshl_or_b32 v4, v4, 7, v5
	v_cvt_f32_f16_e32 v48, v4
.LBB292_220:                            ;   in Loop: Header=BB292_13 Depth=1
	s_or_b64 exec, exec, s[26:27]
	v_lshrrev_b32_e32 v8, 24, v50
	v_cmp_lt_i16_e64 s[4:5], s35, v8
	s_mov_b64 s[26:27], 0
                                        ; implicit-def: $sgpr38
	s_and_saveexec_b64 s[28:29], s[4:5]
	s_xor_b64 s[28:29], exec, s[28:29]
	s_cbranch_execnz .LBB292_450
; %bb.221:                              ;   in Loop: Header=BB292_13 Depth=1
	s_or_saveexec_b64 s[28:29], s[28:29]
	v_mov_b32_e32 v49, s38
	s_xor_b64 exec, exec, s[28:29]
	s_cbranch_execnz .LBB292_453
.LBB292_222:                            ;   in Loop: Header=BB292_13 Depth=1
	s_or_b64 exec, exec, s[28:29]
	s_and_saveexec_b64 s[28:29], s[26:27]
	s_cbranch_execz .LBB292_224
.LBB292_223:                            ;   in Loop: Header=BB292_13 Depth=1
	v_bfe_u32 v10, v50, 24, 3
	v_ffbh_u32_e32 v4, v10
	v_min_u32_e32 v17, 32, v4
	v_subrev_u32_e32 v4, 28, v17
	v_bfe_u32 v11, v50, 27, 4
	v_lshlrev_b64 v[4:5], v4, v[8:9]
	v_sub_u32_e32 v5, 29, v17
	v_cmp_eq_u32_e64 s[4:5], 0, v11
	v_mov_b32_e32 v0, 0x1c00
	v_and_b32_e32 v4, 7, v4
	v_cndmask_b32_e64 v5, v11, v5, s[4:5]
	v_lshlrev_b32_e32 v8, 8, v8
	v_lshl_add_u32 v5, v5, 10, v0
	v_cndmask_b32_e64 v4, v10, v4, s[4:5]
	v_and_or_b32 v5, v8, s37, v5
	v_lshl_or_b32 v4, v4, 7, v5
	v_cvt_f32_f16_e32 v49, v4
.LBB292_224:                            ;   in Loop: Header=BB292_13 Depth=1
	s_or_b64 exec, exec, s[28:29]
	flat_load_dword v50, v[38:39] offset:3072
	s_mov_b64 s[4:5], 0
                                        ; implicit-def: $sgpr30
	s_waitcnt vmcnt(0) lgkmcnt(0)
	v_cmp_gt_i16_sdwa s[26:27], v50, s35 src0_sel:BYTE_0 src1_sel:DWORD
	s_and_saveexec_b64 s[28:29], s[26:27]
	s_xor_b64 s[26:27], exec, s[28:29]
	s_cbranch_execnz .LBB292_454
; %bb.225:                              ;   in Loop: Header=BB292_13 Depth=1
	s_or_saveexec_b64 s[26:27], s[26:27]
	v_mov_b32_e32 v56, s30
	s_xor_b64 exec, exec, s[26:27]
	s_cbranch_execnz .LBB292_457
.LBB292_226:                            ;   in Loop: Header=BB292_13 Depth=1
	s_or_b64 exec, exec, s[26:27]
	s_and_saveexec_b64 s[26:27], s[4:5]
	s_cbranch_execz .LBB292_228
.LBB292_227:                            ;   in Loop: Header=BB292_13 Depth=1
	v_and_b32_e32 v8, 7, v50
	v_ffbh_u32_e32 v4, v8
	v_min_u32_e32 v11, 32, v4
	v_subrev_u32_e32 v4, 28, v11
	v_bfe_u32 v10, v50, 3, 4
	v_lshlrev_b64 v[4:5], v4, v[50:51]
	v_sub_u32_e32 v5, 29, v11
	v_cmp_eq_u32_e64 s[4:5], 0, v10
	v_and_b32_e32 v4, 7, v4
	v_mov_b32_e32 v0, 0x1c00
	v_cndmask_b32_e64 v5, v10, v5, s[4:5]
	v_cndmask_b32_e64 v4, v8, v4, s[4:5]
	v_lshlrev_b32_e32 v8, 8, v50
	v_lshl_add_u32 v5, v5, 10, v0
	v_and_or_b32 v5, v8, s37, v5
	v_lshl_or_b32 v4, v4, 7, v5
	v_cvt_f32_f16_e32 v56, v4
.LBB292_228:                            ;   in Loop: Header=BB292_13 Depth=1
	s_or_b64 exec, exec, s[26:27]
	v_lshrrev_b16_e32 v8, 8, v50
	v_cmp_lt_i16_e64 s[4:5], s35, v8
	s_mov_b64 s[26:27], 0
                                        ; implicit-def: $sgpr38
	s_and_saveexec_b64 s[28:29], s[4:5]
	s_xor_b64 s[28:29], exec, s[28:29]
	s_cbranch_execnz .LBB292_458
; %bb.229:                              ;   in Loop: Header=BB292_13 Depth=1
	s_or_saveexec_b64 s[28:29], s[28:29]
	v_mov_b32_e32 v27, s38
	s_xor_b64 exec, exec, s[28:29]
	s_cbranch_execnz .LBB292_461
.LBB292_230:                            ;   in Loop: Header=BB292_13 Depth=1
	s_or_b64 exec, exec, s[28:29]
	s_and_saveexec_b64 s[28:29], s[26:27]
	s_cbranch_execz .LBB292_232
.LBB292_231:                            ;   in Loop: Header=BB292_13 Depth=1
	v_and_b32_e32 v10, 7, v8
	v_ffbh_u32_e32 v4, v10
	v_min_u32_e32 v17, 32, v4
	v_subrev_u32_e32 v4, 28, v17
	v_bfe_u32 v11, v8, 3, 4
	v_lshlrev_b64 v[4:5], v4, v[8:9]
	v_sub_u32_e32 v5, 29, v17
	v_cmp_eq_u32_e64 s[4:5], 0, v11
	v_mov_b32_e32 v0, 0x1c00
	v_and_b32_e32 v4, 7, v4
	v_cndmask_b32_e64 v5, v11, v5, s[4:5]
	v_lshlrev_b32_e32 v8, 8, v8
	v_lshl_add_u32 v5, v5, 10, v0
	v_cndmask_b32_e64 v4, v10, v4, s[4:5]
	v_and_or_b32 v5, v8, s37, v5
	v_lshl_or_b32 v4, v4, 7, v5
	v_cvt_f32_f16_e32 v27, v4
.LBB292_232:                            ;   in Loop: Header=BB292_13 Depth=1
	s_or_b64 exec, exec, s[28:29]
	v_lshrrev_b32_e32 v8, 16, v50
	v_cmp_gt_i16_sdwa s[26:27], v8, s35 src0_sel:BYTE_0 src1_sel:DWORD
	s_mov_b64 s[4:5], 0
                                        ; implicit-def: $sgpr30
	s_and_saveexec_b64 s[28:29], s[26:27]
	s_xor_b64 s[26:27], exec, s[28:29]
	s_cbranch_execnz .LBB292_462
; %bb.233:                              ;   in Loop: Header=BB292_13 Depth=1
	s_or_saveexec_b64 s[26:27], s[26:27]
	v_mov_b32_e32 v26, s30
	s_xor_b64 exec, exec, s[26:27]
	s_cbranch_execnz .LBB292_465
.LBB292_234:                            ;   in Loop: Header=BB292_13 Depth=1
	s_or_b64 exec, exec, s[26:27]
	s_and_saveexec_b64 s[26:27], s[4:5]
	s_cbranch_execz .LBB292_236
.LBB292_235:                            ;   in Loop: Header=BB292_13 Depth=1
	v_bfe_u32 v10, v50, 16, 3
	v_ffbh_u32_e32 v4, v10
	v_min_u32_e32 v17, 32, v4
	v_subrev_u32_e32 v4, 28, v17
	v_bfe_u32 v11, v50, 19, 4
	v_lshlrev_b64 v[4:5], v4, v[8:9]
	v_sub_u32_e32 v5, 29, v17
	v_cmp_eq_u32_e64 s[4:5], 0, v11
	v_mov_b32_e32 v0, 0x1c00
	v_and_b32_e32 v4, 7, v4
	v_cndmask_b32_e64 v5, v11, v5, s[4:5]
	v_lshlrev_b32_e32 v8, 8, v8
	v_lshl_add_u32 v5, v5, 10, v0
	v_cndmask_b32_e64 v4, v10, v4, s[4:5]
	v_and_or_b32 v5, v8, s37, v5
	v_lshl_or_b32 v4, v4, 7, v5
	v_cvt_f32_f16_e32 v26, v4
.LBB292_236:                            ;   in Loop: Header=BB292_13 Depth=1
	s_or_b64 exec, exec, s[26:27]
	v_lshrrev_b32_e32 v8, 24, v50
	v_cmp_lt_i16_e64 s[4:5], s35, v8
	s_mov_b64 s[26:27], 0
                                        ; implicit-def: $sgpr38
	s_and_saveexec_b64 s[28:29], s[4:5]
	s_xor_b64 s[28:29], exec, s[28:29]
	s_cbranch_execnz .LBB292_466
; %bb.237:                              ;   in Loop: Header=BB292_13 Depth=1
	s_or_saveexec_b64 s[28:29], s[28:29]
	v_mov_b32_e32 v52, s38
	s_xor_b64 exec, exec, s[28:29]
	s_cbranch_execnz .LBB292_469
.LBB292_238:                            ;   in Loop: Header=BB292_13 Depth=1
	s_or_b64 exec, exec, s[28:29]
	s_and_saveexec_b64 s[28:29], s[26:27]
	s_cbranch_execz .LBB292_240
.LBB292_239:                            ;   in Loop: Header=BB292_13 Depth=1
	v_bfe_u32 v10, v50, 24, 3
	v_ffbh_u32_e32 v4, v10
	v_min_u32_e32 v17, 32, v4
	v_subrev_u32_e32 v4, 28, v17
	v_bfe_u32 v11, v50, 27, 4
	v_lshlrev_b64 v[4:5], v4, v[8:9]
	v_sub_u32_e32 v5, 29, v17
	v_cmp_eq_u32_e64 s[4:5], 0, v11
	v_mov_b32_e32 v0, 0x1c00
	v_and_b32_e32 v4, 7, v4
	v_cndmask_b32_e64 v5, v11, v5, s[4:5]
	v_lshlrev_b32_e32 v8, 8, v8
	v_lshl_add_u32 v5, v5, 10, v0
	v_cndmask_b32_e64 v4, v10, v4, s[4:5]
	v_and_or_b32 v5, v8, s37, v5
	v_lshl_or_b32 v4, v4, 7, v5
	v_cvt_f32_f16_e32 v52, v4
.LBB292_240:                            ;   in Loop: Header=BB292_13 Depth=1
	s_or_b64 exec, exec, s[28:29]
	flat_load_dword v50, v[38:39] offset:3080
	s_mov_b64 s[4:5], 0
                                        ; implicit-def: $sgpr30
	s_waitcnt vmcnt(0) lgkmcnt(0)
	v_cmp_gt_i16_sdwa s[26:27], v50, s35 src0_sel:BYTE_0 src1_sel:DWORD
	s_and_saveexec_b64 s[28:29], s[26:27]
	s_xor_b64 s[26:27], exec, s[28:29]
	s_cbranch_execnz .LBB292_470
; %bb.241:                              ;   in Loop: Header=BB292_13 Depth=1
	s_or_saveexec_b64 s[26:27], s[26:27]
	v_mov_b32_e32 v21, s30
	s_xor_b64 exec, exec, s[26:27]
	s_cbranch_execnz .LBB292_473
.LBB292_242:                            ;   in Loop: Header=BB292_13 Depth=1
	s_or_b64 exec, exec, s[26:27]
	s_and_saveexec_b64 s[26:27], s[4:5]
	s_cbranch_execz .LBB292_244
.LBB292_243:                            ;   in Loop: Header=BB292_13 Depth=1
	v_and_b32_e32 v8, 7, v50
	v_ffbh_u32_e32 v4, v8
	v_min_u32_e32 v11, 32, v4
	v_subrev_u32_e32 v4, 28, v11
	v_bfe_u32 v10, v50, 3, 4
	v_lshlrev_b64 v[4:5], v4, v[50:51]
	v_sub_u32_e32 v5, 29, v11
	v_cmp_eq_u32_e64 s[4:5], 0, v10
	v_and_b32_e32 v4, 7, v4
	v_mov_b32_e32 v0, 0x1c00
	v_cndmask_b32_e64 v5, v10, v5, s[4:5]
	v_cndmask_b32_e64 v4, v8, v4, s[4:5]
	v_lshlrev_b32_e32 v8, 8, v50
	v_lshl_add_u32 v5, v5, 10, v0
	v_and_or_b32 v5, v8, s37, v5
	v_lshl_or_b32 v4, v4, 7, v5
	v_cvt_f32_f16_e32 v21, v4
.LBB292_244:                            ;   in Loop: Header=BB292_13 Depth=1
	s_or_b64 exec, exec, s[26:27]
	v_lshrrev_b16_e32 v8, 8, v50
	v_cmp_lt_i16_e64 s[4:5], s35, v8
	s_mov_b64 s[26:27], 0
                                        ; implicit-def: $sgpr38
	s_and_saveexec_b64 s[28:29], s[4:5]
	s_xor_b64 s[28:29], exec, s[28:29]
	s_cbranch_execnz .LBB292_474
; %bb.245:                              ;   in Loop: Header=BB292_13 Depth=1
	s_or_saveexec_b64 s[28:29], s[28:29]
	v_mov_b32_e32 v20, s38
	s_xor_b64 exec, exec, s[28:29]
	s_cbranch_execnz .LBB292_477
.LBB292_246:                            ;   in Loop: Header=BB292_13 Depth=1
	s_or_b64 exec, exec, s[28:29]
	s_and_saveexec_b64 s[28:29], s[26:27]
	s_cbranch_execz .LBB292_248
.LBB292_247:                            ;   in Loop: Header=BB292_13 Depth=1
	v_and_b32_e32 v10, 7, v8
	v_ffbh_u32_e32 v4, v10
	v_min_u32_e32 v17, 32, v4
	v_subrev_u32_e32 v4, 28, v17
	v_bfe_u32 v11, v8, 3, 4
	v_lshlrev_b64 v[4:5], v4, v[8:9]
	v_sub_u32_e32 v5, 29, v17
	v_cmp_eq_u32_e64 s[4:5], 0, v11
	v_mov_b32_e32 v0, 0x1c00
	v_and_b32_e32 v4, 7, v4
	v_cndmask_b32_e64 v5, v11, v5, s[4:5]
	v_lshlrev_b32_e32 v8, 8, v8
	v_lshl_add_u32 v5, v5, 10, v0
	v_cndmask_b32_e64 v4, v10, v4, s[4:5]
	v_and_or_b32 v5, v8, s37, v5
	v_lshl_or_b32 v4, v4, 7, v5
	v_cvt_f32_f16_e32 v20, v4
.LBB292_248:                            ;   in Loop: Header=BB292_13 Depth=1
	s_or_b64 exec, exec, s[28:29]
	v_lshrrev_b32_e32 v8, 16, v50
	v_cmp_gt_i16_sdwa s[26:27], v8, s35 src0_sel:BYTE_0 src1_sel:DWORD
	s_mov_b64 s[4:5], 0
                                        ; implicit-def: $sgpr30
	s_and_saveexec_b64 s[28:29], s[26:27]
	s_xor_b64 s[26:27], exec, s[28:29]
	s_cbranch_execnz .LBB292_478
; %bb.249:                              ;   in Loop: Header=BB292_13 Depth=1
	s_or_saveexec_b64 s[26:27], s[26:27]
	v_mov_b32_e32 v42, s30
	s_xor_b64 exec, exec, s[26:27]
	s_cbranch_execnz .LBB292_481
.LBB292_250:                            ;   in Loop: Header=BB292_13 Depth=1
	s_or_b64 exec, exec, s[26:27]
	s_and_saveexec_b64 s[26:27], s[4:5]
	s_cbranch_execz .LBB292_252
.LBB292_251:                            ;   in Loop: Header=BB292_13 Depth=1
	v_bfe_u32 v10, v50, 16, 3
	v_ffbh_u32_e32 v4, v10
	v_min_u32_e32 v17, 32, v4
	v_subrev_u32_e32 v4, 28, v17
	v_bfe_u32 v11, v50, 19, 4
	v_lshlrev_b64 v[4:5], v4, v[8:9]
	v_sub_u32_e32 v5, 29, v17
	v_cmp_eq_u32_e64 s[4:5], 0, v11
	v_mov_b32_e32 v0, 0x1c00
	v_and_b32_e32 v4, 7, v4
	v_cndmask_b32_e64 v5, v11, v5, s[4:5]
	v_lshlrev_b32_e32 v8, 8, v8
	v_lshl_add_u32 v5, v5, 10, v0
	v_cndmask_b32_e64 v4, v10, v4, s[4:5]
	v_and_or_b32 v5, v8, s37, v5
	v_lshl_or_b32 v4, v4, 7, v5
	v_cvt_f32_f16_e32 v42, v4
.LBB292_252:                            ;   in Loop: Header=BB292_13 Depth=1
	s_or_b64 exec, exec, s[26:27]
	v_lshrrev_b32_e32 v8, 24, v50
	v_cmp_lt_i16_e64 s[4:5], s35, v8
	s_mov_b64 s[26:27], 0
                                        ; implicit-def: $sgpr38
	s_and_saveexec_b64 s[28:29], s[4:5]
	s_xor_b64 s[28:29], exec, s[28:29]
	s_cbranch_execnz .LBB292_482
; %bb.253:                              ;   in Loop: Header=BB292_13 Depth=1
	s_or_saveexec_b64 s[28:29], s[28:29]
	v_mov_b32_e32 v5, s38
	s_xor_b64 exec, exec, s[28:29]
	s_cbranch_execnz .LBB292_485
.LBB292_254:                            ;   in Loop: Header=BB292_13 Depth=1
	s_or_b64 exec, exec, s[28:29]
	s_and_saveexec_b64 s[28:29], s[26:27]
	s_cbranch_execz .LBB292_256
.LBB292_255:                            ;   in Loop: Header=BB292_13 Depth=1
	v_bfe_u32 v10, v50, 24, 3
	v_ffbh_u32_e32 v4, v10
	v_min_u32_e32 v17, 32, v4
	v_subrev_u32_e32 v4, 28, v17
	v_bfe_u32 v11, v50, 27, 4
	v_lshlrev_b64 v[4:5], v4, v[8:9]
	v_sub_u32_e32 v5, 29, v17
	v_cmp_eq_u32_e64 s[4:5], 0, v11
	v_mov_b32_e32 v0, 0x1c00
	v_and_b32_e32 v4, 7, v4
	v_cndmask_b32_e64 v5, v11, v5, s[4:5]
	v_lshlrev_b32_e32 v8, 8, v8
	v_lshl_add_u32 v5, v5, 10, v0
	v_cndmask_b32_e64 v4, v10, v4, s[4:5]
	v_and_or_b32 v5, v8, s37, v5
	v_lshl_or_b32 v4, v4, 7, v5
	v_cvt_f32_f16_e32 v5, v4
.LBB292_256:                            ;   in Loop: Header=BB292_13 Depth=1
	s_or_b64 exec, exec, s[28:29]
	flat_load_dword v38, v[38:39] offset:3584
	s_mov_b64 s[4:5], 0
                                        ; implicit-def: $sgpr30
	s_waitcnt vmcnt(0) lgkmcnt(0)
	v_cmp_gt_i16_sdwa s[26:27], v38, s35 src0_sel:BYTE_0 src1_sel:DWORD
	s_and_saveexec_b64 s[28:29], s[26:27]
	s_xor_b64 s[26:27], exec, s[28:29]
	s_cbranch_execnz .LBB292_486
; %bb.257:                              ;   in Loop: Header=BB292_13 Depth=1
	s_or_saveexec_b64 s[26:27], s[26:27]
	v_mov_b32_e32 v50, s30
	s_xor_b64 exec, exec, s[26:27]
	s_cbranch_execnz .LBB292_489
.LBB292_258:                            ;   in Loop: Header=BB292_13 Depth=1
	s_or_b64 exec, exec, s[26:27]
	s_and_saveexec_b64 s[26:27], s[4:5]
	s_cbranch_execz .LBB292_260
.LBB292_259:                            ;   in Loop: Header=BB292_13 Depth=1
	v_and_b32_e32 v4, 7, v38
	v_ffbh_u32_e32 v10, v4
	v_bfe_u32 v8, v38, 3, 4
	v_min_u32_e32 v10, 32, v10
	v_subrev_u32_e32 v11, 28, v10
	v_sub_u32_e32 v10, 29, v10
	v_cmp_eq_u32_e64 s[4:5], 0, v8
	v_lshlrev_b64 v[28:29], v11, v[38:39]
	v_mov_b32_e32 v0, 0x1c00
	v_cndmask_b32_e64 v8, v8, v10, s[4:5]
	v_and_b32_e32 v11, 7, v28
	v_lshlrev_b32_e32 v10, 8, v38
	v_lshl_add_u32 v8, v8, 10, v0
	v_cndmask_b32_e64 v4, v4, v11, s[4:5]
	v_and_or_b32 v8, v10, s37, v8
	v_lshl_or_b32 v4, v4, 7, v8
	v_cvt_f32_f16_e32 v50, v4
.LBB292_260:                            ;   in Loop: Header=BB292_13 Depth=1
	s_or_b64 exec, exec, s[26:27]
	v_lshrrev_b16_e32 v8, 8, v38
	v_cmp_lt_i16_e64 s[4:5], s35, v8
	s_mov_b64 s[26:27], 0
                                        ; implicit-def: $sgpr38
	s_and_saveexec_b64 s[28:29], s[4:5]
	s_xor_b64 s[28:29], exec, s[28:29]
	s_cbranch_execnz .LBB292_490
; %bb.261:                              ;   in Loop: Header=BB292_13 Depth=1
	s_or_saveexec_b64 s[28:29], s[28:29]
	v_mov_b32_e32 v29, s38
	s_xor_b64 exec, exec, s[28:29]
	s_cbranch_execnz .LBB292_493
.LBB292_262:                            ;   in Loop: Header=BB292_13 Depth=1
	s_or_b64 exec, exec, s[28:29]
	s_and_saveexec_b64 s[28:29], s[26:27]
	s_cbranch_execz .LBB292_264
.LBB292_263:                            ;   in Loop: Header=BB292_13 Depth=1
	v_and_b32_e32 v4, 7, v8
	v_ffbh_u32_e32 v11, v4
	v_bfe_u32 v10, v8, 3, 4
	v_min_u32_e32 v11, 32, v11
	v_subrev_u32_e32 v17, 28, v11
	v_sub_u32_e32 v11, 29, v11
	v_cmp_eq_u32_e64 s[4:5], 0, v10
	v_lshlrev_b64 v[28:29], v17, v[8:9]
	v_mov_b32_e32 v0, 0x1c00
	v_cndmask_b32_e64 v10, v10, v11, s[4:5]
	v_and_b32_e32 v17, 7, v28
	v_lshlrev_b32_e32 v8, 8, v8
	v_lshl_add_u32 v10, v10, 10, v0
	v_cndmask_b32_e64 v4, v4, v17, s[4:5]
	v_and_or_b32 v8, v8, s37, v10
	v_lshl_or_b32 v4, v4, 7, v8
	v_cvt_f32_f16_e32 v29, v4
.LBB292_264:                            ;   in Loop: Header=BB292_13 Depth=1
	s_or_b64 exec, exec, s[28:29]
	v_lshrrev_b32_e32 v8, 16, v38
	v_cmp_gt_i16_sdwa s[26:27], v8, s35 src0_sel:BYTE_0 src1_sel:DWORD
	s_mov_b64 s[4:5], 0
                                        ; implicit-def: $sgpr30
	s_and_saveexec_b64 s[28:29], s[26:27]
	s_xor_b64 s[26:27], exec, s[28:29]
	s_cbranch_execnz .LBB292_494
; %bb.265:                              ;   in Loop: Header=BB292_13 Depth=1
	s_or_saveexec_b64 s[26:27], s[26:27]
	v_mov_b32_e32 v57, s30
	s_xor_b64 exec, exec, s[26:27]
	s_cbranch_execnz .LBB292_497
.LBB292_266:                            ;   in Loop: Header=BB292_13 Depth=1
	s_or_b64 exec, exec, s[26:27]
	s_and_saveexec_b64 s[26:27], s[4:5]
	s_cbranch_execz .LBB292_268
.LBB292_267:                            ;   in Loop: Header=BB292_13 Depth=1
	v_bfe_u32 v4, v38, 16, 3
	v_ffbh_u32_e32 v10, v4
	v_min_u32_e32 v28, 32, v10
	v_subrev_u32_e32 v10, 28, v28
	v_bfe_u32 v17, v38, 19, 4
	v_lshlrev_b64 v[10:11], v10, v[8:9]
	v_sub_u32_e32 v11, 29, v28
	v_cmp_eq_u32_e64 s[4:5], 0, v17
	v_and_b32_e32 v10, 7, v10
	v_mov_b32_e32 v0, 0x1c00
	v_cndmask_b32_e64 v11, v17, v11, s[4:5]
	v_cndmask_b32_e64 v4, v4, v10, s[4:5]
	v_lshlrev_b32_e32 v8, 8, v8
	v_lshl_add_u32 v10, v11, 10, v0
	v_and_or_b32 v8, v8, s37, v10
	v_lshl_or_b32 v4, v4, 7, v8
	v_cvt_f32_f16_e32 v57, v4
.LBB292_268:                            ;   in Loop: Header=BB292_13 Depth=1
	s_or_b64 exec, exec, s[26:27]
	v_lshrrev_b32_e32 v8, 24, v38
	v_cmp_lt_i16_e64 s[4:5], s35, v8
	s_mov_b64 s[26:27], 0
                                        ; implicit-def: $sgpr38
	s_and_saveexec_b64 s[28:29], s[4:5]
	s_xor_b64 s[28:29], exec, s[28:29]
	s_cbranch_execz .LBB292_272
; %bb.269:                              ;   in Loop: Header=BB292_13 Depth=1
	v_cmp_eq_u16_e64 s[4:5], s36, v8
	s_mov_b64 s[26:27], -1
                                        ; implicit-def: $sgpr38
	s_and_saveexec_b64 s[30:31], s[4:5]
; %bb.270:                              ;   in Loop: Header=BB292_13 Depth=1
	s_mov_b32 s38, 0x7fc02000
	s_xor_b64 s[26:27], exec, -1
; %bb.271:                              ;   in Loop: Header=BB292_13 Depth=1
	s_or_b64 exec, exec, s[30:31]
	s_and_b64 s[26:27], s[26:27], exec
.LBB292_272:                            ;   in Loop: Header=BB292_13 Depth=1
	s_or_saveexec_b64 s[28:29], s[28:29]
	v_mov_b32_e32 v0, s38
	s_xor_b64 exec, exec, s[28:29]
; %bb.273:                              ;   in Loop: Header=BB292_13 Depth=1
	v_cmp_ne_u16_e64 s[4:5], 0, v8
	s_andn2_b64 s[26:27], s[26:27], exec
	s_and_b64 s[4:5], s[4:5], exec
	v_mov_b32_e32 v0, 0
	s_or_b64 s[26:27], s[26:27], s[4:5]
; %bb.274:                              ;   in Loop: Header=BB292_13 Depth=1
	s_or_b64 exec, exec, s[28:29]
	v_accvgpr_write_b32 a54, v45
	v_accvgpr_write_b32 a53, v51
	;; [unrolled: 1-line block ×3, first 2 shown]
	s_and_saveexec_b64 s[28:29], s[26:27]
	s_cbranch_execz .LBB292_276
; %bb.275:                              ;   in Loop: Header=BB292_13 Depth=1
	v_bfe_u32 v4, v38, 24, 3
	v_ffbh_u32_e32 v10, v4
	v_min_u32_e32 v28, 32, v10
	v_subrev_u32_e32 v10, 28, v28
	v_bfe_u32 v17, v38, 27, 4
	v_lshlrev_b64 v[10:11], v10, v[8:9]
	v_sub_u32_e32 v11, 29, v28
	v_cmp_eq_u32_e64 s[4:5], 0, v17
	v_and_b32_e32 v10, 7, v10
	v_mov_b32_e32 v0, 0x1c00
	v_cndmask_b32_e64 v11, v17, v11, s[4:5]
	v_cndmask_b32_e64 v4, v4, v10, s[4:5]
	v_lshlrev_b32_e32 v8, 8, v8
	v_lshl_add_u32 v10, v11, 10, v0
	v_and_or_b32 v8, v8, s37, v10
	v_lshl_or_b32 v4, v4, 7, v8
	v_cvt_f32_f16_e32 v0, v4
.LBB292_276:                            ;   in Loop: Header=BB292_13 Depth=1
	s_or_b64 exec, exec, s[28:29]
	v_accvgpr_read_b32 v1, a57
	v_fma_mixlo_f16 v17, v61, v1, 0
	v_accvgpr_read_b32 v1, a55
	v_fma_mixlo_f16 v38, v61, v1, 0
	scratch_load_dword v1, off, s32 offset:180 ; 4-byte Folded Reload
	v_accvgpr_read_b32 v30, a42
	ds_read_b64 v[10:11], v30
	v_fma_mixlo_f16 v28, v61, v13, 0
	v_and_b32_e32 v17, 0xffff, v17
	v_fma_mixlo_f16 v19, v61, v19, 0
	v_fma_mixlo_f16 v53, v61, v53, 0
	s_waitcnt lgkmcnt(0)
	v_lshrrev_b32_e32 v4, 16, v10
	v_and_b32_e32 v8, 0xffff, v10
	v_lshrrev_b32_e32 v10, 16, v11
	v_and_b32_e32 v11, 0xffff, v11
	v_fma_mixlo_f16 v15, v61, v15, 0
	v_fma_mixlo_f16 v59, v61, v59, 0
	;; [unrolled: 1-line block ×8, first 2 shown]
	v_and_b32_e32 v5, 0xffff, v5
	v_fma_mixlo_f16 v0, v61, v0, 0
	v_and_b32_e32 v0, 0xffff, v0
	s_waitcnt vmcnt(0)
	v_fma_mixlo_f16 v39, v61, v1, 0
	scratch_load_dword v1, off, s32 offset:184 ; 4-byte Folded Reload
	;;#ASMSTART
	v_cvt_f32_f16 v13, v8;
	;;#ASMEND
	v_and_b32_e32 v8, 0xffff, v28
	s_waitcnt vmcnt(0)
	v_fma_mixlo_f16 v51, v61, v1, 0
	;;#ASMSTART
	v_cvt_f32_f16 v1, v4;
	;;#ASMEND
	v_and_b32_e32 v4, 0xffff, v38
	;;#ASMSTART
	v_cvt_f32_f16 v4, v4;
	;;#ASMEND
	;;#ASMSTART
	v_cvt_f32_f16 v28, v8;
	;;#ASMEND
	v_and_b32_e32 v8, 0xffff, v39
	;;#ASMSTART
	v_cvt_f32_f16 v38, v11;
	;;#ASMEND
	;;#ASMSTART
	v_cvt_f32_f16 v45, v10;
	;;#ASMEND
	;; [unrolled: 3-line block ×3, first 2 shown]
	v_and_b32_e32 v8, 0xffff, v51
	;;#ASMSTART
	v_cvt_f32_f16 v51, v8;
	;;#ASMEND
	ds_read_b64 v[10:11], v30 offset:8
	s_waitcnt lgkmcnt(0)
	v_and_b32_e32 v8, 0xffff, v10
	;;#ASMSTART
	v_cvt_f32_f16 v8, v8;
	;;#ASMEND
	v_lshrrev_b32_e32 v10, 16, v10
	;;#ASMSTART
	v_cvt_f32_f16 v10, v10;
	;;#ASMEND
	;;#ASMSTART
	v_cvt_f32_f16 v17, v17;
	;;#ASMEND
	s_nop 0
	v_mul_f32_e32 v8, v8, v17
	v_fmac_f32_e32 v8, v13, v4
	scratch_load_dword v4, off, s32 offset:188 ; 4-byte Folded Reload
	v_fma_mixlo_f16 v13, v61, v37, 0
	v_fma_mixlo_f16 v37, v61, v60, 0
	;; [unrolled: 1-line block ×3, first 2 shown]
	s_waitcnt vmcnt(0)
	v_fma_mixlo_f16 v4, v61, v4, 0
	v_and_b32_e32 v4, 0xffff, v4
	;;#ASMSTART
	v_cvt_f32_f16 v4, v4;
	;;#ASMEND
	s_nop 0
	v_mul_f32_e32 v4, v10, v4
	v_fmac_f32_e32 v4, v1, v28
	v_lshrrev_b32_e32 v1, 16, v11
	v_and_b32_e32 v10, 0xffff, v11
	v_fma_mixlo_f16 v11, v61, v43, 0
	;;#ASMSTART
	v_cvt_f32_f16 v10, v10;
	;;#ASMEND
	v_and_b32_e32 v11, 0xffff, v11
	;;#ASMSTART
	v_cvt_f32_f16 v1, v1;
	;;#ASMEND
	;;#ASMSTART
	v_cvt_f32_f16 v11, v11;
	;;#ASMEND
	v_fma_mixlo_f16 v43, v61, v23, 0
	v_mul_f32_e32 v17, v10, v11
	v_fma_mixlo_f16 v10, v61, v18, 0
	v_and_b32_e32 v10, 0xffff, v10
	v_fmac_f32_e32 v17, v38, v39
	;;#ASMSTART
	v_cvt_f32_f16 v10, v10;
	;;#ASMEND
	ds_read_b64 v[38:39], v30 offset:16
	v_mul_f32_e32 v28, v1, v10
	v_fma_mixlo_f16 v1, v61, v47, 0
	v_and_b32_e32 v1, 0xffff, v1
	v_fmac_f32_e32 v28, v45, v51
	s_waitcnt lgkmcnt(0)
	v_and_b32_e32 v10, 0xffff, v38
	v_lshrrev_b32_e32 v11, 16, v38
	;;#ASMSTART
	v_cvt_f32_f16 v10, v10;
	;;#ASMEND
	;;#ASMSTART
	v_cvt_f32_f16 v11, v11;
	;;#ASMEND
	;; [unrolled: 3-line block ×3, first 2 shown]
	v_fma_mixlo_f16 v38, v61, v20, 0
	v_fmac_f32_e32 v8, v10, v1
	v_accvgpr_read_b32 v1, a58
	v_fma_mixlo_f16 v20, v61, v42, 0
	v_fma_mixlo_f16 v42, v61, v27, 0
	;; [unrolled: 1-line block ×18, first 2 shown]
	v_accvgpr_read_b32 v1, a56
	v_fma_mixlo_f16 v45, v61, v16, 0
	v_fma_mixlo_f16 v16, v61, v1, 0
	v_accvgpr_read_b32 v1, a54
	v_fma_mixlo_f16 v23, v61, v36, 0
	v_fma_mixlo_f16 v36, v61, v1, 0
	scratch_load_dword v1, off, s32 offset:176 ; 4-byte Folded Reload
	v_fma_mixlo_f16 v51, v61, v32, 0
	v_fma_mixlo_f16 v32, v61, v35, 0
	;; [unrolled: 1-line block ×9, first 2 shown]
	v_and_b32_e32 v6, 0xffff, v6
	v_and_b32_e32 v3, 0xffff, v3
	;; [unrolled: 1-line block ×3, first 2 shown]
	s_waitcnt vmcnt(0)
	v_fma_mixlo_f16 v10, v61, v1, 0
	v_and_b32_e32 v10, 0xffff, v10
	v_accvgpr_read_b32 v1, a52
	;;#ASMSTART
	v_cvt_f32_f16 v10, v10;
	;;#ASMEND
	v_fma_mixlo_f16 v58, v61, v1, 0
	v_accvgpr_read_b32 v1, a53
	v_fmac_f32_e32 v4, v11, v10
	v_lshrrev_b32_e32 v10, 16, v39
	v_fma_mixlo_f16 v46, v61, v1, 0
	v_fma_mixlo_f16 v1, v61, v57, 0
	v_and_b32_e32 v11, 0xffff, v39
	;;#ASMSTART
	v_cvt_f32_f16 v29, v11;
	;;#ASMEND
	;;#ASMSTART
	v_cvt_f32_f16 v57, v10;
	;;#ASMEND
	v_and_b32_e32 v10, 0xffff, v58
	;;#ASMSTART
	v_cvt_f32_f16 v39, v10;
	;;#ASMEND
	v_and_b32_e32 v10, 0xffff, v46
	;;#ASMSTART
	v_cvt_f32_f16 v50, v10;
	;;#ASMEND
	ds_read_b64 v[10:11], v30 offset:24
	v_fmac_f32_e32 v17, v29, v39
	v_fmac_f32_e32 v28, v57, v50
	v_and_b32_e32 v1, 0xffff, v1
	s_waitcnt lgkmcnt(0)
	v_lshrrev_b32_e32 v29, 16, v10
	v_and_b32_e32 v10, 0xffff, v10
	;;#ASMSTART
	v_cvt_f32_f16 v57, v10;
	;;#ASMEND
	v_and_b32_e32 v10, 0xffff, v37
	;;#ASMSTART
	v_cvt_f32_f16 v29, v29;
	;;#ASMEND
	;;#ASMSTART
	v_cvt_f32_f16 v37, v10;
	;;#ASMEND
	v_and_b32_e32 v10, 0xffff, v36
	;;#ASMSTART
	v_cvt_f32_f16 v36, v10;
	;;#ASMEND
	v_lshrrev_b32_e32 v10, 16, v11
	v_and_b32_e32 v11, 0xffff, v11
	;;#ASMSTART
	v_cvt_f32_f16 v39, v11;
	;;#ASMEND
	;;#ASMSTART
	v_cvt_f32_f16 v50, v10;
	;;#ASMEND
	v_and_b32_e32 v10, 0xffff, v47
	;;#ASMSTART
	v_cvt_f32_f16 v46, v10;
	;;#ASMEND
	v_and_b32_e32 v10, 0xffff, v60
	;;#ASMSTART
	v_cvt_f32_f16 v47, v10;
	;;#ASMEND
	ds_read_b64 v[10:11], v30 offset:32
	v_fmac_f32_e32 v4, v29, v36
	v_fmac_f32_e32 v28, v50, v47
	v_fmac_f32_e32 v8, v57, v37
	v_fmac_f32_e32 v17, v39, v46
	s_waitcnt lgkmcnt(0)
	v_lshrrev_b32_e32 v29, 16, v10
	v_and_b32_e32 v10, 0xffff, v10
	;;#ASMSTART
	v_cvt_f32_f16 v50, v10;
	;;#ASMEND
	v_and_b32_e32 v10, 0xffff, v16
	;;#ASMSTART
	v_cvt_f32_f16 v29, v29;
	;;#ASMEND
	;;#ASMSTART
	v_cvt_f32_f16 v16, v10;
	;;#ASMEND
	v_and_b32_e32 v10, 0xffff, v19
	;;#ASMSTART
	v_cvt_f32_f16 v19, v10;
	;;#ASMEND
	v_lshrrev_b32_e32 v10, 16, v11
	v_and_b32_e32 v11, 0xffff, v11
	;;#ASMSTART
	v_cvt_f32_f16 v36, v11;
	;;#ASMEND
	;;#ASMSTART
	v_cvt_f32_f16 v37, v10;
	;;#ASMEND
	v_and_b32_e32 v10, 0xffff, v43
	;;#ASMSTART
	v_cvt_f32_f16 v39, v10;
	;;#ASMEND
	v_and_b32_e32 v10, 0xffff, v23
	;;#ASMSTART
	v_cvt_f32_f16 v23, v10;
	;;#ASMEND
	ds_read_b64 v[10:11], v30 offset:40
	v_fmac_f32_e32 v8, v50, v16
	v_fmac_f32_e32 v4, v29, v19
	v_fmac_f32_e32 v28, v37, v23
	v_fmac_f32_e32 v17, v36, v39
	;; [unrolled: 38-line block ×6, first 2 shown]
	s_waitcnt lgkmcnt(0)
	v_lshrrev_b32_e32 v12, 16, v10
	v_and_b32_e32 v10, 0xffff, v10
	;;#ASMSTART
	v_cvt_f32_f16 v13, v10;
	;;#ASMEND
	v_and_b32_e32 v10, 0xffff, v59
	;;#ASMSTART
	v_cvt_f32_f16 v12, v12;
	;;#ASMEND
	;;#ASMSTART
	v_cvt_f32_f16 v14, v10;
	;;#ASMEND
	v_and_b32_e32 v10, 0xffff, v62
	;;#ASMSTART
	v_cvt_f32_f16 v15, v10;
	;;#ASMEND
	v_lshrrev_b32_e32 v10, 16, v11
	v_and_b32_e32 v11, 0xffff, v11
	;;#ASMSTART
	v_cvt_f32_f16 v16, v11;
	;;#ASMEND
	;;#ASMSTART
	v_cvt_f32_f16 v18, v10;
	;;#ASMEND
	v_and_b32_e32 v10, 0xffff, v22
	;;#ASMSTART
	v_cvt_f32_f16 v19, v10;
	;;#ASMEND
	;;#ASMSTART
	v_cvt_f32_f16 v6, v6;
	;;#ASMEND
	ds_read_b64 v[10:11], v30 offset:80
	v_fmac_f32_e32 v28, v18, v6
	v_fmac_f32_e32 v4, v12, v15
	;; [unrolled: 1-line block ×4, first 2 shown]
	s_waitcnt lgkmcnt(0)
	v_lshrrev_b32_e32 v6, 16, v10
	v_and_b32_e32 v10, 0xffff, v10
	;;#ASMSTART
	v_cvt_f32_f16 v10, v10;
	;;#ASMEND
	;;#ASMSTART
	v_cvt_f32_f16 v12, v6;
	;;#ASMEND
	v_and_b32_e32 v6, 0xffff, v25
	;;#ASMSTART
	v_cvt_f32_f16 v13, v6;
	;;#ASMEND
	v_and_b32_e32 v6, 0xffff, v49
	;;#ASMSTART
	v_cvt_f32_f16 v14, v6;
	;;#ASMEND
	v_lshrrev_b32_e32 v6, 16, v11
	v_and_b32_e32 v11, 0xffff, v11
	;;#ASMSTART
	v_cvt_f32_f16 v11, v11;
	;;#ASMEND
	;;#ASMSTART
	v_cvt_f32_f16 v15, v6;
	;;#ASMEND
	v_and_b32_e32 v6, 0xffff, v24
	;;#ASMSTART
	v_cvt_f32_f16 v16, v6;
	;;#ASMEND
	v_and_b32_e32 v6, 0xffff, v7
	;;#ASMSTART
	v_cvt_f32_f16 v18, v6;
	;;#ASMEND
	ds_read_b64 v[6:7], v30 offset:88
	v_fmac_f32_e32 v8, v10, v13
	v_fmac_f32_e32 v17, v11, v16
	v_fmac_f32_e32 v4, v12, v14
	v_fmac_f32_e32 v28, v15, v18
	s_waitcnt lgkmcnt(0)
	v_lshrrev_b32_e32 v10, 16, v6
	v_and_b32_e32 v6, 0xffff, v6
	;;#ASMSTART
	v_cvt_f32_f16 v11, v6;
	;;#ASMEND
	v_and_b32_e32 v6, 0xffff, v41
	;;#ASMSTART
	v_cvt_f32_f16 v10, v10;
	;;#ASMEND
	;;#ASMSTART
	v_cvt_f32_f16 v12, v6;
	;;#ASMEND
	v_and_b32_e32 v6, 0xffff, v52
	;;#ASMSTART
	v_cvt_f32_f16 v13, v6;
	;;#ASMEND
	v_lshrrev_b32_e32 v6, 16, v7
	v_and_b32_e32 v7, 0xffff, v7
	;;#ASMSTART
	v_cvt_f32_f16 v14, v7;
	;;#ASMEND
	;;#ASMSTART
	v_cvt_f32_f16 v15, v6;
	;;#ASMEND
	v_and_b32_e32 v6, 0xffff, v48
	;;#ASMSTART
	v_cvt_f32_f16 v16, v6;
	;;#ASMEND
	v_and_b32_e32 v6, 0xffff, v31
	;;#ASMSTART
	v_cvt_f32_f16 v18, v6;
	;;#ASMEND
	ds_read_b64 v[6:7], v30 offset:96
	v_fmac_f32_e32 v4, v10, v13
	v_fmac_f32_e32 v8, v11, v12
	v_fmac_f32_e32 v17, v14, v16
	v_fmac_f32_e32 v28, v15, v18
	s_waitcnt lgkmcnt(0)
	v_lshrrev_b32_e32 v10, 16, v6
	v_and_b32_e32 v6, 0xffff, v6
	;;#ASMSTART
	v_cvt_f32_f16 v11, v6;
	;;#ASMEND
	v_and_b32_e32 v6, 0xffff, v56
	;;#ASMSTART
	v_cvt_f32_f16 v10, v10;
	;;#ASMEND
	;; [unrolled: 38-line block ×3, first 2 shown]
	;;#ASMSTART
	v_cvt_f32_f16 v12, v6;
	;;#ASMEND
	v_and_b32_e32 v6, 0xffff, v38
	;;#ASMSTART
	v_cvt_f32_f16 v13, v6;
	;;#ASMEND
	v_lshrrev_b32_e32 v6, 16, v7
	v_and_b32_e32 v7, 0xffff, v7
	;;#ASMSTART
	v_cvt_f32_f16 v14, v7;
	;;#ASMEND
	;;#ASMSTART
	v_cvt_f32_f16 v15, v6;
	;;#ASMEND
	v_and_b32_e32 v6, 0xffff, v20
	;;#ASMSTART
	v_cvt_f32_f16 v16, v6;
	;;#ASMEND
	;;#ASMSTART
	v_cvt_f32_f16 v5, v5;
	;;#ASMEND
	ds_read_b64 v[6:7], v30 offset:112
	v_fmac_f32_e32 v28, v15, v5
	v_fmac_f32_e32 v8, v11, v12
	;; [unrolled: 1-line block ×4, first 2 shown]
	s_waitcnt lgkmcnt(0)
	v_lshrrev_b32_e32 v5, 16, v6
	v_and_b32_e32 v6, 0xffff, v6
	;;#ASMSTART
	v_cvt_f32_f16 v6, v6;
	;;#ASMEND
	;;#ASMSTART
	v_cvt_f32_f16 v5, v5;
	;;#ASMEND
	;; [unrolled: 3-line block ×4, first 2 shown]
	s_nop 0
	v_fmac_f32_e32 v8, v6, v3
	v_and_b32_e32 v3, 0xffff, v7
	v_fmac_f32_e32 v4, v5, v2
	v_lshrrev_b32_e32 v2, 16, v7
	;;#ASMSTART
	v_cvt_f32_f16 v3, v3;
	;;#ASMEND
	;;#ASMSTART
	v_cvt_f32_f16 v2, v2;
	;;#ASMEND
	;; [unrolled: 3-line block ×4, first 2 shown]
	s_nop 0
	v_fmac_f32_e32 v17, v3, v1
	v_accvgpr_read_b32 v3, a50
	v_fmac_f32_e32 v28, v2, v0
	v_and_b32_e32 v2, 64, v3
	v_xor_b32_e32 v1, 1, v3
	v_add_u32_e32 v2, 64, v2
	v_add_f32_e32 v0, v8, v4
	v_cmp_lt_i32_e64 s[4:5], v1, v2
	v_add_f32_e32 v0, v0, v17
	v_add_f32_e32 v0, v28, v0
	v_cndmask_b32_e64 v1, v3, v1, s[4:5]
	v_lshlrev_b32_e32 v1, 2, v1
	ds_bpermute_b32 v1, v1, v0
	s_and_saveexec_b64 s[26:27], vcc
	s_cbranch_execz .LBB292_11
; %bb.277:                              ;   in Loop: Header=BB292_13 Depth=1
	v_accvgpr_read_b32 v4, a45
	v_accvgpr_read_b32 v2, a49
	v_accvgpr_read_b32 v3, a37
	v_add_u32_e32 v2, v2, v4
	v_add_u32_e32 v3, v3, v4
	scratch_load_dword v4, off, s32 offset:196 ; 4-byte Folded Reload
	v_cvt_f32_i32_e32 v2, v2
	s_waitcnt lgkmcnt(0)
	v_add_f32_e32 v0, v0, v1
	v_accvgpr_read_b32 v1, a34
	s_load_dword s4, s[22:23], 0x0
	s_waitcnt vmcnt(0)
	v_mul_f32_e32 v2, v4, v2
	v_cndmask_b32_e64 v2, 0, v2, s[2:3]
	v_fmac_f32_e32 v2, v0, v1
	scratch_load_dword v1, off, s32 offset:192 ; 4-byte Folded Reload
	v_accvgpr_read_b32 v4, a48
	v_accvgpr_read_b32 v0, a8
	s_waitcnt lgkmcnt(0)
	v_add_u32_e32 v4, s4, v4
	v_cmp_lt_i32_e64 s[4:5], v3, v0
	s_nop 1
	v_cndmask_b32_e64 v0, 0, v2, s[4:5]
	ds_write_b32 v4, v0
	s_waitcnt vmcnt(0)
	v_max_f32_e32 v0, v1, v1
	v_max_f32_e32 v0, v0, v2
	v_cndmask_b32_e64 v1, v1, v0, s[4:5]
	scratch_store_dword off, v1, s32 offset:192 ; 4-byte Folded Spill
	s_branch .LBB292_11
.LBB292_278:                            ;   in Loop: Header=BB292_13 Depth=1
	v_cmp_eq_u16_sdwa s[38:39], v50, s36 src0_sel:BYTE_0 src1_sel:DWORD
	s_mov_b64 s[4:5], -1
                                        ; implicit-def: $sgpr30
	s_and_saveexec_b64 s[28:29], s[38:39]
; %bb.279:                              ;   in Loop: Header=BB292_13 Depth=1
	s_mov_b32 s30, 0x7fc02000
	s_xor_b64 s[4:5], exec, -1
; %bb.280:                              ;   in Loop: Header=BB292_13 Depth=1
	s_or_b64 exec, exec, s[28:29]
	s_and_b64 s[4:5], s[4:5], exec
	s_or_saveexec_b64 s[26:27], s[26:27]
	v_mov_b32_e32 v0, s30
	s_xor_b64 exec, exec, s[26:27]
	s_cbranch_execz .LBB292_18
.LBB292_281:                            ;   in Loop: Header=BB292_13 Depth=1
	v_cmp_ne_u16_sdwa s[28:29], v50, v9 src0_sel:BYTE_0 src1_sel:DWORD
	s_andn2_b64 s[4:5], s[4:5], exec
	s_and_b64 s[28:29], s[28:29], exec
	v_mov_b32_e32 v0, 0
	s_or_b64 s[4:5], s[4:5], s[28:29]
	s_or_b64 exec, exec, s[26:27]
	s_and_saveexec_b64 s[26:27], s[4:5]
	s_cbranch_execnz .LBB292_19
	s_branch .LBB292_20
.LBB292_282:                            ;   in Loop: Header=BB292_13 Depth=1
	v_cmp_eq_u16_e64 s[4:5], s36, v8
	s_mov_b64 s[26:27], -1
                                        ; implicit-def: $sgpr38
	s_and_saveexec_b64 s[30:31], s[4:5]
; %bb.283:                              ;   in Loop: Header=BB292_13 Depth=1
	s_mov_b32 s38, 0x7fc02000
	s_xor_b64 s[26:27], exec, -1
; %bb.284:                              ;   in Loop: Header=BB292_13 Depth=1
	s_or_b64 exec, exec, s[30:31]
	s_and_b64 s[26:27], s[26:27], exec
	s_or_saveexec_b64 s[28:29], s[28:29]
	v_mov_b32_e32 v13, s38
	s_xor_b64 exec, exec, s[28:29]
	s_cbranch_execz .LBB292_22
.LBB292_285:                            ;   in Loop: Header=BB292_13 Depth=1
	v_cmp_ne_u16_e64 s[4:5], 0, v8
	s_andn2_b64 s[26:27], s[26:27], exec
	s_and_b64 s[4:5], s[4:5], exec
	v_mov_b32_e32 v13, 0
	s_or_b64 s[26:27], s[26:27], s[4:5]
	s_or_b64 exec, exec, s[28:29]
	s_and_saveexec_b64 s[28:29], s[26:27]
	s_cbranch_execnz .LBB292_23
	s_branch .LBB292_24
.LBB292_286:                            ;   in Loop: Header=BB292_13 Depth=1
	v_cmp_eq_u16_sdwa s[38:39], v50, s36 src0_sel:BYTE_0 src1_sel:DWORD
	s_mov_b64 s[4:5], -1
                                        ; implicit-def: $sgpr30
	s_and_saveexec_b64 s[28:29], s[38:39]
; %bb.287:                              ;   in Loop: Header=BB292_13 Depth=1
	s_mov_b32 s30, 0x7fc02000
	s_xor_b64 s[4:5], exec, -1
; %bb.288:                              ;   in Loop: Header=BB292_13 Depth=1
	s_or_b64 exec, exec, s[28:29]
	s_and_b64 s[4:5], s[4:5], exec
	s_or_saveexec_b64 s[26:27], s[26:27]
	v_mov_b32_e32 v0, s30
	s_xor_b64 exec, exec, s[26:27]
	s_cbranch_execz .LBB292_42
.LBB292_289:                            ;   in Loop: Header=BB292_13 Depth=1
	v_cmp_ne_u16_sdwa s[28:29], v50, v9 src0_sel:BYTE_0 src1_sel:DWORD
	s_andn2_b64 s[4:5], s[4:5], exec
	s_and_b64 s[28:29], s[28:29], exec
	v_mov_b32_e32 v0, 0
	s_or_b64 s[4:5], s[4:5], s[28:29]
	s_or_b64 exec, exec, s[26:27]
	s_and_saveexec_b64 s[26:27], s[4:5]
	s_cbranch_execnz .LBB292_43
	s_branch .LBB292_44
.LBB292_290:                            ;   in Loop: Header=BB292_13 Depth=1
	v_cmp_eq_u16_sdwa s[38:39], v8, s36 src0_sel:BYTE_0 src1_sel:DWORD
	s_mov_b64 s[4:5], -1
                                        ; implicit-def: $sgpr30
	s_and_saveexec_b64 s[28:29], s[38:39]
; %bb.291:                              ;   in Loop: Header=BB292_13 Depth=1
	s_mov_b32 s30, 0x7fc02000
	s_xor_b64 s[4:5], exec, -1
; %bb.292:                              ;   in Loop: Header=BB292_13 Depth=1
	s_or_b64 exec, exec, s[28:29]
	s_and_b64 s[4:5], s[4:5], exec
	s_or_saveexec_b64 s[26:27], s[26:27]
	v_mov_b32_e32 v43, s30
	s_xor_b64 exec, exec, s[26:27]
	s_cbranch_execz .LBB292_54
.LBB292_293:                            ;   in Loop: Header=BB292_13 Depth=1
	v_cmp_ne_u16_sdwa s[28:29], v8, v9 src0_sel:BYTE_0 src1_sel:DWORD
	s_andn2_b64 s[4:5], s[4:5], exec
	s_and_b64 s[28:29], s[28:29], exec
	v_mov_b32_e32 v43, 0
	s_or_b64 s[4:5], s[4:5], s[28:29]
	s_or_b64 exec, exec, s[26:27]
	s_and_saveexec_b64 s[26:27], s[4:5]
	s_cbranch_execnz .LBB292_55
	s_branch .LBB292_56
.LBB292_294:                            ;   in Loop: Header=BB292_13 Depth=1
	v_cmp_eq_u16_e64 s[4:5], s36, v8
	s_mov_b64 s[26:27], -1
                                        ; implicit-def: $sgpr38
	s_and_saveexec_b64 s[30:31], s[4:5]
; %bb.295:                              ;   in Loop: Header=BB292_13 Depth=1
	s_mov_b32 s38, 0x7fc02000
	s_xor_b64 s[26:27], exec, -1
; %bb.296:                              ;   in Loop: Header=BB292_13 Depth=1
	s_or_b64 exec, exec, s[30:31]
	s_and_b64 s[26:27], s[26:27], exec
	s_or_saveexec_b64 s[28:29], s[28:29]
	v_mov_b32_e32 v18, s38
	s_xor_b64 exec, exec, s[28:29]
	s_cbranch_execz .LBB292_58
.LBB292_297:                            ;   in Loop: Header=BB292_13 Depth=1
	v_cmp_ne_u16_e64 s[4:5], 0, v8
	s_andn2_b64 s[26:27], s[26:27], exec
	s_and_b64 s[4:5], s[4:5], exec
	v_mov_b32_e32 v18, 0
	s_or_b64 s[26:27], s[26:27], s[4:5]
	s_or_b64 exec, exec, s[28:29]
	s_and_saveexec_b64 s[28:29], s[26:27]
	s_cbranch_execnz .LBB292_59
	s_branch .LBB292_60
.LBB292_298:                            ;   in Loop: Header=BB292_13 Depth=1
	v_cmp_eq_u16_sdwa s[38:39], v50, s36 src0_sel:BYTE_0 src1_sel:DWORD
	s_mov_b64 s[4:5], -1
                                        ; implicit-def: $sgpr30
	s_and_saveexec_b64 s[28:29], s[38:39]
; %bb.299:                              ;   in Loop: Header=BB292_13 Depth=1
	s_mov_b32 s30, 0x7fc02000
	s_xor_b64 s[4:5], exec, -1
; %bb.300:                              ;   in Loop: Header=BB292_13 Depth=1
	s_or_b64 exec, exec, s[28:29]
	s_and_b64 s[4:5], s[4:5], exec
	s_or_saveexec_b64 s[26:27], s[26:27]
	v_mov_b32_e32 v47, s30
	s_xor_b64 exec, exec, s[26:27]
	s_cbranch_execz .LBB292_62
.LBB292_301:                            ;   in Loop: Header=BB292_13 Depth=1
	v_cmp_ne_u16_sdwa s[28:29], v50, v9 src0_sel:BYTE_0 src1_sel:DWORD
	s_andn2_b64 s[4:5], s[4:5], exec
	s_and_b64 s[28:29], s[28:29], exec
	v_mov_b32_e32 v47, 0
	s_or_b64 s[4:5], s[4:5], s[28:29]
	s_or_b64 exec, exec, s[26:27]
	s_and_saveexec_b64 s[26:27], s[4:5]
	s_cbranch_execnz .LBB292_63
	s_branch .LBB292_64
.LBB292_302:                            ;   in Loop: Header=BB292_13 Depth=1
	v_cmp_eq_u16_sdwa s[38:39], v8, s36 src0_sel:BYTE_0 src1_sel:DWORD
	s_mov_b64 s[4:5], -1
                                        ; implicit-def: $sgpr30
	s_and_saveexec_b64 s[28:29], s[38:39]
; %bb.303:                              ;   in Loop: Header=BB292_13 Depth=1
	s_mov_b32 s30, 0x7fc02000
	s_xor_b64 s[4:5], exec, -1
; %bb.304:                              ;   in Loop: Header=BB292_13 Depth=1
	s_or_b64 exec, exec, s[28:29]
	s_and_b64 s[4:5], s[4:5], exec
	s_or_saveexec_b64 s[26:27], s[26:27]
	v_mov_b32_e32 v30, s30
	s_xor_b64 exec, exec, s[26:27]
	s_cbranch_execz .LBB292_74
.LBB292_305:                            ;   in Loop: Header=BB292_13 Depth=1
	v_cmp_ne_u16_sdwa s[28:29], v8, v9 src0_sel:BYTE_0 src1_sel:DWORD
	s_andn2_b64 s[4:5], s[4:5], exec
	s_and_b64 s[28:29], s[28:29], exec
	v_mov_b32_e32 v30, 0
	s_or_b64 s[4:5], s[4:5], s[28:29]
	s_or_b64 exec, exec, s[26:27]
	s_and_saveexec_b64 s[26:27], s[4:5]
	s_cbranch_execnz .LBB292_75
	s_branch .LBB292_76
.LBB292_306:                            ;   in Loop: Header=BB292_13 Depth=1
	v_cmp_eq_u16_e64 s[4:5], s36, v8
	s_mov_b64 s[26:27], -1
                                        ; implicit-def: $sgpr38
	s_and_saveexec_b64 s[30:31], s[4:5]
; %bb.307:                              ;   in Loop: Header=BB292_13 Depth=1
	s_mov_b32 s38, 0x7fc02000
	s_xor_b64 s[26:27], exec, -1
; %bb.308:                              ;   in Loop: Header=BB292_13 Depth=1
	s_or_b64 exec, exec, s[30:31]
	s_and_b64 s[26:27], s[26:27], exec
	s_or_saveexec_b64 s[28:29], s[28:29]
	v_mov_b32_e32 v51, s38
	s_xor_b64 exec, exec, s[28:29]
	s_cbranch_execz .LBB292_78
.LBB292_309:                            ;   in Loop: Header=BB292_13 Depth=1
	v_cmp_ne_u16_e64 s[4:5], 0, v8
	s_andn2_b64 s[26:27], s[26:27], exec
	s_and_b64 s[4:5], s[4:5], exec
	v_mov_b32_e32 v51, 0
	s_or_b64 s[26:27], s[26:27], s[4:5]
	s_or_b64 exec, exec, s[28:29]
	s_and_saveexec_b64 s[28:29], s[26:27]
	s_cbranch_execnz .LBB292_79
	s_branch .LBB292_80
.LBB292_310:                            ;   in Loop: Header=BB292_13 Depth=1
	v_cmp_eq_u16_sdwa s[38:39], v50, s36 src0_sel:BYTE_0 src1_sel:DWORD
	s_mov_b64 s[4:5], -1
                                        ; implicit-def: $sgpr30
	s_and_saveexec_b64 s[28:29], s[38:39]
; %bb.311:                              ;   in Loop: Header=BB292_13 Depth=1
	s_mov_b32 s30, 0x7fc02000
	s_xor_b64 s[4:5], exec, -1
; %bb.312:                              ;   in Loop: Header=BB292_13 Depth=1
	s_or_b64 exec, exec, s[28:29]
	s_and_b64 s[4:5], s[4:5], exec
	s_or_saveexec_b64 s[26:27], s[26:27]
	v_mov_b32_e32 v60, s30
	s_xor_b64 exec, exec, s[26:27]
	s_cbranch_execz .LBB292_82
.LBB292_313:                            ;   in Loop: Header=BB292_13 Depth=1
	v_cmp_ne_u16_sdwa s[28:29], v50, v9 src0_sel:BYTE_0 src1_sel:DWORD
	s_andn2_b64 s[4:5], s[4:5], exec
	s_and_b64 s[28:29], s[28:29], exec
	v_mov_b32_e32 v60, 0
	s_or_b64 s[4:5], s[4:5], s[28:29]
	s_or_b64 exec, exec, s[26:27]
	s_and_saveexec_b64 s[26:27], s[4:5]
	s_cbranch_execnz .LBB292_83
	s_branch .LBB292_84
.LBB292_314:                            ;   in Loop: Header=BB292_13 Depth=1
	v_cmp_eq_u16_e64 s[4:5], s36, v8
	s_mov_b64 s[26:27], -1
                                        ; implicit-def: $sgpr38
	s_and_saveexec_b64 s[30:31], s[4:5]
; %bb.315:                              ;   in Loop: Header=BB292_13 Depth=1
	s_mov_b32 s38, 0x7fc02000
	s_xor_b64 s[26:27], exec, -1
; %bb.316:                              ;   in Loop: Header=BB292_13 Depth=1
	s_or_b64 exec, exec, s[30:31]
	s_and_b64 s[26:27], s[26:27], exec
	s_or_saveexec_b64 s[28:29], s[28:29]
	v_mov_b32_e32 v45, s38
	s_xor_b64 exec, exec, s[28:29]
	s_cbranch_execz .LBB292_86
.LBB292_317:                            ;   in Loop: Header=BB292_13 Depth=1
	v_cmp_ne_u16_e64 s[4:5], 0, v8
	s_andn2_b64 s[26:27], s[26:27], exec
	s_and_b64 s[4:5], s[4:5], exec
	v_mov_b32_e32 v45, 0
	s_or_b64 s[26:27], s[26:27], s[4:5]
	s_or_b64 exec, exec, s[28:29]
	s_and_saveexec_b64 s[28:29], s[26:27]
	s_cbranch_execnz .LBB292_87
	s_branch .LBB292_88
.LBB292_318:                            ;   in Loop: Header=BB292_13 Depth=1
	v_cmp_eq_u16_sdwa s[38:39], v8, s36 src0_sel:BYTE_0 src1_sel:DWORD
	s_mov_b64 s[4:5], -1
                                        ; implicit-def: $sgpr30
	s_and_saveexec_b64 s[28:29], s[38:39]
; %bb.319:                              ;   in Loop: Header=BB292_13 Depth=1
	s_mov_b32 s30, 0x7fc02000
	s_xor_b64 s[4:5], exec, -1
; %bb.320:                              ;   in Loop: Header=BB292_13 Depth=1
	s_or_b64 exec, exec, s[28:29]
	s_and_b64 s[4:5], s[4:5], exec
	s_or_saveexec_b64 s[26:27], s[26:27]
	v_mov_b32_e32 v46, s30
	s_xor_b64 exec, exec, s[26:27]
	s_cbranch_execz .LBB292_90
.LBB292_321:                            ;   in Loop: Header=BB292_13 Depth=1
	v_cmp_ne_u16_sdwa s[28:29], v8, v9 src0_sel:BYTE_0 src1_sel:DWORD
	s_andn2_b64 s[4:5], s[4:5], exec
	s_and_b64 s[28:29], s[28:29], exec
	v_mov_b32_e32 v46, 0
	s_or_b64 s[4:5], s[4:5], s[28:29]
	s_or_b64 exec, exec, s[26:27]
	s_and_saveexec_b64 s[26:27], s[4:5]
	s_cbranch_execnz .LBB292_91
	s_branch .LBB292_92
.LBB292_322:                            ;   in Loop: Header=BB292_13 Depth=1
	v_cmp_eq_u16_e64 s[4:5], s36, v8
	s_mov_b64 s[26:27], -1
                                        ; implicit-def: $sgpr38
	s_and_saveexec_b64 s[30:31], s[4:5]
; %bb.323:                              ;   in Loop: Header=BB292_13 Depth=1
	s_mov_b32 s38, 0x7fc02000
	s_xor_b64 s[26:27], exec, -1
; %bb.324:                              ;   in Loop: Header=BB292_13 Depth=1
	s_or_b64 exec, exec, s[30:31]
	s_and_b64 s[26:27], s[26:27], exec
	s_or_saveexec_b64 s[28:29], s[28:29]
	v_mov_b32_e32 v58, s38
	s_xor_b64 exec, exec, s[28:29]
	s_cbranch_execz .LBB292_94
.LBB292_325:                            ;   in Loop: Header=BB292_13 Depth=1
	v_cmp_ne_u16_e64 s[4:5], 0, v8
	s_andn2_b64 s[26:27], s[26:27], exec
	s_and_b64 s[4:5], s[4:5], exec
	v_mov_b32_e32 v58, 0
	s_or_b64 s[26:27], s[26:27], s[4:5]
	s_or_b64 exec, exec, s[28:29]
	s_and_saveexec_b64 s[28:29], s[26:27]
	s_cbranch_execnz .LBB292_95
	s_branch .LBB292_96
.LBB292_326:                            ;   in Loop: Header=BB292_13 Depth=1
	v_cmp_eq_u16_sdwa s[38:39], v50, s36 src0_sel:BYTE_0 src1_sel:DWORD
	s_mov_b64 s[4:5], -1
                                        ; implicit-def: $sgpr30
	s_and_saveexec_b64 s[28:29], s[38:39]
; %bb.327:                              ;   in Loop: Header=BB292_13 Depth=1
	s_mov_b32 s30, 0x7fc02000
	s_xor_b64 s[4:5], exec, -1
; %bb.328:                              ;   in Loop: Header=BB292_13 Depth=1
	s_or_b64 exec, exec, s[28:29]
	s_and_b64 s[4:5], s[4:5], exec
	s_or_saveexec_b64 s[26:27], s[26:27]
	v_mov_b32_e32 v0, s30
	s_xor_b64 exec, exec, s[26:27]
	s_cbranch_execz .LBB292_98
.LBB292_329:                            ;   in Loop: Header=BB292_13 Depth=1
	v_cmp_ne_u16_sdwa s[28:29], v50, v9 src0_sel:BYTE_0 src1_sel:DWORD
	s_andn2_b64 s[4:5], s[4:5], exec
	s_and_b64 s[28:29], s[28:29], exec
	v_mov_b32_e32 v0, 0
	s_or_b64 s[4:5], s[4:5], s[28:29]
	s_or_b64 exec, exec, s[26:27]
	s_and_saveexec_b64 s[26:27], s[4:5]
	s_cbranch_execnz .LBB292_99
	s_branch .LBB292_100
.LBB292_330:                            ;   in Loop: Header=BB292_13 Depth=1
	v_cmp_eq_u16_e64 s[4:5], s36, v8
	s_mov_b64 s[26:27], -1
                                        ; implicit-def: $sgpr38
	s_and_saveexec_b64 s[30:31], s[4:5]
; %bb.331:                              ;   in Loop: Header=BB292_13 Depth=1
	s_mov_b32 s38, 0x7fc02000
	s_xor_b64 s[26:27], exec, -1
; %bb.332:                              ;   in Loop: Header=BB292_13 Depth=1
	s_or_b64 exec, exec, s[30:31]
	s_and_b64 s[26:27], s[26:27], exec
	s_or_saveexec_b64 s[28:29], s[28:29]
	v_mov_b32_e32 v19, s38
	s_xor_b64 exec, exec, s[28:29]
	s_cbranch_execz .LBB292_102
.LBB292_333:                            ;   in Loop: Header=BB292_13 Depth=1
	v_cmp_ne_u16_e64 s[4:5], 0, v8
	s_andn2_b64 s[26:27], s[26:27], exec
	s_and_b64 s[4:5], s[4:5], exec
	v_mov_b32_e32 v19, 0
	s_or_b64 s[26:27], s[26:27], s[4:5]
	s_or_b64 exec, exec, s[28:29]
	s_and_saveexec_b64 s[28:29], s[26:27]
	s_cbranch_execnz .LBB292_103
	s_branch .LBB292_104
.LBB292_334:                            ;   in Loop: Header=BB292_13 Depth=1
	v_cmp_eq_u16_sdwa s[38:39], v8, s36 src0_sel:BYTE_0 src1_sel:DWORD
	s_mov_b64 s[4:5], -1
                                        ; implicit-def: $sgpr30
	s_and_saveexec_b64 s[28:29], s[38:39]
; %bb.335:                              ;   in Loop: Header=BB292_13 Depth=1
	s_mov_b32 s30, 0x7fc02000
	s_xor_b64 s[4:5], exec, -1
; %bb.336:                              ;   in Loop: Header=BB292_13 Depth=1
	s_or_b64 exec, exec, s[28:29]
	s_and_b64 s[4:5], s[4:5], exec
	s_or_saveexec_b64 s[26:27], s[26:27]
	v_mov_b32_e32 v23, s30
	s_xor_b64 exec, exec, s[26:27]
	s_cbranch_execz .LBB292_106
.LBB292_337:                            ;   in Loop: Header=BB292_13 Depth=1
	v_cmp_ne_u16_sdwa s[28:29], v8, v9 src0_sel:BYTE_0 src1_sel:DWORD
	s_andn2_b64 s[4:5], s[4:5], exec
	s_and_b64 s[28:29], s[28:29], exec
	v_mov_b32_e32 v23, 0
	s_or_b64 s[4:5], s[4:5], s[28:29]
	s_or_b64 exec, exec, s[26:27]
	s_and_saveexec_b64 s[26:27], s[4:5]
	s_cbranch_execnz .LBB292_107
	s_branch .LBB292_108
.LBB292_338:                            ;   in Loop: Header=BB292_13 Depth=1
	v_cmp_eq_u16_e64 s[4:5], s36, v8
	s_mov_b64 s[26:27], -1
                                        ; implicit-def: $sgpr38
	s_and_saveexec_b64 s[30:31], s[4:5]
; %bb.339:                              ;   in Loop: Header=BB292_13 Depth=1
	s_mov_b32 s38, 0x7fc02000
	s_xor_b64 s[26:27], exec, -1
; %bb.340:                              ;   in Loop: Header=BB292_13 Depth=1
	s_or_b64 exec, exec, s[30:31]
	s_and_b64 s[26:27], s[26:27], exec
	s_or_saveexec_b64 s[28:29], s[28:29]
	v_mov_b32_e32 v36, s38
	s_xor_b64 exec, exec, s[28:29]
	s_cbranch_execz .LBB292_110
.LBB292_341:                            ;   in Loop: Header=BB292_13 Depth=1
	v_cmp_ne_u16_e64 s[4:5], 0, v8
	s_andn2_b64 s[26:27], s[26:27], exec
	s_and_b64 s[4:5], s[4:5], exec
	v_mov_b32_e32 v36, 0
	s_or_b64 s[26:27], s[26:27], s[4:5]
	s_or_b64 exec, exec, s[28:29]
	s_and_saveexec_b64 s[28:29], s[26:27]
	s_cbranch_execnz .LBB292_111
	s_branch .LBB292_112
.LBB292_342:                            ;   in Loop: Header=BB292_13 Depth=1
	v_cmp_eq_u16_sdwa s[38:39], v50, s36 src0_sel:BYTE_0 src1_sel:DWORD
	s_mov_b64 s[4:5], -1
                                        ; implicit-def: $sgpr30
	s_and_saveexec_b64 s[28:29], s[38:39]
; %bb.343:                              ;   in Loop: Header=BB292_13 Depth=1
	s_mov_b32 s30, 0x7fc02000
	s_xor_b64 s[4:5], exec, -1
; %bb.344:                              ;   in Loop: Header=BB292_13 Depth=1
	s_or_b64 exec, exec, s[28:29]
	s_and_b64 s[4:5], s[4:5], exec
	s_or_saveexec_b64 s[26:27], s[26:27]
	v_mov_b32_e32 v0, s30
	s_xor_b64 exec, exec, s[26:27]
	s_cbranch_execz .LBB292_114
.LBB292_345:                            ;   in Loop: Header=BB292_13 Depth=1
	v_cmp_ne_u16_sdwa s[28:29], v50, v9 src0_sel:BYTE_0 src1_sel:DWORD
	s_andn2_b64 s[4:5], s[4:5], exec
	s_and_b64 s[28:29], s[28:29], exec
	v_mov_b32_e32 v0, 0
	s_or_b64 s[4:5], s[4:5], s[28:29]
	s_or_b64 exec, exec, s[26:27]
	s_and_saveexec_b64 s[26:27], s[4:5]
	s_cbranch_execnz .LBB292_115
	s_branch .LBB292_116
.LBB292_346:                            ;   in Loop: Header=BB292_13 Depth=1
	v_cmp_eq_u16_e64 s[4:5], s36, v8
	s_mov_b64 s[26:27], -1
                                        ; implicit-def: $sgpr38
	s_and_saveexec_b64 s[30:31], s[4:5]
; %bb.347:                              ;   in Loop: Header=BB292_13 Depth=1
	s_mov_b32 s38, 0x7fc02000
	s_xor_b64 s[26:27], exec, -1
; %bb.348:                              ;   in Loop: Header=BB292_13 Depth=1
	s_or_b64 exec, exec, s[30:31]
	s_and_b64 s[26:27], s[26:27], exec
	s_or_saveexec_b64 s[28:29], s[28:29]
	v_mov_b32_e32 v37, s38
	s_xor_b64 exec, exec, s[28:29]
	s_cbranch_execz .LBB292_118
.LBB292_349:                            ;   in Loop: Header=BB292_13 Depth=1
	v_cmp_ne_u16_e64 s[4:5], 0, v8
	s_andn2_b64 s[26:27], s[26:27], exec
	s_and_b64 s[4:5], s[4:5], exec
	v_mov_b32_e32 v37, 0
	s_or_b64 s[26:27], s[26:27], s[4:5]
	s_or_b64 exec, exec, s[28:29]
	s_and_saveexec_b64 s[28:29], s[26:27]
	s_cbranch_execnz .LBB292_119
	s_branch .LBB292_120
.LBB292_350:                            ;   in Loop: Header=BB292_13 Depth=1
	v_cmp_eq_u16_sdwa s[38:39], v8, s36 src0_sel:BYTE_0 src1_sel:DWORD
	s_mov_b64 s[4:5], -1
                                        ; implicit-def: $sgpr30
	s_and_saveexec_b64 s[28:29], s[38:39]
; %bb.351:                              ;   in Loop: Header=BB292_13 Depth=1
	s_mov_b32 s30, 0x7fc02000
	s_xor_b64 s[4:5], exec, -1
; %bb.352:                              ;   in Loop: Header=BB292_13 Depth=1
	s_or_b64 exec, exec, s[28:29]
	s_and_b64 s[4:5], s[4:5], exec
	s_or_saveexec_b64 s[26:27], s[26:27]
	v_mov_b32_e32 v16, s30
	s_xor_b64 exec, exec, s[26:27]
	s_cbranch_execz .LBB292_122
.LBB292_353:                            ;   in Loop: Header=BB292_13 Depth=1
	v_cmp_ne_u16_sdwa s[28:29], v8, v9 src0_sel:BYTE_0 src1_sel:DWORD
	s_andn2_b64 s[4:5], s[4:5], exec
	s_and_b64 s[28:29], s[28:29], exec
	v_mov_b32_e32 v16, 0
	s_or_b64 s[4:5], s[4:5], s[28:29]
	s_or_b64 exec, exec, s[26:27]
	s_and_saveexec_b64 s[26:27], s[4:5]
	s_cbranch_execnz .LBB292_123
	s_branch .LBB292_124
.LBB292_354:                            ;   in Loop: Header=BB292_13 Depth=1
	v_cmp_eq_u16_e64 s[4:5], s36, v8
	s_mov_b64 s[26:27], -1
                                        ; implicit-def: $sgpr38
	s_and_saveexec_b64 s[30:31], s[4:5]
; %bb.355:                              ;   in Loop: Header=BB292_13 Depth=1
	s_mov_b32 s38, 0x7fc02000
	s_xor_b64 s[26:27], exec, -1
; %bb.356:                              ;   in Loop: Header=BB292_13 Depth=1
	s_or_b64 exec, exec, s[30:31]
	s_and_b64 s[26:27], s[26:27], exec
	s_or_saveexec_b64 s[28:29], s[28:29]
	v_mov_b32_e32 v3, s38
	s_xor_b64 exec, exec, s[28:29]
	s_cbranch_execz .LBB292_126
.LBB292_357:                            ;   in Loop: Header=BB292_13 Depth=1
	v_cmp_ne_u16_e64 s[4:5], 0, v8
	s_andn2_b64 s[26:27], s[26:27], exec
	s_and_b64 s[4:5], s[4:5], exec
	v_mov_b32_e32 v3, 0
	s_or_b64 s[26:27], s[26:27], s[4:5]
	s_or_b64 exec, exec, s[28:29]
	s_and_saveexec_b64 s[28:29], s[26:27]
	s_cbranch_execnz .LBB292_127
	s_branch .LBB292_128
.LBB292_358:                            ;   in Loop: Header=BB292_13 Depth=1
	v_cmp_eq_u16_sdwa s[38:39], v50, s36 src0_sel:BYTE_0 src1_sel:DWORD
	s_mov_b64 s[4:5], -1
                                        ; implicit-def: $sgpr30
	s_and_saveexec_b64 s[28:29], s[38:39]
; %bb.359:                              ;   in Loop: Header=BB292_13 Depth=1
	s_mov_b32 s30, 0x7fc02000
	s_xor_b64 s[4:5], exec, -1
; %bb.360:                              ;   in Loop: Header=BB292_13 Depth=1
	s_or_b64 exec, exec, s[28:29]
	s_and_b64 s[4:5], s[4:5], exec
	s_or_saveexec_b64 s[26:27], s[26:27]
	v_mov_b32_e32 v2, s30
	s_xor_b64 exec, exec, s[26:27]
	s_cbranch_execz .LBB292_130
.LBB292_361:                            ;   in Loop: Header=BB292_13 Depth=1
	v_cmp_ne_u16_sdwa s[28:29], v50, v9 src0_sel:BYTE_0 src1_sel:DWORD
	s_andn2_b64 s[4:5], s[4:5], exec
	s_and_b64 s[28:29], s[28:29], exec
	v_mov_b32_e32 v2, 0
	s_or_b64 s[4:5], s[4:5], s[28:29]
	s_or_b64 exec, exec, s[26:27]
	s_and_saveexec_b64 s[26:27], s[4:5]
	s_cbranch_execnz .LBB292_131
	s_branch .LBB292_132
.LBB292_362:                            ;   in Loop: Header=BB292_13 Depth=1
	v_cmp_eq_u16_e64 s[4:5], s36, v8
	s_mov_b64 s[26:27], -1
                                        ; implicit-def: $sgpr38
	s_and_saveexec_b64 s[30:31], s[4:5]
; %bb.363:                              ;   in Loop: Header=BB292_13 Depth=1
	s_mov_b32 s38, 0x7fc02000
	s_xor_b64 s[26:27], exec, -1
; %bb.364:                              ;   in Loop: Header=BB292_13 Depth=1
	s_or_b64 exec, exec, s[30:31]
	s_and_b64 s[26:27], s[26:27], exec
	s_or_saveexec_b64 s[28:29], s[28:29]
	v_mov_b32_e32 v40, s38
	s_xor_b64 exec, exec, s[28:29]
	s_cbranch_execz .LBB292_134
.LBB292_365:                            ;   in Loop: Header=BB292_13 Depth=1
	v_cmp_ne_u16_e64 s[4:5], 0, v8
	s_andn2_b64 s[26:27], s[26:27], exec
	s_and_b64 s[4:5], s[4:5], exec
	v_mov_b32_e32 v40, 0
	s_or_b64 s[26:27], s[26:27], s[4:5]
	s_or_b64 exec, exec, s[28:29]
	s_and_saveexec_b64 s[28:29], s[26:27]
	s_cbranch_execnz .LBB292_135
	s_branch .LBB292_136
.LBB292_366:                            ;   in Loop: Header=BB292_13 Depth=1
	v_cmp_eq_u16_sdwa s[38:39], v8, s36 src0_sel:BYTE_0 src1_sel:DWORD
	s_mov_b64 s[4:5], -1
                                        ; implicit-def: $sgpr30
	s_and_saveexec_b64 s[28:29], s[38:39]
; %bb.367:                              ;   in Loop: Header=BB292_13 Depth=1
	s_mov_b32 s30, 0x7fc02000
	s_xor_b64 s[4:5], exec, -1
; %bb.368:                              ;   in Loop: Header=BB292_13 Depth=1
	s_or_b64 exec, exec, s[28:29]
	s_and_b64 s[4:5], s[4:5], exec
	s_or_saveexec_b64 s[26:27], s[26:27]
	v_mov_b32_e32 v53, s30
	s_xor_b64 exec, exec, s[26:27]
	s_cbranch_execz .LBB292_138
.LBB292_369:                            ;   in Loop: Header=BB292_13 Depth=1
	v_cmp_ne_u16_sdwa s[28:29], v8, v9 src0_sel:BYTE_0 src1_sel:DWORD
	s_andn2_b64 s[4:5], s[4:5], exec
	s_and_b64 s[28:29], s[28:29], exec
	v_mov_b32_e32 v53, 0
	s_or_b64 s[4:5], s[4:5], s[28:29]
	s_or_b64 exec, exec, s[26:27]
	s_and_saveexec_b64 s[26:27], s[4:5]
	s_cbranch_execnz .LBB292_139
	s_branch .LBB292_140
.LBB292_370:                            ;   in Loop: Header=BB292_13 Depth=1
	v_cmp_eq_u16_e64 s[4:5], s36, v8
	s_mov_b64 s[26:27], -1
                                        ; implicit-def: $sgpr38
	s_and_saveexec_b64 s[30:31], s[4:5]
; %bb.371:                              ;   in Loop: Header=BB292_13 Depth=1
	s_mov_b32 s38, 0x7fc02000
	s_xor_b64 s[26:27], exec, -1
; %bb.372:                              ;   in Loop: Header=BB292_13 Depth=1
	s_or_b64 exec, exec, s[30:31]
	s_and_b64 s[26:27], s[26:27], exec
	s_or_saveexec_b64 s[28:29], s[28:29]
	v_mov_b32_e32 v54, s38
	s_xor_b64 exec, exec, s[28:29]
	s_cbranch_execz .LBB292_142
.LBB292_373:                            ;   in Loop: Header=BB292_13 Depth=1
	v_cmp_ne_u16_e64 s[4:5], 0, v8
	s_andn2_b64 s[26:27], s[26:27], exec
	s_and_b64 s[4:5], s[4:5], exec
	v_mov_b32_e32 v54, 0
	s_or_b64 s[26:27], s[26:27], s[4:5]
	s_or_b64 exec, exec, s[28:29]
	s_and_saveexec_b64 s[28:29], s[26:27]
	s_cbranch_execnz .LBB292_143
	s_branch .LBB292_144
.LBB292_374:                            ;   in Loop: Header=BB292_13 Depth=1
	v_cmp_eq_u16_sdwa s[38:39], v50, s36 src0_sel:BYTE_0 src1_sel:DWORD
	s_mov_b64 s[4:5], -1
                                        ; implicit-def: $sgpr30
	s_and_saveexec_b64 s[28:29], s[38:39]
; %bb.375:                              ;   in Loop: Header=BB292_13 Depth=1
	s_mov_b32 s30, 0x7fc02000
	s_xor_b64 s[4:5], exec, -1
; %bb.376:                              ;   in Loop: Header=BB292_13 Depth=1
	s_or_b64 exec, exec, s[28:29]
	s_and_b64 s[4:5], s[4:5], exec
	s_or_saveexec_b64 s[26:27], s[26:27]
	v_mov_b32_e32 v55, s30
	s_xor_b64 exec, exec, s[26:27]
	s_cbranch_execz .LBB292_146
.LBB292_377:                            ;   in Loop: Header=BB292_13 Depth=1
	v_cmp_ne_u16_sdwa s[28:29], v50, v9 src0_sel:BYTE_0 src1_sel:DWORD
	s_andn2_b64 s[4:5], s[4:5], exec
	s_and_b64 s[28:29], s[28:29], exec
	v_mov_b32_e32 v55, 0
	s_or_b64 s[4:5], s[4:5], s[28:29]
	s_or_b64 exec, exec, s[26:27]
	s_and_saveexec_b64 s[26:27], s[4:5]
	s_cbranch_execnz .LBB292_147
	s_branch .LBB292_148
.LBB292_378:                            ;   in Loop: Header=BB292_13 Depth=1
	v_cmp_eq_u16_e64 s[4:5], s36, v8
	s_mov_b64 s[26:27], -1
                                        ; implicit-def: $sgpr38
	s_and_saveexec_b64 s[30:31], s[4:5]
; %bb.379:                              ;   in Loop: Header=BB292_13 Depth=1
	s_mov_b32 s38, 0x7fc02000
	s_xor_b64 s[26:27], exec, -1
; %bb.380:                              ;   in Loop: Header=BB292_13 Depth=1
	s_or_b64 exec, exec, s[30:31]
	s_and_b64 s[26:27], s[26:27], exec
	s_or_saveexec_b64 s[28:29], s[28:29]
	v_mov_b32_e32 v12, s38
	s_xor_b64 exec, exec, s[28:29]
	s_cbranch_execz .LBB292_150
.LBB292_381:                            ;   in Loop: Header=BB292_13 Depth=1
	v_cmp_ne_u16_e64 s[4:5], 0, v8
	s_andn2_b64 s[26:27], s[26:27], exec
	s_and_b64 s[4:5], s[4:5], exec
	v_mov_b32_e32 v12, 0
	s_or_b64 s[26:27], s[26:27], s[4:5]
	s_or_b64 exec, exec, s[28:29]
	s_and_saveexec_b64 s[28:29], s[26:27]
	s_cbranch_execnz .LBB292_151
	s_branch .LBB292_152
.LBB292_382:                            ;   in Loop: Header=BB292_13 Depth=1
	v_cmp_eq_u16_sdwa s[38:39], v8, s36 src0_sel:BYTE_0 src1_sel:DWORD
	s_mov_b64 s[4:5], -1
                                        ; implicit-def: $sgpr30
	s_and_saveexec_b64 s[28:29], s[38:39]
; %bb.383:                              ;   in Loop: Header=BB292_13 Depth=1
	s_mov_b32 s30, 0x7fc02000
	s_xor_b64 s[4:5], exec, -1
; %bb.384:                              ;   in Loop: Header=BB292_13 Depth=1
	s_or_b64 exec, exec, s[28:29]
	s_and_b64 s[4:5], s[4:5], exec
	s_or_saveexec_b64 s[26:27], s[26:27]
	v_mov_b32_e32 v15, s30
	s_xor_b64 exec, exec, s[26:27]
	s_cbranch_execz .LBB292_154
.LBB292_385:                            ;   in Loop: Header=BB292_13 Depth=1
	v_cmp_ne_u16_sdwa s[28:29], v8, v9 src0_sel:BYTE_0 src1_sel:DWORD
	s_andn2_b64 s[4:5], s[4:5], exec
	s_and_b64 s[28:29], s[28:29], exec
	v_mov_b32_e32 v15, 0
	s_or_b64 s[4:5], s[4:5], s[28:29]
	s_or_b64 exec, exec, s[26:27]
	s_and_saveexec_b64 s[26:27], s[4:5]
	s_cbranch_execnz .LBB292_155
	s_branch .LBB292_156
.LBB292_386:                            ;   in Loop: Header=BB292_13 Depth=1
	v_cmp_eq_u16_e64 s[4:5], s36, v8
	s_mov_b64 s[26:27], -1
                                        ; implicit-def: $sgpr38
	s_and_saveexec_b64 s[30:31], s[4:5]
; %bb.387:                              ;   in Loop: Header=BB292_13 Depth=1
	s_mov_b32 s38, 0x7fc02000
	s_xor_b64 s[26:27], exec, -1
; %bb.388:                              ;   in Loop: Header=BB292_13 Depth=1
	s_or_b64 exec, exec, s[30:31]
	s_and_b64 s[26:27], s[26:27], exec
	s_or_saveexec_b64 s[28:29], s[28:29]
	v_mov_b32_e32 v14, s38
	s_xor_b64 exec, exec, s[28:29]
	s_cbranch_execz .LBB292_158
.LBB292_389:                            ;   in Loop: Header=BB292_13 Depth=1
	v_cmp_ne_u16_e64 s[4:5], 0, v8
	s_andn2_b64 s[26:27], s[26:27], exec
	s_and_b64 s[4:5], s[4:5], exec
	v_mov_b32_e32 v14, 0
	s_or_b64 s[26:27], s[26:27], s[4:5]
	s_or_b64 exec, exec, s[28:29]
	s_and_saveexec_b64 s[28:29], s[26:27]
	s_cbranch_execnz .LBB292_159
	s_branch .LBB292_160
.LBB292_390:                            ;   in Loop: Header=BB292_13 Depth=1
	v_cmp_eq_u16_sdwa s[38:39], v50, s36 src0_sel:BYTE_0 src1_sel:DWORD
	s_mov_b64 s[4:5], -1
                                        ; implicit-def: $sgpr30
	s_and_saveexec_b64 s[28:29], s[38:39]
; %bb.391:                              ;   in Loop: Header=BB292_13 Depth=1
	s_mov_b32 s30, 0x7fc02000
	s_xor_b64 s[4:5], exec, -1
; %bb.392:                              ;   in Loop: Header=BB292_13 Depth=1
	s_or_b64 exec, exec, s[28:29]
	s_and_b64 s[4:5], s[4:5], exec
	s_or_saveexec_b64 s[26:27], s[26:27]
	v_mov_b32_e32 v32, s30
	s_xor_b64 exec, exec, s[26:27]
	s_cbranch_execz .LBB292_162
.LBB292_393:                            ;   in Loop: Header=BB292_13 Depth=1
	v_cmp_ne_u16_sdwa s[28:29], v50, v9 src0_sel:BYTE_0 src1_sel:DWORD
	s_andn2_b64 s[4:5], s[4:5], exec
	s_and_b64 s[28:29], s[28:29], exec
	v_mov_b32_e32 v32, 0
	s_or_b64 s[4:5], s[4:5], s[28:29]
	s_or_b64 exec, exec, s[26:27]
	s_and_saveexec_b64 s[26:27], s[4:5]
	s_cbranch_execnz .LBB292_163
	s_branch .LBB292_164
.LBB292_394:                            ;   in Loop: Header=BB292_13 Depth=1
	v_cmp_eq_u16_e64 s[4:5], s36, v8
	s_mov_b64 s[26:27], -1
                                        ; implicit-def: $sgpr38
	s_and_saveexec_b64 s[30:31], s[4:5]
; %bb.395:                              ;   in Loop: Header=BB292_13 Depth=1
	s_mov_b32 s38, 0x7fc02000
	s_xor_b64 s[26:27], exec, -1
; %bb.396:                              ;   in Loop: Header=BB292_13 Depth=1
	s_or_b64 exec, exec, s[30:31]
	s_and_b64 s[26:27], s[26:27], exec
	s_or_saveexec_b64 s[28:29], s[28:29]
	v_mov_b32_e32 v33, s38
	s_xor_b64 exec, exec, s[28:29]
	s_cbranch_execz .LBB292_166
.LBB292_397:                            ;   in Loop: Header=BB292_13 Depth=1
	v_cmp_ne_u16_e64 s[4:5], 0, v8
	s_andn2_b64 s[26:27], s[26:27], exec
	s_and_b64 s[4:5], s[4:5], exec
	v_mov_b32_e32 v33, 0
	s_or_b64 s[26:27], s[26:27], s[4:5]
	s_or_b64 exec, exec, s[28:29]
	s_and_saveexec_b64 s[28:29], s[26:27]
	s_cbranch_execnz .LBB292_167
	s_branch .LBB292_168
.LBB292_398:                            ;   in Loop: Header=BB292_13 Depth=1
	v_cmp_eq_u16_sdwa s[38:39], v8, s36 src0_sel:BYTE_0 src1_sel:DWORD
	s_mov_b64 s[4:5], -1
                                        ; implicit-def: $sgpr30
	s_and_saveexec_b64 s[28:29], s[38:39]
; %bb.399:                              ;   in Loop: Header=BB292_13 Depth=1
	s_mov_b32 s30, 0x7fc02000
	s_xor_b64 s[4:5], exec, -1
; %bb.400:                              ;   in Loop: Header=BB292_13 Depth=1
	s_or_b64 exec, exec, s[28:29]
	s_and_b64 s[4:5], s[4:5], exec
	s_or_saveexec_b64 s[26:27], s[26:27]
	v_mov_b32_e32 v34, s30
	s_xor_b64 exec, exec, s[26:27]
	s_cbranch_execz .LBB292_170
.LBB292_401:                            ;   in Loop: Header=BB292_13 Depth=1
	v_cmp_ne_u16_sdwa s[28:29], v8, v9 src0_sel:BYTE_0 src1_sel:DWORD
	s_andn2_b64 s[4:5], s[4:5], exec
	s_and_b64 s[28:29], s[28:29], exec
	v_mov_b32_e32 v34, 0
	s_or_b64 s[4:5], s[4:5], s[28:29]
	s_or_b64 exec, exec, s[26:27]
	s_and_saveexec_b64 s[26:27], s[4:5]
	s_cbranch_execnz .LBB292_171
	s_branch .LBB292_172
.LBB292_402:                            ;   in Loop: Header=BB292_13 Depth=1
	v_cmp_eq_u16_e64 s[4:5], s36, v8
	s_mov_b64 s[26:27], -1
                                        ; implicit-def: $sgpr38
	s_and_saveexec_b64 s[30:31], s[4:5]
; %bb.403:                              ;   in Loop: Header=BB292_13 Depth=1
	s_mov_b32 s38, 0x7fc02000
	s_xor_b64 s[26:27], exec, -1
; %bb.404:                              ;   in Loop: Header=BB292_13 Depth=1
	s_or_b64 exec, exec, s[30:31]
	s_and_b64 s[26:27], s[26:27], exec
	s_or_saveexec_b64 s[28:29], s[28:29]
	v_mov_b32_e32 v35, s38
	s_xor_b64 exec, exec, s[28:29]
	s_cbranch_execz .LBB292_174
.LBB292_405:                            ;   in Loop: Header=BB292_13 Depth=1
	v_cmp_ne_u16_e64 s[4:5], 0, v8
	s_andn2_b64 s[26:27], s[26:27], exec
	s_and_b64 s[4:5], s[4:5], exec
	v_mov_b32_e32 v35, 0
	s_or_b64 s[26:27], s[26:27], s[4:5]
	s_or_b64 exec, exec, s[28:29]
	s_and_saveexec_b64 s[28:29], s[26:27]
	s_cbranch_execnz .LBB292_175
	s_branch .LBB292_176
.LBB292_406:                            ;   in Loop: Header=BB292_13 Depth=1
	v_cmp_eq_u16_sdwa s[38:39], v50, s36 src0_sel:BYTE_0 src1_sel:DWORD
	s_mov_b64 s[4:5], -1
                                        ; implicit-def: $sgpr30
	s_and_saveexec_b64 s[28:29], s[38:39]
; %bb.407:                              ;   in Loop: Header=BB292_13 Depth=1
	s_mov_b32 s30, 0x7fc02000
	s_xor_b64 s[4:5], exec, -1
; %bb.408:                              ;   in Loop: Header=BB292_13 Depth=1
	s_or_b64 exec, exec, s[28:29]
	s_and_b64 s[4:5], s[4:5], exec
	s_or_saveexec_b64 s[26:27], s[26:27]
	v_mov_b32_e32 v59, s30
	s_xor_b64 exec, exec, s[26:27]
	s_cbranch_execz .LBB292_178
.LBB292_409:                            ;   in Loop: Header=BB292_13 Depth=1
	v_cmp_ne_u16_sdwa s[28:29], v50, v9 src0_sel:BYTE_0 src1_sel:DWORD
	s_andn2_b64 s[4:5], s[4:5], exec
	s_and_b64 s[28:29], s[28:29], exec
	v_mov_b32_e32 v59, 0
	s_or_b64 s[4:5], s[4:5], s[28:29]
	s_or_b64 exec, exec, s[26:27]
	s_and_saveexec_b64 s[26:27], s[4:5]
	s_cbranch_execnz .LBB292_179
	s_branch .LBB292_180
.LBB292_410:                            ;   in Loop: Header=BB292_13 Depth=1
	v_cmp_eq_u16_e64 s[4:5], s36, v8
	s_mov_b64 s[26:27], -1
                                        ; implicit-def: $sgpr38
	s_and_saveexec_b64 s[30:31], s[4:5]
; %bb.411:                              ;   in Loop: Header=BB292_13 Depth=1
	s_mov_b32 s38, 0x7fc02000
	s_xor_b64 s[26:27], exec, -1
; %bb.412:                              ;   in Loop: Header=BB292_13 Depth=1
	s_or_b64 exec, exec, s[30:31]
	s_and_b64 s[26:27], s[26:27], exec
	s_or_saveexec_b64 s[28:29], s[28:29]
	v_mov_b32_e32 v22, s38
	s_xor_b64 exec, exec, s[28:29]
	s_cbranch_execz .LBB292_182
.LBB292_413:                            ;   in Loop: Header=BB292_13 Depth=1
	v_cmp_ne_u16_e64 s[4:5], 0, v8
	s_andn2_b64 s[26:27], s[26:27], exec
	s_and_b64 s[4:5], s[4:5], exec
	v_mov_b32_e32 v22, 0
	s_or_b64 s[26:27], s[26:27], s[4:5]
	s_or_b64 exec, exec, s[28:29]
	s_and_saveexec_b64 s[28:29], s[26:27]
	s_cbranch_execnz .LBB292_183
	s_branch .LBB292_184
.LBB292_414:                            ;   in Loop: Header=BB292_13 Depth=1
	v_cmp_eq_u16_sdwa s[38:39], v8, s36 src0_sel:BYTE_0 src1_sel:DWORD
	s_mov_b64 s[4:5], -1
                                        ; implicit-def: $sgpr30
	s_and_saveexec_b64 s[28:29], s[38:39]
; %bb.415:                              ;   in Loop: Header=BB292_13 Depth=1
	s_mov_b32 s30, 0x7fc02000
	s_xor_b64 s[4:5], exec, -1
; %bb.416:                              ;   in Loop: Header=BB292_13 Depth=1
	s_or_b64 exec, exec, s[28:29]
	s_and_b64 s[4:5], s[4:5], exec
	s_or_saveexec_b64 s[26:27], s[26:27]
	v_mov_b32_e32 v6, s30
	s_xor_b64 exec, exec, s[26:27]
	s_cbranch_execz .LBB292_186
.LBB292_417:                            ;   in Loop: Header=BB292_13 Depth=1
	v_cmp_ne_u16_sdwa s[28:29], v8, v9 src0_sel:BYTE_0 src1_sel:DWORD
	s_andn2_b64 s[4:5], s[4:5], exec
	s_and_b64 s[28:29], s[28:29], exec
	v_mov_b32_e32 v6, 0
	s_or_b64 s[4:5], s[4:5], s[28:29]
	s_or_b64 exec, exec, s[26:27]
	s_and_saveexec_b64 s[26:27], s[4:5]
	s_cbranch_execnz .LBB292_187
	s_branch .LBB292_188
.LBB292_418:                            ;   in Loop: Header=BB292_13 Depth=1
	v_cmp_eq_u16_e64 s[4:5], s36, v8
	s_mov_b64 s[26:27], -1
                                        ; implicit-def: $sgpr38
	s_and_saveexec_b64 s[30:31], s[4:5]
; %bb.419:                              ;   in Loop: Header=BB292_13 Depth=1
	s_mov_b32 s38, 0x7fc02000
	s_xor_b64 s[26:27], exec, -1
; %bb.420:                              ;   in Loop: Header=BB292_13 Depth=1
	s_or_b64 exec, exec, s[30:31]
	s_and_b64 s[26:27], s[26:27], exec
	s_or_saveexec_b64 s[28:29], s[28:29]
	v_mov_b32_e32 v44, s38
	s_xor_b64 exec, exec, s[28:29]
	s_cbranch_execz .LBB292_190
.LBB292_421:                            ;   in Loop: Header=BB292_13 Depth=1
	v_cmp_ne_u16_e64 s[4:5], 0, v8
	s_andn2_b64 s[26:27], s[26:27], exec
	s_and_b64 s[4:5], s[4:5], exec
	v_mov_b32_e32 v44, 0
	s_or_b64 s[26:27], s[26:27], s[4:5]
	s_or_b64 exec, exec, s[28:29]
	s_and_saveexec_b64 s[28:29], s[26:27]
	s_cbranch_execnz .LBB292_191
	s_branch .LBB292_192
.LBB292_422:                            ;   in Loop: Header=BB292_13 Depth=1
	v_cmp_eq_u16_sdwa s[38:39], v50, s36 src0_sel:BYTE_0 src1_sel:DWORD
	s_mov_b64 s[4:5], -1
                                        ; implicit-def: $sgpr30
	s_and_saveexec_b64 s[28:29], s[38:39]
; %bb.423:                              ;   in Loop: Header=BB292_13 Depth=1
	s_mov_b32 s30, 0x7fc02000
	s_xor_b64 s[4:5], exec, -1
; %bb.424:                              ;   in Loop: Header=BB292_13 Depth=1
	s_or_b64 exec, exec, s[28:29]
	s_and_b64 s[4:5], s[4:5], exec
	s_or_saveexec_b64 s[26:27], s[26:27]
	v_mov_b32_e32 v25, s30
	s_xor_b64 exec, exec, s[26:27]
	s_cbranch_execz .LBB292_194
.LBB292_425:                            ;   in Loop: Header=BB292_13 Depth=1
	v_cmp_ne_u16_sdwa s[28:29], v50, v9 src0_sel:BYTE_0 src1_sel:DWORD
	s_andn2_b64 s[4:5], s[4:5], exec
	s_and_b64 s[28:29], s[28:29], exec
	v_mov_b32_e32 v25, 0
	s_or_b64 s[4:5], s[4:5], s[28:29]
	s_or_b64 exec, exec, s[26:27]
	s_and_saveexec_b64 s[26:27], s[4:5]
	s_cbranch_execnz .LBB292_195
	s_branch .LBB292_196
.LBB292_426:                            ;   in Loop: Header=BB292_13 Depth=1
	v_cmp_eq_u16_e64 s[4:5], s36, v8
	s_mov_b64 s[26:27], -1
                                        ; implicit-def: $sgpr38
	s_and_saveexec_b64 s[30:31], s[4:5]
; %bb.427:                              ;   in Loop: Header=BB292_13 Depth=1
	s_mov_b32 s38, 0x7fc02000
	s_xor_b64 s[26:27], exec, -1
; %bb.428:                              ;   in Loop: Header=BB292_13 Depth=1
	s_or_b64 exec, exec, s[30:31]
	s_and_b64 s[26:27], s[26:27], exec
	s_or_saveexec_b64 s[28:29], s[28:29]
	v_mov_b32_e32 v24, s38
	s_xor_b64 exec, exec, s[28:29]
	s_cbranch_execz .LBB292_198
.LBB292_429:                            ;   in Loop: Header=BB292_13 Depth=1
	v_cmp_ne_u16_e64 s[4:5], 0, v8
	s_andn2_b64 s[26:27], s[26:27], exec
	s_and_b64 s[4:5], s[4:5], exec
	v_mov_b32_e32 v24, 0
	s_or_b64 s[26:27], s[26:27], s[4:5]
	s_or_b64 exec, exec, s[28:29]
	s_and_saveexec_b64 s[28:29], s[26:27]
	s_cbranch_execnz .LBB292_199
	s_branch .LBB292_200
.LBB292_430:                            ;   in Loop: Header=BB292_13 Depth=1
	v_cmp_eq_u16_sdwa s[38:39], v8, s36 src0_sel:BYTE_0 src1_sel:DWORD
	s_mov_b64 s[4:5], -1
                                        ; implicit-def: $sgpr30
	s_and_saveexec_b64 s[28:29], s[38:39]
; %bb.431:                              ;   in Loop: Header=BB292_13 Depth=1
	s_mov_b32 s30, 0x7fc02000
	s_xor_b64 s[4:5], exec, -1
; %bb.432:                              ;   in Loop: Header=BB292_13 Depth=1
	s_or_b64 exec, exec, s[28:29]
	s_and_b64 s[4:5], s[4:5], exec
	s_or_saveexec_b64 s[26:27], s[26:27]
	v_mov_b32_e32 v62, s30
	s_xor_b64 exec, exec, s[26:27]
	s_cbranch_execz .LBB292_202
.LBB292_433:                            ;   in Loop: Header=BB292_13 Depth=1
	v_cmp_ne_u16_sdwa s[28:29], v8, v9 src0_sel:BYTE_0 src1_sel:DWORD
	s_andn2_b64 s[4:5], s[4:5], exec
	s_and_b64 s[28:29], s[28:29], exec
	v_mov_b32_e32 v62, 0
	s_or_b64 s[4:5], s[4:5], s[28:29]
	s_or_b64 exec, exec, s[26:27]
	s_and_saveexec_b64 s[26:27], s[4:5]
	s_cbranch_execnz .LBB292_203
	s_branch .LBB292_204
.LBB292_434:                            ;   in Loop: Header=BB292_13 Depth=1
	v_cmp_eq_u16_e64 s[4:5], s36, v8
	s_mov_b64 s[26:27], -1
                                        ; implicit-def: $sgpr38
	s_and_saveexec_b64 s[30:31], s[4:5]
; %bb.435:                              ;   in Loop: Header=BB292_13 Depth=1
	s_mov_b32 s38, 0x7fc02000
	s_xor_b64 s[26:27], exec, -1
; %bb.436:                              ;   in Loop: Header=BB292_13 Depth=1
	s_or_b64 exec, exec, s[30:31]
	s_and_b64 s[26:27], s[26:27], exec
	s_or_saveexec_b64 s[28:29], s[28:29]
	v_mov_b32_e32 v7, s38
	s_xor_b64 exec, exec, s[28:29]
	s_cbranch_execz .LBB292_206
.LBB292_437:                            ;   in Loop: Header=BB292_13 Depth=1
	v_cmp_ne_u16_e64 s[4:5], 0, v8
	s_andn2_b64 s[26:27], s[26:27], exec
	s_and_b64 s[4:5], s[4:5], exec
	v_mov_b32_e32 v7, 0
	s_or_b64 s[26:27], s[26:27], s[4:5]
	s_or_b64 exec, exec, s[28:29]
	s_and_saveexec_b64 s[28:29], s[26:27]
	s_cbranch_execnz .LBB292_207
	s_branch .LBB292_208
.LBB292_438:                            ;   in Loop: Header=BB292_13 Depth=1
	v_cmp_eq_u16_sdwa s[38:39], v50, s36 src0_sel:BYTE_0 src1_sel:DWORD
	s_mov_b64 s[4:5], -1
                                        ; implicit-def: $sgpr30
	s_and_saveexec_b64 s[28:29], s[38:39]
; %bb.439:                              ;   in Loop: Header=BB292_13 Depth=1
	s_mov_b32 s30, 0x7fc02000
	s_xor_b64 s[4:5], exec, -1
; %bb.440:                              ;   in Loop: Header=BB292_13 Depth=1
	s_or_b64 exec, exec, s[28:29]
	s_and_b64 s[4:5], s[4:5], exec
	s_or_saveexec_b64 s[26:27], s[26:27]
	v_mov_b32_e32 v31, s30
	s_xor_b64 exec, exec, s[26:27]
	s_cbranch_execz .LBB292_210
.LBB292_441:                            ;   in Loop: Header=BB292_13 Depth=1
	v_cmp_ne_u16_sdwa s[28:29], v50, v9 src0_sel:BYTE_0 src1_sel:DWORD
	s_andn2_b64 s[4:5], s[4:5], exec
	s_and_b64 s[28:29], s[28:29], exec
	v_mov_b32_e32 v31, 0
	s_or_b64 s[4:5], s[4:5], s[28:29]
	s_or_b64 exec, exec, s[26:27]
	s_and_saveexec_b64 s[26:27], s[4:5]
	s_cbranch_execnz .LBB292_211
	s_branch .LBB292_212
.LBB292_442:                            ;   in Loop: Header=BB292_13 Depth=1
	v_cmp_eq_u16_e64 s[4:5], s36, v8
	s_mov_b64 s[26:27], -1
                                        ; implicit-def: $sgpr38
	s_and_saveexec_b64 s[30:31], s[4:5]
; %bb.443:                              ;   in Loop: Header=BB292_13 Depth=1
	s_mov_b32 s38, 0x7fc02000
	s_xor_b64 s[26:27], exec, -1
; %bb.444:                              ;   in Loop: Header=BB292_13 Depth=1
	s_or_b64 exec, exec, s[30:31]
	s_and_b64 s[26:27], s[26:27], exec
	s_or_saveexec_b64 s[28:29], s[28:29]
	v_mov_b32_e32 v41, s38
	s_xor_b64 exec, exec, s[28:29]
	s_cbranch_execz .LBB292_214
.LBB292_445:                            ;   in Loop: Header=BB292_13 Depth=1
	v_cmp_ne_u16_e64 s[4:5], 0, v8
	s_andn2_b64 s[26:27], s[26:27], exec
	s_and_b64 s[4:5], s[4:5], exec
	v_mov_b32_e32 v41, 0
	s_or_b64 s[26:27], s[26:27], s[4:5]
	s_or_b64 exec, exec, s[28:29]
	s_and_saveexec_b64 s[28:29], s[26:27]
	s_cbranch_execnz .LBB292_215
	s_branch .LBB292_216
.LBB292_446:                            ;   in Loop: Header=BB292_13 Depth=1
	v_cmp_eq_u16_sdwa s[38:39], v8, s36 src0_sel:BYTE_0 src1_sel:DWORD
	s_mov_b64 s[4:5], -1
                                        ; implicit-def: $sgpr30
	s_and_saveexec_b64 s[28:29], s[38:39]
; %bb.447:                              ;   in Loop: Header=BB292_13 Depth=1
	s_mov_b32 s30, 0x7fc02000
	s_xor_b64 s[4:5], exec, -1
; %bb.448:                              ;   in Loop: Header=BB292_13 Depth=1
	s_or_b64 exec, exec, s[28:29]
	s_and_b64 s[4:5], s[4:5], exec
	s_or_saveexec_b64 s[26:27], s[26:27]
	v_mov_b32_e32 v48, s30
	s_xor_b64 exec, exec, s[26:27]
	s_cbranch_execz .LBB292_218
.LBB292_449:                            ;   in Loop: Header=BB292_13 Depth=1
	v_cmp_ne_u16_sdwa s[28:29], v8, v9 src0_sel:BYTE_0 src1_sel:DWORD
	s_andn2_b64 s[4:5], s[4:5], exec
	s_and_b64 s[28:29], s[28:29], exec
	v_mov_b32_e32 v48, 0
	s_or_b64 s[4:5], s[4:5], s[28:29]
	s_or_b64 exec, exec, s[26:27]
	s_and_saveexec_b64 s[26:27], s[4:5]
	s_cbranch_execnz .LBB292_219
	s_branch .LBB292_220
.LBB292_450:                            ;   in Loop: Header=BB292_13 Depth=1
	v_cmp_eq_u16_e64 s[4:5], s36, v8
	s_mov_b64 s[26:27], -1
                                        ; implicit-def: $sgpr38
	s_and_saveexec_b64 s[30:31], s[4:5]
; %bb.451:                              ;   in Loop: Header=BB292_13 Depth=1
	s_mov_b32 s38, 0x7fc02000
	s_xor_b64 s[26:27], exec, -1
; %bb.452:                              ;   in Loop: Header=BB292_13 Depth=1
	s_or_b64 exec, exec, s[30:31]
	s_and_b64 s[26:27], s[26:27], exec
	s_or_saveexec_b64 s[28:29], s[28:29]
	v_mov_b32_e32 v49, s38
	s_xor_b64 exec, exec, s[28:29]
	s_cbranch_execz .LBB292_222
.LBB292_453:                            ;   in Loop: Header=BB292_13 Depth=1
	v_cmp_ne_u16_e64 s[4:5], 0, v8
	s_andn2_b64 s[26:27], s[26:27], exec
	s_and_b64 s[4:5], s[4:5], exec
	v_mov_b32_e32 v49, 0
	s_or_b64 s[26:27], s[26:27], s[4:5]
	s_or_b64 exec, exec, s[28:29]
	s_and_saveexec_b64 s[28:29], s[26:27]
	s_cbranch_execnz .LBB292_223
	s_branch .LBB292_224
.LBB292_454:                            ;   in Loop: Header=BB292_13 Depth=1
	v_cmp_eq_u16_sdwa s[38:39], v50, s36 src0_sel:BYTE_0 src1_sel:DWORD
	s_mov_b64 s[4:5], -1
                                        ; implicit-def: $sgpr30
	s_and_saveexec_b64 s[28:29], s[38:39]
; %bb.455:                              ;   in Loop: Header=BB292_13 Depth=1
	s_mov_b32 s30, 0x7fc02000
	s_xor_b64 s[4:5], exec, -1
; %bb.456:                              ;   in Loop: Header=BB292_13 Depth=1
	s_or_b64 exec, exec, s[28:29]
	s_and_b64 s[4:5], s[4:5], exec
	s_or_saveexec_b64 s[26:27], s[26:27]
	v_mov_b32_e32 v56, s30
	s_xor_b64 exec, exec, s[26:27]
	s_cbranch_execz .LBB292_226
.LBB292_457:                            ;   in Loop: Header=BB292_13 Depth=1
	v_cmp_ne_u16_sdwa s[28:29], v50, v9 src0_sel:BYTE_0 src1_sel:DWORD
	s_andn2_b64 s[4:5], s[4:5], exec
	s_and_b64 s[28:29], s[28:29], exec
	v_mov_b32_e32 v56, 0
	s_or_b64 s[4:5], s[4:5], s[28:29]
	s_or_b64 exec, exec, s[26:27]
	s_and_saveexec_b64 s[26:27], s[4:5]
	s_cbranch_execnz .LBB292_227
	s_branch .LBB292_228
.LBB292_458:                            ;   in Loop: Header=BB292_13 Depth=1
	v_cmp_eq_u16_e64 s[4:5], s36, v8
	s_mov_b64 s[26:27], -1
                                        ; implicit-def: $sgpr38
	s_and_saveexec_b64 s[30:31], s[4:5]
; %bb.459:                              ;   in Loop: Header=BB292_13 Depth=1
	s_mov_b32 s38, 0x7fc02000
	s_xor_b64 s[26:27], exec, -1
; %bb.460:                              ;   in Loop: Header=BB292_13 Depth=1
	s_or_b64 exec, exec, s[30:31]
	s_and_b64 s[26:27], s[26:27], exec
	s_or_saveexec_b64 s[28:29], s[28:29]
	v_mov_b32_e32 v27, s38
	s_xor_b64 exec, exec, s[28:29]
	s_cbranch_execz .LBB292_230
.LBB292_461:                            ;   in Loop: Header=BB292_13 Depth=1
	v_cmp_ne_u16_e64 s[4:5], 0, v8
	s_andn2_b64 s[26:27], s[26:27], exec
	s_and_b64 s[4:5], s[4:5], exec
	v_mov_b32_e32 v27, 0
	s_or_b64 s[26:27], s[26:27], s[4:5]
	s_or_b64 exec, exec, s[28:29]
	s_and_saveexec_b64 s[28:29], s[26:27]
	s_cbranch_execnz .LBB292_231
	s_branch .LBB292_232
.LBB292_462:                            ;   in Loop: Header=BB292_13 Depth=1
	v_cmp_eq_u16_sdwa s[38:39], v8, s36 src0_sel:BYTE_0 src1_sel:DWORD
	s_mov_b64 s[4:5], -1
                                        ; implicit-def: $sgpr30
	s_and_saveexec_b64 s[28:29], s[38:39]
; %bb.463:                              ;   in Loop: Header=BB292_13 Depth=1
	s_mov_b32 s30, 0x7fc02000
	s_xor_b64 s[4:5], exec, -1
; %bb.464:                              ;   in Loop: Header=BB292_13 Depth=1
	s_or_b64 exec, exec, s[28:29]
	s_and_b64 s[4:5], s[4:5], exec
	s_or_saveexec_b64 s[26:27], s[26:27]
	v_mov_b32_e32 v26, s30
	s_xor_b64 exec, exec, s[26:27]
	s_cbranch_execz .LBB292_234
.LBB292_465:                            ;   in Loop: Header=BB292_13 Depth=1
	v_cmp_ne_u16_sdwa s[28:29], v8, v9 src0_sel:BYTE_0 src1_sel:DWORD
	s_andn2_b64 s[4:5], s[4:5], exec
	s_and_b64 s[28:29], s[28:29], exec
	v_mov_b32_e32 v26, 0
	s_or_b64 s[4:5], s[4:5], s[28:29]
	s_or_b64 exec, exec, s[26:27]
	s_and_saveexec_b64 s[26:27], s[4:5]
	s_cbranch_execnz .LBB292_235
	s_branch .LBB292_236
.LBB292_466:                            ;   in Loop: Header=BB292_13 Depth=1
	v_cmp_eq_u16_e64 s[4:5], s36, v8
	s_mov_b64 s[26:27], -1
                                        ; implicit-def: $sgpr38
	s_and_saveexec_b64 s[30:31], s[4:5]
; %bb.467:                              ;   in Loop: Header=BB292_13 Depth=1
	s_mov_b32 s38, 0x7fc02000
	s_xor_b64 s[26:27], exec, -1
; %bb.468:                              ;   in Loop: Header=BB292_13 Depth=1
	s_or_b64 exec, exec, s[30:31]
	s_and_b64 s[26:27], s[26:27], exec
	s_or_saveexec_b64 s[28:29], s[28:29]
	v_mov_b32_e32 v52, s38
	s_xor_b64 exec, exec, s[28:29]
	s_cbranch_execz .LBB292_238
.LBB292_469:                            ;   in Loop: Header=BB292_13 Depth=1
	v_cmp_ne_u16_e64 s[4:5], 0, v8
	s_andn2_b64 s[26:27], s[26:27], exec
	s_and_b64 s[4:5], s[4:5], exec
	v_mov_b32_e32 v52, 0
	s_or_b64 s[26:27], s[26:27], s[4:5]
	s_or_b64 exec, exec, s[28:29]
	s_and_saveexec_b64 s[28:29], s[26:27]
	s_cbranch_execnz .LBB292_239
	s_branch .LBB292_240
.LBB292_470:                            ;   in Loop: Header=BB292_13 Depth=1
	v_cmp_eq_u16_sdwa s[38:39], v50, s36 src0_sel:BYTE_0 src1_sel:DWORD
	s_mov_b64 s[4:5], -1
                                        ; implicit-def: $sgpr30
	s_and_saveexec_b64 s[28:29], s[38:39]
; %bb.471:                              ;   in Loop: Header=BB292_13 Depth=1
	s_mov_b32 s30, 0x7fc02000
	s_xor_b64 s[4:5], exec, -1
; %bb.472:                              ;   in Loop: Header=BB292_13 Depth=1
	s_or_b64 exec, exec, s[28:29]
	s_and_b64 s[4:5], s[4:5], exec
	s_or_saveexec_b64 s[26:27], s[26:27]
	v_mov_b32_e32 v21, s30
	s_xor_b64 exec, exec, s[26:27]
	s_cbranch_execz .LBB292_242
.LBB292_473:                            ;   in Loop: Header=BB292_13 Depth=1
	v_cmp_ne_u16_sdwa s[28:29], v50, v9 src0_sel:BYTE_0 src1_sel:DWORD
	s_andn2_b64 s[4:5], s[4:5], exec
	s_and_b64 s[28:29], s[28:29], exec
	v_mov_b32_e32 v21, 0
	s_or_b64 s[4:5], s[4:5], s[28:29]
	s_or_b64 exec, exec, s[26:27]
	s_and_saveexec_b64 s[26:27], s[4:5]
	s_cbranch_execnz .LBB292_243
	s_branch .LBB292_244
.LBB292_474:                            ;   in Loop: Header=BB292_13 Depth=1
	v_cmp_eq_u16_e64 s[4:5], s36, v8
	s_mov_b64 s[26:27], -1
                                        ; implicit-def: $sgpr38
	s_and_saveexec_b64 s[30:31], s[4:5]
; %bb.475:                              ;   in Loop: Header=BB292_13 Depth=1
	s_mov_b32 s38, 0x7fc02000
	s_xor_b64 s[26:27], exec, -1
; %bb.476:                              ;   in Loop: Header=BB292_13 Depth=1
	s_or_b64 exec, exec, s[30:31]
	s_and_b64 s[26:27], s[26:27], exec
	s_or_saveexec_b64 s[28:29], s[28:29]
	v_mov_b32_e32 v20, s38
	s_xor_b64 exec, exec, s[28:29]
	s_cbranch_execz .LBB292_246
.LBB292_477:                            ;   in Loop: Header=BB292_13 Depth=1
	v_cmp_ne_u16_e64 s[4:5], 0, v8
	s_andn2_b64 s[26:27], s[26:27], exec
	s_and_b64 s[4:5], s[4:5], exec
	v_mov_b32_e32 v20, 0
	s_or_b64 s[26:27], s[26:27], s[4:5]
	s_or_b64 exec, exec, s[28:29]
	s_and_saveexec_b64 s[28:29], s[26:27]
	s_cbranch_execnz .LBB292_247
	s_branch .LBB292_248
.LBB292_478:                            ;   in Loop: Header=BB292_13 Depth=1
	v_cmp_eq_u16_sdwa s[38:39], v8, s36 src0_sel:BYTE_0 src1_sel:DWORD
	s_mov_b64 s[4:5], -1
                                        ; implicit-def: $sgpr30
	s_and_saveexec_b64 s[28:29], s[38:39]
; %bb.479:                              ;   in Loop: Header=BB292_13 Depth=1
	s_mov_b32 s30, 0x7fc02000
	s_xor_b64 s[4:5], exec, -1
; %bb.480:                              ;   in Loop: Header=BB292_13 Depth=1
	s_or_b64 exec, exec, s[28:29]
	s_and_b64 s[4:5], s[4:5], exec
	s_or_saveexec_b64 s[26:27], s[26:27]
	v_mov_b32_e32 v42, s30
	s_xor_b64 exec, exec, s[26:27]
	s_cbranch_execz .LBB292_250
.LBB292_481:                            ;   in Loop: Header=BB292_13 Depth=1
	v_cmp_ne_u16_sdwa s[28:29], v8, v9 src0_sel:BYTE_0 src1_sel:DWORD
	s_andn2_b64 s[4:5], s[4:5], exec
	s_and_b64 s[28:29], s[28:29], exec
	v_mov_b32_e32 v42, 0
	s_or_b64 s[4:5], s[4:5], s[28:29]
	s_or_b64 exec, exec, s[26:27]
	s_and_saveexec_b64 s[26:27], s[4:5]
	s_cbranch_execnz .LBB292_251
	s_branch .LBB292_252
.LBB292_482:                            ;   in Loop: Header=BB292_13 Depth=1
	v_cmp_eq_u16_e64 s[4:5], s36, v8
	s_mov_b64 s[26:27], -1
                                        ; implicit-def: $sgpr38
	s_and_saveexec_b64 s[30:31], s[4:5]
; %bb.483:                              ;   in Loop: Header=BB292_13 Depth=1
	s_mov_b32 s38, 0x7fc02000
	s_xor_b64 s[26:27], exec, -1
; %bb.484:                              ;   in Loop: Header=BB292_13 Depth=1
	s_or_b64 exec, exec, s[30:31]
	s_and_b64 s[26:27], s[26:27], exec
	s_or_saveexec_b64 s[28:29], s[28:29]
	v_mov_b32_e32 v5, s38
	s_xor_b64 exec, exec, s[28:29]
	s_cbranch_execz .LBB292_254
.LBB292_485:                            ;   in Loop: Header=BB292_13 Depth=1
	v_cmp_ne_u16_e64 s[4:5], 0, v8
	s_andn2_b64 s[26:27], s[26:27], exec
	s_and_b64 s[4:5], s[4:5], exec
	v_mov_b32_e32 v5, 0
	s_or_b64 s[26:27], s[26:27], s[4:5]
	s_or_b64 exec, exec, s[28:29]
	s_and_saveexec_b64 s[28:29], s[26:27]
	s_cbranch_execnz .LBB292_255
	s_branch .LBB292_256
.LBB292_486:                            ;   in Loop: Header=BB292_13 Depth=1
	v_cmp_eq_u16_sdwa s[38:39], v38, s36 src0_sel:BYTE_0 src1_sel:DWORD
	s_mov_b64 s[4:5], -1
                                        ; implicit-def: $sgpr30
	s_and_saveexec_b64 s[28:29], s[38:39]
; %bb.487:                              ;   in Loop: Header=BB292_13 Depth=1
	s_mov_b32 s30, 0x7fc02000
	s_xor_b64 s[4:5], exec, -1
; %bb.488:                              ;   in Loop: Header=BB292_13 Depth=1
	s_or_b64 exec, exec, s[28:29]
	s_and_b64 s[4:5], s[4:5], exec
	s_or_saveexec_b64 s[26:27], s[26:27]
	v_mov_b32_e32 v50, s30
	s_xor_b64 exec, exec, s[26:27]
	s_cbranch_execz .LBB292_258
.LBB292_489:                            ;   in Loop: Header=BB292_13 Depth=1
	v_cmp_ne_u16_sdwa s[28:29], v38, v9 src0_sel:BYTE_0 src1_sel:DWORD
	s_andn2_b64 s[4:5], s[4:5], exec
	s_and_b64 s[28:29], s[28:29], exec
	v_mov_b32_e32 v50, 0
	s_or_b64 s[4:5], s[4:5], s[28:29]
	s_or_b64 exec, exec, s[26:27]
	s_and_saveexec_b64 s[26:27], s[4:5]
	s_cbranch_execnz .LBB292_259
	s_branch .LBB292_260
.LBB292_490:                            ;   in Loop: Header=BB292_13 Depth=1
	v_cmp_eq_u16_e64 s[4:5], s36, v8
	s_mov_b64 s[26:27], -1
                                        ; implicit-def: $sgpr38
	s_and_saveexec_b64 s[30:31], s[4:5]
; %bb.491:                              ;   in Loop: Header=BB292_13 Depth=1
	s_mov_b32 s38, 0x7fc02000
	s_xor_b64 s[26:27], exec, -1
; %bb.492:                              ;   in Loop: Header=BB292_13 Depth=1
	s_or_b64 exec, exec, s[30:31]
	s_and_b64 s[26:27], s[26:27], exec
	s_or_saveexec_b64 s[28:29], s[28:29]
	v_mov_b32_e32 v29, s38
	s_xor_b64 exec, exec, s[28:29]
	s_cbranch_execz .LBB292_262
.LBB292_493:                            ;   in Loop: Header=BB292_13 Depth=1
	v_cmp_ne_u16_e64 s[4:5], 0, v8
	s_andn2_b64 s[26:27], s[26:27], exec
	s_and_b64 s[4:5], s[4:5], exec
	v_mov_b32_e32 v29, 0
	s_or_b64 s[26:27], s[26:27], s[4:5]
	s_or_b64 exec, exec, s[28:29]
	s_and_saveexec_b64 s[28:29], s[26:27]
	s_cbranch_execnz .LBB292_263
	s_branch .LBB292_264
.LBB292_494:                            ;   in Loop: Header=BB292_13 Depth=1
	v_cmp_eq_u16_sdwa s[38:39], v8, s36 src0_sel:BYTE_0 src1_sel:DWORD
	s_mov_b64 s[4:5], -1
                                        ; implicit-def: $sgpr30
	s_and_saveexec_b64 s[28:29], s[38:39]
; %bb.495:                              ;   in Loop: Header=BB292_13 Depth=1
	s_mov_b32 s30, 0x7fc02000
	s_xor_b64 s[4:5], exec, -1
; %bb.496:                              ;   in Loop: Header=BB292_13 Depth=1
	s_or_b64 exec, exec, s[28:29]
	s_and_b64 s[4:5], s[4:5], exec
	s_or_saveexec_b64 s[26:27], s[26:27]
	v_mov_b32_e32 v57, s30
	s_xor_b64 exec, exec, s[26:27]
	s_cbranch_execz .LBB292_266
.LBB292_497:                            ;   in Loop: Header=BB292_13 Depth=1
	v_cmp_ne_u16_sdwa s[28:29], v8, v9 src0_sel:BYTE_0 src1_sel:DWORD
	s_andn2_b64 s[4:5], s[4:5], exec
	s_and_b64 s[28:29], s[28:29], exec
	v_mov_b32_e32 v57, 0
	s_or_b64 s[4:5], s[4:5], s[28:29]
	s_or_b64 exec, exec, s[26:27]
	s_and_saveexec_b64 s[26:27], s[4:5]
	s_cbranch_execnz .LBB292_267
	s_branch .LBB292_268
.LBB292_498:
	s_or_b64 exec, exec, s[24:25]
.LBB292_499:
	s_or_b64 exec, exec, s[8:9]
	scratch_load_dword v4, off, s32 offset:192 ; 4-byte Folded Reload
	v_accvgpr_read_b32 v0, a36
	v_mbcnt_hi_u32_b32 v1, -1, v0
	v_and_b32_e32 v0, 64, v1
	v_add_u32_e32 v2, 64, v0
	v_xor_b32_e32 v0, 32, v1
	v_cmp_lt_i32_e32 vcc, v0, v2
	v_xor_b32_e32 v5, 16, v1
	v_xor_b32_e32 v6, 8, v1
	v_cndmask_b32_e32 v0, v1, v0, vcc
	v_lshlrev_b32_e32 v3, 2, v0
	v_cmp_lt_i32_e32 vcc, v5, v2
	v_xor_b32_e32 v7, 4, v1
	v_xor_b32_e32 v9, 2, v1
	s_waitcnt lgkmcnt(0)
	s_lshr_b32 s24, s34, 16
	s_waitcnt vmcnt(0)
	ds_bpermute_b32 v0, v3, v4
	v_max_f32_e32 v4, v4, v4
	s_waitcnt lgkmcnt(0)
	v_max_f32_e32 v0, v0, v0
	v_max_f32_e32 v0, v4, v0
	v_cndmask_b32_e32 v4, v1, v5, vcc
	v_lshlrev_b32_e32 v4, 2, v4
	ds_bpermute_b32 v5, v4, v0
	v_cmp_lt_i32_e32 vcc, v6, v2
	s_waitcnt lgkmcnt(0)
	v_max_f32_e32 v5, v5, v5
	v_max_f32_e32 v0, v0, v5
	v_cndmask_b32_e32 v5, v1, v6, vcc
	v_lshlrev_b32_e32 v5, 2, v5
	ds_bpermute_b32 v6, v5, v0
	v_cmp_lt_i32_e32 vcc, v7, v2
	;; [unrolled: 7-line block ×3, first 2 shown]
	s_waitcnt lgkmcnt(0)
	v_max_f32_e32 v7, v7, v7
	v_max_f32_e32 v8, v0, v7
	v_cndmask_b32_e32 v0, v1, v9, vcc
	v_lshlrev_b32_e32 v13, 2, v0
	ds_bpermute_b32 v9, v13, v8
	v_accvgpr_read_b32 v0, a2
	v_and_b32_e32 v0, 63, v0
	v_accvgpr_read_b32 v7, a25
	v_cmp_eq_u32_e32 vcc, 0, v0
	v_lshlrev_b32_e32 v7, 2, v7
	s_and_saveexec_b64 s[2:3], vcc
	s_cbranch_execz .LBB292_501
; %bb.500:
	s_waitcnt lgkmcnt(0)
	v_max_f32_e32 v9, v9, v9
	v_max_f32_e32 v8, v8, v8
	;; [unrolled: 1-line block ×3, first 2 shown]
	ds_write_b32 v7, v8 offset:240
.LBB292_501:
	s_or_b64 exec, exec, s[2:3]
	v_cmp_gt_u32_e64 s[2:3], 2, v0
	s_waitcnt lgkmcnt(0)
	v_mov_b32_e32 v9, 0xff7fffff
	v_lshlrev_b32_e32 v8, 2, v0
	s_barrier
	s_and_saveexec_b64 s[4:5], s[2:3]
	s_cbranch_execz .LBB292_503
; %bb.502:
	ds_read_b32 v9, v8 offset:240
.LBB292_503:
	s_or_b64 exec, exec, s[4:5]
	v_xor_b32_e32 v10, 1, v1
	v_cmp_lt_i32_e64 s[4:5], v10, v2
	s_nop 1
	v_cndmask_b32_e64 v2, v1, v10, s[4:5]
	v_lshlrev_b32_e32 v41, 2, v2
	s_waitcnt lgkmcnt(0)
	ds_bpermute_b32 v2, v41, v9
	v_accvgpr_read_b32 v10, a11
	v_subrev_u32_e32 v10, s19, v10
	v_max_f32_e32 v9, v9, v9
	v_lshlrev_b32_e32 v1, 2, v1
	s_waitcnt lgkmcnt(0)
	v_max_f32_e32 v2, v2, v2
	v_lshl_add_u32 v11, v10, 5, s21
	v_max_f32_e32 v2, v9, v2
	v_and_b32_e32 v10, 0x100, v1
	ds_bpermute_b32 v1, v10, v2
	v_accvgpr_read_b32 v2, a8
	v_min_i32_e32 v9, v11, v2
	v_subrev_u32_e32 v2, s21, v9
	v_accvgpr_read_b32 v11, a2
	v_cmp_lt_i32_e64 s[4:5], v11, v2
	v_mov_b32_e32 v11, 0
	s_and_saveexec_b64 s[8:9], s[4:5]
	s_cbranch_execz .LBB292_507
; %bb.504:
	s_ashr_i32 s11, s10, 31
	s_lshl_b64 s[6:7], s[10:11], 2
	s_getpc_b64 s[22:23]
	s_add_u32 s22, s22, llvm.amdgcn.dynlds.offset.table@rel32@lo+4
	s_addc_u32 s23, s23, llvm.amdgcn.dynlds.offset.table@rel32@hi+12
	s_add_u32 s6, s6, s22
	s_addc_u32 s7, s7, s23
	s_load_dword s6, s[6:7], 0x0
	v_accvgpr_read_b32 v14, a2
	s_mov_b64 s[22:23], 0
	v_mov_b32_e32 v11, 0
	s_waitcnt lgkmcnt(0)
	v_lshl_add_u32 v12, v14, 2, s6
.LBB292_505:                            ; =>This Inner Loop Header: Depth=1
	ds_read_b32 v15, v12
	v_add_u32_e32 v14, 0x80, v14
	v_cmp_ge_i32_e64 s[6:7], v14, v2
	s_or_b64 s[22:23], s[6:7], s[22:23]
	s_waitcnt lgkmcnt(0)
	v_sub_f32_e32 v15, v15, v1
	v_mul_f32_e32 v15, 0x3fb8aa3b, v15
	v_exp_f32_e32 v15, v15
	ds_write_b32 v12, v15
	v_add_f32_e32 v11, v11, v15
	v_add_u32_e32 v12, 0x200, v12
	s_andn2_b64 exec, exec, s[22:23]
	s_cbranch_execnz .LBB292_505
; %bb.506:
	s_or_b64 exec, exec, s[22:23]
.LBB292_507:
	s_or_b64 exec, exec, s[8:9]
	ds_bpermute_b32 v3, v3, v11
	s_waitcnt lgkmcnt(0)
	v_add_f32_e32 v3, v11, v3
	ds_bpermute_b32 v4, v4, v3
	s_waitcnt lgkmcnt(0)
	v_add_f32_e32 v3, v3, v4
	ds_bpermute_b32 v4, v5, v3
	s_waitcnt lgkmcnt(0)
	v_add_f32_e32 v3, v3, v4
	ds_bpermute_b32 v4, v6, v3
	s_waitcnt lgkmcnt(0)
	v_add_f32_e32 v3, v3, v4
	ds_bpermute_b32 v4, v13, v3
	s_waitcnt lgkmcnt(0)
	v_add_f32_e32 v3, v3, v4
	ds_bpermute_b32 v4, v41, v3
	s_waitcnt lgkmcnt(0)
	v_add_f32_e32 v3, v3, v4
	s_and_saveexec_b64 s[6:7], vcc
	s_cbranch_execz .LBB292_509
; %bb.508:
	ds_write_b32 v7, v3 offset:248
.LBB292_509:
	s_or_b64 exec, exec, s[6:7]
	s_waitcnt lgkmcnt(0)
	s_barrier
	s_and_saveexec_b64 s[6:7], s[2:3]
	s_cbranch_execz .LBB292_511
; %bb.510:
	ds_read_b32 v3, v8 offset:248
.LBB292_511:
	s_or_b64 exec, exec, s[6:7]
	s_waitcnt lgkmcnt(0)
	ds_bpermute_b32 v4, v41, v3
	s_waitcnt lgkmcnt(0)
	v_add_f32_e32 v3, v3, v4
	ds_bpermute_b32 v3, v10, v3
	s_and_saveexec_b64 s[2:3], s[4:5]
	s_cbranch_execz .LBB292_524
; %bb.512:
	s_waitcnt lgkmcnt(0)
	v_add_f32_e32 v4, 0x358637bd, v3
	v_div_scale_f32 v5, s[4:5], v4, v4, 1.0
	v_rcp_f32_e32 v6, v5
	v_div_scale_f32 v7, vcc, 1.0, v4, 1.0
	s_movk_i32 s4, 0x7f
	v_fma_f32 v8, -v5, v6, 1.0
	v_fmac_f32_e32 v6, v8, v6
	v_mul_f32_e32 v8, v7, v6
	v_fma_f32 v10, -v5, v8, v7
	v_fmac_f32_e32 v8, v10, v6
	v_fma_f32 v5, -v5, v8, v7
	v_div_fmas_f32 v5, v5, v6, v8
	v_accvgpr_read_b32 v6, a2
	v_div_fixup_f32 v8, v5, v4, 1.0
	v_xad_u32 v4, v6, -1, v9
	v_subrev_u32_e32 v5, s21, v4
	v_cmp_lt_u32_e32 vcc, s4, v5
	s_mov_b64 s[6:7], -1
	v_accvgpr_read_b32 v4, a2
	s_and_saveexec_b64 s[4:5], vcc
	s_cbranch_execz .LBB292_521
; %bb.513:
	v_lshrrev_b32_e32 v4, 7, v5
	v_add_u32_e32 v6, -1, v4
	v_lshrrev_b32_e32 v5, 1, v6
	v_mov_b32_e32 v9, v8
	v_add_u32_e32 v5, 1, v5
	v_cmp_lt_u32_e32 vcc, 13, v6
	v_mov_b32_e32 v10, 0
	s_and_saveexec_b64 s[6:7], vcc
	s_cbranch_execz .LBB292_517
; %bb.514:
	s_ashr_i32 s11, s10, 31
	s_lshl_b64 s[8:9], s[10:11], 2
	s_getpc_b64 s[22:23]
	s_add_u32 s22, s22, llvm.amdgcn.dynlds.offset.table@rel32@lo+4
	s_addc_u32 s23, s23, llvm.amdgcn.dynlds.offset.table@rel32@hi+12
	s_add_u32 s8, s8, s22
	s_addc_u32 s9, s9, s23
	s_load_dword s8, s[8:9], 0x0
	v_accvgpr_read_b32 v7, a2
	v_and_b32_e32 v6, -8, v5
	s_mov_b32 s11, 0
	s_waitcnt lgkmcnt(0)
	v_lshl_add_u32 v7, v7, 2, s8
	s_mov_b64 s[8:9], 0
.LBB292_515:                            ; =>This Inner Loop Header: Depth=1
	ds_read2st64_b32 v[10:11], v7 offset1:2
	ds_read2st64_b32 v[14:15], v7 offset0:4 offset1:6
	ds_read2st64_b32 v[20:21], v7 offset0:8 offset1:10
	;; [unrolled: 1-line block ×3, first 2 shown]
	v_add_u32_e32 v6, -8, v6
	s_waitcnt lgkmcnt(3)
	v_pk_mul_f32 v[10:11], v[8:9], v[10:11]
	s_waitcnt lgkmcnt(2)
	v_pk_mul_f32 v[14:15], v[8:9], v[14:15]
	ds_write2st64_b32 v7, v10, v11 offset1:2
	ds_write2st64_b32 v7, v14, v15 offset0:4 offset1:6
	ds_read2st64_b32 v[14:15], v7 offset0:16 offset1:18
	s_waitcnt lgkmcnt(4)
	v_pk_mul_f32 v[10:11], v[8:9], v[20:21]
	ds_write2st64_b32 v7, v10, v11 offset0:8 offset1:10
	s_waitcnt lgkmcnt(4)
	v_pk_mul_f32 v[10:11], v[8:9], v[24:25]
	ds_write2st64_b32 v7, v10, v11 offset0:12 offset1:14
	ds_read2st64_b32 v[10:11], v7 offset0:20 offset1:22
	s_waitcnt lgkmcnt(3)
	v_pk_mul_f32 v[14:15], v[8:9], v[14:15]
	ds_read2st64_b32 v[20:21], v7 offset0:24 offset1:26
	ds_write2st64_b32 v7, v14, v15 offset0:16 offset1:18
	ds_read2st64_b32 v[14:15], v7 offset0:28 offset1:30
	s_waitcnt lgkmcnt(3)
	v_pk_mul_f32 v[10:11], v[8:9], v[10:11]
	ds_write2st64_b32 v7, v10, v11 offset0:20 offset1:22
	s_waitcnt lgkmcnt(3)
	v_pk_mul_f32 v[10:11], v[8:9], v[20:21]
	ds_write2st64_b32 v7, v10, v11 offset0:24 offset1:26
	s_waitcnt lgkmcnt(2)
	v_pk_mul_f32 v[10:11], v[8:9], v[14:15]
	s_add_i32 s11, s11, 16
	v_cmp_eq_u32_e32 vcc, 0, v6
	ds_write2st64_b32 v7, v10, v11 offset0:28 offset1:30
	v_add_u32_e32 v7, 0x2000, v7
	s_or_b64 s[8:9], vcc, s[8:9]
	v_mov_b32_e32 v10, s11
	s_andn2_b64 exec, exec, s[8:9]
	s_cbranch_execnz .LBB292_515
; %bb.516:
	s_or_b64 exec, exec, s[8:9]
.LBB292_517:
	s_or_b64 exec, exec, s[6:7]
	v_and_b32_e32 v5, 7, v5
	v_cmp_ne_u32_e32 vcc, 0, v5
	s_and_saveexec_b64 s[6:7], vcc
	s_cbranch_execz .LBB292_520
; %bb.518:
	s_ashr_i32 s11, s10, 31
	s_lshl_b64 s[8:9], s[10:11], 2
	s_getpc_b64 s[22:23]
	s_add_u32 s22, s22, llvm.amdgcn.dynlds.offset.table@rel32@lo+4
	s_addc_u32 s23, s23, llvm.amdgcn.dynlds.offset.table@rel32@hi+12
	s_add_u32 s8, s8, s22
	s_addc_u32 s9, s9, s23
	s_load_dword s8, s[8:9], 0x0
	v_accvgpr_read_b32 v7, a2
	v_lshlrev_b32_e32 v6, 9, v10
	v_lshlrev_b32_e32 v7, 2, v7
	s_waitcnt lgkmcnt(0)
	v_add3_u32 v6, v6, v7, s8
	s_mov_b64 s[8:9], 0
.LBB292_519:                            ; =>This Inner Loop Header: Depth=1
	ds_read2st64_b32 v[10:11], v6 offset1:2
	v_add_u32_e32 v5, -1, v5
	v_cmp_eq_u32_e32 vcc, 0, v5
	s_or_b64 s[8:9], vcc, s[8:9]
	s_waitcnt lgkmcnt(0)
	v_pk_mul_f32 v[10:11], v[8:9], v[10:11]
	ds_write2st64_b32 v6, v10, v11 offset1:2
	v_add_u32_e32 v6, 0x400, v6
	s_andn2_b64 exec, exec, s[8:9]
	s_cbranch_execnz .LBB292_519
.LBB292_520:
	s_or_b64 exec, exec, s[6:7]
	v_add_u32_e32 v5, 1, v4
	v_and_b32_e32 v6, 0x3fffffe, v5
	v_accvgpr_read_b32 v4, a2
	v_cmp_ne_u32_e32 vcc, v5, v6
	v_lshl_add_u32 v4, v6, 7, v4
	s_orn2_b64 s[6:7], vcc, exec
.LBB292_521:
	s_or_b64 exec, exec, s[4:5]
	s_and_b64 exec, exec, s[6:7]
	s_cbranch_execz .LBB292_524
; %bb.522:
	s_ashr_i32 s11, s10, 31
	s_lshl_b64 s[4:5], s[10:11], 2
	s_getpc_b64 s[6:7]
	s_add_u32 s6, s6, llvm.amdgcn.dynlds.offset.table@rel32@lo+4
	s_addc_u32 s7, s7, llvm.amdgcn.dynlds.offset.table@rel32@hi+12
	s_add_u32 s4, s4, s6
	s_addc_u32 s5, s5, s7
	s_load_dword s4, s[4:5], 0x0
	s_waitcnt lgkmcnt(0)
	v_lshl_add_u32 v5, v4, 2, s4
	s_mov_b64 s[4:5], 0
.LBB292_523:                            ; =>This Inner Loop Header: Depth=1
	ds_read_b32 v6, v5
	v_add_u32_e32 v4, 0x80, v4
	v_cmp_ge_i32_e32 vcc, v4, v2
	s_or_b64 s[4:5], vcc, s[4:5]
	s_waitcnt lgkmcnt(0)
	v_mul_f32_e32 v6, v8, v6
	ds_write_b32 v5, v6
	v_add_u32_e32 v5, 0x200, v5
	s_andn2_b64 exec, exec, s[4:5]
	s_cbranch_execnz .LBB292_523
.LBB292_524:
	s_or_b64 exec, exec, s[2:3]
	v_cmp_ne_u16_e64 s[2:3], s24, 0
	s_cmp_lg_u64 s[2:3], 0
	s_addc_u32 s19, s13, 0
	v_accvgpr_read_b32 v2, a2
	s_mul_i32 s2, s19, s20
	v_cmp_eq_u32_e32 vcc, 0, v2
	s_mul_i32 s20, s2, s15
	s_waitcnt lgkmcnt(0)
	s_barrier
	s_and_saveexec_b64 s[2:3], vcc
	s_cbranch_execz .LBB292_526
; %bb.525:
	s_mul_i32 s6, s19, s12
	s_ashr_i32 s21, s20, 31
	s_ashr_i32 s7, s6, 31
	s_ashr_i32 s15, s14, 31
	s_lshl_b64 s[4:5], s[20:21], 2
	s_lshl_b64 s[6:7], s[6:7], 2
	;; [unrolled: 1-line block ×3, first 2 shown]
	s_add_u32 s6, s8, s6
	s_addc_u32 s7, s9, s7
	s_add_u32 s4, s6, s4
	v_accvgpr_read_b32 v4, a22
	s_addc_u32 s5, s7, s5
	v_accvgpr_read_b32 v5, a23
	v_lshl_add_u64 v[4:5], s[4:5], 0, v[4:5]
	flat_store_dword v[4:5], v1
	v_accvgpr_read_b32 v4, a20
	v_accvgpr_read_b32 v5, a21
	v_lshl_add_u64 v[4:5], s[4:5], 0, v[4:5]
	flat_store_dword v[4:5], v3
.LBB292_526:
	s_or_b64 exec, exec, s[2:3]
	s_ashr_i32 s11, s10, 31
	s_lshl_b64 s[2:3], s[10:11], 2
	s_getpc_b64 s[4:5]
	s_add_u32 s4, s4, llvm.amdgcn.dynlds.offset.table@rel32@lo+4
	s_addc_u32 s5, s5, llvm.amdgcn.dynlds.offset.table@rel32@hi+12
	s_add_u32 s12, s2, s4
	v_lshrrev_b32_e32 v21, 2, v0
	v_accvgpr_read_b32 v0, a2
	s_addc_u32 s13, s3, s5
	s_mov_b32 s4, 0
	v_mov_b32_e32 v39, 0
	v_and_b32_e32 v20, 3, v0
	v_mov_b32_e32 v38, 0
	v_mov_b32_e32 v37, 0
	;; [unrolled: 1-line block ×7, first 2 shown]
	s_and_saveexec_b64 s[22:23], s[0:1]
	s_cbranch_execz .LBB292_1062
; %bb.527:
	v_accvgpr_read_b32 v0, a24
	v_and_b32_e32 v40, 24, v0
	v_accvgpr_read_b32 v0, a18
	v_accvgpr_read_b32 v2, a30
	;; [unrolled: 1-line block ×4, first 2 shown]
	v_lshl_add_u64 v[0:1], v[0:1], 0, v[2:3]
	v_accvgpr_read_b32 v30, a35
	v_accvgpr_read_b32 v3, a28
	v_max_i32_e32 v46, v30, v3
	v_cvt_f32_u32_e32 v4, v46
	v_or_b32_e32 v5, 0x70, v21
	s_movk_i32 s1, 0x78
	v_cmp_gt_u32_e32 vcc, s1, v5
	v_rcp_iflag_f32_e32 v4, v4
	v_lshl_or_b32 v10, v5, 5, v40
	v_sub_u32_e32 v5, 0, v46
	v_accvgpr_read_b32 v14, a26
	v_mul_f32_e32 v4, 0x4f7ffffe, v4
	v_cvt_u32_f32_e32 v4, v4
	s_load_dword s0, s[12:13], 0x0
	v_accvgpr_read_b32 v15, a27
	s_mov_b32 s10, s4
	v_mul_lo_u32 v5, v5, v4
	v_mul_hi_u32 v5, v4, v5
	v_add_u32_e32 v12, v4, v5
	v_accvgpr_read_b32 v4, a12
	v_accvgpr_read_b32 v5, a13
	v_lshlrev_b64 v[4:5], 2, v[4:5]
	v_lshl_add_u64 v[4:5], v[14:15], 2, v[4:5]
	v_accvgpr_read_b32 v14, a16
	v_accvgpr_read_b32 v15, a17
	v_lshl_add_u64 v[14:15], v[14:15], 0, v[4:5]
	v_lshlrev_b32_e32 v4, 5, v20
	v_accvgpr_read_b32 v5, a25
	s_mov_b32 s11, s4
	v_accvgpr_read_b32 v2, a29
	v_mov_b32_e32 v9, 0
	v_lshl_or_b32 v4, v5, 7, v4
	s_mov_b32 s5, s4
	s_mov_b32 s6, s4
	;; [unrolled: 1-line block ×5, first 2 shown]
	v_mov_b64_e32 v[38:39], s[10:11]
	v_add_u32_e32 v43, -1, v2
	v_lshl_or_b32 v2, v21, 5, v40
	v_mov_b32_e32 v3, v9
	v_accvgpr_write_b32 a18, v21
	v_mov_b32_e32 v11, v9
	v_accvgpr_read_b32 v7, a8
	v_accvgpr_write_b32 a16, v20
	s_waitcnt lgkmcnt(0)
	v_add_u32_e32 v19, s0, v4
	s_mov_b64 s[24:25], 0
	v_mov_b64_e32 v[36:37], s[8:9]
	v_mov_b64_e32 v[34:35], s[6:7]
	;; [unrolled: 1-line block ×3, first 2 shown]
	s_movk_i32 s15, 0x7f
	s_movk_i32 s21, 0x80
	s_mov_b32 s28, 0x8000
	s_movk_i32 s29, 0x380
	s_mov_b32 s30, 0x3020706
	s_mov_b32 s31, 0x1000504
	;; [unrolled: 1-line block ×3, first 2 shown]
	v_mov_b32_e32 v47, 0x1c00
	v_accvgpr_read_b32 v8, a15
	v_accvgpr_read_b32 v6, a8
	s_branch .LBB292_531
.LBB292_528:                            ;   in Loop: Header=BB292_531 Depth=1
	s_or_b64 exec, exec, s[2:3]
	;;#ASMSTART
	v_pk_mul_f16 v6, v60, v17;

	;;#ASMEND
	;;#ASMSTART
	v_pk_mul_f16 v8, v59, v8;

	;;#ASMEND
	;; [unrolled: 4-line block ×4, first 2 shown]
	s_nop 0
	;;#ASMSTART
	v_pk_add_f16 v6, v6, v8;

	;;#ASMEND
	s_nop 0
	;;#ASMSTART
	v_pk_add_f16 v4, v6, v4;

	;;#ASMEND
	;; [unrolled: 5-line block ×3, first 2 shown]
	s_nop 0
	v_lshrrev_b32_e32 v5, 16, v4
	v_and_b32_e32 v4, 0xffff, v4
	;;#ASMSTART
	v_cvt_f32_f16 v4, v4;
	;;#ASMEND
	;;#ASMSTART
	v_cvt_f32_f16 v5, v5;
	;;#ASMEND
	s_nop 0
	v_add_f32_e32 v4, v4, v5
	v_add_f32_e32 v39, v39, v4
.LBB292_529:                            ;   in Loop: Header=BB292_531 Depth=1
	s_or_b64 exec, exec, s[6:7]
.LBB292_530:                            ;   in Loop: Header=BB292_531 Depth=1
	s_or_b64 exec, exec, s[4:5]
	v_accvgpr_read_b32 v6, a12
	v_add_u32_e32 v6, 2, v6
	v_accvgpr_read_b32 v4, a11
	v_accvgpr_read_b32 v8, a13
	v_cmp_ge_i32_e64 s[0:1], v6, v4
	v_lshl_add_u64 v[14:15], v[14:15], 0, 8
	v_add_u32_e32 v8, 64, v8
	v_accvgpr_write_b32 a12, v6
	s_or_b64 s[24:25], s[0:1], s[24:25]
	v_add_u32_e32 v19, 0x100, v19
	s_andn2_b64 exec, exec, s[24:25]
	s_cbranch_execz .LBB292_1061
.LBB292_531:                            ; =>This Inner Loop Header: Depth=1
	v_ashrrev_i32_e32 v4, 31, v8
	v_accvgpr_read_b32 v5, a9
	v_xor_b32_e32 v4, v4, v5
	v_sub_u32_e32 v5, 0, v8
	v_max_i32_e32 v5, v8, v5
	v_accvgpr_read_b32 v6, a7
	v_mul_hi_u32 v6, v5, v6
	v_accvgpr_read_b32 v16, a3
	v_accvgpr_write_b32 a13, v8
	v_mul_lo_u32 v8, v6, v16
	v_sub_u32_e32 v5, v5, v8
	v_add_u32_e32 v8, 1, v6
	v_cmp_ge_u32_e64 s[0:1], v5, v16
	s_nop 1
	v_cndmask_b32_e64 v6, v6, v8, s[0:1]
	v_sub_u32_e32 v8, v5, v16
	v_cndmask_b32_e64 v5, v5, v8, s[0:1]
	v_add_u32_e32 v8, 1, v6
	v_cmp_ge_u32_e64 s[0:1], v5, v16
	s_nop 1
	v_cndmask_b32_e64 v5, v6, v8, s[0:1]
	v_xor_b32_e32 v5, v5, v4
	v_sub_u32_e32 v4, v5, v4
	v_accvgpr_read_b32 v6, a10
	v_add_u32_e32 v5, v4, v6
	v_sub_u32_e32 v8, 0, v5
	v_ashrrev_i32_e32 v6, 31, v5
	v_max_i32_e32 v5, v5, v8
	v_mul_hi_u32 v8, v5, v12
	v_mul_lo_u32 v8, v8, v46
	v_sub_u32_e32 v5, v5, v8
	v_sub_u32_e32 v8, v5, v46
	v_cmp_ge_u32_e64 s[0:1], v5, v46
	s_nop 1
	v_cndmask_b32_e64 v5, v5, v8, s[0:1]
	v_sub_u32_e32 v8, v5, v46
	v_cmp_ge_u32_e64 s[0:1], v5, v46
	s_nop 1
	v_cndmask_b32_e64 v5, v5, v8, s[0:1]
	v_xor_b32_e32 v5, v5, v6
	v_sub_u32_e32 v5, v5, v6
	v_cmp_eq_u32_e64 s[0:1], 0, v5
	v_accvgpr_read_b32 v5, a14
	v_cmp_gt_i32_e64 s[2:3], v4, v5
	s_or_b64 s[0:1], s[0:1], s[2:3]
	s_and_saveexec_b64 s[4:5], s[0:1]
	s_cbranch_execz .LBB292_530
; %bb.532:                              ;   in Loop: Header=BB292_531 Depth=1
	ds_read2_b64 v[24:27], v19 offset1:1
	ds_read2_b64 v[28:31], v19 offset0:2 offset1:3
	v_accvgpr_read_b32 v16, a6
	v_accvgpr_read_b32 v49, a5
	v_accvgpr_read_b32 v48, a4
	s_waitcnt lgkmcnt(0)
	;;#ASMSTART
	v_cvt_f16_f32 v4, v24;

	;;#ASMEND
	;;#ASMSTART
	v_cvt_f16_f32 v5, v25;

	;;#ASMEND
	;; [unrolled: 4-line block ×8, first 2 shown]
	flat_load_dword v8, v[14:15]
	flat_load_dword v28, v[48:49]
                                        ; implicit-def: $sgpr8
	s_waitcnt vmcnt(0) lgkmcnt(0)
	v_mad_i64_i32 v[20:21], s[0:1], v8, v16, v[0:1]
	v_lshl_add_u64 v[24:25], v[20:21], 0, v[2:3]
	flat_load_dwordx2 v[30:31], v[24:25]
	s_mov_b64 s[0:1], 0
	s_waitcnt vmcnt(0) lgkmcnt(0)
	v_cmp_gt_i16_sdwa s[2:3], v30, s15 src0_sel:BYTE_0 src1_sel:DWORD
	s_and_saveexec_b64 s[6:7], s[2:3]
	s_xor_b64 s[2:3], exec, s[6:7]
	s_cbranch_execnz .LBB292_805
; %bb.533:                              ;   in Loop: Header=BB292_531 Depth=1
	s_or_saveexec_b64 s[2:3], s[2:3]
	v_mov_b32_e32 v48, s8
	s_xor_b64 exec, exec, s[2:3]
	s_cbranch_execnz .LBB292_808
.LBB292_534:                            ;   in Loop: Header=BB292_531 Depth=1
	s_or_b64 exec, exec, s[2:3]
	s_and_saveexec_b64 s[2:3], s[0:1]
	s_cbranch_execz .LBB292_536
.LBB292_535:                            ;   in Loop: Header=BB292_531 Depth=1
	v_and_b32_e32 v8, 7, v30
	v_ffbh_u32_e32 v8, v8
	v_bfe_u32 v16, v30, 3, 4
	v_min_u32_e32 v8, 32, v8
	v_subrev_u32_e32 v18, 28, v8
	v_sub_u32_e32 v8, 29, v8
	v_cmp_eq_u32_e64 s[0:1], 0, v16
	s_nop 1
	v_cndmask_b32_e64 v8, v16, v8, s[0:1]
	v_cndmask_b32_e64 v16, 0, v18, s[0:1]
	v_lshlrev_b64 v[48:49], v16, v[30:31]
	v_lshlrev_b32_e32 v18, 8, v30
	v_lshl_add_u32 v8, v8, 10, v47
	v_lshlrev_b32_e32 v16, 7, v48
	v_and_or_b32 v8, v18, s28, v8
	v_and_or_b32 v8, v16, s29, v8
	v_cvt_f32_f16_e32 v48, v8
.LBB292_536:                            ;   in Loop: Header=BB292_531 Depth=1
	s_or_b64 exec, exec, s[2:3]
	v_lshrrev_b16_e32 v8, 8, v30
	v_cmp_lt_i16_e64 s[0:1], s15, v8
	s_mov_b64 s[2:3], 0
                                        ; implicit-def: $sgpr10
	s_and_saveexec_b64 s[6:7], s[0:1]
	s_xor_b64 s[6:7], exec, s[6:7]
	s_cbranch_execnz .LBB292_809
; %bb.537:                              ;   in Loop: Header=BB292_531 Depth=1
	s_or_saveexec_b64 s[6:7], s[6:7]
	v_mov_b32_e32 v50, s10
	s_xor_b64 exec, exec, s[6:7]
	s_cbranch_execnz .LBB292_812
.LBB292_538:                            ;   in Loop: Header=BB292_531 Depth=1
	s_or_b64 exec, exec, s[6:7]
	s_and_saveexec_b64 s[6:7], s[2:3]
	s_cbranch_execz .LBB292_540
.LBB292_539:                            ;   in Loop: Header=BB292_531 Depth=1
	v_and_b32_e32 v16, 7, v8
	v_ffbh_u32_e32 v23, v16
	v_bfe_u32 v18, v8, 3, 4
	v_min_u32_e32 v23, 32, v23
	v_subrev_u32_e32 v49, 28, v23
	v_sub_u32_e32 v23, 29, v23
	v_cmp_eq_u32_e64 s[0:1], 0, v18
	v_lshlrev_b64 v[50:51], v49, v[8:9]
	v_and_b32_e32 v49, 7, v50
	v_cndmask_b32_e64 v18, v18, v23, s[0:1]
	v_lshlrev_b32_e32 v8, 8, v8
	v_lshl_add_u32 v18, v18, 10, v47
	v_cndmask_b32_e64 v16, v16, v49, s[0:1]
	v_and_or_b32 v8, v8, s28, v18
	v_lshl_or_b32 v8, v16, 7, v8
	v_cvt_f32_f16_e32 v50, v8
.LBB292_540:                            ;   in Loop: Header=BB292_531 Depth=1
	s_or_b64 exec, exec, s[6:7]
	v_lshrrev_b32_e32 v8, 16, v30
	v_cmp_gt_i16_sdwa s[2:3], v8, s15 src0_sel:BYTE_0 src1_sel:DWORD
	s_mov_b64 s[0:1], 0
                                        ; implicit-def: $sgpr8
	s_and_saveexec_b64 s[6:7], s[2:3]
	s_xor_b64 s[2:3], exec, s[6:7]
	s_cbranch_execnz .LBB292_813
; %bb.541:                              ;   in Loop: Header=BB292_531 Depth=1
	s_or_saveexec_b64 s[2:3], s[2:3]
	v_mov_b32_e32 v49, s8
	s_xor_b64 exec, exec, s[2:3]
	s_cbranch_execnz .LBB292_816
.LBB292_542:                            ;   in Loop: Header=BB292_531 Depth=1
	s_or_b64 exec, exec, s[2:3]
	s_and_saveexec_b64 s[2:3], s[0:1]
	s_cbranch_execz .LBB292_544
.LBB292_543:                            ;   in Loop: Header=BB292_531 Depth=1
	v_bfe_u32 v16, v30, 16, 3
	v_ffbh_u32_e32 v23, v16
	v_bfe_u32 v18, v30, 19, 4
	v_min_u32_e32 v23, 32, v23
	v_subrev_u32_e32 v49, 28, v23
	v_sub_u32_e32 v23, 29, v23
	v_cmp_eq_u32_e64 s[0:1], 0, v18
	v_lshlrev_b64 v[52:53], v49, v[8:9]
	v_and_b32_e32 v49, 7, v52
	v_cndmask_b32_e64 v18, v18, v23, s[0:1]
	v_lshlrev_b32_e32 v8, 8, v8
	v_lshl_add_u32 v18, v18, 10, v47
	v_cndmask_b32_e64 v16, v16, v49, s[0:1]
	v_and_or_b32 v8, v8, s28, v18
	v_lshl_or_b32 v8, v16, 7, v8
	v_cvt_f32_f16_e32 v49, v8
.LBB292_544:                            ;   in Loop: Header=BB292_531 Depth=1
	s_or_b64 exec, exec, s[2:3]
	v_lshrrev_b32_e32 v8, 24, v30
	v_cmp_lt_i16_e64 s[0:1], s15, v8
	s_mov_b64 s[2:3], 0
                                        ; implicit-def: $sgpr10
	s_and_saveexec_b64 s[6:7], s[0:1]
	s_xor_b64 s[6:7], exec, s[6:7]
	s_cbranch_execnz .LBB292_817
; %bb.545:                              ;   in Loop: Header=BB292_531 Depth=1
	s_or_saveexec_b64 s[6:7], s[6:7]
	v_mov_b32_e32 v51, s10
	s_xor_b64 exec, exec, s[6:7]
	s_cbranch_execnz .LBB292_820
.LBB292_546:                            ;   in Loop: Header=BB292_531 Depth=1
	s_or_b64 exec, exec, s[6:7]
	s_and_saveexec_b64 s[6:7], s[2:3]
	s_cbranch_execz .LBB292_548
.LBB292_547:                            ;   in Loop: Header=BB292_531 Depth=1
	v_bfe_u32 v16, v30, 24, 3
	v_ffbh_u32_e32 v23, v16
	v_bfe_u32 v18, v30, 27, 4
	v_min_u32_e32 v23, 32, v23
	v_subrev_u32_e32 v30, 28, v23
	v_sub_u32_e32 v23, 29, v23
	v_cmp_eq_u32_e64 s[0:1], 0, v18
	v_lshlrev_b64 v[52:53], v30, v[8:9]
	v_and_b32_e32 v30, 7, v52
	v_cndmask_b32_e64 v18, v18, v23, s[0:1]
	v_lshlrev_b32_e32 v8, 8, v8
	v_lshl_add_u32 v18, v18, 10, v47
	v_cndmask_b32_e64 v16, v16, v30, s[0:1]
	v_and_or_b32 v8, v8, s28, v18
	v_lshl_or_b32 v8, v16, 7, v8
	v_cvt_f32_f16_e32 v51, v8
.LBB292_548:                            ;   in Loop: Header=BB292_531 Depth=1
	s_or_b64 exec, exec, s[6:7]
	v_cmp_gt_i16_sdwa s[2:3], v31, s15 src0_sel:BYTE_0 src1_sel:DWORD
	s_mov_b64 s[0:1], 0
                                        ; implicit-def: $sgpr8
	s_and_saveexec_b64 s[6:7], s[2:3]
	s_xor_b64 s[2:3], exec, s[6:7]
	s_cbranch_execnz .LBB292_821
; %bb.549:                              ;   in Loop: Header=BB292_531 Depth=1
	s_or_saveexec_b64 s[2:3], s[2:3]
	v_mov_b32_e32 v30, s8
	s_xor_b64 exec, exec, s[2:3]
	s_cbranch_execnz .LBB292_824
.LBB292_550:                            ;   in Loop: Header=BB292_531 Depth=1
	s_or_b64 exec, exec, s[2:3]
	v_mov_b32_e32 v8, v31
	s_and_saveexec_b64 s[2:3], s[0:1]
	s_cbranch_execz .LBB292_552
.LBB292_551:                            ;   in Loop: Header=BB292_531 Depth=1
	v_and_b32_e32 v16, 7, v31
	v_ffbh_u32_e32 v16, v16
	v_bfe_u32 v18, v31, 3, 4
	v_min_u32_e32 v16, 32, v16
	v_subrev_u32_e32 v23, 28, v16
	v_sub_u32_e32 v16, 29, v16
	v_cmp_eq_u32_e64 s[0:1], 0, v18
	s_nop 1
	v_cndmask_b32_e64 v16, v18, v16, s[0:1]
	v_cndmask_b32_e64 v18, 0, v23, s[0:1]
	v_lshlrev_b64 v[52:53], v18, v[8:9]
	v_lshlrev_b32_e32 v23, 8, v31
	v_lshl_add_u32 v16, v16, 10, v47
	v_lshlrev_b32_e32 v18, 7, v52
	v_and_or_b32 v16, v23, s28, v16
	v_and_or_b32 v16, v18, s29, v16
	v_cvt_f32_f16_e32 v30, v16
.LBB292_552:                            ;   in Loop: Header=BB292_531 Depth=1
	s_or_b64 exec, exec, s[2:3]
	v_lshrrev_b16_e32 v8, 8, v8
	v_cmp_lt_i16_e64 s[0:1], s15, v8
	s_mov_b64 s[2:3], 0
                                        ; implicit-def: $sgpr10
	s_and_saveexec_b64 s[6:7], s[0:1]
	s_xor_b64 s[6:7], exec, s[6:7]
	s_cbranch_execnz .LBB292_825
; %bb.553:                              ;   in Loop: Header=BB292_531 Depth=1
	s_or_saveexec_b64 s[6:7], s[6:7]
	v_mov_b32_e32 v52, s10
	s_xor_b64 exec, exec, s[6:7]
	s_cbranch_execnz .LBB292_828
.LBB292_554:                            ;   in Loop: Header=BB292_531 Depth=1
	s_or_b64 exec, exec, s[6:7]
	s_and_saveexec_b64 s[6:7], s[2:3]
	s_cbranch_execz .LBB292_556
.LBB292_555:                            ;   in Loop: Header=BB292_531 Depth=1
	v_and_b32_e32 v16, 7, v8
	v_ffbh_u32_e32 v23, v16
	v_bfe_u32 v18, v8, 3, 4
	v_min_u32_e32 v23, 32, v23
	v_subrev_u32_e32 v52, 28, v23
	v_sub_u32_e32 v23, 29, v23
	v_cmp_eq_u32_e64 s[0:1], 0, v18
	v_lshlrev_b64 v[52:53], v52, v[8:9]
	v_and_b32_e32 v52, 7, v52
	v_cndmask_b32_e64 v18, v18, v23, s[0:1]
	v_lshlrev_b32_e32 v8, 8, v8
	v_lshl_add_u32 v18, v18, 10, v47
	v_cndmask_b32_e64 v16, v16, v52, s[0:1]
	v_and_or_b32 v8, v8, s28, v18
	v_lshl_or_b32 v8, v16, 7, v8
	v_cvt_f32_f16_e32 v52, v8
.LBB292_556:                            ;   in Loop: Header=BB292_531 Depth=1
	s_or_b64 exec, exec, s[6:7]
	v_lshrrev_b32_e32 v8, 16, v31
	v_cmp_gt_i16_sdwa s[2:3], v8, s15 src0_sel:BYTE_0 src1_sel:DWORD
	s_mov_b64 s[0:1], 0
                                        ; implicit-def: $sgpr8
	s_and_saveexec_b64 s[6:7], s[2:3]
	s_xor_b64 s[2:3], exec, s[6:7]
	s_cbranch_execnz .LBB292_829
; %bb.557:                              ;   in Loop: Header=BB292_531 Depth=1
	s_or_saveexec_b64 s[2:3], s[2:3]
	v_mov_b32_e32 v53, s8
	s_xor_b64 exec, exec, s[2:3]
	s_cbranch_execnz .LBB292_832
.LBB292_558:                            ;   in Loop: Header=BB292_531 Depth=1
	s_or_b64 exec, exec, s[2:3]
	s_and_saveexec_b64 s[2:3], s[0:1]
	s_cbranch_execz .LBB292_560
.LBB292_559:                            ;   in Loop: Header=BB292_531 Depth=1
	v_bfe_u32 v16, v31, 16, 3
	v_ffbh_u32_e32 v23, v16
	v_bfe_u32 v18, v31, 19, 4
	v_min_u32_e32 v23, 32, v23
	v_subrev_u32_e32 v53, 28, v23
	v_sub_u32_e32 v23, 29, v23
	v_cmp_eq_u32_e64 s[0:1], 0, v18
	v_lshlrev_b64 v[54:55], v53, v[8:9]
	v_and_b32_e32 v53, 7, v54
	v_cndmask_b32_e64 v18, v18, v23, s[0:1]
	v_lshlrev_b32_e32 v8, 8, v8
	v_lshl_add_u32 v18, v18, 10, v47
	v_cndmask_b32_e64 v16, v16, v53, s[0:1]
	v_and_or_b32 v8, v8, s28, v18
	v_lshl_or_b32 v8, v16, 7, v8
	v_cvt_f32_f16_e32 v53, v8
.LBB292_560:                            ;   in Loop: Header=BB292_531 Depth=1
	s_or_b64 exec, exec, s[2:3]
	v_lshrrev_b32_e32 v8, 24, v31
	v_cmp_lt_i16_e64 s[0:1], s15, v8
	s_mov_b64 s[2:3], 0
                                        ; implicit-def: $sgpr10
	s_and_saveexec_b64 s[6:7], s[0:1]
	s_xor_b64 s[6:7], exec, s[6:7]
	s_cbranch_execnz .LBB292_833
; %bb.561:                              ;   in Loop: Header=BB292_531 Depth=1
	s_or_saveexec_b64 s[6:7], s[6:7]
	v_mov_b32_e32 v54, s10
	s_xor_b64 exec, exec, s[6:7]
	s_cbranch_execnz .LBB292_836
.LBB292_562:                            ;   in Loop: Header=BB292_531 Depth=1
	s_or_b64 exec, exec, s[6:7]
	s_and_saveexec_b64 s[6:7], s[2:3]
	s_cbranch_execz .LBB292_564
.LBB292_563:                            ;   in Loop: Header=BB292_531 Depth=1
	v_bfe_u32 v16, v31, 24, 3
	v_ffbh_u32_e32 v23, v16
	v_bfe_u32 v18, v31, 27, 4
	v_min_u32_e32 v23, 32, v23
	v_subrev_u32_e32 v31, 28, v23
	v_sub_u32_e32 v23, 29, v23
	v_cmp_eq_u32_e64 s[0:1], 0, v18
	v_lshlrev_b64 v[54:55], v31, v[8:9]
	v_and_b32_e32 v31, 7, v54
	v_cndmask_b32_e64 v18, v18, v23, s[0:1]
	v_lshlrev_b32_e32 v8, 8, v8
	v_lshl_add_u32 v18, v18, 10, v47
	v_cndmask_b32_e64 v16, v16, v31, s[0:1]
	v_and_or_b32 v8, v8, s28, v18
	v_lshl_or_b32 v8, v16, 7, v8
	v_cvt_f32_f16_e32 v54, v8
.LBB292_564:                            ;   in Loop: Header=BB292_531 Depth=1
	s_or_b64 exec, exec, s[6:7]
	v_pk_mul_f32 v[50:51], v[28:29], v[50:51] op_sel_hi:[0,1]
	v_pk_mul_f32 v[48:49], v[28:29], v[48:49] op_sel_hi:[0,1]
	v_cvt_f16_f32_e32 v8, v51
	v_cvt_f16_f32_e32 v16, v50
	v_cvt_f16_f32_e32 v18, v49
	v_cvt_f16_f32_e32 v23, v48
	v_accvgpr_read_b32 v31, a13
	v_pack_b32_f16 v16, v16, v8
	v_add_u32_e32 v56, v40, v31
	v_pack_b32_f16 v18, v23, v18
	v_perm_b32 v8, v18, v16, s30
	v_perm_b32 v31, v18, v16, s31
	v_fma_mixlo_f16 v16, v28, v52, 0
	v_lshlrev_b32_e32 v16, 16, v16
	v_fma_mixlo_f16 v18, v28, v30, 0
	v_accvgpr_read_b32 v48, a12
	v_or_b32_sdwa v30, v16, v18 dst_sel:DWORD dst_unused:UNUSED_PAD src0_sel:DWORD src1_sel:WORD_0
	v_fma_mixlo_f16 v16, v28, v54, 0
	v_cmp_eq_u32_e64 s[0:1], v43, v48
	v_fma_mixlo_f16 v48, v28, v53, 0
	v_lshlrev_b32_e32 v16, 16, v16
	v_or_b32_sdwa v28, v16, v48 dst_sel:DWORD dst_unused:UNUSED_PAD src0_sel:DWORD src1_sel:WORD_0
	s_and_saveexec_b64 s[6:7], s[0:1]
	s_cbranch_execz .LBB292_566
; %bb.565:                              ;   in Loop: Header=BB292_531 Depth=1
	v_add_u32_e32 v16, 1, v56
	v_lshrrev_b32_e32 v18, 16, v31
	v_cmp_lt_i32_e64 s[2:3], v16, v7
	v_accvgpr_read_b32 v50, a8
	v_lshrrev_b32_e32 v23, 16, v8
	v_cndmask_b32_e64 v16, 0, v18, s[2:3]
	v_cmp_lt_i32_e64 s[2:3], v56, v50
	s_nop 1
	v_cndmask_b32_e64 v18, 0, v31, s[2:3]
	v_perm_b32 v31, v16, v18, s34
	v_or_b32_e32 v16, 3, v56
	v_or_b32_e32 v18, 2, v56
	v_cmp_lt_i32_e64 s[2:3], v16, v7
	s_nop 1
	v_cndmask_b32_e64 v16, 0, v23, s[2:3]
	v_cmp_lt_i32_e64 s[2:3], v18, v50
	v_or_b32_e32 v18, 4, v56
	v_lshrrev_b32_e32 v23, 16, v30
	v_cndmask_b32_e64 v8, 0, v8, s[2:3]
	v_perm_b32 v8, v16, v8, s34
	v_or_b32_e32 v16, 5, v56
	v_cmp_lt_i32_e64 s[2:3], v16, v7
	s_nop 1
	v_cndmask_b32_e64 v16, 0, v23, s[2:3]
	v_cmp_lt_i32_e64 s[2:3], v18, v50
	v_lshrrev_b32_e32 v23, 16, v28
	s_nop 0
	v_cndmask_b32_e64 v18, 0, v30, s[2:3]
	v_perm_b32 v30, v16, v18, s34
	v_or_b32_e32 v16, 7, v56
	v_or_b32_e32 v18, 6, v56
	v_cmp_lt_i32_e64 s[2:3], v16, v7
	s_nop 1
	v_cndmask_b32_e64 v16, 0, v23, s[2:3]
	v_cmp_lt_i32_e64 s[2:3], v18, v50
	s_nop 1
	v_cndmask_b32_e64 v18, 0, v48, s[2:3]
	v_perm_b32 v28, v16, v18, s34
.LBB292_566:                            ;   in Loop: Header=BB292_531 Depth=1
	s_or_b64 exec, exec, s[6:7]
	v_and_b32_e32 v4, 0xffff, v4
	v_lshl_or_b32 v60, v5, 16, v4
	v_and_b32_e32 v4, 0xffff, v6
	v_lshl_or_b32 v59, v17, 16, v4
	;; [unrolled: 2-line block ×4, first 2 shown]
	;;#ASMSTART
	v_pk_mul_f16 v4, v60, v31;

	;;#ASMEND
	;;#ASMSTART
	v_pk_mul_f16 v5, v59, v8;

	;;#ASMEND
	;; [unrolled: 4-line block ×4, first 2 shown]
	s_mov_b64 s[2:3], 0
	;;#ASMSTART
	v_pk_add_f16 v4, v4, v5;

	;;#ASMEND
                                        ; implicit-def: $sgpr10
	s_nop 0
	;;#ASMSTART
	v_pk_add_f16 v4, v4, v6;

	;;#ASMEND
	s_nop 0
	;;#ASMSTART
	v_pk_add_f16 v4, v4, v8;

	;;#ASMEND
	s_nop 0
	v_lshrrev_b32_e32 v5, 16, v4
	v_and_b32_e32 v4, 0xffff, v4
	;;#ASMSTART
	v_cvt_f32_f16 v61, v4;
	;;#ASMEND
	;;#ASMSTART
	v_cvt_f32_f16 v62, v5;
	;;#ASMEND
	v_accvgpr_read_b32 v4, a4
	flat_load_dwordx2 v[30:31], v[24:25] offset:512
	v_accvgpr_read_b32 v5, a5
	flat_load_dword v28, v[4:5]
	s_waitcnt vmcnt(0) lgkmcnt(0)
	v_cmp_gt_i16_sdwa s[6:7], v30, s15 src0_sel:BYTE_0 src1_sel:DWORD
	s_and_saveexec_b64 s[8:9], s[6:7]
	s_xor_b64 s[6:7], exec, s[8:9]
	s_cbranch_execnz .LBB292_837
; %bb.567:                              ;   in Loop: Header=BB292_531 Depth=1
	s_or_saveexec_b64 s[6:7], s[6:7]
	v_mov_b32_e32 v48, s10
	s_xor_b64 exec, exec, s[6:7]
	s_cbranch_execnz .LBB292_840
.LBB292_568:                            ;   in Loop: Header=BB292_531 Depth=1
	s_or_b64 exec, exec, s[6:7]
	s_and_saveexec_b64 s[6:7], s[2:3]
	s_cbranch_execz .LBB292_570
.LBB292_569:                            ;   in Loop: Header=BB292_531 Depth=1
	v_and_b32_e32 v4, 7, v30
	v_ffbh_u32_e32 v4, v4
	v_bfe_u32 v5, v30, 3, 4
	v_min_u32_e32 v4, 32, v4
	v_subrev_u32_e32 v6, 28, v4
	v_sub_u32_e32 v4, 29, v4
	v_cmp_eq_u32_e64 s[2:3], 0, v5
	s_nop 1
	v_cndmask_b32_e64 v8, v5, v4, s[2:3]
	v_cndmask_b32_e64 v4, 0, v6, s[2:3]
	v_lshlrev_b64 v[4:5], v4, v[30:31]
	v_lshlrev_b32_e32 v5, 8, v30
	v_lshl_add_u32 v6, v8, 10, v47
	v_lshlrev_b32_e32 v4, 7, v4
	v_and_or_b32 v5, v5, s28, v6
	v_and_or_b32 v4, v4, s29, v5
	v_cvt_f32_f16_e32 v48, v4
.LBB292_570:                            ;   in Loop: Header=BB292_531 Depth=1
	s_or_b64 exec, exec, s[6:7]
	v_lshrrev_b16_e32 v8, 8, v30
	v_cmp_lt_i16_e64 s[2:3], s15, v8
	s_mov_b64 s[6:7], 0
                                        ; implicit-def: $sgpr26
	s_and_saveexec_b64 s[8:9], s[2:3]
	s_xor_b64 s[8:9], exec, s[8:9]
	s_cbranch_execnz .LBB292_841
; %bb.571:                              ;   in Loop: Header=BB292_531 Depth=1
	s_or_saveexec_b64 s[8:9], s[8:9]
	v_mov_b32_e32 v50, s26
	s_xor_b64 exec, exec, s[8:9]
	s_cbranch_execnz .LBB292_844
.LBB292_572:                            ;   in Loop: Header=BB292_531 Depth=1
	s_or_b64 exec, exec, s[8:9]
	s_and_saveexec_b64 s[8:9], s[6:7]
	s_cbranch_execz .LBB292_574
.LBB292_573:                            ;   in Loop: Header=BB292_531 Depth=1
	v_and_b32_e32 v6, 7, v8
	v_ffbh_u32_e32 v4, v6
	v_min_u32_e32 v17, 32, v4
	v_subrev_u32_e32 v4, 28, v17
	v_bfe_u32 v16, v8, 3, 4
	v_lshlrev_b64 v[4:5], v4, v[8:9]
	v_sub_u32_e32 v5, 29, v17
	v_cmp_eq_u32_e64 s[2:3], 0, v16
	v_and_b32_e32 v4, 7, v4
	s_nop 0
	v_cndmask_b32_e64 v5, v16, v5, s[2:3]
	v_cndmask_b32_e64 v4, v6, v4, s[2:3]
	v_lshlrev_b32_e32 v6, 8, v8
	v_lshl_add_u32 v5, v5, 10, v47
	v_and_or_b32 v5, v6, s28, v5
	v_lshl_or_b32 v4, v4, 7, v5
	v_cvt_f32_f16_e32 v50, v4
.LBB292_574:                            ;   in Loop: Header=BB292_531 Depth=1
	s_or_b64 exec, exec, s[8:9]
	v_lshrrev_b32_e32 v8, 16, v30
	v_cmp_gt_i16_sdwa s[6:7], v8, s15 src0_sel:BYTE_0 src1_sel:DWORD
	s_mov_b64 s[2:3], 0
                                        ; implicit-def: $sgpr10
	s_and_saveexec_b64 s[8:9], s[6:7]
	s_xor_b64 s[6:7], exec, s[8:9]
	s_cbranch_execnz .LBB292_845
; %bb.575:                              ;   in Loop: Header=BB292_531 Depth=1
	s_or_saveexec_b64 s[6:7], s[6:7]
	v_mov_b32_e32 v49, s10
	s_xor_b64 exec, exec, s[6:7]
	s_cbranch_execnz .LBB292_848
.LBB292_576:                            ;   in Loop: Header=BB292_531 Depth=1
	s_or_b64 exec, exec, s[6:7]
	s_and_saveexec_b64 s[6:7], s[2:3]
	s_cbranch_execz .LBB292_578
.LBB292_577:                            ;   in Loop: Header=BB292_531 Depth=1
	v_bfe_u32 v6, v30, 16, 3
	v_ffbh_u32_e32 v4, v6
	v_min_u32_e32 v17, 32, v4
	v_subrev_u32_e32 v4, 28, v17
	v_bfe_u32 v16, v30, 19, 4
	v_lshlrev_b64 v[4:5], v4, v[8:9]
	v_sub_u32_e32 v5, 29, v17
	v_cmp_eq_u32_e64 s[2:3], 0, v16
	v_and_b32_e32 v4, 7, v4
	s_nop 0
	v_cndmask_b32_e64 v5, v16, v5, s[2:3]
	v_cndmask_b32_e64 v4, v6, v4, s[2:3]
	v_lshlrev_b32_e32 v6, 8, v8
	v_lshl_add_u32 v5, v5, 10, v47
	v_and_or_b32 v5, v6, s28, v5
	v_lshl_or_b32 v4, v4, 7, v5
	v_cvt_f32_f16_e32 v49, v4
.LBB292_578:                            ;   in Loop: Header=BB292_531 Depth=1
	s_or_b64 exec, exec, s[6:7]
	v_lshrrev_b32_e32 v8, 24, v30
	v_cmp_lt_i16_e64 s[2:3], s15, v8
	s_mov_b64 s[6:7], 0
                                        ; implicit-def: $sgpr26
	s_and_saveexec_b64 s[8:9], s[2:3]
	s_xor_b64 s[8:9], exec, s[8:9]
	s_cbranch_execnz .LBB292_849
; %bb.579:                              ;   in Loop: Header=BB292_531 Depth=1
	s_or_saveexec_b64 s[8:9], s[8:9]
	v_mov_b32_e32 v51, s26
	s_xor_b64 exec, exec, s[8:9]
	s_cbranch_execnz .LBB292_852
.LBB292_580:                            ;   in Loop: Header=BB292_531 Depth=1
	s_or_b64 exec, exec, s[8:9]
	s_and_saveexec_b64 s[8:9], s[6:7]
	s_cbranch_execz .LBB292_582
.LBB292_581:                            ;   in Loop: Header=BB292_531 Depth=1
	v_bfe_u32 v6, v30, 24, 3
	v_ffbh_u32_e32 v4, v6
	v_min_u32_e32 v17, 32, v4
	v_subrev_u32_e32 v4, 28, v17
	v_bfe_u32 v16, v30, 27, 4
	v_lshlrev_b64 v[4:5], v4, v[8:9]
	v_sub_u32_e32 v5, 29, v17
	v_cmp_eq_u32_e64 s[2:3], 0, v16
	v_and_b32_e32 v4, 7, v4
	s_nop 0
	v_cndmask_b32_e64 v5, v16, v5, s[2:3]
	v_cndmask_b32_e64 v4, v6, v4, s[2:3]
	v_lshlrev_b32_e32 v6, 8, v8
	v_lshl_add_u32 v5, v5, 10, v47
	v_and_or_b32 v5, v6, s28, v5
	v_lshl_or_b32 v4, v4, 7, v5
	v_cvt_f32_f16_e32 v51, v4
.LBB292_582:                            ;   in Loop: Header=BB292_531 Depth=1
	s_or_b64 exec, exec, s[8:9]
	v_cmp_gt_i16_sdwa s[6:7], v31, s15 src0_sel:BYTE_0 src1_sel:DWORD
	s_mov_b64 s[2:3], 0
                                        ; implicit-def: $sgpr10
	s_and_saveexec_b64 s[8:9], s[6:7]
	s_xor_b64 s[6:7], exec, s[8:9]
	s_cbranch_execnz .LBB292_853
; %bb.583:                              ;   in Loop: Header=BB292_531 Depth=1
	s_or_saveexec_b64 s[6:7], s[6:7]
	v_mov_b32_e32 v4, s10
	s_xor_b64 exec, exec, s[6:7]
	s_cbranch_execnz .LBB292_856
.LBB292_584:                            ;   in Loop: Header=BB292_531 Depth=1
	s_or_b64 exec, exec, s[6:7]
	v_mov_b32_e32 v8, v31
	s_and_saveexec_b64 s[6:7], s[2:3]
	s_cbranch_execz .LBB292_586
.LBB292_585:                            ;   in Loop: Header=BB292_531 Depth=1
	v_and_b32_e32 v4, 7, v31
	v_ffbh_u32_e32 v4, v4
	v_bfe_u32 v5, v31, 3, 4
	v_min_u32_e32 v4, 32, v4
	v_subrev_u32_e32 v6, 28, v4
	v_sub_u32_e32 v4, 29, v4
	v_cmp_eq_u32_e64 s[2:3], 0, v5
	s_nop 1
	v_cndmask_b32_e64 v16, v5, v4, s[2:3]
	v_cndmask_b32_e64 v4, 0, v6, s[2:3]
	v_lshlrev_b64 v[4:5], v4, v[8:9]
	v_lshlrev_b32_e32 v5, 8, v31
	v_lshl_add_u32 v6, v16, 10, v47
	v_lshlrev_b32_e32 v4, 7, v4
	v_and_or_b32 v5, v5, s28, v6
	v_and_or_b32 v4, v4, s29, v5
	v_cvt_f32_f16_e32 v4, v4
.LBB292_586:                            ;   in Loop: Header=BB292_531 Depth=1
	s_or_b64 exec, exec, s[6:7]
	v_lshrrev_b16_e32 v8, 8, v8
	v_cmp_lt_i16_e64 s[2:3], s15, v8
	s_mov_b64 s[6:7], 0
                                        ; implicit-def: $sgpr26
	s_and_saveexec_b64 s[8:9], s[2:3]
	s_xor_b64 s[8:9], exec, s[8:9]
	s_cbranch_execnz .LBB292_857
; %bb.587:                              ;   in Loop: Header=BB292_531 Depth=1
	s_or_saveexec_b64 s[8:9], s[8:9]
	v_mov_b32_e32 v5, s26
	s_xor_b64 exec, exec, s[8:9]
	s_cbranch_execnz .LBB292_860
.LBB292_588:                            ;   in Loop: Header=BB292_531 Depth=1
	s_or_b64 exec, exec, s[8:9]
	s_and_saveexec_b64 s[8:9], s[6:7]
	s_cbranch_execz .LBB292_590
.LBB292_589:                            ;   in Loop: Header=BB292_531 Depth=1
	v_and_b32_e32 v5, 7, v8
	v_ffbh_u32_e32 v16, v5
	v_bfe_u32 v6, v8, 3, 4
	v_min_u32_e32 v16, 32, v16
	v_subrev_u32_e32 v17, 28, v16
	v_sub_u32_e32 v16, 29, v16
	v_cmp_eq_u32_e64 s[2:3], 0, v6
	v_lshlrev_b64 v[26:27], v17, v[8:9]
	v_and_b32_e32 v17, 7, v26
	v_cndmask_b32_e64 v6, v6, v16, s[2:3]
	v_lshlrev_b32_e32 v8, 8, v8
	v_lshl_add_u32 v6, v6, 10, v47
	v_cndmask_b32_e64 v5, v5, v17, s[2:3]
	v_and_or_b32 v6, v8, s28, v6
	v_lshl_or_b32 v5, v5, 7, v6
	v_cvt_f32_f16_e32 v5, v5
.LBB292_590:                            ;   in Loop: Header=BB292_531 Depth=1
	s_or_b64 exec, exec, s[8:9]
	v_lshrrev_b32_e32 v8, 16, v31
	v_cmp_gt_i16_sdwa s[6:7], v8, s15 src0_sel:BYTE_0 src1_sel:DWORD
	s_mov_b64 s[2:3], 0
                                        ; implicit-def: $sgpr10
	s_and_saveexec_b64 s[8:9], s[6:7]
	s_xor_b64 s[6:7], exec, s[8:9]
	s_cbranch_execnz .LBB292_861
; %bb.591:                              ;   in Loop: Header=BB292_531 Depth=1
	s_or_saveexec_b64 s[6:7], s[6:7]
	v_mov_b32_e32 v6, s10
	s_xor_b64 exec, exec, s[6:7]
	s_cbranch_execnz .LBB292_864
.LBB292_592:                            ;   in Loop: Header=BB292_531 Depth=1
	s_or_b64 exec, exec, s[6:7]
	s_and_saveexec_b64 s[6:7], s[2:3]
	s_cbranch_execz .LBB292_594
.LBB292_593:                            ;   in Loop: Header=BB292_531 Depth=1
	v_bfe_u32 v6, v31, 16, 3
	v_ffbh_u32_e32 v17, v6
	v_bfe_u32 v16, v31, 19, 4
	v_min_u32_e32 v17, 32, v17
	v_subrev_u32_e32 v18, 28, v17
	v_sub_u32_e32 v17, 29, v17
	v_cmp_eq_u32_e64 s[2:3], 0, v16
	v_lshlrev_b64 v[26:27], v18, v[8:9]
	v_and_b32_e32 v18, 7, v26
	v_cndmask_b32_e64 v16, v16, v17, s[2:3]
	v_lshlrev_b32_e32 v8, 8, v8
	v_lshl_add_u32 v16, v16, 10, v47
	v_cndmask_b32_e64 v6, v6, v18, s[2:3]
	v_and_or_b32 v8, v8, s28, v16
	v_lshl_or_b32 v6, v6, 7, v8
	v_cvt_f32_f16_e32 v6, v6
.LBB292_594:                            ;   in Loop: Header=BB292_531 Depth=1
	s_or_b64 exec, exec, s[6:7]
	v_lshrrev_b32_e32 v8, 24, v31
	v_cmp_lt_i16_e64 s[2:3], s15, v8
	s_mov_b64 s[6:7], 0
                                        ; implicit-def: $sgpr26
	s_and_saveexec_b64 s[8:9], s[2:3]
	s_xor_b64 s[8:9], exec, s[8:9]
	s_cbranch_execnz .LBB292_865
; %bb.595:                              ;   in Loop: Header=BB292_531 Depth=1
	s_or_saveexec_b64 s[8:9], s[8:9]
	v_mov_b32_e32 v22, s26
	s_xor_b64 exec, exec, s[8:9]
	s_cbranch_execnz .LBB292_868
.LBB292_596:                            ;   in Loop: Header=BB292_531 Depth=1
	s_or_b64 exec, exec, s[8:9]
	s_and_saveexec_b64 s[8:9], s[6:7]
	s_cbranch_execz .LBB292_598
.LBB292_597:                            ;   in Loop: Header=BB292_531 Depth=1
	v_bfe_u32 v16, v31, 24, 3
	v_ffbh_u32_e32 v18, v16
	v_bfe_u32 v17, v31, 27, 4
	v_min_u32_e32 v18, 32, v18
	v_subrev_u32_e32 v22, 28, v18
	v_sub_u32_e32 v18, 29, v18
	v_cmp_eq_u32_e64 s[2:3], 0, v17
	v_lshlrev_b64 v[26:27], v22, v[8:9]
	v_and_b32_e32 v22, 7, v26
	v_cndmask_b32_e64 v17, v17, v18, s[2:3]
	v_lshlrev_b32_e32 v8, 8, v8
	v_lshl_add_u32 v17, v17, 10, v47
	v_cndmask_b32_e64 v16, v16, v22, s[2:3]
	v_and_or_b32 v8, v8, s28, v17
	v_lshl_or_b32 v8, v16, 7, v8
	v_cvt_f32_f16_e32 v22, v8
.LBB292_598:                            ;   in Loop: Header=BB292_531 Depth=1
	s_or_b64 exec, exec, s[8:9]
	v_pk_mul_f32 v[26:27], v[28:29], v[50:51] op_sel_hi:[0,1]
	v_pk_mul_f32 v[30:31], v[28:29], v[48:49] op_sel_hi:[0,1]
	v_cvt_f16_f32_e32 v8, v27
	v_cvt_f16_f32_e32 v16, v26
	;; [unrolled: 1-line block ×4, first 2 shown]
	v_fma_mixlo_f16 v5, v28, v5, 0
	v_lshlrev_b32_e32 v5, 16, v5
	v_fma_mixlo_f16 v4, v28, v4, 0
	v_or_b32_sdwa v4, v5, v4 dst_sel:DWORD dst_unused:UNUSED_PAD src0_sel:DWORD src1_sel:WORD_0
	v_fma_mixlo_f16 v5, v28, v22, 0
	v_pack_b32_f16 v16, v16, v8
	v_pack_b32_f16 v17, v18, v17
	v_fma_mixlo_f16 v6, v28, v6, 0
	v_lshlrev_b32_e32 v5, 16, v5
	v_perm_b32 v8, v17, v16, s30
	v_perm_b32 v17, v17, v16, s31
	v_or_b32_sdwa v5, v5, v6 dst_sel:DWORD dst_unused:UNUSED_PAD src0_sel:DWORD src1_sel:WORD_0
	s_and_saveexec_b64 s[6:7], s[0:1]
	s_cbranch_execz .LBB292_600
; %bb.599:                              ;   in Loop: Header=BB292_531 Depth=1
	v_add_u32_e32 v16, 1, v56
	v_lshrrev_b32_e32 v18, 16, v17
	v_cmp_lt_i32_e64 s[2:3], v16, v7
	v_accvgpr_read_b32 v26, a8
	v_lshrrev_b32_e32 v22, 16, v8
	v_cndmask_b32_e64 v16, 0, v18, s[2:3]
	v_cmp_lt_i32_e64 s[2:3], v56, v26
	v_or_b32_e32 v18, 2, v56
	v_lshrrev_b32_e32 v5, 16, v5
	v_cndmask_b32_e64 v17, 0, v17, s[2:3]
	v_perm_b32 v17, v16, v17, s34
	v_or_b32_e32 v16, 3, v56
	v_cmp_lt_i32_e64 s[2:3], v16, v7
	s_nop 1
	v_cndmask_b32_e64 v16, 0, v22, s[2:3]
	v_cmp_lt_i32_e64 s[2:3], v18, v26
	v_or_b32_e32 v18, 4, v56
	v_lshrrev_b32_e32 v22, 16, v4
	v_cndmask_b32_e64 v8, 0, v8, s[2:3]
	v_perm_b32 v8, v16, v8, s34
	v_or_b32_e32 v16, 5, v56
	v_cmp_lt_i32_e64 s[2:3], v16, v7
	s_nop 1
	v_cndmask_b32_e64 v16, 0, v22, s[2:3]
	v_cmp_lt_i32_e64 s[2:3], v18, v26
	v_or_b32_e32 v18, 6, v56
	s_nop 0
	v_cndmask_b32_e64 v4, 0, v4, s[2:3]
	v_perm_b32 v4, v16, v4, s34
	v_or_b32_e32 v16, 7, v56
	v_cmp_lt_i32_e64 s[2:3], v16, v7
	s_nop 1
	v_cndmask_b32_e64 v5, 0, v5, s[2:3]
	v_cmp_lt_i32_e64 s[2:3], v18, v26
	s_nop 1
	v_cndmask_b32_e64 v6, 0, v6, s[2:3]
	v_perm_b32 v5, v5, v6, s34
.LBB292_600:                            ;   in Loop: Header=BB292_531 Depth=1
	s_or_b64 exec, exec, s[6:7]
	;;#ASMSTART
	v_pk_mul_f16 v6, v60, v17;

	;;#ASMEND
	;;#ASMSTART
	v_pk_mul_f16 v8, v59, v8;

	;;#ASMEND
	;; [unrolled: 4-line block ×4, first 2 shown]
	v_accvgpr_read_b32 v17, a5
	;;#ASMSTART
	v_pk_add_f16 v6, v6, v8;

	;;#ASMEND
	v_accvgpr_read_b32 v16, a4
	;;#ASMSTART
	v_pk_add_f16 v4, v6, v4;

	;;#ASMEND
	s_mov_b64 s[2:3], 0
	;;#ASMSTART
	v_pk_add_f16 v4, v4, v5;

	;;#ASMEND
                                        ; implicit-def: $sgpr10
	s_nop 0
	v_lshrrev_b32_e32 v5, 16, v4
	v_and_b32_e32 v4, 0xffff, v4
	;;#ASMSTART
	v_cvt_f32_f16 v4, v4;
	;;#ASMEND
	;;#ASMSTART
	v_cvt_f32_f16 v5, v5;
	;;#ASMEND
	flat_load_dwordx2 v[30:31], v[24:25] offset:1024
	flat_load_dword v28, v[16:17]
	s_waitcnt vmcnt(0) lgkmcnt(0)
	v_cmp_gt_i16_sdwa s[6:7], v30, s15 src0_sel:BYTE_0 src1_sel:DWORD
	s_and_saveexec_b64 s[8:9], s[6:7]
	s_xor_b64 s[6:7], exec, s[8:9]
	s_cbranch_execnz .LBB292_869
; %bb.601:                              ;   in Loop: Header=BB292_531 Depth=1
	s_or_saveexec_b64 s[6:7], s[6:7]
	v_mov_b32_e32 v48, s10
	s_xor_b64 exec, exec, s[6:7]
	s_cbranch_execnz .LBB292_872
.LBB292_602:                            ;   in Loop: Header=BB292_531 Depth=1
	s_or_b64 exec, exec, s[6:7]
	s_and_saveexec_b64 s[6:7], s[2:3]
	s_cbranch_execz .LBB292_604
.LBB292_603:                            ;   in Loop: Header=BB292_531 Depth=1
	v_and_b32_e32 v6, 7, v30
	v_ffbh_u32_e32 v6, v6
	v_bfe_u32 v8, v30, 3, 4
	v_min_u32_e32 v6, 32, v6
	v_subrev_u32_e32 v16, 28, v6
	v_sub_u32_e32 v6, 29, v6
	v_cmp_eq_u32_e64 s[2:3], 0, v8
	s_nop 1
	v_cndmask_b32_e64 v6, v8, v6, s[2:3]
	v_cndmask_b32_e64 v8, 0, v16, s[2:3]
	v_lshlrev_b64 v[26:27], v8, v[30:31]
	v_lshlrev_b32_e32 v16, 8, v30
	v_lshl_add_u32 v6, v6, 10, v47
	v_lshlrev_b32_e32 v8, 7, v26
	v_and_or_b32 v6, v16, s28, v6
	v_and_or_b32 v6, v8, s29, v6
	v_cvt_f32_f16_e32 v48, v6
.LBB292_604:                            ;   in Loop: Header=BB292_531 Depth=1
	s_or_b64 exec, exec, s[6:7]
	v_lshrrev_b16_e32 v8, 8, v30
	v_cmp_lt_i16_e64 s[2:3], s15, v8
	s_mov_b64 s[6:7], 0
                                        ; implicit-def: $sgpr26
	s_and_saveexec_b64 s[8:9], s[2:3]
	s_xor_b64 s[8:9], exec, s[8:9]
	s_cbranch_execnz .LBB292_873
; %bb.605:                              ;   in Loop: Header=BB292_531 Depth=1
	s_or_saveexec_b64 s[8:9], s[8:9]
	v_mov_b32_e32 v50, s26
	s_xor_b64 exec, exec, s[8:9]
	s_cbranch_execnz .LBB292_876
.LBB292_606:                            ;   in Loop: Header=BB292_531 Depth=1
	s_or_b64 exec, exec, s[8:9]
	s_and_saveexec_b64 s[8:9], s[6:7]
	s_cbranch_execz .LBB292_608
.LBB292_607:                            ;   in Loop: Header=BB292_531 Depth=1
	v_and_b32_e32 v6, 7, v8
	v_ffbh_u32_e32 v17, v6
	v_bfe_u32 v16, v8, 3, 4
	v_min_u32_e32 v17, 32, v17
	v_subrev_u32_e32 v18, 28, v17
	v_sub_u32_e32 v17, 29, v17
	v_cmp_eq_u32_e64 s[2:3], 0, v16
	v_lshlrev_b64 v[26:27], v18, v[8:9]
	v_and_b32_e32 v18, 7, v26
	v_cndmask_b32_e64 v16, v16, v17, s[2:3]
	v_lshlrev_b32_e32 v8, 8, v8
	v_lshl_add_u32 v16, v16, 10, v47
	v_cndmask_b32_e64 v6, v6, v18, s[2:3]
	v_and_or_b32 v8, v8, s28, v16
	v_lshl_or_b32 v6, v6, 7, v8
	v_cvt_f32_f16_e32 v50, v6
.LBB292_608:                            ;   in Loop: Header=BB292_531 Depth=1
	s_or_b64 exec, exec, s[8:9]
	v_lshrrev_b32_e32 v8, 16, v30
	v_cmp_gt_i16_sdwa s[6:7], v8, s15 src0_sel:BYTE_0 src1_sel:DWORD
	s_mov_b64 s[2:3], 0
                                        ; implicit-def: $sgpr10
	s_and_saveexec_b64 s[8:9], s[6:7]
	s_xor_b64 s[6:7], exec, s[8:9]
	s_cbranch_execnz .LBB292_877
; %bb.609:                              ;   in Loop: Header=BB292_531 Depth=1
	s_or_saveexec_b64 s[6:7], s[6:7]
	v_mov_b32_e32 v49, s10
	s_xor_b64 exec, exec, s[6:7]
	s_cbranch_execnz .LBB292_880
.LBB292_610:                            ;   in Loop: Header=BB292_531 Depth=1
	s_or_b64 exec, exec, s[6:7]
	s_and_saveexec_b64 s[6:7], s[2:3]
	s_cbranch_execz .LBB292_612
.LBB292_611:                            ;   in Loop: Header=BB292_531 Depth=1
	v_bfe_u32 v6, v30, 16, 3
	v_ffbh_u32_e32 v17, v6
	v_bfe_u32 v16, v30, 19, 4
	v_min_u32_e32 v17, 32, v17
	v_subrev_u32_e32 v18, 28, v17
	v_sub_u32_e32 v17, 29, v17
	v_cmp_eq_u32_e64 s[2:3], 0, v16
	v_lshlrev_b64 v[26:27], v18, v[8:9]
	v_and_b32_e32 v18, 7, v26
	v_cndmask_b32_e64 v16, v16, v17, s[2:3]
	v_lshlrev_b32_e32 v8, 8, v8
	v_lshl_add_u32 v16, v16, 10, v47
	v_cndmask_b32_e64 v6, v6, v18, s[2:3]
	v_and_or_b32 v8, v8, s28, v16
	v_lshl_or_b32 v6, v6, 7, v8
	v_cvt_f32_f16_e32 v49, v6
.LBB292_612:                            ;   in Loop: Header=BB292_531 Depth=1
	s_or_b64 exec, exec, s[6:7]
	v_lshrrev_b32_e32 v8, 24, v30
	v_cmp_lt_i16_e64 s[2:3], s15, v8
	s_mov_b64 s[6:7], 0
                                        ; implicit-def: $sgpr26
	s_and_saveexec_b64 s[8:9], s[2:3]
	s_xor_b64 s[8:9], exec, s[8:9]
	s_cbranch_execnz .LBB292_881
; %bb.613:                              ;   in Loop: Header=BB292_531 Depth=1
	s_or_saveexec_b64 s[8:9], s[8:9]
	v_mov_b32_e32 v51, s26
	s_xor_b64 exec, exec, s[8:9]
	s_cbranch_execnz .LBB292_884
.LBB292_614:                            ;   in Loop: Header=BB292_531 Depth=1
	s_or_b64 exec, exec, s[8:9]
	s_and_saveexec_b64 s[8:9], s[6:7]
	s_cbranch_execz .LBB292_616
.LBB292_615:                            ;   in Loop: Header=BB292_531 Depth=1
	v_bfe_u32 v6, v30, 24, 3
	v_ffbh_u32_e32 v17, v6
	v_bfe_u32 v16, v30, 27, 4
	v_min_u32_e32 v17, 32, v17
	v_subrev_u32_e32 v18, 28, v17
	v_sub_u32_e32 v17, 29, v17
	v_cmp_eq_u32_e64 s[2:3], 0, v16
	v_lshlrev_b64 v[26:27], v18, v[8:9]
	v_and_b32_e32 v18, 7, v26
	v_cndmask_b32_e64 v16, v16, v17, s[2:3]
	v_lshlrev_b32_e32 v8, 8, v8
	v_lshl_add_u32 v16, v16, 10, v47
	v_cndmask_b32_e64 v6, v6, v18, s[2:3]
	v_and_or_b32 v8, v8, s28, v16
	v_lshl_or_b32 v6, v6, 7, v8
	v_cvt_f32_f16_e32 v51, v6
.LBB292_616:                            ;   in Loop: Header=BB292_531 Depth=1
	s_or_b64 exec, exec, s[8:9]
	v_cmp_gt_i16_sdwa s[6:7], v31, s15 src0_sel:BYTE_0 src1_sel:DWORD
	s_mov_b64 s[2:3], 0
                                        ; implicit-def: $sgpr10
	s_and_saveexec_b64 s[8:9], s[6:7]
	s_xor_b64 s[6:7], exec, s[8:9]
	s_cbranch_execnz .LBB292_885
; %bb.617:                              ;   in Loop: Header=BB292_531 Depth=1
	s_or_saveexec_b64 s[6:7], s[6:7]
	v_mov_b32_e32 v6, s10
	s_xor_b64 exec, exec, s[6:7]
	s_cbranch_execnz .LBB292_888
.LBB292_618:                            ;   in Loop: Header=BB292_531 Depth=1
	s_or_b64 exec, exec, s[6:7]
	v_mov_b32_e32 v8, v31
	s_and_saveexec_b64 s[6:7], s[2:3]
	s_cbranch_execz .LBB292_620
.LBB292_619:                            ;   in Loop: Header=BB292_531 Depth=1
	v_and_b32_e32 v6, 7, v31
	v_ffbh_u32_e32 v6, v6
	v_bfe_u32 v16, v31, 3, 4
	v_min_u32_e32 v6, 32, v6
	v_subrev_u32_e32 v17, 28, v6
	v_sub_u32_e32 v6, 29, v6
	v_cmp_eq_u32_e64 s[2:3], 0, v16
	s_nop 1
	v_cndmask_b32_e64 v6, v16, v6, s[2:3]
	v_cndmask_b32_e64 v16, 0, v17, s[2:3]
	v_lshlrev_b64 v[26:27], v16, v[8:9]
	v_lshlrev_b32_e32 v17, 8, v31
	v_lshl_add_u32 v6, v6, 10, v47
	v_lshlrev_b32_e32 v16, 7, v26
	v_and_or_b32 v6, v17, s28, v6
	v_and_or_b32 v6, v16, s29, v6
	v_cvt_f32_f16_e32 v6, v6
.LBB292_620:                            ;   in Loop: Header=BB292_531 Depth=1
	s_or_b64 exec, exec, s[6:7]
	v_lshrrev_b16_e32 v8, 8, v8
	v_cmp_lt_i16_e64 s[2:3], s15, v8
	s_mov_b64 s[6:7], 0
                                        ; implicit-def: $sgpr26
	s_and_saveexec_b64 s[8:9], s[2:3]
	s_xor_b64 s[8:9], exec, s[8:9]
	s_cbranch_execnz .LBB292_889
; %bb.621:                              ;   in Loop: Header=BB292_531 Depth=1
	s_or_saveexec_b64 s[8:9], s[8:9]
	v_mov_b32_e32 v17, s26
	s_xor_b64 exec, exec, s[8:9]
	s_cbranch_execnz .LBB292_892
.LBB292_622:                            ;   in Loop: Header=BB292_531 Depth=1
	s_or_b64 exec, exec, s[8:9]
	s_and_saveexec_b64 s[8:9], s[6:7]
	s_cbranch_execz .LBB292_624
.LBB292_623:                            ;   in Loop: Header=BB292_531 Depth=1
	v_and_b32_e32 v16, 7, v8
	v_ffbh_u32_e32 v18, v16
	v_bfe_u32 v17, v8, 3, 4
	v_min_u32_e32 v18, 32, v18
	v_subrev_u32_e32 v22, 28, v18
	v_sub_u32_e32 v18, 29, v18
	v_cmp_eq_u32_e64 s[2:3], 0, v17
	v_lshlrev_b64 v[26:27], v22, v[8:9]
	v_and_b32_e32 v22, 7, v26
	v_cndmask_b32_e64 v17, v17, v18, s[2:3]
	v_lshlrev_b32_e32 v8, 8, v8
	v_lshl_add_u32 v17, v17, 10, v47
	v_cndmask_b32_e64 v16, v16, v22, s[2:3]
	v_and_or_b32 v8, v8, s28, v17
	v_lshl_or_b32 v8, v16, 7, v8
	v_cvt_f32_f16_e32 v17, v8
.LBB292_624:                            ;   in Loop: Header=BB292_531 Depth=1
	s_or_b64 exec, exec, s[8:9]
	v_lshrrev_b32_e32 v8, 16, v31
	v_cmp_gt_i16_sdwa s[6:7], v8, s15 src0_sel:BYTE_0 src1_sel:DWORD
	s_mov_b64 s[2:3], 0
                                        ; implicit-def: $sgpr10
	s_and_saveexec_b64 s[8:9], s[6:7]
	s_xor_b64 s[6:7], exec, s[8:9]
	s_cbranch_execnz .LBB292_893
; %bb.625:                              ;   in Loop: Header=BB292_531 Depth=1
	s_or_saveexec_b64 s[6:7], s[6:7]
	v_mov_b32_e32 v22, s10
	s_xor_b64 exec, exec, s[6:7]
	s_cbranch_execnz .LBB292_896
.LBB292_626:                            ;   in Loop: Header=BB292_531 Depth=1
	s_or_b64 exec, exec, s[6:7]
	s_and_saveexec_b64 s[6:7], s[2:3]
	s_cbranch_execz .LBB292_628
.LBB292_627:                            ;   in Loop: Header=BB292_531 Depth=1
	v_bfe_u32 v16, v31, 16, 3
	v_ffbh_u32_e32 v22, v16
	v_bfe_u32 v18, v31, 19, 4
	v_min_u32_e32 v22, 32, v22
	v_subrev_u32_e32 v23, 28, v22
	v_sub_u32_e32 v22, 29, v22
	v_cmp_eq_u32_e64 s[2:3], 0, v18
	v_lshlrev_b64 v[26:27], v23, v[8:9]
	v_and_b32_e32 v23, 7, v26
	v_cndmask_b32_e64 v18, v18, v22, s[2:3]
	v_lshlrev_b32_e32 v8, 8, v8
	v_lshl_add_u32 v18, v18, 10, v47
	v_cndmask_b32_e64 v16, v16, v23, s[2:3]
	v_and_or_b32 v8, v8, s28, v18
	v_lshl_or_b32 v8, v16, 7, v8
	v_cvt_f32_f16_e32 v22, v8
.LBB292_628:                            ;   in Loop: Header=BB292_531 Depth=1
	s_or_b64 exec, exec, s[6:7]
	v_lshrrev_b32_e32 v8, 24, v31
	v_cmp_lt_i16_e64 s[2:3], s15, v8
	s_mov_b64 s[6:7], 0
                                        ; implicit-def: $sgpr26
	s_and_saveexec_b64 s[8:9], s[2:3]
	s_xor_b64 s[8:9], exec, s[8:9]
	s_cbranch_execnz .LBB292_897
; %bb.629:                              ;   in Loop: Header=BB292_531 Depth=1
	s_or_saveexec_b64 s[8:9], s[8:9]
	v_mov_b32_e32 v27, s26
	s_xor_b64 exec, exec, s[8:9]
	s_cbranch_execnz .LBB292_900
.LBB292_630:                            ;   in Loop: Header=BB292_531 Depth=1
	s_or_b64 exec, exec, s[8:9]
	s_and_saveexec_b64 s[8:9], s[6:7]
	s_cbranch_execz .LBB292_632
.LBB292_631:                            ;   in Loop: Header=BB292_531 Depth=1
	v_bfe_u32 v16, v31, 24, 3
	v_ffbh_u32_e32 v23, v16
	v_bfe_u32 v18, v31, 27, 4
	v_min_u32_e32 v23, 32, v23
	v_subrev_u32_e32 v26, 28, v23
	v_sub_u32_e32 v23, 29, v23
	v_cmp_eq_u32_e64 s[2:3], 0, v18
	v_lshlrev_b64 v[26:27], v26, v[8:9]
	v_and_b32_e32 v26, 7, v26
	v_cndmask_b32_e64 v18, v18, v23, s[2:3]
	v_lshlrev_b32_e32 v8, 8, v8
	v_lshl_add_u32 v18, v18, 10, v47
	v_cndmask_b32_e64 v16, v16, v26, s[2:3]
	v_and_or_b32 v8, v8, s28, v18
	v_lshl_or_b32 v8, v16, 7, v8
	v_cvt_f32_f16_e32 v27, v8
.LBB292_632:                            ;   in Loop: Header=BB292_531 Depth=1
	s_or_b64 exec, exec, s[8:9]
	v_pk_mul_f32 v[30:31], v[28:29], v[50:51] op_sel_hi:[0,1]
	v_pk_mul_f32 v[48:49], v[28:29], v[48:49] op_sel_hi:[0,1]
	v_cvt_f16_f32_e32 v8, v31
	v_cvt_f16_f32_e32 v16, v30
	;; [unrolled: 1-line block ×4, first 2 shown]
	v_fma_mixlo_f16 v6, v28, v6, 0
	v_pack_b32_f16 v16, v16, v8
	v_fma_mixlo_f16 v22, v28, v22, 0
	v_pack_b32_f16 v18, v23, v18
	v_perm_b32 v8, v18, v16, s30
	v_perm_b32 v26, v18, v16, s31
	v_fma_mixlo_f16 v16, v28, v17, 0
	v_lshlrev_b32_e32 v16, 16, v16
	v_or_b32_sdwa v6, v16, v6 dst_sel:DWORD dst_unused:UNUSED_PAD src0_sel:DWORD src1_sel:WORD_0
	v_fma_mixlo_f16 v16, v28, v27, 0
	v_lshlrev_b32_e32 v16, 16, v16
	v_or_b32_sdwa v17, v16, v22 dst_sel:DWORD dst_unused:UNUSED_PAD src0_sel:DWORD src1_sel:WORD_0
	s_and_saveexec_b64 s[6:7], s[0:1]
	s_cbranch_execz .LBB292_634
; %bb.633:                              ;   in Loop: Header=BB292_531 Depth=1
	v_add_u32_e32 v16, 1, v56
	v_lshrrev_b32_e32 v18, 16, v26
	v_cmp_lt_i32_e64 s[2:3], v16, v7
	v_accvgpr_read_b32 v28, a8
	v_lshrrev_b32_e32 v23, 16, v8
	v_cndmask_b32_e64 v16, 0, v18, s[2:3]
	v_cmp_lt_i32_e64 s[2:3], v56, v28
	v_lshrrev_b32_e32 v17, 16, v17
	s_nop 0
	v_cndmask_b32_e64 v18, 0, v26, s[2:3]
	v_perm_b32 v26, v16, v18, s34
	v_or_b32_e32 v16, 3, v56
	v_or_b32_e32 v18, 2, v56
	v_cmp_lt_i32_e64 s[2:3], v16, v7
	s_nop 1
	v_cndmask_b32_e64 v16, 0, v23, s[2:3]
	v_cmp_lt_i32_e64 s[2:3], v18, v28
	v_or_b32_e32 v18, 4, v56
	v_lshrrev_b32_e32 v23, 16, v6
	v_cndmask_b32_e64 v8, 0, v8, s[2:3]
	v_perm_b32 v8, v16, v8, s34
	v_or_b32_e32 v16, 5, v56
	v_cmp_lt_i32_e64 s[2:3], v16, v7
	s_nop 1
	v_cndmask_b32_e64 v16, 0, v23, s[2:3]
	v_cmp_lt_i32_e64 s[2:3], v18, v28
	v_or_b32_e32 v18, 6, v56
	s_nop 0
	v_cndmask_b32_e64 v6, 0, v6, s[2:3]
	v_perm_b32 v6, v16, v6, s34
	v_or_b32_e32 v16, 7, v56
	v_cmp_lt_i32_e64 s[2:3], v16, v7
	s_nop 1
	v_cndmask_b32_e64 v16, 0, v17, s[2:3]
	v_cmp_lt_i32_e64 s[2:3], v18, v28
	s_nop 1
	v_cndmask_b32_e64 v17, 0, v22, s[2:3]
	v_perm_b32 v17, v16, v17, s34
.LBB292_634:                            ;   in Loop: Header=BB292_531 Depth=1
	s_or_b64 exec, exec, s[6:7]
	;;#ASMSTART
	v_pk_mul_f16 v16, v60, v26;

	;;#ASMEND
	;;#ASMSTART
	v_pk_mul_f16 v8, v59, v8;

	;;#ASMEND
	;; [unrolled: 4-line block ×4, first 2 shown]
	v_accvgpr_read_b32 v23, a5
	;;#ASMSTART
	v_pk_add_f16 v8, v16, v8;

	;;#ASMEND
	v_accvgpr_read_b32 v22, a4
	;;#ASMSTART
	v_pk_add_f16 v6, v8, v6;

	;;#ASMEND
	s_mov_b64 s[2:3], 0
	;;#ASMSTART
	v_pk_add_f16 v6, v6, v17;

	;;#ASMEND
                                        ; implicit-def: $sgpr10
	s_nop 0
	v_lshrrev_b32_e32 v8, 16, v6
	v_and_b32_e32 v6, 0xffff, v6
	;;#ASMSTART
	v_cvt_f32_f16 v17, v6;
	;;#ASMEND
	;;#ASMSTART
	v_cvt_f32_f16 v42, v8;
	;;#ASMEND
	flat_load_dwordx2 v[30:31], v[24:25] offset:1536
	flat_load_dword v28, v[22:23]
	s_waitcnt vmcnt(0) lgkmcnt(0)
	v_cmp_gt_i16_sdwa s[6:7], v30, s15 src0_sel:BYTE_0 src1_sel:DWORD
	s_and_saveexec_b64 s[8:9], s[6:7]
	s_xor_b64 s[6:7], exec, s[8:9]
	s_cbranch_execnz .LBB292_901
; %bb.635:                              ;   in Loop: Header=BB292_531 Depth=1
	s_or_saveexec_b64 s[6:7], s[6:7]
	v_mov_b32_e32 v48, s10
	s_xor_b64 exec, exec, s[6:7]
	s_cbranch_execnz .LBB292_904
.LBB292_636:                            ;   in Loop: Header=BB292_531 Depth=1
	s_or_b64 exec, exec, s[6:7]
	s_and_saveexec_b64 s[6:7], s[2:3]
	s_cbranch_execz .LBB292_638
.LBB292_637:                            ;   in Loop: Header=BB292_531 Depth=1
	v_and_b32_e32 v6, 7, v30
	v_ffbh_u32_e32 v6, v6
	v_bfe_u32 v8, v30, 3, 4
	v_min_u32_e32 v6, 32, v6
	v_subrev_u32_e32 v16, 28, v6
	v_sub_u32_e32 v6, 29, v6
	v_cmp_eq_u32_e64 s[2:3], 0, v8
	s_nop 1
	v_cndmask_b32_e64 v6, v8, v6, s[2:3]
	v_cndmask_b32_e64 v8, 0, v16, s[2:3]
	v_lshlrev_b64 v[26:27], v8, v[30:31]
	v_lshlrev_b32_e32 v16, 8, v30
	v_lshl_add_u32 v6, v6, 10, v47
	v_lshlrev_b32_e32 v8, 7, v26
	v_and_or_b32 v6, v16, s28, v6
	v_and_or_b32 v6, v8, s29, v6
	v_cvt_f32_f16_e32 v48, v6
.LBB292_638:                            ;   in Loop: Header=BB292_531 Depth=1
	s_or_b64 exec, exec, s[6:7]
	v_lshrrev_b16_e32 v8, 8, v30
	v_cmp_lt_i16_e64 s[2:3], s15, v8
	s_mov_b64 s[6:7], 0
                                        ; implicit-def: $sgpr26
	s_and_saveexec_b64 s[8:9], s[2:3]
	s_xor_b64 s[8:9], exec, s[8:9]
	s_cbranch_execnz .LBB292_905
; %bb.639:                              ;   in Loop: Header=BB292_531 Depth=1
	s_or_saveexec_b64 s[8:9], s[8:9]
	v_mov_b32_e32 v50, s26
	s_xor_b64 exec, exec, s[8:9]
	s_cbranch_execnz .LBB292_908
.LBB292_640:                            ;   in Loop: Header=BB292_531 Depth=1
	s_or_b64 exec, exec, s[8:9]
	s_and_saveexec_b64 s[8:9], s[6:7]
	s_cbranch_execz .LBB292_642
.LBB292_641:                            ;   in Loop: Header=BB292_531 Depth=1
	v_and_b32_e32 v6, 7, v8
	v_ffbh_u32_e32 v18, v6
	v_bfe_u32 v16, v8, 3, 4
	v_min_u32_e32 v18, 32, v18
	v_subrev_u32_e32 v22, 28, v18
	v_sub_u32_e32 v18, 29, v18
	v_cmp_eq_u32_e64 s[2:3], 0, v16
	v_lshlrev_b64 v[26:27], v22, v[8:9]
	v_and_b32_e32 v22, 7, v26
	v_cndmask_b32_e64 v16, v16, v18, s[2:3]
	v_lshlrev_b32_e32 v8, 8, v8
	v_lshl_add_u32 v16, v16, 10, v47
	v_cndmask_b32_e64 v6, v6, v22, s[2:3]
	v_and_or_b32 v8, v8, s28, v16
	v_lshl_or_b32 v6, v6, 7, v8
	v_cvt_f32_f16_e32 v50, v6
.LBB292_642:                            ;   in Loop: Header=BB292_531 Depth=1
	s_or_b64 exec, exec, s[8:9]
	v_lshrrev_b32_e32 v8, 16, v30
	v_cmp_gt_i16_sdwa s[6:7], v8, s15 src0_sel:BYTE_0 src1_sel:DWORD
	s_mov_b64 s[2:3], 0
                                        ; implicit-def: $sgpr10
	s_and_saveexec_b64 s[8:9], s[6:7]
	s_xor_b64 s[6:7], exec, s[8:9]
	s_cbranch_execnz .LBB292_909
; %bb.643:                              ;   in Loop: Header=BB292_531 Depth=1
	s_or_saveexec_b64 s[6:7], s[6:7]
	v_mov_b32_e32 v49, s10
	s_xor_b64 exec, exec, s[6:7]
	s_cbranch_execnz .LBB292_912
.LBB292_644:                            ;   in Loop: Header=BB292_531 Depth=1
	s_or_b64 exec, exec, s[6:7]
	s_and_saveexec_b64 s[6:7], s[2:3]
	s_cbranch_execz .LBB292_646
.LBB292_645:                            ;   in Loop: Header=BB292_531 Depth=1
	v_bfe_u32 v6, v30, 16, 3
	v_ffbh_u32_e32 v18, v6
	v_bfe_u32 v16, v30, 19, 4
	v_min_u32_e32 v18, 32, v18
	v_subrev_u32_e32 v22, 28, v18
	v_sub_u32_e32 v18, 29, v18
	v_cmp_eq_u32_e64 s[2:3], 0, v16
	v_lshlrev_b64 v[26:27], v22, v[8:9]
	v_and_b32_e32 v22, 7, v26
	v_cndmask_b32_e64 v16, v16, v18, s[2:3]
	v_lshlrev_b32_e32 v8, 8, v8
	v_lshl_add_u32 v16, v16, 10, v47
	v_cndmask_b32_e64 v6, v6, v22, s[2:3]
	v_and_or_b32 v8, v8, s28, v16
	v_lshl_or_b32 v6, v6, 7, v8
	v_cvt_f32_f16_e32 v49, v6
.LBB292_646:                            ;   in Loop: Header=BB292_531 Depth=1
	s_or_b64 exec, exec, s[6:7]
	v_lshrrev_b32_e32 v8, 24, v30
	v_cmp_lt_i16_e64 s[2:3], s15, v8
	s_mov_b64 s[6:7], 0
                                        ; implicit-def: $sgpr26
	s_and_saveexec_b64 s[8:9], s[2:3]
	s_xor_b64 s[8:9], exec, s[8:9]
	s_cbranch_execnz .LBB292_913
; %bb.647:                              ;   in Loop: Header=BB292_531 Depth=1
	s_or_saveexec_b64 s[8:9], s[8:9]
	v_mov_b32_e32 v51, s26
	s_xor_b64 exec, exec, s[8:9]
	s_cbranch_execnz .LBB292_916
.LBB292_648:                            ;   in Loop: Header=BB292_531 Depth=1
	s_or_b64 exec, exec, s[8:9]
	s_and_saveexec_b64 s[8:9], s[6:7]
	s_cbranch_execz .LBB292_650
.LBB292_649:                            ;   in Loop: Header=BB292_531 Depth=1
	v_bfe_u32 v6, v30, 24, 3
	v_ffbh_u32_e32 v18, v6
	v_bfe_u32 v16, v30, 27, 4
	v_min_u32_e32 v18, 32, v18
	v_subrev_u32_e32 v22, 28, v18
	v_sub_u32_e32 v18, 29, v18
	v_cmp_eq_u32_e64 s[2:3], 0, v16
	v_lshlrev_b64 v[26:27], v22, v[8:9]
	v_and_b32_e32 v22, 7, v26
	v_cndmask_b32_e64 v16, v16, v18, s[2:3]
	v_lshlrev_b32_e32 v8, 8, v8
	v_lshl_add_u32 v16, v16, 10, v47
	v_cndmask_b32_e64 v6, v6, v22, s[2:3]
	v_and_or_b32 v8, v8, s28, v16
	v_lshl_or_b32 v6, v6, 7, v8
	v_cvt_f32_f16_e32 v51, v6
.LBB292_650:                            ;   in Loop: Header=BB292_531 Depth=1
	s_or_b64 exec, exec, s[8:9]
	v_cmp_gt_i16_sdwa s[6:7], v31, s15 src0_sel:BYTE_0 src1_sel:DWORD
	s_mov_b64 s[2:3], 0
                                        ; implicit-def: $sgpr10
	s_and_saveexec_b64 s[8:9], s[6:7]
	s_xor_b64 s[6:7], exec, s[8:9]
	s_cbranch_execnz .LBB292_917
; %bb.651:                              ;   in Loop: Header=BB292_531 Depth=1
	s_or_saveexec_b64 s[6:7], s[6:7]
	v_mov_b32_e32 v6, s10
	s_xor_b64 exec, exec, s[6:7]
	s_cbranch_execnz .LBB292_920
.LBB292_652:                            ;   in Loop: Header=BB292_531 Depth=1
	s_or_b64 exec, exec, s[6:7]
	v_mov_b32_e32 v8, v31
	s_and_saveexec_b64 s[6:7], s[2:3]
	s_cbranch_execz .LBB292_654
.LBB292_653:                            ;   in Loop: Header=BB292_531 Depth=1
	v_and_b32_e32 v6, 7, v31
	v_ffbh_u32_e32 v6, v6
	v_bfe_u32 v16, v31, 3, 4
	v_min_u32_e32 v6, 32, v6
	v_subrev_u32_e32 v18, 28, v6
	v_sub_u32_e32 v6, 29, v6
	v_cmp_eq_u32_e64 s[2:3], 0, v16
	s_nop 1
	v_cndmask_b32_e64 v6, v16, v6, s[2:3]
	v_cndmask_b32_e64 v16, 0, v18, s[2:3]
	v_lshlrev_b64 v[26:27], v16, v[8:9]
	v_lshlrev_b32_e32 v18, 8, v31
	v_lshl_add_u32 v6, v6, 10, v47
	v_lshlrev_b32_e32 v16, 7, v26
	v_and_or_b32 v6, v18, s28, v6
	v_and_or_b32 v6, v16, s29, v6
	v_cvt_f32_f16_e32 v6, v6
.LBB292_654:                            ;   in Loop: Header=BB292_531 Depth=1
	s_or_b64 exec, exec, s[6:7]
	v_lshrrev_b16_e32 v8, 8, v8
	v_cmp_lt_i16_e64 s[2:3], s15, v8
	s_mov_b64 s[6:7], 0
                                        ; implicit-def: $sgpr26
	s_and_saveexec_b64 s[8:9], s[2:3]
	s_xor_b64 s[8:9], exec, s[8:9]
	s_cbranch_execnz .LBB292_921
; %bb.655:                              ;   in Loop: Header=BB292_531 Depth=1
	s_or_saveexec_b64 s[8:9], s[8:9]
	v_mov_b32_e32 v22, s26
	s_xor_b64 exec, exec, s[8:9]
	s_cbranch_execnz .LBB292_924
.LBB292_656:                            ;   in Loop: Header=BB292_531 Depth=1
	s_or_b64 exec, exec, s[8:9]
	s_and_saveexec_b64 s[8:9], s[6:7]
	s_cbranch_execz .LBB292_658
.LBB292_657:                            ;   in Loop: Header=BB292_531 Depth=1
	v_and_b32_e32 v16, 7, v8
	v_ffbh_u32_e32 v22, v16
	v_bfe_u32 v18, v8, 3, 4
	v_min_u32_e32 v22, 32, v22
	v_subrev_u32_e32 v23, 28, v22
	v_sub_u32_e32 v22, 29, v22
	v_cmp_eq_u32_e64 s[2:3], 0, v18
	v_lshlrev_b64 v[26:27], v23, v[8:9]
	v_and_b32_e32 v23, 7, v26
	v_cndmask_b32_e64 v18, v18, v22, s[2:3]
	v_lshlrev_b32_e32 v8, 8, v8
	v_lshl_add_u32 v18, v18, 10, v47
	v_cndmask_b32_e64 v16, v16, v23, s[2:3]
	v_and_or_b32 v8, v8, s28, v18
	v_lshl_or_b32 v8, v16, 7, v8
	v_cvt_f32_f16_e32 v22, v8
.LBB292_658:                            ;   in Loop: Header=BB292_531 Depth=1
	s_or_b64 exec, exec, s[8:9]
	v_lshrrev_b32_e32 v8, 16, v31
	v_cmp_gt_i16_sdwa s[6:7], v8, s15 src0_sel:BYTE_0 src1_sel:DWORD
	s_mov_b64 s[2:3], 0
                                        ; implicit-def: $sgpr10
	s_and_saveexec_b64 s[8:9], s[6:7]
	s_xor_b64 s[6:7], exec, s[8:9]
	s_cbranch_execnz .LBB292_925
; %bb.659:                              ;   in Loop: Header=BB292_531 Depth=1
	s_or_saveexec_b64 s[6:7], s[6:7]
	v_mov_b32_e32 v26, s10
	s_xor_b64 exec, exec, s[6:7]
	s_cbranch_execnz .LBB292_928
.LBB292_660:                            ;   in Loop: Header=BB292_531 Depth=1
	s_or_b64 exec, exec, s[6:7]
	s_and_saveexec_b64 s[6:7], s[2:3]
	s_cbranch_execz .LBB292_662
.LBB292_661:                            ;   in Loop: Header=BB292_531 Depth=1
	v_bfe_u32 v16, v31, 16, 3
	v_ffbh_u32_e32 v23, v16
	v_bfe_u32 v18, v31, 19, 4
	v_min_u32_e32 v23, 32, v23
	v_subrev_u32_e32 v26, 28, v23
	v_sub_u32_e32 v23, 29, v23
	v_cmp_eq_u32_e64 s[2:3], 0, v18
	v_lshlrev_b64 v[26:27], v26, v[8:9]
	v_and_b32_e32 v26, 7, v26
	v_cndmask_b32_e64 v18, v18, v23, s[2:3]
	v_lshlrev_b32_e32 v8, 8, v8
	v_lshl_add_u32 v18, v18, 10, v47
	v_cndmask_b32_e64 v16, v16, v26, s[2:3]
	v_and_or_b32 v8, v8, s28, v18
	v_lshl_or_b32 v8, v16, 7, v8
	v_cvt_f32_f16_e32 v26, v8
.LBB292_662:                            ;   in Loop: Header=BB292_531 Depth=1
	s_or_b64 exec, exec, s[6:7]
	v_lshrrev_b32_e32 v8, 24, v31
	v_cmp_lt_i16_e64 s[2:3], s15, v8
	s_mov_b64 s[6:7], 0
                                        ; implicit-def: $sgpr26
	s_and_saveexec_b64 s[8:9], s[2:3]
	s_xor_b64 s[8:9], exec, s[8:9]
	s_cbranch_execnz .LBB292_929
; %bb.663:                              ;   in Loop: Header=BB292_531 Depth=1
	s_or_saveexec_b64 s[8:9], s[8:9]
	v_mov_b32_e32 v29, s26
	s_xor_b64 exec, exec, s[8:9]
	s_cbranch_execnz .LBB292_932
.LBB292_664:                            ;   in Loop: Header=BB292_531 Depth=1
	s_or_b64 exec, exec, s[8:9]
	s_and_saveexec_b64 s[8:9], s[6:7]
	s_cbranch_execz .LBB292_666
.LBB292_665:                            ;   in Loop: Header=BB292_531 Depth=1
	v_bfe_u32 v16, v31, 24, 3
	v_ffbh_u32_e32 v23, v16
	v_bfe_u32 v18, v31, 27, 4
	v_min_u32_e32 v23, 32, v23
	v_subrev_u32_e32 v27, 28, v23
	v_sub_u32_e32 v23, 29, v23
	v_cmp_eq_u32_e64 s[2:3], 0, v18
	v_lshlrev_b64 v[30:31], v27, v[8:9]
	v_and_b32_e32 v27, 7, v30
	v_cndmask_b32_e64 v18, v18, v23, s[2:3]
	v_lshlrev_b32_e32 v8, 8, v8
	v_lshl_add_u32 v18, v18, 10, v47
	v_cndmask_b32_e64 v16, v16, v27, s[2:3]
	v_and_or_b32 v8, v8, s28, v18
	v_lshl_or_b32 v8, v16, 7, v8
	v_cvt_f32_f16_e32 v29, v8
.LBB292_666:                            ;   in Loop: Header=BB292_531 Depth=1
	s_or_b64 exec, exec, s[8:9]
	v_pk_mul_f32 v[30:31], v[28:29], v[50:51] op_sel_hi:[0,1]
	v_pk_mul_f32 v[48:49], v[28:29], v[48:49] op_sel_hi:[0,1]
	v_cvt_f16_f32_e32 v8, v31
	v_cvt_f16_f32_e32 v16, v30
	v_cvt_f16_f32_e32 v18, v49
	v_cvt_f16_f32_e32 v23, v48
	v_fma_mixlo_f16 v6, v28, v6, 0
	v_pack_b32_f16 v16, v16, v8
	v_fma_mixlo_f16 v26, v28, v26, 0
	v_pack_b32_f16 v18, v23, v18
	v_perm_b32 v8, v18, v16, s30
	v_perm_b32 v27, v18, v16, s31
	v_fma_mixlo_f16 v16, v28, v22, 0
	v_lshlrev_b32_e32 v16, 16, v16
	v_or_b32_sdwa v6, v16, v6 dst_sel:DWORD dst_unused:UNUSED_PAD src0_sel:DWORD src1_sel:WORD_0
	v_fma_mixlo_f16 v16, v28, v29, 0
	v_lshlrev_b32_e32 v16, 16, v16
	v_or_b32_sdwa v22, v16, v26 dst_sel:DWORD dst_unused:UNUSED_PAD src0_sel:DWORD src1_sel:WORD_0
	s_and_saveexec_b64 s[6:7], s[0:1]
	s_cbranch_execz .LBB292_668
; %bb.667:                              ;   in Loop: Header=BB292_531 Depth=1
	v_add_u32_e32 v16, 1, v56
	v_lshrrev_b32_e32 v18, 16, v27
	v_cmp_lt_i32_e64 s[2:3], v16, v7
	v_accvgpr_read_b32 v28, a8
	v_lshrrev_b32_e32 v23, 16, v8
	v_cndmask_b32_e64 v16, 0, v18, s[2:3]
	v_cmp_lt_i32_e64 s[2:3], v56, v28
	v_lshrrev_b32_e32 v22, 16, v22
	s_nop 0
	v_cndmask_b32_e64 v18, 0, v27, s[2:3]
	v_perm_b32 v27, v16, v18, s34
	v_or_b32_e32 v16, 3, v56
	v_or_b32_e32 v18, 2, v56
	v_cmp_lt_i32_e64 s[2:3], v16, v7
	s_nop 1
	v_cndmask_b32_e64 v16, 0, v23, s[2:3]
	v_cmp_lt_i32_e64 s[2:3], v18, v28
	v_or_b32_e32 v18, 4, v56
	v_lshrrev_b32_e32 v23, 16, v6
	v_cndmask_b32_e64 v8, 0, v8, s[2:3]
	v_perm_b32 v8, v16, v8, s34
	v_or_b32_e32 v16, 5, v56
	v_cmp_lt_i32_e64 s[2:3], v16, v7
	s_nop 1
	v_cndmask_b32_e64 v16, 0, v23, s[2:3]
	v_cmp_lt_i32_e64 s[2:3], v18, v28
	v_or_b32_e32 v18, 6, v56
	s_nop 0
	v_cndmask_b32_e64 v6, 0, v6, s[2:3]
	v_perm_b32 v6, v16, v6, s34
	v_or_b32_e32 v16, 7, v56
	v_cmp_lt_i32_e64 s[2:3], v16, v7
	s_nop 1
	v_cndmask_b32_e64 v16, 0, v22, s[2:3]
	v_cmp_lt_i32_e64 s[2:3], v18, v28
	s_nop 1
	v_cndmask_b32_e64 v18, 0, v26, s[2:3]
	v_perm_b32 v22, v16, v18, s34
.LBB292_668:                            ;   in Loop: Header=BB292_531 Depth=1
	s_or_b64 exec, exec, s[6:7]
	;;#ASMSTART
	v_pk_mul_f16 v16, v60, v27;

	;;#ASMEND
	;;#ASMSTART
	v_pk_mul_f16 v8, v59, v8;

	;;#ASMEND
	;; [unrolled: 4-line block ×4, first 2 shown]
	v_accvgpr_read_b32 v23, a5
	;;#ASMSTART
	v_pk_add_f16 v8, v16, v8;

	;;#ASMEND
	v_accvgpr_read_b32 v22, a4
	;;#ASMSTART
	v_pk_add_f16 v6, v8, v6;

	;;#ASMEND
	s_mov_b64 s[2:3], 0
	;;#ASMSTART
	v_pk_add_f16 v6, v6, v18;

	;;#ASMEND
                                        ; implicit-def: $sgpr10
	s_nop 0
	v_lshrrev_b32_e32 v8, 16, v6
	v_and_b32_e32 v6, 0xffff, v6
	;;#ASMSTART
	v_cvt_f32_f16 v53, v6;
	;;#ASMEND
	;;#ASMSTART
	v_cvt_f32_f16 v54, v8;
	;;#ASMEND
	flat_load_dwordx2 v[30:31], v[24:25] offset:2048
	flat_load_dword v28, v[22:23]
	s_waitcnt vmcnt(0) lgkmcnt(0)
	v_cmp_gt_i16_sdwa s[6:7], v30, s15 src0_sel:BYTE_0 src1_sel:DWORD
	s_and_saveexec_b64 s[8:9], s[6:7]
	s_xor_b64 s[6:7], exec, s[8:9]
	s_cbranch_execnz .LBB292_933
; %bb.669:                              ;   in Loop: Header=BB292_531 Depth=1
	s_or_saveexec_b64 s[6:7], s[6:7]
	v_mov_b32_e32 v48, s10
	s_xor_b64 exec, exec, s[6:7]
	s_cbranch_execnz .LBB292_936
.LBB292_670:                            ;   in Loop: Header=BB292_531 Depth=1
	s_or_b64 exec, exec, s[6:7]
	s_and_saveexec_b64 s[6:7], s[2:3]
	s_cbranch_execz .LBB292_672
.LBB292_671:                            ;   in Loop: Header=BB292_531 Depth=1
	v_and_b32_e32 v6, 7, v30
	v_ffbh_u32_e32 v6, v6
	v_bfe_u32 v8, v30, 3, 4
	v_min_u32_e32 v6, 32, v6
	v_subrev_u32_e32 v16, 28, v6
	v_sub_u32_e32 v6, 29, v6
	v_cmp_eq_u32_e64 s[2:3], 0, v8
	s_nop 1
	v_cndmask_b32_e64 v6, v8, v6, s[2:3]
	v_cndmask_b32_e64 v8, 0, v16, s[2:3]
	v_lshlrev_b64 v[26:27], v8, v[30:31]
	v_lshlrev_b32_e32 v16, 8, v30
	v_lshl_add_u32 v6, v6, 10, v47
	v_lshlrev_b32_e32 v8, 7, v26
	v_and_or_b32 v6, v16, s28, v6
	v_and_or_b32 v6, v8, s29, v6
	v_cvt_f32_f16_e32 v48, v6
.LBB292_672:                            ;   in Loop: Header=BB292_531 Depth=1
	s_or_b64 exec, exec, s[6:7]
	v_lshrrev_b16_e32 v8, 8, v30
	v_cmp_lt_i16_e64 s[2:3], s15, v8
	s_mov_b64 s[6:7], 0
                                        ; implicit-def: $sgpr26
	s_and_saveexec_b64 s[8:9], s[2:3]
	s_xor_b64 s[8:9], exec, s[8:9]
	s_cbranch_execnz .LBB292_937
; %bb.673:                              ;   in Loop: Header=BB292_531 Depth=1
	s_or_saveexec_b64 s[8:9], s[8:9]
	v_mov_b32_e32 v50, s26
	s_xor_b64 exec, exec, s[8:9]
	s_cbranch_execnz .LBB292_940
.LBB292_674:                            ;   in Loop: Header=BB292_531 Depth=1
	s_or_b64 exec, exec, s[8:9]
	s_and_saveexec_b64 s[8:9], s[6:7]
	s_cbranch_execz .LBB292_676
.LBB292_675:                            ;   in Loop: Header=BB292_531 Depth=1
	v_and_b32_e32 v6, 7, v8
	v_ffbh_u32_e32 v18, v6
	v_bfe_u32 v16, v8, 3, 4
	v_min_u32_e32 v18, 32, v18
	v_subrev_u32_e32 v22, 28, v18
	v_sub_u32_e32 v18, 29, v18
	v_cmp_eq_u32_e64 s[2:3], 0, v16
	v_lshlrev_b64 v[26:27], v22, v[8:9]
	v_and_b32_e32 v22, 7, v26
	v_cndmask_b32_e64 v16, v16, v18, s[2:3]
	v_lshlrev_b32_e32 v8, 8, v8
	v_lshl_add_u32 v16, v16, 10, v47
	v_cndmask_b32_e64 v6, v6, v22, s[2:3]
	v_and_or_b32 v8, v8, s28, v16
	v_lshl_or_b32 v6, v6, 7, v8
	v_cvt_f32_f16_e32 v50, v6
.LBB292_676:                            ;   in Loop: Header=BB292_531 Depth=1
	s_or_b64 exec, exec, s[8:9]
	v_lshrrev_b32_e32 v8, 16, v30
	v_cmp_gt_i16_sdwa s[6:7], v8, s15 src0_sel:BYTE_0 src1_sel:DWORD
	s_mov_b64 s[2:3], 0
                                        ; implicit-def: $sgpr10
	s_and_saveexec_b64 s[8:9], s[6:7]
	s_xor_b64 s[6:7], exec, s[8:9]
	s_cbranch_execnz .LBB292_941
; %bb.677:                              ;   in Loop: Header=BB292_531 Depth=1
	s_or_saveexec_b64 s[6:7], s[6:7]
	v_mov_b32_e32 v49, s10
	s_xor_b64 exec, exec, s[6:7]
	s_cbranch_execnz .LBB292_944
.LBB292_678:                            ;   in Loop: Header=BB292_531 Depth=1
	s_or_b64 exec, exec, s[6:7]
	s_and_saveexec_b64 s[6:7], s[2:3]
	s_cbranch_execz .LBB292_680
.LBB292_679:                            ;   in Loop: Header=BB292_531 Depth=1
	v_bfe_u32 v6, v30, 16, 3
	v_ffbh_u32_e32 v18, v6
	v_bfe_u32 v16, v30, 19, 4
	v_min_u32_e32 v18, 32, v18
	v_subrev_u32_e32 v22, 28, v18
	v_sub_u32_e32 v18, 29, v18
	v_cmp_eq_u32_e64 s[2:3], 0, v16
	v_lshlrev_b64 v[26:27], v22, v[8:9]
	v_and_b32_e32 v22, 7, v26
	v_cndmask_b32_e64 v16, v16, v18, s[2:3]
	v_lshlrev_b32_e32 v8, 8, v8
	v_lshl_add_u32 v16, v16, 10, v47
	v_cndmask_b32_e64 v6, v6, v22, s[2:3]
	v_and_or_b32 v8, v8, s28, v16
	v_lshl_or_b32 v6, v6, 7, v8
	v_cvt_f32_f16_e32 v49, v6
.LBB292_680:                            ;   in Loop: Header=BB292_531 Depth=1
	s_or_b64 exec, exec, s[6:7]
	v_lshrrev_b32_e32 v8, 24, v30
	v_cmp_lt_i16_e64 s[2:3], s15, v8
	s_mov_b64 s[6:7], 0
                                        ; implicit-def: $sgpr26
	s_and_saveexec_b64 s[8:9], s[2:3]
	s_xor_b64 s[8:9], exec, s[8:9]
	s_cbranch_execnz .LBB292_945
; %bb.681:                              ;   in Loop: Header=BB292_531 Depth=1
	s_or_saveexec_b64 s[8:9], s[8:9]
	v_mov_b32_e32 v51, s26
	s_xor_b64 exec, exec, s[8:9]
	s_cbranch_execnz .LBB292_948
.LBB292_682:                            ;   in Loop: Header=BB292_531 Depth=1
	s_or_b64 exec, exec, s[8:9]
	s_and_saveexec_b64 s[8:9], s[6:7]
	s_cbranch_execz .LBB292_684
.LBB292_683:                            ;   in Loop: Header=BB292_531 Depth=1
	v_bfe_u32 v6, v30, 24, 3
	v_ffbh_u32_e32 v18, v6
	v_bfe_u32 v16, v30, 27, 4
	v_min_u32_e32 v18, 32, v18
	v_subrev_u32_e32 v22, 28, v18
	v_sub_u32_e32 v18, 29, v18
	v_cmp_eq_u32_e64 s[2:3], 0, v16
	v_lshlrev_b64 v[26:27], v22, v[8:9]
	v_and_b32_e32 v22, 7, v26
	v_cndmask_b32_e64 v16, v16, v18, s[2:3]
	v_lshlrev_b32_e32 v8, 8, v8
	v_lshl_add_u32 v16, v16, 10, v47
	v_cndmask_b32_e64 v6, v6, v22, s[2:3]
	v_and_or_b32 v8, v8, s28, v16
	v_lshl_or_b32 v6, v6, 7, v8
	v_cvt_f32_f16_e32 v51, v6
.LBB292_684:                            ;   in Loop: Header=BB292_531 Depth=1
	s_or_b64 exec, exec, s[8:9]
	v_cmp_gt_i16_sdwa s[6:7], v31, s15 src0_sel:BYTE_0 src1_sel:DWORD
	s_mov_b64 s[2:3], 0
                                        ; implicit-def: $sgpr10
	s_and_saveexec_b64 s[8:9], s[6:7]
	s_xor_b64 s[6:7], exec, s[8:9]
	s_cbranch_execnz .LBB292_949
; %bb.685:                              ;   in Loop: Header=BB292_531 Depth=1
	s_or_saveexec_b64 s[6:7], s[6:7]
	v_mov_b32_e32 v6, s10
	s_xor_b64 exec, exec, s[6:7]
	s_cbranch_execnz .LBB292_952
.LBB292_686:                            ;   in Loop: Header=BB292_531 Depth=1
	s_or_b64 exec, exec, s[6:7]
	v_mov_b32_e32 v8, v31
	s_and_saveexec_b64 s[6:7], s[2:3]
	s_cbranch_execz .LBB292_688
.LBB292_687:                            ;   in Loop: Header=BB292_531 Depth=1
	v_and_b32_e32 v6, 7, v31
	v_ffbh_u32_e32 v6, v6
	v_bfe_u32 v16, v31, 3, 4
	v_min_u32_e32 v6, 32, v6
	v_subrev_u32_e32 v18, 28, v6
	v_sub_u32_e32 v6, 29, v6
	v_cmp_eq_u32_e64 s[2:3], 0, v16
	s_nop 1
	v_cndmask_b32_e64 v6, v16, v6, s[2:3]
	v_cndmask_b32_e64 v16, 0, v18, s[2:3]
	v_lshlrev_b64 v[26:27], v16, v[8:9]
	v_lshlrev_b32_e32 v18, 8, v31
	v_lshl_add_u32 v6, v6, 10, v47
	v_lshlrev_b32_e32 v16, 7, v26
	v_and_or_b32 v6, v18, s28, v6
	v_and_or_b32 v6, v16, s29, v6
	v_cvt_f32_f16_e32 v6, v6
.LBB292_688:                            ;   in Loop: Header=BB292_531 Depth=1
	s_or_b64 exec, exec, s[6:7]
	v_lshrrev_b16_e32 v8, 8, v8
	v_cmp_lt_i16_e64 s[2:3], s15, v8
	s_mov_b64 s[6:7], 0
                                        ; implicit-def: $sgpr26
	s_and_saveexec_b64 s[8:9], s[2:3]
	s_xor_b64 s[8:9], exec, s[8:9]
	s_cbranch_execnz .LBB292_953
; %bb.689:                              ;   in Loop: Header=BB292_531 Depth=1
	s_or_saveexec_b64 s[8:9], s[8:9]
	v_mov_b32_e32 v22, s26
	s_xor_b64 exec, exec, s[8:9]
	s_cbranch_execnz .LBB292_956
.LBB292_690:                            ;   in Loop: Header=BB292_531 Depth=1
	s_or_b64 exec, exec, s[8:9]
	s_and_saveexec_b64 s[8:9], s[6:7]
	s_cbranch_execz .LBB292_692
.LBB292_691:                            ;   in Loop: Header=BB292_531 Depth=1
	v_and_b32_e32 v16, 7, v8
	v_ffbh_u32_e32 v22, v16
	v_bfe_u32 v18, v8, 3, 4
	v_min_u32_e32 v22, 32, v22
	v_subrev_u32_e32 v23, 28, v22
	v_sub_u32_e32 v22, 29, v22
	v_cmp_eq_u32_e64 s[2:3], 0, v18
	v_lshlrev_b64 v[26:27], v23, v[8:9]
	v_and_b32_e32 v23, 7, v26
	v_cndmask_b32_e64 v18, v18, v22, s[2:3]
	v_lshlrev_b32_e32 v8, 8, v8
	v_lshl_add_u32 v18, v18, 10, v47
	v_cndmask_b32_e64 v16, v16, v23, s[2:3]
	v_and_or_b32 v8, v8, s28, v18
	v_lshl_or_b32 v8, v16, 7, v8
	v_cvt_f32_f16_e32 v22, v8
.LBB292_692:                            ;   in Loop: Header=BB292_531 Depth=1
	s_or_b64 exec, exec, s[8:9]
	v_lshrrev_b32_e32 v8, 16, v31
	v_cmp_gt_i16_sdwa s[6:7], v8, s15 src0_sel:BYTE_0 src1_sel:DWORD
	s_mov_b64 s[2:3], 0
                                        ; implicit-def: $sgpr10
	s_and_saveexec_b64 s[8:9], s[6:7]
	s_xor_b64 s[6:7], exec, s[8:9]
	s_cbranch_execnz .LBB292_957
; %bb.693:                              ;   in Loop: Header=BB292_531 Depth=1
	s_or_saveexec_b64 s[6:7], s[6:7]
	v_mov_b32_e32 v26, s10
	s_xor_b64 exec, exec, s[6:7]
	s_cbranch_execnz .LBB292_960
.LBB292_694:                            ;   in Loop: Header=BB292_531 Depth=1
	s_or_b64 exec, exec, s[6:7]
	s_and_saveexec_b64 s[6:7], s[2:3]
	s_cbranch_execz .LBB292_696
.LBB292_695:                            ;   in Loop: Header=BB292_531 Depth=1
	v_bfe_u32 v16, v31, 16, 3
	v_ffbh_u32_e32 v23, v16
	v_bfe_u32 v18, v31, 19, 4
	v_min_u32_e32 v23, 32, v23
	v_subrev_u32_e32 v26, 28, v23
	v_sub_u32_e32 v23, 29, v23
	v_cmp_eq_u32_e64 s[2:3], 0, v18
	v_lshlrev_b64 v[26:27], v26, v[8:9]
	v_and_b32_e32 v26, 7, v26
	v_cndmask_b32_e64 v18, v18, v23, s[2:3]
	v_lshlrev_b32_e32 v8, 8, v8
	v_lshl_add_u32 v18, v18, 10, v47
	v_cndmask_b32_e64 v16, v16, v26, s[2:3]
	v_and_or_b32 v8, v8, s28, v18
	v_lshl_or_b32 v8, v16, 7, v8
	v_cvt_f32_f16_e32 v26, v8
.LBB292_696:                            ;   in Loop: Header=BB292_531 Depth=1
	s_or_b64 exec, exec, s[6:7]
	v_lshrrev_b32_e32 v8, 24, v31
	v_cmp_lt_i16_e64 s[2:3], s15, v8
	s_mov_b64 s[6:7], 0
                                        ; implicit-def: $sgpr26
	s_and_saveexec_b64 s[8:9], s[2:3]
	s_xor_b64 s[8:9], exec, s[8:9]
	s_cbranch_execnz .LBB292_961
; %bb.697:                              ;   in Loop: Header=BB292_531 Depth=1
	s_or_saveexec_b64 s[8:9], s[8:9]
	v_mov_b32_e32 v29, s26
	s_xor_b64 exec, exec, s[8:9]
	s_cbranch_execnz .LBB292_964
.LBB292_698:                            ;   in Loop: Header=BB292_531 Depth=1
	s_or_b64 exec, exec, s[8:9]
	s_and_saveexec_b64 s[8:9], s[6:7]
	s_cbranch_execz .LBB292_700
.LBB292_699:                            ;   in Loop: Header=BB292_531 Depth=1
	v_bfe_u32 v16, v31, 24, 3
	v_ffbh_u32_e32 v23, v16
	v_bfe_u32 v18, v31, 27, 4
	v_min_u32_e32 v23, 32, v23
	v_subrev_u32_e32 v27, 28, v23
	v_sub_u32_e32 v23, 29, v23
	v_cmp_eq_u32_e64 s[2:3], 0, v18
	v_lshlrev_b64 v[30:31], v27, v[8:9]
	v_and_b32_e32 v27, 7, v30
	v_cndmask_b32_e64 v18, v18, v23, s[2:3]
	v_lshlrev_b32_e32 v8, 8, v8
	v_lshl_add_u32 v18, v18, 10, v47
	v_cndmask_b32_e64 v16, v16, v27, s[2:3]
	v_and_or_b32 v8, v8, s28, v18
	v_lshl_or_b32 v8, v16, 7, v8
	v_cvt_f32_f16_e32 v29, v8
.LBB292_700:                            ;   in Loop: Header=BB292_531 Depth=1
	s_or_b64 exec, exec, s[8:9]
	v_pk_mul_f32 v[30:31], v[28:29], v[50:51] op_sel_hi:[0,1]
	v_pk_mul_f32 v[48:49], v[28:29], v[48:49] op_sel_hi:[0,1]
	v_cvt_f16_f32_e32 v8, v31
	v_cvt_f16_f32_e32 v16, v30
	;; [unrolled: 1-line block ×4, first 2 shown]
	v_fma_mixlo_f16 v6, v28, v6, 0
	v_pack_b32_f16 v16, v16, v8
	v_fma_mixlo_f16 v26, v28, v26, 0
	v_pack_b32_f16 v18, v23, v18
	v_perm_b32 v8, v18, v16, s30
	v_perm_b32 v27, v18, v16, s31
	v_fma_mixlo_f16 v16, v28, v22, 0
	v_lshlrev_b32_e32 v16, 16, v16
	v_or_b32_sdwa v6, v16, v6 dst_sel:DWORD dst_unused:UNUSED_PAD src0_sel:DWORD src1_sel:WORD_0
	v_fma_mixlo_f16 v16, v28, v29, 0
	v_lshlrev_b32_e32 v16, 16, v16
	v_or_b32_sdwa v22, v16, v26 dst_sel:DWORD dst_unused:UNUSED_PAD src0_sel:DWORD src1_sel:WORD_0
	s_and_saveexec_b64 s[6:7], s[0:1]
	s_cbranch_execz .LBB292_702
; %bb.701:                              ;   in Loop: Header=BB292_531 Depth=1
	v_add_u32_e32 v16, 1, v56
	v_lshrrev_b32_e32 v18, 16, v27
	v_cmp_lt_i32_e64 s[2:3], v16, v7
	v_accvgpr_read_b32 v28, a8
	v_lshrrev_b32_e32 v23, 16, v8
	v_cndmask_b32_e64 v16, 0, v18, s[2:3]
	v_cmp_lt_i32_e64 s[2:3], v56, v28
	v_lshrrev_b32_e32 v22, 16, v22
	s_nop 0
	v_cndmask_b32_e64 v18, 0, v27, s[2:3]
	v_perm_b32 v27, v16, v18, s34
	v_or_b32_e32 v16, 3, v56
	v_or_b32_e32 v18, 2, v56
	v_cmp_lt_i32_e64 s[2:3], v16, v7
	s_nop 1
	v_cndmask_b32_e64 v16, 0, v23, s[2:3]
	v_cmp_lt_i32_e64 s[2:3], v18, v28
	v_or_b32_e32 v18, 4, v56
	v_lshrrev_b32_e32 v23, 16, v6
	v_cndmask_b32_e64 v8, 0, v8, s[2:3]
	v_perm_b32 v8, v16, v8, s34
	v_or_b32_e32 v16, 5, v56
	v_cmp_lt_i32_e64 s[2:3], v16, v7
	s_nop 1
	v_cndmask_b32_e64 v16, 0, v23, s[2:3]
	v_cmp_lt_i32_e64 s[2:3], v18, v28
	v_or_b32_e32 v18, 6, v56
	s_nop 0
	v_cndmask_b32_e64 v6, 0, v6, s[2:3]
	v_perm_b32 v6, v16, v6, s34
	v_or_b32_e32 v16, 7, v56
	v_cmp_lt_i32_e64 s[2:3], v16, v7
	s_nop 1
	v_cndmask_b32_e64 v16, 0, v22, s[2:3]
	v_cmp_lt_i32_e64 s[2:3], v18, v28
	s_nop 1
	v_cndmask_b32_e64 v18, 0, v26, s[2:3]
	v_perm_b32 v22, v16, v18, s34
.LBB292_702:                            ;   in Loop: Header=BB292_531 Depth=1
	s_or_b64 exec, exec, s[6:7]
	;;#ASMSTART
	v_pk_mul_f16 v16, v60, v27;

	;;#ASMEND
	;;#ASMSTART
	v_pk_mul_f16 v8, v59, v8;

	;;#ASMEND
	;; [unrolled: 4-line block ×4, first 2 shown]
	v_accvgpr_read_b32 v27, a5
	;;#ASMSTART
	v_pk_add_f16 v8, v16, v8;

	;;#ASMEND
	v_accvgpr_read_b32 v26, a4
	;;#ASMSTART
	v_pk_add_f16 v6, v8, v6;

	;;#ASMEND
	s_mov_b64 s[2:3], 0
	;;#ASMSTART
	v_pk_add_f16 v6, v6, v18;

	;;#ASMEND
                                        ; implicit-def: $sgpr10
	s_nop 0
	v_lshrrev_b32_e32 v8, 16, v6
	v_and_b32_e32 v6, 0xffff, v6
	;;#ASMSTART
	v_cvt_f32_f16 v6, v6;
	;;#ASMEND
	;;#ASMSTART
	v_cvt_f32_f16 v22, v8;
	;;#ASMEND
	flat_load_dwordx2 v[30:31], v[24:25] offset:2560
	flat_load_dword v28, v[26:27]
	s_waitcnt vmcnt(0) lgkmcnt(0)
	v_cmp_gt_i16_sdwa s[6:7], v30, s15 src0_sel:BYTE_0 src1_sel:DWORD
	s_and_saveexec_b64 s[8:9], s[6:7]
	s_xor_b64 s[6:7], exec, s[8:9]
	s_cbranch_execnz .LBB292_965
; %bb.703:                              ;   in Loop: Header=BB292_531 Depth=1
	s_or_saveexec_b64 s[6:7], s[6:7]
	v_mov_b32_e32 v48, s10
	s_xor_b64 exec, exec, s[6:7]
	s_cbranch_execnz .LBB292_968
.LBB292_704:                            ;   in Loop: Header=BB292_531 Depth=1
	s_or_b64 exec, exec, s[6:7]
	s_and_saveexec_b64 s[6:7], s[2:3]
	s_cbranch_execz .LBB292_706
.LBB292_705:                            ;   in Loop: Header=BB292_531 Depth=1
	v_and_b32_e32 v8, 7, v30
	v_ffbh_u32_e32 v8, v8
	v_bfe_u32 v16, v30, 3, 4
	v_min_u32_e32 v8, 32, v8
	v_subrev_u32_e32 v18, 28, v8
	v_sub_u32_e32 v8, 29, v8
	v_cmp_eq_u32_e64 s[2:3], 0, v16
	s_nop 1
	v_cndmask_b32_e64 v8, v16, v8, s[2:3]
	v_cndmask_b32_e64 v16, 0, v18, s[2:3]
	v_lshlrev_b64 v[26:27], v16, v[30:31]
	v_lshlrev_b32_e32 v18, 8, v30
	v_lshl_add_u32 v8, v8, 10, v47
	v_lshlrev_b32_e32 v16, 7, v26
	v_and_or_b32 v8, v18, s28, v8
	v_and_or_b32 v8, v16, s29, v8
	v_cvt_f32_f16_e32 v48, v8
.LBB292_706:                            ;   in Loop: Header=BB292_531 Depth=1
	s_or_b64 exec, exec, s[6:7]
	v_lshrrev_b16_e32 v8, 8, v30
	v_cmp_lt_i16_e64 s[2:3], s15, v8
	s_mov_b64 s[6:7], 0
                                        ; implicit-def: $sgpr26
	s_and_saveexec_b64 s[8:9], s[2:3]
	s_xor_b64 s[8:9], exec, s[8:9]
	s_cbranch_execnz .LBB292_969
; %bb.707:                              ;   in Loop: Header=BB292_531 Depth=1
	s_or_saveexec_b64 s[8:9], s[8:9]
	v_mov_b32_e32 v50, s26
	s_xor_b64 exec, exec, s[8:9]
	s_cbranch_execnz .LBB292_972
.LBB292_708:                            ;   in Loop: Header=BB292_531 Depth=1
	s_or_b64 exec, exec, s[8:9]
	s_and_saveexec_b64 s[8:9], s[6:7]
	s_cbranch_execz .LBB292_710
.LBB292_709:                            ;   in Loop: Header=BB292_531 Depth=1
	v_and_b32_e32 v16, 7, v8
	v_ffbh_u32_e32 v23, v16
	v_bfe_u32 v18, v8, 3, 4
	v_min_u32_e32 v23, 32, v23
	v_subrev_u32_e32 v26, 28, v23
	v_sub_u32_e32 v23, 29, v23
	v_cmp_eq_u32_e64 s[2:3], 0, v18
	v_lshlrev_b64 v[26:27], v26, v[8:9]
	v_and_b32_e32 v26, 7, v26
	v_cndmask_b32_e64 v18, v18, v23, s[2:3]
	v_lshlrev_b32_e32 v8, 8, v8
	v_lshl_add_u32 v18, v18, 10, v47
	v_cndmask_b32_e64 v16, v16, v26, s[2:3]
	v_and_or_b32 v8, v8, s28, v18
	v_lshl_or_b32 v8, v16, 7, v8
	v_cvt_f32_f16_e32 v50, v8
.LBB292_710:                            ;   in Loop: Header=BB292_531 Depth=1
	s_or_b64 exec, exec, s[8:9]
	v_lshrrev_b32_e32 v8, 16, v30
	v_cmp_gt_i16_sdwa s[6:7], v8, s15 src0_sel:BYTE_0 src1_sel:DWORD
	s_mov_b64 s[2:3], 0
                                        ; implicit-def: $sgpr10
	s_and_saveexec_b64 s[8:9], s[6:7]
	s_xor_b64 s[6:7], exec, s[8:9]
	s_cbranch_execnz .LBB292_973
; %bb.711:                              ;   in Loop: Header=BB292_531 Depth=1
	s_or_saveexec_b64 s[6:7], s[6:7]
	v_mov_b32_e32 v49, s10
	s_xor_b64 exec, exec, s[6:7]
	s_cbranch_execnz .LBB292_976
.LBB292_712:                            ;   in Loop: Header=BB292_531 Depth=1
	s_or_b64 exec, exec, s[6:7]
	s_and_saveexec_b64 s[6:7], s[2:3]
	s_cbranch_execz .LBB292_714
.LBB292_713:                            ;   in Loop: Header=BB292_531 Depth=1
	v_bfe_u32 v16, v30, 16, 3
	v_ffbh_u32_e32 v23, v16
	v_bfe_u32 v18, v30, 19, 4
	v_min_u32_e32 v23, 32, v23
	v_subrev_u32_e32 v26, 28, v23
	v_sub_u32_e32 v23, 29, v23
	v_cmp_eq_u32_e64 s[2:3], 0, v18
	v_lshlrev_b64 v[26:27], v26, v[8:9]
	v_and_b32_e32 v26, 7, v26
	v_cndmask_b32_e64 v18, v18, v23, s[2:3]
	v_lshlrev_b32_e32 v8, 8, v8
	v_lshl_add_u32 v18, v18, 10, v47
	v_cndmask_b32_e64 v16, v16, v26, s[2:3]
	v_and_or_b32 v8, v8, s28, v18
	v_lshl_or_b32 v8, v16, 7, v8
	v_cvt_f32_f16_e32 v49, v8
.LBB292_714:                            ;   in Loop: Header=BB292_531 Depth=1
	s_or_b64 exec, exec, s[6:7]
	v_lshrrev_b32_e32 v8, 24, v30
	v_cmp_lt_i16_e64 s[2:3], s15, v8
	s_mov_b64 s[6:7], 0
                                        ; implicit-def: $sgpr26
	s_and_saveexec_b64 s[8:9], s[2:3]
	s_xor_b64 s[8:9], exec, s[8:9]
	s_cbranch_execnz .LBB292_977
; %bb.715:                              ;   in Loop: Header=BB292_531 Depth=1
	s_or_saveexec_b64 s[8:9], s[8:9]
	v_mov_b32_e32 v51, s26
	s_xor_b64 exec, exec, s[8:9]
	s_cbranch_execnz .LBB292_980
.LBB292_716:                            ;   in Loop: Header=BB292_531 Depth=1
	s_or_b64 exec, exec, s[8:9]
	s_and_saveexec_b64 s[8:9], s[6:7]
	s_cbranch_execz .LBB292_718
.LBB292_717:                            ;   in Loop: Header=BB292_531 Depth=1
	v_bfe_u32 v16, v30, 24, 3
	v_ffbh_u32_e32 v23, v16
	v_bfe_u32 v18, v30, 27, 4
	v_min_u32_e32 v23, 32, v23
	v_subrev_u32_e32 v26, 28, v23
	v_sub_u32_e32 v23, 29, v23
	v_cmp_eq_u32_e64 s[2:3], 0, v18
	v_lshlrev_b64 v[26:27], v26, v[8:9]
	v_and_b32_e32 v26, 7, v26
	v_cndmask_b32_e64 v18, v18, v23, s[2:3]
	v_lshlrev_b32_e32 v8, 8, v8
	v_lshl_add_u32 v18, v18, 10, v47
	v_cndmask_b32_e64 v16, v16, v26, s[2:3]
	v_and_or_b32 v8, v8, s28, v18
	v_lshl_or_b32 v8, v16, 7, v8
	v_cvt_f32_f16_e32 v51, v8
.LBB292_718:                            ;   in Loop: Header=BB292_531 Depth=1
	s_or_b64 exec, exec, s[8:9]
	v_cmp_gt_i16_sdwa s[6:7], v31, s15 src0_sel:BYTE_0 src1_sel:DWORD
	s_mov_b64 s[2:3], 0
                                        ; implicit-def: $sgpr10
	s_and_saveexec_b64 s[8:9], s[6:7]
	s_xor_b64 s[6:7], exec, s[8:9]
	s_cbranch_execnz .LBB292_981
; %bb.719:                              ;   in Loop: Header=BB292_531 Depth=1
	s_or_saveexec_b64 s[6:7], s[6:7]
	v_mov_b32_e32 v26, s10
	s_xor_b64 exec, exec, s[6:7]
	s_cbranch_execnz .LBB292_984
.LBB292_720:                            ;   in Loop: Header=BB292_531 Depth=1
	s_or_b64 exec, exec, s[6:7]
	v_mov_b32_e32 v8, v31
	s_and_saveexec_b64 s[6:7], s[2:3]
	s_cbranch_execz .LBB292_722
.LBB292_721:                            ;   in Loop: Header=BB292_531 Depth=1
	v_and_b32_e32 v16, 7, v31
	v_ffbh_u32_e32 v16, v16
	v_bfe_u32 v18, v31, 3, 4
	v_min_u32_e32 v16, 32, v16
	v_subrev_u32_e32 v23, 28, v16
	v_sub_u32_e32 v16, 29, v16
	v_cmp_eq_u32_e64 s[2:3], 0, v18
	s_nop 1
	v_cndmask_b32_e64 v16, v18, v16, s[2:3]
	v_cndmask_b32_e64 v18, 0, v23, s[2:3]
	v_lshlrev_b64 v[26:27], v18, v[8:9]
	v_lshlrev_b32_e32 v23, 8, v31
	v_lshl_add_u32 v16, v16, 10, v47
	v_lshlrev_b32_e32 v18, 7, v26
	v_and_or_b32 v16, v23, s28, v16
	v_and_or_b32 v16, v18, s29, v16
	v_cvt_f32_f16_e32 v26, v16
.LBB292_722:                            ;   in Loop: Header=BB292_531 Depth=1
	s_or_b64 exec, exec, s[6:7]
	v_lshrrev_b16_e32 v8, 8, v8
	v_cmp_lt_i16_e64 s[2:3], s15, v8
	s_mov_b64 s[6:7], 0
                                        ; implicit-def: $sgpr26
	s_and_saveexec_b64 s[8:9], s[2:3]
	s_xor_b64 s[8:9], exec, s[8:9]
	s_cbranch_execnz .LBB292_985
; %bb.723:                              ;   in Loop: Header=BB292_531 Depth=1
	s_or_saveexec_b64 s[8:9], s[8:9]
	v_mov_b32_e32 v27, s26
	s_xor_b64 exec, exec, s[8:9]
	s_cbranch_execnz .LBB292_988
.LBB292_724:                            ;   in Loop: Header=BB292_531 Depth=1
	s_or_b64 exec, exec, s[8:9]
	s_and_saveexec_b64 s[8:9], s[6:7]
	s_cbranch_execz .LBB292_726
.LBB292_725:                            ;   in Loop: Header=BB292_531 Depth=1
	v_and_b32_e32 v16, 7, v8
	v_ffbh_u32_e32 v23, v16
	v_bfe_u32 v18, v8, 3, 4
	v_min_u32_e32 v23, 32, v23
	v_subrev_u32_e32 v27, 28, v23
	v_sub_u32_e32 v23, 29, v23
	v_cmp_eq_u32_e64 s[2:3], 0, v18
	v_lshlrev_b64 v[44:45], v27, v[8:9]
	v_and_b32_e32 v27, 7, v44
	v_cndmask_b32_e64 v18, v18, v23, s[2:3]
	v_lshlrev_b32_e32 v8, 8, v8
	v_lshl_add_u32 v18, v18, 10, v47
	v_cndmask_b32_e64 v16, v16, v27, s[2:3]
	v_and_or_b32 v8, v8, s28, v18
	v_lshl_or_b32 v8, v16, 7, v8
	v_cvt_f32_f16_e32 v27, v8
.LBB292_726:                            ;   in Loop: Header=BB292_531 Depth=1
	s_or_b64 exec, exec, s[8:9]
	v_lshrrev_b32_e32 v8, 16, v31
	v_cmp_gt_i16_sdwa s[6:7], v8, s15 src0_sel:BYTE_0 src1_sel:DWORD
	s_mov_b64 s[2:3], 0
                                        ; implicit-def: $sgpr10
	s_and_saveexec_b64 s[8:9], s[6:7]
	s_xor_b64 s[6:7], exec, s[8:9]
	s_cbranch_execnz .LBB292_989
; %bb.727:                              ;   in Loop: Header=BB292_531 Depth=1
	s_or_saveexec_b64 s[6:7], s[6:7]
	v_mov_b32_e32 v29, s10
	s_xor_b64 exec, exec, s[6:7]
	s_cbranch_execnz .LBB292_992
.LBB292_728:                            ;   in Loop: Header=BB292_531 Depth=1
	s_or_b64 exec, exec, s[6:7]
	s_and_saveexec_b64 s[6:7], s[2:3]
	s_cbranch_execz .LBB292_730
.LBB292_729:                            ;   in Loop: Header=BB292_531 Depth=1
	v_bfe_u32 v16, v31, 16, 3
	v_ffbh_u32_e32 v23, v16
	v_bfe_u32 v18, v31, 19, 4
	v_min_u32_e32 v23, 32, v23
	v_subrev_u32_e32 v29, 28, v23
	v_sub_u32_e32 v23, 29, v23
	v_cmp_eq_u32_e64 s[2:3], 0, v18
	v_lshlrev_b64 v[44:45], v29, v[8:9]
	v_and_b32_e32 v29, 7, v44
	v_cndmask_b32_e64 v18, v18, v23, s[2:3]
	v_lshlrev_b32_e32 v8, 8, v8
	v_lshl_add_u32 v18, v18, 10, v47
	v_cndmask_b32_e64 v16, v16, v29, s[2:3]
	v_and_or_b32 v8, v8, s28, v18
	v_lshl_or_b32 v8, v16, 7, v8
	v_cvt_f32_f16_e32 v29, v8
.LBB292_730:                            ;   in Loop: Header=BB292_531 Depth=1
	s_or_b64 exec, exec, s[6:7]
	v_lshrrev_b32_e32 v8, 24, v31
	v_cmp_lt_i16_e64 s[2:3], s15, v8
	s_mov_b64 s[6:7], 0
                                        ; implicit-def: $sgpr26
	s_and_saveexec_b64 s[8:9], s[2:3]
	s_xor_b64 s[8:9], exec, s[8:9]
	s_cbranch_execnz .LBB292_993
; %bb.731:                              ;   in Loop: Header=BB292_531 Depth=1
	s_or_saveexec_b64 s[8:9], s[8:9]
	v_mov_b32_e32 v52, s26
	s_xor_b64 exec, exec, s[8:9]
	s_cbranch_execnz .LBB292_996
.LBB292_732:                            ;   in Loop: Header=BB292_531 Depth=1
	s_or_b64 exec, exec, s[8:9]
	s_and_saveexec_b64 s[8:9], s[6:7]
	s_cbranch_execz .LBB292_734
.LBB292_733:                            ;   in Loop: Header=BB292_531 Depth=1
	v_bfe_u32 v16, v31, 24, 3
	v_ffbh_u32_e32 v23, v16
	v_bfe_u32 v18, v31, 27, 4
	v_min_u32_e32 v23, 32, v23
	v_subrev_u32_e32 v30, 28, v23
	v_sub_u32_e32 v23, 29, v23
	v_cmp_eq_u32_e64 s[2:3], 0, v18
	v_lshlrev_b64 v[30:31], v30, v[8:9]
	v_and_b32_e32 v30, 7, v30
	v_cndmask_b32_e64 v18, v18, v23, s[2:3]
	v_lshlrev_b32_e32 v8, 8, v8
	v_lshl_add_u32 v18, v18, 10, v47
	v_cndmask_b32_e64 v16, v16, v30, s[2:3]
	v_and_or_b32 v8, v8, s28, v18
	v_lshl_or_b32 v8, v16, 7, v8
	v_cvt_f32_f16_e32 v52, v8
.LBB292_734:                            ;   in Loop: Header=BB292_531 Depth=1
	s_or_b64 exec, exec, s[8:9]
	v_pk_mul_f32 v[30:31], v[28:29], v[50:51] op_sel_hi:[0,1]
	v_pk_mul_f32 v[48:49], v[28:29], v[48:49] op_sel_hi:[0,1]
	v_cvt_f16_f32_e32 v8, v31
	v_cvt_f16_f32_e32 v16, v30
	;; [unrolled: 1-line block ×4, first 2 shown]
	v_fma_mixlo_f16 v29, v28, v29, 0
	v_pack_b32_f16 v16, v16, v8
	v_pack_b32_f16 v18, v23, v18
	v_perm_b32 v8, v18, v16, s30
	v_perm_b32 v30, v18, v16, s31
	v_fma_mixlo_f16 v16, v28, v27, 0
	v_lshlrev_b32_e32 v16, 16, v16
	v_fma_mixlo_f16 v18, v28, v26, 0
	v_or_b32_sdwa v26, v16, v18 dst_sel:DWORD dst_unused:UNUSED_PAD src0_sel:DWORD src1_sel:WORD_0
	v_fma_mixlo_f16 v16, v28, v52, 0
	v_lshlrev_b32_e32 v16, 16, v16
	v_or_b32_sdwa v27, v16, v29 dst_sel:DWORD dst_unused:UNUSED_PAD src0_sel:DWORD src1_sel:WORD_0
	s_and_saveexec_b64 s[6:7], s[0:1]
	s_cbranch_execz .LBB292_736
; %bb.735:                              ;   in Loop: Header=BB292_531 Depth=1
	v_add_u32_e32 v16, 1, v56
	v_lshrrev_b32_e32 v18, 16, v30
	v_cmp_lt_i32_e64 s[2:3], v16, v7
	v_accvgpr_read_b32 v28, a8
	v_lshrrev_b32_e32 v23, 16, v8
	v_cndmask_b32_e64 v16, 0, v18, s[2:3]
	v_cmp_lt_i32_e64 s[2:3], v56, v28
	s_nop 1
	v_cndmask_b32_e64 v18, 0, v30, s[2:3]
	v_perm_b32 v30, v16, v18, s34
	v_or_b32_e32 v16, 3, v56
	v_or_b32_e32 v18, 2, v56
	v_cmp_lt_i32_e64 s[2:3], v16, v7
	s_nop 1
	v_cndmask_b32_e64 v16, 0, v23, s[2:3]
	v_cmp_lt_i32_e64 s[2:3], v18, v28
	v_or_b32_e32 v18, 4, v56
	v_lshrrev_b32_e32 v23, 16, v26
	v_cndmask_b32_e64 v8, 0, v8, s[2:3]
	v_perm_b32 v8, v16, v8, s34
	v_or_b32_e32 v16, 5, v56
	v_cmp_lt_i32_e64 s[2:3], v16, v7
	s_nop 1
	v_cndmask_b32_e64 v16, 0, v23, s[2:3]
	v_cmp_lt_i32_e64 s[2:3], v18, v28
	v_lshrrev_b32_e32 v23, 16, v27
	s_nop 0
	v_cndmask_b32_e64 v18, 0, v26, s[2:3]
	v_perm_b32 v26, v16, v18, s34
	v_or_b32_e32 v16, 7, v56
	v_or_b32_e32 v18, 6, v56
	v_cmp_lt_i32_e64 s[2:3], v16, v7
	s_nop 1
	v_cndmask_b32_e64 v16, 0, v23, s[2:3]
	v_cmp_lt_i32_e64 s[2:3], v18, v28
	s_nop 1
	v_cndmask_b32_e64 v18, 0, v29, s[2:3]
	v_perm_b32 v27, v16, v18, s34
.LBB292_736:                            ;   in Loop: Header=BB292_531 Depth=1
	s_or_b64 exec, exec, s[6:7]
	;;#ASMSTART
	v_pk_mul_f16 v16, v60, v30;

	;;#ASMEND
	;;#ASMSTART
	v_pk_mul_f16 v8, v59, v8;

	;;#ASMEND
	;; [unrolled: 4-line block ×4, first 2 shown]
	s_mov_b64 s[2:3], 0
	;;#ASMSTART
	v_pk_add_f16 v8, v16, v8;

	;;#ASMEND
                                        ; implicit-def: $sgpr10
	s_nop 0
	;;#ASMSTART
	v_pk_add_f16 v8, v8, v18;

	;;#ASMEND
	s_nop 0
	;;#ASMSTART
	v_pk_add_f16 v8, v8, v23;

	;;#ASMEND
	s_nop 0
	v_lshrrev_b32_e32 v16, 16, v8
	v_and_b32_e32 v8, 0xffff, v8
	;;#ASMSTART
	v_cvt_f32_f16 v26, v8;
	;;#ASMEND
	;;#ASMSTART
	v_cvt_f32_f16 v27, v16;
	;;#ASMEND
	flat_load_dwordx2 v[28:29], v[24:25] offset:3072
	v_accvgpr_read_b32 v25, a5
	v_accvgpr_read_b32 v24, a4
	flat_load_dword v24, v[24:25]
	s_waitcnt vmcnt(0) lgkmcnt(0)
	v_cmp_gt_i16_sdwa s[6:7], v28, s15 src0_sel:BYTE_0 src1_sel:DWORD
	s_and_saveexec_b64 s[8:9], s[6:7]
	s_xor_b64 s[6:7], exec, s[8:9]
	s_cbranch_execnz .LBB292_997
; %bb.737:                              ;   in Loop: Header=BB292_531 Depth=1
	s_or_saveexec_b64 s[6:7], s[6:7]
	v_mov_b32_e32 v30, s10
	s_xor_b64 exec, exec, s[6:7]
	s_cbranch_execnz .LBB292_1000
.LBB292_738:                            ;   in Loop: Header=BB292_531 Depth=1
	s_or_b64 exec, exec, s[6:7]
	s_and_saveexec_b64 s[6:7], s[2:3]
	s_cbranch_execz .LBB292_740
.LBB292_739:                            ;   in Loop: Header=BB292_531 Depth=1
	v_and_b32_e32 v8, 7, v28
	v_ffbh_u32_e32 v8, v8
	v_bfe_u32 v16, v28, 3, 4
	v_min_u32_e32 v8, 32, v8
	v_subrev_u32_e32 v18, 28, v8
	v_sub_u32_e32 v8, 29, v8
	v_cmp_eq_u32_e64 s[2:3], 0, v16
	s_nop 1
	v_cndmask_b32_e64 v8, v16, v8, s[2:3]
	v_cndmask_b32_e64 v16, 0, v18, s[2:3]
	v_lshlrev_b64 v[30:31], v16, v[28:29]
	v_lshlrev_b32_e32 v18, 8, v28
	v_lshl_add_u32 v8, v8, 10, v47
	v_lshlrev_b32_e32 v16, 7, v30
	v_and_or_b32 v8, v18, s28, v8
	v_and_or_b32 v8, v16, s29, v8
	v_cvt_f32_f16_e32 v30, v8
.LBB292_740:                            ;   in Loop: Header=BB292_531 Depth=1
	s_or_b64 exec, exec, s[6:7]
	v_lshrrev_b16_e32 v8, 8, v28
	v_cmp_lt_i16_e64 s[2:3], s15, v8
	s_mov_b64 s[6:7], 0
                                        ; implicit-def: $sgpr26
	s_and_saveexec_b64 s[8:9], s[2:3]
	s_xor_b64 s[8:9], exec, s[8:9]
	s_cbranch_execnz .LBB292_1001
; %bb.741:                              ;   in Loop: Header=BB292_531 Depth=1
	s_or_saveexec_b64 s[8:9], s[8:9]
	v_mov_b32_e32 v48, s26
	s_xor_b64 exec, exec, s[8:9]
	s_cbranch_execnz .LBB292_1004
.LBB292_742:                            ;   in Loop: Header=BB292_531 Depth=1
	s_or_b64 exec, exec, s[8:9]
	s_and_saveexec_b64 s[8:9], s[6:7]
	s_cbranch_execz .LBB292_744
.LBB292_743:                            ;   in Loop: Header=BB292_531 Depth=1
	v_and_b32_e32 v16, 7, v8
	v_ffbh_u32_e32 v23, v16
	v_bfe_u32 v18, v8, 3, 4
	v_min_u32_e32 v23, 32, v23
	v_subrev_u32_e32 v25, 28, v23
	v_sub_u32_e32 v23, 29, v23
	v_cmp_eq_u32_e64 s[2:3], 0, v18
	v_lshlrev_b64 v[48:49], v25, v[8:9]
	v_and_b32_e32 v25, 7, v48
	v_cndmask_b32_e64 v18, v18, v23, s[2:3]
	v_lshlrev_b32_e32 v8, 8, v8
	v_lshl_add_u32 v18, v18, 10, v47
	v_cndmask_b32_e64 v16, v16, v25, s[2:3]
	v_and_or_b32 v8, v8, s28, v18
	v_lshl_or_b32 v8, v16, 7, v8
	v_cvt_f32_f16_e32 v48, v8
.LBB292_744:                            ;   in Loop: Header=BB292_531 Depth=1
	s_or_b64 exec, exec, s[8:9]
	v_lshrrev_b32_e32 v8, 16, v28
	v_cmp_gt_i16_sdwa s[6:7], v8, s15 src0_sel:BYTE_0 src1_sel:DWORD
	s_mov_b64 s[2:3], 0
                                        ; implicit-def: $sgpr10
	s_and_saveexec_b64 s[8:9], s[6:7]
	s_xor_b64 s[6:7], exec, s[8:9]
	s_cbranch_execnz .LBB292_1005
; %bb.745:                              ;   in Loop: Header=BB292_531 Depth=1
	s_or_saveexec_b64 s[6:7], s[6:7]
	v_mov_b32_e32 v31, s10
	s_xor_b64 exec, exec, s[6:7]
	s_cbranch_execnz .LBB292_1008
.LBB292_746:                            ;   in Loop: Header=BB292_531 Depth=1
	s_or_b64 exec, exec, s[6:7]
	s_and_saveexec_b64 s[6:7], s[2:3]
	s_cbranch_execz .LBB292_748
.LBB292_747:                            ;   in Loop: Header=BB292_531 Depth=1
	v_bfe_u32 v16, v28, 16, 3
	v_ffbh_u32_e32 v23, v16
	v_bfe_u32 v18, v28, 19, 4
	v_min_u32_e32 v23, 32, v23
	v_subrev_u32_e32 v25, 28, v23
	v_sub_u32_e32 v23, 29, v23
	v_cmp_eq_u32_e64 s[2:3], 0, v18
	v_lshlrev_b64 v[50:51], v25, v[8:9]
	v_and_b32_e32 v25, 7, v50
	v_cndmask_b32_e64 v18, v18, v23, s[2:3]
	v_lshlrev_b32_e32 v8, 8, v8
	v_lshl_add_u32 v18, v18, 10, v47
	v_cndmask_b32_e64 v16, v16, v25, s[2:3]
	v_and_or_b32 v8, v8, s28, v18
	v_lshl_or_b32 v8, v16, 7, v8
	v_cvt_f32_f16_e32 v31, v8
.LBB292_748:                            ;   in Loop: Header=BB292_531 Depth=1
	s_or_b64 exec, exec, s[6:7]
	v_lshrrev_b32_e32 v8, 24, v28
	v_cmp_lt_i16_e64 s[2:3], s15, v8
	s_mov_b64 s[6:7], 0
                                        ; implicit-def: $sgpr26
	s_and_saveexec_b64 s[8:9], s[2:3]
	s_xor_b64 s[8:9], exec, s[8:9]
	s_cbranch_execnz .LBB292_1009
; %bb.749:                              ;   in Loop: Header=BB292_531 Depth=1
	s_or_saveexec_b64 s[8:9], s[8:9]
	v_mov_b32_e32 v49, s26
	s_xor_b64 exec, exec, s[8:9]
	s_cbranch_execnz .LBB292_1012
.LBB292_750:                            ;   in Loop: Header=BB292_531 Depth=1
	s_or_b64 exec, exec, s[8:9]
	s_and_saveexec_b64 s[8:9], s[6:7]
	s_cbranch_execz .LBB292_752
.LBB292_751:                            ;   in Loop: Header=BB292_531 Depth=1
	v_bfe_u32 v16, v28, 24, 3
	v_ffbh_u32_e32 v23, v16
	v_bfe_u32 v18, v28, 27, 4
	v_min_u32_e32 v23, 32, v23
	v_subrev_u32_e32 v25, 28, v23
	v_sub_u32_e32 v23, 29, v23
	v_cmp_eq_u32_e64 s[2:3], 0, v18
	v_lshlrev_b64 v[50:51], v25, v[8:9]
	v_and_b32_e32 v25, 7, v50
	v_cndmask_b32_e64 v18, v18, v23, s[2:3]
	v_lshlrev_b32_e32 v8, 8, v8
	v_lshl_add_u32 v18, v18, 10, v47
	v_cndmask_b32_e64 v16, v16, v25, s[2:3]
	v_and_or_b32 v8, v8, s28, v18
	v_lshl_or_b32 v8, v16, 7, v8
	v_cvt_f32_f16_e32 v49, v8
.LBB292_752:                            ;   in Loop: Header=BB292_531 Depth=1
	s_or_b64 exec, exec, s[8:9]
	v_cmp_gt_i16_sdwa s[6:7], v29, s15 src0_sel:BYTE_0 src1_sel:DWORD
	s_mov_b64 s[2:3], 0
                                        ; implicit-def: $sgpr10
	s_and_saveexec_b64 s[8:9], s[6:7]
	s_xor_b64 s[6:7], exec, s[8:9]
	s_cbranch_execnz .LBB292_1013
; %bb.753:                              ;   in Loop: Header=BB292_531 Depth=1
	s_or_saveexec_b64 s[6:7], s[6:7]
	v_mov_b32_e32 v25, s10
	s_xor_b64 exec, exec, s[6:7]
	s_cbranch_execnz .LBB292_1016
.LBB292_754:                            ;   in Loop: Header=BB292_531 Depth=1
	s_or_b64 exec, exec, s[6:7]
	v_mov_b32_e32 v8, v29
	s_and_saveexec_b64 s[6:7], s[2:3]
	s_cbranch_execz .LBB292_756
.LBB292_755:                            ;   in Loop: Header=BB292_531 Depth=1
	v_and_b32_e32 v16, 7, v29
	v_ffbh_u32_e32 v16, v16
	v_bfe_u32 v18, v29, 3, 4
	v_min_u32_e32 v16, 32, v16
	v_subrev_u32_e32 v23, 28, v16
	v_sub_u32_e32 v16, 29, v16
	v_cmp_eq_u32_e64 s[2:3], 0, v18
	s_nop 1
	v_cndmask_b32_e64 v16, v18, v16, s[2:3]
	v_cndmask_b32_e64 v18, 0, v23, s[2:3]
	v_lshlrev_b64 v[50:51], v18, v[8:9]
	v_lshlrev_b32_e32 v23, 8, v29
	v_lshl_add_u32 v16, v16, 10, v47
	v_lshlrev_b32_e32 v18, 7, v50
	v_and_or_b32 v16, v23, s28, v16
	v_and_or_b32 v16, v18, s29, v16
	v_cvt_f32_f16_e32 v25, v16
.LBB292_756:                            ;   in Loop: Header=BB292_531 Depth=1
	s_or_b64 exec, exec, s[6:7]
	v_lshrrev_b16_e32 v8, 8, v8
	v_cmp_lt_i16_e64 s[2:3], s15, v8
	s_mov_b64 s[6:7], 0
                                        ; implicit-def: $sgpr26
	s_and_saveexec_b64 s[8:9], s[2:3]
	s_xor_b64 s[8:9], exec, s[8:9]
	s_cbranch_execnz .LBB292_1017
; %bb.757:                              ;   in Loop: Header=BB292_531 Depth=1
	s_or_saveexec_b64 s[8:9], s[8:9]
	v_mov_b32_e32 v28, s26
	s_xor_b64 exec, exec, s[8:9]
	s_cbranch_execnz .LBB292_1020
.LBB292_758:                            ;   in Loop: Header=BB292_531 Depth=1
	s_or_b64 exec, exec, s[8:9]
	s_and_saveexec_b64 s[8:9], s[6:7]
	s_cbranch_execz .LBB292_760
.LBB292_759:                            ;   in Loop: Header=BB292_531 Depth=1
	v_and_b32_e32 v16, 7, v8
	v_ffbh_u32_e32 v23, v16
	v_bfe_u32 v18, v8, 3, 4
	v_min_u32_e32 v23, 32, v23
	v_subrev_u32_e32 v28, 28, v23
	v_sub_u32_e32 v23, 29, v23
	v_cmp_eq_u32_e64 s[2:3], 0, v18
	v_lshlrev_b64 v[50:51], v28, v[8:9]
	v_and_b32_e32 v28, 7, v50
	v_cndmask_b32_e64 v18, v18, v23, s[2:3]
	v_lshlrev_b32_e32 v8, 8, v8
	v_lshl_add_u32 v18, v18, 10, v47
	v_cndmask_b32_e64 v16, v16, v28, s[2:3]
	v_and_or_b32 v8, v8, s28, v18
	v_lshl_or_b32 v8, v16, 7, v8
	v_cvt_f32_f16_e32 v28, v8
.LBB292_760:                            ;   in Loop: Header=BB292_531 Depth=1
	s_or_b64 exec, exec, s[8:9]
	v_lshrrev_b32_e32 v8, 16, v29
	v_cmp_gt_i16_sdwa s[6:7], v8, s15 src0_sel:BYTE_0 src1_sel:DWORD
	s_mov_b64 s[2:3], 0
                                        ; implicit-def: $sgpr10
	s_and_saveexec_b64 s[8:9], s[6:7]
	s_xor_b64 s[6:7], exec, s[8:9]
	s_cbranch_execnz .LBB292_1021
; %bb.761:                              ;   in Loop: Header=BB292_531 Depth=1
	s_or_saveexec_b64 s[6:7], s[6:7]
	v_mov_b32_e32 v50, s10
	s_xor_b64 exec, exec, s[6:7]
	s_cbranch_execnz .LBB292_1024
.LBB292_762:                            ;   in Loop: Header=BB292_531 Depth=1
	s_or_b64 exec, exec, s[6:7]
	s_and_saveexec_b64 s[6:7], s[2:3]
	s_cbranch_execz .LBB292_764
.LBB292_763:                            ;   in Loop: Header=BB292_531 Depth=1
	v_bfe_u32 v16, v29, 16, 3
	v_ffbh_u32_e32 v23, v16
	v_bfe_u32 v18, v29, 19, 4
	v_min_u32_e32 v23, 32, v23
	v_subrev_u32_e32 v50, 28, v23
	v_sub_u32_e32 v23, 29, v23
	v_cmp_eq_u32_e64 s[2:3], 0, v18
	v_lshlrev_b64 v[50:51], v50, v[8:9]
	v_and_b32_e32 v50, 7, v50
	v_cndmask_b32_e64 v18, v18, v23, s[2:3]
	v_lshlrev_b32_e32 v8, 8, v8
	v_lshl_add_u32 v18, v18, 10, v47
	v_cndmask_b32_e64 v16, v16, v50, s[2:3]
	v_and_or_b32 v8, v8, s28, v18
	v_lshl_or_b32 v8, v16, 7, v8
	v_cvt_f32_f16_e32 v50, v8
.LBB292_764:                            ;   in Loop: Header=BB292_531 Depth=1
	s_or_b64 exec, exec, s[6:7]
	v_lshrrev_b32_e32 v8, 24, v29
	v_cmp_lt_i16_e64 s[2:3], s15, v8
	s_mov_b64 s[6:7], 0
                                        ; implicit-def: $sgpr26
	s_and_saveexec_b64 s[8:9], s[2:3]
	s_xor_b64 s[8:9], exec, s[8:9]
	s_cbranch_execnz .LBB292_1025
; %bb.765:                              ;   in Loop: Header=BB292_531 Depth=1
	s_or_saveexec_b64 s[8:9], s[8:9]
	v_mov_b32_e32 v51, s26
	s_xor_b64 exec, exec, s[8:9]
	s_cbranch_execnz .LBB292_1028
.LBB292_766:                            ;   in Loop: Header=BB292_531 Depth=1
	s_or_b64 exec, exec, s[8:9]
	s_and_saveexec_b64 s[8:9], s[6:7]
	s_cbranch_execz .LBB292_768
.LBB292_767:                            ;   in Loop: Header=BB292_531 Depth=1
	v_bfe_u32 v16, v29, 24, 3
	v_ffbh_u32_e32 v23, v16
	v_bfe_u32 v18, v29, 27, 4
	v_min_u32_e32 v23, 32, v23
	v_subrev_u32_e32 v29, 28, v23
	v_sub_u32_e32 v23, 29, v23
	v_cmp_eq_u32_e64 s[2:3], 0, v18
	v_lshlrev_b64 v[44:45], v29, v[8:9]
	v_and_b32_e32 v29, 7, v44
	v_cndmask_b32_e64 v18, v18, v23, s[2:3]
	v_lshlrev_b32_e32 v8, 8, v8
	v_lshl_add_u32 v18, v18, 10, v47
	v_cndmask_b32_e64 v16, v16, v29, s[2:3]
	v_and_or_b32 v8, v8, s28, v18
	v_lshl_or_b32 v8, v16, 7, v8
	v_cvt_f32_f16_e32 v51, v8
.LBB292_768:                            ;   in Loop: Header=BB292_531 Depth=1
	s_or_b64 exec, exec, s[8:9]
	v_pk_mul_f32 v[48:49], v[24:25], v[48:49] op_sel_hi:[0,1]
	v_pk_mul_f32 v[30:31], v[24:25], v[30:31] op_sel_hi:[0,1]
	v_cvt_f16_f32_e32 v8, v49
	v_cvt_f16_f32_e32 v16, v48
	;; [unrolled: 1-line block ×4, first 2 shown]
	v_pack_b32_f16 v16, v16, v8
	v_pack_b32_f16 v18, v23, v18
	v_perm_b32 v8, v18, v16, s30
	v_perm_b32 v29, v18, v16, s31
	v_fma_mixlo_f16 v16, v24, v28, 0
	v_lshlrev_b32_e32 v16, 16, v16
	v_fma_mixlo_f16 v18, v24, v25, 0
	v_or_b32_sdwa v25, v16, v18 dst_sel:DWORD dst_unused:UNUSED_PAD src0_sel:DWORD src1_sel:WORD_0
	v_fma_mixlo_f16 v16, v24, v51, 0
	v_fma_mixlo_f16 v28, v24, v50, 0
	v_lshlrev_b32_e32 v16, 16, v16
	v_or_b32_sdwa v24, v16, v28 dst_sel:DWORD dst_unused:UNUSED_PAD src0_sel:DWORD src1_sel:WORD_0
	s_and_saveexec_b64 s[6:7], s[0:1]
	s_cbranch_execz .LBB292_770
; %bb.769:                              ;   in Loop: Header=BB292_531 Depth=1
	v_add_u32_e32 v16, 1, v56
	v_lshrrev_b32_e32 v18, 16, v29
	v_cmp_lt_i32_e64 s[2:3], v16, v7
	v_accvgpr_read_b32 v30, a8
	v_lshrrev_b32_e32 v23, 16, v8
	v_cndmask_b32_e64 v16, 0, v18, s[2:3]
	v_cmp_lt_i32_e64 s[2:3], v56, v30
	s_nop 1
	v_cndmask_b32_e64 v18, 0, v29, s[2:3]
	v_perm_b32 v29, v16, v18, s34
	v_or_b32_e32 v16, 3, v56
	v_or_b32_e32 v18, 2, v56
	v_cmp_lt_i32_e64 s[2:3], v16, v7
	s_nop 1
	v_cndmask_b32_e64 v16, 0, v23, s[2:3]
	v_cmp_lt_i32_e64 s[2:3], v18, v30
	v_or_b32_e32 v18, 4, v56
	v_lshrrev_b32_e32 v23, 16, v25
	v_cndmask_b32_e64 v8, 0, v8, s[2:3]
	v_perm_b32 v8, v16, v8, s34
	v_or_b32_e32 v16, 5, v56
	v_cmp_lt_i32_e64 s[2:3], v16, v7
	s_nop 1
	v_cndmask_b32_e64 v16, 0, v23, s[2:3]
	v_cmp_lt_i32_e64 s[2:3], v18, v30
	v_lshrrev_b32_e32 v23, 16, v24
	s_nop 0
	v_cndmask_b32_e64 v18, 0, v25, s[2:3]
	v_perm_b32 v25, v16, v18, s34
	v_or_b32_e32 v16, 7, v56
	v_or_b32_e32 v18, 6, v56
	v_cmp_lt_i32_e64 s[2:3], v16, v7
	s_nop 1
	v_cndmask_b32_e64 v16, 0, v23, s[2:3]
	v_cmp_lt_i32_e64 s[2:3], v18, v30
	s_nop 1
	v_cndmask_b32_e64 v18, 0, v28, s[2:3]
	v_perm_b32 v24, v16, v18, s34
.LBB292_770:                            ;   in Loop: Header=BB292_531 Depth=1
	s_or_b64 exec, exec, s[6:7]
	v_add_f32_e32 v4, v4, v5
	v_add_f32_e32 v33, v33, v4
	;; [unrolled: 1-line block ×10, first 2 shown]
	;;#ASMSTART
	v_pk_mul_f16 v4, v60, v29;

	;;#ASMEND
	;;#ASMSTART
	v_pk_mul_f16 v5, v59, v8;

	;;#ASMEND
	;; [unrolled: 4-line block ×4, first 2 shown]
	v_add_f32_e32 v16, v61, v62
	;;#ASMSTART
	v_pk_add_f16 v4, v4, v5;

	;;#ASMEND
	v_add_f32_e32 v32, v32, v16
	;;#ASMSTART
	v_pk_add_f16 v4, v4, v6;

	;;#ASMEND
	s_nop 0
	;;#ASMSTART
	v_pk_add_f16 v4, v4, v8;

	;;#ASMEND
	s_nop 0
	v_lshrrev_b32_e32 v5, 16, v4
	v_and_b32_e32 v4, 0xffff, v4
	;;#ASMSTART
	v_cvt_f32_f16 v4, v4;
	;;#ASMEND
	;;#ASMSTART
	v_cvt_f32_f16 v5, v5;
	;;#ASMEND
	s_nop 0
	v_add_f32_e32 v4, v4, v5
	v_add_f32_e32 v38, v38, v4
	s_and_saveexec_b64 s[6:7], vcc
	s_cbranch_execz .LBB292_529
; %bb.771:                              ;   in Loop: Header=BB292_531 Depth=1
	v_lshl_add_u64 v[4:5], v[20:21], 0, v[10:11]
	flat_load_dwordx2 v[24:25], v[4:5]
	v_accvgpr_read_b32 v4, a4
	v_accvgpr_read_b32 v5, a5
	flat_load_dword v20, v[4:5]
	s_mov_b64 s[2:3], 0
                                        ; implicit-def: $sgpr26
	s_waitcnt vmcnt(0) lgkmcnt(0)
	v_cmp_gt_i16_sdwa s[8:9], v24, s15 src0_sel:BYTE_0 src1_sel:DWORD
	s_and_saveexec_b64 s[10:11], s[8:9]
	s_xor_b64 s[8:9], exec, s[10:11]
	s_cbranch_execnz .LBB292_1029
; %bb.772:                              ;   in Loop: Header=BB292_531 Depth=1
	s_or_saveexec_b64 s[8:9], s[8:9]
	v_mov_b32_e32 v28, s26
	s_xor_b64 exec, exec, s[8:9]
	s_cbranch_execnz .LBB292_1032
.LBB292_773:                            ;   in Loop: Header=BB292_531 Depth=1
	s_or_b64 exec, exec, s[8:9]
	s_and_saveexec_b64 s[8:9], s[2:3]
	s_cbranch_execz .LBB292_775
.LBB292_774:                            ;   in Loop: Header=BB292_531 Depth=1
	v_and_b32_e32 v4, 7, v24
	v_ffbh_u32_e32 v4, v4
	v_bfe_u32 v5, v24, 3, 4
	v_min_u32_e32 v4, 32, v4
	v_subrev_u32_e32 v6, 28, v4
	v_sub_u32_e32 v4, 29, v4
	v_cmp_eq_u32_e64 s[2:3], 0, v5
	s_nop 1
	v_cndmask_b32_e64 v8, v5, v4, s[2:3]
	v_cndmask_b32_e64 v4, 0, v6, s[2:3]
	v_lshlrev_b64 v[4:5], v4, v[24:25]
	v_lshlrev_b32_e32 v5, 8, v24
	v_lshl_add_u32 v6, v8, 10, v47
	v_lshlrev_b32_e32 v4, 7, v4
	v_and_or_b32 v5, v5, s28, v6
	v_and_or_b32 v4, v4, s29, v5
	v_cvt_f32_f16_e32 v28, v4
.LBB292_775:                            ;   in Loop: Header=BB292_531 Depth=1
	s_or_b64 exec, exec, s[8:9]
	v_lshrrev_b16_e32 v8, 8, v24
	v_cmp_lt_i16_e64 s[2:3], s15, v8
	s_mov_b64 s[8:9], 0
                                        ; implicit-def: $sgpr35
	s_and_saveexec_b64 s[10:11], s[2:3]
	s_xor_b64 s[10:11], exec, s[10:11]
	s_cbranch_execnz .LBB292_1033
; %bb.776:                              ;   in Loop: Header=BB292_531 Depth=1
	s_or_saveexec_b64 s[10:11], s[10:11]
	v_mov_b32_e32 v30, s35
	s_xor_b64 exec, exec, s[10:11]
	s_cbranch_execnz .LBB292_1036
.LBB292_777:                            ;   in Loop: Header=BB292_531 Depth=1
	s_or_b64 exec, exec, s[10:11]
	s_and_saveexec_b64 s[10:11], s[8:9]
	s_cbranch_execz .LBB292_779
.LBB292_778:                            ;   in Loop: Header=BB292_531 Depth=1
	v_and_b32_e32 v6, 7, v8
	v_ffbh_u32_e32 v4, v6
	v_min_u32_e32 v17, 32, v4
	v_subrev_u32_e32 v4, 28, v17
	v_bfe_u32 v16, v8, 3, 4
	v_lshlrev_b64 v[4:5], v4, v[8:9]
	v_sub_u32_e32 v5, 29, v17
	v_cmp_eq_u32_e64 s[2:3], 0, v16
	v_and_b32_e32 v4, 7, v4
	s_nop 0
	v_cndmask_b32_e64 v5, v16, v5, s[2:3]
	v_cndmask_b32_e64 v4, v6, v4, s[2:3]
	v_lshlrev_b32_e32 v6, 8, v8
	v_lshl_add_u32 v5, v5, 10, v47
	v_and_or_b32 v5, v6, s28, v5
	v_lshl_or_b32 v4, v4, 7, v5
	v_cvt_f32_f16_e32 v30, v4
.LBB292_779:                            ;   in Loop: Header=BB292_531 Depth=1
	s_or_b64 exec, exec, s[10:11]
	v_lshrrev_b32_e32 v8, 16, v24
	v_cmp_gt_i16_sdwa s[8:9], v8, s15 src0_sel:BYTE_0 src1_sel:DWORD
	s_mov_b64 s[2:3], 0
                                        ; implicit-def: $sgpr26
	s_and_saveexec_b64 s[10:11], s[8:9]
	s_xor_b64 s[8:9], exec, s[10:11]
	s_cbranch_execnz .LBB292_1037
; %bb.780:                              ;   in Loop: Header=BB292_531 Depth=1
	s_or_saveexec_b64 s[8:9], s[8:9]
	v_mov_b32_e32 v29, s26
	s_xor_b64 exec, exec, s[8:9]
	s_cbranch_execnz .LBB292_1040
.LBB292_781:                            ;   in Loop: Header=BB292_531 Depth=1
	s_or_b64 exec, exec, s[8:9]
	s_and_saveexec_b64 s[8:9], s[2:3]
	s_cbranch_execz .LBB292_783
.LBB292_782:                            ;   in Loop: Header=BB292_531 Depth=1
	v_bfe_u32 v6, v24, 16, 3
	v_ffbh_u32_e32 v4, v6
	v_min_u32_e32 v17, 32, v4
	v_subrev_u32_e32 v4, 28, v17
	v_bfe_u32 v16, v24, 19, 4
	v_lshlrev_b64 v[4:5], v4, v[8:9]
	v_sub_u32_e32 v5, 29, v17
	v_cmp_eq_u32_e64 s[2:3], 0, v16
	v_and_b32_e32 v4, 7, v4
	s_nop 0
	v_cndmask_b32_e64 v5, v16, v5, s[2:3]
	v_cndmask_b32_e64 v4, v6, v4, s[2:3]
	v_lshlrev_b32_e32 v6, 8, v8
	v_lshl_add_u32 v5, v5, 10, v47
	v_and_or_b32 v5, v6, s28, v5
	v_lshl_or_b32 v4, v4, 7, v5
	v_cvt_f32_f16_e32 v29, v4
.LBB292_783:                            ;   in Loop: Header=BB292_531 Depth=1
	s_or_b64 exec, exec, s[8:9]
	v_lshrrev_b32_e32 v8, 24, v24
	v_cmp_lt_i16_e64 s[2:3], s15, v8
	s_mov_b64 s[8:9], 0
                                        ; implicit-def: $sgpr35
	s_and_saveexec_b64 s[10:11], s[2:3]
	s_xor_b64 s[10:11], exec, s[10:11]
	s_cbranch_execnz .LBB292_1041
; %bb.784:                              ;   in Loop: Header=BB292_531 Depth=1
	s_or_saveexec_b64 s[10:11], s[10:11]
	v_mov_b32_e32 v31, s35
	s_xor_b64 exec, exec, s[10:11]
	s_cbranch_execnz .LBB292_1044
.LBB292_785:                            ;   in Loop: Header=BB292_531 Depth=1
	s_or_b64 exec, exec, s[10:11]
	s_and_saveexec_b64 s[10:11], s[8:9]
	s_cbranch_execz .LBB292_787
.LBB292_786:                            ;   in Loop: Header=BB292_531 Depth=1
	v_bfe_u32 v6, v24, 24, 3
	v_ffbh_u32_e32 v4, v6
	v_min_u32_e32 v17, 32, v4
	v_subrev_u32_e32 v4, 28, v17
	v_bfe_u32 v16, v24, 27, 4
	v_lshlrev_b64 v[4:5], v4, v[8:9]
	v_sub_u32_e32 v5, 29, v17
	v_cmp_eq_u32_e64 s[2:3], 0, v16
	v_and_b32_e32 v4, 7, v4
	s_nop 0
	v_cndmask_b32_e64 v5, v16, v5, s[2:3]
	v_cndmask_b32_e64 v4, v6, v4, s[2:3]
	v_lshlrev_b32_e32 v6, 8, v8
	v_lshl_add_u32 v5, v5, 10, v47
	v_and_or_b32 v5, v6, s28, v5
	v_lshl_or_b32 v4, v4, 7, v5
	v_cvt_f32_f16_e32 v31, v4
.LBB292_787:                            ;   in Loop: Header=BB292_531 Depth=1
	s_or_b64 exec, exec, s[10:11]
	v_cmp_gt_i16_sdwa s[8:9], v25, s15 src0_sel:BYTE_0 src1_sel:DWORD
	s_mov_b64 s[2:3], 0
                                        ; implicit-def: $sgpr26
	s_and_saveexec_b64 s[10:11], s[8:9]
	s_xor_b64 s[8:9], exec, s[10:11]
	s_cbranch_execnz .LBB292_1045
; %bb.788:                              ;   in Loop: Header=BB292_531 Depth=1
	s_or_saveexec_b64 s[8:9], s[8:9]
	v_mov_b32_e32 v4, s26
	s_xor_b64 exec, exec, s[8:9]
	s_cbranch_execnz .LBB292_1048
.LBB292_789:                            ;   in Loop: Header=BB292_531 Depth=1
	s_or_b64 exec, exec, s[8:9]
	v_mov_b32_e32 v8, v25
	s_and_saveexec_b64 s[8:9], s[2:3]
	s_cbranch_execz .LBB292_791
.LBB292_790:                            ;   in Loop: Header=BB292_531 Depth=1
	v_and_b32_e32 v4, 7, v25
	v_ffbh_u32_e32 v4, v4
	v_bfe_u32 v5, v25, 3, 4
	v_min_u32_e32 v4, 32, v4
	v_subrev_u32_e32 v6, 28, v4
	v_sub_u32_e32 v4, 29, v4
	v_cmp_eq_u32_e64 s[2:3], 0, v5
	s_nop 1
	v_cndmask_b32_e64 v16, v5, v4, s[2:3]
	v_cndmask_b32_e64 v4, 0, v6, s[2:3]
	v_lshlrev_b64 v[4:5], v4, v[8:9]
	v_lshlrev_b32_e32 v5, 8, v25
	v_lshl_add_u32 v6, v16, 10, v47
	v_lshlrev_b32_e32 v4, 7, v4
	v_and_or_b32 v5, v5, s28, v6
	v_and_or_b32 v4, v4, s29, v5
	v_cvt_f32_f16_e32 v4, v4
.LBB292_791:                            ;   in Loop: Header=BB292_531 Depth=1
	s_or_b64 exec, exec, s[8:9]
	v_lshrrev_b16_e32 v8, 8, v8
	v_cmp_lt_i16_e64 s[2:3], s15, v8
	s_mov_b64 s[8:9], 0
                                        ; implicit-def: $sgpr35
	s_and_saveexec_b64 s[10:11], s[2:3]
	s_xor_b64 s[10:11], exec, s[10:11]
	s_cbranch_execnz .LBB292_1049
; %bb.792:                              ;   in Loop: Header=BB292_531 Depth=1
	s_or_saveexec_b64 s[10:11], s[10:11]
	v_mov_b32_e32 v5, s35
	s_xor_b64 exec, exec, s[10:11]
	s_cbranch_execnz .LBB292_1052
.LBB292_793:                            ;   in Loop: Header=BB292_531 Depth=1
	s_or_b64 exec, exec, s[10:11]
	s_and_saveexec_b64 s[10:11], s[8:9]
	s_cbranch_execz .LBB292_795
.LBB292_794:                            ;   in Loop: Header=BB292_531 Depth=1
	v_and_b32_e32 v5, 7, v8
	v_ffbh_u32_e32 v16, v5
	v_bfe_u32 v6, v8, 3, 4
	v_min_u32_e32 v16, 32, v16
	v_subrev_u32_e32 v17, 28, v16
	v_sub_u32_e32 v16, 29, v16
	v_cmp_eq_u32_e64 s[2:3], 0, v6
	v_lshlrev_b64 v[26:27], v17, v[8:9]
	v_and_b32_e32 v17, 7, v26
	v_cndmask_b32_e64 v6, v6, v16, s[2:3]
	v_lshlrev_b32_e32 v8, 8, v8
	v_lshl_add_u32 v6, v6, 10, v47
	v_cndmask_b32_e64 v5, v5, v17, s[2:3]
	v_and_or_b32 v6, v8, s28, v6
	v_lshl_or_b32 v5, v5, 7, v6
	v_cvt_f32_f16_e32 v5, v5
.LBB292_795:                            ;   in Loop: Header=BB292_531 Depth=1
	s_or_b64 exec, exec, s[10:11]
	v_lshrrev_b32_e32 v8, 16, v25
	v_cmp_gt_i16_sdwa s[8:9], v8, s15 src0_sel:BYTE_0 src1_sel:DWORD
	s_mov_b64 s[2:3], 0
                                        ; implicit-def: $sgpr26
	s_and_saveexec_b64 s[10:11], s[8:9]
	s_xor_b64 s[8:9], exec, s[10:11]
	s_cbranch_execnz .LBB292_1053
; %bb.796:                              ;   in Loop: Header=BB292_531 Depth=1
	s_or_saveexec_b64 s[8:9], s[8:9]
	v_mov_b32_e32 v6, s26
	s_xor_b64 exec, exec, s[8:9]
	s_cbranch_execnz .LBB292_1056
.LBB292_797:                            ;   in Loop: Header=BB292_531 Depth=1
	s_or_b64 exec, exec, s[8:9]
	s_and_saveexec_b64 s[8:9], s[2:3]
	s_cbranch_execz .LBB292_799
.LBB292_798:                            ;   in Loop: Header=BB292_531 Depth=1
	v_bfe_u32 v6, v25, 16, 3
	v_ffbh_u32_e32 v17, v6
	v_bfe_u32 v16, v25, 19, 4
	v_min_u32_e32 v17, 32, v17
	v_subrev_u32_e32 v18, 28, v17
	v_sub_u32_e32 v17, 29, v17
	v_cmp_eq_u32_e64 s[2:3], 0, v16
	v_lshlrev_b64 v[26:27], v18, v[8:9]
	v_and_b32_e32 v18, 7, v26
	v_cndmask_b32_e64 v16, v16, v17, s[2:3]
	v_lshlrev_b32_e32 v8, 8, v8
	v_lshl_add_u32 v16, v16, 10, v47
	v_cndmask_b32_e64 v6, v6, v18, s[2:3]
	v_and_or_b32 v8, v8, s28, v16
	v_lshl_or_b32 v6, v6, 7, v8
	v_cvt_f32_f16_e32 v6, v6
.LBB292_799:                            ;   in Loop: Header=BB292_531 Depth=1
	s_or_b64 exec, exec, s[8:9]
	v_lshrrev_b32_e32 v8, 24, v25
	v_cmp_lt_i16_e64 s[2:3], s15, v8
	s_mov_b64 s[8:9], 0
                                        ; implicit-def: $sgpr35
	s_and_saveexec_b64 s[10:11], s[2:3]
	s_xor_b64 s[10:11], exec, s[10:11]
	s_cbranch_execnz .LBB292_1057
; %bb.800:                              ;   in Loop: Header=BB292_531 Depth=1
	s_or_saveexec_b64 s[10:11], s[10:11]
	v_mov_b32_e32 v21, s35
	s_xor_b64 exec, exec, s[10:11]
	s_cbranch_execnz .LBB292_1060
.LBB292_801:                            ;   in Loop: Header=BB292_531 Depth=1
	s_or_b64 exec, exec, s[10:11]
	s_and_saveexec_b64 s[10:11], s[8:9]
	s_cbranch_execz .LBB292_803
.LBB292_802:                            ;   in Loop: Header=BB292_531 Depth=1
	v_bfe_u32 v16, v25, 24, 3
	v_ffbh_u32_e32 v18, v16
	v_bfe_u32 v17, v25, 27, 4
	v_min_u32_e32 v18, 32, v18
	v_subrev_u32_e32 v21, 28, v18
	v_sub_u32_e32 v18, 29, v18
	v_cmp_eq_u32_e64 s[2:3], 0, v17
	v_lshlrev_b64 v[24:25], v21, v[8:9]
	v_and_b32_e32 v21, 7, v24
	v_cndmask_b32_e64 v17, v17, v18, s[2:3]
	v_lshlrev_b32_e32 v8, 8, v8
	v_lshl_add_u32 v17, v17, 10, v47
	v_cndmask_b32_e64 v16, v16, v21, s[2:3]
	v_and_or_b32 v8, v8, s28, v17
	v_lshl_or_b32 v8, v16, 7, v8
	v_cvt_f32_f16_e32 v21, v8
.LBB292_803:                            ;   in Loop: Header=BB292_531 Depth=1
	s_or_b64 exec, exec, s[10:11]
	v_pk_mul_f32 v[24:25], v[20:21], v[30:31] op_sel_hi:[0,1]
	v_pk_mul_f32 v[26:27], v[20:21], v[28:29] op_sel_hi:[0,1]
	v_cvt_f16_f32_e32 v8, v25
	v_cvt_f16_f32_e32 v16, v24
	;; [unrolled: 1-line block ×4, first 2 shown]
	v_fma_mixlo_f16 v5, v20, v5, 0
	v_lshlrev_b32_e32 v5, 16, v5
	v_fma_mixlo_f16 v4, v20, v4, 0
	v_or_b32_sdwa v4, v5, v4 dst_sel:DWORD dst_unused:UNUSED_PAD src0_sel:DWORD src1_sel:WORD_0
	v_fma_mixlo_f16 v5, v20, v21, 0
	v_pack_b32_f16 v16, v16, v8
	v_pack_b32_f16 v17, v18, v17
	v_fma_mixlo_f16 v6, v20, v6, 0
	v_lshlrev_b32_e32 v5, 16, v5
	v_perm_b32 v8, v17, v16, s30
	v_perm_b32 v17, v17, v16, s31
	v_or_b32_sdwa v5, v5, v6 dst_sel:DWORD dst_unused:UNUSED_PAD src0_sel:DWORD src1_sel:WORD_0
	s_and_saveexec_b64 s[2:3], s[0:1]
	s_cbranch_execz .LBB292_528
; %bb.804:                              ;   in Loop: Header=BB292_531 Depth=1
	v_add_u32_e32 v16, 1, v56
	v_lshrrev_b32_e32 v18, 16, v17
	v_cmp_lt_i32_e64 s[0:1], v16, v7
	v_accvgpr_read_b32 v22, a8
	v_lshrrev_b32_e32 v20, 16, v8
	v_cndmask_b32_e64 v16, 0, v18, s[0:1]
	v_cmp_lt_i32_e64 s[0:1], v56, v22
	v_or_b32_e32 v18, 2, v56
	v_lshrrev_b32_e32 v5, 16, v5
	v_cndmask_b32_e64 v17, 0, v17, s[0:1]
	v_perm_b32 v17, v16, v17, s34
	v_or_b32_e32 v16, 3, v56
	v_cmp_lt_i32_e64 s[0:1], v16, v7
	s_nop 1
	v_cndmask_b32_e64 v16, 0, v20, s[0:1]
	v_cmp_lt_i32_e64 s[0:1], v18, v22
	v_or_b32_e32 v18, 4, v56
	v_lshrrev_b32_e32 v20, 16, v4
	v_cndmask_b32_e64 v8, 0, v8, s[0:1]
	v_perm_b32 v8, v16, v8, s34
	v_or_b32_e32 v16, 5, v56
	v_cmp_lt_i32_e64 s[0:1], v16, v7
	s_nop 1
	v_cndmask_b32_e64 v16, 0, v20, s[0:1]
	v_cmp_lt_i32_e64 s[0:1], v18, v22
	v_or_b32_e32 v18, 6, v56
	s_nop 0
	v_cndmask_b32_e64 v4, 0, v4, s[0:1]
	v_perm_b32 v4, v16, v4, s34
	v_or_b32_e32 v16, 7, v56
	v_cmp_lt_i32_e64 s[0:1], v16, v7
	s_nop 1
	v_cndmask_b32_e64 v5, 0, v5, s[0:1]
	v_cmp_lt_i32_e64 s[0:1], v18, v22
	s_nop 1
	v_cndmask_b32_e64 v6, 0, v6, s[0:1]
	v_perm_b32 v5, v5, v6, s34
	s_branch .LBB292_528
.LBB292_805:                            ;   in Loop: Header=BB292_531 Depth=1
	v_cmp_eq_u16_sdwa s[10:11], v30, s21 src0_sel:BYTE_0 src1_sel:DWORD
	s_mov_b64 s[0:1], -1
                                        ; implicit-def: $sgpr8
	s_and_saveexec_b64 s[6:7], s[10:11]
; %bb.806:                              ;   in Loop: Header=BB292_531 Depth=1
	s_mov_b32 s8, 0x7fc02000
	s_xor_b64 s[0:1], exec, -1
; %bb.807:                              ;   in Loop: Header=BB292_531 Depth=1
	s_or_b64 exec, exec, s[6:7]
	s_and_b64 s[0:1], s[0:1], exec
	s_or_saveexec_b64 s[2:3], s[2:3]
	v_mov_b32_e32 v48, s8
	s_xor_b64 exec, exec, s[2:3]
	s_cbranch_execz .LBB292_534
.LBB292_808:                            ;   in Loop: Header=BB292_531 Depth=1
	v_cmp_ne_u16_sdwa s[6:7], v30, v9 src0_sel:BYTE_0 src1_sel:DWORD
	s_andn2_b64 s[0:1], s[0:1], exec
	s_and_b64 s[6:7], s[6:7], exec
	v_mov_b32_e32 v48, 0
	s_or_b64 s[0:1], s[0:1], s[6:7]
	s_or_b64 exec, exec, s[2:3]
	s_and_saveexec_b64 s[2:3], s[0:1]
	s_cbranch_execnz .LBB292_535
	s_branch .LBB292_536
.LBB292_809:                            ;   in Loop: Header=BB292_531 Depth=1
	v_cmp_eq_u16_e64 s[0:1], s21, v8
	s_mov_b64 s[2:3], -1
                                        ; implicit-def: $sgpr10
	s_and_saveexec_b64 s[8:9], s[0:1]
; %bb.810:                              ;   in Loop: Header=BB292_531 Depth=1
	s_mov_b32 s10, 0x7fc02000
	s_xor_b64 s[2:3], exec, -1
; %bb.811:                              ;   in Loop: Header=BB292_531 Depth=1
	s_or_b64 exec, exec, s[8:9]
	s_and_b64 s[2:3], s[2:3], exec
	s_or_saveexec_b64 s[6:7], s[6:7]
	v_mov_b32_e32 v50, s10
	s_xor_b64 exec, exec, s[6:7]
	s_cbranch_execz .LBB292_538
.LBB292_812:                            ;   in Loop: Header=BB292_531 Depth=1
	v_cmp_ne_u16_e64 s[0:1], 0, v8
	s_andn2_b64 s[2:3], s[2:3], exec
	s_and_b64 s[0:1], s[0:1], exec
	v_mov_b32_e32 v50, 0
	s_or_b64 s[2:3], s[2:3], s[0:1]
	s_or_b64 exec, exec, s[6:7]
	s_and_saveexec_b64 s[6:7], s[2:3]
	s_cbranch_execnz .LBB292_539
	s_branch .LBB292_540
.LBB292_813:                            ;   in Loop: Header=BB292_531 Depth=1
	v_cmp_eq_u16_sdwa s[10:11], v8, s21 src0_sel:BYTE_0 src1_sel:DWORD
	s_mov_b64 s[0:1], -1
                                        ; implicit-def: $sgpr8
	s_and_saveexec_b64 s[6:7], s[10:11]
; %bb.814:                              ;   in Loop: Header=BB292_531 Depth=1
	s_mov_b32 s8, 0x7fc02000
	s_xor_b64 s[0:1], exec, -1
; %bb.815:                              ;   in Loop: Header=BB292_531 Depth=1
	s_or_b64 exec, exec, s[6:7]
	s_and_b64 s[0:1], s[0:1], exec
	s_or_saveexec_b64 s[2:3], s[2:3]
	v_mov_b32_e32 v49, s8
	s_xor_b64 exec, exec, s[2:3]
	s_cbranch_execz .LBB292_542
.LBB292_816:                            ;   in Loop: Header=BB292_531 Depth=1
	v_cmp_ne_u16_sdwa s[6:7], v8, v9 src0_sel:BYTE_0 src1_sel:DWORD
	s_andn2_b64 s[0:1], s[0:1], exec
	s_and_b64 s[6:7], s[6:7], exec
	v_mov_b32_e32 v49, 0
	s_or_b64 s[0:1], s[0:1], s[6:7]
	s_or_b64 exec, exec, s[2:3]
	s_and_saveexec_b64 s[2:3], s[0:1]
	s_cbranch_execnz .LBB292_543
	s_branch .LBB292_544
.LBB292_817:                            ;   in Loop: Header=BB292_531 Depth=1
	v_cmp_eq_u16_e64 s[0:1], s21, v8
	s_mov_b64 s[2:3], -1
                                        ; implicit-def: $sgpr10
	s_and_saveexec_b64 s[8:9], s[0:1]
; %bb.818:                              ;   in Loop: Header=BB292_531 Depth=1
	s_mov_b32 s10, 0x7fc02000
	s_xor_b64 s[2:3], exec, -1
; %bb.819:                              ;   in Loop: Header=BB292_531 Depth=1
	s_or_b64 exec, exec, s[8:9]
	s_and_b64 s[2:3], s[2:3], exec
	s_or_saveexec_b64 s[6:7], s[6:7]
	v_mov_b32_e32 v51, s10
	s_xor_b64 exec, exec, s[6:7]
	s_cbranch_execz .LBB292_546
.LBB292_820:                            ;   in Loop: Header=BB292_531 Depth=1
	v_cmp_ne_u16_e64 s[0:1], 0, v8
	s_andn2_b64 s[2:3], s[2:3], exec
	s_and_b64 s[0:1], s[0:1], exec
	v_mov_b32_e32 v51, 0
	s_or_b64 s[2:3], s[2:3], s[0:1]
	s_or_b64 exec, exec, s[6:7]
	s_and_saveexec_b64 s[6:7], s[2:3]
	s_cbranch_execnz .LBB292_547
	s_branch .LBB292_548
.LBB292_821:                            ;   in Loop: Header=BB292_531 Depth=1
	v_cmp_eq_u16_sdwa s[10:11], v31, s21 src0_sel:BYTE_0 src1_sel:DWORD
	s_mov_b64 s[0:1], -1
                                        ; implicit-def: $sgpr8
	s_and_saveexec_b64 s[6:7], s[10:11]
; %bb.822:                              ;   in Loop: Header=BB292_531 Depth=1
	s_mov_b32 s8, 0x7fc02000
	s_xor_b64 s[0:1], exec, -1
; %bb.823:                              ;   in Loop: Header=BB292_531 Depth=1
	s_or_b64 exec, exec, s[6:7]
	s_and_b64 s[0:1], s[0:1], exec
	s_or_saveexec_b64 s[2:3], s[2:3]
	v_mov_b32_e32 v30, s8
	s_xor_b64 exec, exec, s[2:3]
	s_cbranch_execz .LBB292_550
.LBB292_824:                            ;   in Loop: Header=BB292_531 Depth=1
	v_cmp_ne_u16_sdwa s[6:7], v31, v9 src0_sel:BYTE_0 src1_sel:DWORD
	s_andn2_b64 s[0:1], s[0:1], exec
	s_and_b64 s[6:7], s[6:7], exec
	v_mov_b32_e32 v30, 0
	s_or_b64 s[0:1], s[0:1], s[6:7]
	s_or_b64 exec, exec, s[2:3]
	v_mov_b32_e32 v8, v31
	s_and_saveexec_b64 s[2:3], s[0:1]
	s_cbranch_execnz .LBB292_551
	s_branch .LBB292_552
.LBB292_825:                            ;   in Loop: Header=BB292_531 Depth=1
	v_cmp_eq_u16_e64 s[0:1], s21, v8
	s_mov_b64 s[2:3], -1
                                        ; implicit-def: $sgpr10
	s_and_saveexec_b64 s[8:9], s[0:1]
; %bb.826:                              ;   in Loop: Header=BB292_531 Depth=1
	s_mov_b32 s10, 0x7fc02000
	s_xor_b64 s[2:3], exec, -1
; %bb.827:                              ;   in Loop: Header=BB292_531 Depth=1
	s_or_b64 exec, exec, s[8:9]
	s_and_b64 s[2:3], s[2:3], exec
	s_or_saveexec_b64 s[6:7], s[6:7]
	v_mov_b32_e32 v52, s10
	s_xor_b64 exec, exec, s[6:7]
	s_cbranch_execz .LBB292_554
.LBB292_828:                            ;   in Loop: Header=BB292_531 Depth=1
	v_cmp_ne_u16_e64 s[0:1], 0, v8
	s_andn2_b64 s[2:3], s[2:3], exec
	s_and_b64 s[0:1], s[0:1], exec
	v_mov_b32_e32 v52, 0
	s_or_b64 s[2:3], s[2:3], s[0:1]
	s_or_b64 exec, exec, s[6:7]
	s_and_saveexec_b64 s[6:7], s[2:3]
	s_cbranch_execnz .LBB292_555
	s_branch .LBB292_556
.LBB292_829:                            ;   in Loop: Header=BB292_531 Depth=1
	v_cmp_eq_u16_sdwa s[10:11], v8, s21 src0_sel:BYTE_0 src1_sel:DWORD
	s_mov_b64 s[0:1], -1
                                        ; implicit-def: $sgpr8
	s_and_saveexec_b64 s[6:7], s[10:11]
; %bb.830:                              ;   in Loop: Header=BB292_531 Depth=1
	s_mov_b32 s8, 0x7fc02000
	s_xor_b64 s[0:1], exec, -1
; %bb.831:                              ;   in Loop: Header=BB292_531 Depth=1
	s_or_b64 exec, exec, s[6:7]
	s_and_b64 s[0:1], s[0:1], exec
	s_or_saveexec_b64 s[2:3], s[2:3]
	v_mov_b32_e32 v53, s8
	s_xor_b64 exec, exec, s[2:3]
	s_cbranch_execz .LBB292_558
.LBB292_832:                            ;   in Loop: Header=BB292_531 Depth=1
	v_cmp_ne_u16_sdwa s[6:7], v8, v9 src0_sel:BYTE_0 src1_sel:DWORD
	s_andn2_b64 s[0:1], s[0:1], exec
	s_and_b64 s[6:7], s[6:7], exec
	v_mov_b32_e32 v53, 0
	s_or_b64 s[0:1], s[0:1], s[6:7]
	s_or_b64 exec, exec, s[2:3]
	s_and_saveexec_b64 s[2:3], s[0:1]
	s_cbranch_execnz .LBB292_559
	s_branch .LBB292_560
.LBB292_833:                            ;   in Loop: Header=BB292_531 Depth=1
	v_cmp_eq_u16_e64 s[0:1], s21, v8
	s_mov_b64 s[2:3], -1
                                        ; implicit-def: $sgpr10
	s_and_saveexec_b64 s[8:9], s[0:1]
; %bb.834:                              ;   in Loop: Header=BB292_531 Depth=1
	s_mov_b32 s10, 0x7fc02000
	s_xor_b64 s[2:3], exec, -1
; %bb.835:                              ;   in Loop: Header=BB292_531 Depth=1
	s_or_b64 exec, exec, s[8:9]
	s_and_b64 s[2:3], s[2:3], exec
	s_or_saveexec_b64 s[6:7], s[6:7]
	v_mov_b32_e32 v54, s10
	s_xor_b64 exec, exec, s[6:7]
	s_cbranch_execz .LBB292_562
.LBB292_836:                            ;   in Loop: Header=BB292_531 Depth=1
	v_cmp_ne_u16_e64 s[0:1], 0, v8
	s_andn2_b64 s[2:3], s[2:3], exec
	s_and_b64 s[0:1], s[0:1], exec
	v_mov_b32_e32 v54, 0
	s_or_b64 s[2:3], s[2:3], s[0:1]
	s_or_b64 exec, exec, s[6:7]
	s_and_saveexec_b64 s[6:7], s[2:3]
	s_cbranch_execnz .LBB292_563
	s_branch .LBB292_564
.LBB292_837:                            ;   in Loop: Header=BB292_531 Depth=1
	v_cmp_eq_u16_sdwa s[26:27], v30, s21 src0_sel:BYTE_0 src1_sel:DWORD
	s_mov_b64 s[2:3], -1
                                        ; implicit-def: $sgpr10
	s_and_saveexec_b64 s[8:9], s[26:27]
; %bb.838:                              ;   in Loop: Header=BB292_531 Depth=1
	s_mov_b32 s10, 0x7fc02000
	s_xor_b64 s[2:3], exec, -1
; %bb.839:                              ;   in Loop: Header=BB292_531 Depth=1
	s_or_b64 exec, exec, s[8:9]
	s_and_b64 s[2:3], s[2:3], exec
	s_or_saveexec_b64 s[6:7], s[6:7]
	v_mov_b32_e32 v48, s10
	s_xor_b64 exec, exec, s[6:7]
	s_cbranch_execz .LBB292_568
.LBB292_840:                            ;   in Loop: Header=BB292_531 Depth=1
	v_cmp_ne_u16_sdwa s[8:9], v30, v9 src0_sel:BYTE_0 src1_sel:DWORD
	s_andn2_b64 s[2:3], s[2:3], exec
	s_and_b64 s[8:9], s[8:9], exec
	v_mov_b32_e32 v48, 0
	s_or_b64 s[2:3], s[2:3], s[8:9]
	s_or_b64 exec, exec, s[6:7]
	s_and_saveexec_b64 s[6:7], s[2:3]
	s_cbranch_execnz .LBB292_569
	s_branch .LBB292_570
.LBB292_841:                            ;   in Loop: Header=BB292_531 Depth=1
	v_cmp_eq_u16_e64 s[2:3], s21, v8
	s_mov_b64 s[6:7], -1
                                        ; implicit-def: $sgpr26
	s_and_saveexec_b64 s[10:11], s[2:3]
; %bb.842:                              ;   in Loop: Header=BB292_531 Depth=1
	s_mov_b32 s26, 0x7fc02000
	s_xor_b64 s[6:7], exec, -1
; %bb.843:                              ;   in Loop: Header=BB292_531 Depth=1
	s_or_b64 exec, exec, s[10:11]
	s_and_b64 s[6:7], s[6:7], exec
	s_or_saveexec_b64 s[8:9], s[8:9]
	v_mov_b32_e32 v50, s26
	s_xor_b64 exec, exec, s[8:9]
	s_cbranch_execz .LBB292_572
.LBB292_844:                            ;   in Loop: Header=BB292_531 Depth=1
	v_cmp_ne_u16_e64 s[2:3], 0, v8
	s_andn2_b64 s[6:7], s[6:7], exec
	s_and_b64 s[2:3], s[2:3], exec
	v_mov_b32_e32 v50, 0
	s_or_b64 s[6:7], s[6:7], s[2:3]
	s_or_b64 exec, exec, s[8:9]
	s_and_saveexec_b64 s[8:9], s[6:7]
	s_cbranch_execnz .LBB292_573
	s_branch .LBB292_574
.LBB292_845:                            ;   in Loop: Header=BB292_531 Depth=1
	v_cmp_eq_u16_sdwa s[26:27], v8, s21 src0_sel:BYTE_0 src1_sel:DWORD
	s_mov_b64 s[2:3], -1
                                        ; implicit-def: $sgpr10
	s_and_saveexec_b64 s[8:9], s[26:27]
; %bb.846:                              ;   in Loop: Header=BB292_531 Depth=1
	s_mov_b32 s10, 0x7fc02000
	s_xor_b64 s[2:3], exec, -1
; %bb.847:                              ;   in Loop: Header=BB292_531 Depth=1
	s_or_b64 exec, exec, s[8:9]
	s_and_b64 s[2:3], s[2:3], exec
	s_or_saveexec_b64 s[6:7], s[6:7]
	v_mov_b32_e32 v49, s10
	s_xor_b64 exec, exec, s[6:7]
	s_cbranch_execz .LBB292_576
.LBB292_848:                            ;   in Loop: Header=BB292_531 Depth=1
	v_cmp_ne_u16_sdwa s[8:9], v8, v9 src0_sel:BYTE_0 src1_sel:DWORD
	s_andn2_b64 s[2:3], s[2:3], exec
	s_and_b64 s[8:9], s[8:9], exec
	v_mov_b32_e32 v49, 0
	s_or_b64 s[2:3], s[2:3], s[8:9]
	s_or_b64 exec, exec, s[6:7]
	s_and_saveexec_b64 s[6:7], s[2:3]
	s_cbranch_execnz .LBB292_577
	s_branch .LBB292_578
.LBB292_849:                            ;   in Loop: Header=BB292_531 Depth=1
	v_cmp_eq_u16_e64 s[2:3], s21, v8
	s_mov_b64 s[6:7], -1
                                        ; implicit-def: $sgpr26
	s_and_saveexec_b64 s[10:11], s[2:3]
; %bb.850:                              ;   in Loop: Header=BB292_531 Depth=1
	s_mov_b32 s26, 0x7fc02000
	s_xor_b64 s[6:7], exec, -1
; %bb.851:                              ;   in Loop: Header=BB292_531 Depth=1
	s_or_b64 exec, exec, s[10:11]
	s_and_b64 s[6:7], s[6:7], exec
	s_or_saveexec_b64 s[8:9], s[8:9]
	v_mov_b32_e32 v51, s26
	s_xor_b64 exec, exec, s[8:9]
	s_cbranch_execz .LBB292_580
.LBB292_852:                            ;   in Loop: Header=BB292_531 Depth=1
	v_cmp_ne_u16_e64 s[2:3], 0, v8
	s_andn2_b64 s[6:7], s[6:7], exec
	s_and_b64 s[2:3], s[2:3], exec
	v_mov_b32_e32 v51, 0
	s_or_b64 s[6:7], s[6:7], s[2:3]
	s_or_b64 exec, exec, s[8:9]
	s_and_saveexec_b64 s[8:9], s[6:7]
	s_cbranch_execnz .LBB292_581
	s_branch .LBB292_582
.LBB292_853:                            ;   in Loop: Header=BB292_531 Depth=1
	v_cmp_eq_u16_sdwa s[26:27], v31, s21 src0_sel:BYTE_0 src1_sel:DWORD
	s_mov_b64 s[2:3], -1
                                        ; implicit-def: $sgpr10
	s_and_saveexec_b64 s[8:9], s[26:27]
; %bb.854:                              ;   in Loop: Header=BB292_531 Depth=1
	s_mov_b32 s10, 0x7fc02000
	s_xor_b64 s[2:3], exec, -1
; %bb.855:                              ;   in Loop: Header=BB292_531 Depth=1
	s_or_b64 exec, exec, s[8:9]
	s_and_b64 s[2:3], s[2:3], exec
	s_or_saveexec_b64 s[6:7], s[6:7]
	v_mov_b32_e32 v4, s10
	s_xor_b64 exec, exec, s[6:7]
	s_cbranch_execz .LBB292_584
.LBB292_856:                            ;   in Loop: Header=BB292_531 Depth=1
	v_cmp_ne_u16_sdwa s[8:9], v31, v9 src0_sel:BYTE_0 src1_sel:DWORD
	s_andn2_b64 s[2:3], s[2:3], exec
	s_and_b64 s[8:9], s[8:9], exec
	v_mov_b32_e32 v4, 0
	s_or_b64 s[2:3], s[2:3], s[8:9]
	s_or_b64 exec, exec, s[6:7]
	v_mov_b32_e32 v8, v31
	s_and_saveexec_b64 s[6:7], s[2:3]
	s_cbranch_execnz .LBB292_585
	s_branch .LBB292_586
.LBB292_857:                            ;   in Loop: Header=BB292_531 Depth=1
	v_cmp_eq_u16_e64 s[2:3], s21, v8
	s_mov_b64 s[6:7], -1
                                        ; implicit-def: $sgpr26
	s_and_saveexec_b64 s[10:11], s[2:3]
; %bb.858:                              ;   in Loop: Header=BB292_531 Depth=1
	s_mov_b32 s26, 0x7fc02000
	s_xor_b64 s[6:7], exec, -1
; %bb.859:                              ;   in Loop: Header=BB292_531 Depth=1
	s_or_b64 exec, exec, s[10:11]
	s_and_b64 s[6:7], s[6:7], exec
	s_or_saveexec_b64 s[8:9], s[8:9]
	v_mov_b32_e32 v5, s26
	s_xor_b64 exec, exec, s[8:9]
	s_cbranch_execz .LBB292_588
.LBB292_860:                            ;   in Loop: Header=BB292_531 Depth=1
	v_cmp_ne_u16_e64 s[2:3], 0, v8
	s_andn2_b64 s[6:7], s[6:7], exec
	s_and_b64 s[2:3], s[2:3], exec
	v_mov_b32_e32 v5, 0
	s_or_b64 s[6:7], s[6:7], s[2:3]
	s_or_b64 exec, exec, s[8:9]
	s_and_saveexec_b64 s[8:9], s[6:7]
	s_cbranch_execnz .LBB292_589
	s_branch .LBB292_590
.LBB292_861:                            ;   in Loop: Header=BB292_531 Depth=1
	v_cmp_eq_u16_sdwa s[26:27], v8, s21 src0_sel:BYTE_0 src1_sel:DWORD
	s_mov_b64 s[2:3], -1
                                        ; implicit-def: $sgpr10
	s_and_saveexec_b64 s[8:9], s[26:27]
; %bb.862:                              ;   in Loop: Header=BB292_531 Depth=1
	s_mov_b32 s10, 0x7fc02000
	s_xor_b64 s[2:3], exec, -1
; %bb.863:                              ;   in Loop: Header=BB292_531 Depth=1
	s_or_b64 exec, exec, s[8:9]
	s_and_b64 s[2:3], s[2:3], exec
	s_or_saveexec_b64 s[6:7], s[6:7]
	v_mov_b32_e32 v6, s10
	s_xor_b64 exec, exec, s[6:7]
	s_cbranch_execz .LBB292_592
.LBB292_864:                            ;   in Loop: Header=BB292_531 Depth=1
	v_cmp_ne_u16_sdwa s[8:9], v8, v9 src0_sel:BYTE_0 src1_sel:DWORD
	s_andn2_b64 s[2:3], s[2:3], exec
	s_and_b64 s[8:9], s[8:9], exec
	v_mov_b32_e32 v6, 0
	s_or_b64 s[2:3], s[2:3], s[8:9]
	s_or_b64 exec, exec, s[6:7]
	s_and_saveexec_b64 s[6:7], s[2:3]
	s_cbranch_execnz .LBB292_593
	s_branch .LBB292_594
.LBB292_865:                            ;   in Loop: Header=BB292_531 Depth=1
	v_cmp_eq_u16_e64 s[2:3], s21, v8
	s_mov_b64 s[6:7], -1
                                        ; implicit-def: $sgpr26
	s_and_saveexec_b64 s[10:11], s[2:3]
; %bb.866:                              ;   in Loop: Header=BB292_531 Depth=1
	s_mov_b32 s26, 0x7fc02000
	s_xor_b64 s[6:7], exec, -1
; %bb.867:                              ;   in Loop: Header=BB292_531 Depth=1
	s_or_b64 exec, exec, s[10:11]
	s_and_b64 s[6:7], s[6:7], exec
	s_or_saveexec_b64 s[8:9], s[8:9]
	v_mov_b32_e32 v22, s26
	s_xor_b64 exec, exec, s[8:9]
	s_cbranch_execz .LBB292_596
.LBB292_868:                            ;   in Loop: Header=BB292_531 Depth=1
	v_cmp_ne_u16_e64 s[2:3], 0, v8
	s_andn2_b64 s[6:7], s[6:7], exec
	s_and_b64 s[2:3], s[2:3], exec
	v_mov_b32_e32 v22, 0
	s_or_b64 s[6:7], s[6:7], s[2:3]
	s_or_b64 exec, exec, s[8:9]
	s_and_saveexec_b64 s[8:9], s[6:7]
	s_cbranch_execnz .LBB292_597
	s_branch .LBB292_598
.LBB292_869:                            ;   in Loop: Header=BB292_531 Depth=1
	v_cmp_eq_u16_sdwa s[26:27], v30, s21 src0_sel:BYTE_0 src1_sel:DWORD
	s_mov_b64 s[2:3], -1
                                        ; implicit-def: $sgpr10
	s_and_saveexec_b64 s[8:9], s[26:27]
; %bb.870:                              ;   in Loop: Header=BB292_531 Depth=1
	s_mov_b32 s10, 0x7fc02000
	s_xor_b64 s[2:3], exec, -1
; %bb.871:                              ;   in Loop: Header=BB292_531 Depth=1
	s_or_b64 exec, exec, s[8:9]
	s_and_b64 s[2:3], s[2:3], exec
	s_or_saveexec_b64 s[6:7], s[6:7]
	v_mov_b32_e32 v48, s10
	s_xor_b64 exec, exec, s[6:7]
	s_cbranch_execz .LBB292_602
.LBB292_872:                            ;   in Loop: Header=BB292_531 Depth=1
	v_cmp_ne_u16_sdwa s[8:9], v30, v9 src0_sel:BYTE_0 src1_sel:DWORD
	s_andn2_b64 s[2:3], s[2:3], exec
	s_and_b64 s[8:9], s[8:9], exec
	v_mov_b32_e32 v48, 0
	s_or_b64 s[2:3], s[2:3], s[8:9]
	s_or_b64 exec, exec, s[6:7]
	s_and_saveexec_b64 s[6:7], s[2:3]
	s_cbranch_execnz .LBB292_603
	s_branch .LBB292_604
.LBB292_873:                            ;   in Loop: Header=BB292_531 Depth=1
	v_cmp_eq_u16_e64 s[2:3], s21, v8
	s_mov_b64 s[6:7], -1
                                        ; implicit-def: $sgpr26
	s_and_saveexec_b64 s[10:11], s[2:3]
; %bb.874:                              ;   in Loop: Header=BB292_531 Depth=1
	s_mov_b32 s26, 0x7fc02000
	s_xor_b64 s[6:7], exec, -1
; %bb.875:                              ;   in Loop: Header=BB292_531 Depth=1
	s_or_b64 exec, exec, s[10:11]
	s_and_b64 s[6:7], s[6:7], exec
	s_or_saveexec_b64 s[8:9], s[8:9]
	v_mov_b32_e32 v50, s26
	s_xor_b64 exec, exec, s[8:9]
	s_cbranch_execz .LBB292_606
.LBB292_876:                            ;   in Loop: Header=BB292_531 Depth=1
	v_cmp_ne_u16_e64 s[2:3], 0, v8
	s_andn2_b64 s[6:7], s[6:7], exec
	s_and_b64 s[2:3], s[2:3], exec
	v_mov_b32_e32 v50, 0
	s_or_b64 s[6:7], s[6:7], s[2:3]
	s_or_b64 exec, exec, s[8:9]
	s_and_saveexec_b64 s[8:9], s[6:7]
	s_cbranch_execnz .LBB292_607
	s_branch .LBB292_608
.LBB292_877:                            ;   in Loop: Header=BB292_531 Depth=1
	v_cmp_eq_u16_sdwa s[26:27], v8, s21 src0_sel:BYTE_0 src1_sel:DWORD
	s_mov_b64 s[2:3], -1
                                        ; implicit-def: $sgpr10
	s_and_saveexec_b64 s[8:9], s[26:27]
; %bb.878:                              ;   in Loop: Header=BB292_531 Depth=1
	s_mov_b32 s10, 0x7fc02000
	s_xor_b64 s[2:3], exec, -1
; %bb.879:                              ;   in Loop: Header=BB292_531 Depth=1
	s_or_b64 exec, exec, s[8:9]
	s_and_b64 s[2:3], s[2:3], exec
	s_or_saveexec_b64 s[6:7], s[6:7]
	v_mov_b32_e32 v49, s10
	s_xor_b64 exec, exec, s[6:7]
	s_cbranch_execz .LBB292_610
.LBB292_880:                            ;   in Loop: Header=BB292_531 Depth=1
	v_cmp_ne_u16_sdwa s[8:9], v8, v9 src0_sel:BYTE_0 src1_sel:DWORD
	s_andn2_b64 s[2:3], s[2:3], exec
	s_and_b64 s[8:9], s[8:9], exec
	v_mov_b32_e32 v49, 0
	s_or_b64 s[2:3], s[2:3], s[8:9]
	s_or_b64 exec, exec, s[6:7]
	s_and_saveexec_b64 s[6:7], s[2:3]
	s_cbranch_execnz .LBB292_611
	s_branch .LBB292_612
.LBB292_881:                            ;   in Loop: Header=BB292_531 Depth=1
	v_cmp_eq_u16_e64 s[2:3], s21, v8
	s_mov_b64 s[6:7], -1
                                        ; implicit-def: $sgpr26
	s_and_saveexec_b64 s[10:11], s[2:3]
; %bb.882:                              ;   in Loop: Header=BB292_531 Depth=1
	s_mov_b32 s26, 0x7fc02000
	s_xor_b64 s[6:7], exec, -1
; %bb.883:                              ;   in Loop: Header=BB292_531 Depth=1
	s_or_b64 exec, exec, s[10:11]
	s_and_b64 s[6:7], s[6:7], exec
	s_or_saveexec_b64 s[8:9], s[8:9]
	v_mov_b32_e32 v51, s26
	s_xor_b64 exec, exec, s[8:9]
	s_cbranch_execz .LBB292_614
.LBB292_884:                            ;   in Loop: Header=BB292_531 Depth=1
	v_cmp_ne_u16_e64 s[2:3], 0, v8
	s_andn2_b64 s[6:7], s[6:7], exec
	s_and_b64 s[2:3], s[2:3], exec
	v_mov_b32_e32 v51, 0
	s_or_b64 s[6:7], s[6:7], s[2:3]
	s_or_b64 exec, exec, s[8:9]
	s_and_saveexec_b64 s[8:9], s[6:7]
	s_cbranch_execnz .LBB292_615
	s_branch .LBB292_616
.LBB292_885:                            ;   in Loop: Header=BB292_531 Depth=1
	v_cmp_eq_u16_sdwa s[26:27], v31, s21 src0_sel:BYTE_0 src1_sel:DWORD
	s_mov_b64 s[2:3], -1
                                        ; implicit-def: $sgpr10
	s_and_saveexec_b64 s[8:9], s[26:27]
; %bb.886:                              ;   in Loop: Header=BB292_531 Depth=1
	s_mov_b32 s10, 0x7fc02000
	s_xor_b64 s[2:3], exec, -1
; %bb.887:                              ;   in Loop: Header=BB292_531 Depth=1
	s_or_b64 exec, exec, s[8:9]
	s_and_b64 s[2:3], s[2:3], exec
	s_or_saveexec_b64 s[6:7], s[6:7]
	v_mov_b32_e32 v6, s10
	s_xor_b64 exec, exec, s[6:7]
	s_cbranch_execz .LBB292_618
.LBB292_888:                            ;   in Loop: Header=BB292_531 Depth=1
	v_cmp_ne_u16_sdwa s[8:9], v31, v9 src0_sel:BYTE_0 src1_sel:DWORD
	s_andn2_b64 s[2:3], s[2:3], exec
	s_and_b64 s[8:9], s[8:9], exec
	v_mov_b32_e32 v6, 0
	s_or_b64 s[2:3], s[2:3], s[8:9]
	s_or_b64 exec, exec, s[6:7]
	v_mov_b32_e32 v8, v31
	s_and_saveexec_b64 s[6:7], s[2:3]
	s_cbranch_execnz .LBB292_619
	s_branch .LBB292_620
.LBB292_889:                            ;   in Loop: Header=BB292_531 Depth=1
	v_cmp_eq_u16_e64 s[2:3], s21, v8
	s_mov_b64 s[6:7], -1
                                        ; implicit-def: $sgpr26
	s_and_saveexec_b64 s[10:11], s[2:3]
; %bb.890:                              ;   in Loop: Header=BB292_531 Depth=1
	s_mov_b32 s26, 0x7fc02000
	s_xor_b64 s[6:7], exec, -1
; %bb.891:                              ;   in Loop: Header=BB292_531 Depth=1
	s_or_b64 exec, exec, s[10:11]
	s_and_b64 s[6:7], s[6:7], exec
	s_or_saveexec_b64 s[8:9], s[8:9]
	v_mov_b32_e32 v17, s26
	s_xor_b64 exec, exec, s[8:9]
	s_cbranch_execz .LBB292_622
.LBB292_892:                            ;   in Loop: Header=BB292_531 Depth=1
	v_cmp_ne_u16_e64 s[2:3], 0, v8
	s_andn2_b64 s[6:7], s[6:7], exec
	s_and_b64 s[2:3], s[2:3], exec
	v_mov_b32_e32 v17, 0
	s_or_b64 s[6:7], s[6:7], s[2:3]
	s_or_b64 exec, exec, s[8:9]
	s_and_saveexec_b64 s[8:9], s[6:7]
	s_cbranch_execnz .LBB292_623
	s_branch .LBB292_624
.LBB292_893:                            ;   in Loop: Header=BB292_531 Depth=1
	v_cmp_eq_u16_sdwa s[26:27], v8, s21 src0_sel:BYTE_0 src1_sel:DWORD
	s_mov_b64 s[2:3], -1
                                        ; implicit-def: $sgpr10
	s_and_saveexec_b64 s[8:9], s[26:27]
; %bb.894:                              ;   in Loop: Header=BB292_531 Depth=1
	s_mov_b32 s10, 0x7fc02000
	s_xor_b64 s[2:3], exec, -1
; %bb.895:                              ;   in Loop: Header=BB292_531 Depth=1
	s_or_b64 exec, exec, s[8:9]
	s_and_b64 s[2:3], s[2:3], exec
	s_or_saveexec_b64 s[6:7], s[6:7]
	v_mov_b32_e32 v22, s10
	s_xor_b64 exec, exec, s[6:7]
	s_cbranch_execz .LBB292_626
.LBB292_896:                            ;   in Loop: Header=BB292_531 Depth=1
	v_cmp_ne_u16_sdwa s[8:9], v8, v9 src0_sel:BYTE_0 src1_sel:DWORD
	s_andn2_b64 s[2:3], s[2:3], exec
	s_and_b64 s[8:9], s[8:9], exec
	v_mov_b32_e32 v22, 0
	s_or_b64 s[2:3], s[2:3], s[8:9]
	s_or_b64 exec, exec, s[6:7]
	s_and_saveexec_b64 s[6:7], s[2:3]
	s_cbranch_execnz .LBB292_627
	s_branch .LBB292_628
.LBB292_897:                            ;   in Loop: Header=BB292_531 Depth=1
	v_cmp_eq_u16_e64 s[2:3], s21, v8
	s_mov_b64 s[6:7], -1
                                        ; implicit-def: $sgpr26
	s_and_saveexec_b64 s[10:11], s[2:3]
; %bb.898:                              ;   in Loop: Header=BB292_531 Depth=1
	s_mov_b32 s26, 0x7fc02000
	s_xor_b64 s[6:7], exec, -1
; %bb.899:                              ;   in Loop: Header=BB292_531 Depth=1
	s_or_b64 exec, exec, s[10:11]
	s_and_b64 s[6:7], s[6:7], exec
	s_or_saveexec_b64 s[8:9], s[8:9]
	v_mov_b32_e32 v27, s26
	s_xor_b64 exec, exec, s[8:9]
	s_cbranch_execz .LBB292_630
.LBB292_900:                            ;   in Loop: Header=BB292_531 Depth=1
	v_cmp_ne_u16_e64 s[2:3], 0, v8
	s_andn2_b64 s[6:7], s[6:7], exec
	s_and_b64 s[2:3], s[2:3], exec
	v_mov_b32_e32 v27, 0
	s_or_b64 s[6:7], s[6:7], s[2:3]
	s_or_b64 exec, exec, s[8:9]
	s_and_saveexec_b64 s[8:9], s[6:7]
	s_cbranch_execnz .LBB292_631
	s_branch .LBB292_632
.LBB292_901:                            ;   in Loop: Header=BB292_531 Depth=1
	v_cmp_eq_u16_sdwa s[26:27], v30, s21 src0_sel:BYTE_0 src1_sel:DWORD
	s_mov_b64 s[2:3], -1
                                        ; implicit-def: $sgpr10
	s_and_saveexec_b64 s[8:9], s[26:27]
; %bb.902:                              ;   in Loop: Header=BB292_531 Depth=1
	s_mov_b32 s10, 0x7fc02000
	s_xor_b64 s[2:3], exec, -1
; %bb.903:                              ;   in Loop: Header=BB292_531 Depth=1
	s_or_b64 exec, exec, s[8:9]
	s_and_b64 s[2:3], s[2:3], exec
	s_or_saveexec_b64 s[6:7], s[6:7]
	v_mov_b32_e32 v48, s10
	s_xor_b64 exec, exec, s[6:7]
	s_cbranch_execz .LBB292_636
.LBB292_904:                            ;   in Loop: Header=BB292_531 Depth=1
	v_cmp_ne_u16_sdwa s[8:9], v30, v9 src0_sel:BYTE_0 src1_sel:DWORD
	s_andn2_b64 s[2:3], s[2:3], exec
	s_and_b64 s[8:9], s[8:9], exec
	v_mov_b32_e32 v48, 0
	s_or_b64 s[2:3], s[2:3], s[8:9]
	s_or_b64 exec, exec, s[6:7]
	s_and_saveexec_b64 s[6:7], s[2:3]
	s_cbranch_execnz .LBB292_637
	s_branch .LBB292_638
.LBB292_905:                            ;   in Loop: Header=BB292_531 Depth=1
	v_cmp_eq_u16_e64 s[2:3], s21, v8
	s_mov_b64 s[6:7], -1
                                        ; implicit-def: $sgpr26
	s_and_saveexec_b64 s[10:11], s[2:3]
; %bb.906:                              ;   in Loop: Header=BB292_531 Depth=1
	s_mov_b32 s26, 0x7fc02000
	s_xor_b64 s[6:7], exec, -1
; %bb.907:                              ;   in Loop: Header=BB292_531 Depth=1
	s_or_b64 exec, exec, s[10:11]
	s_and_b64 s[6:7], s[6:7], exec
	s_or_saveexec_b64 s[8:9], s[8:9]
	v_mov_b32_e32 v50, s26
	s_xor_b64 exec, exec, s[8:9]
	s_cbranch_execz .LBB292_640
.LBB292_908:                            ;   in Loop: Header=BB292_531 Depth=1
	v_cmp_ne_u16_e64 s[2:3], 0, v8
	s_andn2_b64 s[6:7], s[6:7], exec
	s_and_b64 s[2:3], s[2:3], exec
	v_mov_b32_e32 v50, 0
	s_or_b64 s[6:7], s[6:7], s[2:3]
	s_or_b64 exec, exec, s[8:9]
	s_and_saveexec_b64 s[8:9], s[6:7]
	s_cbranch_execnz .LBB292_641
	s_branch .LBB292_642
.LBB292_909:                            ;   in Loop: Header=BB292_531 Depth=1
	v_cmp_eq_u16_sdwa s[26:27], v8, s21 src0_sel:BYTE_0 src1_sel:DWORD
	s_mov_b64 s[2:3], -1
                                        ; implicit-def: $sgpr10
	s_and_saveexec_b64 s[8:9], s[26:27]
; %bb.910:                              ;   in Loop: Header=BB292_531 Depth=1
	s_mov_b32 s10, 0x7fc02000
	s_xor_b64 s[2:3], exec, -1
; %bb.911:                              ;   in Loop: Header=BB292_531 Depth=1
	s_or_b64 exec, exec, s[8:9]
	s_and_b64 s[2:3], s[2:3], exec
	s_or_saveexec_b64 s[6:7], s[6:7]
	v_mov_b32_e32 v49, s10
	s_xor_b64 exec, exec, s[6:7]
	s_cbranch_execz .LBB292_644
.LBB292_912:                            ;   in Loop: Header=BB292_531 Depth=1
	v_cmp_ne_u16_sdwa s[8:9], v8, v9 src0_sel:BYTE_0 src1_sel:DWORD
	s_andn2_b64 s[2:3], s[2:3], exec
	s_and_b64 s[8:9], s[8:9], exec
	v_mov_b32_e32 v49, 0
	s_or_b64 s[2:3], s[2:3], s[8:9]
	s_or_b64 exec, exec, s[6:7]
	s_and_saveexec_b64 s[6:7], s[2:3]
	s_cbranch_execnz .LBB292_645
	s_branch .LBB292_646
.LBB292_913:                            ;   in Loop: Header=BB292_531 Depth=1
	v_cmp_eq_u16_e64 s[2:3], s21, v8
	s_mov_b64 s[6:7], -1
                                        ; implicit-def: $sgpr26
	s_and_saveexec_b64 s[10:11], s[2:3]
; %bb.914:                              ;   in Loop: Header=BB292_531 Depth=1
	s_mov_b32 s26, 0x7fc02000
	s_xor_b64 s[6:7], exec, -1
; %bb.915:                              ;   in Loop: Header=BB292_531 Depth=1
	s_or_b64 exec, exec, s[10:11]
	s_and_b64 s[6:7], s[6:7], exec
	s_or_saveexec_b64 s[8:9], s[8:9]
	v_mov_b32_e32 v51, s26
	s_xor_b64 exec, exec, s[8:9]
	s_cbranch_execz .LBB292_648
.LBB292_916:                            ;   in Loop: Header=BB292_531 Depth=1
	v_cmp_ne_u16_e64 s[2:3], 0, v8
	s_andn2_b64 s[6:7], s[6:7], exec
	s_and_b64 s[2:3], s[2:3], exec
	v_mov_b32_e32 v51, 0
	s_or_b64 s[6:7], s[6:7], s[2:3]
	s_or_b64 exec, exec, s[8:9]
	s_and_saveexec_b64 s[8:9], s[6:7]
	s_cbranch_execnz .LBB292_649
	s_branch .LBB292_650
.LBB292_917:                            ;   in Loop: Header=BB292_531 Depth=1
	v_cmp_eq_u16_sdwa s[26:27], v31, s21 src0_sel:BYTE_0 src1_sel:DWORD
	s_mov_b64 s[2:3], -1
                                        ; implicit-def: $sgpr10
	s_and_saveexec_b64 s[8:9], s[26:27]
; %bb.918:                              ;   in Loop: Header=BB292_531 Depth=1
	s_mov_b32 s10, 0x7fc02000
	s_xor_b64 s[2:3], exec, -1
; %bb.919:                              ;   in Loop: Header=BB292_531 Depth=1
	s_or_b64 exec, exec, s[8:9]
	s_and_b64 s[2:3], s[2:3], exec
	s_or_saveexec_b64 s[6:7], s[6:7]
	v_mov_b32_e32 v6, s10
	s_xor_b64 exec, exec, s[6:7]
	s_cbranch_execz .LBB292_652
.LBB292_920:                            ;   in Loop: Header=BB292_531 Depth=1
	v_cmp_ne_u16_sdwa s[8:9], v31, v9 src0_sel:BYTE_0 src1_sel:DWORD
	s_andn2_b64 s[2:3], s[2:3], exec
	s_and_b64 s[8:9], s[8:9], exec
	v_mov_b32_e32 v6, 0
	s_or_b64 s[2:3], s[2:3], s[8:9]
	s_or_b64 exec, exec, s[6:7]
	v_mov_b32_e32 v8, v31
	s_and_saveexec_b64 s[6:7], s[2:3]
	s_cbranch_execnz .LBB292_653
	s_branch .LBB292_654
.LBB292_921:                            ;   in Loop: Header=BB292_531 Depth=1
	v_cmp_eq_u16_e64 s[2:3], s21, v8
	s_mov_b64 s[6:7], -1
                                        ; implicit-def: $sgpr26
	s_and_saveexec_b64 s[10:11], s[2:3]
; %bb.922:                              ;   in Loop: Header=BB292_531 Depth=1
	s_mov_b32 s26, 0x7fc02000
	s_xor_b64 s[6:7], exec, -1
; %bb.923:                              ;   in Loop: Header=BB292_531 Depth=1
	s_or_b64 exec, exec, s[10:11]
	s_and_b64 s[6:7], s[6:7], exec
	s_or_saveexec_b64 s[8:9], s[8:9]
	v_mov_b32_e32 v22, s26
	s_xor_b64 exec, exec, s[8:9]
	s_cbranch_execz .LBB292_656
.LBB292_924:                            ;   in Loop: Header=BB292_531 Depth=1
	v_cmp_ne_u16_e64 s[2:3], 0, v8
	s_andn2_b64 s[6:7], s[6:7], exec
	s_and_b64 s[2:3], s[2:3], exec
	v_mov_b32_e32 v22, 0
	s_or_b64 s[6:7], s[6:7], s[2:3]
	s_or_b64 exec, exec, s[8:9]
	s_and_saveexec_b64 s[8:9], s[6:7]
	s_cbranch_execnz .LBB292_657
	s_branch .LBB292_658
.LBB292_925:                            ;   in Loop: Header=BB292_531 Depth=1
	v_cmp_eq_u16_sdwa s[26:27], v8, s21 src0_sel:BYTE_0 src1_sel:DWORD
	s_mov_b64 s[2:3], -1
                                        ; implicit-def: $sgpr10
	s_and_saveexec_b64 s[8:9], s[26:27]
; %bb.926:                              ;   in Loop: Header=BB292_531 Depth=1
	s_mov_b32 s10, 0x7fc02000
	s_xor_b64 s[2:3], exec, -1
; %bb.927:                              ;   in Loop: Header=BB292_531 Depth=1
	s_or_b64 exec, exec, s[8:9]
	s_and_b64 s[2:3], s[2:3], exec
	s_or_saveexec_b64 s[6:7], s[6:7]
	v_mov_b32_e32 v26, s10
	s_xor_b64 exec, exec, s[6:7]
	s_cbranch_execz .LBB292_660
.LBB292_928:                            ;   in Loop: Header=BB292_531 Depth=1
	v_cmp_ne_u16_sdwa s[8:9], v8, v9 src0_sel:BYTE_0 src1_sel:DWORD
	s_andn2_b64 s[2:3], s[2:3], exec
	s_and_b64 s[8:9], s[8:9], exec
	v_mov_b32_e32 v26, 0
	s_or_b64 s[2:3], s[2:3], s[8:9]
	s_or_b64 exec, exec, s[6:7]
	s_and_saveexec_b64 s[6:7], s[2:3]
	s_cbranch_execnz .LBB292_661
	s_branch .LBB292_662
.LBB292_929:                            ;   in Loop: Header=BB292_531 Depth=1
	v_cmp_eq_u16_e64 s[2:3], s21, v8
	s_mov_b64 s[6:7], -1
                                        ; implicit-def: $sgpr26
	s_and_saveexec_b64 s[10:11], s[2:3]
; %bb.930:                              ;   in Loop: Header=BB292_531 Depth=1
	s_mov_b32 s26, 0x7fc02000
	s_xor_b64 s[6:7], exec, -1
; %bb.931:                              ;   in Loop: Header=BB292_531 Depth=1
	s_or_b64 exec, exec, s[10:11]
	s_and_b64 s[6:7], s[6:7], exec
	s_or_saveexec_b64 s[8:9], s[8:9]
	v_mov_b32_e32 v29, s26
	s_xor_b64 exec, exec, s[8:9]
	s_cbranch_execz .LBB292_664
.LBB292_932:                            ;   in Loop: Header=BB292_531 Depth=1
	v_cmp_ne_u16_e64 s[2:3], 0, v8
	s_andn2_b64 s[6:7], s[6:7], exec
	s_and_b64 s[2:3], s[2:3], exec
	v_mov_b32_e32 v29, 0
	s_or_b64 s[6:7], s[6:7], s[2:3]
	s_or_b64 exec, exec, s[8:9]
	s_and_saveexec_b64 s[8:9], s[6:7]
	s_cbranch_execnz .LBB292_665
	s_branch .LBB292_666
.LBB292_933:                            ;   in Loop: Header=BB292_531 Depth=1
	v_cmp_eq_u16_sdwa s[26:27], v30, s21 src0_sel:BYTE_0 src1_sel:DWORD
	s_mov_b64 s[2:3], -1
                                        ; implicit-def: $sgpr10
	s_and_saveexec_b64 s[8:9], s[26:27]
; %bb.934:                              ;   in Loop: Header=BB292_531 Depth=1
	s_mov_b32 s10, 0x7fc02000
	s_xor_b64 s[2:3], exec, -1
; %bb.935:                              ;   in Loop: Header=BB292_531 Depth=1
	s_or_b64 exec, exec, s[8:9]
	s_and_b64 s[2:3], s[2:3], exec
	s_or_saveexec_b64 s[6:7], s[6:7]
	v_mov_b32_e32 v48, s10
	s_xor_b64 exec, exec, s[6:7]
	s_cbranch_execz .LBB292_670
.LBB292_936:                            ;   in Loop: Header=BB292_531 Depth=1
	v_cmp_ne_u16_sdwa s[8:9], v30, v9 src0_sel:BYTE_0 src1_sel:DWORD
	s_andn2_b64 s[2:3], s[2:3], exec
	s_and_b64 s[8:9], s[8:9], exec
	v_mov_b32_e32 v48, 0
	s_or_b64 s[2:3], s[2:3], s[8:9]
	s_or_b64 exec, exec, s[6:7]
	s_and_saveexec_b64 s[6:7], s[2:3]
	s_cbranch_execnz .LBB292_671
	s_branch .LBB292_672
.LBB292_937:                            ;   in Loop: Header=BB292_531 Depth=1
	v_cmp_eq_u16_e64 s[2:3], s21, v8
	s_mov_b64 s[6:7], -1
                                        ; implicit-def: $sgpr26
	s_and_saveexec_b64 s[10:11], s[2:3]
; %bb.938:                              ;   in Loop: Header=BB292_531 Depth=1
	s_mov_b32 s26, 0x7fc02000
	s_xor_b64 s[6:7], exec, -1
; %bb.939:                              ;   in Loop: Header=BB292_531 Depth=1
	s_or_b64 exec, exec, s[10:11]
	s_and_b64 s[6:7], s[6:7], exec
	s_or_saveexec_b64 s[8:9], s[8:9]
	v_mov_b32_e32 v50, s26
	s_xor_b64 exec, exec, s[8:9]
	s_cbranch_execz .LBB292_674
.LBB292_940:                            ;   in Loop: Header=BB292_531 Depth=1
	v_cmp_ne_u16_e64 s[2:3], 0, v8
	s_andn2_b64 s[6:7], s[6:7], exec
	s_and_b64 s[2:3], s[2:3], exec
	v_mov_b32_e32 v50, 0
	s_or_b64 s[6:7], s[6:7], s[2:3]
	s_or_b64 exec, exec, s[8:9]
	s_and_saveexec_b64 s[8:9], s[6:7]
	s_cbranch_execnz .LBB292_675
	s_branch .LBB292_676
.LBB292_941:                            ;   in Loop: Header=BB292_531 Depth=1
	v_cmp_eq_u16_sdwa s[26:27], v8, s21 src0_sel:BYTE_0 src1_sel:DWORD
	s_mov_b64 s[2:3], -1
                                        ; implicit-def: $sgpr10
	s_and_saveexec_b64 s[8:9], s[26:27]
; %bb.942:                              ;   in Loop: Header=BB292_531 Depth=1
	s_mov_b32 s10, 0x7fc02000
	s_xor_b64 s[2:3], exec, -1
; %bb.943:                              ;   in Loop: Header=BB292_531 Depth=1
	s_or_b64 exec, exec, s[8:9]
	s_and_b64 s[2:3], s[2:3], exec
	s_or_saveexec_b64 s[6:7], s[6:7]
	v_mov_b32_e32 v49, s10
	s_xor_b64 exec, exec, s[6:7]
	s_cbranch_execz .LBB292_678
.LBB292_944:                            ;   in Loop: Header=BB292_531 Depth=1
	v_cmp_ne_u16_sdwa s[8:9], v8, v9 src0_sel:BYTE_0 src1_sel:DWORD
	s_andn2_b64 s[2:3], s[2:3], exec
	s_and_b64 s[8:9], s[8:9], exec
	v_mov_b32_e32 v49, 0
	s_or_b64 s[2:3], s[2:3], s[8:9]
	s_or_b64 exec, exec, s[6:7]
	s_and_saveexec_b64 s[6:7], s[2:3]
	s_cbranch_execnz .LBB292_679
	s_branch .LBB292_680
.LBB292_945:                            ;   in Loop: Header=BB292_531 Depth=1
	v_cmp_eq_u16_e64 s[2:3], s21, v8
	s_mov_b64 s[6:7], -1
                                        ; implicit-def: $sgpr26
	s_and_saveexec_b64 s[10:11], s[2:3]
; %bb.946:                              ;   in Loop: Header=BB292_531 Depth=1
	s_mov_b32 s26, 0x7fc02000
	s_xor_b64 s[6:7], exec, -1
; %bb.947:                              ;   in Loop: Header=BB292_531 Depth=1
	s_or_b64 exec, exec, s[10:11]
	s_and_b64 s[6:7], s[6:7], exec
	s_or_saveexec_b64 s[8:9], s[8:9]
	v_mov_b32_e32 v51, s26
	s_xor_b64 exec, exec, s[8:9]
	s_cbranch_execz .LBB292_682
.LBB292_948:                            ;   in Loop: Header=BB292_531 Depth=1
	v_cmp_ne_u16_e64 s[2:3], 0, v8
	s_andn2_b64 s[6:7], s[6:7], exec
	s_and_b64 s[2:3], s[2:3], exec
	v_mov_b32_e32 v51, 0
	s_or_b64 s[6:7], s[6:7], s[2:3]
	s_or_b64 exec, exec, s[8:9]
	s_and_saveexec_b64 s[8:9], s[6:7]
	s_cbranch_execnz .LBB292_683
	s_branch .LBB292_684
.LBB292_949:                            ;   in Loop: Header=BB292_531 Depth=1
	v_cmp_eq_u16_sdwa s[26:27], v31, s21 src0_sel:BYTE_0 src1_sel:DWORD
	s_mov_b64 s[2:3], -1
                                        ; implicit-def: $sgpr10
	s_and_saveexec_b64 s[8:9], s[26:27]
; %bb.950:                              ;   in Loop: Header=BB292_531 Depth=1
	s_mov_b32 s10, 0x7fc02000
	s_xor_b64 s[2:3], exec, -1
; %bb.951:                              ;   in Loop: Header=BB292_531 Depth=1
	s_or_b64 exec, exec, s[8:9]
	s_and_b64 s[2:3], s[2:3], exec
	s_or_saveexec_b64 s[6:7], s[6:7]
	v_mov_b32_e32 v6, s10
	s_xor_b64 exec, exec, s[6:7]
	s_cbranch_execz .LBB292_686
.LBB292_952:                            ;   in Loop: Header=BB292_531 Depth=1
	v_cmp_ne_u16_sdwa s[8:9], v31, v9 src0_sel:BYTE_0 src1_sel:DWORD
	s_andn2_b64 s[2:3], s[2:3], exec
	s_and_b64 s[8:9], s[8:9], exec
	v_mov_b32_e32 v6, 0
	s_or_b64 s[2:3], s[2:3], s[8:9]
	s_or_b64 exec, exec, s[6:7]
	v_mov_b32_e32 v8, v31
	s_and_saveexec_b64 s[6:7], s[2:3]
	s_cbranch_execnz .LBB292_687
	s_branch .LBB292_688
.LBB292_953:                            ;   in Loop: Header=BB292_531 Depth=1
	v_cmp_eq_u16_e64 s[2:3], s21, v8
	s_mov_b64 s[6:7], -1
                                        ; implicit-def: $sgpr26
	s_and_saveexec_b64 s[10:11], s[2:3]
; %bb.954:                              ;   in Loop: Header=BB292_531 Depth=1
	s_mov_b32 s26, 0x7fc02000
	s_xor_b64 s[6:7], exec, -1
; %bb.955:                              ;   in Loop: Header=BB292_531 Depth=1
	s_or_b64 exec, exec, s[10:11]
	s_and_b64 s[6:7], s[6:7], exec
	s_or_saveexec_b64 s[8:9], s[8:9]
	v_mov_b32_e32 v22, s26
	s_xor_b64 exec, exec, s[8:9]
	s_cbranch_execz .LBB292_690
.LBB292_956:                            ;   in Loop: Header=BB292_531 Depth=1
	v_cmp_ne_u16_e64 s[2:3], 0, v8
	s_andn2_b64 s[6:7], s[6:7], exec
	s_and_b64 s[2:3], s[2:3], exec
	v_mov_b32_e32 v22, 0
	s_or_b64 s[6:7], s[6:7], s[2:3]
	s_or_b64 exec, exec, s[8:9]
	s_and_saveexec_b64 s[8:9], s[6:7]
	s_cbranch_execnz .LBB292_691
	s_branch .LBB292_692
.LBB292_957:                            ;   in Loop: Header=BB292_531 Depth=1
	v_cmp_eq_u16_sdwa s[26:27], v8, s21 src0_sel:BYTE_0 src1_sel:DWORD
	s_mov_b64 s[2:3], -1
                                        ; implicit-def: $sgpr10
	s_and_saveexec_b64 s[8:9], s[26:27]
; %bb.958:                              ;   in Loop: Header=BB292_531 Depth=1
	s_mov_b32 s10, 0x7fc02000
	s_xor_b64 s[2:3], exec, -1
; %bb.959:                              ;   in Loop: Header=BB292_531 Depth=1
	s_or_b64 exec, exec, s[8:9]
	s_and_b64 s[2:3], s[2:3], exec
	s_or_saveexec_b64 s[6:7], s[6:7]
	v_mov_b32_e32 v26, s10
	s_xor_b64 exec, exec, s[6:7]
	s_cbranch_execz .LBB292_694
.LBB292_960:                            ;   in Loop: Header=BB292_531 Depth=1
	v_cmp_ne_u16_sdwa s[8:9], v8, v9 src0_sel:BYTE_0 src1_sel:DWORD
	s_andn2_b64 s[2:3], s[2:3], exec
	s_and_b64 s[8:9], s[8:9], exec
	v_mov_b32_e32 v26, 0
	s_or_b64 s[2:3], s[2:3], s[8:9]
	s_or_b64 exec, exec, s[6:7]
	s_and_saveexec_b64 s[6:7], s[2:3]
	s_cbranch_execnz .LBB292_695
	s_branch .LBB292_696
.LBB292_961:                            ;   in Loop: Header=BB292_531 Depth=1
	v_cmp_eq_u16_e64 s[2:3], s21, v8
	s_mov_b64 s[6:7], -1
                                        ; implicit-def: $sgpr26
	s_and_saveexec_b64 s[10:11], s[2:3]
; %bb.962:                              ;   in Loop: Header=BB292_531 Depth=1
	s_mov_b32 s26, 0x7fc02000
	s_xor_b64 s[6:7], exec, -1
; %bb.963:                              ;   in Loop: Header=BB292_531 Depth=1
	s_or_b64 exec, exec, s[10:11]
	s_and_b64 s[6:7], s[6:7], exec
	s_or_saveexec_b64 s[8:9], s[8:9]
	v_mov_b32_e32 v29, s26
	s_xor_b64 exec, exec, s[8:9]
	s_cbranch_execz .LBB292_698
.LBB292_964:                            ;   in Loop: Header=BB292_531 Depth=1
	v_cmp_ne_u16_e64 s[2:3], 0, v8
	s_andn2_b64 s[6:7], s[6:7], exec
	s_and_b64 s[2:3], s[2:3], exec
	v_mov_b32_e32 v29, 0
	s_or_b64 s[6:7], s[6:7], s[2:3]
	s_or_b64 exec, exec, s[8:9]
	s_and_saveexec_b64 s[8:9], s[6:7]
	s_cbranch_execnz .LBB292_699
	s_branch .LBB292_700
.LBB292_965:                            ;   in Loop: Header=BB292_531 Depth=1
	v_cmp_eq_u16_sdwa s[26:27], v30, s21 src0_sel:BYTE_0 src1_sel:DWORD
	s_mov_b64 s[2:3], -1
                                        ; implicit-def: $sgpr10
	s_and_saveexec_b64 s[8:9], s[26:27]
; %bb.966:                              ;   in Loop: Header=BB292_531 Depth=1
	s_mov_b32 s10, 0x7fc02000
	s_xor_b64 s[2:3], exec, -1
; %bb.967:                              ;   in Loop: Header=BB292_531 Depth=1
	s_or_b64 exec, exec, s[8:9]
	s_and_b64 s[2:3], s[2:3], exec
	s_or_saveexec_b64 s[6:7], s[6:7]
	v_mov_b32_e32 v48, s10
	s_xor_b64 exec, exec, s[6:7]
	s_cbranch_execz .LBB292_704
.LBB292_968:                            ;   in Loop: Header=BB292_531 Depth=1
	v_cmp_ne_u16_sdwa s[8:9], v30, v9 src0_sel:BYTE_0 src1_sel:DWORD
	s_andn2_b64 s[2:3], s[2:3], exec
	s_and_b64 s[8:9], s[8:9], exec
	v_mov_b32_e32 v48, 0
	s_or_b64 s[2:3], s[2:3], s[8:9]
	s_or_b64 exec, exec, s[6:7]
	s_and_saveexec_b64 s[6:7], s[2:3]
	s_cbranch_execnz .LBB292_705
	s_branch .LBB292_706
.LBB292_969:                            ;   in Loop: Header=BB292_531 Depth=1
	v_cmp_eq_u16_e64 s[2:3], s21, v8
	s_mov_b64 s[6:7], -1
                                        ; implicit-def: $sgpr26
	s_and_saveexec_b64 s[10:11], s[2:3]
; %bb.970:                              ;   in Loop: Header=BB292_531 Depth=1
	s_mov_b32 s26, 0x7fc02000
	s_xor_b64 s[6:7], exec, -1
; %bb.971:                              ;   in Loop: Header=BB292_531 Depth=1
	s_or_b64 exec, exec, s[10:11]
	s_and_b64 s[6:7], s[6:7], exec
	s_or_saveexec_b64 s[8:9], s[8:9]
	v_mov_b32_e32 v50, s26
	s_xor_b64 exec, exec, s[8:9]
	s_cbranch_execz .LBB292_708
.LBB292_972:                            ;   in Loop: Header=BB292_531 Depth=1
	v_cmp_ne_u16_e64 s[2:3], 0, v8
	s_andn2_b64 s[6:7], s[6:7], exec
	s_and_b64 s[2:3], s[2:3], exec
	v_mov_b32_e32 v50, 0
	s_or_b64 s[6:7], s[6:7], s[2:3]
	s_or_b64 exec, exec, s[8:9]
	s_and_saveexec_b64 s[8:9], s[6:7]
	s_cbranch_execnz .LBB292_709
	s_branch .LBB292_710
.LBB292_973:                            ;   in Loop: Header=BB292_531 Depth=1
	v_cmp_eq_u16_sdwa s[26:27], v8, s21 src0_sel:BYTE_0 src1_sel:DWORD
	s_mov_b64 s[2:3], -1
                                        ; implicit-def: $sgpr10
	s_and_saveexec_b64 s[8:9], s[26:27]
; %bb.974:                              ;   in Loop: Header=BB292_531 Depth=1
	s_mov_b32 s10, 0x7fc02000
	s_xor_b64 s[2:3], exec, -1
; %bb.975:                              ;   in Loop: Header=BB292_531 Depth=1
	s_or_b64 exec, exec, s[8:9]
	s_and_b64 s[2:3], s[2:3], exec
	s_or_saveexec_b64 s[6:7], s[6:7]
	v_mov_b32_e32 v49, s10
	s_xor_b64 exec, exec, s[6:7]
	s_cbranch_execz .LBB292_712
.LBB292_976:                            ;   in Loop: Header=BB292_531 Depth=1
	v_cmp_ne_u16_sdwa s[8:9], v8, v9 src0_sel:BYTE_0 src1_sel:DWORD
	s_andn2_b64 s[2:3], s[2:3], exec
	s_and_b64 s[8:9], s[8:9], exec
	v_mov_b32_e32 v49, 0
	s_or_b64 s[2:3], s[2:3], s[8:9]
	s_or_b64 exec, exec, s[6:7]
	s_and_saveexec_b64 s[6:7], s[2:3]
	s_cbranch_execnz .LBB292_713
	s_branch .LBB292_714
.LBB292_977:                            ;   in Loop: Header=BB292_531 Depth=1
	v_cmp_eq_u16_e64 s[2:3], s21, v8
	s_mov_b64 s[6:7], -1
                                        ; implicit-def: $sgpr26
	s_and_saveexec_b64 s[10:11], s[2:3]
; %bb.978:                              ;   in Loop: Header=BB292_531 Depth=1
	s_mov_b32 s26, 0x7fc02000
	s_xor_b64 s[6:7], exec, -1
; %bb.979:                              ;   in Loop: Header=BB292_531 Depth=1
	s_or_b64 exec, exec, s[10:11]
	s_and_b64 s[6:7], s[6:7], exec
	s_or_saveexec_b64 s[8:9], s[8:9]
	v_mov_b32_e32 v51, s26
	s_xor_b64 exec, exec, s[8:9]
	s_cbranch_execz .LBB292_716
.LBB292_980:                            ;   in Loop: Header=BB292_531 Depth=1
	v_cmp_ne_u16_e64 s[2:3], 0, v8
	s_andn2_b64 s[6:7], s[6:7], exec
	s_and_b64 s[2:3], s[2:3], exec
	v_mov_b32_e32 v51, 0
	s_or_b64 s[6:7], s[6:7], s[2:3]
	s_or_b64 exec, exec, s[8:9]
	s_and_saveexec_b64 s[8:9], s[6:7]
	s_cbranch_execnz .LBB292_717
	s_branch .LBB292_718
.LBB292_981:                            ;   in Loop: Header=BB292_531 Depth=1
	v_cmp_eq_u16_sdwa s[26:27], v31, s21 src0_sel:BYTE_0 src1_sel:DWORD
	s_mov_b64 s[2:3], -1
                                        ; implicit-def: $sgpr10
	s_and_saveexec_b64 s[8:9], s[26:27]
; %bb.982:                              ;   in Loop: Header=BB292_531 Depth=1
	s_mov_b32 s10, 0x7fc02000
	s_xor_b64 s[2:3], exec, -1
; %bb.983:                              ;   in Loop: Header=BB292_531 Depth=1
	s_or_b64 exec, exec, s[8:9]
	s_and_b64 s[2:3], s[2:3], exec
	s_or_saveexec_b64 s[6:7], s[6:7]
	v_mov_b32_e32 v26, s10
	s_xor_b64 exec, exec, s[6:7]
	s_cbranch_execz .LBB292_720
.LBB292_984:                            ;   in Loop: Header=BB292_531 Depth=1
	v_cmp_ne_u16_sdwa s[8:9], v31, v9 src0_sel:BYTE_0 src1_sel:DWORD
	s_andn2_b64 s[2:3], s[2:3], exec
	s_and_b64 s[8:9], s[8:9], exec
	v_mov_b32_e32 v26, 0
	s_or_b64 s[2:3], s[2:3], s[8:9]
	s_or_b64 exec, exec, s[6:7]
	v_mov_b32_e32 v8, v31
	s_and_saveexec_b64 s[6:7], s[2:3]
	s_cbranch_execnz .LBB292_721
	s_branch .LBB292_722
.LBB292_985:                            ;   in Loop: Header=BB292_531 Depth=1
	v_cmp_eq_u16_e64 s[2:3], s21, v8
	s_mov_b64 s[6:7], -1
                                        ; implicit-def: $sgpr26
	s_and_saveexec_b64 s[10:11], s[2:3]
; %bb.986:                              ;   in Loop: Header=BB292_531 Depth=1
	s_mov_b32 s26, 0x7fc02000
	s_xor_b64 s[6:7], exec, -1
; %bb.987:                              ;   in Loop: Header=BB292_531 Depth=1
	s_or_b64 exec, exec, s[10:11]
	s_and_b64 s[6:7], s[6:7], exec
	s_or_saveexec_b64 s[8:9], s[8:9]
	v_mov_b32_e32 v27, s26
	s_xor_b64 exec, exec, s[8:9]
	s_cbranch_execz .LBB292_724
.LBB292_988:                            ;   in Loop: Header=BB292_531 Depth=1
	v_cmp_ne_u16_e64 s[2:3], 0, v8
	s_andn2_b64 s[6:7], s[6:7], exec
	s_and_b64 s[2:3], s[2:3], exec
	v_mov_b32_e32 v27, 0
	s_or_b64 s[6:7], s[6:7], s[2:3]
	s_or_b64 exec, exec, s[8:9]
	s_and_saveexec_b64 s[8:9], s[6:7]
	s_cbranch_execnz .LBB292_725
	s_branch .LBB292_726
.LBB292_989:                            ;   in Loop: Header=BB292_531 Depth=1
	v_cmp_eq_u16_sdwa s[26:27], v8, s21 src0_sel:BYTE_0 src1_sel:DWORD
	s_mov_b64 s[2:3], -1
                                        ; implicit-def: $sgpr10
	s_and_saveexec_b64 s[8:9], s[26:27]
; %bb.990:                              ;   in Loop: Header=BB292_531 Depth=1
	s_mov_b32 s10, 0x7fc02000
	s_xor_b64 s[2:3], exec, -1
; %bb.991:                              ;   in Loop: Header=BB292_531 Depth=1
	s_or_b64 exec, exec, s[8:9]
	s_and_b64 s[2:3], s[2:3], exec
	s_or_saveexec_b64 s[6:7], s[6:7]
	v_mov_b32_e32 v29, s10
	s_xor_b64 exec, exec, s[6:7]
	s_cbranch_execz .LBB292_728
.LBB292_992:                            ;   in Loop: Header=BB292_531 Depth=1
	v_cmp_ne_u16_sdwa s[8:9], v8, v9 src0_sel:BYTE_0 src1_sel:DWORD
	s_andn2_b64 s[2:3], s[2:3], exec
	s_and_b64 s[8:9], s[8:9], exec
	v_mov_b32_e32 v29, 0
	s_or_b64 s[2:3], s[2:3], s[8:9]
	s_or_b64 exec, exec, s[6:7]
	s_and_saveexec_b64 s[6:7], s[2:3]
	s_cbranch_execnz .LBB292_729
	s_branch .LBB292_730
.LBB292_993:                            ;   in Loop: Header=BB292_531 Depth=1
	v_cmp_eq_u16_e64 s[2:3], s21, v8
	s_mov_b64 s[6:7], -1
                                        ; implicit-def: $sgpr26
	s_and_saveexec_b64 s[10:11], s[2:3]
; %bb.994:                              ;   in Loop: Header=BB292_531 Depth=1
	s_mov_b32 s26, 0x7fc02000
	s_xor_b64 s[6:7], exec, -1
; %bb.995:                              ;   in Loop: Header=BB292_531 Depth=1
	s_or_b64 exec, exec, s[10:11]
	s_and_b64 s[6:7], s[6:7], exec
	s_or_saveexec_b64 s[8:9], s[8:9]
	v_mov_b32_e32 v52, s26
	s_xor_b64 exec, exec, s[8:9]
	s_cbranch_execz .LBB292_732
.LBB292_996:                            ;   in Loop: Header=BB292_531 Depth=1
	v_cmp_ne_u16_e64 s[2:3], 0, v8
	s_andn2_b64 s[6:7], s[6:7], exec
	s_and_b64 s[2:3], s[2:3], exec
	v_mov_b32_e32 v52, 0
	s_or_b64 s[6:7], s[6:7], s[2:3]
	s_or_b64 exec, exec, s[8:9]
	s_and_saveexec_b64 s[8:9], s[6:7]
	s_cbranch_execnz .LBB292_733
	s_branch .LBB292_734
.LBB292_997:                            ;   in Loop: Header=BB292_531 Depth=1
	v_cmp_eq_u16_sdwa s[26:27], v28, s21 src0_sel:BYTE_0 src1_sel:DWORD
	s_mov_b64 s[2:3], -1
                                        ; implicit-def: $sgpr10
	s_and_saveexec_b64 s[8:9], s[26:27]
; %bb.998:                              ;   in Loop: Header=BB292_531 Depth=1
	s_mov_b32 s10, 0x7fc02000
	s_xor_b64 s[2:3], exec, -1
; %bb.999:                              ;   in Loop: Header=BB292_531 Depth=1
	s_or_b64 exec, exec, s[8:9]
	s_and_b64 s[2:3], s[2:3], exec
	s_or_saveexec_b64 s[6:7], s[6:7]
	v_mov_b32_e32 v30, s10
	s_xor_b64 exec, exec, s[6:7]
	s_cbranch_execz .LBB292_738
.LBB292_1000:                           ;   in Loop: Header=BB292_531 Depth=1
	v_cmp_ne_u16_sdwa s[8:9], v28, v9 src0_sel:BYTE_0 src1_sel:DWORD
	s_andn2_b64 s[2:3], s[2:3], exec
	s_and_b64 s[8:9], s[8:9], exec
	v_mov_b32_e32 v30, 0
	s_or_b64 s[2:3], s[2:3], s[8:9]
	s_or_b64 exec, exec, s[6:7]
	s_and_saveexec_b64 s[6:7], s[2:3]
	s_cbranch_execnz .LBB292_739
	s_branch .LBB292_740
.LBB292_1001:                           ;   in Loop: Header=BB292_531 Depth=1
	v_cmp_eq_u16_e64 s[2:3], s21, v8
	s_mov_b64 s[6:7], -1
                                        ; implicit-def: $sgpr26
	s_and_saveexec_b64 s[10:11], s[2:3]
; %bb.1002:                             ;   in Loop: Header=BB292_531 Depth=1
	s_mov_b32 s26, 0x7fc02000
	s_xor_b64 s[6:7], exec, -1
; %bb.1003:                             ;   in Loop: Header=BB292_531 Depth=1
	s_or_b64 exec, exec, s[10:11]
	s_and_b64 s[6:7], s[6:7], exec
	s_or_saveexec_b64 s[8:9], s[8:9]
	v_mov_b32_e32 v48, s26
	s_xor_b64 exec, exec, s[8:9]
	s_cbranch_execz .LBB292_742
.LBB292_1004:                           ;   in Loop: Header=BB292_531 Depth=1
	v_cmp_ne_u16_e64 s[2:3], 0, v8
	s_andn2_b64 s[6:7], s[6:7], exec
	s_and_b64 s[2:3], s[2:3], exec
	v_mov_b32_e32 v48, 0
	s_or_b64 s[6:7], s[6:7], s[2:3]
	s_or_b64 exec, exec, s[8:9]
	s_and_saveexec_b64 s[8:9], s[6:7]
	s_cbranch_execnz .LBB292_743
	s_branch .LBB292_744
.LBB292_1005:                           ;   in Loop: Header=BB292_531 Depth=1
	v_cmp_eq_u16_sdwa s[26:27], v8, s21 src0_sel:BYTE_0 src1_sel:DWORD
	s_mov_b64 s[2:3], -1
                                        ; implicit-def: $sgpr10
	s_and_saveexec_b64 s[8:9], s[26:27]
; %bb.1006:                             ;   in Loop: Header=BB292_531 Depth=1
	s_mov_b32 s10, 0x7fc02000
	s_xor_b64 s[2:3], exec, -1
; %bb.1007:                             ;   in Loop: Header=BB292_531 Depth=1
	s_or_b64 exec, exec, s[8:9]
	s_and_b64 s[2:3], s[2:3], exec
	s_or_saveexec_b64 s[6:7], s[6:7]
	v_mov_b32_e32 v31, s10
	s_xor_b64 exec, exec, s[6:7]
	s_cbranch_execz .LBB292_746
.LBB292_1008:                           ;   in Loop: Header=BB292_531 Depth=1
	v_cmp_ne_u16_sdwa s[8:9], v8, v9 src0_sel:BYTE_0 src1_sel:DWORD
	s_andn2_b64 s[2:3], s[2:3], exec
	s_and_b64 s[8:9], s[8:9], exec
	v_mov_b32_e32 v31, 0
	s_or_b64 s[2:3], s[2:3], s[8:9]
	s_or_b64 exec, exec, s[6:7]
	s_and_saveexec_b64 s[6:7], s[2:3]
	s_cbranch_execnz .LBB292_747
	s_branch .LBB292_748
.LBB292_1009:                           ;   in Loop: Header=BB292_531 Depth=1
	v_cmp_eq_u16_e64 s[2:3], s21, v8
	s_mov_b64 s[6:7], -1
                                        ; implicit-def: $sgpr26
	s_and_saveexec_b64 s[10:11], s[2:3]
; %bb.1010:                             ;   in Loop: Header=BB292_531 Depth=1
	s_mov_b32 s26, 0x7fc02000
	s_xor_b64 s[6:7], exec, -1
; %bb.1011:                             ;   in Loop: Header=BB292_531 Depth=1
	s_or_b64 exec, exec, s[10:11]
	s_and_b64 s[6:7], s[6:7], exec
	s_or_saveexec_b64 s[8:9], s[8:9]
	v_mov_b32_e32 v49, s26
	s_xor_b64 exec, exec, s[8:9]
	s_cbranch_execz .LBB292_750
.LBB292_1012:                           ;   in Loop: Header=BB292_531 Depth=1
	v_cmp_ne_u16_e64 s[2:3], 0, v8
	s_andn2_b64 s[6:7], s[6:7], exec
	s_and_b64 s[2:3], s[2:3], exec
	v_mov_b32_e32 v49, 0
	s_or_b64 s[6:7], s[6:7], s[2:3]
	s_or_b64 exec, exec, s[8:9]
	s_and_saveexec_b64 s[8:9], s[6:7]
	s_cbranch_execnz .LBB292_751
	s_branch .LBB292_752
.LBB292_1013:                           ;   in Loop: Header=BB292_531 Depth=1
	v_cmp_eq_u16_sdwa s[26:27], v29, s21 src0_sel:BYTE_0 src1_sel:DWORD
	s_mov_b64 s[2:3], -1
                                        ; implicit-def: $sgpr10
	s_and_saveexec_b64 s[8:9], s[26:27]
; %bb.1014:                             ;   in Loop: Header=BB292_531 Depth=1
	s_mov_b32 s10, 0x7fc02000
	s_xor_b64 s[2:3], exec, -1
; %bb.1015:                             ;   in Loop: Header=BB292_531 Depth=1
	s_or_b64 exec, exec, s[8:9]
	s_and_b64 s[2:3], s[2:3], exec
	s_or_saveexec_b64 s[6:7], s[6:7]
	v_mov_b32_e32 v25, s10
	s_xor_b64 exec, exec, s[6:7]
	s_cbranch_execz .LBB292_754
.LBB292_1016:                           ;   in Loop: Header=BB292_531 Depth=1
	v_cmp_ne_u16_sdwa s[8:9], v29, v9 src0_sel:BYTE_0 src1_sel:DWORD
	s_andn2_b64 s[2:3], s[2:3], exec
	s_and_b64 s[8:9], s[8:9], exec
	v_mov_b32_e32 v25, 0
	s_or_b64 s[2:3], s[2:3], s[8:9]
	s_or_b64 exec, exec, s[6:7]
	v_mov_b32_e32 v8, v29
	s_and_saveexec_b64 s[6:7], s[2:3]
	s_cbranch_execnz .LBB292_755
	s_branch .LBB292_756
.LBB292_1017:                           ;   in Loop: Header=BB292_531 Depth=1
	v_cmp_eq_u16_e64 s[2:3], s21, v8
	s_mov_b64 s[6:7], -1
                                        ; implicit-def: $sgpr26
	s_and_saveexec_b64 s[10:11], s[2:3]
; %bb.1018:                             ;   in Loop: Header=BB292_531 Depth=1
	s_mov_b32 s26, 0x7fc02000
	s_xor_b64 s[6:7], exec, -1
; %bb.1019:                             ;   in Loop: Header=BB292_531 Depth=1
	s_or_b64 exec, exec, s[10:11]
	s_and_b64 s[6:7], s[6:7], exec
	s_or_saveexec_b64 s[8:9], s[8:9]
	v_mov_b32_e32 v28, s26
	s_xor_b64 exec, exec, s[8:9]
	s_cbranch_execz .LBB292_758
.LBB292_1020:                           ;   in Loop: Header=BB292_531 Depth=1
	v_cmp_ne_u16_e64 s[2:3], 0, v8
	s_andn2_b64 s[6:7], s[6:7], exec
	s_and_b64 s[2:3], s[2:3], exec
	v_mov_b32_e32 v28, 0
	s_or_b64 s[6:7], s[6:7], s[2:3]
	s_or_b64 exec, exec, s[8:9]
	s_and_saveexec_b64 s[8:9], s[6:7]
	s_cbranch_execnz .LBB292_759
	s_branch .LBB292_760
.LBB292_1021:                           ;   in Loop: Header=BB292_531 Depth=1
	v_cmp_eq_u16_sdwa s[26:27], v8, s21 src0_sel:BYTE_0 src1_sel:DWORD
	s_mov_b64 s[2:3], -1
                                        ; implicit-def: $sgpr10
	s_and_saveexec_b64 s[8:9], s[26:27]
; %bb.1022:                             ;   in Loop: Header=BB292_531 Depth=1
	s_mov_b32 s10, 0x7fc02000
	s_xor_b64 s[2:3], exec, -1
; %bb.1023:                             ;   in Loop: Header=BB292_531 Depth=1
	s_or_b64 exec, exec, s[8:9]
	s_and_b64 s[2:3], s[2:3], exec
	s_or_saveexec_b64 s[6:7], s[6:7]
	v_mov_b32_e32 v50, s10
	s_xor_b64 exec, exec, s[6:7]
	s_cbranch_execz .LBB292_762
.LBB292_1024:                           ;   in Loop: Header=BB292_531 Depth=1
	v_cmp_ne_u16_sdwa s[8:9], v8, v9 src0_sel:BYTE_0 src1_sel:DWORD
	s_andn2_b64 s[2:3], s[2:3], exec
	s_and_b64 s[8:9], s[8:9], exec
	v_mov_b32_e32 v50, 0
	s_or_b64 s[2:3], s[2:3], s[8:9]
	s_or_b64 exec, exec, s[6:7]
	s_and_saveexec_b64 s[6:7], s[2:3]
	s_cbranch_execnz .LBB292_763
	s_branch .LBB292_764
.LBB292_1025:                           ;   in Loop: Header=BB292_531 Depth=1
	v_cmp_eq_u16_e64 s[2:3], s21, v8
	s_mov_b64 s[6:7], -1
                                        ; implicit-def: $sgpr26
	s_and_saveexec_b64 s[10:11], s[2:3]
; %bb.1026:                             ;   in Loop: Header=BB292_531 Depth=1
	s_mov_b32 s26, 0x7fc02000
	s_xor_b64 s[6:7], exec, -1
; %bb.1027:                             ;   in Loop: Header=BB292_531 Depth=1
	s_or_b64 exec, exec, s[10:11]
	s_and_b64 s[6:7], s[6:7], exec
	s_or_saveexec_b64 s[8:9], s[8:9]
	v_mov_b32_e32 v51, s26
	s_xor_b64 exec, exec, s[8:9]
	s_cbranch_execz .LBB292_766
.LBB292_1028:                           ;   in Loop: Header=BB292_531 Depth=1
	v_cmp_ne_u16_e64 s[2:3], 0, v8
	s_andn2_b64 s[6:7], s[6:7], exec
	s_and_b64 s[2:3], s[2:3], exec
	v_mov_b32_e32 v51, 0
	s_or_b64 s[6:7], s[6:7], s[2:3]
	s_or_b64 exec, exec, s[8:9]
	s_and_saveexec_b64 s[8:9], s[6:7]
	s_cbranch_execnz .LBB292_767
	s_branch .LBB292_768
.LBB292_1029:                           ;   in Loop: Header=BB292_531 Depth=1
	v_cmp_eq_u16_sdwa s[36:37], v24, s21 src0_sel:BYTE_0 src1_sel:DWORD
	s_mov_b64 s[2:3], -1
                                        ; implicit-def: $sgpr26
	s_and_saveexec_b64 s[10:11], s[36:37]
; %bb.1030:                             ;   in Loop: Header=BB292_531 Depth=1
	s_mov_b32 s26, 0x7fc02000
	s_xor_b64 s[2:3], exec, -1
; %bb.1031:                             ;   in Loop: Header=BB292_531 Depth=1
	s_or_b64 exec, exec, s[10:11]
	s_and_b64 s[2:3], s[2:3], exec
	s_or_saveexec_b64 s[8:9], s[8:9]
	v_mov_b32_e32 v28, s26
	s_xor_b64 exec, exec, s[8:9]
	s_cbranch_execz .LBB292_773
.LBB292_1032:                           ;   in Loop: Header=BB292_531 Depth=1
	v_cmp_ne_u16_sdwa s[10:11], v24, v9 src0_sel:BYTE_0 src1_sel:DWORD
	s_andn2_b64 s[2:3], s[2:3], exec
	s_and_b64 s[10:11], s[10:11], exec
	v_mov_b32_e32 v28, 0
	s_or_b64 s[2:3], s[2:3], s[10:11]
	s_or_b64 exec, exec, s[8:9]
	s_and_saveexec_b64 s[8:9], s[2:3]
	s_cbranch_execnz .LBB292_774
	s_branch .LBB292_775
.LBB292_1033:                           ;   in Loop: Header=BB292_531 Depth=1
	v_cmp_eq_u16_e64 s[2:3], s21, v8
	s_mov_b64 s[8:9], -1
                                        ; implicit-def: $sgpr35
	s_and_saveexec_b64 s[26:27], s[2:3]
; %bb.1034:                             ;   in Loop: Header=BB292_531 Depth=1
	s_mov_b32 s35, 0x7fc02000
	s_xor_b64 s[8:9], exec, -1
; %bb.1035:                             ;   in Loop: Header=BB292_531 Depth=1
	s_or_b64 exec, exec, s[26:27]
	s_and_b64 s[8:9], s[8:9], exec
	s_or_saveexec_b64 s[10:11], s[10:11]
	v_mov_b32_e32 v30, s35
	s_xor_b64 exec, exec, s[10:11]
	s_cbranch_execz .LBB292_777
.LBB292_1036:                           ;   in Loop: Header=BB292_531 Depth=1
	v_cmp_ne_u16_e64 s[2:3], 0, v8
	s_andn2_b64 s[8:9], s[8:9], exec
	s_and_b64 s[2:3], s[2:3], exec
	v_mov_b32_e32 v30, 0
	s_or_b64 s[8:9], s[8:9], s[2:3]
	s_or_b64 exec, exec, s[10:11]
	s_and_saveexec_b64 s[10:11], s[8:9]
	s_cbranch_execnz .LBB292_778
	s_branch .LBB292_779
.LBB292_1037:                           ;   in Loop: Header=BB292_531 Depth=1
	v_cmp_eq_u16_sdwa s[36:37], v8, s21 src0_sel:BYTE_0 src1_sel:DWORD
	s_mov_b64 s[2:3], -1
                                        ; implicit-def: $sgpr26
	s_and_saveexec_b64 s[10:11], s[36:37]
; %bb.1038:                             ;   in Loop: Header=BB292_531 Depth=1
	s_mov_b32 s26, 0x7fc02000
	s_xor_b64 s[2:3], exec, -1
; %bb.1039:                             ;   in Loop: Header=BB292_531 Depth=1
	s_or_b64 exec, exec, s[10:11]
	s_and_b64 s[2:3], s[2:3], exec
	s_or_saveexec_b64 s[8:9], s[8:9]
	v_mov_b32_e32 v29, s26
	s_xor_b64 exec, exec, s[8:9]
	s_cbranch_execz .LBB292_781
.LBB292_1040:                           ;   in Loop: Header=BB292_531 Depth=1
	v_cmp_ne_u16_sdwa s[10:11], v8, v9 src0_sel:BYTE_0 src1_sel:DWORD
	s_andn2_b64 s[2:3], s[2:3], exec
	s_and_b64 s[10:11], s[10:11], exec
	v_mov_b32_e32 v29, 0
	s_or_b64 s[2:3], s[2:3], s[10:11]
	s_or_b64 exec, exec, s[8:9]
	s_and_saveexec_b64 s[8:9], s[2:3]
	s_cbranch_execnz .LBB292_782
	s_branch .LBB292_783
.LBB292_1041:                           ;   in Loop: Header=BB292_531 Depth=1
	v_cmp_eq_u16_e64 s[2:3], s21, v8
	s_mov_b64 s[8:9], -1
                                        ; implicit-def: $sgpr35
	s_and_saveexec_b64 s[26:27], s[2:3]
; %bb.1042:                             ;   in Loop: Header=BB292_531 Depth=1
	s_mov_b32 s35, 0x7fc02000
	s_xor_b64 s[8:9], exec, -1
; %bb.1043:                             ;   in Loop: Header=BB292_531 Depth=1
	s_or_b64 exec, exec, s[26:27]
	s_and_b64 s[8:9], s[8:9], exec
	s_or_saveexec_b64 s[10:11], s[10:11]
	v_mov_b32_e32 v31, s35
	s_xor_b64 exec, exec, s[10:11]
	s_cbranch_execz .LBB292_785
.LBB292_1044:                           ;   in Loop: Header=BB292_531 Depth=1
	v_cmp_ne_u16_e64 s[2:3], 0, v8
	s_andn2_b64 s[8:9], s[8:9], exec
	s_and_b64 s[2:3], s[2:3], exec
	v_mov_b32_e32 v31, 0
	s_or_b64 s[8:9], s[8:9], s[2:3]
	s_or_b64 exec, exec, s[10:11]
	s_and_saveexec_b64 s[10:11], s[8:9]
	s_cbranch_execnz .LBB292_786
	s_branch .LBB292_787
.LBB292_1045:                           ;   in Loop: Header=BB292_531 Depth=1
	v_cmp_eq_u16_sdwa s[36:37], v25, s21 src0_sel:BYTE_0 src1_sel:DWORD
	s_mov_b64 s[2:3], -1
                                        ; implicit-def: $sgpr26
	s_and_saveexec_b64 s[10:11], s[36:37]
; %bb.1046:                             ;   in Loop: Header=BB292_531 Depth=1
	s_mov_b32 s26, 0x7fc02000
	s_xor_b64 s[2:3], exec, -1
; %bb.1047:                             ;   in Loop: Header=BB292_531 Depth=1
	s_or_b64 exec, exec, s[10:11]
	s_and_b64 s[2:3], s[2:3], exec
	s_or_saveexec_b64 s[8:9], s[8:9]
	v_mov_b32_e32 v4, s26
	s_xor_b64 exec, exec, s[8:9]
	s_cbranch_execz .LBB292_789
.LBB292_1048:                           ;   in Loop: Header=BB292_531 Depth=1
	v_cmp_ne_u16_sdwa s[10:11], v25, v9 src0_sel:BYTE_0 src1_sel:DWORD
	s_andn2_b64 s[2:3], s[2:3], exec
	s_and_b64 s[10:11], s[10:11], exec
	v_mov_b32_e32 v4, 0
	s_or_b64 s[2:3], s[2:3], s[10:11]
	s_or_b64 exec, exec, s[8:9]
	v_mov_b32_e32 v8, v25
	s_and_saveexec_b64 s[8:9], s[2:3]
	s_cbranch_execnz .LBB292_790
	s_branch .LBB292_791
.LBB292_1049:                           ;   in Loop: Header=BB292_531 Depth=1
	v_cmp_eq_u16_e64 s[2:3], s21, v8
	s_mov_b64 s[8:9], -1
                                        ; implicit-def: $sgpr35
	s_and_saveexec_b64 s[26:27], s[2:3]
; %bb.1050:                             ;   in Loop: Header=BB292_531 Depth=1
	s_mov_b32 s35, 0x7fc02000
	s_xor_b64 s[8:9], exec, -1
; %bb.1051:                             ;   in Loop: Header=BB292_531 Depth=1
	s_or_b64 exec, exec, s[26:27]
	s_and_b64 s[8:9], s[8:9], exec
	s_or_saveexec_b64 s[10:11], s[10:11]
	v_mov_b32_e32 v5, s35
	s_xor_b64 exec, exec, s[10:11]
	s_cbranch_execz .LBB292_793
.LBB292_1052:                           ;   in Loop: Header=BB292_531 Depth=1
	v_cmp_ne_u16_e64 s[2:3], 0, v8
	s_andn2_b64 s[8:9], s[8:9], exec
	s_and_b64 s[2:3], s[2:3], exec
	v_mov_b32_e32 v5, 0
	s_or_b64 s[8:9], s[8:9], s[2:3]
	s_or_b64 exec, exec, s[10:11]
	s_and_saveexec_b64 s[10:11], s[8:9]
	s_cbranch_execnz .LBB292_794
	s_branch .LBB292_795
.LBB292_1053:                           ;   in Loop: Header=BB292_531 Depth=1
	v_cmp_eq_u16_sdwa s[36:37], v8, s21 src0_sel:BYTE_0 src1_sel:DWORD
	s_mov_b64 s[2:3], -1
                                        ; implicit-def: $sgpr26
	s_and_saveexec_b64 s[10:11], s[36:37]
; %bb.1054:                             ;   in Loop: Header=BB292_531 Depth=1
	s_mov_b32 s26, 0x7fc02000
	s_xor_b64 s[2:3], exec, -1
; %bb.1055:                             ;   in Loop: Header=BB292_531 Depth=1
	s_or_b64 exec, exec, s[10:11]
	s_and_b64 s[2:3], s[2:3], exec
	s_or_saveexec_b64 s[8:9], s[8:9]
	v_mov_b32_e32 v6, s26
	s_xor_b64 exec, exec, s[8:9]
	s_cbranch_execz .LBB292_797
.LBB292_1056:                           ;   in Loop: Header=BB292_531 Depth=1
	v_cmp_ne_u16_sdwa s[10:11], v8, v9 src0_sel:BYTE_0 src1_sel:DWORD
	s_andn2_b64 s[2:3], s[2:3], exec
	s_and_b64 s[10:11], s[10:11], exec
	v_mov_b32_e32 v6, 0
	s_or_b64 s[2:3], s[2:3], s[10:11]
	s_or_b64 exec, exec, s[8:9]
	s_and_saveexec_b64 s[8:9], s[2:3]
	s_cbranch_execnz .LBB292_798
	s_branch .LBB292_799
.LBB292_1057:                           ;   in Loop: Header=BB292_531 Depth=1
	v_cmp_eq_u16_e64 s[2:3], s21, v8
	s_mov_b64 s[8:9], -1
                                        ; implicit-def: $sgpr35
	s_and_saveexec_b64 s[26:27], s[2:3]
; %bb.1058:                             ;   in Loop: Header=BB292_531 Depth=1
	s_mov_b32 s35, 0x7fc02000
	s_xor_b64 s[8:9], exec, -1
; %bb.1059:                             ;   in Loop: Header=BB292_531 Depth=1
	s_or_b64 exec, exec, s[26:27]
	s_and_b64 s[8:9], s[8:9], exec
	s_or_saveexec_b64 s[10:11], s[10:11]
	v_mov_b32_e32 v21, s35
	s_xor_b64 exec, exec, s[10:11]
	s_cbranch_execz .LBB292_801
.LBB292_1060:                           ;   in Loop: Header=BB292_531 Depth=1
	v_cmp_ne_u16_e64 s[2:3], 0, v8
	s_andn2_b64 s[8:9], s[8:9], exec
	s_and_b64 s[2:3], s[2:3], exec
	v_mov_b32_e32 v21, 0
	s_or_b64 s[8:9], s[8:9], s[2:3]
	s_or_b64 exec, exec, s[10:11]
	s_and_saveexec_b64 s[10:11], s[8:9]
	s_cbranch_execnz .LBB292_802
	s_branch .LBB292_803
.LBB292_1061:
	s_or_b64 exec, exec, s[24:25]
	v_accvgpr_read_b32 v20, a16
	v_accvgpr_read_b32 v21, a18
.LBB292_1062:
	s_or_b64 exec, exec, s[22:23]
	ds_bpermute_b32 v0, v13, v32
	ds_bpermute_b32 v1, v13, v33
	;; [unrolled: 1-line block ×8, first 2 shown]
	s_waitcnt lgkmcnt(0)
	v_pk_add_f32 v[0:1], v[32:33], v[0:1]
	ds_bpermute_b32 v4, v41, v0
	ds_bpermute_b32 v5, v41, v1
	v_pk_add_f32 v[2:3], v[34:35], v[2:3]
	v_pk_add_f32 v[12:13], v[36:37], v[6:7]
	;; [unrolled: 1-line block ×3, first 2 shown]
	ds_bpermute_b32 v10, v41, v2
	ds_bpermute_b32 v11, v41, v3
	;; [unrolled: 1-line block ×6, first 2 shown]
	s_waitcnt lgkmcnt(0)
	v_pk_add_f32 v[8:9], v[0:1], v[4:5]
	v_accvgpr_read_b32 v4, a2
	v_pk_add_f32 v[6:7], v[2:3], v[10:11]
	v_pk_add_f32 v[2:3], v[12:13], v[14:15]
	;; [unrolled: 1-line block ×3, first 2 shown]
	v_and_b32_e32 v4, 0x3c0, v4
	s_barrier
	v_cmp_eq_u32_e32 vcc, 64, v4
	s_mov_b64 s[2:3], exec
	v_accvgpr_read_b32 v11, a1
	s_and_b64 s[0:1], s[2:3], vcc
	v_accvgpr_read_b32 v10, a0
	s_mov_b64 exec, s[0:1]
	s_cbranch_execz .LBB292_1067
; %bb.1063:
	v_cmp_eq_u32_e32 vcc, 0, v20
	s_and_saveexec_b64 s[0:1], vcc
	s_cbranch_execz .LBB292_1065
; %bb.1064:
	s_load_dword s4, s[12:13], 0x0
	s_waitcnt lgkmcnt(0)
	v_lshl_add_u32 v4, v21, 2, s4
	ds_write2_b32 v4, v8, v9 offset1:16
	ds_write2_b32 v4, v6, v7 offset0:32 offset1:48
	ds_write2_b32 v4, v2, v3 offset0:64 offset1:80
	ds_write_b32 v4, v0 offset:384
.LBB292_1065:
	s_or_b64 exec, exec, s[0:1]
	v_or_b32_e32 v4, 0x70, v21
	s_movk_i32 s0, 0x78
	v_cmp_gt_u32_e64 s[0:1], s0, v4
	s_and_b64 s[0:1], vcc, s[0:1]
	s_and_b64 exec, exec, s[0:1]
	s_cbranch_execz .LBB292_1067
; %bb.1066:
	s_load_dword s0, s[12:13], 0x0
	s_waitcnt lgkmcnt(0)
	v_lshl_add_u32 v4, v21, 2, s0
	ds_write_b32 v4, v1 offset:448
.LBB292_1067:
	s_or_b64 exec, exec, s[2:3]
	v_accvgpr_read_b32 v4, a2
	v_cmp_gt_u32_e32 vcc, 64, v4
	v_lshrrev_b32_e32 v12, 2, v4
	s_waitcnt lgkmcnt(0)
	s_barrier
	s_and_saveexec_b64 s[4:5], vcc
	s_cbranch_execz .LBB292_1079
; %bb.1068:
	v_cmp_eq_u32_e64 s[0:1], 0, v20
	s_and_saveexec_b64 s[2:3], s[0:1]
	s_cbranch_execnz .LBB292_1085
; %bb.1069:
	s_or_b64 exec, exec, s[2:3]
	s_and_saveexec_b64 s[2:3], s[0:1]
	s_cbranch_execnz .LBB292_1086
.LBB292_1070:
	s_or_b64 exec, exec, s[2:3]
	s_and_saveexec_b64 s[2:3], s[0:1]
	s_cbranch_execnz .LBB292_1087
.LBB292_1071:
	s_or_b64 exec, exec, s[2:3]
	s_and_saveexec_b64 s[2:3], s[0:1]
	s_cbranch_execnz .LBB292_1088
.LBB292_1072:
	s_or_b64 exec, exec, s[2:3]
	s_and_saveexec_b64 s[2:3], s[0:1]
	s_cbranch_execnz .LBB292_1089
.LBB292_1073:
	s_or_b64 exec, exec, s[2:3]
	s_and_saveexec_b64 s[2:3], s[0:1]
	s_cbranch_execnz .LBB292_1090
.LBB292_1074:
	s_or_b64 exec, exec, s[2:3]
	s_and_saveexec_b64 s[2:3], s[0:1]
	s_cbranch_execz .LBB292_1076
.LBB292_1075:
	s_load_dword s6, s[12:13], 0x0
	s_waitcnt lgkmcnt(0)
	v_lshl_add_u32 v4, v12, 2, s6
	ds_read_b32 v4, v4 offset:384
	s_waitcnt lgkmcnt(0)
	v_add_f32_e32 v0, v0, v4
.LBB292_1076:
	s_or_b64 exec, exec, s[2:3]
	v_or_b32_e32 v4, 0x70, v12
	s_movk_i32 s2, 0x78
	v_cmp_gt_u32_e64 s[2:3], s2, v4
	s_and_b64 s[2:3], s[0:1], s[2:3]
	s_and_saveexec_b64 s[0:1], s[2:3]
	s_cbranch_execz .LBB292_1078
; %bb.1077:
	s_load_dword s2, s[12:13], 0x0
	s_waitcnt lgkmcnt(0)
	v_lshl_add_u32 v4, v12, 2, s2
	ds_read_b32 v4, v4 offset:448
	s_waitcnt lgkmcnt(0)
	v_add_f32_e32 v1, v1, v4
.LBB292_1078:
	s_or_b64 exec, exec, s[0:1]
.LBB292_1079:
	s_or_b64 exec, exec, s[4:5]
	s_barrier
	s_and_b64 exec, exec, vcc
	s_cbranch_execz .LBB292_1084
; %bb.1080:
	s_mul_i32 s0, s20, 0x78
	s_mul_i32 s4, s18, s19
	;; [unrolled: 1-line block ×3, first 2 shown]
	s_ashr_i32 s1, s0, 31
	s_ashr_i32 s5, s4, 31
	;; [unrolled: 1-line block ×3, first 2 shown]
	s_lshl_b64 s[0:1], s[0:1], 1
	s_lshl_b64 s[4:5], s[4:5], 1
	;; [unrolled: 1-line block ×3, first 2 shown]
	s_add_u32 s3, s6, s4
	s_addc_u32 s4, s7, s5
	s_add_u32 s0, s3, s0
	s_addc_u32 s1, s4, s1
	s_movk_i32 s2, 0x78
	v_lshl_add_u64 v[4:5], s[0:1], 0, v[10:11]
	v_cmp_eq_u32_e32 vcc, 0, v20
	v_lshlrev_b32_e32 v10, 1, v12
	s_and_saveexec_b64 s[0:1], vcc
	s_cbranch_execz .LBB292_1082
; %bb.1081:
	v_mov_b32_e32 v11, 0
	v_lshl_add_u64 v[14:15], v[4:5], 0, v[10:11]
	;;#ASMSTART
	v_cvt_f16_f32 v8, v8;

	;;#ASMEND
	flat_store_short v[14:15], v8
	;;#ASMSTART
	v_cvt_f16_f32 v8, v9;

	;;#ASMEND
	flat_store_short v[14:15], v8 offset:32
	;;#ASMSTART
	v_cvt_f16_f32 v6, v6;

	;;#ASMEND
	flat_store_short v[14:15], v6 offset:64
	;; [unrolled: 5-line block ×6, first 2 shown]
.LBB292_1082:
	s_or_b64 exec, exec, s[0:1]
	v_or_b32_e32 v0, 0x70, v12
	v_cmp_gt_u32_e64 s[0:1], s2, v0
	s_and_b64 s[0:1], vcc, s[0:1]
	s_and_b64 exec, exec, s[0:1]
	s_cbranch_execz .LBB292_1084
; %bb.1083:
	v_mov_b32_e32 v11, 0
	v_lshl_add_u64 v[2:3], v[4:5], 0, v[10:11]
	;;#ASMSTART
	v_cvt_f16_f32 v0, v1;

	;;#ASMEND
	flat_store_short v[2:3], v0 offset:224
.LBB292_1084:
	s_or_b64 exec, exec, s[16:17]
	scratch_load_dword a58, off, s32 offset:8 ; 4-byte Folded Reload
	scratch_load_dword a57, off, s32 offset:12 ; 4-byte Folded Reload
	;; [unrolled: 1-line block ×42, first 2 shown]
	v_readlane_b32 s30, v63, 6
	v_readlane_b32 s31, v63, 7
	;; [unrolled: 1-line block ×8, first 2 shown]
	s_or_saveexec_b64 s[0:1], -1
	scratch_load_dword v63, off, s32 offset:200 ; 4-byte Folded Reload
	s_mov_b64 exec, s[0:1]
	s_waitcnt vmcnt(0) lgkmcnt(0)
	s_setpc_b64 s[30:31]
.LBB292_1085:
	s_load_dword s6, s[12:13], 0x0
	s_waitcnt lgkmcnt(0)
	v_lshl_add_u32 v4, v12, 2, s6
	ds_read_b32 v4, v4
	s_waitcnt lgkmcnt(0)
	v_add_f32_e32 v8, v8, v4
	s_or_b64 exec, exec, s[2:3]
	s_and_saveexec_b64 s[2:3], s[0:1]
	s_cbranch_execz .LBB292_1070
.LBB292_1086:
	s_load_dword s6, s[12:13], 0x0
	s_waitcnt lgkmcnt(0)
	v_lshl_add_u32 v4, v12, 2, s6
	ds_read_b32 v4, v4 offset:64
	s_waitcnt lgkmcnt(0)
	v_add_f32_e32 v9, v9, v4
	s_or_b64 exec, exec, s[2:3]
	s_and_saveexec_b64 s[2:3], s[0:1]
	s_cbranch_execz .LBB292_1071
.LBB292_1087:
	s_load_dword s6, s[12:13], 0x0
	s_waitcnt lgkmcnt(0)
	v_lshl_add_u32 v4, v12, 2, s6
	ds_read_b32 v4, v4 offset:128
	s_waitcnt lgkmcnt(0)
	v_add_f32_e32 v6, v6, v4
	s_or_b64 exec, exec, s[2:3]
	s_and_saveexec_b64 s[2:3], s[0:1]
	s_cbranch_execz .LBB292_1072
.LBB292_1088:
	s_load_dword s6, s[12:13], 0x0
	s_waitcnt lgkmcnt(0)
	v_lshl_add_u32 v4, v12, 2, s6
	ds_read_b32 v4, v4 offset:192
	s_waitcnt lgkmcnt(0)
	v_add_f32_e32 v7, v7, v4
	s_or_b64 exec, exec, s[2:3]
	s_and_saveexec_b64 s[2:3], s[0:1]
	s_cbranch_execz .LBB292_1073
.LBB292_1089:
	s_load_dword s6, s[12:13], 0x0
	s_waitcnt lgkmcnt(0)
	v_lshl_add_u32 v4, v12, 2, s6
	ds_read_b32 v4, v4 offset:256
	s_waitcnt lgkmcnt(0)
	v_add_f32_e32 v2, v2, v4
	s_or_b64 exec, exec, s[2:3]
	s_and_saveexec_b64 s[2:3], s[0:1]
	s_cbranch_execz .LBB292_1074
.LBB292_1090:
	s_load_dword s6, s[12:13], 0x0
	s_waitcnt lgkmcnt(0)
	v_lshl_add_u32 v4, v12, 2, s6
	ds_read_b32 v4, v4 offset:320
	s_waitcnt lgkmcnt(0)
	v_add_f32_e32 v3, v3, v4
	s_or_b64 exec, exec, s[2:3]
	s_and_saveexec_b64 s[2:3], s[0:1]
	s_cbranch_execnz .LBB292_1075
	s_branch .LBB292_1076
.Lfunc_end292:
	.size	_ZN4vllm22paged_attention_kernelIthLi120ELi32ELi128ELNS_18Fp8KVCacheDataTypeE1ELb1ELi512EEEvPfS2_PT_PKS3_PKT0_S9_ifPKiSB_iPKfiiiSD_SD_iiiii, .Lfunc_end292-_ZN4vllm22paged_attention_kernelIthLi120ELi32ELi128ELNS_18Fp8KVCacheDataTypeE1ELb1ELi512EEEvPfS2_PT_PKS3_PKT0_S9_ifPKiSB_iPKfiiiSD_SD_iiiii
                                        ; -- End function
	.section	.AMDGPU.csdata,"",@progbits
; Function info:
; codeLenInByte = 46232
; NumSgprs: 46
; NumVgprs: 64
; NumAgprs: 59
; TotalNumVgprs: 123
; ScratchSize: 208
; MemoryBound: 0
	.section	.text._ZN4vllm25paged_attention_v2_kernelIthLi120ELi32ELi128ELNS_18Fp8KVCacheDataTypeE1ELb1ELi512EEEvPfS2_PT_PKS3_PKT0_S9_ifPKiSB_iPKfiiiSD_SD_iiiii,"axG",@progbits,_ZN4vllm25paged_attention_v2_kernelIthLi120ELi32ELi128ELNS_18Fp8KVCacheDataTypeE1ELb1ELi512EEEvPfS2_PT_PKS3_PKT0_S9_ifPKiSB_iPKfiiiSD_SD_iiiii,comdat
	.protected	_ZN4vllm25paged_attention_v2_kernelIthLi120ELi32ELi128ELNS_18Fp8KVCacheDataTypeE1ELb1ELi512EEEvPfS2_PT_PKS3_PKT0_S9_ifPKiSB_iPKfiiiSD_SD_iiiii ; -- Begin function _ZN4vllm25paged_attention_v2_kernelIthLi120ELi32ELi128ELNS_18Fp8KVCacheDataTypeE1ELb1ELi512EEEvPfS2_PT_PKS3_PKT0_S9_ifPKiSB_iPKfiiiSD_SD_iiiii
	.globl	_ZN4vllm25paged_attention_v2_kernelIthLi120ELi32ELi128ELNS_18Fp8KVCacheDataTypeE1ELb1ELi512EEEvPfS2_PT_PKS3_PKT0_S9_ifPKiSB_iPKfiiiSD_SD_iiiii
	.p2align	8
	.type	_ZN4vllm25paged_attention_v2_kernelIthLi120ELi32ELi128ELNS_18Fp8KVCacheDataTypeE1ELb1ELi512EEEvPfS2_PT_PKS3_PKT0_S9_ifPKiSB_iPKfiiiSD_SD_iiiii,@function
_ZN4vllm25paged_attention_v2_kernelIthLi120ELi32ELi128ELNS_18Fp8KVCacheDataTypeE1ELb1ELi512EEEvPfS2_PT_PKS3_PKT0_S9_ifPKiSB_iPKfiiiSD_SD_iiiii: ; @_ZN4vllm25paged_attention_v2_kernelIthLi120ELi32ELi128ELNS_18Fp8KVCacheDataTypeE1ELb1ELi512EEEvPfS2_PT_PKS3_PKT0_S9_ifPKiSB_iPKfiiiSD_SD_iiiii
; %bb.0:
	s_load_dwordx8 s[24:31], s[0:1], 0x0
	s_load_dwordx8 s[16:23], s[0:1], 0x20
	s_load_dwordx2 s[6:7], s[0:1], 0x40
	s_load_dwordx4 s[44:47], s[0:1], 0x78
	s_load_dword s5, s[0:1], 0x88
	s_load_dwordx2 s[10:11], s[0:1], 0x50
	s_load_dword s33, s[0:1], 0x48
	s_load_dwordx8 s[36:43], s[0:1], 0x58
	s_mov_b32 s32, 0
	s_waitcnt lgkmcnt(0)
	v_mov_b32_e32 v2, s47
	v_mov_b32_e32 v3, s5
	s_add_u32 s8, s0, 0x90
	scratch_store_dwordx2 off, v[2:3], s32
	s_addc_u32 s9, s1, 0
	s_mov_b32 s12, s2
	s_mov_b32 s13, s3
	;; [unrolled: 1-line block ×4, first 2 shown]
	v_mov_b32_e32 v31, v0
	v_mov_b32_e32 v0, s24
	;; [unrolled: 1-line block ×32, first 2 shown]
	s_getpc_b64 s[0:1]
	s_add_u32 s0, s0, _ZN4vllm22paged_attention_kernelIthLi120ELi32ELi128ELNS_18Fp8KVCacheDataTypeE1ELb1ELi512EEEvPfS2_PT_PKS3_PKT0_S9_ifPKiSB_iPKfiiiSD_SD_iiiii@rel32@lo+4
	s_addc_u32 s1, s1, _ZN4vllm22paged_attention_kernelIthLi120ELi32ELi128ELNS_18Fp8KVCacheDataTypeE1ELb1ELi512EEEvPfS2_PT_PKS3_PKT0_S9_ifPKiSB_iPKfiiiSD_SD_iiiii@rel32@hi+12
	s_swappc_b64 s[30:31], s[0:1]
	s_endpgm
	.section	.rodata,"a",@progbits
	.p2align	6, 0x0
	.amdhsa_kernel _ZN4vllm25paged_attention_v2_kernelIthLi120ELi32ELi128ELNS_18Fp8KVCacheDataTypeE1ELb1ELi512EEEvPfS2_PT_PKS3_PKT0_S9_ifPKiSB_iPKfiiiSD_SD_iiiii
		.amdhsa_group_segment_fixed_size 256
		.amdhsa_private_segment_fixed_size 208
		.amdhsa_kernarg_size 400
		.amdhsa_user_sgpr_count 2
		.amdhsa_user_sgpr_dispatch_ptr 0
		.amdhsa_user_sgpr_queue_ptr 0
		.amdhsa_user_sgpr_kernarg_segment_ptr 1
		.amdhsa_user_sgpr_dispatch_id 0
		.amdhsa_user_sgpr_kernarg_preload_length 0
		.amdhsa_user_sgpr_kernarg_preload_offset 0
		.amdhsa_user_sgpr_private_segment_size 0
		.amdhsa_uses_dynamic_stack 0
		.amdhsa_enable_private_segment 1
		.amdhsa_system_sgpr_workgroup_id_x 1
		.amdhsa_system_sgpr_workgroup_id_y 1
		.amdhsa_system_sgpr_workgroup_id_z 1
		.amdhsa_system_sgpr_workgroup_info 0
		.amdhsa_system_vgpr_workitem_id 0
		.amdhsa_next_free_vgpr 123
		.amdhsa_next_free_sgpr 48
		.amdhsa_accum_offset 64
		.amdhsa_reserve_vcc 1
		.amdhsa_float_round_mode_32 0
		.amdhsa_float_round_mode_16_64 0
		.amdhsa_float_denorm_mode_32 3
		.amdhsa_float_denorm_mode_16_64 3
		.amdhsa_dx10_clamp 1
		.amdhsa_ieee_mode 1
		.amdhsa_fp16_overflow 0
		.amdhsa_tg_split 0
		.amdhsa_exception_fp_ieee_invalid_op 0
		.amdhsa_exception_fp_denorm_src 0
		.amdhsa_exception_fp_ieee_div_zero 0
		.amdhsa_exception_fp_ieee_overflow 0
		.amdhsa_exception_fp_ieee_underflow 0
		.amdhsa_exception_fp_ieee_inexact 0
		.amdhsa_exception_int_div_zero 0
	.end_amdhsa_kernel
	.section	.text._ZN4vllm25paged_attention_v2_kernelIthLi120ELi32ELi128ELNS_18Fp8KVCacheDataTypeE1ELb1ELi512EEEvPfS2_PT_PKS3_PKT0_S9_ifPKiSB_iPKfiiiSD_SD_iiiii,"axG",@progbits,_ZN4vllm25paged_attention_v2_kernelIthLi120ELi32ELi128ELNS_18Fp8KVCacheDataTypeE1ELb1ELi512EEEvPfS2_PT_PKS3_PKT0_S9_ifPKiSB_iPKfiiiSD_SD_iiiii,comdat
.Lfunc_end293:
	.size	_ZN4vllm25paged_attention_v2_kernelIthLi120ELi32ELi128ELNS_18Fp8KVCacheDataTypeE1ELb1ELi512EEEvPfS2_PT_PKS3_PKT0_S9_ifPKiSB_iPKfiiiSD_SD_iiiii, .Lfunc_end293-_ZN4vllm25paged_attention_v2_kernelIthLi120ELi32ELi128ELNS_18Fp8KVCacheDataTypeE1ELb1ELi512EEEvPfS2_PT_PKS3_PKT0_S9_ifPKiSB_iPKfiiiSD_SD_iiiii
                                        ; -- End function
	.section	.AMDGPU.csdata,"",@progbits
; Kernel info:
; codeLenInByte = 272
; NumSgprs: 54
; NumVgprs: 64
; NumAgprs: 59
; TotalNumVgprs: 123
; ScratchSize: 208
; MemoryBound: 0
; FloatMode: 240
; IeeeMode: 1
; LDSByteSize: 256 bytes/workgroup (compile time only)
; SGPRBlocks: 6
; VGPRBlocks: 15
; NumSGPRsForWavesPerEU: 54
; NumVGPRsForWavesPerEU: 123
; AccumOffset: 64
; Occupancy: 4
; WaveLimiterHint : 1
; COMPUTE_PGM_RSRC2:SCRATCH_EN: 1
; COMPUTE_PGM_RSRC2:USER_SGPR: 2
; COMPUTE_PGM_RSRC2:TRAP_HANDLER: 0
; COMPUTE_PGM_RSRC2:TGID_X_EN: 1
; COMPUTE_PGM_RSRC2:TGID_Y_EN: 1
; COMPUTE_PGM_RSRC2:TGID_Z_EN: 1
; COMPUTE_PGM_RSRC2:TIDIG_COMP_CNT: 0
; COMPUTE_PGM_RSRC3_GFX90A:ACCUM_OFFSET: 15
; COMPUTE_PGM_RSRC3_GFX90A:TG_SPLIT: 0
	.text
	.p2align	2                               ; -- Begin function _ZN4vllm22paged_attention_kernelIthLi128ELi32ELi128ELNS_18Fp8KVCacheDataTypeE1ELb1ELi512EEEvPfS2_PT_PKS3_PKT0_S9_ifPKiSB_iPKfiiiSD_SD_iiiii
	.type	_ZN4vllm22paged_attention_kernelIthLi128ELi32ELi128ELNS_18Fp8KVCacheDataTypeE1ELb1ELi512EEEvPfS2_PT_PKS3_PKT0_S9_ifPKiSB_iPKfiiiSD_SD_iiiii,@function
_ZN4vllm22paged_attention_kernelIthLi128ELi32ELi128ELNS_18Fp8KVCacheDataTypeE1ELb1ELi512EEEvPfS2_PT_PKS3_PKT0_S9_ifPKiSB_iPKfiiiSD_SD_iiiii: ; @_ZN4vllm22paged_attention_kernelIthLi128ELi32ELi128ELNS_18Fp8KVCacheDataTypeE1ELb1ELi512EEEvPfS2_PT_PKS3_PKT0_S9_ifPKiSB_iPKfiiiSD_SD_iiiii
; %bb.0:
	s_waitcnt vmcnt(0) expcnt(0) lgkmcnt(0)
	s_or_saveexec_b64 s[0:1], -1
	scratch_store_dword off, v63, s32 offset:248 ; 4-byte Folded Spill
	s_mov_b64 exec, s[0:1]
	scratch_store_dword off, v40, s32 offset:192 ; 4-byte Folded Spill
	scratch_store_dword off, v41, s32 offset:188 ; 4-byte Folded Spill
	;; [unrolled: 1-line block ×47, first 2 shown]
	v_writelane_b32 v63, s34, 0
	v_writelane_b32 v63, s35, 1
	;; [unrolled: 1-line block ×7, first 2 shown]
	s_nop 1
	v_writelane_b32 v63, s31, 7
	s_mov_b32 s20, s13
	s_ashr_i32 s21, s13, 31
	v_accvgpr_write_b32 a4, v26
	v_mov_b32_e32 v37, v3
	v_mov_b32_e32 v36, v2
	v_lshl_add_u64 v[2:3], s[20:21], 2, v[16:17]
	v_accvgpr_write_b32 a5, v27
	v_mov_b32_e32 v27, v1
	v_mov_b32_e32 v26, v0
	scratch_load_dword v0, off, s32 offset:4
	s_nop 0
	flat_load_dword v2, v[2:3]
	s_nop 0
	scratch_load_dword v1, off, s32
	v_accvgpr_write_b32 a35, v25
	s_lshl_b32 s21, s14, 9
	v_accvgpr_write_b32 a34, v24
	v_accvgpr_write_b32 a6, v22
	v_mov_b32_e32 v33, v20
	v_mov_b32_e32 v32, v19
	v_accvgpr_write_b32 a33, v13
	v_mov_b32_e32 v25, v11
	v_mov_b32_e32 v24, v10
	s_waitcnt vmcnt(0) lgkmcnt(0)
	v_accvgpr_write_b32 a8, v2
	v_cmp_lt_i32_e32 vcc, s21, v2
	s_and_saveexec_b64 s[16:17], vcc
	s_cbranch_execz .LBB294_1107
; %bb.1:
	v_sub_u32_e32 v2, 0, v12
	v_max_i32_e32 v2, v12, v2
	v_cvt_f32_u32_e32 v3, v2
	s_load_dword s0, s[8:9], 0x10
	s_load_dword s2, s[8:9], 0x0
	v_accvgpr_write_b32 a0, v4
	v_accvgpr_write_b32 a1, v5
	v_rcp_iflag_f32_e32 v3, v3
	s_waitcnt lgkmcnt(0)
	s_lshr_b32 s0, s0, 16
	s_cmp_lg_u32 s0, 0
	s_cselect_b64 s[0:1], -1, 0
	v_mul_f32_e32 v3, 0x4f7ffffe, v3
	v_cvt_u32_f32_e32 v3, v3
	v_sub_u32_e32 v5, 0, v2
	s_cmp_lg_u64 s[0:1], 0
	s_mov_b32 s10, s15
	v_mul_lo_u32 v5, v5, v3
	s_addc_u32 s15, s2, 0
	v_mul_hi_u32 v5, v3, v5
	s_abs_i32 s0, s15
	v_add_u32_e32 v3, v3, v5
	v_mul_hi_u32 v3, s0, v3
	v_mul_lo_u32 v5, v3, v2
	v_sub_u32_e32 v5, s0, v5
	v_add_u32_e32 v10, 1, v3
	v_cmp_ge_u32_e32 vcc, v5, v2
	v_xor_b32_e32 v4, s15, v12
	v_ashrrev_i32_e32 v4, 31, v4
	v_cndmask_b32_e32 v3, v3, v10, vcc
	v_sub_u32_e32 v10, v5, v2
	v_cndmask_b32_e32 v5, v5, v10, vcc
	v_add_u32_e32 v10, 1, v3
	v_cmp_ge_u32_e32 vcc, v5, v2
	s_abs_i32 s2, s12
	s_nop 0
	v_cndmask_b32_e32 v2, v3, v10, vcc
	v_xor_b32_e32 v2, v2, v4
	v_sub_u32_e32 v2, v2, v4
	v_sub_u32_e32 v3, 0, v2
	v_max_i32_e32 v3, v2, v3
	v_cvt_f32_u32_e32 v4, v3
	v_sub_u32_e32 v5, 0, v3
	v_cmp_ne_u64_e32 vcc, 0, v[32:33]
	v_rcp_iflag_f32_e32 v4, v4
	s_nop 0
	v_mul_f32_e32 v4, 0x4f7ffffe, v4
	v_cvt_u32_f32_e32 v4, v4
	v_mul_lo_u32 v5, v5, v4
	v_mul_hi_u32 v5, v4, v5
	v_add_u32_e32 v4, v4, v5
	v_mad_u64_u32 v[34:35], s[0:1], s2, v4, 0
	v_mov_b32_e32 v4, 0
	scratch_store_dword off, v4, s32 offset:228 ; 4-byte Folded Spill
	s_and_saveexec_b64 s[0:1], vcc
	s_cbranch_execz .LBB294_3
; %bb.2:
	s_ashr_i32 s13, s12, 31
	v_lshl_add_u64 v[4:5], s[12:13], 2, v[32:33]
	flat_load_dword v4, v[4:5]
	s_waitcnt vmcnt(0) lgkmcnt(0)
	scratch_store_dword off, v4, s32 offset:228 ; 4-byte Folded Spill
.LBB294_3:
	s_or_b64 exec, exec, s[0:1]
	v_and_b32_e32 v5, 0x3ff, v31
	s_ashr_i32 s3, s12, 31
	v_ashrrev_i32_e32 v4, 31, v2
	v_and_b32_e32 v2, 1, v5
	s_lshl_b32 s18, s12, 7
	v_cmp_gt_u32_e32 vcc, 32, v5
	v_accvgpr_write_b32 a2, v5
	v_lshlrev_b32_e32 v20, 3, v5
	s_and_saveexec_b64 s[0:1], vcc
	s_cbranch_execz .LBB294_5
; %bb.4:
	v_mul_lo_u32 v10, s20, v21
	v_ashrrev_i32_e32 v11, 31, v10
	v_lshl_add_u64 v[6:7], v[10:11], 1, v[6:7]
	s_ashr_i32 s19, s18, 31
	v_lshl_add_u64 v[6:7], s[18:19], 1, v[6:7]
	v_mov_b32_e32 v21, 0
	v_lshl_add_u64 v[6:7], v[6:7], 0, v[20:21]
	flat_load_dwordx2 v[6:7], v[6:7]
	v_accvgpr_read_b32 v5, a2
	v_lshlrev_b32_e32 v5, 2, v5
	v_and_b32_e32 v5, 0xff8, v5
	v_lshl_add_u32 v5, v2, 7, v5
	s_waitcnt vmcnt(0) lgkmcnt(0)
	ds_write_b64 v5, v[6:7]
.LBB294_5:
	s_or_b64 exec, exec, s[0:1]
	v_mul_lo_u32 v5, v35, v3
	v_sub_u32_e32 v5, s2, v5
	v_add_u32_e32 v6, 1, v35
	v_cmp_ge_u32_e32 vcc, v5, v3
	v_sub_u32_e32 v7, v5, v3
	v_xor_b32_e32 v4, s3, v4
	v_cndmask_b32_e32 v6, v35, v6, vcc
	v_cndmask_b32_e32 v5, v5, v7, vcc
	v_add_u32_e32 v7, 1, v6
	v_cmp_ge_u32_e32 vcc, v5, v3
	v_sub_u32_e32 v5, 0, v1
	s_waitcnt lgkmcnt(0)
	v_cndmask_b32_e32 v3, v6, v7, vcc
	v_max_i32_e32 v6, v1, v5
	v_cvt_f32_u32_e32 v5, v6
	v_xor_b32_e32 v3, v3, v4
	v_sub_u32_e32 v32, v3, v4
	v_accvgpr_read_b32 v4, a8
	v_rcp_iflag_f32_e32 v3, v5
	v_accvgpr_write_b32 a3, v6
	v_sub_u32_e32 v6, 0, v6
	v_add_u32_e32 v4, -1, v4
	v_mul_f32_e32 v3, 0x4f7ffffe, v3
	v_cvt_u32_f32_e32 v5, v3
	v_sub_u32_e32 v3, 0, v4
	v_max_i32_e32 v3, v4, v3
	v_cmp_gt_i32_e32 vcc, 0, v0
	v_mul_lo_u32 v6, v6, v5
	v_mul_hi_u32 v6, v5, v6
	v_add_u32_e32 v5, v5, v6
	v_accvgpr_write_b32 a7, v5
	v_mad_u64_u32 v[34:35], s[0:1], v3, v5, 0
	s_barrier
	s_waitcnt lgkmcnt(0)
                                        ; implicit-def: $agpr10
	s_and_saveexec_b64 s[0:1], vcc
	s_xor_b64 s[0:1], exec, s[0:1]
; %bb.6:
	v_mad_u64_u32 v[6:7], s[2:3], v28, v12, v[32:33]
	v_mul_lo_u32 v0, v6, v0
	v_sub_u32_e32 v0, 1, v0
	v_accvgpr_write_b32 a10, v0
                                        ; implicit-def: $vgpr28
                                        ; implicit-def: $vgpr0
; %bb.7:
	s_or_saveexec_b64 s[0:1], s[0:1]
	v_ashrrev_i32_e32 v1, 31, v1
	v_ashrrev_i32_e32 v4, 31, v4
	v_accvgpr_write_b32 a9, v1
	s_xor_b64 exec, exec, s[0:1]
; %bb.8:
	v_mul_lo_u32 v1, s15, v28
	v_add_u32_e32 v1, s12, v1
	v_mad_u64_u32 v[0:1], s[2:3], v1, v0, 1
	v_accvgpr_write_b32 a10, v0
; %bb.9:
	s_or_b64 exec, exec, s[0:1]
	v_accvgpr_read_b32 v5, a3
	v_mul_lo_u32 v1, v35, v5
	v_accvgpr_read_b32 v0, a9
	v_sub_u32_e32 v1, v3, v1
	v_xor_b32_e32 v0, v4, v0
	v_add_u32_e32 v3, 1, v35
	v_cmp_ge_u32_e32 vcc, v1, v5
	v_sub_u32_e32 v4, v1, v5
	s_load_dword s34, s[8:9], 0x14
	s_load_dword s13, s[8:9], 0x8
	v_cndmask_b32_e32 v3, v35, v3, vcc
	v_cndmask_b32_e32 v1, v1, v4, vcc
	v_add_u32_e32 v4, 1, v3
	v_cmp_ge_u32_e32 vcc, v1, v5
	s_lshl_b32 s19, s14, 4
	s_add_i32 s0, s19, 16
	v_cndmask_b32_e32 v1, v3, v4, vcc
	v_xor_b32_e32 v1, v1, v0
	v_accvgpr_read_b32 v4, a8
	v_sub_u32_e32 v0, v1, v0
	v_add_u32_e32 v1, 31, v4
	v_ashrrev_i32_e32 v3, 31, v1
	v_lshrrev_b32_e32 v3, 27, v3
	v_add_u32_e32 v1, v1, v3
	v_ashrrev_i32_e32 v22, 5, v1
	v_accvgpr_read_b32 v1, a2
	v_lshrrev_b32_e32 v21, 6, v1
	v_or_b32_e32 v4, s19, v21
	v_ashrrev_i32_e32 v5, 31, v4
	v_mul_lo_u32 v48, s20, v18
	v_min_i32_e32 v3, s0, v22
	v_sub_u32_e32 v0, v0, v29
	v_mul_lo_u32 v28, v32, v23
	v_accvgpr_write_b32 a13, v5
	v_ashrrev_i32_e32 v49, 31, v48
	v_accvgpr_write_b32 a11, v3
	v_cmp_lt_i32_e64 s[0:1], v4, v3
	v_mov_b32_e32 v6, 0xff7fffff
	v_accvgpr_write_b32 a14, v0
	v_accvgpr_write_b32 a12, v4
	v_ashrrev_i32_e32 v29, 31, v28
	v_sub_u32_e32 v23, 0, v30
	v_mbcnt_lo_u32_b32 v4, -1, 0
	v_lshl_add_u32 v0, v21, 5, s21
	s_mov_b64 s[8:9], exec
	s_and_b64 s[2:3], s[8:9], s[0:1]
	v_accvgpr_write_b32 a15, v0
	s_mov_b64 exec, s[2:3]
	s_cbranch_execz .LBB294_531
; %bb.10:
	v_accvgpr_read_b32 v0, a2
	v_bfe_u32 v5, v0, 1, 5
	v_lshl_add_u64 v[0:1], v[8:9], 0, v[28:29]
	v_lshlrev_b32_e32 v8, 4, v5
	v_mov_b32_e32 v9, 0
	v_lshl_add_u64 v[0:1], v[0:1], 0, v[8:9]
	v_accvgpr_write_b32 a39, v1
	v_accvgpr_write_b32 a38, v0
	scratch_load_dword v1, off, s32 offset:228 ; 4-byte Folded Reload
	v_cmp_eq_u32_e32 vcc, 0, v2
	v_lshlrev_b32_e32 v6, 2, v2
	v_lshlrev_b32_e32 v0, 7, v2
	v_max_i32_e32 v2, v30, v23
	v_accvgpr_write_b32 a42, v0
	v_cvt_f32_u32_e32 v0, v2
	v_accvgpr_write_b32 a43, v2
	s_ashr_i32 s11, s10, 31
	s_lshl_b64 s[4:5], s[10:11], 2
	v_rcp_iflag_f32_e32 v0, v0
	s_getpc_b64 s[6:7]
	s_add_u32 s6, s6, llvm.amdgcn.dynlds.offset.table@rel32@lo+4
	s_addc_u32 s7, s7, llvm.amdgcn.dynlds.offset.table@rel32@hi+12
	s_add_u32 s22, s4, s6
	s_addc_u32 s23, s5, s7
	v_mul_f32_e32 v0, 0x4f7ffffe, v0
	v_cvt_u32_f32_e32 v0, v0
	s_load_dword s11, s[22:23], 0x0
	v_mov_b32_e32 v7, v9
	v_accvgpr_write_b32 a24, v36
	v_accvgpr_write_b32 a22, v26
	;; [unrolled: 1-line block ×14, first 2 shown]
	v_lshl_add_u32 v46, v21, 5, s21
	v_accvgpr_write_b32 a19, v21
	v_accvgpr_write_b32 a37, v5
	s_mov_b64 s[24:25], 0
	s_movk_i32 s35, 0x7f
	s_movk_i32 s36, 0x80
	s_mov_b32 s37, 0x8000
	v_mov_b32_e32 v57, 0x1c00
	v_accvgpr_write_b32 a36, v4
	scratch_store_dword off, v22, s32 offset:232 ; 4-byte Folded Spill
	scratch_store_dwordx2 off, v[28:29], s32 offset:236 ; 8-byte Folded Spill
	scratch_store_dword off, v23, s32 offset:244 ; 4-byte Folded Spill
	s_waitcnt vmcnt(3)
	v_cmp_neq_f32_e64 s[2:3], 0, v1
	v_sub_u32_e32 v1, 0, v2
	v_mul_lo_u32 v1, v1, v0
	v_mul_hi_u32 v1, v0, v1
	v_accvgpr_read_b32 v2, a12
	v_add_u32_e32 v0, v0, v1
	v_accvgpr_read_b32 v3, a13
	v_accvgpr_write_b32 a44, v0
	v_lshlrev_b64 v[0:1], 2, v[2:3]
	v_lshl_add_u64 v[0:1], v[48:49], 2, v[0:1]
	v_lshl_add_u64 v[0:1], v[14:15], 0, v[0:1]
	v_accvgpr_write_b32 a47, v1
	v_accvgpr_write_b32 a46, v0
	v_lshlrev_b32_e32 v0, 2, v5
	v_lshl_or_b32 v54, v21, 7, v0
	v_accvgpr_read_b32 v0, a8
	v_sub_u32_e32 v0, v5, v0
	v_add_u32_e32 v0, 1, v0
	v_accvgpr_write_b32 a45, v0
	v_mbcnt_hi_u32_b32 v0, -1, v4
	v_accvgpr_write_b32 a48, v0
	v_mov_b32_e32 v0, 0xff7fffff
	v_mov_b32_e32 v59, v2
	scratch_store_dword off, v0, s32 offset:224 ; 4-byte Folded Spill
	s_branch .LBB294_13
.LBB294_11:                             ;   in Loop: Header=BB294_13 Depth=1
	s_or_b64 exec, exec, s[26:27]
.LBB294_12:                             ;   in Loop: Header=BB294_13 Depth=1
	s_or_b64 exec, exec, s[6:7]
	s_waitcnt lgkmcnt(0)
	v_accvgpr_read_b32 v0, a46
	v_accvgpr_read_b32 v1, a47
	v_lshl_add_u64 v[0:1], v[0:1], 0, 8
	v_accvgpr_write_b32 a47, v1
	v_add_u32_e32 v59, 2, v59
	v_accvgpr_write_b32 a46, v0
	v_accvgpr_read_b32 v0, a11
	v_cmp_ge_i32_e64 s[4:5], v59, v0
	v_add_u32_e32 v46, 64, v46
	s_or_b64 s[24:25], s[4:5], s[24:25]
	v_add_u32_e32 v54, 0x100, v54
	s_andn2_b64 exec, exec, s[24:25]
	s_cbranch_execz .LBB294_530
.LBB294_13:                             ; =>This Inner Loop Header: Depth=1
	v_ashrrev_i32_e32 v0, 31, v46
	v_accvgpr_read_b32 v1, a9
	v_xor_b32_e32 v0, v0, v1
	v_sub_u32_e32 v1, 0, v46
	v_max_i32_e32 v1, v46, v1
	v_accvgpr_read_b32 v2, a7
	v_mul_hi_u32 v2, v1, v2
	v_accvgpr_read_b32 v4, a3
	v_mul_lo_u32 v3, v2, v4
	v_sub_u32_e32 v1, v1, v3
	v_add_u32_e32 v3, 1, v2
	v_cmp_ge_u32_e64 s[4:5], v1, v4
	s_nop 1
	v_cndmask_b32_e64 v2, v2, v3, s[4:5]
	v_sub_u32_e32 v3, v1, v4
	v_cndmask_b32_e64 v1, v1, v3, s[4:5]
	v_add_u32_e32 v3, 1, v2
	v_cmp_ge_u32_e64 s[4:5], v1, v4
	v_accvgpr_read_b32 v4, a44
	s_nop 0
	v_cndmask_b32_e64 v1, v2, v3, s[4:5]
	v_xor_b32_e32 v1, v1, v0
	v_sub_u32_e32 v0, v1, v0
	v_accvgpr_read_b32 v2, a10
	v_add_u32_e32 v1, v0, v2
	v_sub_u32_e32 v3, 0, v1
	v_ashrrev_i32_e32 v2, 31, v1
	v_max_i32_e32 v1, v1, v3
	v_mul_hi_u32 v3, v1, v4
	v_accvgpr_read_b32 v4, a43
	v_mul_lo_u32 v3, v3, v4
	v_sub_u32_e32 v1, v1, v3
	v_sub_u32_e32 v3, v1, v4
	v_cmp_ge_u32_e64 s[4:5], v1, v4
	s_nop 1
	v_cndmask_b32_e64 v1, v1, v3, s[4:5]
	v_sub_u32_e32 v3, v1, v4
	v_cmp_ge_u32_e64 s[4:5], v1, v4
	s_nop 1
	v_cndmask_b32_e64 v1, v1, v3, s[4:5]
	v_xor_b32_e32 v1, v1, v2
	v_sub_u32_e32 v1, v1, v2
	v_cmp_ne_u32_e64 s[4:5], 0, v1
	v_accvgpr_read_b32 v1, a14
	v_cmp_le_i32_e64 s[6:7], v0, v1
	s_and_b64 s[4:5], s[4:5], s[6:7]
	s_and_b64 s[26:27], vcc, s[4:5]
	s_and_saveexec_b64 s[6:7], s[26:27]
	s_cbranch_execz .LBB294_15
; %bb.14:                               ;   in Loop: Header=BB294_13 Depth=1
	s_waitcnt lgkmcnt(0)
	v_add_u32_e32 v0, s11, v54
	v_mov_b32_e32 v1, 0xff7fffff
	ds_write_b32 v0, v1
.LBB294_15:                             ;   in Loop: Header=BB294_13 Depth=1
	s_or_b64 exec, exec, s[6:7]
	s_xor_b64 s[4:5], s[4:5], -1
	s_and_saveexec_b64 s[6:7], s[4:5]
	s_cbranch_execz .LBB294_12
; %bb.16:                               ;   in Loop: Header=BB294_13 Depth=1
	v_accvgpr_read_b32 v0, a46
	v_accvgpr_read_b32 v1, a47
	flat_load_dword v0, v[0:1]
	v_accvgpr_read_b32 v4, a38
	v_accvgpr_read_b32 v2, a6
	;; [unrolled: 1-line block ×3, first 2 shown]
                                        ; implicit-def: $sgpr30
	s_waitcnt vmcnt(0) lgkmcnt(0)
	v_mad_i64_i32 v[0:1], s[4:5], v0, v2, v[4:5]
	v_accvgpr_read_b32 v2, a40
	v_accvgpr_read_b32 v3, a41
	v_lshl_add_u64 v[38:39], v[0:1], 0, v[2:3]
	v_accvgpr_read_b32 v0, a34
	flat_load_dword v50, v[38:39]
	v_accvgpr_read_b32 v1, a35
	flat_load_dword v60, v[0:1]
	s_mov_b64 s[4:5], 0
	s_waitcnt vmcnt(0) lgkmcnt(0)
	v_cmp_gt_i16_sdwa s[26:27], v50, s35 src0_sel:BYTE_0 src1_sel:DWORD
	s_and_saveexec_b64 s[28:29], s[26:27]
	s_xor_b64 s[26:27], exec, s[28:29]
	s_cbranch_execnz .LBB294_302
; %bb.17:                               ;   in Loop: Header=BB294_13 Depth=1
	s_or_saveexec_b64 s[26:27], s[26:27]
	v_mov_b32_e32 v0, s30
	s_xor_b64 exec, exec, s[26:27]
	s_cbranch_execnz .LBB294_305
.LBB294_18:                             ;   in Loop: Header=BB294_13 Depth=1
	s_or_b64 exec, exec, s[26:27]
	s_and_saveexec_b64 s[26:27], s[4:5]
	s_cbranch_execz .LBB294_20
.LBB294_19:                             ;   in Loop: Header=BB294_13 Depth=1
	v_and_b32_e32 v2, 7, v50
	v_ffbh_u32_e32 v0, v2
	v_min_u32_e32 v4, 32, v0
	v_subrev_u32_e32 v0, 28, v4
	v_bfe_u32 v3, v50, 3, 4
	v_lshlrev_b64 v[0:1], v0, v[50:51]
	v_sub_u32_e32 v1, 29, v4
	v_cmp_eq_u32_e64 s[4:5], 0, v3
	v_and_b32_e32 v0, 7, v0
	s_nop 0
	v_cndmask_b32_e64 v1, v3, v1, s[4:5]
	v_cndmask_b32_e64 v0, v2, v0, s[4:5]
	v_lshlrev_b32_e32 v2, 8, v50
	v_lshl_add_u32 v1, v1, 10, v57
	v_and_or_b32 v1, v2, s37, v1
	v_lshl_or_b32 v0, v0, 7, v1
	v_cvt_f32_f16_e32 v0, v0
.LBB294_20:                             ;   in Loop: Header=BB294_13 Depth=1
	s_or_b64 exec, exec, s[26:27]
	v_lshrrev_b16_e32 v8, 8, v50
	v_accvgpr_write_b32 a51, v0
	v_cmp_lt_i16_e64 s[4:5], s35, v8
	s_mov_b64 s[26:27], 0
                                        ; implicit-def: $sgpr38
	s_and_saveexec_b64 s[28:29], s[4:5]
	s_xor_b64 s[28:29], exec, s[28:29]
	s_cbranch_execz .LBB294_24
; %bb.21:                               ;   in Loop: Header=BB294_13 Depth=1
	v_cmp_eq_u16_e64 s[4:5], s36, v8
	s_mov_b64 s[26:27], -1
                                        ; implicit-def: $sgpr38
	s_and_saveexec_b64 s[30:31], s[4:5]
; %bb.22:                               ;   in Loop: Header=BB294_13 Depth=1
	s_mov_b32 s38, 0x7fc02000
	s_xor_b64 s[26:27], exec, -1
; %bb.23:                               ;   in Loop: Header=BB294_13 Depth=1
	s_or_b64 exec, exec, s[30:31]
	s_and_b64 s[26:27], s[26:27], exec
.LBB294_24:                             ;   in Loop: Header=BB294_13 Depth=1
	s_or_saveexec_b64 s[28:29], s[28:29]
	v_mov_b32_e32 v0, s38
	scratch_store_dword off, v0, s32 offset:196 ; 4-byte Folded Spill
	s_xor_b64 exec, exec, s[28:29]
	s_cbranch_execz .LBB294_26
; %bb.25:                               ;   in Loop: Header=BB294_13 Depth=1
	v_cmp_ne_u16_e64 s[4:5], 0, v8
	s_andn2_b64 s[26:27], s[26:27], exec
	s_and_b64 s[4:5], s[4:5], exec
	v_mov_b32_e32 v0, 0
	s_or_b64 s[26:27], s[26:27], s[4:5]
	scratch_store_dword off, v0, s32 offset:196 ; 4-byte Folded Spill
.LBB294_26:                             ;   in Loop: Header=BB294_13 Depth=1
	s_or_b64 exec, exec, s[28:29]
	s_and_saveexec_b64 s[28:29], s[26:27]
	s_cbranch_execz .LBB294_28
; %bb.27:                               ;   in Loop: Header=BB294_13 Depth=1
	v_and_b32_e32 v2, 7, v8
	v_ffbh_u32_e32 v0, v2
	v_min_u32_e32 v4, 32, v0
	v_subrev_u32_e32 v0, 28, v4
	v_bfe_u32 v3, v8, 3, 4
	v_lshlrev_b64 v[0:1], v0, v[8:9]
	v_sub_u32_e32 v1, 29, v4
	v_cmp_eq_u32_e64 s[4:5], 0, v3
	v_and_b32_e32 v0, 7, v0
	s_nop 0
	v_cndmask_b32_e64 v1, v3, v1, s[4:5]
	v_cndmask_b32_e64 v0, v2, v0, s[4:5]
	v_lshlrev_b32_e32 v2, 8, v8
	v_lshl_add_u32 v1, v1, 10, v57
	v_and_or_b32 v1, v2, s37, v1
	v_lshl_or_b32 v0, v0, 7, v1
	v_cvt_f32_f16_e32 v0, v0
	scratch_store_dword off, v0, s32 offset:196 ; 4-byte Folded Spill
.LBB294_28:                             ;   in Loop: Header=BB294_13 Depth=1
	s_or_b64 exec, exec, s[28:29]
	v_lshrrev_b32_e32 v8, 16, v50
	v_cmp_gt_i16_sdwa s[26:27], v8, s35 src0_sel:BYTE_0 src1_sel:DWORD
	s_mov_b64 s[4:5], 0
                                        ; implicit-def: $sgpr30
	s_and_saveexec_b64 s[28:29], s[26:27]
	s_xor_b64 s[26:27], exec, s[28:29]
	s_cbranch_execz .LBB294_32
; %bb.29:                               ;   in Loop: Header=BB294_13 Depth=1
	v_cmp_eq_u16_sdwa s[38:39], v8, s36 src0_sel:BYTE_0 src1_sel:DWORD
	s_mov_b64 s[4:5], -1
                                        ; implicit-def: $sgpr30
	s_and_saveexec_b64 s[28:29], s[38:39]
; %bb.30:                               ;   in Loop: Header=BB294_13 Depth=1
	s_mov_b32 s30, 0x7fc02000
	s_xor_b64 s[4:5], exec, -1
; %bb.31:                               ;   in Loop: Header=BB294_13 Depth=1
	s_or_b64 exec, exec, s[28:29]
	s_and_b64 s[4:5], s[4:5], exec
.LBB294_32:                             ;   in Loop: Header=BB294_13 Depth=1
	s_or_saveexec_b64 s[26:27], s[26:27]
	v_mov_b32_e32 v0, s30
	scratch_store_dword off, v0, s32 offset:200 ; 4-byte Folded Spill
	s_xor_b64 exec, exec, s[26:27]
	s_cbranch_execz .LBB294_34
; %bb.33:                               ;   in Loop: Header=BB294_13 Depth=1
	v_cmp_ne_u16_sdwa s[28:29], v8, v9 src0_sel:BYTE_0 src1_sel:DWORD
	s_andn2_b64 s[4:5], s[4:5], exec
	s_and_b64 s[28:29], s[28:29], exec
	v_mov_b32_e32 v0, 0
	s_or_b64 s[4:5], s[4:5], s[28:29]
	scratch_store_dword off, v0, s32 offset:200 ; 4-byte Folded Spill
.LBB294_34:                             ;   in Loop: Header=BB294_13 Depth=1
	s_or_b64 exec, exec, s[26:27]
	s_and_saveexec_b64 s[26:27], s[4:5]
	s_cbranch_execz .LBB294_36
; %bb.35:                               ;   in Loop: Header=BB294_13 Depth=1
	v_bfe_u32 v2, v50, 16, 3
	v_ffbh_u32_e32 v0, v2
	v_min_u32_e32 v4, 32, v0
	v_subrev_u32_e32 v0, 28, v4
	v_bfe_u32 v3, v50, 19, 4
	v_lshlrev_b64 v[0:1], v0, v[8:9]
	v_sub_u32_e32 v1, 29, v4
	v_cmp_eq_u32_e64 s[4:5], 0, v3
	v_and_b32_e32 v0, 7, v0
	s_nop 0
	v_cndmask_b32_e64 v1, v3, v1, s[4:5]
	v_cndmask_b32_e64 v0, v2, v0, s[4:5]
	v_lshlrev_b32_e32 v2, 8, v8
	v_lshl_add_u32 v1, v1, 10, v57
	v_and_or_b32 v1, v2, s37, v1
	v_lshl_or_b32 v0, v0, 7, v1
	v_cvt_f32_f16_e32 v0, v0
	scratch_store_dword off, v0, s32 offset:200 ; 4-byte Folded Spill
.LBB294_36:                             ;   in Loop: Header=BB294_13 Depth=1
	s_or_b64 exec, exec, s[26:27]
	v_lshrrev_b32_e32 v8, 24, v50
	v_cmp_lt_i16_e64 s[4:5], s35, v8
	s_mov_b64 s[26:27], 0
                                        ; implicit-def: $sgpr38
	s_and_saveexec_b64 s[28:29], s[4:5]
	s_xor_b64 s[28:29], exec, s[28:29]
	s_cbranch_execz .LBB294_40
; %bb.37:                               ;   in Loop: Header=BB294_13 Depth=1
	v_cmp_eq_u16_e64 s[4:5], s36, v8
	s_mov_b64 s[26:27], -1
                                        ; implicit-def: $sgpr38
	s_and_saveexec_b64 s[30:31], s[4:5]
; %bb.38:                               ;   in Loop: Header=BB294_13 Depth=1
	s_mov_b32 s38, 0x7fc02000
	s_xor_b64 s[26:27], exec, -1
; %bb.39:                               ;   in Loop: Header=BB294_13 Depth=1
	s_or_b64 exec, exec, s[30:31]
	s_and_b64 s[26:27], s[26:27], exec
.LBB294_40:                             ;   in Loop: Header=BB294_13 Depth=1
	s_or_saveexec_b64 s[28:29], s[28:29]
	v_mov_b32_e32 v0, s38
	scratch_store_dword off, v0, s32 offset:204 ; 4-byte Folded Spill
	s_xor_b64 exec, exec, s[28:29]
	s_cbranch_execz .LBB294_42
; %bb.41:                               ;   in Loop: Header=BB294_13 Depth=1
	v_cmp_ne_u16_e64 s[4:5], 0, v8
	s_andn2_b64 s[26:27], s[26:27], exec
	s_and_b64 s[4:5], s[4:5], exec
	v_mov_b32_e32 v0, 0
	s_or_b64 s[26:27], s[26:27], s[4:5]
	scratch_store_dword off, v0, s32 offset:204 ; 4-byte Folded Spill
.LBB294_42:                             ;   in Loop: Header=BB294_13 Depth=1
	s_or_b64 exec, exec, s[28:29]
	s_and_saveexec_b64 s[28:29], s[26:27]
	s_cbranch_execz .LBB294_44
; %bb.43:                               ;   in Loop: Header=BB294_13 Depth=1
	v_bfe_u32 v2, v50, 24, 3
	v_ffbh_u32_e32 v0, v2
	v_min_u32_e32 v4, 32, v0
	v_subrev_u32_e32 v0, 28, v4
	v_bfe_u32 v3, v50, 27, 4
	v_lshlrev_b64 v[0:1], v0, v[8:9]
	v_sub_u32_e32 v1, 29, v4
	v_cmp_eq_u32_e64 s[4:5], 0, v3
	v_and_b32_e32 v0, 7, v0
	s_nop 0
	v_cndmask_b32_e64 v1, v3, v1, s[4:5]
	v_cndmask_b32_e64 v0, v2, v0, s[4:5]
	v_lshlrev_b32_e32 v2, 8, v8
	v_lshl_add_u32 v1, v1, 10, v57
	v_and_or_b32 v1, v2, s37, v1
	v_lshl_or_b32 v0, v0, 7, v1
	v_cvt_f32_f16_e32 v0, v0
	scratch_store_dword off, v0, s32 offset:204 ; 4-byte Folded Spill
.LBB294_44:                             ;   in Loop: Header=BB294_13 Depth=1
	s_or_b64 exec, exec, s[28:29]
	flat_load_dword v50, v[38:39] offset:8
	s_mov_b64 s[4:5], 0
                                        ; implicit-def: $sgpr30
	s_waitcnt vmcnt(0) lgkmcnt(0)
	v_cmp_gt_i16_sdwa s[26:27], v50, s35 src0_sel:BYTE_0 src1_sel:DWORD
	s_and_saveexec_b64 s[28:29], s[26:27]
	s_xor_b64 s[26:27], exec, s[28:29]
	s_cbranch_execnz .LBB294_306
; %bb.45:                               ;   in Loop: Header=BB294_13 Depth=1
	s_or_saveexec_b64 s[26:27], s[26:27]
	v_mov_b32_e32 v0, s30
	s_xor_b64 exec, exec, s[26:27]
	s_cbranch_execnz .LBB294_309
.LBB294_46:                             ;   in Loop: Header=BB294_13 Depth=1
	s_or_b64 exec, exec, s[26:27]
	s_and_saveexec_b64 s[26:27], s[4:5]
	s_cbranch_execz .LBB294_48
.LBB294_47:                             ;   in Loop: Header=BB294_13 Depth=1
	v_and_b32_e32 v2, 7, v50
	v_ffbh_u32_e32 v0, v2
	v_min_u32_e32 v4, 32, v0
	v_subrev_u32_e32 v0, 28, v4
	v_bfe_u32 v3, v50, 3, 4
	v_lshlrev_b64 v[0:1], v0, v[50:51]
	v_sub_u32_e32 v1, 29, v4
	v_cmp_eq_u32_e64 s[4:5], 0, v3
	v_and_b32_e32 v0, 7, v0
	s_nop 0
	v_cndmask_b32_e64 v1, v3, v1, s[4:5]
	v_cndmask_b32_e64 v0, v2, v0, s[4:5]
	v_lshlrev_b32_e32 v2, 8, v50
	v_lshl_add_u32 v1, v1, 10, v57
	v_and_or_b32 v1, v2, s37, v1
	v_lshl_or_b32 v0, v0, 7, v1
	v_cvt_f32_f16_e32 v0, v0
.LBB294_48:                             ;   in Loop: Header=BB294_13 Depth=1
	s_or_b64 exec, exec, s[26:27]
	v_lshrrev_b16_e32 v8, 8, v50
	v_accvgpr_write_b32 a49, v0
	v_cmp_lt_i16_e64 s[4:5], s35, v8
	s_mov_b64 s[26:27], 0
                                        ; implicit-def: $sgpr38
	s_and_saveexec_b64 s[28:29], s[4:5]
	s_xor_b64 s[28:29], exec, s[28:29]
	s_cbranch_execnz .LBB294_310
; %bb.49:                               ;   in Loop: Header=BB294_13 Depth=1
	s_or_saveexec_b64 s[28:29], s[28:29]
	v_mov_b32_e32 v49, s38
	s_xor_b64 exec, exec, s[28:29]
	s_cbranch_execnz .LBB294_313
.LBB294_50:                             ;   in Loop: Header=BB294_13 Depth=1
	s_or_b64 exec, exec, s[28:29]
	s_and_saveexec_b64 s[28:29], s[26:27]
	s_cbranch_execz .LBB294_52
.LBB294_51:                             ;   in Loop: Header=BB294_13 Depth=1
	v_and_b32_e32 v2, 7, v8
	v_ffbh_u32_e32 v0, v2
	v_min_u32_e32 v4, 32, v0
	v_subrev_u32_e32 v0, 28, v4
	v_bfe_u32 v3, v8, 3, 4
	v_lshlrev_b64 v[0:1], v0, v[8:9]
	v_sub_u32_e32 v1, 29, v4
	v_cmp_eq_u32_e64 s[4:5], 0, v3
	v_and_b32_e32 v0, 7, v0
	s_nop 0
	v_cndmask_b32_e64 v1, v3, v1, s[4:5]
	v_cndmask_b32_e64 v0, v2, v0, s[4:5]
	v_lshlrev_b32_e32 v2, 8, v8
	v_lshl_add_u32 v1, v1, 10, v57
	v_and_or_b32 v1, v2, s37, v1
	v_lshl_or_b32 v0, v0, 7, v1
	v_cvt_f32_f16_e32 v49, v0
.LBB294_52:                             ;   in Loop: Header=BB294_13 Depth=1
	s_or_b64 exec, exec, s[28:29]
	v_lshrrev_b32_e32 v8, 16, v50
	v_cmp_gt_i16_sdwa s[26:27], v8, s35 src0_sel:BYTE_0 src1_sel:DWORD
	s_mov_b64 s[4:5], 0
                                        ; implicit-def: $sgpr30
	s_and_saveexec_b64 s[28:29], s[26:27]
	s_xor_b64 s[26:27], exec, s[28:29]
	s_cbranch_execnz .LBB294_314
; %bb.53:                               ;   in Loop: Header=BB294_13 Depth=1
	s_or_saveexec_b64 s[26:27], s[26:27]
	v_mov_b32_e32 v45, s30
	s_xor_b64 exec, exec, s[26:27]
	s_cbranch_execnz .LBB294_317
.LBB294_54:                             ;   in Loop: Header=BB294_13 Depth=1
	s_or_b64 exec, exec, s[26:27]
	s_and_saveexec_b64 s[26:27], s[4:5]
	s_cbranch_execz .LBB294_56
.LBB294_55:                             ;   in Loop: Header=BB294_13 Depth=1
	v_bfe_u32 v2, v50, 16, 3
	v_ffbh_u32_e32 v0, v2
	v_min_u32_e32 v4, 32, v0
	v_subrev_u32_e32 v0, 28, v4
	v_bfe_u32 v3, v50, 19, 4
	v_lshlrev_b64 v[0:1], v0, v[8:9]
	v_sub_u32_e32 v1, 29, v4
	v_cmp_eq_u32_e64 s[4:5], 0, v3
	v_and_b32_e32 v0, 7, v0
	s_nop 0
	v_cndmask_b32_e64 v1, v3, v1, s[4:5]
	v_cndmask_b32_e64 v0, v2, v0, s[4:5]
	v_lshlrev_b32_e32 v2, 8, v8
	v_lshl_add_u32 v1, v1, 10, v57
	v_and_or_b32 v1, v2, s37, v1
	v_lshl_or_b32 v0, v0, 7, v1
	v_cvt_f32_f16_e32 v45, v0
.LBB294_56:                             ;   in Loop: Header=BB294_13 Depth=1
	s_or_b64 exec, exec, s[26:27]
	v_lshrrev_b32_e32 v8, 24, v50
	v_cmp_lt_i16_e64 s[4:5], s35, v8
	s_mov_b64 s[26:27], 0
                                        ; implicit-def: $sgpr38
	s_and_saveexec_b64 s[28:29], s[4:5]
	s_xor_b64 s[28:29], exec, s[28:29]
	s_cbranch_execz .LBB294_60
; %bb.57:                               ;   in Loop: Header=BB294_13 Depth=1
	v_cmp_eq_u16_e64 s[4:5], s36, v8
	s_mov_b64 s[26:27], -1
                                        ; implicit-def: $sgpr38
	s_and_saveexec_b64 s[30:31], s[4:5]
; %bb.58:                               ;   in Loop: Header=BB294_13 Depth=1
	s_mov_b32 s38, 0x7fc02000
	s_xor_b64 s[26:27], exec, -1
; %bb.59:                               ;   in Loop: Header=BB294_13 Depth=1
	s_or_b64 exec, exec, s[30:31]
	s_and_b64 s[26:27], s[26:27], exec
.LBB294_60:                             ;   in Loop: Header=BB294_13 Depth=1
	s_or_saveexec_b64 s[28:29], s[28:29]
	v_mov_b32_e32 v0, s38
	scratch_store_dword off, v0, s32 offset:208 ; 4-byte Folded Spill
	s_xor_b64 exec, exec, s[28:29]
	s_cbranch_execz .LBB294_62
; %bb.61:                               ;   in Loop: Header=BB294_13 Depth=1
	v_cmp_ne_u16_e64 s[4:5], 0, v8
	s_andn2_b64 s[26:27], s[26:27], exec
	s_and_b64 s[4:5], s[4:5], exec
	v_mov_b32_e32 v0, 0
	s_or_b64 s[26:27], s[26:27], s[4:5]
	scratch_store_dword off, v0, s32 offset:208 ; 4-byte Folded Spill
.LBB294_62:                             ;   in Loop: Header=BB294_13 Depth=1
	s_or_b64 exec, exec, s[28:29]
	s_and_saveexec_b64 s[28:29], s[26:27]
	s_cbranch_execz .LBB294_64
; %bb.63:                               ;   in Loop: Header=BB294_13 Depth=1
	v_bfe_u32 v2, v50, 24, 3
	v_ffbh_u32_e32 v0, v2
	v_min_u32_e32 v4, 32, v0
	v_subrev_u32_e32 v0, 28, v4
	v_bfe_u32 v3, v50, 27, 4
	v_lshlrev_b64 v[0:1], v0, v[8:9]
	v_sub_u32_e32 v1, 29, v4
	v_cmp_eq_u32_e64 s[4:5], 0, v3
	v_and_b32_e32 v0, 7, v0
	s_nop 0
	v_cndmask_b32_e64 v1, v3, v1, s[4:5]
	v_cndmask_b32_e64 v0, v2, v0, s[4:5]
	v_lshlrev_b32_e32 v2, 8, v8
	v_lshl_add_u32 v1, v1, 10, v57
	v_and_or_b32 v1, v2, s37, v1
	v_lshl_or_b32 v0, v0, 7, v1
	v_cvt_f32_f16_e32 v0, v0
	scratch_store_dword off, v0, s32 offset:208 ; 4-byte Folded Spill
.LBB294_64:                             ;   in Loop: Header=BB294_13 Depth=1
	s_or_b64 exec, exec, s[28:29]
	flat_load_dword v50, v[38:39] offset:512
	s_mov_b64 s[4:5], 0
                                        ; implicit-def: $sgpr30
	s_waitcnt vmcnt(0) lgkmcnt(0)
	v_cmp_gt_i16_sdwa s[26:27], v50, s35 src0_sel:BYTE_0 src1_sel:DWORD
	s_and_saveexec_b64 s[28:29], s[26:27]
	s_xor_b64 s[26:27], exec, s[28:29]
	s_cbranch_execnz .LBB294_318
; %bb.65:                               ;   in Loop: Header=BB294_13 Depth=1
	s_or_saveexec_b64 s[26:27], s[26:27]
	v_mov_b32_e32 v0, s30
	s_xor_b64 exec, exec, s[26:27]
	s_cbranch_execnz .LBB294_321
.LBB294_66:                             ;   in Loop: Header=BB294_13 Depth=1
	s_or_b64 exec, exec, s[26:27]
	s_and_saveexec_b64 s[26:27], s[4:5]
	s_cbranch_execz .LBB294_68
.LBB294_67:                             ;   in Loop: Header=BB294_13 Depth=1
	v_and_b32_e32 v2, 7, v50
	v_ffbh_u32_e32 v0, v2
	v_min_u32_e32 v4, 32, v0
	v_subrev_u32_e32 v0, 28, v4
	v_bfe_u32 v3, v50, 3, 4
	v_lshlrev_b64 v[0:1], v0, v[50:51]
	v_sub_u32_e32 v1, 29, v4
	v_cmp_eq_u32_e64 s[4:5], 0, v3
	v_and_b32_e32 v0, 7, v0
	s_nop 0
	v_cndmask_b32_e64 v1, v3, v1, s[4:5]
	v_cndmask_b32_e64 v0, v2, v0, s[4:5]
	v_lshlrev_b32_e32 v2, 8, v50
	v_lshl_add_u32 v1, v1, 10, v57
	v_and_or_b32 v1, v2, s37, v1
	v_lshl_or_b32 v0, v0, 7, v1
	v_cvt_f32_f16_e32 v0, v0
.LBB294_68:                             ;   in Loop: Header=BB294_13 Depth=1
	s_or_b64 exec, exec, s[26:27]
	v_lshrrev_b16_e32 v8, 8, v50
	v_accvgpr_write_b32 a52, v0
	v_cmp_lt_i16_e64 s[4:5], s35, v8
	s_mov_b64 s[26:27], 0
                                        ; implicit-def: $sgpr38
	s_and_saveexec_b64 s[28:29], s[4:5]
	s_xor_b64 s[28:29], exec, s[28:29]
	s_cbranch_execz .LBB294_72
; %bb.69:                               ;   in Loop: Header=BB294_13 Depth=1
	v_cmp_eq_u16_e64 s[4:5], s36, v8
	s_mov_b64 s[26:27], -1
                                        ; implicit-def: $sgpr38
	s_and_saveexec_b64 s[30:31], s[4:5]
; %bb.70:                               ;   in Loop: Header=BB294_13 Depth=1
	s_mov_b32 s38, 0x7fc02000
	s_xor_b64 s[26:27], exec, -1
; %bb.71:                               ;   in Loop: Header=BB294_13 Depth=1
	s_or_b64 exec, exec, s[30:31]
	s_and_b64 s[26:27], s[26:27], exec
.LBB294_72:                             ;   in Loop: Header=BB294_13 Depth=1
	s_or_saveexec_b64 s[28:29], s[28:29]
	v_mov_b32_e32 v0, s38
	scratch_store_dword off, v0, s32 offset:212 ; 4-byte Folded Spill
	s_xor_b64 exec, exec, s[28:29]
	s_cbranch_execz .LBB294_74
; %bb.73:                               ;   in Loop: Header=BB294_13 Depth=1
	v_cmp_ne_u16_e64 s[4:5], 0, v8
	s_andn2_b64 s[26:27], s[26:27], exec
	s_and_b64 s[4:5], s[4:5], exec
	v_mov_b32_e32 v0, 0
	s_or_b64 s[26:27], s[26:27], s[4:5]
	scratch_store_dword off, v0, s32 offset:212 ; 4-byte Folded Spill
.LBB294_74:                             ;   in Loop: Header=BB294_13 Depth=1
	s_or_b64 exec, exec, s[28:29]
	s_and_saveexec_b64 s[28:29], s[26:27]
	s_cbranch_execz .LBB294_76
; %bb.75:                               ;   in Loop: Header=BB294_13 Depth=1
	v_and_b32_e32 v2, 7, v8
	v_ffbh_u32_e32 v0, v2
	v_min_u32_e32 v4, 32, v0
	v_subrev_u32_e32 v0, 28, v4
	v_bfe_u32 v3, v8, 3, 4
	v_lshlrev_b64 v[0:1], v0, v[8:9]
	v_sub_u32_e32 v1, 29, v4
	v_cmp_eq_u32_e64 s[4:5], 0, v3
	v_and_b32_e32 v0, 7, v0
	s_nop 0
	v_cndmask_b32_e64 v1, v3, v1, s[4:5]
	v_cndmask_b32_e64 v0, v2, v0, s[4:5]
	v_lshlrev_b32_e32 v2, 8, v8
	v_lshl_add_u32 v1, v1, 10, v57
	v_and_or_b32 v1, v2, s37, v1
	v_lshl_or_b32 v0, v0, 7, v1
	v_cvt_f32_f16_e32 v0, v0
	scratch_store_dword off, v0, s32 offset:212 ; 4-byte Folded Spill
.LBB294_76:                             ;   in Loop: Header=BB294_13 Depth=1
	s_or_b64 exec, exec, s[28:29]
	v_lshrrev_b32_e32 v8, 16, v50
	v_cmp_gt_i16_sdwa s[26:27], v8, s35 src0_sel:BYTE_0 src1_sel:DWORD
	s_mov_b64 s[4:5], 0
                                        ; implicit-def: $sgpr30
	s_and_saveexec_b64 s[28:29], s[26:27]
	s_xor_b64 s[26:27], exec, s[28:29]
	s_cbranch_execz .LBB294_80
; %bb.77:                               ;   in Loop: Header=BB294_13 Depth=1
	v_cmp_eq_u16_sdwa s[38:39], v8, s36 src0_sel:BYTE_0 src1_sel:DWORD
	s_mov_b64 s[4:5], -1
                                        ; implicit-def: $sgpr30
	s_and_saveexec_b64 s[28:29], s[38:39]
; %bb.78:                               ;   in Loop: Header=BB294_13 Depth=1
	s_mov_b32 s30, 0x7fc02000
	s_xor_b64 s[4:5], exec, -1
; %bb.79:                               ;   in Loop: Header=BB294_13 Depth=1
	s_or_b64 exec, exec, s[28:29]
	s_and_b64 s[4:5], s[4:5], exec
.LBB294_80:                             ;   in Loop: Header=BB294_13 Depth=1
	s_or_saveexec_b64 s[26:27], s[26:27]
	v_mov_b32_e32 v0, s30
	scratch_store_dword off, v0, s32 offset:216 ; 4-byte Folded Spill
	s_xor_b64 exec, exec, s[26:27]
	s_cbranch_execz .LBB294_82
; %bb.81:                               ;   in Loop: Header=BB294_13 Depth=1
	v_cmp_ne_u16_sdwa s[28:29], v8, v9 src0_sel:BYTE_0 src1_sel:DWORD
	s_andn2_b64 s[4:5], s[4:5], exec
	s_and_b64 s[28:29], s[28:29], exec
	v_mov_b32_e32 v0, 0
	s_or_b64 s[4:5], s[4:5], s[28:29]
	scratch_store_dword off, v0, s32 offset:216 ; 4-byte Folded Spill
.LBB294_82:                             ;   in Loop: Header=BB294_13 Depth=1
	s_or_b64 exec, exec, s[26:27]
	s_and_saveexec_b64 s[26:27], s[4:5]
	s_cbranch_execz .LBB294_84
; %bb.83:                               ;   in Loop: Header=BB294_13 Depth=1
	v_bfe_u32 v2, v50, 16, 3
	v_ffbh_u32_e32 v0, v2
	v_min_u32_e32 v4, 32, v0
	v_subrev_u32_e32 v0, 28, v4
	v_bfe_u32 v3, v50, 19, 4
	v_lshlrev_b64 v[0:1], v0, v[8:9]
	v_sub_u32_e32 v1, 29, v4
	v_cmp_eq_u32_e64 s[4:5], 0, v3
	v_and_b32_e32 v0, 7, v0
	s_nop 0
	v_cndmask_b32_e64 v1, v3, v1, s[4:5]
	v_cndmask_b32_e64 v0, v2, v0, s[4:5]
	v_lshlrev_b32_e32 v2, 8, v8
	v_lshl_add_u32 v1, v1, 10, v57
	v_and_or_b32 v1, v2, s37, v1
	v_lshl_or_b32 v0, v0, 7, v1
	v_cvt_f32_f16_e32 v0, v0
	scratch_store_dword off, v0, s32 offset:216 ; 4-byte Folded Spill
.LBB294_84:                             ;   in Loop: Header=BB294_13 Depth=1
	s_or_b64 exec, exec, s[26:27]
	v_lshrrev_b32_e32 v8, 24, v50
	v_cmp_lt_i16_e64 s[4:5], s35, v8
	s_mov_b64 s[26:27], 0
                                        ; implicit-def: $sgpr38
	s_and_saveexec_b64 s[28:29], s[4:5]
	s_xor_b64 s[28:29], exec, s[28:29]
	s_cbranch_execz .LBB294_88
; %bb.85:                               ;   in Loop: Header=BB294_13 Depth=1
	v_cmp_eq_u16_e64 s[4:5], s36, v8
	s_mov_b64 s[26:27], -1
                                        ; implicit-def: $sgpr38
	s_and_saveexec_b64 s[30:31], s[4:5]
; %bb.86:                               ;   in Loop: Header=BB294_13 Depth=1
	s_mov_b32 s38, 0x7fc02000
	s_xor_b64 s[26:27], exec, -1
; %bb.87:                               ;   in Loop: Header=BB294_13 Depth=1
	s_or_b64 exec, exec, s[30:31]
	s_and_b64 s[26:27], s[26:27], exec
.LBB294_88:                             ;   in Loop: Header=BB294_13 Depth=1
	s_or_saveexec_b64 s[28:29], s[28:29]
	v_mov_b32_e32 v0, s38
	scratch_store_dword off, v0, s32 offset:220 ; 4-byte Folded Spill
	s_xor_b64 exec, exec, s[28:29]
	s_cbranch_execz .LBB294_90
; %bb.89:                               ;   in Loop: Header=BB294_13 Depth=1
	v_cmp_ne_u16_e64 s[4:5], 0, v8
	s_andn2_b64 s[26:27], s[26:27], exec
	s_and_b64 s[4:5], s[4:5], exec
	v_mov_b32_e32 v0, 0
	s_or_b64 s[26:27], s[26:27], s[4:5]
	scratch_store_dword off, v0, s32 offset:220 ; 4-byte Folded Spill
.LBB294_90:                             ;   in Loop: Header=BB294_13 Depth=1
	s_or_b64 exec, exec, s[28:29]
	s_and_saveexec_b64 s[28:29], s[26:27]
	s_cbranch_execz .LBB294_92
; %bb.91:                               ;   in Loop: Header=BB294_13 Depth=1
	v_bfe_u32 v2, v50, 24, 3
	v_ffbh_u32_e32 v0, v2
	v_min_u32_e32 v4, 32, v0
	v_subrev_u32_e32 v0, 28, v4
	v_bfe_u32 v3, v50, 27, 4
	v_lshlrev_b64 v[0:1], v0, v[8:9]
	v_sub_u32_e32 v1, 29, v4
	v_cmp_eq_u32_e64 s[4:5], 0, v3
	v_and_b32_e32 v0, 7, v0
	s_nop 0
	v_cndmask_b32_e64 v1, v3, v1, s[4:5]
	v_cndmask_b32_e64 v0, v2, v0, s[4:5]
	v_lshlrev_b32_e32 v2, 8, v8
	v_lshl_add_u32 v1, v1, 10, v57
	v_and_or_b32 v1, v2, s37, v1
	v_lshl_or_b32 v0, v0, 7, v1
	v_cvt_f32_f16_e32 v0, v0
	scratch_store_dword off, v0, s32 offset:220 ; 4-byte Folded Spill
.LBB294_92:                             ;   in Loop: Header=BB294_13 Depth=1
	s_or_b64 exec, exec, s[28:29]
	flat_load_dword v50, v[38:39] offset:520
	s_mov_b64 s[4:5], 0
                                        ; implicit-def: $sgpr30
	s_waitcnt vmcnt(0) lgkmcnt(0)
	v_cmp_gt_i16_sdwa s[26:27], v50, s35 src0_sel:BYTE_0 src1_sel:DWORD
	s_and_saveexec_b64 s[28:29], s[26:27]
	s_xor_b64 s[26:27], exec, s[28:29]
	s_cbranch_execnz .LBB294_322
; %bb.93:                               ;   in Loop: Header=BB294_13 Depth=1
	s_or_saveexec_b64 s[26:27], s[26:27]
	v_mov_b32_e32 v0, s30
	s_xor_b64 exec, exec, s[26:27]
	s_cbranch_execnz .LBB294_325
.LBB294_94:                             ;   in Loop: Header=BB294_13 Depth=1
	s_or_b64 exec, exec, s[26:27]
	s_and_saveexec_b64 s[26:27], s[4:5]
	s_cbranch_execz .LBB294_96
.LBB294_95:                             ;   in Loop: Header=BB294_13 Depth=1
	v_and_b32_e32 v2, 7, v50
	v_ffbh_u32_e32 v0, v2
	v_min_u32_e32 v4, 32, v0
	v_subrev_u32_e32 v0, 28, v4
	v_bfe_u32 v3, v50, 3, 4
	v_lshlrev_b64 v[0:1], v0, v[50:51]
	v_sub_u32_e32 v1, 29, v4
	v_cmp_eq_u32_e64 s[4:5], 0, v3
	v_and_b32_e32 v0, 7, v0
	s_nop 0
	v_cndmask_b32_e64 v1, v3, v1, s[4:5]
	v_cndmask_b32_e64 v0, v2, v0, s[4:5]
	v_lshlrev_b32_e32 v2, 8, v50
	v_lshl_add_u32 v1, v1, 10, v57
	v_and_or_b32 v1, v2, s37, v1
	v_lshl_or_b32 v0, v0, 7, v1
	v_cvt_f32_f16_e32 v0, v0
.LBB294_96:                             ;   in Loop: Header=BB294_13 Depth=1
	s_or_b64 exec, exec, s[26:27]
	v_lshrrev_b16_e32 v8, 8, v50
	v_accvgpr_write_b32 a53, v0
	v_cmp_lt_i16_e64 s[4:5], s35, v8
	s_mov_b64 s[26:27], 0
                                        ; implicit-def: $sgpr38
	s_and_saveexec_b64 s[28:29], s[4:5]
	s_xor_b64 s[28:29], exec, s[28:29]
	s_cbranch_execnz .LBB294_326
; %bb.97:                               ;   in Loop: Header=BB294_13 Depth=1
	s_or_saveexec_b64 s[28:29], s[28:29]
	v_mov_b32_e32 v44, s38
	s_xor_b64 exec, exec, s[28:29]
	s_cbranch_execnz .LBB294_329
.LBB294_98:                             ;   in Loop: Header=BB294_13 Depth=1
	s_or_b64 exec, exec, s[28:29]
	s_and_saveexec_b64 s[28:29], s[26:27]
	s_cbranch_execz .LBB294_100
.LBB294_99:                             ;   in Loop: Header=BB294_13 Depth=1
	v_and_b32_e32 v2, 7, v8
	v_ffbh_u32_e32 v0, v2
	v_min_u32_e32 v4, 32, v0
	v_subrev_u32_e32 v0, 28, v4
	v_bfe_u32 v3, v8, 3, 4
	v_lshlrev_b64 v[0:1], v0, v[8:9]
	v_sub_u32_e32 v1, 29, v4
	v_cmp_eq_u32_e64 s[4:5], 0, v3
	v_and_b32_e32 v0, 7, v0
	s_nop 0
	v_cndmask_b32_e64 v1, v3, v1, s[4:5]
	v_cndmask_b32_e64 v0, v2, v0, s[4:5]
	v_lshlrev_b32_e32 v2, 8, v8
	v_lshl_add_u32 v1, v1, 10, v57
	v_and_or_b32 v1, v2, s37, v1
	v_lshl_or_b32 v0, v0, 7, v1
	v_cvt_f32_f16_e32 v44, v0
.LBB294_100:                            ;   in Loop: Header=BB294_13 Depth=1
	s_or_b64 exec, exec, s[28:29]
	v_lshrrev_b32_e32 v8, 16, v50
	v_cmp_gt_i16_sdwa s[26:27], v8, s35 src0_sel:BYTE_0 src1_sel:DWORD
	s_mov_b64 s[4:5], 0
                                        ; implicit-def: $sgpr30
	s_and_saveexec_b64 s[28:29], s[26:27]
	s_xor_b64 s[26:27], exec, s[28:29]
	s_cbranch_execnz .LBB294_330
; %bb.101:                              ;   in Loop: Header=BB294_13 Depth=1
	s_or_saveexec_b64 s[26:27], s[26:27]
	v_mov_b32_e32 v47, s30
	s_xor_b64 exec, exec, s[26:27]
	s_cbranch_execnz .LBB294_333
.LBB294_102:                            ;   in Loop: Header=BB294_13 Depth=1
	s_or_b64 exec, exec, s[26:27]
	s_and_saveexec_b64 s[26:27], s[4:5]
	s_cbranch_execz .LBB294_104
.LBB294_103:                            ;   in Loop: Header=BB294_13 Depth=1
	v_bfe_u32 v2, v50, 16, 3
	v_ffbh_u32_e32 v0, v2
	v_min_u32_e32 v4, 32, v0
	v_subrev_u32_e32 v0, 28, v4
	v_bfe_u32 v3, v50, 19, 4
	v_lshlrev_b64 v[0:1], v0, v[8:9]
	v_sub_u32_e32 v1, 29, v4
	v_cmp_eq_u32_e64 s[4:5], 0, v3
	v_and_b32_e32 v0, 7, v0
	s_nop 0
	v_cndmask_b32_e64 v1, v3, v1, s[4:5]
	v_cndmask_b32_e64 v0, v2, v0, s[4:5]
	v_lshlrev_b32_e32 v2, 8, v8
	v_lshl_add_u32 v1, v1, 10, v57
	v_and_or_b32 v1, v2, s37, v1
	v_lshl_or_b32 v0, v0, 7, v1
	v_cvt_f32_f16_e32 v47, v0
.LBB294_104:                            ;   in Loop: Header=BB294_13 Depth=1
	s_or_b64 exec, exec, s[26:27]
	v_lshrrev_b32_e32 v8, 24, v50
	v_cmp_lt_i16_e64 s[4:5], s35, v8
	s_mov_b64 s[26:27], 0
                                        ; implicit-def: $sgpr38
	s_and_saveexec_b64 s[28:29], s[4:5]
	s_xor_b64 s[28:29], exec, s[28:29]
	s_cbranch_execnz .LBB294_334
; %bb.105:                              ;   in Loop: Header=BB294_13 Depth=1
	s_or_saveexec_b64 s[28:29], s[28:29]
	v_mov_b32_e32 v58, s38
	s_xor_b64 exec, exec, s[28:29]
	s_cbranch_execnz .LBB294_337
.LBB294_106:                            ;   in Loop: Header=BB294_13 Depth=1
	s_or_b64 exec, exec, s[28:29]
	s_and_saveexec_b64 s[28:29], s[26:27]
	s_cbranch_execz .LBB294_108
.LBB294_107:                            ;   in Loop: Header=BB294_13 Depth=1
	v_bfe_u32 v2, v50, 24, 3
	v_ffbh_u32_e32 v0, v2
	v_min_u32_e32 v4, 32, v0
	v_subrev_u32_e32 v0, 28, v4
	v_bfe_u32 v3, v50, 27, 4
	v_lshlrev_b64 v[0:1], v0, v[8:9]
	v_sub_u32_e32 v1, 29, v4
	v_cmp_eq_u32_e64 s[4:5], 0, v3
	v_and_b32_e32 v0, 7, v0
	s_nop 0
	v_cndmask_b32_e64 v1, v3, v1, s[4:5]
	v_cndmask_b32_e64 v0, v2, v0, s[4:5]
	v_lshlrev_b32_e32 v2, 8, v8
	v_lshl_add_u32 v1, v1, 10, v57
	v_and_or_b32 v1, v2, s37, v1
	v_lshl_or_b32 v0, v0, 7, v1
	v_cvt_f32_f16_e32 v58, v0
.LBB294_108:                            ;   in Loop: Header=BB294_13 Depth=1
	s_or_b64 exec, exec, s[28:29]
	flat_load_dword v50, v[38:39] offset:1024
	s_mov_b64 s[4:5], 0
                                        ; implicit-def: $sgpr30
	s_waitcnt vmcnt(0) lgkmcnt(0)
	v_cmp_gt_i16_sdwa s[26:27], v50, s35 src0_sel:BYTE_0 src1_sel:DWORD
	s_and_saveexec_b64 s[28:29], s[26:27]
	s_xor_b64 s[26:27], exec, s[28:29]
	s_cbranch_execnz .LBB294_338
; %bb.109:                              ;   in Loop: Header=BB294_13 Depth=1
	s_or_saveexec_b64 s[26:27], s[26:27]
	v_mov_b32_e32 v0, s30
	s_xor_b64 exec, exec, s[26:27]
	s_cbranch_execnz .LBB294_341
.LBB294_110:                            ;   in Loop: Header=BB294_13 Depth=1
	s_or_b64 exec, exec, s[26:27]
	s_and_saveexec_b64 s[26:27], s[4:5]
	s_cbranch_execz .LBB294_112
.LBB294_111:                            ;   in Loop: Header=BB294_13 Depth=1
	v_and_b32_e32 v2, 7, v50
	v_ffbh_u32_e32 v0, v2
	v_min_u32_e32 v4, 32, v0
	v_subrev_u32_e32 v0, 28, v4
	v_bfe_u32 v3, v50, 3, 4
	v_lshlrev_b64 v[0:1], v0, v[50:51]
	v_sub_u32_e32 v1, 29, v4
	v_cmp_eq_u32_e64 s[4:5], 0, v3
	v_and_b32_e32 v0, 7, v0
	s_nop 0
	v_cndmask_b32_e64 v1, v3, v1, s[4:5]
	v_cndmask_b32_e64 v0, v2, v0, s[4:5]
	v_lshlrev_b32_e32 v2, 8, v50
	v_lshl_add_u32 v1, v1, 10, v57
	v_and_or_b32 v1, v2, s37, v1
	v_lshl_or_b32 v0, v0, 7, v1
	v_cvt_f32_f16_e32 v0, v0
.LBB294_112:                            ;   in Loop: Header=BB294_13 Depth=1
	s_or_b64 exec, exec, s[26:27]
	v_lshrrev_b16_e32 v8, 8, v50
	v_accvgpr_write_b32 a54, v0
	v_cmp_lt_i16_e64 s[4:5], s35, v8
	s_mov_b64 s[26:27], 0
                                        ; implicit-def: $sgpr38
	s_and_saveexec_b64 s[28:29], s[4:5]
	s_xor_b64 s[28:29], exec, s[28:29]
	s_cbranch_execnz .LBB294_342
; %bb.113:                              ;   in Loop: Header=BB294_13 Depth=1
	s_or_saveexec_b64 s[28:29], s[28:29]
	v_mov_b32_e32 v61, s38
	s_xor_b64 exec, exec, s[28:29]
	s_cbranch_execnz .LBB294_345
.LBB294_114:                            ;   in Loop: Header=BB294_13 Depth=1
	s_or_b64 exec, exec, s[28:29]
	s_and_saveexec_b64 s[28:29], s[26:27]
	s_cbranch_execz .LBB294_116
.LBB294_115:                            ;   in Loop: Header=BB294_13 Depth=1
	v_and_b32_e32 v2, 7, v8
	v_ffbh_u32_e32 v0, v2
	v_min_u32_e32 v4, 32, v0
	v_subrev_u32_e32 v0, 28, v4
	v_bfe_u32 v3, v8, 3, 4
	v_lshlrev_b64 v[0:1], v0, v[8:9]
	v_sub_u32_e32 v1, 29, v4
	v_cmp_eq_u32_e64 s[4:5], 0, v3
	v_and_b32_e32 v0, 7, v0
	s_nop 0
	v_cndmask_b32_e64 v1, v3, v1, s[4:5]
	v_cndmask_b32_e64 v0, v2, v0, s[4:5]
	v_lshlrev_b32_e32 v2, 8, v8
	v_lshl_add_u32 v1, v1, 10, v57
	v_and_or_b32 v1, v2, s37, v1
	v_lshl_or_b32 v0, v0, 7, v1
	v_cvt_f32_f16_e32 v61, v0
.LBB294_116:                            ;   in Loop: Header=BB294_13 Depth=1
	s_or_b64 exec, exec, s[28:29]
	v_lshrrev_b32_e32 v8, 16, v50
	v_cmp_gt_i16_sdwa s[26:27], v8, s35 src0_sel:BYTE_0 src1_sel:DWORD
	s_mov_b64 s[4:5], 0
                                        ; implicit-def: $sgpr30
	s_and_saveexec_b64 s[28:29], s[26:27]
	s_xor_b64 s[26:27], exec, s[28:29]
	s_cbranch_execnz .LBB294_346
; %bb.117:                              ;   in Loop: Header=BB294_13 Depth=1
	s_or_saveexec_b64 s[26:27], s[26:27]
	v_mov_b32_e32 v4, s30
	s_xor_b64 exec, exec, s[26:27]
	s_cbranch_execnz .LBB294_349
.LBB294_118:                            ;   in Loop: Header=BB294_13 Depth=1
	s_or_b64 exec, exec, s[26:27]
	s_and_saveexec_b64 s[26:27], s[4:5]
	s_cbranch_execz .LBB294_120
.LBB294_119:                            ;   in Loop: Header=BB294_13 Depth=1
	v_bfe_u32 v2, v50, 16, 3
	v_ffbh_u32_e32 v0, v2
	v_min_u32_e32 v4, 32, v0
	v_subrev_u32_e32 v0, 28, v4
	v_bfe_u32 v3, v50, 19, 4
	v_lshlrev_b64 v[0:1], v0, v[8:9]
	v_sub_u32_e32 v1, 29, v4
	v_cmp_eq_u32_e64 s[4:5], 0, v3
	v_and_b32_e32 v0, 7, v0
	s_nop 0
	v_cndmask_b32_e64 v1, v3, v1, s[4:5]
	v_cndmask_b32_e64 v0, v2, v0, s[4:5]
	v_lshlrev_b32_e32 v2, 8, v8
	v_lshl_add_u32 v1, v1, 10, v57
	v_and_or_b32 v1, v2, s37, v1
	v_lshl_or_b32 v0, v0, 7, v1
	v_cvt_f32_f16_e32 v4, v0
.LBB294_120:                            ;   in Loop: Header=BB294_13 Depth=1
	s_or_b64 exec, exec, s[26:27]
	v_lshrrev_b32_e32 v8, 24, v50
	v_cmp_lt_i16_e64 s[4:5], s35, v8
	s_mov_b64 s[26:27], 0
                                        ; implicit-def: $sgpr38
	s_and_saveexec_b64 s[28:29], s[4:5]
	s_xor_b64 s[28:29], exec, s[28:29]
	s_cbranch_execnz .LBB294_350
; %bb.121:                              ;   in Loop: Header=BB294_13 Depth=1
	s_or_saveexec_b64 s[28:29], s[28:29]
	v_mov_b32_e32 v12, s38
	s_xor_b64 exec, exec, s[28:29]
	s_cbranch_execnz .LBB294_353
.LBB294_122:                            ;   in Loop: Header=BB294_13 Depth=1
	s_or_b64 exec, exec, s[28:29]
	s_and_saveexec_b64 s[28:29], s[26:27]
	s_cbranch_execz .LBB294_124
.LBB294_123:                            ;   in Loop: Header=BB294_13 Depth=1
	v_bfe_u32 v2, v50, 24, 3
	v_ffbh_u32_e32 v0, v2
	v_min_u32_e32 v5, 32, v0
	v_subrev_u32_e32 v0, 28, v5
	v_bfe_u32 v3, v50, 27, 4
	v_lshlrev_b64 v[0:1], v0, v[8:9]
	v_sub_u32_e32 v1, 29, v5
	v_cmp_eq_u32_e64 s[4:5], 0, v3
	v_and_b32_e32 v0, 7, v0
	s_nop 0
	v_cndmask_b32_e64 v1, v3, v1, s[4:5]
	v_cndmask_b32_e64 v0, v2, v0, s[4:5]
	v_lshlrev_b32_e32 v2, 8, v8
	v_lshl_add_u32 v1, v1, 10, v57
	v_and_or_b32 v1, v2, s37, v1
	v_lshl_or_b32 v0, v0, 7, v1
	v_cvt_f32_f16_e32 v12, v0
.LBB294_124:                            ;   in Loop: Header=BB294_13 Depth=1
	s_or_b64 exec, exec, s[28:29]
	flat_load_dword v50, v[38:39] offset:1032
	s_mov_b64 s[4:5], 0
                                        ; implicit-def: $sgpr30
	s_waitcnt vmcnt(0) lgkmcnt(0)
	v_cmp_gt_i16_sdwa s[26:27], v50, s35 src0_sel:BYTE_0 src1_sel:DWORD
	s_and_saveexec_b64 s[28:29], s[26:27]
	s_xor_b64 s[26:27], exec, s[28:29]
	s_cbranch_execnz .LBB294_354
; %bb.125:                              ;   in Loop: Header=BB294_13 Depth=1
	s_or_saveexec_b64 s[26:27], s[26:27]
	v_mov_b32_e32 v11, s30
	s_xor_b64 exec, exec, s[26:27]
	s_cbranch_execnz .LBB294_357
.LBB294_126:                            ;   in Loop: Header=BB294_13 Depth=1
	s_or_b64 exec, exec, s[26:27]
	s_and_saveexec_b64 s[26:27], s[4:5]
	s_cbranch_execz .LBB294_128
.LBB294_127:                            ;   in Loop: Header=BB294_13 Depth=1
	v_and_b32_e32 v2, 7, v50
	v_ffbh_u32_e32 v0, v2
	v_min_u32_e32 v5, 32, v0
	v_subrev_u32_e32 v0, 28, v5
	v_bfe_u32 v3, v50, 3, 4
	v_lshlrev_b64 v[0:1], v0, v[50:51]
	v_sub_u32_e32 v1, 29, v5
	v_cmp_eq_u32_e64 s[4:5], 0, v3
	v_and_b32_e32 v0, 7, v0
	s_nop 0
	v_cndmask_b32_e64 v1, v3, v1, s[4:5]
	v_cndmask_b32_e64 v0, v2, v0, s[4:5]
	v_lshlrev_b32_e32 v2, 8, v50
	v_lshl_add_u32 v1, v1, 10, v57
	v_and_or_b32 v1, v2, s37, v1
	v_lshl_or_b32 v0, v0, 7, v1
	v_cvt_f32_f16_e32 v11, v0
.LBB294_128:                            ;   in Loop: Header=BB294_13 Depth=1
	s_or_b64 exec, exec, s[26:27]
	v_lshrrev_b16_e32 v8, 8, v50
	v_cmp_lt_i16_e64 s[4:5], s35, v8
	s_mov_b64 s[26:27], 0
                                        ; implicit-def: $sgpr38
	s_and_saveexec_b64 s[28:29], s[4:5]
	s_xor_b64 s[28:29], exec, s[28:29]
	s_cbranch_execnz .LBB294_358
; %bb.129:                              ;   in Loop: Header=BB294_13 Depth=1
	s_or_saveexec_b64 s[28:29], s[28:29]
	v_mov_b32_e32 v10, s38
	s_xor_b64 exec, exec, s[28:29]
	s_cbranch_execnz .LBB294_361
.LBB294_130:                            ;   in Loop: Header=BB294_13 Depth=1
	s_or_b64 exec, exec, s[28:29]
	s_and_saveexec_b64 s[28:29], s[26:27]
	s_cbranch_execz .LBB294_132
.LBB294_131:                            ;   in Loop: Header=BB294_13 Depth=1
	v_and_b32_e32 v2, 7, v8
	v_ffbh_u32_e32 v0, v2
	v_min_u32_e32 v5, 32, v0
	v_subrev_u32_e32 v0, 28, v5
	v_bfe_u32 v3, v8, 3, 4
	v_lshlrev_b64 v[0:1], v0, v[8:9]
	v_sub_u32_e32 v1, 29, v5
	v_cmp_eq_u32_e64 s[4:5], 0, v3
	v_and_b32_e32 v0, 7, v0
	s_nop 0
	v_cndmask_b32_e64 v1, v3, v1, s[4:5]
	v_cndmask_b32_e64 v0, v2, v0, s[4:5]
	v_lshlrev_b32_e32 v2, 8, v8
	v_lshl_add_u32 v1, v1, 10, v57
	v_and_or_b32 v1, v2, s37, v1
	v_lshl_or_b32 v0, v0, 7, v1
	v_cvt_f32_f16_e32 v10, v0
.LBB294_132:                            ;   in Loop: Header=BB294_13 Depth=1
	s_or_b64 exec, exec, s[28:29]
	v_lshrrev_b32_e32 v8, 16, v50
	v_cmp_gt_i16_sdwa s[26:27], v8, s35 src0_sel:BYTE_0 src1_sel:DWORD
	s_mov_b64 s[4:5], 0
                                        ; implicit-def: $sgpr30
	s_and_saveexec_b64 s[28:29], s[26:27]
	s_xor_b64 s[26:27], exec, s[28:29]
	s_cbranch_execnz .LBB294_362
; %bb.133:                              ;   in Loop: Header=BB294_13 Depth=1
	s_or_saveexec_b64 s[26:27], s[26:27]
	v_mov_b32_e32 v2, s30
	s_xor_b64 exec, exec, s[26:27]
	s_cbranch_execnz .LBB294_365
.LBB294_134:                            ;   in Loop: Header=BB294_13 Depth=1
	s_or_b64 exec, exec, s[26:27]
	s_and_saveexec_b64 s[26:27], s[4:5]
	s_cbranch_execz .LBB294_136
.LBB294_135:                            ;   in Loop: Header=BB294_13 Depth=1
	v_bfe_u32 v2, v50, 16, 3
	v_ffbh_u32_e32 v0, v2
	v_min_u32_e32 v5, 32, v0
	v_subrev_u32_e32 v0, 28, v5
	v_bfe_u32 v3, v50, 19, 4
	v_lshlrev_b64 v[0:1], v0, v[8:9]
	v_sub_u32_e32 v1, 29, v5
	v_cmp_eq_u32_e64 s[4:5], 0, v3
	v_and_b32_e32 v0, 7, v0
	s_nop 0
	v_cndmask_b32_e64 v1, v3, v1, s[4:5]
	v_cndmask_b32_e64 v0, v2, v0, s[4:5]
	v_lshlrev_b32_e32 v2, 8, v8
	v_lshl_add_u32 v1, v1, 10, v57
	v_and_or_b32 v1, v2, s37, v1
	v_lshl_or_b32 v0, v0, 7, v1
	v_cvt_f32_f16_e32 v2, v0
.LBB294_136:                            ;   in Loop: Header=BB294_13 Depth=1
	s_or_b64 exec, exec, s[26:27]
	v_lshrrev_b32_e32 v8, 24, v50
	v_cmp_lt_i16_e64 s[4:5], s35, v8
	s_mov_b64 s[26:27], 0
                                        ; implicit-def: $sgpr38
	s_and_saveexec_b64 s[28:29], s[4:5]
	s_xor_b64 s[28:29], exec, s[28:29]
	s_cbranch_execnz .LBB294_366
; %bb.137:                              ;   in Loop: Header=BB294_13 Depth=1
	s_or_saveexec_b64 s[28:29], s[28:29]
	v_mov_b32_e32 v0, s38
	s_xor_b64 exec, exec, s[28:29]
	s_cbranch_execnz .LBB294_369
.LBB294_138:                            ;   in Loop: Header=BB294_13 Depth=1
	s_or_b64 exec, exec, s[28:29]
	s_and_saveexec_b64 s[28:29], s[26:27]
	s_cbranch_execz .LBB294_140
.LBB294_139:                            ;   in Loop: Header=BB294_13 Depth=1
	v_bfe_u32 v3, v50, 24, 3
	v_ffbh_u32_e32 v0, v3
	v_min_u32_e32 v6, 32, v0
	v_subrev_u32_e32 v0, 28, v6
	v_bfe_u32 v5, v50, 27, 4
	v_lshlrev_b64 v[0:1], v0, v[8:9]
	v_sub_u32_e32 v1, 29, v6
	v_cmp_eq_u32_e64 s[4:5], 0, v5
	v_and_b32_e32 v0, 7, v0
	s_nop 0
	v_cndmask_b32_e64 v1, v5, v1, s[4:5]
	v_cndmask_b32_e64 v0, v3, v0, s[4:5]
	v_lshlrev_b32_e32 v3, 8, v8
	v_lshl_add_u32 v1, v1, 10, v57
	v_and_or_b32 v1, v3, s37, v1
	v_lshl_or_b32 v0, v0, 7, v1
	v_cvt_f32_f16_e32 v0, v0
.LBB294_140:                            ;   in Loop: Header=BB294_13 Depth=1
	s_or_b64 exec, exec, s[28:29]
	flat_load_dword v50, v[38:39] offset:1536
	s_mov_b64 s[4:5], 0
                                        ; implicit-def: $sgpr30
	s_waitcnt vmcnt(0) lgkmcnt(0)
	v_cmp_gt_i16_sdwa s[26:27], v50, s35 src0_sel:BYTE_0 src1_sel:DWORD
	s_and_saveexec_b64 s[28:29], s[26:27]
	s_xor_b64 s[26:27], exec, s[28:29]
	s_cbranch_execnz .LBB294_370
; %bb.141:                              ;   in Loop: Header=BB294_13 Depth=1
	s_or_saveexec_b64 s[26:27], s[26:27]
	v_mov_b32_e32 v19, s30
	s_xor_b64 exec, exec, s[26:27]
	s_cbranch_execnz .LBB294_373
.LBB294_142:                            ;   in Loop: Header=BB294_13 Depth=1
	s_or_b64 exec, exec, s[26:27]
	s_and_saveexec_b64 s[26:27], s[4:5]
	s_cbranch_execz .LBB294_144
.LBB294_143:                            ;   in Loop: Header=BB294_13 Depth=1
	v_and_b32_e32 v1, 7, v50
	v_ffbh_u32_e32 v5, v1
	v_bfe_u32 v3, v50, 3, 4
	v_min_u32_e32 v5, 32, v5
	v_subrev_u32_e32 v6, 28, v5
	v_sub_u32_e32 v5, 29, v5
	v_cmp_eq_u32_e64 s[4:5], 0, v3
	v_lshlrev_b64 v[6:7], v6, v[50:51]
	v_and_b32_e32 v6, 7, v6
	v_cndmask_b32_e64 v3, v3, v5, s[4:5]
	v_lshlrev_b32_e32 v5, 8, v50
	v_lshl_add_u32 v3, v3, 10, v57
	v_cndmask_b32_e64 v1, v1, v6, s[4:5]
	v_and_or_b32 v3, v5, s37, v3
	v_lshl_or_b32 v1, v1, 7, v3
	v_cvt_f32_f16_e32 v19, v1
.LBB294_144:                            ;   in Loop: Header=BB294_13 Depth=1
	s_or_b64 exec, exec, s[26:27]
	v_lshrrev_b16_e32 v8, 8, v50
	v_cmp_lt_i16_e64 s[4:5], s35, v8
	s_mov_b64 s[26:27], 0
                                        ; implicit-def: $sgpr38
	s_and_saveexec_b64 s[28:29], s[4:5]
	s_xor_b64 s[28:29], exec, s[28:29]
	s_cbranch_execnz .LBB294_374
; %bb.145:                              ;   in Loop: Header=BB294_13 Depth=1
	s_or_saveexec_b64 s[28:29], s[28:29]
	v_mov_b32_e32 v23, s38
	s_xor_b64 exec, exec, s[28:29]
	s_cbranch_execnz .LBB294_377
.LBB294_146:                            ;   in Loop: Header=BB294_13 Depth=1
	s_or_b64 exec, exec, s[28:29]
	s_and_saveexec_b64 s[28:29], s[26:27]
	s_cbranch_execz .LBB294_148
.LBB294_147:                            ;   in Loop: Header=BB294_13 Depth=1
	v_and_b32_e32 v1, 7, v8
	v_ffbh_u32_e32 v5, v1
	v_bfe_u32 v3, v8, 3, 4
	v_min_u32_e32 v5, 32, v5
	v_subrev_u32_e32 v6, 28, v5
	v_sub_u32_e32 v5, 29, v5
	v_cmp_eq_u32_e64 s[4:5], 0, v3
	v_lshlrev_b64 v[6:7], v6, v[8:9]
	v_and_b32_e32 v6, 7, v6
	v_cndmask_b32_e64 v3, v3, v5, s[4:5]
	v_lshlrev_b32_e32 v5, 8, v8
	v_lshl_add_u32 v3, v3, 10, v57
	v_cndmask_b32_e64 v1, v1, v6, s[4:5]
	v_and_or_b32 v3, v5, s37, v3
	v_lshl_or_b32 v1, v1, 7, v3
	v_cvt_f32_f16_e32 v23, v1
.LBB294_148:                            ;   in Loop: Header=BB294_13 Depth=1
	s_or_b64 exec, exec, s[28:29]
	v_lshrrev_b32_e32 v8, 16, v50
	v_cmp_gt_i16_sdwa s[26:27], v8, s35 src0_sel:BYTE_0 src1_sel:DWORD
	s_mov_b64 s[4:5], 0
                                        ; implicit-def: $sgpr30
	s_and_saveexec_b64 s[28:29], s[26:27]
	s_xor_b64 s[26:27], exec, s[28:29]
	s_cbranch_execnz .LBB294_378
; %bb.149:                              ;   in Loop: Header=BB294_13 Depth=1
	s_or_saveexec_b64 s[26:27], s[26:27]
	v_mov_b32_e32 v15, s30
	s_xor_b64 exec, exec, s[26:27]
	s_cbranch_execnz .LBB294_381
.LBB294_150:                            ;   in Loop: Header=BB294_13 Depth=1
	s_or_b64 exec, exec, s[26:27]
	s_and_saveexec_b64 s[26:27], s[4:5]
	s_cbranch_execz .LBB294_152
.LBB294_151:                            ;   in Loop: Header=BB294_13 Depth=1
	v_bfe_u32 v1, v50, 16, 3
	v_ffbh_u32_e32 v5, v1
	v_bfe_u32 v3, v50, 19, 4
	v_min_u32_e32 v5, 32, v5
	v_subrev_u32_e32 v6, 28, v5
	v_sub_u32_e32 v5, 29, v5
	v_cmp_eq_u32_e64 s[4:5], 0, v3
	v_lshlrev_b64 v[6:7], v6, v[8:9]
	v_and_b32_e32 v6, 7, v6
	v_cndmask_b32_e64 v3, v3, v5, s[4:5]
	v_lshlrev_b32_e32 v5, 8, v8
	v_lshl_add_u32 v3, v3, 10, v57
	v_cndmask_b32_e64 v1, v1, v6, s[4:5]
	v_and_or_b32 v3, v5, s37, v3
	v_lshl_or_b32 v1, v1, 7, v3
	v_cvt_f32_f16_e32 v15, v1
.LBB294_152:                            ;   in Loop: Header=BB294_13 Depth=1
	s_or_b64 exec, exec, s[26:27]
	v_lshrrev_b32_e32 v8, 24, v50
	v_cmp_lt_i16_e64 s[4:5], s35, v8
	s_mov_b64 s[26:27], 0
                                        ; implicit-def: $sgpr38
	s_and_saveexec_b64 s[28:29], s[4:5]
	s_xor_b64 s[28:29], exec, s[28:29]
	s_cbranch_execnz .LBB294_382
; %bb.153:                              ;   in Loop: Header=BB294_13 Depth=1
	s_or_saveexec_b64 s[28:29], s[28:29]
	v_mov_b32_e32 v14, s38
	s_xor_b64 exec, exec, s[28:29]
	s_cbranch_execnz .LBB294_385
.LBB294_154:                            ;   in Loop: Header=BB294_13 Depth=1
	s_or_b64 exec, exec, s[28:29]
	s_and_saveexec_b64 s[28:29], s[26:27]
	s_cbranch_execz .LBB294_156
.LBB294_155:                            ;   in Loop: Header=BB294_13 Depth=1
	v_bfe_u32 v1, v50, 24, 3
	v_ffbh_u32_e32 v5, v1
	v_bfe_u32 v3, v50, 27, 4
	v_min_u32_e32 v5, 32, v5
	v_subrev_u32_e32 v6, 28, v5
	v_sub_u32_e32 v5, 29, v5
	v_cmp_eq_u32_e64 s[4:5], 0, v3
	v_lshlrev_b64 v[6:7], v6, v[8:9]
	v_and_b32_e32 v6, 7, v6
	v_cndmask_b32_e64 v3, v3, v5, s[4:5]
	v_lshlrev_b32_e32 v5, 8, v8
	v_lshl_add_u32 v3, v3, 10, v57
	v_cndmask_b32_e64 v1, v1, v6, s[4:5]
	v_and_or_b32 v3, v5, s37, v3
	v_lshl_or_b32 v1, v1, 7, v3
	v_cvt_f32_f16_e32 v14, v1
.LBB294_156:                            ;   in Loop: Header=BB294_13 Depth=1
	s_or_b64 exec, exec, s[28:29]
	flat_load_dword v50, v[38:39] offset:1544
	s_mov_b64 s[4:5], 0
                                        ; implicit-def: $sgpr30
	s_waitcnt vmcnt(0) lgkmcnt(0)
	v_cmp_gt_i16_sdwa s[26:27], v50, s35 src0_sel:BYTE_0 src1_sel:DWORD
	s_and_saveexec_b64 s[28:29], s[26:27]
	s_xor_b64 s[26:27], exec, s[28:29]
	s_cbranch_execnz .LBB294_386
; %bb.157:                              ;   in Loop: Header=BB294_13 Depth=1
	s_or_saveexec_b64 s[26:27], s[26:27]
	v_mov_b32_e32 v53, s30
	s_xor_b64 exec, exec, s[26:27]
	s_cbranch_execnz .LBB294_389
.LBB294_158:                            ;   in Loop: Header=BB294_13 Depth=1
	s_or_b64 exec, exec, s[26:27]
	s_and_saveexec_b64 s[26:27], s[4:5]
	s_cbranch_execz .LBB294_160
.LBB294_159:                            ;   in Loop: Header=BB294_13 Depth=1
	v_and_b32_e32 v1, 7, v50
	v_ffbh_u32_e32 v5, v1
	v_bfe_u32 v3, v50, 3, 4
	v_min_u32_e32 v5, 32, v5
	v_subrev_u32_e32 v6, 28, v5
	v_sub_u32_e32 v5, 29, v5
	v_cmp_eq_u32_e64 s[4:5], 0, v3
	v_lshlrev_b64 v[6:7], v6, v[50:51]
	v_and_b32_e32 v6, 7, v6
	v_cndmask_b32_e64 v3, v3, v5, s[4:5]
	v_lshlrev_b32_e32 v5, 8, v50
	v_lshl_add_u32 v3, v3, 10, v57
	v_cndmask_b32_e64 v1, v1, v6, s[4:5]
	v_and_or_b32 v3, v5, s37, v3
	v_lshl_or_b32 v1, v1, 7, v3
	v_cvt_f32_f16_e32 v53, v1
.LBB294_160:                            ;   in Loop: Header=BB294_13 Depth=1
	s_or_b64 exec, exec, s[26:27]
	v_lshrrev_b16_e32 v8, 8, v50
	v_cmp_lt_i16_e64 s[4:5], s35, v8
	s_mov_b64 s[26:27], 0
                                        ; implicit-def: $sgpr38
	s_and_saveexec_b64 s[28:29], s[4:5]
	s_xor_b64 s[28:29], exec, s[28:29]
	s_cbranch_execnz .LBB294_390
; %bb.161:                              ;   in Loop: Header=BB294_13 Depth=1
	s_or_saveexec_b64 s[28:29], s[28:29]
	v_mov_b32_e32 v32, s38
	s_xor_b64 exec, exec, s[28:29]
	s_cbranch_execnz .LBB294_393
.LBB294_162:                            ;   in Loop: Header=BB294_13 Depth=1
	s_or_b64 exec, exec, s[28:29]
	s_and_saveexec_b64 s[28:29], s[26:27]
	s_cbranch_execz .LBB294_164
.LBB294_163:                            ;   in Loop: Header=BB294_13 Depth=1
	v_and_b32_e32 v1, 7, v8
	v_ffbh_u32_e32 v5, v1
	v_bfe_u32 v3, v8, 3, 4
	v_min_u32_e32 v5, 32, v5
	v_subrev_u32_e32 v6, 28, v5
	v_sub_u32_e32 v5, 29, v5
	v_cmp_eq_u32_e64 s[4:5], 0, v3
	v_lshlrev_b64 v[6:7], v6, v[8:9]
	v_and_b32_e32 v6, 7, v6
	v_cndmask_b32_e64 v3, v3, v5, s[4:5]
	v_lshlrev_b32_e32 v5, 8, v8
	v_lshl_add_u32 v3, v3, 10, v57
	v_cndmask_b32_e64 v1, v1, v6, s[4:5]
	v_and_or_b32 v3, v5, s37, v3
	v_lshl_or_b32 v1, v1, 7, v3
	v_cvt_f32_f16_e32 v32, v1
.LBB294_164:                            ;   in Loop: Header=BB294_13 Depth=1
	s_or_b64 exec, exec, s[28:29]
	v_lshrrev_b32_e32 v8, 16, v50
	v_cmp_gt_i16_sdwa s[26:27], v8, s35 src0_sel:BYTE_0 src1_sel:DWORD
	s_mov_b64 s[4:5], 0
                                        ; implicit-def: $sgpr30
	s_and_saveexec_b64 s[28:29], s[26:27]
	s_xor_b64 s[26:27], exec, s[28:29]
	s_cbranch_execnz .LBB294_394
; %bb.165:                              ;   in Loop: Header=BB294_13 Depth=1
	s_or_saveexec_b64 s[26:27], s[26:27]
	v_mov_b32_e32 v33, s30
	s_xor_b64 exec, exec, s[26:27]
	s_cbranch_execnz .LBB294_397
.LBB294_166:                            ;   in Loop: Header=BB294_13 Depth=1
	s_or_b64 exec, exec, s[26:27]
	s_and_saveexec_b64 s[26:27], s[4:5]
	s_cbranch_execz .LBB294_168
.LBB294_167:                            ;   in Loop: Header=BB294_13 Depth=1
	v_bfe_u32 v1, v50, 16, 3
	v_ffbh_u32_e32 v5, v1
	v_bfe_u32 v3, v50, 19, 4
	v_min_u32_e32 v5, 32, v5
	v_subrev_u32_e32 v6, 28, v5
	v_sub_u32_e32 v5, 29, v5
	v_cmp_eq_u32_e64 s[4:5], 0, v3
	v_lshlrev_b64 v[6:7], v6, v[8:9]
	v_and_b32_e32 v6, 7, v6
	v_cndmask_b32_e64 v3, v3, v5, s[4:5]
	v_lshlrev_b32_e32 v5, 8, v8
	v_lshl_add_u32 v3, v3, 10, v57
	v_cndmask_b32_e64 v1, v1, v6, s[4:5]
	v_and_or_b32 v3, v5, s37, v3
	v_lshl_or_b32 v1, v1, 7, v3
	v_cvt_f32_f16_e32 v33, v1
.LBB294_168:                            ;   in Loop: Header=BB294_13 Depth=1
	s_or_b64 exec, exec, s[26:27]
	v_lshrrev_b32_e32 v8, 24, v50
	v_cmp_lt_i16_e64 s[4:5], s35, v8
	s_mov_b64 s[26:27], 0
                                        ; implicit-def: $sgpr38
	s_and_saveexec_b64 s[28:29], s[4:5]
	s_xor_b64 s[28:29], exec, s[28:29]
	s_cbranch_execnz .LBB294_398
; %bb.169:                              ;   in Loop: Header=BB294_13 Depth=1
	s_or_saveexec_b64 s[28:29], s[28:29]
	v_mov_b32_e32 v51, s38
	s_xor_b64 exec, exec, s[28:29]
	s_cbranch_execnz .LBB294_401
.LBB294_170:                            ;   in Loop: Header=BB294_13 Depth=1
	s_or_b64 exec, exec, s[28:29]
	s_and_saveexec_b64 s[28:29], s[26:27]
	s_cbranch_execz .LBB294_172
.LBB294_171:                            ;   in Loop: Header=BB294_13 Depth=1
	v_bfe_u32 v1, v50, 24, 3
	v_ffbh_u32_e32 v5, v1
	v_bfe_u32 v3, v50, 27, 4
	v_min_u32_e32 v5, 32, v5
	v_subrev_u32_e32 v6, 28, v5
	v_sub_u32_e32 v5, 29, v5
	v_cmp_eq_u32_e64 s[4:5], 0, v3
	v_lshlrev_b64 v[6:7], v6, v[8:9]
	v_and_b32_e32 v6, 7, v6
	v_cndmask_b32_e64 v3, v3, v5, s[4:5]
	v_lshlrev_b32_e32 v5, 8, v8
	v_lshl_add_u32 v3, v3, 10, v57
	v_cndmask_b32_e64 v1, v1, v6, s[4:5]
	v_and_or_b32 v3, v5, s37, v3
	v_lshl_or_b32 v1, v1, 7, v3
	v_cvt_f32_f16_e32 v51, v1
.LBB294_172:                            ;   in Loop: Header=BB294_13 Depth=1
	s_or_b64 exec, exec, s[28:29]
	flat_load_dword v50, v[38:39] offset:2048
	s_mov_b64 s[4:5], 0
                                        ; implicit-def: $sgpr30
	s_waitcnt vmcnt(0) lgkmcnt(0)
	v_cmp_gt_i16_sdwa s[26:27], v50, s35 src0_sel:BYTE_0 src1_sel:DWORD
	s_and_saveexec_b64 s[28:29], s[26:27]
	s_xor_b64 s[26:27], exec, s[28:29]
	s_cbranch_execnz .LBB294_402
; %bb.173:                              ;   in Loop: Header=BB294_13 Depth=1
	s_or_saveexec_b64 s[26:27], s[26:27]
	v_mov_b32_e32 v52, s30
	s_xor_b64 exec, exec, s[26:27]
	s_cbranch_execnz .LBB294_405
.LBB294_174:                            ;   in Loop: Header=BB294_13 Depth=1
	s_or_b64 exec, exec, s[26:27]
	s_and_saveexec_b64 s[26:27], s[4:5]
	s_cbranch_execz .LBB294_176
.LBB294_175:                            ;   in Loop: Header=BB294_13 Depth=1
	v_and_b32_e32 v1, 7, v50
	v_ffbh_u32_e32 v5, v1
	v_bfe_u32 v3, v50, 3, 4
	v_min_u32_e32 v5, 32, v5
	v_subrev_u32_e32 v6, 28, v5
	v_sub_u32_e32 v5, 29, v5
	v_cmp_eq_u32_e64 s[4:5], 0, v3
	v_lshlrev_b64 v[6:7], v6, v[50:51]
	v_and_b32_e32 v6, 7, v6
	v_cndmask_b32_e64 v3, v3, v5, s[4:5]
	v_lshlrev_b32_e32 v5, 8, v50
	v_lshl_add_u32 v3, v3, 10, v57
	v_cndmask_b32_e64 v1, v1, v6, s[4:5]
	v_and_or_b32 v3, v5, s37, v3
	v_lshl_or_b32 v1, v1, 7, v3
	v_cvt_f32_f16_e32 v52, v1
.LBB294_176:                            ;   in Loop: Header=BB294_13 Depth=1
	s_or_b64 exec, exec, s[26:27]
	v_lshrrev_b16_e32 v8, 8, v50
	v_cmp_lt_i16_e64 s[4:5], s35, v8
	s_mov_b64 s[26:27], 0
                                        ; implicit-def: $sgpr38
	s_and_saveexec_b64 s[28:29], s[4:5]
	s_xor_b64 s[28:29], exec, s[28:29]
	s_cbranch_execnz .LBB294_406
; %bb.177:                              ;   in Loop: Header=BB294_13 Depth=1
	s_or_saveexec_b64 s[28:29], s[28:29]
	v_mov_b32_e32 v7, s38
	s_xor_b64 exec, exec, s[28:29]
	s_cbranch_execnz .LBB294_409
.LBB294_178:                            ;   in Loop: Header=BB294_13 Depth=1
	s_or_b64 exec, exec, s[28:29]
	s_and_saveexec_b64 s[28:29], s[26:27]
	s_cbranch_execz .LBB294_180
.LBB294_179:                            ;   in Loop: Header=BB294_13 Depth=1
	v_and_b32_e32 v1, 7, v8
	v_ffbh_u32_e32 v5, v1
	v_bfe_u32 v3, v8, 3, 4
	v_min_u32_e32 v5, 32, v5
	v_subrev_u32_e32 v6, 28, v5
	v_sub_u32_e32 v5, 29, v5
	v_cmp_eq_u32_e64 s[4:5], 0, v3
	v_lshlrev_b64 v[6:7], v6, v[8:9]
	v_and_b32_e32 v6, 7, v6
	v_cndmask_b32_e64 v3, v3, v5, s[4:5]
	v_lshlrev_b32_e32 v5, 8, v8
	v_lshl_add_u32 v3, v3, 10, v57
	v_cndmask_b32_e64 v1, v1, v6, s[4:5]
	v_and_or_b32 v3, v5, s37, v3
	v_lshl_or_b32 v1, v1, 7, v3
	v_cvt_f32_f16_e32 v7, v1
.LBB294_180:                            ;   in Loop: Header=BB294_13 Depth=1
	s_or_b64 exec, exec, s[28:29]
	v_lshrrev_b32_e32 v8, 16, v50
	v_cmp_gt_i16_sdwa s[26:27], v8, s35 src0_sel:BYTE_0 src1_sel:DWORD
	s_mov_b64 s[4:5], 0
                                        ; implicit-def: $sgpr30
	s_and_saveexec_b64 s[28:29], s[26:27]
	s_xor_b64 s[26:27], exec, s[28:29]
	s_cbranch_execnz .LBB294_410
; %bb.181:                              ;   in Loop: Header=BB294_13 Depth=1
	s_or_saveexec_b64 s[26:27], s[26:27]
	v_mov_b32_e32 v34, s30
	s_xor_b64 exec, exec, s[26:27]
	s_cbranch_execnz .LBB294_413
.LBB294_182:                            ;   in Loop: Header=BB294_13 Depth=1
	s_or_b64 exec, exec, s[26:27]
	s_and_saveexec_b64 s[26:27], s[4:5]
	s_cbranch_execz .LBB294_184
.LBB294_183:                            ;   in Loop: Header=BB294_13 Depth=1
	v_bfe_u32 v1, v50, 16, 3
	v_ffbh_u32_e32 v5, v1
	v_bfe_u32 v3, v50, 19, 4
	v_min_u32_e32 v5, 32, v5
	v_subrev_u32_e32 v6, 28, v5
	v_sub_u32_e32 v5, 29, v5
	v_cmp_eq_u32_e64 s[4:5], 0, v3
	v_lshlrev_b64 v[16:17], v6, v[8:9]
	v_and_b32_e32 v6, 7, v16
	v_cndmask_b32_e64 v3, v3, v5, s[4:5]
	v_lshlrev_b32_e32 v5, 8, v8
	v_lshl_add_u32 v3, v3, 10, v57
	v_cndmask_b32_e64 v1, v1, v6, s[4:5]
	v_and_or_b32 v3, v5, s37, v3
	v_lshl_or_b32 v1, v1, 7, v3
	v_cvt_f32_f16_e32 v34, v1
.LBB294_184:                            ;   in Loop: Header=BB294_13 Depth=1
	s_or_b64 exec, exec, s[26:27]
	v_lshrrev_b32_e32 v8, 24, v50
	v_cmp_lt_i16_e64 s[4:5], s35, v8
	s_mov_b64 s[26:27], 0
                                        ; implicit-def: $sgpr38
	s_and_saveexec_b64 s[28:29], s[4:5]
	s_xor_b64 s[28:29], exec, s[28:29]
	s_cbranch_execnz .LBB294_414
; %bb.185:                              ;   in Loop: Header=BB294_13 Depth=1
	s_or_saveexec_b64 s[28:29], s[28:29]
	v_mov_b32_e32 v35, s38
	s_xor_b64 exec, exec, s[28:29]
	s_cbranch_execnz .LBB294_417
.LBB294_186:                            ;   in Loop: Header=BB294_13 Depth=1
	s_or_b64 exec, exec, s[28:29]
	s_and_saveexec_b64 s[28:29], s[26:27]
	s_cbranch_execz .LBB294_188
.LBB294_187:                            ;   in Loop: Header=BB294_13 Depth=1
	v_bfe_u32 v1, v50, 24, 3
	v_ffbh_u32_e32 v5, v1
	v_bfe_u32 v3, v50, 27, 4
	v_min_u32_e32 v5, 32, v5
	v_subrev_u32_e32 v6, 28, v5
	v_sub_u32_e32 v5, 29, v5
	v_cmp_eq_u32_e64 s[4:5], 0, v3
	v_lshlrev_b64 v[16:17], v6, v[8:9]
	v_and_b32_e32 v6, 7, v16
	v_cndmask_b32_e64 v3, v3, v5, s[4:5]
	v_lshlrev_b32_e32 v5, 8, v8
	v_lshl_add_u32 v3, v3, 10, v57
	v_cndmask_b32_e64 v1, v1, v6, s[4:5]
	v_and_or_b32 v3, v5, s37, v3
	v_lshl_or_b32 v1, v1, 7, v3
	v_cvt_f32_f16_e32 v35, v1
.LBB294_188:                            ;   in Loop: Header=BB294_13 Depth=1
	s_or_b64 exec, exec, s[28:29]
	flat_load_dword v50, v[38:39] offset:2056
	s_mov_b64 s[4:5], 0
                                        ; implicit-def: $sgpr30
	s_waitcnt vmcnt(0) lgkmcnt(0)
	v_cmp_gt_i16_sdwa s[26:27], v50, s35 src0_sel:BYTE_0 src1_sel:DWORD
	s_and_saveexec_b64 s[28:29], s[26:27]
	s_xor_b64 s[26:27], exec, s[28:29]
	s_cbranch_execnz .LBB294_418
; %bb.189:                              ;   in Loop: Header=BB294_13 Depth=1
	s_or_saveexec_b64 s[26:27], s[26:27]
	v_mov_b32_e32 v42, s30
	s_xor_b64 exec, exec, s[26:27]
	s_cbranch_execnz .LBB294_421
.LBB294_190:                            ;   in Loop: Header=BB294_13 Depth=1
	s_or_b64 exec, exec, s[26:27]
	s_and_saveexec_b64 s[26:27], s[4:5]
	s_cbranch_execz .LBB294_192
.LBB294_191:                            ;   in Loop: Header=BB294_13 Depth=1
	v_and_b32_e32 v1, 7, v50
	v_ffbh_u32_e32 v5, v1
	v_bfe_u32 v3, v50, 3, 4
	v_min_u32_e32 v5, 32, v5
	v_subrev_u32_e32 v6, 28, v5
	v_sub_u32_e32 v5, 29, v5
	v_cmp_eq_u32_e64 s[4:5], 0, v3
	v_lshlrev_b64 v[16:17], v6, v[50:51]
	v_and_b32_e32 v6, 7, v16
	v_cndmask_b32_e64 v3, v3, v5, s[4:5]
	v_lshlrev_b32_e32 v5, 8, v50
	v_lshl_add_u32 v3, v3, 10, v57
	v_cndmask_b32_e64 v1, v1, v6, s[4:5]
	v_and_or_b32 v3, v5, s37, v3
	v_lshl_or_b32 v1, v1, 7, v3
	v_cvt_f32_f16_e32 v42, v1
.LBB294_192:                            ;   in Loop: Header=BB294_13 Depth=1
	s_or_b64 exec, exec, s[26:27]
	v_lshrrev_b16_e32 v8, 8, v50
	v_cmp_lt_i16_e64 s[4:5], s35, v8
	s_mov_b64 s[26:27], 0
                                        ; implicit-def: $sgpr38
	s_and_saveexec_b64 s[28:29], s[4:5]
	s_xor_b64 s[28:29], exec, s[28:29]
	s_cbranch_execnz .LBB294_422
; %bb.193:                              ;   in Loop: Header=BB294_13 Depth=1
	s_or_saveexec_b64 s[28:29], s[28:29]
	v_mov_b32_e32 v31, s38
	s_xor_b64 exec, exec, s[28:29]
	s_cbranch_execnz .LBB294_425
.LBB294_194:                            ;   in Loop: Header=BB294_13 Depth=1
	s_or_b64 exec, exec, s[28:29]
	s_and_saveexec_b64 s[28:29], s[26:27]
	s_cbranch_execz .LBB294_196
.LBB294_195:                            ;   in Loop: Header=BB294_13 Depth=1
	v_and_b32_e32 v1, 7, v8
	v_ffbh_u32_e32 v5, v1
	v_bfe_u32 v3, v8, 3, 4
	v_min_u32_e32 v5, 32, v5
	v_subrev_u32_e32 v6, 28, v5
	v_sub_u32_e32 v5, 29, v5
	v_cmp_eq_u32_e64 s[4:5], 0, v3
	v_lshlrev_b64 v[16:17], v6, v[8:9]
	v_and_b32_e32 v6, 7, v16
	v_cndmask_b32_e64 v3, v3, v5, s[4:5]
	v_lshlrev_b32_e32 v5, 8, v8
	v_lshl_add_u32 v3, v3, 10, v57
	v_cndmask_b32_e64 v1, v1, v6, s[4:5]
	v_and_or_b32 v3, v5, s37, v3
	v_lshl_or_b32 v1, v1, 7, v3
	v_cvt_f32_f16_e32 v31, v1
.LBB294_196:                            ;   in Loop: Header=BB294_13 Depth=1
	s_or_b64 exec, exec, s[28:29]
	v_lshrrev_b32_e32 v8, 16, v50
	v_cmp_gt_i16_sdwa s[26:27], v8, s35 src0_sel:BYTE_0 src1_sel:DWORD
	s_mov_b64 s[4:5], 0
                                        ; implicit-def: $sgpr30
	s_and_saveexec_b64 s[28:29], s[26:27]
	s_xor_b64 s[26:27], exec, s[28:29]
	s_cbranch_execnz .LBB294_426
; %bb.197:                              ;   in Loop: Header=BB294_13 Depth=1
	s_or_saveexec_b64 s[26:27], s[26:27]
	v_mov_b32_e32 v22, s30
	s_xor_b64 exec, exec, s[26:27]
	s_cbranch_execnz .LBB294_429
.LBB294_198:                            ;   in Loop: Header=BB294_13 Depth=1
	s_or_b64 exec, exec, s[26:27]
	s_and_saveexec_b64 s[26:27], s[4:5]
	s_cbranch_execz .LBB294_200
.LBB294_199:                            ;   in Loop: Header=BB294_13 Depth=1
	v_bfe_u32 v1, v50, 16, 3
	v_ffbh_u32_e32 v5, v1
	v_bfe_u32 v3, v50, 19, 4
	v_min_u32_e32 v5, 32, v5
	v_subrev_u32_e32 v6, 28, v5
	v_sub_u32_e32 v5, 29, v5
	v_cmp_eq_u32_e64 s[4:5], 0, v3
	v_lshlrev_b64 v[16:17], v6, v[8:9]
	v_and_b32_e32 v6, 7, v16
	v_cndmask_b32_e64 v3, v3, v5, s[4:5]
	v_lshlrev_b32_e32 v5, 8, v8
	v_lshl_add_u32 v3, v3, 10, v57
	v_cndmask_b32_e64 v1, v1, v6, s[4:5]
	v_and_or_b32 v3, v5, s37, v3
	v_lshl_or_b32 v1, v1, 7, v3
	v_cvt_f32_f16_e32 v22, v1
.LBB294_200:                            ;   in Loop: Header=BB294_13 Depth=1
	s_or_b64 exec, exec, s[26:27]
	v_lshrrev_b32_e32 v8, 24, v50
	v_cmp_lt_i16_e64 s[4:5], s35, v8
	s_mov_b64 s[26:27], 0
                                        ; implicit-def: $sgpr38
	s_and_saveexec_b64 s[28:29], s[4:5]
	s_xor_b64 s[28:29], exec, s[28:29]
	s_cbranch_execnz .LBB294_430
; %bb.201:                              ;   in Loop: Header=BB294_13 Depth=1
	s_or_saveexec_b64 s[28:29], s[28:29]
	v_mov_b32_e32 v25, s38
	s_xor_b64 exec, exec, s[28:29]
	s_cbranch_execnz .LBB294_433
.LBB294_202:                            ;   in Loop: Header=BB294_13 Depth=1
	s_or_b64 exec, exec, s[28:29]
	s_and_saveexec_b64 s[28:29], s[26:27]
	s_cbranch_execz .LBB294_204
.LBB294_203:                            ;   in Loop: Header=BB294_13 Depth=1
	v_bfe_u32 v1, v50, 24, 3
	v_ffbh_u32_e32 v5, v1
	v_bfe_u32 v3, v50, 27, 4
	v_min_u32_e32 v5, 32, v5
	v_subrev_u32_e32 v6, 28, v5
	v_sub_u32_e32 v5, 29, v5
	v_cmp_eq_u32_e64 s[4:5], 0, v3
	v_lshlrev_b64 v[16:17], v6, v[8:9]
	v_and_b32_e32 v6, 7, v16
	v_cndmask_b32_e64 v3, v3, v5, s[4:5]
	v_lshlrev_b32_e32 v5, 8, v8
	v_lshl_add_u32 v3, v3, 10, v57
	v_cndmask_b32_e64 v1, v1, v6, s[4:5]
	v_and_or_b32 v3, v5, s37, v3
	v_lshl_or_b32 v1, v1, 7, v3
	v_cvt_f32_f16_e32 v25, v1
.LBB294_204:                            ;   in Loop: Header=BB294_13 Depth=1
	s_or_b64 exec, exec, s[28:29]
	flat_load_dword v50, v[38:39] offset:2560
	s_mov_b64 s[4:5], 0
                                        ; implicit-def: $sgpr30
	s_waitcnt vmcnt(0) lgkmcnt(0)
	v_cmp_gt_i16_sdwa s[26:27], v50, s35 src0_sel:BYTE_0 src1_sel:DWORD
	s_and_saveexec_b64 s[28:29], s[26:27]
	s_xor_b64 s[26:27], exec, s[28:29]
	s_cbranch_execnz .LBB294_434
; %bb.205:                              ;   in Loop: Header=BB294_13 Depth=1
	s_or_saveexec_b64 s[26:27], s[26:27]
	v_mov_b32_e32 v27, s30
	s_xor_b64 exec, exec, s[26:27]
	s_cbranch_execnz .LBB294_437
.LBB294_206:                            ;   in Loop: Header=BB294_13 Depth=1
	s_or_b64 exec, exec, s[26:27]
	s_and_saveexec_b64 s[26:27], s[4:5]
	s_cbranch_execz .LBB294_208
.LBB294_207:                            ;   in Loop: Header=BB294_13 Depth=1
	v_and_b32_e32 v1, 7, v50
	v_ffbh_u32_e32 v5, v1
	v_bfe_u32 v3, v50, 3, 4
	v_min_u32_e32 v5, 32, v5
	v_subrev_u32_e32 v6, 28, v5
	v_sub_u32_e32 v5, 29, v5
	v_cmp_eq_u32_e64 s[4:5], 0, v3
	v_lshlrev_b64 v[16:17], v6, v[50:51]
	v_and_b32_e32 v6, 7, v16
	v_cndmask_b32_e64 v3, v3, v5, s[4:5]
	v_lshlrev_b32_e32 v5, 8, v50
	v_lshl_add_u32 v3, v3, 10, v57
	v_cndmask_b32_e64 v1, v1, v6, s[4:5]
	v_and_or_b32 v3, v5, s37, v3
	v_lshl_or_b32 v1, v1, 7, v3
	v_cvt_f32_f16_e32 v27, v1
.LBB294_208:                            ;   in Loop: Header=BB294_13 Depth=1
	s_or_b64 exec, exec, s[26:27]
	v_lshrrev_b16_e32 v8, 8, v50
	v_cmp_lt_i16_e64 s[4:5], s35, v8
	s_mov_b64 s[26:27], 0
                                        ; implicit-def: $sgpr38
	s_and_saveexec_b64 s[28:29], s[4:5]
	s_xor_b64 s[28:29], exec, s[28:29]
	s_cbranch_execnz .LBB294_438
; %bb.209:                              ;   in Loop: Header=BB294_13 Depth=1
	s_or_saveexec_b64 s[28:29], s[28:29]
	v_mov_b32_e32 v26, s38
	s_xor_b64 exec, exec, s[28:29]
	s_cbranch_execnz .LBB294_441
.LBB294_210:                            ;   in Loop: Header=BB294_13 Depth=1
	s_or_b64 exec, exec, s[28:29]
	s_and_saveexec_b64 s[28:29], s[26:27]
	s_cbranch_execz .LBB294_212
.LBB294_211:                            ;   in Loop: Header=BB294_13 Depth=1
	v_and_b32_e32 v1, 7, v8
	v_ffbh_u32_e32 v5, v1
	v_bfe_u32 v3, v8, 3, 4
	v_min_u32_e32 v5, 32, v5
	v_subrev_u32_e32 v6, 28, v5
	v_sub_u32_e32 v5, 29, v5
	v_cmp_eq_u32_e64 s[4:5], 0, v3
	v_lshlrev_b64 v[16:17], v6, v[8:9]
	v_and_b32_e32 v6, 7, v16
	v_cndmask_b32_e64 v3, v3, v5, s[4:5]
	v_lshlrev_b32_e32 v5, 8, v8
	v_lshl_add_u32 v3, v3, 10, v57
	v_cndmask_b32_e64 v1, v1, v6, s[4:5]
	v_and_or_b32 v3, v5, s37, v3
	v_lshl_or_b32 v1, v1, 7, v3
	v_cvt_f32_f16_e32 v26, v1
.LBB294_212:                            ;   in Loop: Header=BB294_13 Depth=1
	s_or_b64 exec, exec, s[28:29]
	v_lshrrev_b32_e32 v8, 16, v50
	v_cmp_gt_i16_sdwa s[26:27], v8, s35 src0_sel:BYTE_0 src1_sel:DWORD
	s_mov_b64 s[4:5], 0
                                        ; implicit-def: $sgpr30
	s_and_saveexec_b64 s[28:29], s[26:27]
	s_xor_b64 s[26:27], exec, s[28:29]
	s_cbranch_execnz .LBB294_442
; %bb.213:                              ;   in Loop: Header=BB294_13 Depth=1
	s_or_saveexec_b64 s[26:27], s[26:27]
	v_mov_b32_e32 v40, s30
	s_xor_b64 exec, exec, s[26:27]
	s_cbranch_execnz .LBB294_445
.LBB294_214:                            ;   in Loop: Header=BB294_13 Depth=1
	s_or_b64 exec, exec, s[26:27]
	s_and_saveexec_b64 s[26:27], s[4:5]
	s_cbranch_execz .LBB294_216
.LBB294_215:                            ;   in Loop: Header=BB294_13 Depth=1
	v_bfe_u32 v1, v50, 16, 3
	v_ffbh_u32_e32 v5, v1
	v_bfe_u32 v3, v50, 19, 4
	v_min_u32_e32 v5, 32, v5
	v_subrev_u32_e32 v6, 28, v5
	v_sub_u32_e32 v5, 29, v5
	v_cmp_eq_u32_e64 s[4:5], 0, v3
	v_lshlrev_b64 v[16:17], v6, v[8:9]
	v_and_b32_e32 v6, 7, v16
	v_cndmask_b32_e64 v3, v3, v5, s[4:5]
	v_lshlrev_b32_e32 v5, 8, v8
	v_lshl_add_u32 v3, v3, 10, v57
	v_cndmask_b32_e64 v1, v1, v6, s[4:5]
	v_and_or_b32 v3, v5, s37, v3
	v_lshl_or_b32 v1, v1, 7, v3
	v_cvt_f32_f16_e32 v40, v1
.LBB294_216:                            ;   in Loop: Header=BB294_13 Depth=1
	s_or_b64 exec, exec, s[26:27]
	v_lshrrev_b32_e32 v8, 24, v50
	v_cmp_lt_i16_e64 s[4:5], s35, v8
	s_mov_b64 s[26:27], 0
                                        ; implicit-def: $sgpr38
	s_and_saveexec_b64 s[28:29], s[4:5]
	s_xor_b64 s[28:29], exec, s[28:29]
	s_cbranch_execnz .LBB294_446
; %bb.217:                              ;   in Loop: Header=BB294_13 Depth=1
	s_or_saveexec_b64 s[28:29], s[28:29]
	v_mov_b32_e32 v62, s38
	s_xor_b64 exec, exec, s[28:29]
	s_cbranch_execnz .LBB294_449
.LBB294_218:                            ;   in Loop: Header=BB294_13 Depth=1
	s_or_b64 exec, exec, s[28:29]
	s_and_saveexec_b64 s[28:29], s[26:27]
	s_cbranch_execz .LBB294_220
.LBB294_219:                            ;   in Loop: Header=BB294_13 Depth=1
	v_bfe_u32 v1, v50, 24, 3
	v_ffbh_u32_e32 v5, v1
	v_bfe_u32 v3, v50, 27, 4
	v_min_u32_e32 v5, 32, v5
	v_subrev_u32_e32 v6, 28, v5
	v_sub_u32_e32 v5, 29, v5
	v_cmp_eq_u32_e64 s[4:5], 0, v3
	v_lshlrev_b64 v[16:17], v6, v[8:9]
	v_and_b32_e32 v6, 7, v16
	v_cndmask_b32_e64 v3, v3, v5, s[4:5]
	v_lshlrev_b32_e32 v5, 8, v8
	v_lshl_add_u32 v3, v3, 10, v57
	v_cndmask_b32_e64 v1, v1, v6, s[4:5]
	v_and_or_b32 v3, v5, s37, v3
	v_lshl_or_b32 v1, v1, 7, v3
	v_cvt_f32_f16_e32 v62, v1
.LBB294_220:                            ;   in Loop: Header=BB294_13 Depth=1
	s_or_b64 exec, exec, s[28:29]
	flat_load_dword v50, v[38:39] offset:2568
	s_mov_b64 s[4:5], 0
                                        ; implicit-def: $sgpr30
	s_waitcnt vmcnt(0) lgkmcnt(0)
	v_cmp_gt_i16_sdwa s[26:27], v50, s35 src0_sel:BYTE_0 src1_sel:DWORD
	s_and_saveexec_b64 s[28:29], s[26:27]
	s_xor_b64 s[26:27], exec, s[28:29]
	s_cbranch_execnz .LBB294_450
; %bb.221:                              ;   in Loop: Header=BB294_13 Depth=1
	s_or_saveexec_b64 s[26:27], s[26:27]
	v_mov_b32_e32 v30, s30
	s_xor_b64 exec, exec, s[26:27]
	s_cbranch_execnz .LBB294_453
.LBB294_222:                            ;   in Loop: Header=BB294_13 Depth=1
	s_or_b64 exec, exec, s[26:27]
	s_and_saveexec_b64 s[26:27], s[4:5]
	s_cbranch_execz .LBB294_224
.LBB294_223:                            ;   in Loop: Header=BB294_13 Depth=1
	v_and_b32_e32 v1, 7, v50
	v_ffbh_u32_e32 v5, v1
	v_bfe_u32 v3, v50, 3, 4
	v_min_u32_e32 v5, 32, v5
	v_subrev_u32_e32 v6, 28, v5
	v_sub_u32_e32 v5, 29, v5
	v_cmp_eq_u32_e64 s[4:5], 0, v3
	v_lshlrev_b64 v[16:17], v6, v[50:51]
	v_and_b32_e32 v6, 7, v16
	v_cndmask_b32_e64 v3, v3, v5, s[4:5]
	v_lshlrev_b32_e32 v5, 8, v50
	v_lshl_add_u32 v3, v3, 10, v57
	v_cndmask_b32_e64 v1, v1, v6, s[4:5]
	v_and_or_b32 v3, v5, s37, v3
	v_lshl_or_b32 v1, v1, 7, v3
	v_cvt_f32_f16_e32 v30, v1
.LBB294_224:                            ;   in Loop: Header=BB294_13 Depth=1
	s_or_b64 exec, exec, s[26:27]
	v_lshrrev_b16_e32 v8, 8, v50
	v_cmp_lt_i16_e64 s[4:5], s35, v8
	s_mov_b64 s[26:27], 0
                                        ; implicit-def: $sgpr38
	s_and_saveexec_b64 s[28:29], s[4:5]
	s_xor_b64 s[28:29], exec, s[28:29]
	s_cbranch_execnz .LBB294_454
; %bb.225:                              ;   in Loop: Header=BB294_13 Depth=1
	s_or_saveexec_b64 s[28:29], s[28:29]
	v_mov_b32_e32 v43, s38
	s_xor_b64 exec, exec, s[28:29]
	s_cbranch_execnz .LBB294_457
.LBB294_226:                            ;   in Loop: Header=BB294_13 Depth=1
	s_or_b64 exec, exec, s[28:29]
	s_and_saveexec_b64 s[28:29], s[26:27]
	s_cbranch_execz .LBB294_228
.LBB294_227:                            ;   in Loop: Header=BB294_13 Depth=1
	v_and_b32_e32 v1, 7, v8
	v_ffbh_u32_e32 v5, v1
	v_bfe_u32 v3, v8, 3, 4
	v_min_u32_e32 v5, 32, v5
	v_subrev_u32_e32 v6, 28, v5
	v_sub_u32_e32 v5, 29, v5
	v_cmp_eq_u32_e64 s[4:5], 0, v3
	v_lshlrev_b64 v[16:17], v6, v[8:9]
	v_and_b32_e32 v6, 7, v16
	v_cndmask_b32_e64 v3, v3, v5, s[4:5]
	v_lshlrev_b32_e32 v5, 8, v8
	v_lshl_add_u32 v3, v3, 10, v57
	v_cndmask_b32_e64 v1, v1, v6, s[4:5]
	v_and_or_b32 v3, v5, s37, v3
	v_lshl_or_b32 v1, v1, 7, v3
	v_cvt_f32_f16_e32 v43, v1
.LBB294_228:                            ;   in Loop: Header=BB294_13 Depth=1
	s_or_b64 exec, exec, s[28:29]
	v_lshrrev_b32_e32 v8, 16, v50
	v_cmp_gt_i16_sdwa s[26:27], v8, s35 src0_sel:BYTE_0 src1_sel:DWORD
	s_mov_b64 s[4:5], 0
                                        ; implicit-def: $sgpr30
	s_and_saveexec_b64 s[28:29], s[26:27]
	s_xor_b64 s[26:27], exec, s[28:29]
	s_cbranch_execnz .LBB294_458
; %bb.229:                              ;   in Loop: Header=BB294_13 Depth=1
	s_or_saveexec_b64 s[26:27], s[26:27]
	v_mov_b32_e32 v41, s30
	s_xor_b64 exec, exec, s[26:27]
	s_cbranch_execnz .LBB294_461
.LBB294_230:                            ;   in Loop: Header=BB294_13 Depth=1
	s_or_b64 exec, exec, s[26:27]
	s_and_saveexec_b64 s[26:27], s[4:5]
	s_cbranch_execz .LBB294_232
.LBB294_231:                            ;   in Loop: Header=BB294_13 Depth=1
	v_bfe_u32 v1, v50, 16, 3
	v_ffbh_u32_e32 v5, v1
	v_bfe_u32 v3, v50, 19, 4
	v_min_u32_e32 v5, 32, v5
	v_subrev_u32_e32 v6, 28, v5
	v_sub_u32_e32 v5, 29, v5
	v_cmp_eq_u32_e64 s[4:5], 0, v3
	v_lshlrev_b64 v[16:17], v6, v[8:9]
	v_and_b32_e32 v6, 7, v16
	v_cndmask_b32_e64 v3, v3, v5, s[4:5]
	v_lshlrev_b32_e32 v5, 8, v8
	v_lshl_add_u32 v3, v3, 10, v57
	v_cndmask_b32_e64 v1, v1, v6, s[4:5]
	v_and_or_b32 v3, v5, s37, v3
	v_lshl_or_b32 v1, v1, 7, v3
	v_cvt_f32_f16_e32 v41, v1
.LBB294_232:                            ;   in Loop: Header=BB294_13 Depth=1
	s_or_b64 exec, exec, s[26:27]
	v_lshrrev_b32_e32 v8, 24, v50
	v_cmp_lt_i16_e64 s[4:5], s35, v8
	s_mov_b64 s[26:27], 0
                                        ; implicit-def: $sgpr38
	s_and_saveexec_b64 s[28:29], s[4:5]
	s_xor_b64 s[28:29], exec, s[28:29]
	s_cbranch_execnz .LBB294_462
; %bb.233:                              ;   in Loop: Header=BB294_13 Depth=1
	s_or_saveexec_b64 s[28:29], s[28:29]
	v_mov_b32_e32 v48, s38
	s_xor_b64 exec, exec, s[28:29]
	s_cbranch_execnz .LBB294_465
.LBB294_234:                            ;   in Loop: Header=BB294_13 Depth=1
	s_or_b64 exec, exec, s[28:29]
	s_and_saveexec_b64 s[28:29], s[26:27]
	s_cbranch_execz .LBB294_236
.LBB294_235:                            ;   in Loop: Header=BB294_13 Depth=1
	v_bfe_u32 v1, v50, 24, 3
	v_ffbh_u32_e32 v5, v1
	v_bfe_u32 v3, v50, 27, 4
	v_min_u32_e32 v5, 32, v5
	v_subrev_u32_e32 v6, 28, v5
	v_sub_u32_e32 v5, 29, v5
	v_cmp_eq_u32_e64 s[4:5], 0, v3
	v_lshlrev_b64 v[16:17], v6, v[8:9]
	v_and_b32_e32 v6, 7, v16
	v_cndmask_b32_e64 v3, v3, v5, s[4:5]
	v_lshlrev_b32_e32 v5, 8, v8
	v_lshl_add_u32 v3, v3, 10, v57
	v_cndmask_b32_e64 v1, v1, v6, s[4:5]
	v_and_or_b32 v3, v5, s37, v3
	v_lshl_or_b32 v1, v1, 7, v3
	v_cvt_f32_f16_e32 v48, v1
.LBB294_236:                            ;   in Loop: Header=BB294_13 Depth=1
	s_or_b64 exec, exec, s[28:29]
	flat_load_dword v50, v[38:39] offset:3072
	s_mov_b64 s[4:5], 0
                                        ; implicit-def: $sgpr30
	s_waitcnt vmcnt(0) lgkmcnt(0)
	v_cmp_gt_i16_sdwa s[26:27], v50, s35 src0_sel:BYTE_0 src1_sel:DWORD
	s_and_saveexec_b64 s[28:29], s[26:27]
	s_xor_b64 s[26:27], exec, s[28:29]
	s_cbranch_execnz .LBB294_466
; %bb.237:                              ;   in Loop: Header=BB294_13 Depth=1
	s_or_saveexec_b64 s[26:27], s[26:27]
	v_mov_b32_e32 v56, s30
	s_xor_b64 exec, exec, s[26:27]
	s_cbranch_execnz .LBB294_469
.LBB294_238:                            ;   in Loop: Header=BB294_13 Depth=1
	s_or_b64 exec, exec, s[26:27]
	s_and_saveexec_b64 s[26:27], s[4:5]
	s_cbranch_execz .LBB294_240
.LBB294_239:                            ;   in Loop: Header=BB294_13 Depth=1
	v_and_b32_e32 v1, 7, v50
	v_ffbh_u32_e32 v5, v1
	v_bfe_u32 v3, v50, 3, 4
	v_min_u32_e32 v5, 32, v5
	v_subrev_u32_e32 v6, 28, v5
	v_sub_u32_e32 v5, 29, v5
	v_cmp_eq_u32_e64 s[4:5], 0, v3
	v_lshlrev_b64 v[16:17], v6, v[50:51]
	v_and_b32_e32 v6, 7, v16
	v_cndmask_b32_e64 v3, v3, v5, s[4:5]
	v_lshlrev_b32_e32 v5, 8, v50
	v_lshl_add_u32 v3, v3, 10, v57
	v_cndmask_b32_e64 v1, v1, v6, s[4:5]
	v_and_or_b32 v3, v5, s37, v3
	v_lshl_or_b32 v1, v1, 7, v3
	v_cvt_f32_f16_e32 v56, v1
.LBB294_240:                            ;   in Loop: Header=BB294_13 Depth=1
	s_or_b64 exec, exec, s[26:27]
	v_lshrrev_b16_e32 v8, 8, v50
	v_cmp_lt_i16_e64 s[4:5], s35, v8
	s_mov_b64 s[26:27], 0
                                        ; implicit-def: $sgpr38
	s_and_saveexec_b64 s[28:29], s[4:5]
	s_xor_b64 s[28:29], exec, s[28:29]
	s_cbranch_execnz .LBB294_470
; %bb.241:                              ;   in Loop: Header=BB294_13 Depth=1
	s_or_saveexec_b64 s[28:29], s[28:29]
	v_mov_b32_e32 v5, s38
	s_xor_b64 exec, exec, s[28:29]
	s_cbranch_execnz .LBB294_473
.LBB294_242:                            ;   in Loop: Header=BB294_13 Depth=1
	s_or_b64 exec, exec, s[28:29]
	s_and_saveexec_b64 s[28:29], s[26:27]
	s_cbranch_execz .LBB294_244
.LBB294_243:                            ;   in Loop: Header=BB294_13 Depth=1
	v_and_b32_e32 v1, 7, v8
	v_ffbh_u32_e32 v5, v1
	v_bfe_u32 v3, v8, 3, 4
	v_min_u32_e32 v5, 32, v5
	v_subrev_u32_e32 v6, 28, v5
	v_sub_u32_e32 v5, 29, v5
	v_cmp_eq_u32_e64 s[4:5], 0, v3
	v_lshlrev_b64 v[16:17], v6, v[8:9]
	v_and_b32_e32 v6, 7, v16
	v_cndmask_b32_e64 v3, v3, v5, s[4:5]
	v_lshlrev_b32_e32 v5, 8, v8
	v_lshl_add_u32 v3, v3, 10, v57
	v_cndmask_b32_e64 v1, v1, v6, s[4:5]
	v_and_or_b32 v3, v5, s37, v3
	v_lshl_or_b32 v1, v1, 7, v3
	v_cvt_f32_f16_e32 v5, v1
.LBB294_244:                            ;   in Loop: Header=BB294_13 Depth=1
	s_or_b64 exec, exec, s[28:29]
	v_lshrrev_b32_e32 v8, 16, v50
	v_cmp_gt_i16_sdwa s[26:27], v8, s35 src0_sel:BYTE_0 src1_sel:DWORD
	s_mov_b64 s[4:5], 0
                                        ; implicit-def: $sgpr30
	s_and_saveexec_b64 s[28:29], s[26:27]
	s_xor_b64 s[26:27], exec, s[28:29]
	s_cbranch_execnz .LBB294_474
; %bb.245:                              ;   in Loop: Header=BB294_13 Depth=1
	s_or_saveexec_b64 s[26:27], s[26:27]
	v_mov_b32_e32 v28, s30
	s_xor_b64 exec, exec, s[26:27]
	s_cbranch_execnz .LBB294_477
.LBB294_246:                            ;   in Loop: Header=BB294_13 Depth=1
	s_or_b64 exec, exec, s[26:27]
	s_and_saveexec_b64 s[26:27], s[4:5]
	s_cbranch_execz .LBB294_248
.LBB294_247:                            ;   in Loop: Header=BB294_13 Depth=1
	v_bfe_u32 v1, v50, 16, 3
	v_ffbh_u32_e32 v6, v1
	v_bfe_u32 v3, v50, 19, 4
	v_min_u32_e32 v6, 32, v6
	v_subrev_u32_e32 v13, 28, v6
	v_sub_u32_e32 v6, 29, v6
	v_cmp_eq_u32_e64 s[4:5], 0, v3
	v_lshlrev_b64 v[16:17], v13, v[8:9]
	v_and_b32_e32 v13, 7, v16
	v_cndmask_b32_e64 v3, v3, v6, s[4:5]
	v_lshlrev_b32_e32 v6, 8, v8
	v_lshl_add_u32 v3, v3, 10, v57
	v_cndmask_b32_e64 v1, v1, v13, s[4:5]
	v_and_or_b32 v3, v6, s37, v3
	v_lshl_or_b32 v1, v1, 7, v3
	v_cvt_f32_f16_e32 v28, v1
.LBB294_248:                            ;   in Loop: Header=BB294_13 Depth=1
	s_or_b64 exec, exec, s[26:27]
	v_lshrrev_b32_e32 v8, 24, v50
	v_cmp_lt_i16_e64 s[4:5], s35, v8
	s_mov_b64 s[26:27], 0
                                        ; implicit-def: $sgpr38
	s_and_saveexec_b64 s[28:29], s[4:5]
	s_xor_b64 s[28:29], exec, s[28:29]
	s_cbranch_execnz .LBB294_478
; %bb.249:                              ;   in Loop: Header=BB294_13 Depth=1
	s_or_saveexec_b64 s[28:29], s[28:29]
	v_mov_b32_e32 v29, s38
	s_xor_b64 exec, exec, s[28:29]
	s_cbranch_execnz .LBB294_481
.LBB294_250:                            ;   in Loop: Header=BB294_13 Depth=1
	s_or_b64 exec, exec, s[28:29]
	s_and_saveexec_b64 s[28:29], s[26:27]
	s_cbranch_execz .LBB294_252
.LBB294_251:                            ;   in Loop: Header=BB294_13 Depth=1
	v_bfe_u32 v1, v50, 24, 3
	v_ffbh_u32_e32 v6, v1
	v_bfe_u32 v3, v50, 27, 4
	v_min_u32_e32 v6, 32, v6
	v_subrev_u32_e32 v13, 28, v6
	v_sub_u32_e32 v6, 29, v6
	v_cmp_eq_u32_e64 s[4:5], 0, v3
	v_lshlrev_b64 v[16:17], v13, v[8:9]
	v_and_b32_e32 v13, 7, v16
	v_cndmask_b32_e64 v3, v3, v6, s[4:5]
	v_lshlrev_b32_e32 v6, 8, v8
	v_lshl_add_u32 v3, v3, 10, v57
	v_cndmask_b32_e64 v1, v1, v13, s[4:5]
	v_and_or_b32 v3, v6, s37, v3
	v_lshl_or_b32 v1, v1, 7, v3
	v_cvt_f32_f16_e32 v29, v1
.LBB294_252:                            ;   in Loop: Header=BB294_13 Depth=1
	s_or_b64 exec, exec, s[28:29]
	flat_load_dword v50, v[38:39] offset:3080
	s_mov_b64 s[4:5], 0
                                        ; implicit-def: $sgpr30
	s_waitcnt vmcnt(0) lgkmcnt(0)
	v_cmp_gt_i16_sdwa s[26:27], v50, s35 src0_sel:BYTE_0 src1_sel:DWORD
	s_and_saveexec_b64 s[28:29], s[26:27]
	s_xor_b64 s[26:27], exec, s[28:29]
	s_cbranch_execnz .LBB294_482
; %bb.253:                              ;   in Loop: Header=BB294_13 Depth=1
	s_or_saveexec_b64 s[26:27], s[26:27]
	v_mov_b32_e32 v17, s30
	s_xor_b64 exec, exec, s[26:27]
	s_cbranch_execnz .LBB294_485
.LBB294_254:                            ;   in Loop: Header=BB294_13 Depth=1
	s_or_b64 exec, exec, s[26:27]
	s_and_saveexec_b64 s[26:27], s[4:5]
	s_cbranch_execz .LBB294_256
.LBB294_255:                            ;   in Loop: Header=BB294_13 Depth=1
	v_and_b32_e32 v1, 7, v50
	v_ffbh_u32_e32 v6, v1
	v_bfe_u32 v3, v50, 3, 4
	v_min_u32_e32 v6, 32, v6
	v_subrev_u32_e32 v8, 28, v6
	v_sub_u32_e32 v6, 29, v6
	v_cmp_eq_u32_e64 s[4:5], 0, v3
	v_lshlrev_b64 v[16:17], v8, v[50:51]
	v_and_b32_e32 v8, 7, v16
	v_cndmask_b32_e64 v3, v3, v6, s[4:5]
	v_lshlrev_b32_e32 v6, 8, v50
	v_lshl_add_u32 v3, v3, 10, v57
	v_cndmask_b32_e64 v1, v1, v8, s[4:5]
	v_and_or_b32 v3, v6, s37, v3
	v_lshl_or_b32 v1, v1, 7, v3
	v_cvt_f32_f16_e32 v17, v1
.LBB294_256:                            ;   in Loop: Header=BB294_13 Depth=1
	s_or_b64 exec, exec, s[26:27]
	v_lshrrev_b16_e32 v8, 8, v50
	v_cmp_lt_i16_e64 s[4:5], s35, v8
	s_mov_b64 s[26:27], 0
                                        ; implicit-def: $sgpr38
	s_and_saveexec_b64 s[28:29], s[4:5]
	s_xor_b64 s[28:29], exec, s[28:29]
	s_cbranch_execnz .LBB294_486
; %bb.257:                              ;   in Loop: Header=BB294_13 Depth=1
	s_or_saveexec_b64 s[28:29], s[28:29]
	v_mov_b32_e32 v20, s38
	s_xor_b64 exec, exec, s[28:29]
	s_cbranch_execnz .LBB294_489
.LBB294_258:                            ;   in Loop: Header=BB294_13 Depth=1
	s_or_b64 exec, exec, s[28:29]
	s_and_saveexec_b64 s[28:29], s[26:27]
	s_cbranch_execz .LBB294_260
.LBB294_259:                            ;   in Loop: Header=BB294_13 Depth=1
	v_and_b32_e32 v1, 7, v8
	v_ffbh_u32_e32 v6, v1
	v_bfe_u32 v3, v8, 3, 4
	v_min_u32_e32 v6, 32, v6
	v_subrev_u32_e32 v13, 28, v6
	v_sub_u32_e32 v6, 29, v6
	v_cmp_eq_u32_e64 s[4:5], 0, v3
	v_lshlrev_b64 v[20:21], v13, v[8:9]
	v_and_b32_e32 v13, 7, v20
	v_cndmask_b32_e64 v3, v3, v6, s[4:5]
	v_lshlrev_b32_e32 v6, 8, v8
	v_lshl_add_u32 v3, v3, 10, v57
	v_cndmask_b32_e64 v1, v1, v13, s[4:5]
	v_and_or_b32 v3, v6, s37, v3
	v_lshl_or_b32 v1, v1, 7, v3
	v_cvt_f32_f16_e32 v20, v1
.LBB294_260:                            ;   in Loop: Header=BB294_13 Depth=1
	s_or_b64 exec, exec, s[28:29]
	v_lshrrev_b32_e32 v8, 16, v50
	v_cmp_gt_i16_sdwa s[26:27], v8, s35 src0_sel:BYTE_0 src1_sel:DWORD
	s_mov_b64 s[4:5], 0
                                        ; implicit-def: $sgpr30
	s_and_saveexec_b64 s[28:29], s[26:27]
	s_xor_b64 s[26:27], exec, s[28:29]
	s_cbranch_execnz .LBB294_490
; %bb.261:                              ;   in Loop: Header=BB294_13 Depth=1
	s_or_saveexec_b64 s[26:27], s[26:27]
	v_mov_b32_e32 v21, s30
	s_xor_b64 exec, exec, s[26:27]
	s_cbranch_execnz .LBB294_493
.LBB294_262:                            ;   in Loop: Header=BB294_13 Depth=1
	s_or_b64 exec, exec, s[26:27]
	s_and_saveexec_b64 s[26:27], s[4:5]
	s_cbranch_execz .LBB294_264
.LBB294_263:                            ;   in Loop: Header=BB294_13 Depth=1
	v_bfe_u32 v1, v50, 16, 3
	v_ffbh_u32_e32 v6, v1
	v_bfe_u32 v3, v50, 19, 4
	v_min_u32_e32 v6, 32, v6
	v_subrev_u32_e32 v13, 28, v6
	v_sub_u32_e32 v6, 29, v6
	v_cmp_eq_u32_e64 s[4:5], 0, v3
	v_lshlrev_b64 v[36:37], v13, v[8:9]
	v_and_b32_e32 v13, 7, v36
	v_cndmask_b32_e64 v3, v3, v6, s[4:5]
	v_lshlrev_b32_e32 v6, 8, v8
	v_lshl_add_u32 v3, v3, 10, v57
	v_cndmask_b32_e64 v1, v1, v13, s[4:5]
	v_and_or_b32 v3, v6, s37, v3
	v_lshl_or_b32 v1, v1, 7, v3
	v_cvt_f32_f16_e32 v21, v1
.LBB294_264:                            ;   in Loop: Header=BB294_13 Depth=1
	s_or_b64 exec, exec, s[26:27]
	v_lshrrev_b32_e32 v8, 24, v50
	v_cmp_lt_i16_e64 s[4:5], s35, v8
	s_mov_b64 s[26:27], 0
                                        ; implicit-def: $sgpr38
	s_and_saveexec_b64 s[28:29], s[4:5]
	s_xor_b64 s[28:29], exec, s[28:29]
	s_cbranch_execnz .LBB294_494
; %bb.265:                              ;   in Loop: Header=BB294_13 Depth=1
	s_or_saveexec_b64 s[28:29], s[28:29]
	v_mov_b32_e32 v13, s38
	s_xor_b64 exec, exec, s[28:29]
	s_cbranch_execnz .LBB294_497
.LBB294_266:                            ;   in Loop: Header=BB294_13 Depth=1
	s_or_b64 exec, exec, s[28:29]
	s_and_saveexec_b64 s[28:29], s[26:27]
	s_cbranch_execz .LBB294_268
.LBB294_267:                            ;   in Loop: Header=BB294_13 Depth=1
	v_bfe_u32 v1, v50, 24, 3
	v_ffbh_u32_e32 v6, v1
	v_bfe_u32 v3, v50, 27, 4
	v_min_u32_e32 v6, 32, v6
	v_subrev_u32_e32 v13, 28, v6
	v_sub_u32_e32 v6, 29, v6
	v_cmp_eq_u32_e64 s[4:5], 0, v3
	v_lshlrev_b64 v[36:37], v13, v[8:9]
	v_and_b32_e32 v13, 7, v36
	v_cndmask_b32_e64 v3, v3, v6, s[4:5]
	v_lshlrev_b32_e32 v6, 8, v8
	v_lshl_add_u32 v3, v3, 10, v57
	v_cndmask_b32_e64 v1, v1, v13, s[4:5]
	v_and_or_b32 v3, v6, s37, v3
	v_lshl_or_b32 v1, v1, 7, v3
	v_cvt_f32_f16_e32 v13, v1
.LBB294_268:                            ;   in Loop: Header=BB294_13 Depth=1
	s_or_b64 exec, exec, s[28:29]
	flat_load_dword v50, v[38:39] offset:3584
	s_mov_b64 s[4:5], 0
                                        ; implicit-def: $sgpr30
	s_waitcnt vmcnt(0) lgkmcnt(0)
	v_cmp_gt_i16_sdwa s[26:27], v50, s35 src0_sel:BYTE_0 src1_sel:DWORD
	s_and_saveexec_b64 s[28:29], s[26:27]
	s_xor_b64 s[26:27], exec, s[28:29]
	s_cbranch_execnz .LBB294_498
; %bb.269:                              ;   in Loop: Header=BB294_13 Depth=1
	s_or_saveexec_b64 s[26:27], s[26:27]
	v_mov_b32_e32 v16, s30
	s_xor_b64 exec, exec, s[26:27]
	s_cbranch_execnz .LBB294_501
.LBB294_270:                            ;   in Loop: Header=BB294_13 Depth=1
	s_or_b64 exec, exec, s[26:27]
	s_and_saveexec_b64 s[26:27], s[4:5]
	s_cbranch_execz .LBB294_272
.LBB294_271:                            ;   in Loop: Header=BB294_13 Depth=1
	v_and_b32_e32 v1, 7, v50
	v_ffbh_u32_e32 v6, v1
	v_bfe_u32 v3, v50, 3, 4
	v_min_u32_e32 v6, 32, v6
	v_subrev_u32_e32 v8, 28, v6
	v_sub_u32_e32 v6, 29, v6
	v_cmp_eq_u32_e64 s[4:5], 0, v3
	v_lshlrev_b64 v[36:37], v8, v[50:51]
	v_and_b32_e32 v8, 7, v36
	v_cndmask_b32_e64 v3, v3, v6, s[4:5]
	v_lshlrev_b32_e32 v6, 8, v50
	v_lshl_add_u32 v3, v3, 10, v57
	v_cndmask_b32_e64 v1, v1, v8, s[4:5]
	v_and_or_b32 v3, v6, s37, v3
	v_lshl_or_b32 v1, v1, 7, v3
	v_cvt_f32_f16_e32 v16, v1
.LBB294_272:                            ;   in Loop: Header=BB294_13 Depth=1
	s_or_b64 exec, exec, s[26:27]
	v_lshrrev_b16_e32 v8, 8, v50
	v_cmp_lt_i16_e64 s[4:5], s35, v8
	s_mov_b64 s[26:27], 0
                                        ; implicit-def: $sgpr38
	s_and_saveexec_b64 s[28:29], s[4:5]
	s_xor_b64 s[28:29], exec, s[28:29]
	s_cbranch_execnz .LBB294_502
; %bb.273:                              ;   in Loop: Header=BB294_13 Depth=1
	s_or_saveexec_b64 s[28:29], s[28:29]
	v_mov_b32_e32 v18, s38
	s_xor_b64 exec, exec, s[28:29]
	s_cbranch_execnz .LBB294_505
.LBB294_274:                            ;   in Loop: Header=BB294_13 Depth=1
	s_or_b64 exec, exec, s[28:29]
	s_and_saveexec_b64 s[28:29], s[26:27]
	s_cbranch_execz .LBB294_276
.LBB294_275:                            ;   in Loop: Header=BB294_13 Depth=1
	v_and_b32_e32 v1, 7, v8
	v_ffbh_u32_e32 v6, v1
	v_bfe_u32 v3, v8, 3, 4
	v_min_u32_e32 v6, 32, v6
	v_subrev_u32_e32 v18, 28, v6
	v_sub_u32_e32 v6, 29, v6
	v_cmp_eq_u32_e64 s[4:5], 0, v3
	v_lshlrev_b64 v[36:37], v18, v[8:9]
	v_and_b32_e32 v18, 7, v36
	v_cndmask_b32_e64 v3, v3, v6, s[4:5]
	v_lshlrev_b32_e32 v6, 8, v8
	v_lshl_add_u32 v3, v3, 10, v57
	v_cndmask_b32_e64 v1, v1, v18, s[4:5]
	v_and_or_b32 v3, v6, s37, v3
	v_lshl_or_b32 v1, v1, 7, v3
	v_cvt_f32_f16_e32 v18, v1
.LBB294_276:                            ;   in Loop: Header=BB294_13 Depth=1
	s_or_b64 exec, exec, s[28:29]
	v_lshrrev_b32_e32 v8, 16, v50
	v_cmp_gt_i16_sdwa s[26:27], v8, s35 src0_sel:BYTE_0 src1_sel:DWORD
	s_mov_b64 s[4:5], 0
                                        ; implicit-def: $sgpr30
	s_and_saveexec_b64 s[28:29], s[26:27]
	s_xor_b64 s[26:27], exec, s[28:29]
	s_cbranch_execnz .LBB294_506
; %bb.277:                              ;   in Loop: Header=BB294_13 Depth=1
	s_or_saveexec_b64 s[26:27], s[26:27]
	v_mov_b32_e32 v1, s30
	s_xor_b64 exec, exec, s[26:27]
	s_cbranch_execnz .LBB294_509
.LBB294_278:                            ;   in Loop: Header=BB294_13 Depth=1
	s_or_b64 exec, exec, s[26:27]
	s_and_saveexec_b64 s[26:27], s[4:5]
	s_cbranch_execz .LBB294_280
.LBB294_279:                            ;   in Loop: Header=BB294_13 Depth=1
	v_bfe_u32 v1, v50, 16, 3
	v_ffbh_u32_e32 v6, v1
	v_bfe_u32 v3, v50, 19, 4
	v_min_u32_e32 v6, 32, v6
	v_subrev_u32_e32 v24, 28, v6
	v_sub_u32_e32 v6, 29, v6
	v_cmp_eq_u32_e64 s[4:5], 0, v3
	v_lshlrev_b64 v[36:37], v24, v[8:9]
	v_and_b32_e32 v24, 7, v36
	v_cndmask_b32_e64 v3, v3, v6, s[4:5]
	v_lshlrev_b32_e32 v6, 8, v8
	v_lshl_add_u32 v3, v3, 10, v57
	v_cndmask_b32_e64 v1, v1, v24, s[4:5]
	v_and_or_b32 v3, v6, s37, v3
	v_lshl_or_b32 v1, v1, 7, v3
	v_cvt_f32_f16_e32 v1, v1
.LBB294_280:                            ;   in Loop: Header=BB294_13 Depth=1
	s_or_b64 exec, exec, s[26:27]
	v_lshrrev_b32_e32 v8, 24, v50
	v_cmp_lt_i16_e64 s[4:5], s35, v8
	s_mov_b64 s[26:27], 0
                                        ; implicit-def: $sgpr38
	s_and_saveexec_b64 s[28:29], s[4:5]
	s_xor_b64 s[28:29], exec, s[28:29]
	s_cbranch_execnz .LBB294_510
; %bb.281:                              ;   in Loop: Header=BB294_13 Depth=1
	s_or_saveexec_b64 s[28:29], s[28:29]
	v_mov_b32_e32 v3, s38
	s_xor_b64 exec, exec, s[28:29]
	s_cbranch_execnz .LBB294_513
.LBB294_282:                            ;   in Loop: Header=BB294_13 Depth=1
	s_or_b64 exec, exec, s[28:29]
	s_and_saveexec_b64 s[28:29], s[26:27]
	s_cbranch_execz .LBB294_284
.LBB294_283:                            ;   in Loop: Header=BB294_13 Depth=1
	v_bfe_u32 v3, v50, 24, 3
	v_ffbh_u32_e32 v24, v3
	v_bfe_u32 v6, v50, 27, 4
	v_min_u32_e32 v24, 32, v24
	v_subrev_u32_e32 v36, 28, v24
	v_sub_u32_e32 v24, 29, v24
	v_cmp_eq_u32_e64 s[4:5], 0, v6
	v_lshlrev_b64 v[36:37], v36, v[8:9]
	v_and_b32_e32 v36, 7, v36
	v_cndmask_b32_e64 v6, v6, v24, s[4:5]
	v_lshlrev_b32_e32 v8, 8, v8
	v_lshl_add_u32 v6, v6, 10, v57
	v_cndmask_b32_e64 v3, v3, v36, s[4:5]
	v_and_or_b32 v6, v8, s37, v6
	v_lshl_or_b32 v3, v3, 7, v6
	v_cvt_f32_f16_e32 v3, v3
.LBB294_284:                            ;   in Loop: Header=BB294_13 Depth=1
	s_or_b64 exec, exec, s[28:29]
	flat_load_dword v38, v[38:39] offset:3592
	s_mov_b64 s[4:5], 0
                                        ; implicit-def: $sgpr30
	s_waitcnt vmcnt(0) lgkmcnt(0)
	v_cmp_gt_i16_sdwa s[26:27], v38, s35 src0_sel:BYTE_0 src1_sel:DWORD
	s_and_saveexec_b64 s[28:29], s[26:27]
	s_xor_b64 s[26:27], exec, s[28:29]
	s_cbranch_execnz .LBB294_514
; %bb.285:                              ;   in Loop: Header=BB294_13 Depth=1
	s_or_saveexec_b64 s[26:27], s[26:27]
	v_mov_b32_e32 v50, s30
	s_xor_b64 exec, exec, s[26:27]
	s_cbranch_execnz .LBB294_517
.LBB294_286:                            ;   in Loop: Header=BB294_13 Depth=1
	s_or_b64 exec, exec, s[26:27]
	s_and_saveexec_b64 s[26:27], s[4:5]
	s_cbranch_execz .LBB294_288
.LBB294_287:                            ;   in Loop: Header=BB294_13 Depth=1
	v_and_b32_e32 v6, 7, v38
	v_ffbh_u32_e32 v24, v6
	v_bfe_u32 v8, v38, 3, 4
	v_min_u32_e32 v24, 32, v24
	v_subrev_u32_e32 v36, 28, v24
	v_sub_u32_e32 v24, 29, v24
	v_cmp_eq_u32_e64 s[4:5], 0, v8
	v_lshlrev_b64 v[36:37], v36, v[38:39]
	v_and_b32_e32 v36, 7, v36
	v_cndmask_b32_e64 v8, v8, v24, s[4:5]
	v_lshlrev_b32_e32 v24, 8, v38
	v_lshl_add_u32 v8, v8, 10, v57
	v_cndmask_b32_e64 v6, v6, v36, s[4:5]
	v_and_or_b32 v8, v24, s37, v8
	v_lshl_or_b32 v6, v6, 7, v8
	v_cvt_f32_f16_e32 v50, v6
.LBB294_288:                            ;   in Loop: Header=BB294_13 Depth=1
	s_or_b64 exec, exec, s[26:27]
	v_lshrrev_b16_e32 v8, 8, v38
	v_cmp_lt_i16_e64 s[4:5], s35, v8
	s_mov_b64 s[26:27], 0
                                        ; implicit-def: $sgpr38
	s_and_saveexec_b64 s[28:29], s[4:5]
	s_xor_b64 s[28:29], exec, s[28:29]
	s_cbranch_execnz .LBB294_518
; %bb.289:                              ;   in Loop: Header=BB294_13 Depth=1
	s_or_saveexec_b64 s[28:29], s[28:29]
	v_mov_b32_e32 v6, s38
	s_xor_b64 exec, exec, s[28:29]
	s_cbranch_execnz .LBB294_521
.LBB294_290:                            ;   in Loop: Header=BB294_13 Depth=1
	s_or_b64 exec, exec, s[28:29]
	s_and_saveexec_b64 s[28:29], s[26:27]
	s_cbranch_execz .LBB294_292
.LBB294_291:                            ;   in Loop: Header=BB294_13 Depth=1
	v_and_b32_e32 v6, 7, v8
	v_ffbh_u32_e32 v36, v6
	v_min_u32_e32 v39, 32, v36
	v_subrev_u32_e32 v36, 28, v39
	v_bfe_u32 v24, v8, 3, 4
	v_lshlrev_b64 v[36:37], v36, v[8:9]
	v_sub_u32_e32 v37, 29, v39
	v_cmp_eq_u32_e64 s[4:5], 0, v24
	v_and_b32_e32 v36, 7, v36
	v_lshlrev_b32_e32 v8, 8, v8
	v_cndmask_b32_e64 v24, v24, v37, s[4:5]
	v_lshl_add_u32 v24, v24, 10, v57
	v_cndmask_b32_e64 v6, v6, v36, s[4:5]
	v_and_or_b32 v8, v8, s37, v24
	v_lshl_or_b32 v6, v6, 7, v8
	v_cvt_f32_f16_e32 v6, v6
.LBB294_292:                            ;   in Loop: Header=BB294_13 Depth=1
	s_or_b64 exec, exec, s[28:29]
	v_lshrrev_b32_e32 v8, 16, v38
	v_cmp_gt_i16_sdwa s[26:27], v8, s35 src0_sel:BYTE_0 src1_sel:DWORD
	s_mov_b64 s[4:5], 0
                                        ; implicit-def: $sgpr30
	s_and_saveexec_b64 s[28:29], s[26:27]
	s_xor_b64 s[26:27], exec, s[28:29]
	s_cbranch_execnz .LBB294_522
; %bb.293:                              ;   in Loop: Header=BB294_13 Depth=1
	s_or_saveexec_b64 s[26:27], s[26:27]
	v_mov_b32_e32 v24, s30
	s_xor_b64 exec, exec, s[26:27]
	s_cbranch_execnz .LBB294_525
.LBB294_294:                            ;   in Loop: Header=BB294_13 Depth=1
	s_or_b64 exec, exec, s[26:27]
	s_and_saveexec_b64 s[26:27], s[4:5]
	s_cbranch_execz .LBB294_296
.LBB294_295:                            ;   in Loop: Header=BB294_13 Depth=1
	v_bfe_u32 v24, v38, 16, 3
	v_ffbh_u32_e32 v36, v24
	v_mov_b32_e32 v55, v49
	v_min_u32_e32 v49, 32, v36
	v_subrev_u32_e32 v36, 28, v49
	v_bfe_u32 v39, v38, 19, 4
	v_lshlrev_b64 v[36:37], v36, v[8:9]
	v_sub_u32_e32 v37, 29, v49
	v_cmp_eq_u32_e64 s[4:5], 0, v39
	v_and_b32_e32 v36, 7, v36
	v_lshlrev_b32_e32 v8, 8, v8
	v_cndmask_b32_e64 v37, v39, v37, s[4:5]
	v_cndmask_b32_e64 v24, v24, v36, s[4:5]
	v_lshl_add_u32 v36, v37, 10, v57
	v_and_or_b32 v8, v8, s37, v36
	v_lshl_or_b32 v8, v24, 7, v8
	v_cvt_f32_f16_e32 v24, v8
	v_mov_b32_e32 v49, v55
.LBB294_296:                            ;   in Loop: Header=BB294_13 Depth=1
	s_or_b64 exec, exec, s[26:27]
	v_lshrrev_b32_e32 v8, 24, v38
	v_cmp_lt_i16_e64 s[4:5], s35, v8
	s_mov_b64 s[26:27], 0
                                        ; implicit-def: $sgpr38
	s_and_saveexec_b64 s[28:29], s[4:5]
	s_xor_b64 s[28:29], exec, s[28:29]
	s_cbranch_execnz .LBB294_526
; %bb.297:                              ;   in Loop: Header=BB294_13 Depth=1
	s_or_saveexec_b64 s[28:29], s[28:29]
	v_mov_b32_e32 v55, s38
	s_xor_b64 exec, exec, s[28:29]
	s_cbranch_execnz .LBB294_529
.LBB294_298:                            ;   in Loop: Header=BB294_13 Depth=1
	s_or_b64 exec, exec, s[28:29]
	v_accvgpr_write_b32 a50, v45
	s_and_saveexec_b64 s[28:29], s[26:27]
	s_cbranch_execz .LBB294_300
.LBB294_299:                            ;   in Loop: Header=BB294_13 Depth=1
	v_bfe_u32 v39, v38, 24, 3
	v_ffbh_u32_e32 v36, v39
	v_mov_b32_e32 v55, v49
	v_min_u32_e32 v49, 32, v36
	v_subrev_u32_e32 v36, 28, v49
	v_bfe_u32 v38, v38, 27, 4
	v_lshlrev_b64 v[36:37], v36, v[8:9]
	v_sub_u32_e32 v37, 29, v49
	v_cmp_eq_u32_e64 s[4:5], 0, v38
	v_and_b32_e32 v36, 7, v36
	v_lshlrev_b32_e32 v8, 8, v8
	v_cndmask_b32_e64 v37, v38, v37, s[4:5]
	v_lshl_add_u32 v37, v37, 10, v57
	v_cndmask_b32_e64 v36, v39, v36, s[4:5]
	v_and_or_b32 v8, v8, s37, v37
	v_lshl_or_b32 v8, v36, 7, v8
	v_mov_b32_e32 v49, v55
	v_cvt_f32_f16_e32 v55, v8
.LBB294_300:                            ;   in Loop: Header=BB294_13 Depth=1
	s_or_b64 exec, exec, s[28:29]
	v_fma_mixlo_f16 v8, v60, v18, 0
	v_fma_mixlo_f16 v1, v60, v1, 0
	;; [unrolled: 1-line block ×3, first 2 shown]
	v_accvgpr_read_b32 v0, a54
	v_accvgpr_write_b32 a57, v8
	v_fma_mixlo_f16 v8, v60, v16, 0
	v_accvgpr_write_b32 a56, v1
	v_fma_mixlo_f16 v1, v60, v3, 0
	v_fma_mixlo_f16 v16, v60, v0, 0
	v_accvgpr_read_b32 v0, a53
	v_accvgpr_write_b32 a55, v1
	v_fma_mixlo_f16 v1, v60, v20, 0
	v_fma_mixlo_f16 v20, v60, v40, 0
	;; [unrolled: 1-line block ×4, first 2 shown]
	scratch_load_dword v0, off, s32 offset:212 ; 4-byte Folded Reload
	v_accvgpr_write_b32 a61, v1
	v_fma_mixlo_f16 v1, v60, v17, 0
	v_accvgpr_write_b32 a62, v1
	v_fma_mixlo_f16 v1, v60, v21, 0
	;; [unrolled: 2-line block ×8, first 2 shown]
	v_fma_mixlo_f16 v41, v60, v26, 0
	v_fma_mixlo_f16 v29, v60, v27, 0
	;; [unrolled: 1-line block ×22, first 2 shown]
	v_accvgpr_read_b32 v58, a42
	v_accvgpr_write_b32 a32, v1
	v_accvgpr_write_b32 a58, v8
	v_fma_mixlo_f16 v56, v60, v43, 0
	v_fma_mixlo_f16 v48, v60, v48, 0
	;; [unrolled: 1-line block ×10, first 2 shown]
	v_and_b32_e32 v4, 0xffff, v4
	v_and_b32_e32 v3, 0xffff, v3
	;; [unrolled: 1-line block ×3, first 2 shown]
	s_waitcnt vmcnt(0)
	v_fma_mixlo_f16 v26, v60, v0, 0
	v_accvgpr_read_b32 v0, a52
	v_fma_mixlo_f16 v27, v60, v0, 0
	scratch_load_dword v0, off, s32 offset:216 ; 4-byte Folded Reload
	s_waitcnt vmcnt(0)
	v_fma_mixlo_f16 v39, v60, v0, 0
	scratch_load_dword v0, off, s32 offset:220 ; 4-byte Folded Reload
	s_waitcnt vmcnt(0)
	v_fma_mixlo_f16 v38, v60, v0, 0
	v_accvgpr_read_b32 v0, a49
	v_fma_mixlo_f16 v10, v60, v0, 0
	v_accvgpr_read_b32 v0, a50
	v_fma_mixlo_f16 v12, v60, v0, 0
	scratch_load_dword v0, off, s32 offset:208 ; 4-byte Folded Reload
	v_and_b32_e32 v10, 0xffff, v10
	s_waitcnt vmcnt(0)
	v_fma_mixlo_f16 v11, v60, v0, 0
	scratch_load_dword v0, off, s32 offset:196 ; 4-byte Folded Reload
	v_and_b32_e32 v11, 0xffff, v11
	s_waitcnt vmcnt(0)
	v_fma_mixlo_f16 v37, v60, v0, 0
	v_accvgpr_read_b32 v0, a51
	v_fma_mixlo_f16 v49, v60, v0, 0
	scratch_load_dword v0, off, s32 offset:200 ; 4-byte Folded Reload
	s_waitcnt vmcnt(0)
	v_fma_mixlo_f16 v31, v60, v0, 0
	scratch_load_dword v0, off, s32 offset:204 ; 4-byte Folded Reload
	s_waitcnt vmcnt(0)
	v_fma_mixlo_f16 v47, v60, v0, 0
	v_fma_mixlo_f16 v0, v60, v6, 0
	v_accvgpr_write_b32 a50, v0
	v_fma_mixlo_f16 v0, v60, v24, 0
	v_accvgpr_write_b32 a49, v0
	ds_read_b64 v[0:1], v58
	v_fma_mixlo_f16 v60, v60, v55, 0
	s_waitcnt lgkmcnt(0)
	v_lshrrev_b32_e32 v6, 16, v0
	v_and_b32_e32 v0, 0xffff, v0
	;;#ASMSTART
	v_cvt_f32_f16 v24, v0;
	;;#ASMEND
	v_and_b32_e32 v0, 0xffff, v49
	;;#ASMSTART
	v_cvt_f32_f16 v6, v6;
	;;#ASMEND
	;;#ASMSTART
	v_cvt_f32_f16 v49, v0;
	;;#ASMEND
	v_and_b32_e32 v0, 0xffff, v37
	;;#ASMSTART
	v_cvt_f32_f16 v37, v0;
	;;#ASMEND
	v_lshrrev_b32_e32 v0, 16, v1
	v_and_b32_e32 v1, 0xffff, v1
	;;#ASMSTART
	v_cvt_f32_f16 v55, v1;
	;;#ASMEND
	;;#ASMSTART
	v_cvt_f32_f16 v22, v0;
	;;#ASMEND
	v_and_b32_e32 v0, 0xffff, v31
	;;#ASMSTART
	v_cvt_f32_f16 v31, v0;
	;;#ASMEND
	v_and_b32_e32 v0, 0xffff, v47
	;;#ASMSTART
	v_cvt_f32_f16 v47, v0;
	;;#ASMEND
	ds_read_b64 v[0:1], v58 offset:8
	s_waitcnt lgkmcnt(0)
	v_lshrrev_b32_e32 v44, 16, v0
	v_and_b32_e32 v0, 0xffff, v0
	;;#ASMSTART
	v_cvt_f32_f16 v0, v0;
	;;#ASMEND
	;;#ASMSTART
	v_cvt_f32_f16 v44, v44;
	;;#ASMEND
	;; [unrolled: 3-line block ×4, first 2 shown]
	s_nop 0
	v_mul_f32_e32 v4, v0, v10
	v_mul_f32_e32 v10, v44, v61
	v_fmac_f32_e32 v10, v6, v37
	v_lshrrev_b32_e32 v0, 16, v1
	v_and_b32_e32 v1, 0xffff, v1
	v_and_b32_e32 v6, 0xffff, v12
	;;#ASMSTART
	v_cvt_f32_f16 v1, v1;
	;;#ASMEND
	;;#ASMSTART
	v_cvt_f32_f16 v0, v0;
	;;#ASMEND
	;; [unrolled: 3-line block ×4, first 2 shown]
	v_fmac_f32_e32 v4, v24, v49
	v_mul_f32_e32 v11, v1, v6
	v_mul_f32_e32 v12, v0, v12
	ds_read_b64 v[0:1], v58 offset:16
	v_fmac_f32_e32 v12, v22, v47
	v_and_b32_e32 v22, 0xffff, v27
	v_and_b32_e32 v24, 0xffff, v26
	v_fmac_f32_e32 v11, v55, v31
	s_waitcnt lgkmcnt(0)
	v_lshrrev_b32_e32 v6, 16, v0
	v_and_b32_e32 v0, 0xffff, v0
	;;#ASMSTART
	v_cvt_f32_f16 v0, v0;
	;;#ASMEND
	;;#ASMSTART
	v_cvt_f32_f16 v6, v6;
	;;#ASMEND
	;; [unrolled: 3-line block ×4, first 2 shown]
	s_nop 0
	v_fmac_f32_e32 v4, v0, v22
	v_fmac_f32_e32 v10, v6, v24
	v_lshrrev_b32_e32 v0, 16, v1
	v_and_b32_e32 v1, 0xffff, v1
	v_and_b32_e32 v6, 0xffff, v39
	;; [unrolled: 1-line block ×3, first 2 shown]
	;;#ASMSTART
	v_cvt_f32_f16 v1, v1;
	;;#ASMEND
	;;#ASMSTART
	v_cvt_f32_f16 v0, v0;
	;;#ASMEND
	;; [unrolled: 3-line block ×4, first 2 shown]
	ds_read_b64 v[38:39], v58 offset:24
	v_fmac_f32_e32 v11, v1, v6
	v_fmac_f32_e32 v12, v0, v22
	s_waitcnt lgkmcnt(0)
	v_lshrrev_b32_e32 v0, 16, v38
	v_and_b32_e32 v1, 0xffff, v38
	;;#ASMSTART
	v_cvt_f32_f16 v1, v1;
	;;#ASMEND
	;;#ASMSTART
	v_cvt_f32_f16 v6, v0;
	;;#ASMEND
	v_and_b32_e32 v0, 0xffff, v2
	;;#ASMSTART
	v_cvt_f32_f16 v0, v0;
	;;#ASMEND
	v_and_b32_e32 v2, 0xffff, v36
	;;#ASMSTART
	v_cvt_f32_f16 v2, v2;
	;;#ASMEND
	v_fmac_f32_e32 v4, v1, v0
	v_lshrrev_b32_e32 v0, 16, v39
	v_and_b32_e32 v1, 0xffff, v39
	v_fmac_f32_e32 v10, v6, v2
	;;#ASMSTART
	v_cvt_f32_f16 v1, v1;
	;;#ASMEND
	;;#ASMSTART
	v_cvt_f32_f16 v0, v0;
	;;#ASMEND
	v_and_b32_e32 v2, 0xffff, v42
	v_and_b32_e32 v6, 0xffff, v23
	;;#ASMSTART
	v_cvt_f32_f16 v2, v2;
	;;#ASMEND
	;;#ASMSTART
	v_cvt_f32_f16 v6, v6;
	;;#ASMEND
	s_nop 0
	v_fmac_f32_e32 v11, v1, v2
	v_fmac_f32_e32 v12, v0, v6
	ds_read_b64 v[0:1], v58 offset:32
	v_and_b32_e32 v6, 0xffff, v16
	v_and_b32_e32 v16, 0xffff, v43
	s_waitcnt lgkmcnt(0)
	v_lshrrev_b32_e32 v2, 16, v0
	v_and_b32_e32 v0, 0xffff, v0
	;;#ASMSTART
	v_cvt_f32_f16 v0, v0;
	;;#ASMEND
	;;#ASMSTART
	v_cvt_f32_f16 v2, v2;
	;;#ASMEND
	;; [unrolled: 3-line block ×4, first 2 shown]
	s_nop 0
	v_fmac_f32_e32 v4, v0, v6
	v_fmac_f32_e32 v10, v2, v16
	v_lshrrev_b32_e32 v0, 16, v1
	v_and_b32_e32 v1, 0xffff, v1
	v_and_b32_e32 v2, 0xffff, v19
	;; [unrolled: 1-line block ×3, first 2 shown]
	;;#ASMSTART
	v_cvt_f32_f16 v1, v1;
	;;#ASMEND
	;;#ASMSTART
	v_cvt_f32_f16 v0, v0;
	;;#ASMEND
	;; [unrolled: 3-line block ×4, first 2 shown]
	ds_read_b64 v[38:39], v58 offset:40
	v_fmac_f32_e32 v11, v1, v2
	v_fmac_f32_e32 v12, v0, v6
	v_and_b32_e32 v2, 0xffff, v13
	v_and_b32_e32 v6, 0xffff, v30
	s_waitcnt lgkmcnt(0)
	v_lshrrev_b32_e32 v0, 16, v38
	v_and_b32_e32 v1, 0xffff, v38
	;;#ASMSTART
	v_cvt_f32_f16 v1, v1;
	;;#ASMEND
	;;#ASMSTART
	v_cvt_f32_f16 v0, v0;
	;;#ASMEND
	;; [unrolled: 3-line block ×4, first 2 shown]
	v_and_b32_e32 v13, 0xffff, v51
	v_fmac_f32_e32 v4, v1, v2
	v_fmac_f32_e32 v10, v0, v6
	v_lshrrev_b32_e32 v0, 16, v39
	v_and_b32_e32 v1, 0xffff, v39
	;;#ASMSTART
	v_cvt_f32_f16 v1, v1;
	;;#ASMEND
	;;#ASMSTART
	v_cvt_f32_f16 v0, v0;
	;;#ASMEND
	v_and_b32_e32 v2, 0xffff, v40
	v_and_b32_e32 v6, 0xffff, v45
	;;#ASMSTART
	v_cvt_f32_f16 v2, v2;
	;;#ASMEND
	;;#ASMSTART
	v_cvt_f32_f16 v6, v6;
	;;#ASMEND
	s_nop 0
	v_fmac_f32_e32 v11, v1, v2
	v_fmac_f32_e32 v12, v0, v6
	ds_read_b64 v[0:1], v58 offset:48
	v_and_b32_e32 v6, 0xffff, v53
	s_waitcnt lgkmcnt(0)
	v_lshrrev_b32_e32 v2, 16, v0
	v_and_b32_e32 v0, 0xffff, v0
	;;#ASMSTART
	v_cvt_f32_f16 v0, v0;
	;;#ASMEND
	;;#ASMSTART
	v_cvt_f32_f16 v2, v2;
	;;#ASMEND
	;; [unrolled: 3-line block ×4, first 2 shown]
	s_nop 0
	v_fmac_f32_e32 v4, v0, v6
	v_lshrrev_b32_e32 v0, 16, v1
	v_and_b32_e32 v1, 0xffff, v1
	v_fmac_f32_e32 v10, v2, v13
	;;#ASMSTART
	v_cvt_f32_f16 v1, v1;
	;;#ASMEND
	;;#ASMSTART
	v_cvt_f32_f16 v0, v0;
	;;#ASMEND
	v_and_b32_e32 v2, 0xffff, v15
	v_and_b32_e32 v6, 0xffff, v14
	;;#ASMSTART
	v_cvt_f32_f16 v2, v2;
	;;#ASMEND
	;;#ASMSTART
	v_cvt_f32_f16 v6, v6;
	;;#ASMEND
	v_and_b32_e32 v13, 0xffff, v34
	v_fmac_f32_e32 v11, v1, v2
	v_fmac_f32_e32 v12, v0, v6
	ds_read_b64 v[0:1], v58 offset:56
	v_and_b32_e32 v6, 0xffff, v35
	s_waitcnt lgkmcnt(0)
	v_lshrrev_b32_e32 v2, 16, v0
	v_and_b32_e32 v0, 0xffff, v0
	;;#ASMSTART
	v_cvt_f32_f16 v0, v0;
	;;#ASMEND
	;;#ASMSTART
	v_cvt_f32_f16 v2, v2;
	;;#ASMEND
	;; [unrolled: 3-line block ×4, first 2 shown]
	s_nop 0
	v_fmac_f32_e32 v4, v0, v6
	v_lshrrev_b32_e32 v0, 16, v1
	v_and_b32_e32 v1, 0xffff, v1
	v_fmac_f32_e32 v10, v2, v13
	;;#ASMSTART
	v_cvt_f32_f16 v1, v1;
	;;#ASMEND
	;;#ASMSTART
	v_cvt_f32_f16 v0, v0;
	;;#ASMEND
	v_and_b32_e32 v2, 0xffff, v33
	v_and_b32_e32 v6, 0xffff, v32
	;;#ASMSTART
	v_cvt_f32_f16 v2, v2;
	;;#ASMEND
	;;#ASMSTART
	v_cvt_f32_f16 v6, v6;
	;;#ASMEND
	v_and_b32_e32 v13, 0xffff, v62
	v_fmac_f32_e32 v11, v1, v2
	v_fmac_f32_e32 v12, v0, v6
	ds_read_b64 v[0:1], v58 offset:64
	v_and_b32_e32 v6, 0xffff, v52
	s_waitcnt lgkmcnt(0)
	v_lshrrev_b32_e32 v2, 16, v0
	v_and_b32_e32 v0, 0xffff, v0
	;;#ASMSTART
	v_cvt_f32_f16 v0, v0;
	;;#ASMEND
	;;#ASMSTART
	v_cvt_f32_f16 v2, v2;
	;;#ASMEND
	;; [unrolled: 3-line block ×4, first 2 shown]
	s_nop 0
	v_fmac_f32_e32 v4, v0, v6
	v_lshrrev_b32_e32 v0, 16, v1
	v_and_b32_e32 v1, 0xffff, v1
	v_fmac_f32_e32 v10, v2, v13
	;;#ASMSTART
	v_cvt_f32_f16 v1, v1;
	;;#ASMEND
	;;#ASMSTART
	v_cvt_f32_f16 v0, v0;
	;;#ASMEND
	v_and_b32_e32 v2, 0xffff, v25
	v_and_b32_e32 v6, 0xffff, v7
	;;#ASMSTART
	v_cvt_f32_f16 v2, v2;
	;;#ASMEND
	;;#ASMSTART
	v_cvt_f32_f16 v6, v6;
	;;#ASMEND
	s_nop 0
	v_fmac_f32_e32 v11, v1, v2
	v_fmac_f32_e32 v12, v0, v6
	ds_read_b64 v[0:1], v58 offset:72
	s_waitcnt lgkmcnt(0)
	v_lshrrev_b32_e32 v2, 16, v0
	v_and_b32_e32 v0, 0xffff, v0
	;;#ASMSTART
	v_cvt_f32_f16 v0, v0;
	;;#ASMEND
	;;#ASMSTART
	v_cvt_f32_f16 v2, v2;
	;;#ASMEND
	;;#ASMSTART
	v_cvt_f32_f16 v3, v3;
	;;#ASMEND
	;;#ASMSTART
	v_cvt_f32_f16 v5, v5;
	;;#ASMEND
	s_nop 0
	v_fmac_f32_e32 v4, v0, v3
	v_lshrrev_b32_e32 v0, 16, v1
	v_and_b32_e32 v1, 0xffff, v1
	v_fmac_f32_e32 v10, v2, v5
	;;#ASMSTART
	v_cvt_f32_f16 v1, v1;
	;;#ASMEND
	;;#ASMSTART
	v_cvt_f32_f16 v0, v0;
	;;#ASMEND
	v_and_b32_e32 v2, 0xffff, v8
	v_and_b32_e32 v3, 0xffff, v17
	;;#ASMSTART
	v_cvt_f32_f16 v2, v2;
	;;#ASMEND
	;;#ASMSTART
	v_cvt_f32_f16 v3, v3;
	;;#ASMEND
	v_and_b32_e32 v5, 0xffff, v41
	v_fmac_f32_e32 v11, v1, v2
	v_fmac_f32_e32 v12, v0, v3
	ds_read_b64 v[0:1], v58 offset:80
	v_and_b32_e32 v3, 0xffff, v29
	s_waitcnt lgkmcnt(0)
	v_lshrrev_b32_e32 v2, 16, v0
	v_and_b32_e32 v0, 0xffff, v0
	;;#ASMSTART
	v_cvt_f32_f16 v0, v0;
	;;#ASMEND
	;;#ASMSTART
	v_cvt_f32_f16 v2, v2;
	;;#ASMEND
	;; [unrolled: 3-line block ×4, first 2 shown]
	s_nop 0
	v_fmac_f32_e32 v4, v0, v3
	v_lshrrev_b32_e32 v0, 16, v1
	v_and_b32_e32 v1, 0xffff, v1
	v_fmac_f32_e32 v10, v2, v5
	;;#ASMSTART
	v_cvt_f32_f16 v1, v1;
	;;#ASMEND
	;;#ASMSTART
	v_cvt_f32_f16 v0, v0;
	;;#ASMEND
	v_and_b32_e32 v2, 0xffff, v20
	v_and_b32_e32 v3, 0xffff, v21
	;;#ASMSTART
	v_cvt_f32_f16 v2, v2;
	;;#ASMEND
	;;#ASMSTART
	v_cvt_f32_f16 v3, v3;
	;;#ASMEND
	v_and_b32_e32 v5, 0xffff, v56
	v_fmac_f32_e32 v11, v1, v2
	v_fmac_f32_e32 v12, v0, v3
	ds_read_b64 v[0:1], v58 offset:88
	v_and_b32_e32 v3, 0xffff, v28
	s_waitcnt lgkmcnt(0)
	v_lshrrev_b32_e32 v2, 16, v0
	v_and_b32_e32 v0, 0xffff, v0
	;;#ASMSTART
	v_cvt_f32_f16 v0, v0;
	;;#ASMEND
	;;#ASMSTART
	v_cvt_f32_f16 v2, v2;
	;;#ASMEND
	;; [unrolled: 3-line block ×4, first 2 shown]
	s_nop 0
	v_fmac_f32_e32 v4, v0, v3
	v_fmac_f32_e32 v10, v2, v5
	v_lshrrev_b32_e32 v0, 16, v1
	v_and_b32_e32 v1, 0xffff, v1
	v_accvgpr_read_b32 v2, a32
	;;#ASMSTART
	v_cvt_f32_f16 v1, v1;
	;;#ASMEND
	;;#ASMSTART
	v_cvt_f32_f16 v0, v0;
	;;#ASMEND
	v_and_b32_e32 v2, 0xffff, v2
	v_and_b32_e32 v3, 0xffff, v48
	;;#ASMSTART
	v_cvt_f32_f16 v2, v2;
	;;#ASMEND
	;;#ASMSTART
	v_cvt_f32_f16 v3, v3;
	;;#ASMEND
	v_accvgpr_read_b32 v5, a30
	v_fmac_f32_e32 v11, v1, v2
	v_fmac_f32_e32 v12, v0, v3
	ds_read_b64 v[0:1], v58 offset:96
	v_accvgpr_read_b32 v3, a31
	v_and_b32_e32 v3, 0xffff, v3
	v_and_b32_e32 v5, 0xffff, v5
	s_waitcnt lgkmcnt(0)
	v_lshrrev_b32_e32 v2, 16, v0
	v_and_b32_e32 v0, 0xffff, v0
	;;#ASMSTART
	v_cvt_f32_f16 v0, v0;
	;;#ASMEND
	;;#ASMSTART
	v_cvt_f32_f16 v2, v2;
	;;#ASMEND
	;;#ASMSTART
	v_cvt_f32_f16 v3, v3;
	;;#ASMEND
	;;#ASMSTART
	v_cvt_f32_f16 v5, v5;
	;;#ASMEND
	s_nop 0
	v_fmac_f32_e32 v4, v0, v3
	v_fmac_f32_e32 v10, v2, v5
	v_lshrrev_b32_e32 v0, 16, v1
	v_and_b32_e32 v1, 0xffff, v1
	v_accvgpr_read_b32 v2, a27
	v_accvgpr_read_b32 v3, a63
	;;#ASMSTART
	v_cvt_f32_f16 v1, v1;
	;;#ASMEND
	;;#ASMSTART
	v_cvt_f32_f16 v0, v0;
	;;#ASMEND
	v_and_b32_e32 v2, 0xffff, v2
	v_and_b32_e32 v3, 0xffff, v3
	;;#ASMSTART
	v_cvt_f32_f16 v2, v2;
	;;#ASMEND
	;;#ASMSTART
	v_cvt_f32_f16 v3, v3;
	;;#ASMEND
	v_accvgpr_read_b32 v5, a61
	v_fmac_f32_e32 v11, v1, v2
	v_fmac_f32_e32 v12, v0, v3
	ds_read_b64 v[0:1], v58 offset:104
	v_accvgpr_read_b32 v3, a62
	v_and_b32_e32 v3, 0xffff, v3
	v_and_b32_e32 v5, 0xffff, v5
	s_waitcnt lgkmcnt(0)
	v_lshrrev_b32_e32 v2, 16, v0
	v_and_b32_e32 v0, 0xffff, v0
	;;#ASMSTART
	v_cvt_f32_f16 v0, v0;
	;;#ASMEND
	;;#ASMSTART
	v_cvt_f32_f16 v2, v2;
	;;#ASMEND
	;;#ASMSTART
	v_cvt_f32_f16 v3, v3;
	;;#ASMEND
	;;#ASMSTART
	v_cvt_f32_f16 v5, v5;
	;;#ASMEND
	s_nop 0
	v_fmac_f32_e32 v4, v0, v3
	v_fmac_f32_e32 v10, v2, v5
	v_lshrrev_b32_e32 v0, 16, v1
	v_and_b32_e32 v1, 0xffff, v1
	v_accvgpr_read_b32 v2, a60
	;; [unrolled: 43-line block ×3, first 2 shown]
	v_accvgpr_read_b32 v3, a55
	;;#ASMSTART
	v_cvt_f32_f16 v1, v1;
	;;#ASMEND
	;;#ASMSTART
	v_cvt_f32_f16 v0, v0;
	;;#ASMEND
	v_and_b32_e32 v2, 0xffff, v2
	v_and_b32_e32 v3, 0xffff, v3
	;;#ASMSTART
	v_cvt_f32_f16 v2, v2;
	;;#ASMEND
	;;#ASMSTART
	v_cvt_f32_f16 v3, v3;
	;;#ASMEND
	v_accvgpr_read_b32 v5, a50
	v_fmac_f32_e32 v11, v1, v2
	v_fmac_f32_e32 v12, v0, v3
	ds_read_b64 v[0:1], v58 offset:120
	v_and_b32_e32 v3, 0xffff, v50
	v_and_b32_e32 v5, 0xffff, v5
	s_waitcnt lgkmcnt(0)
	v_lshrrev_b32_e32 v2, 16, v0
	v_and_b32_e32 v0, 0xffff, v0
	;;#ASMSTART
	v_cvt_f32_f16 v0, v0;
	;;#ASMEND
	;;#ASMSTART
	v_cvt_f32_f16 v2, v2;
	;;#ASMEND
	;; [unrolled: 3-line block ×4, first 2 shown]
	s_nop 0
	v_fmac_f32_e32 v10, v2, v5
	v_accvgpr_read_b32 v2, a49
	v_fmac_f32_e32 v4, v0, v3
	v_lshrrev_b32_e32 v0, 16, v1
	v_and_b32_e32 v1, 0xffff, v1
	v_and_b32_e32 v2, 0xffff, v2
	;; [unrolled: 1-line block ×3, first 2 shown]
	;;#ASMSTART
	v_cvt_f32_f16 v1, v1;
	;;#ASMEND
	;;#ASMSTART
	v_cvt_f32_f16 v0, v0;
	;;#ASMEND
	;; [unrolled: 3-line block ×4, first 2 shown]
	s_nop 0
	v_fmac_f32_e32 v12, v0, v3
	v_accvgpr_read_b32 v3, a48
	v_fmac_f32_e32 v11, v1, v2
	v_and_b32_e32 v2, 64, v3
	v_xor_b32_e32 v1, 1, v3
	v_add_u32_e32 v2, 64, v2
	v_add_f32_e32 v0, v4, v10
	v_cmp_lt_i32_e64 s[4:5], v1, v2
	v_add_f32_e32 v0, v0, v11
	v_add_f32_e32 v0, v12, v0
	v_cndmask_b32_e64 v1, v3, v1, s[4:5]
	v_lshlrev_b32_e32 v1, 2, v1
	ds_bpermute_b32 v1, v1, v0
	s_and_saveexec_b64 s[26:27], vcc
	s_cbranch_execz .LBB294_11
; %bb.301:                              ;   in Loop: Header=BB294_13 Depth=1
	scratch_load_dword v4, off, s32 offset:228 ; 4-byte Folded Reload
	v_accvgpr_read_b32 v2, a45
	v_add_u32_e32 v2, v2, v46
	v_cvt_f32_i32_e32 v2, v2
	s_waitcnt lgkmcnt(0)
	v_add_f32_e32 v0, v0, v1
	v_accvgpr_read_b32 v1, a33
	s_load_dword s4, s[22:23], 0x0
	v_accvgpr_read_b32 v3, a37
	v_add_u32_e32 v3, v3, v46
	s_waitcnt vmcnt(0)
	v_mul_f32_e32 v2, v4, v2
	v_cndmask_b32_e64 v2, 0, v2, s[2:3]
	v_fmac_f32_e32 v2, v0, v1
	scratch_load_dword v1, off, s32 offset:224 ; 4-byte Folded Reload
	v_accvgpr_read_b32 v0, a8
	s_waitcnt lgkmcnt(0)
	v_add_u32_e32 v4, s4, v54
	v_cmp_lt_i32_e64 s[4:5], v3, v0
	s_nop 1
	v_cndmask_b32_e64 v0, 0, v2, s[4:5]
	ds_write_b32 v4, v0
	s_waitcnt vmcnt(0)
	v_max_f32_e32 v0, v1, v1
	v_max_f32_e32 v0, v0, v2
	v_cndmask_b32_e64 v1, v1, v0, s[4:5]
	scratch_store_dword off, v1, s32 offset:224 ; 4-byte Folded Spill
	s_branch .LBB294_11
.LBB294_302:                            ;   in Loop: Header=BB294_13 Depth=1
	v_cmp_eq_u16_sdwa s[38:39], v50, s36 src0_sel:BYTE_0 src1_sel:DWORD
	s_mov_b64 s[4:5], -1
                                        ; implicit-def: $sgpr30
	s_and_saveexec_b64 s[28:29], s[38:39]
; %bb.303:                              ;   in Loop: Header=BB294_13 Depth=1
	s_mov_b32 s30, 0x7fc02000
	s_xor_b64 s[4:5], exec, -1
; %bb.304:                              ;   in Loop: Header=BB294_13 Depth=1
	s_or_b64 exec, exec, s[28:29]
	s_and_b64 s[4:5], s[4:5], exec
	s_or_saveexec_b64 s[26:27], s[26:27]
	v_mov_b32_e32 v0, s30
	s_xor_b64 exec, exec, s[26:27]
	s_cbranch_execz .LBB294_18
.LBB294_305:                            ;   in Loop: Header=BB294_13 Depth=1
	v_cmp_ne_u16_sdwa s[28:29], v50, v9 src0_sel:BYTE_0 src1_sel:DWORD
	s_andn2_b64 s[4:5], s[4:5], exec
	s_and_b64 s[28:29], s[28:29], exec
	v_mov_b32_e32 v0, 0
	s_or_b64 s[4:5], s[4:5], s[28:29]
	s_or_b64 exec, exec, s[26:27]
	s_and_saveexec_b64 s[26:27], s[4:5]
	s_cbranch_execnz .LBB294_19
	s_branch .LBB294_20
.LBB294_306:                            ;   in Loop: Header=BB294_13 Depth=1
	v_cmp_eq_u16_sdwa s[38:39], v50, s36 src0_sel:BYTE_0 src1_sel:DWORD
	s_mov_b64 s[4:5], -1
                                        ; implicit-def: $sgpr30
	s_and_saveexec_b64 s[28:29], s[38:39]
; %bb.307:                              ;   in Loop: Header=BB294_13 Depth=1
	s_mov_b32 s30, 0x7fc02000
	s_xor_b64 s[4:5], exec, -1
; %bb.308:                              ;   in Loop: Header=BB294_13 Depth=1
	s_or_b64 exec, exec, s[28:29]
	s_and_b64 s[4:5], s[4:5], exec
	s_or_saveexec_b64 s[26:27], s[26:27]
	v_mov_b32_e32 v0, s30
	s_xor_b64 exec, exec, s[26:27]
	s_cbranch_execz .LBB294_46
.LBB294_309:                            ;   in Loop: Header=BB294_13 Depth=1
	v_cmp_ne_u16_sdwa s[28:29], v50, v9 src0_sel:BYTE_0 src1_sel:DWORD
	s_andn2_b64 s[4:5], s[4:5], exec
	s_and_b64 s[28:29], s[28:29], exec
	v_mov_b32_e32 v0, 0
	s_or_b64 s[4:5], s[4:5], s[28:29]
	s_or_b64 exec, exec, s[26:27]
	s_and_saveexec_b64 s[26:27], s[4:5]
	s_cbranch_execnz .LBB294_47
	s_branch .LBB294_48
.LBB294_310:                            ;   in Loop: Header=BB294_13 Depth=1
	v_cmp_eq_u16_e64 s[4:5], s36, v8
	s_mov_b64 s[26:27], -1
                                        ; implicit-def: $sgpr38
	s_and_saveexec_b64 s[30:31], s[4:5]
; %bb.311:                              ;   in Loop: Header=BB294_13 Depth=1
	s_mov_b32 s38, 0x7fc02000
	s_xor_b64 s[26:27], exec, -1
; %bb.312:                              ;   in Loop: Header=BB294_13 Depth=1
	s_or_b64 exec, exec, s[30:31]
	s_and_b64 s[26:27], s[26:27], exec
	s_or_saveexec_b64 s[28:29], s[28:29]
	v_mov_b32_e32 v49, s38
	s_xor_b64 exec, exec, s[28:29]
	s_cbranch_execz .LBB294_50
.LBB294_313:                            ;   in Loop: Header=BB294_13 Depth=1
	v_cmp_ne_u16_e64 s[4:5], 0, v8
	s_andn2_b64 s[26:27], s[26:27], exec
	s_and_b64 s[4:5], s[4:5], exec
	v_mov_b32_e32 v49, 0
	s_or_b64 s[26:27], s[26:27], s[4:5]
	s_or_b64 exec, exec, s[28:29]
	s_and_saveexec_b64 s[28:29], s[26:27]
	s_cbranch_execnz .LBB294_51
	s_branch .LBB294_52
.LBB294_314:                            ;   in Loop: Header=BB294_13 Depth=1
	v_cmp_eq_u16_sdwa s[38:39], v8, s36 src0_sel:BYTE_0 src1_sel:DWORD
	s_mov_b64 s[4:5], -1
                                        ; implicit-def: $sgpr30
	s_and_saveexec_b64 s[28:29], s[38:39]
; %bb.315:                              ;   in Loop: Header=BB294_13 Depth=1
	s_mov_b32 s30, 0x7fc02000
	s_xor_b64 s[4:5], exec, -1
; %bb.316:                              ;   in Loop: Header=BB294_13 Depth=1
	s_or_b64 exec, exec, s[28:29]
	s_and_b64 s[4:5], s[4:5], exec
	s_or_saveexec_b64 s[26:27], s[26:27]
	v_mov_b32_e32 v45, s30
	s_xor_b64 exec, exec, s[26:27]
	s_cbranch_execz .LBB294_54
.LBB294_317:                            ;   in Loop: Header=BB294_13 Depth=1
	v_cmp_ne_u16_sdwa s[28:29], v8, v9 src0_sel:BYTE_0 src1_sel:DWORD
	s_andn2_b64 s[4:5], s[4:5], exec
	s_and_b64 s[28:29], s[28:29], exec
	v_mov_b32_e32 v45, 0
	s_or_b64 s[4:5], s[4:5], s[28:29]
	s_or_b64 exec, exec, s[26:27]
	s_and_saveexec_b64 s[26:27], s[4:5]
	s_cbranch_execnz .LBB294_55
	s_branch .LBB294_56
.LBB294_318:                            ;   in Loop: Header=BB294_13 Depth=1
	v_cmp_eq_u16_sdwa s[38:39], v50, s36 src0_sel:BYTE_0 src1_sel:DWORD
	s_mov_b64 s[4:5], -1
                                        ; implicit-def: $sgpr30
	s_and_saveexec_b64 s[28:29], s[38:39]
; %bb.319:                              ;   in Loop: Header=BB294_13 Depth=1
	s_mov_b32 s30, 0x7fc02000
	s_xor_b64 s[4:5], exec, -1
; %bb.320:                              ;   in Loop: Header=BB294_13 Depth=1
	s_or_b64 exec, exec, s[28:29]
	s_and_b64 s[4:5], s[4:5], exec
	s_or_saveexec_b64 s[26:27], s[26:27]
	v_mov_b32_e32 v0, s30
	s_xor_b64 exec, exec, s[26:27]
	s_cbranch_execz .LBB294_66
.LBB294_321:                            ;   in Loop: Header=BB294_13 Depth=1
	v_cmp_ne_u16_sdwa s[28:29], v50, v9 src0_sel:BYTE_0 src1_sel:DWORD
	s_andn2_b64 s[4:5], s[4:5], exec
	s_and_b64 s[28:29], s[28:29], exec
	v_mov_b32_e32 v0, 0
	s_or_b64 s[4:5], s[4:5], s[28:29]
	s_or_b64 exec, exec, s[26:27]
	s_and_saveexec_b64 s[26:27], s[4:5]
	s_cbranch_execnz .LBB294_67
	s_branch .LBB294_68
.LBB294_322:                            ;   in Loop: Header=BB294_13 Depth=1
	v_cmp_eq_u16_sdwa s[38:39], v50, s36 src0_sel:BYTE_0 src1_sel:DWORD
	s_mov_b64 s[4:5], -1
                                        ; implicit-def: $sgpr30
	s_and_saveexec_b64 s[28:29], s[38:39]
; %bb.323:                              ;   in Loop: Header=BB294_13 Depth=1
	s_mov_b32 s30, 0x7fc02000
	s_xor_b64 s[4:5], exec, -1
; %bb.324:                              ;   in Loop: Header=BB294_13 Depth=1
	s_or_b64 exec, exec, s[28:29]
	s_and_b64 s[4:5], s[4:5], exec
	s_or_saveexec_b64 s[26:27], s[26:27]
	v_mov_b32_e32 v0, s30
	s_xor_b64 exec, exec, s[26:27]
	s_cbranch_execz .LBB294_94
.LBB294_325:                            ;   in Loop: Header=BB294_13 Depth=1
	v_cmp_ne_u16_sdwa s[28:29], v50, v9 src0_sel:BYTE_0 src1_sel:DWORD
	s_andn2_b64 s[4:5], s[4:5], exec
	s_and_b64 s[28:29], s[28:29], exec
	v_mov_b32_e32 v0, 0
	s_or_b64 s[4:5], s[4:5], s[28:29]
	s_or_b64 exec, exec, s[26:27]
	s_and_saveexec_b64 s[26:27], s[4:5]
	s_cbranch_execnz .LBB294_95
	s_branch .LBB294_96
.LBB294_326:                            ;   in Loop: Header=BB294_13 Depth=1
	v_cmp_eq_u16_e64 s[4:5], s36, v8
	s_mov_b64 s[26:27], -1
                                        ; implicit-def: $sgpr38
	s_and_saveexec_b64 s[30:31], s[4:5]
; %bb.327:                              ;   in Loop: Header=BB294_13 Depth=1
	s_mov_b32 s38, 0x7fc02000
	s_xor_b64 s[26:27], exec, -1
; %bb.328:                              ;   in Loop: Header=BB294_13 Depth=1
	s_or_b64 exec, exec, s[30:31]
	s_and_b64 s[26:27], s[26:27], exec
	s_or_saveexec_b64 s[28:29], s[28:29]
	v_mov_b32_e32 v44, s38
	s_xor_b64 exec, exec, s[28:29]
	s_cbranch_execz .LBB294_98
.LBB294_329:                            ;   in Loop: Header=BB294_13 Depth=1
	v_cmp_ne_u16_e64 s[4:5], 0, v8
	s_andn2_b64 s[26:27], s[26:27], exec
	s_and_b64 s[4:5], s[4:5], exec
	v_mov_b32_e32 v44, 0
	s_or_b64 s[26:27], s[26:27], s[4:5]
	s_or_b64 exec, exec, s[28:29]
	s_and_saveexec_b64 s[28:29], s[26:27]
	s_cbranch_execnz .LBB294_99
	s_branch .LBB294_100
.LBB294_330:                            ;   in Loop: Header=BB294_13 Depth=1
	v_cmp_eq_u16_sdwa s[38:39], v8, s36 src0_sel:BYTE_0 src1_sel:DWORD
	s_mov_b64 s[4:5], -1
                                        ; implicit-def: $sgpr30
	s_and_saveexec_b64 s[28:29], s[38:39]
; %bb.331:                              ;   in Loop: Header=BB294_13 Depth=1
	s_mov_b32 s30, 0x7fc02000
	s_xor_b64 s[4:5], exec, -1
; %bb.332:                              ;   in Loop: Header=BB294_13 Depth=1
	s_or_b64 exec, exec, s[28:29]
	s_and_b64 s[4:5], s[4:5], exec
	s_or_saveexec_b64 s[26:27], s[26:27]
	v_mov_b32_e32 v47, s30
	s_xor_b64 exec, exec, s[26:27]
	s_cbranch_execz .LBB294_102
.LBB294_333:                            ;   in Loop: Header=BB294_13 Depth=1
	v_cmp_ne_u16_sdwa s[28:29], v8, v9 src0_sel:BYTE_0 src1_sel:DWORD
	s_andn2_b64 s[4:5], s[4:5], exec
	s_and_b64 s[28:29], s[28:29], exec
	v_mov_b32_e32 v47, 0
	s_or_b64 s[4:5], s[4:5], s[28:29]
	s_or_b64 exec, exec, s[26:27]
	s_and_saveexec_b64 s[26:27], s[4:5]
	s_cbranch_execnz .LBB294_103
	s_branch .LBB294_104
.LBB294_334:                            ;   in Loop: Header=BB294_13 Depth=1
	v_cmp_eq_u16_e64 s[4:5], s36, v8
	s_mov_b64 s[26:27], -1
                                        ; implicit-def: $sgpr38
	s_and_saveexec_b64 s[30:31], s[4:5]
; %bb.335:                              ;   in Loop: Header=BB294_13 Depth=1
	s_mov_b32 s38, 0x7fc02000
	s_xor_b64 s[26:27], exec, -1
; %bb.336:                              ;   in Loop: Header=BB294_13 Depth=1
	s_or_b64 exec, exec, s[30:31]
	s_and_b64 s[26:27], s[26:27], exec
	s_or_saveexec_b64 s[28:29], s[28:29]
	v_mov_b32_e32 v58, s38
	s_xor_b64 exec, exec, s[28:29]
	s_cbranch_execz .LBB294_106
.LBB294_337:                            ;   in Loop: Header=BB294_13 Depth=1
	v_cmp_ne_u16_e64 s[4:5], 0, v8
	s_andn2_b64 s[26:27], s[26:27], exec
	s_and_b64 s[4:5], s[4:5], exec
	v_mov_b32_e32 v58, 0
	s_or_b64 s[26:27], s[26:27], s[4:5]
	s_or_b64 exec, exec, s[28:29]
	s_and_saveexec_b64 s[28:29], s[26:27]
	s_cbranch_execnz .LBB294_107
	s_branch .LBB294_108
.LBB294_338:                            ;   in Loop: Header=BB294_13 Depth=1
	v_cmp_eq_u16_sdwa s[38:39], v50, s36 src0_sel:BYTE_0 src1_sel:DWORD
	s_mov_b64 s[4:5], -1
                                        ; implicit-def: $sgpr30
	s_and_saveexec_b64 s[28:29], s[38:39]
; %bb.339:                              ;   in Loop: Header=BB294_13 Depth=1
	s_mov_b32 s30, 0x7fc02000
	s_xor_b64 s[4:5], exec, -1
; %bb.340:                              ;   in Loop: Header=BB294_13 Depth=1
	s_or_b64 exec, exec, s[28:29]
	s_and_b64 s[4:5], s[4:5], exec
	s_or_saveexec_b64 s[26:27], s[26:27]
	v_mov_b32_e32 v0, s30
	s_xor_b64 exec, exec, s[26:27]
	s_cbranch_execz .LBB294_110
.LBB294_341:                            ;   in Loop: Header=BB294_13 Depth=1
	v_cmp_ne_u16_sdwa s[28:29], v50, v9 src0_sel:BYTE_0 src1_sel:DWORD
	s_andn2_b64 s[4:5], s[4:5], exec
	s_and_b64 s[28:29], s[28:29], exec
	v_mov_b32_e32 v0, 0
	s_or_b64 s[4:5], s[4:5], s[28:29]
	s_or_b64 exec, exec, s[26:27]
	s_and_saveexec_b64 s[26:27], s[4:5]
	s_cbranch_execnz .LBB294_111
	s_branch .LBB294_112
.LBB294_342:                            ;   in Loop: Header=BB294_13 Depth=1
	v_cmp_eq_u16_e64 s[4:5], s36, v8
	s_mov_b64 s[26:27], -1
                                        ; implicit-def: $sgpr38
	s_and_saveexec_b64 s[30:31], s[4:5]
; %bb.343:                              ;   in Loop: Header=BB294_13 Depth=1
	s_mov_b32 s38, 0x7fc02000
	s_xor_b64 s[26:27], exec, -1
; %bb.344:                              ;   in Loop: Header=BB294_13 Depth=1
	s_or_b64 exec, exec, s[30:31]
	s_and_b64 s[26:27], s[26:27], exec
	s_or_saveexec_b64 s[28:29], s[28:29]
	v_mov_b32_e32 v61, s38
	s_xor_b64 exec, exec, s[28:29]
	s_cbranch_execz .LBB294_114
.LBB294_345:                            ;   in Loop: Header=BB294_13 Depth=1
	v_cmp_ne_u16_e64 s[4:5], 0, v8
	s_andn2_b64 s[26:27], s[26:27], exec
	s_and_b64 s[4:5], s[4:5], exec
	v_mov_b32_e32 v61, 0
	s_or_b64 s[26:27], s[26:27], s[4:5]
	s_or_b64 exec, exec, s[28:29]
	s_and_saveexec_b64 s[28:29], s[26:27]
	s_cbranch_execnz .LBB294_115
	s_branch .LBB294_116
.LBB294_346:                            ;   in Loop: Header=BB294_13 Depth=1
	v_cmp_eq_u16_sdwa s[38:39], v8, s36 src0_sel:BYTE_0 src1_sel:DWORD
	s_mov_b64 s[4:5], -1
                                        ; implicit-def: $sgpr30
	s_and_saveexec_b64 s[28:29], s[38:39]
; %bb.347:                              ;   in Loop: Header=BB294_13 Depth=1
	s_mov_b32 s30, 0x7fc02000
	s_xor_b64 s[4:5], exec, -1
; %bb.348:                              ;   in Loop: Header=BB294_13 Depth=1
	s_or_b64 exec, exec, s[28:29]
	s_and_b64 s[4:5], s[4:5], exec
	s_or_saveexec_b64 s[26:27], s[26:27]
	v_mov_b32_e32 v4, s30
	s_xor_b64 exec, exec, s[26:27]
	s_cbranch_execz .LBB294_118
.LBB294_349:                            ;   in Loop: Header=BB294_13 Depth=1
	v_cmp_ne_u16_sdwa s[28:29], v8, v9 src0_sel:BYTE_0 src1_sel:DWORD
	s_andn2_b64 s[4:5], s[4:5], exec
	s_and_b64 s[28:29], s[28:29], exec
	v_mov_b32_e32 v4, 0
	s_or_b64 s[4:5], s[4:5], s[28:29]
	s_or_b64 exec, exec, s[26:27]
	s_and_saveexec_b64 s[26:27], s[4:5]
	s_cbranch_execnz .LBB294_119
	s_branch .LBB294_120
.LBB294_350:                            ;   in Loop: Header=BB294_13 Depth=1
	v_cmp_eq_u16_e64 s[4:5], s36, v8
	s_mov_b64 s[26:27], -1
                                        ; implicit-def: $sgpr38
	s_and_saveexec_b64 s[30:31], s[4:5]
; %bb.351:                              ;   in Loop: Header=BB294_13 Depth=1
	s_mov_b32 s38, 0x7fc02000
	s_xor_b64 s[26:27], exec, -1
; %bb.352:                              ;   in Loop: Header=BB294_13 Depth=1
	s_or_b64 exec, exec, s[30:31]
	s_and_b64 s[26:27], s[26:27], exec
	s_or_saveexec_b64 s[28:29], s[28:29]
	v_mov_b32_e32 v12, s38
	s_xor_b64 exec, exec, s[28:29]
	s_cbranch_execz .LBB294_122
.LBB294_353:                            ;   in Loop: Header=BB294_13 Depth=1
	v_cmp_ne_u16_e64 s[4:5], 0, v8
	s_andn2_b64 s[26:27], s[26:27], exec
	s_and_b64 s[4:5], s[4:5], exec
	v_mov_b32_e32 v12, 0
	s_or_b64 s[26:27], s[26:27], s[4:5]
	s_or_b64 exec, exec, s[28:29]
	s_and_saveexec_b64 s[28:29], s[26:27]
	s_cbranch_execnz .LBB294_123
	s_branch .LBB294_124
.LBB294_354:                            ;   in Loop: Header=BB294_13 Depth=1
	v_cmp_eq_u16_sdwa s[38:39], v50, s36 src0_sel:BYTE_0 src1_sel:DWORD
	s_mov_b64 s[4:5], -1
                                        ; implicit-def: $sgpr30
	s_and_saveexec_b64 s[28:29], s[38:39]
; %bb.355:                              ;   in Loop: Header=BB294_13 Depth=1
	s_mov_b32 s30, 0x7fc02000
	s_xor_b64 s[4:5], exec, -1
; %bb.356:                              ;   in Loop: Header=BB294_13 Depth=1
	s_or_b64 exec, exec, s[28:29]
	s_and_b64 s[4:5], s[4:5], exec
	s_or_saveexec_b64 s[26:27], s[26:27]
	v_mov_b32_e32 v11, s30
	s_xor_b64 exec, exec, s[26:27]
	s_cbranch_execz .LBB294_126
.LBB294_357:                            ;   in Loop: Header=BB294_13 Depth=1
	v_cmp_ne_u16_sdwa s[28:29], v50, v9 src0_sel:BYTE_0 src1_sel:DWORD
	s_andn2_b64 s[4:5], s[4:5], exec
	s_and_b64 s[28:29], s[28:29], exec
	v_mov_b32_e32 v11, 0
	s_or_b64 s[4:5], s[4:5], s[28:29]
	s_or_b64 exec, exec, s[26:27]
	s_and_saveexec_b64 s[26:27], s[4:5]
	s_cbranch_execnz .LBB294_127
	s_branch .LBB294_128
.LBB294_358:                            ;   in Loop: Header=BB294_13 Depth=1
	v_cmp_eq_u16_e64 s[4:5], s36, v8
	s_mov_b64 s[26:27], -1
                                        ; implicit-def: $sgpr38
	s_and_saveexec_b64 s[30:31], s[4:5]
; %bb.359:                              ;   in Loop: Header=BB294_13 Depth=1
	s_mov_b32 s38, 0x7fc02000
	s_xor_b64 s[26:27], exec, -1
; %bb.360:                              ;   in Loop: Header=BB294_13 Depth=1
	s_or_b64 exec, exec, s[30:31]
	s_and_b64 s[26:27], s[26:27], exec
	s_or_saveexec_b64 s[28:29], s[28:29]
	v_mov_b32_e32 v10, s38
	s_xor_b64 exec, exec, s[28:29]
	s_cbranch_execz .LBB294_130
.LBB294_361:                            ;   in Loop: Header=BB294_13 Depth=1
	v_cmp_ne_u16_e64 s[4:5], 0, v8
	s_andn2_b64 s[26:27], s[26:27], exec
	s_and_b64 s[4:5], s[4:5], exec
	v_mov_b32_e32 v10, 0
	s_or_b64 s[26:27], s[26:27], s[4:5]
	s_or_b64 exec, exec, s[28:29]
	s_and_saveexec_b64 s[28:29], s[26:27]
	s_cbranch_execnz .LBB294_131
	s_branch .LBB294_132
.LBB294_362:                            ;   in Loop: Header=BB294_13 Depth=1
	v_cmp_eq_u16_sdwa s[38:39], v8, s36 src0_sel:BYTE_0 src1_sel:DWORD
	s_mov_b64 s[4:5], -1
                                        ; implicit-def: $sgpr30
	s_and_saveexec_b64 s[28:29], s[38:39]
; %bb.363:                              ;   in Loop: Header=BB294_13 Depth=1
	s_mov_b32 s30, 0x7fc02000
	s_xor_b64 s[4:5], exec, -1
; %bb.364:                              ;   in Loop: Header=BB294_13 Depth=1
	s_or_b64 exec, exec, s[28:29]
	s_and_b64 s[4:5], s[4:5], exec
	s_or_saveexec_b64 s[26:27], s[26:27]
	v_mov_b32_e32 v2, s30
	s_xor_b64 exec, exec, s[26:27]
	s_cbranch_execz .LBB294_134
.LBB294_365:                            ;   in Loop: Header=BB294_13 Depth=1
	v_cmp_ne_u16_sdwa s[28:29], v8, v9 src0_sel:BYTE_0 src1_sel:DWORD
	s_andn2_b64 s[4:5], s[4:5], exec
	s_and_b64 s[28:29], s[28:29], exec
	v_mov_b32_e32 v2, 0
	s_or_b64 s[4:5], s[4:5], s[28:29]
	s_or_b64 exec, exec, s[26:27]
	s_and_saveexec_b64 s[26:27], s[4:5]
	s_cbranch_execnz .LBB294_135
	s_branch .LBB294_136
.LBB294_366:                            ;   in Loop: Header=BB294_13 Depth=1
	v_cmp_eq_u16_e64 s[4:5], s36, v8
	s_mov_b64 s[26:27], -1
                                        ; implicit-def: $sgpr38
	s_and_saveexec_b64 s[30:31], s[4:5]
; %bb.367:                              ;   in Loop: Header=BB294_13 Depth=1
	s_mov_b32 s38, 0x7fc02000
	s_xor_b64 s[26:27], exec, -1
; %bb.368:                              ;   in Loop: Header=BB294_13 Depth=1
	s_or_b64 exec, exec, s[30:31]
	s_and_b64 s[26:27], s[26:27], exec
	s_or_saveexec_b64 s[28:29], s[28:29]
	v_mov_b32_e32 v0, s38
	s_xor_b64 exec, exec, s[28:29]
	s_cbranch_execz .LBB294_138
.LBB294_369:                            ;   in Loop: Header=BB294_13 Depth=1
	v_cmp_ne_u16_e64 s[4:5], 0, v8
	s_andn2_b64 s[26:27], s[26:27], exec
	s_and_b64 s[4:5], s[4:5], exec
	v_mov_b32_e32 v0, 0
	s_or_b64 s[26:27], s[26:27], s[4:5]
	s_or_b64 exec, exec, s[28:29]
	s_and_saveexec_b64 s[28:29], s[26:27]
	s_cbranch_execnz .LBB294_139
	s_branch .LBB294_140
.LBB294_370:                            ;   in Loop: Header=BB294_13 Depth=1
	v_cmp_eq_u16_sdwa s[38:39], v50, s36 src0_sel:BYTE_0 src1_sel:DWORD
	s_mov_b64 s[4:5], -1
                                        ; implicit-def: $sgpr30
	s_and_saveexec_b64 s[28:29], s[38:39]
; %bb.371:                              ;   in Loop: Header=BB294_13 Depth=1
	s_mov_b32 s30, 0x7fc02000
	s_xor_b64 s[4:5], exec, -1
; %bb.372:                              ;   in Loop: Header=BB294_13 Depth=1
	s_or_b64 exec, exec, s[28:29]
	s_and_b64 s[4:5], s[4:5], exec
	s_or_saveexec_b64 s[26:27], s[26:27]
	v_mov_b32_e32 v19, s30
	s_xor_b64 exec, exec, s[26:27]
	s_cbranch_execz .LBB294_142
.LBB294_373:                            ;   in Loop: Header=BB294_13 Depth=1
	v_cmp_ne_u16_sdwa s[28:29], v50, v9 src0_sel:BYTE_0 src1_sel:DWORD
	s_andn2_b64 s[4:5], s[4:5], exec
	s_and_b64 s[28:29], s[28:29], exec
	v_mov_b32_e32 v19, 0
	s_or_b64 s[4:5], s[4:5], s[28:29]
	s_or_b64 exec, exec, s[26:27]
	s_and_saveexec_b64 s[26:27], s[4:5]
	s_cbranch_execnz .LBB294_143
	s_branch .LBB294_144
.LBB294_374:                            ;   in Loop: Header=BB294_13 Depth=1
	v_cmp_eq_u16_e64 s[4:5], s36, v8
	s_mov_b64 s[26:27], -1
                                        ; implicit-def: $sgpr38
	s_and_saveexec_b64 s[30:31], s[4:5]
; %bb.375:                              ;   in Loop: Header=BB294_13 Depth=1
	s_mov_b32 s38, 0x7fc02000
	s_xor_b64 s[26:27], exec, -1
; %bb.376:                              ;   in Loop: Header=BB294_13 Depth=1
	s_or_b64 exec, exec, s[30:31]
	s_and_b64 s[26:27], s[26:27], exec
	s_or_saveexec_b64 s[28:29], s[28:29]
	v_mov_b32_e32 v23, s38
	s_xor_b64 exec, exec, s[28:29]
	s_cbranch_execz .LBB294_146
.LBB294_377:                            ;   in Loop: Header=BB294_13 Depth=1
	v_cmp_ne_u16_e64 s[4:5], 0, v8
	s_andn2_b64 s[26:27], s[26:27], exec
	s_and_b64 s[4:5], s[4:5], exec
	v_mov_b32_e32 v23, 0
	s_or_b64 s[26:27], s[26:27], s[4:5]
	s_or_b64 exec, exec, s[28:29]
	s_and_saveexec_b64 s[28:29], s[26:27]
	s_cbranch_execnz .LBB294_147
	s_branch .LBB294_148
.LBB294_378:                            ;   in Loop: Header=BB294_13 Depth=1
	v_cmp_eq_u16_sdwa s[38:39], v8, s36 src0_sel:BYTE_0 src1_sel:DWORD
	s_mov_b64 s[4:5], -1
                                        ; implicit-def: $sgpr30
	s_and_saveexec_b64 s[28:29], s[38:39]
; %bb.379:                              ;   in Loop: Header=BB294_13 Depth=1
	s_mov_b32 s30, 0x7fc02000
	s_xor_b64 s[4:5], exec, -1
; %bb.380:                              ;   in Loop: Header=BB294_13 Depth=1
	s_or_b64 exec, exec, s[28:29]
	s_and_b64 s[4:5], s[4:5], exec
	s_or_saveexec_b64 s[26:27], s[26:27]
	v_mov_b32_e32 v15, s30
	s_xor_b64 exec, exec, s[26:27]
	s_cbranch_execz .LBB294_150
.LBB294_381:                            ;   in Loop: Header=BB294_13 Depth=1
	v_cmp_ne_u16_sdwa s[28:29], v8, v9 src0_sel:BYTE_0 src1_sel:DWORD
	s_andn2_b64 s[4:5], s[4:5], exec
	s_and_b64 s[28:29], s[28:29], exec
	v_mov_b32_e32 v15, 0
	s_or_b64 s[4:5], s[4:5], s[28:29]
	s_or_b64 exec, exec, s[26:27]
	s_and_saveexec_b64 s[26:27], s[4:5]
	s_cbranch_execnz .LBB294_151
	s_branch .LBB294_152
.LBB294_382:                            ;   in Loop: Header=BB294_13 Depth=1
	v_cmp_eq_u16_e64 s[4:5], s36, v8
	s_mov_b64 s[26:27], -1
                                        ; implicit-def: $sgpr38
	s_and_saveexec_b64 s[30:31], s[4:5]
; %bb.383:                              ;   in Loop: Header=BB294_13 Depth=1
	s_mov_b32 s38, 0x7fc02000
	s_xor_b64 s[26:27], exec, -1
; %bb.384:                              ;   in Loop: Header=BB294_13 Depth=1
	s_or_b64 exec, exec, s[30:31]
	s_and_b64 s[26:27], s[26:27], exec
	s_or_saveexec_b64 s[28:29], s[28:29]
	v_mov_b32_e32 v14, s38
	s_xor_b64 exec, exec, s[28:29]
	s_cbranch_execz .LBB294_154
.LBB294_385:                            ;   in Loop: Header=BB294_13 Depth=1
	v_cmp_ne_u16_e64 s[4:5], 0, v8
	s_andn2_b64 s[26:27], s[26:27], exec
	s_and_b64 s[4:5], s[4:5], exec
	v_mov_b32_e32 v14, 0
	s_or_b64 s[26:27], s[26:27], s[4:5]
	s_or_b64 exec, exec, s[28:29]
	s_and_saveexec_b64 s[28:29], s[26:27]
	s_cbranch_execnz .LBB294_155
	s_branch .LBB294_156
.LBB294_386:                            ;   in Loop: Header=BB294_13 Depth=1
	v_cmp_eq_u16_sdwa s[38:39], v50, s36 src0_sel:BYTE_0 src1_sel:DWORD
	s_mov_b64 s[4:5], -1
                                        ; implicit-def: $sgpr30
	s_and_saveexec_b64 s[28:29], s[38:39]
; %bb.387:                              ;   in Loop: Header=BB294_13 Depth=1
	s_mov_b32 s30, 0x7fc02000
	s_xor_b64 s[4:5], exec, -1
; %bb.388:                              ;   in Loop: Header=BB294_13 Depth=1
	s_or_b64 exec, exec, s[28:29]
	s_and_b64 s[4:5], s[4:5], exec
	s_or_saveexec_b64 s[26:27], s[26:27]
	v_mov_b32_e32 v53, s30
	s_xor_b64 exec, exec, s[26:27]
	s_cbranch_execz .LBB294_158
.LBB294_389:                            ;   in Loop: Header=BB294_13 Depth=1
	v_cmp_ne_u16_sdwa s[28:29], v50, v9 src0_sel:BYTE_0 src1_sel:DWORD
	s_andn2_b64 s[4:5], s[4:5], exec
	s_and_b64 s[28:29], s[28:29], exec
	v_mov_b32_e32 v53, 0
	s_or_b64 s[4:5], s[4:5], s[28:29]
	s_or_b64 exec, exec, s[26:27]
	s_and_saveexec_b64 s[26:27], s[4:5]
	s_cbranch_execnz .LBB294_159
	s_branch .LBB294_160
.LBB294_390:                            ;   in Loop: Header=BB294_13 Depth=1
	v_cmp_eq_u16_e64 s[4:5], s36, v8
	s_mov_b64 s[26:27], -1
                                        ; implicit-def: $sgpr38
	s_and_saveexec_b64 s[30:31], s[4:5]
; %bb.391:                              ;   in Loop: Header=BB294_13 Depth=1
	s_mov_b32 s38, 0x7fc02000
	s_xor_b64 s[26:27], exec, -1
; %bb.392:                              ;   in Loop: Header=BB294_13 Depth=1
	s_or_b64 exec, exec, s[30:31]
	s_and_b64 s[26:27], s[26:27], exec
	s_or_saveexec_b64 s[28:29], s[28:29]
	v_mov_b32_e32 v32, s38
	s_xor_b64 exec, exec, s[28:29]
	s_cbranch_execz .LBB294_162
.LBB294_393:                            ;   in Loop: Header=BB294_13 Depth=1
	v_cmp_ne_u16_e64 s[4:5], 0, v8
	s_andn2_b64 s[26:27], s[26:27], exec
	s_and_b64 s[4:5], s[4:5], exec
	v_mov_b32_e32 v32, 0
	s_or_b64 s[26:27], s[26:27], s[4:5]
	s_or_b64 exec, exec, s[28:29]
	s_and_saveexec_b64 s[28:29], s[26:27]
	s_cbranch_execnz .LBB294_163
	s_branch .LBB294_164
.LBB294_394:                            ;   in Loop: Header=BB294_13 Depth=1
	v_cmp_eq_u16_sdwa s[38:39], v8, s36 src0_sel:BYTE_0 src1_sel:DWORD
	s_mov_b64 s[4:5], -1
                                        ; implicit-def: $sgpr30
	s_and_saveexec_b64 s[28:29], s[38:39]
; %bb.395:                              ;   in Loop: Header=BB294_13 Depth=1
	s_mov_b32 s30, 0x7fc02000
	s_xor_b64 s[4:5], exec, -1
; %bb.396:                              ;   in Loop: Header=BB294_13 Depth=1
	s_or_b64 exec, exec, s[28:29]
	s_and_b64 s[4:5], s[4:5], exec
	s_or_saveexec_b64 s[26:27], s[26:27]
	v_mov_b32_e32 v33, s30
	s_xor_b64 exec, exec, s[26:27]
	s_cbranch_execz .LBB294_166
.LBB294_397:                            ;   in Loop: Header=BB294_13 Depth=1
	v_cmp_ne_u16_sdwa s[28:29], v8, v9 src0_sel:BYTE_0 src1_sel:DWORD
	s_andn2_b64 s[4:5], s[4:5], exec
	s_and_b64 s[28:29], s[28:29], exec
	v_mov_b32_e32 v33, 0
	s_or_b64 s[4:5], s[4:5], s[28:29]
	s_or_b64 exec, exec, s[26:27]
	s_and_saveexec_b64 s[26:27], s[4:5]
	s_cbranch_execnz .LBB294_167
	s_branch .LBB294_168
.LBB294_398:                            ;   in Loop: Header=BB294_13 Depth=1
	v_cmp_eq_u16_e64 s[4:5], s36, v8
	s_mov_b64 s[26:27], -1
                                        ; implicit-def: $sgpr38
	s_and_saveexec_b64 s[30:31], s[4:5]
; %bb.399:                              ;   in Loop: Header=BB294_13 Depth=1
	s_mov_b32 s38, 0x7fc02000
	s_xor_b64 s[26:27], exec, -1
; %bb.400:                              ;   in Loop: Header=BB294_13 Depth=1
	s_or_b64 exec, exec, s[30:31]
	s_and_b64 s[26:27], s[26:27], exec
	s_or_saveexec_b64 s[28:29], s[28:29]
	v_mov_b32_e32 v51, s38
	s_xor_b64 exec, exec, s[28:29]
	s_cbranch_execz .LBB294_170
.LBB294_401:                            ;   in Loop: Header=BB294_13 Depth=1
	v_cmp_ne_u16_e64 s[4:5], 0, v8
	s_andn2_b64 s[26:27], s[26:27], exec
	s_and_b64 s[4:5], s[4:5], exec
	v_mov_b32_e32 v51, 0
	s_or_b64 s[26:27], s[26:27], s[4:5]
	s_or_b64 exec, exec, s[28:29]
	s_and_saveexec_b64 s[28:29], s[26:27]
	s_cbranch_execnz .LBB294_171
	s_branch .LBB294_172
.LBB294_402:                            ;   in Loop: Header=BB294_13 Depth=1
	v_cmp_eq_u16_sdwa s[38:39], v50, s36 src0_sel:BYTE_0 src1_sel:DWORD
	s_mov_b64 s[4:5], -1
                                        ; implicit-def: $sgpr30
	s_and_saveexec_b64 s[28:29], s[38:39]
; %bb.403:                              ;   in Loop: Header=BB294_13 Depth=1
	s_mov_b32 s30, 0x7fc02000
	s_xor_b64 s[4:5], exec, -1
; %bb.404:                              ;   in Loop: Header=BB294_13 Depth=1
	s_or_b64 exec, exec, s[28:29]
	s_and_b64 s[4:5], s[4:5], exec
	s_or_saveexec_b64 s[26:27], s[26:27]
	v_mov_b32_e32 v52, s30
	s_xor_b64 exec, exec, s[26:27]
	s_cbranch_execz .LBB294_174
.LBB294_405:                            ;   in Loop: Header=BB294_13 Depth=1
	v_cmp_ne_u16_sdwa s[28:29], v50, v9 src0_sel:BYTE_0 src1_sel:DWORD
	s_andn2_b64 s[4:5], s[4:5], exec
	s_and_b64 s[28:29], s[28:29], exec
	v_mov_b32_e32 v52, 0
	s_or_b64 s[4:5], s[4:5], s[28:29]
	s_or_b64 exec, exec, s[26:27]
	s_and_saveexec_b64 s[26:27], s[4:5]
	s_cbranch_execnz .LBB294_175
	s_branch .LBB294_176
.LBB294_406:                            ;   in Loop: Header=BB294_13 Depth=1
	v_cmp_eq_u16_e64 s[4:5], s36, v8
	s_mov_b64 s[26:27], -1
                                        ; implicit-def: $sgpr38
	s_and_saveexec_b64 s[30:31], s[4:5]
; %bb.407:                              ;   in Loop: Header=BB294_13 Depth=1
	s_mov_b32 s38, 0x7fc02000
	s_xor_b64 s[26:27], exec, -1
; %bb.408:                              ;   in Loop: Header=BB294_13 Depth=1
	s_or_b64 exec, exec, s[30:31]
	s_and_b64 s[26:27], s[26:27], exec
	s_or_saveexec_b64 s[28:29], s[28:29]
	v_mov_b32_e32 v7, s38
	s_xor_b64 exec, exec, s[28:29]
	s_cbranch_execz .LBB294_178
.LBB294_409:                            ;   in Loop: Header=BB294_13 Depth=1
	v_cmp_ne_u16_e64 s[4:5], 0, v8
	s_andn2_b64 s[26:27], s[26:27], exec
	s_and_b64 s[4:5], s[4:5], exec
	v_mov_b32_e32 v7, 0
	s_or_b64 s[26:27], s[26:27], s[4:5]
	s_or_b64 exec, exec, s[28:29]
	s_and_saveexec_b64 s[28:29], s[26:27]
	s_cbranch_execnz .LBB294_179
	s_branch .LBB294_180
.LBB294_410:                            ;   in Loop: Header=BB294_13 Depth=1
	v_cmp_eq_u16_sdwa s[38:39], v8, s36 src0_sel:BYTE_0 src1_sel:DWORD
	s_mov_b64 s[4:5], -1
                                        ; implicit-def: $sgpr30
	s_and_saveexec_b64 s[28:29], s[38:39]
; %bb.411:                              ;   in Loop: Header=BB294_13 Depth=1
	s_mov_b32 s30, 0x7fc02000
	s_xor_b64 s[4:5], exec, -1
; %bb.412:                              ;   in Loop: Header=BB294_13 Depth=1
	s_or_b64 exec, exec, s[28:29]
	s_and_b64 s[4:5], s[4:5], exec
	s_or_saveexec_b64 s[26:27], s[26:27]
	v_mov_b32_e32 v34, s30
	s_xor_b64 exec, exec, s[26:27]
	s_cbranch_execz .LBB294_182
.LBB294_413:                            ;   in Loop: Header=BB294_13 Depth=1
	v_cmp_ne_u16_sdwa s[28:29], v8, v9 src0_sel:BYTE_0 src1_sel:DWORD
	s_andn2_b64 s[4:5], s[4:5], exec
	s_and_b64 s[28:29], s[28:29], exec
	v_mov_b32_e32 v34, 0
	s_or_b64 s[4:5], s[4:5], s[28:29]
	s_or_b64 exec, exec, s[26:27]
	s_and_saveexec_b64 s[26:27], s[4:5]
	s_cbranch_execnz .LBB294_183
	s_branch .LBB294_184
.LBB294_414:                            ;   in Loop: Header=BB294_13 Depth=1
	v_cmp_eq_u16_e64 s[4:5], s36, v8
	s_mov_b64 s[26:27], -1
                                        ; implicit-def: $sgpr38
	s_and_saveexec_b64 s[30:31], s[4:5]
; %bb.415:                              ;   in Loop: Header=BB294_13 Depth=1
	s_mov_b32 s38, 0x7fc02000
	s_xor_b64 s[26:27], exec, -1
; %bb.416:                              ;   in Loop: Header=BB294_13 Depth=1
	s_or_b64 exec, exec, s[30:31]
	s_and_b64 s[26:27], s[26:27], exec
	s_or_saveexec_b64 s[28:29], s[28:29]
	v_mov_b32_e32 v35, s38
	s_xor_b64 exec, exec, s[28:29]
	s_cbranch_execz .LBB294_186
.LBB294_417:                            ;   in Loop: Header=BB294_13 Depth=1
	v_cmp_ne_u16_e64 s[4:5], 0, v8
	s_andn2_b64 s[26:27], s[26:27], exec
	s_and_b64 s[4:5], s[4:5], exec
	v_mov_b32_e32 v35, 0
	s_or_b64 s[26:27], s[26:27], s[4:5]
	s_or_b64 exec, exec, s[28:29]
	s_and_saveexec_b64 s[28:29], s[26:27]
	s_cbranch_execnz .LBB294_187
	s_branch .LBB294_188
.LBB294_418:                            ;   in Loop: Header=BB294_13 Depth=1
	v_cmp_eq_u16_sdwa s[38:39], v50, s36 src0_sel:BYTE_0 src1_sel:DWORD
	s_mov_b64 s[4:5], -1
                                        ; implicit-def: $sgpr30
	s_and_saveexec_b64 s[28:29], s[38:39]
; %bb.419:                              ;   in Loop: Header=BB294_13 Depth=1
	s_mov_b32 s30, 0x7fc02000
	s_xor_b64 s[4:5], exec, -1
; %bb.420:                              ;   in Loop: Header=BB294_13 Depth=1
	s_or_b64 exec, exec, s[28:29]
	s_and_b64 s[4:5], s[4:5], exec
	s_or_saveexec_b64 s[26:27], s[26:27]
	v_mov_b32_e32 v42, s30
	s_xor_b64 exec, exec, s[26:27]
	s_cbranch_execz .LBB294_190
.LBB294_421:                            ;   in Loop: Header=BB294_13 Depth=1
	v_cmp_ne_u16_sdwa s[28:29], v50, v9 src0_sel:BYTE_0 src1_sel:DWORD
	s_andn2_b64 s[4:5], s[4:5], exec
	s_and_b64 s[28:29], s[28:29], exec
	v_mov_b32_e32 v42, 0
	s_or_b64 s[4:5], s[4:5], s[28:29]
	s_or_b64 exec, exec, s[26:27]
	s_and_saveexec_b64 s[26:27], s[4:5]
	s_cbranch_execnz .LBB294_191
	s_branch .LBB294_192
.LBB294_422:                            ;   in Loop: Header=BB294_13 Depth=1
	v_cmp_eq_u16_e64 s[4:5], s36, v8
	s_mov_b64 s[26:27], -1
                                        ; implicit-def: $sgpr38
	s_and_saveexec_b64 s[30:31], s[4:5]
; %bb.423:                              ;   in Loop: Header=BB294_13 Depth=1
	s_mov_b32 s38, 0x7fc02000
	s_xor_b64 s[26:27], exec, -1
; %bb.424:                              ;   in Loop: Header=BB294_13 Depth=1
	s_or_b64 exec, exec, s[30:31]
	s_and_b64 s[26:27], s[26:27], exec
	s_or_saveexec_b64 s[28:29], s[28:29]
	v_mov_b32_e32 v31, s38
	s_xor_b64 exec, exec, s[28:29]
	s_cbranch_execz .LBB294_194
.LBB294_425:                            ;   in Loop: Header=BB294_13 Depth=1
	v_cmp_ne_u16_e64 s[4:5], 0, v8
	s_andn2_b64 s[26:27], s[26:27], exec
	s_and_b64 s[4:5], s[4:5], exec
	v_mov_b32_e32 v31, 0
	s_or_b64 s[26:27], s[26:27], s[4:5]
	s_or_b64 exec, exec, s[28:29]
	s_and_saveexec_b64 s[28:29], s[26:27]
	s_cbranch_execnz .LBB294_195
	s_branch .LBB294_196
.LBB294_426:                            ;   in Loop: Header=BB294_13 Depth=1
	v_cmp_eq_u16_sdwa s[38:39], v8, s36 src0_sel:BYTE_0 src1_sel:DWORD
	s_mov_b64 s[4:5], -1
                                        ; implicit-def: $sgpr30
	s_and_saveexec_b64 s[28:29], s[38:39]
; %bb.427:                              ;   in Loop: Header=BB294_13 Depth=1
	s_mov_b32 s30, 0x7fc02000
	s_xor_b64 s[4:5], exec, -1
; %bb.428:                              ;   in Loop: Header=BB294_13 Depth=1
	s_or_b64 exec, exec, s[28:29]
	s_and_b64 s[4:5], s[4:5], exec
	s_or_saveexec_b64 s[26:27], s[26:27]
	v_mov_b32_e32 v22, s30
	s_xor_b64 exec, exec, s[26:27]
	s_cbranch_execz .LBB294_198
.LBB294_429:                            ;   in Loop: Header=BB294_13 Depth=1
	v_cmp_ne_u16_sdwa s[28:29], v8, v9 src0_sel:BYTE_0 src1_sel:DWORD
	s_andn2_b64 s[4:5], s[4:5], exec
	s_and_b64 s[28:29], s[28:29], exec
	v_mov_b32_e32 v22, 0
	s_or_b64 s[4:5], s[4:5], s[28:29]
	s_or_b64 exec, exec, s[26:27]
	s_and_saveexec_b64 s[26:27], s[4:5]
	s_cbranch_execnz .LBB294_199
	s_branch .LBB294_200
.LBB294_430:                            ;   in Loop: Header=BB294_13 Depth=1
	v_cmp_eq_u16_e64 s[4:5], s36, v8
	s_mov_b64 s[26:27], -1
                                        ; implicit-def: $sgpr38
	s_and_saveexec_b64 s[30:31], s[4:5]
; %bb.431:                              ;   in Loop: Header=BB294_13 Depth=1
	s_mov_b32 s38, 0x7fc02000
	s_xor_b64 s[26:27], exec, -1
; %bb.432:                              ;   in Loop: Header=BB294_13 Depth=1
	s_or_b64 exec, exec, s[30:31]
	s_and_b64 s[26:27], s[26:27], exec
	s_or_saveexec_b64 s[28:29], s[28:29]
	v_mov_b32_e32 v25, s38
	s_xor_b64 exec, exec, s[28:29]
	s_cbranch_execz .LBB294_202
.LBB294_433:                            ;   in Loop: Header=BB294_13 Depth=1
	v_cmp_ne_u16_e64 s[4:5], 0, v8
	s_andn2_b64 s[26:27], s[26:27], exec
	s_and_b64 s[4:5], s[4:5], exec
	v_mov_b32_e32 v25, 0
	s_or_b64 s[26:27], s[26:27], s[4:5]
	s_or_b64 exec, exec, s[28:29]
	s_and_saveexec_b64 s[28:29], s[26:27]
	s_cbranch_execnz .LBB294_203
	s_branch .LBB294_204
.LBB294_434:                            ;   in Loop: Header=BB294_13 Depth=1
	v_cmp_eq_u16_sdwa s[38:39], v50, s36 src0_sel:BYTE_0 src1_sel:DWORD
	s_mov_b64 s[4:5], -1
                                        ; implicit-def: $sgpr30
	s_and_saveexec_b64 s[28:29], s[38:39]
; %bb.435:                              ;   in Loop: Header=BB294_13 Depth=1
	s_mov_b32 s30, 0x7fc02000
	s_xor_b64 s[4:5], exec, -1
; %bb.436:                              ;   in Loop: Header=BB294_13 Depth=1
	s_or_b64 exec, exec, s[28:29]
	s_and_b64 s[4:5], s[4:5], exec
	s_or_saveexec_b64 s[26:27], s[26:27]
	v_mov_b32_e32 v27, s30
	s_xor_b64 exec, exec, s[26:27]
	s_cbranch_execz .LBB294_206
.LBB294_437:                            ;   in Loop: Header=BB294_13 Depth=1
	v_cmp_ne_u16_sdwa s[28:29], v50, v9 src0_sel:BYTE_0 src1_sel:DWORD
	s_andn2_b64 s[4:5], s[4:5], exec
	s_and_b64 s[28:29], s[28:29], exec
	v_mov_b32_e32 v27, 0
	s_or_b64 s[4:5], s[4:5], s[28:29]
	s_or_b64 exec, exec, s[26:27]
	s_and_saveexec_b64 s[26:27], s[4:5]
	s_cbranch_execnz .LBB294_207
	s_branch .LBB294_208
.LBB294_438:                            ;   in Loop: Header=BB294_13 Depth=1
	v_cmp_eq_u16_e64 s[4:5], s36, v8
	s_mov_b64 s[26:27], -1
                                        ; implicit-def: $sgpr38
	s_and_saveexec_b64 s[30:31], s[4:5]
; %bb.439:                              ;   in Loop: Header=BB294_13 Depth=1
	s_mov_b32 s38, 0x7fc02000
	s_xor_b64 s[26:27], exec, -1
; %bb.440:                              ;   in Loop: Header=BB294_13 Depth=1
	s_or_b64 exec, exec, s[30:31]
	s_and_b64 s[26:27], s[26:27], exec
	s_or_saveexec_b64 s[28:29], s[28:29]
	v_mov_b32_e32 v26, s38
	s_xor_b64 exec, exec, s[28:29]
	s_cbranch_execz .LBB294_210
.LBB294_441:                            ;   in Loop: Header=BB294_13 Depth=1
	v_cmp_ne_u16_e64 s[4:5], 0, v8
	s_andn2_b64 s[26:27], s[26:27], exec
	s_and_b64 s[4:5], s[4:5], exec
	v_mov_b32_e32 v26, 0
	s_or_b64 s[26:27], s[26:27], s[4:5]
	s_or_b64 exec, exec, s[28:29]
	s_and_saveexec_b64 s[28:29], s[26:27]
	s_cbranch_execnz .LBB294_211
	s_branch .LBB294_212
.LBB294_442:                            ;   in Loop: Header=BB294_13 Depth=1
	v_cmp_eq_u16_sdwa s[38:39], v8, s36 src0_sel:BYTE_0 src1_sel:DWORD
	s_mov_b64 s[4:5], -1
                                        ; implicit-def: $sgpr30
	s_and_saveexec_b64 s[28:29], s[38:39]
; %bb.443:                              ;   in Loop: Header=BB294_13 Depth=1
	s_mov_b32 s30, 0x7fc02000
	s_xor_b64 s[4:5], exec, -1
; %bb.444:                              ;   in Loop: Header=BB294_13 Depth=1
	s_or_b64 exec, exec, s[28:29]
	s_and_b64 s[4:5], s[4:5], exec
	s_or_saveexec_b64 s[26:27], s[26:27]
	v_mov_b32_e32 v40, s30
	s_xor_b64 exec, exec, s[26:27]
	s_cbranch_execz .LBB294_214
.LBB294_445:                            ;   in Loop: Header=BB294_13 Depth=1
	v_cmp_ne_u16_sdwa s[28:29], v8, v9 src0_sel:BYTE_0 src1_sel:DWORD
	s_andn2_b64 s[4:5], s[4:5], exec
	s_and_b64 s[28:29], s[28:29], exec
	v_mov_b32_e32 v40, 0
	s_or_b64 s[4:5], s[4:5], s[28:29]
	s_or_b64 exec, exec, s[26:27]
	s_and_saveexec_b64 s[26:27], s[4:5]
	s_cbranch_execnz .LBB294_215
	s_branch .LBB294_216
.LBB294_446:                            ;   in Loop: Header=BB294_13 Depth=1
	v_cmp_eq_u16_e64 s[4:5], s36, v8
	s_mov_b64 s[26:27], -1
                                        ; implicit-def: $sgpr38
	s_and_saveexec_b64 s[30:31], s[4:5]
; %bb.447:                              ;   in Loop: Header=BB294_13 Depth=1
	s_mov_b32 s38, 0x7fc02000
	s_xor_b64 s[26:27], exec, -1
; %bb.448:                              ;   in Loop: Header=BB294_13 Depth=1
	s_or_b64 exec, exec, s[30:31]
	s_and_b64 s[26:27], s[26:27], exec
	s_or_saveexec_b64 s[28:29], s[28:29]
	v_mov_b32_e32 v62, s38
	s_xor_b64 exec, exec, s[28:29]
	s_cbranch_execz .LBB294_218
.LBB294_449:                            ;   in Loop: Header=BB294_13 Depth=1
	v_cmp_ne_u16_e64 s[4:5], 0, v8
	s_andn2_b64 s[26:27], s[26:27], exec
	s_and_b64 s[4:5], s[4:5], exec
	v_mov_b32_e32 v62, 0
	s_or_b64 s[26:27], s[26:27], s[4:5]
	s_or_b64 exec, exec, s[28:29]
	s_and_saveexec_b64 s[28:29], s[26:27]
	s_cbranch_execnz .LBB294_219
	s_branch .LBB294_220
.LBB294_450:                            ;   in Loop: Header=BB294_13 Depth=1
	v_cmp_eq_u16_sdwa s[38:39], v50, s36 src0_sel:BYTE_0 src1_sel:DWORD
	s_mov_b64 s[4:5], -1
                                        ; implicit-def: $sgpr30
	s_and_saveexec_b64 s[28:29], s[38:39]
; %bb.451:                              ;   in Loop: Header=BB294_13 Depth=1
	s_mov_b32 s30, 0x7fc02000
	s_xor_b64 s[4:5], exec, -1
; %bb.452:                              ;   in Loop: Header=BB294_13 Depth=1
	s_or_b64 exec, exec, s[28:29]
	s_and_b64 s[4:5], s[4:5], exec
	s_or_saveexec_b64 s[26:27], s[26:27]
	v_mov_b32_e32 v30, s30
	s_xor_b64 exec, exec, s[26:27]
	s_cbranch_execz .LBB294_222
.LBB294_453:                            ;   in Loop: Header=BB294_13 Depth=1
	v_cmp_ne_u16_sdwa s[28:29], v50, v9 src0_sel:BYTE_0 src1_sel:DWORD
	s_andn2_b64 s[4:5], s[4:5], exec
	s_and_b64 s[28:29], s[28:29], exec
	v_mov_b32_e32 v30, 0
	s_or_b64 s[4:5], s[4:5], s[28:29]
	s_or_b64 exec, exec, s[26:27]
	s_and_saveexec_b64 s[26:27], s[4:5]
	s_cbranch_execnz .LBB294_223
	s_branch .LBB294_224
.LBB294_454:                            ;   in Loop: Header=BB294_13 Depth=1
	v_cmp_eq_u16_e64 s[4:5], s36, v8
	s_mov_b64 s[26:27], -1
                                        ; implicit-def: $sgpr38
	s_and_saveexec_b64 s[30:31], s[4:5]
; %bb.455:                              ;   in Loop: Header=BB294_13 Depth=1
	s_mov_b32 s38, 0x7fc02000
	s_xor_b64 s[26:27], exec, -1
; %bb.456:                              ;   in Loop: Header=BB294_13 Depth=1
	s_or_b64 exec, exec, s[30:31]
	s_and_b64 s[26:27], s[26:27], exec
	s_or_saveexec_b64 s[28:29], s[28:29]
	v_mov_b32_e32 v43, s38
	s_xor_b64 exec, exec, s[28:29]
	s_cbranch_execz .LBB294_226
.LBB294_457:                            ;   in Loop: Header=BB294_13 Depth=1
	v_cmp_ne_u16_e64 s[4:5], 0, v8
	s_andn2_b64 s[26:27], s[26:27], exec
	s_and_b64 s[4:5], s[4:5], exec
	v_mov_b32_e32 v43, 0
	s_or_b64 s[26:27], s[26:27], s[4:5]
	s_or_b64 exec, exec, s[28:29]
	s_and_saveexec_b64 s[28:29], s[26:27]
	s_cbranch_execnz .LBB294_227
	s_branch .LBB294_228
.LBB294_458:                            ;   in Loop: Header=BB294_13 Depth=1
	v_cmp_eq_u16_sdwa s[38:39], v8, s36 src0_sel:BYTE_0 src1_sel:DWORD
	s_mov_b64 s[4:5], -1
                                        ; implicit-def: $sgpr30
	s_and_saveexec_b64 s[28:29], s[38:39]
; %bb.459:                              ;   in Loop: Header=BB294_13 Depth=1
	s_mov_b32 s30, 0x7fc02000
	s_xor_b64 s[4:5], exec, -1
; %bb.460:                              ;   in Loop: Header=BB294_13 Depth=1
	s_or_b64 exec, exec, s[28:29]
	s_and_b64 s[4:5], s[4:5], exec
	s_or_saveexec_b64 s[26:27], s[26:27]
	v_mov_b32_e32 v41, s30
	s_xor_b64 exec, exec, s[26:27]
	s_cbranch_execz .LBB294_230
.LBB294_461:                            ;   in Loop: Header=BB294_13 Depth=1
	v_cmp_ne_u16_sdwa s[28:29], v8, v9 src0_sel:BYTE_0 src1_sel:DWORD
	s_andn2_b64 s[4:5], s[4:5], exec
	s_and_b64 s[28:29], s[28:29], exec
	v_mov_b32_e32 v41, 0
	s_or_b64 s[4:5], s[4:5], s[28:29]
	s_or_b64 exec, exec, s[26:27]
	s_and_saveexec_b64 s[26:27], s[4:5]
	s_cbranch_execnz .LBB294_231
	s_branch .LBB294_232
.LBB294_462:                            ;   in Loop: Header=BB294_13 Depth=1
	v_cmp_eq_u16_e64 s[4:5], s36, v8
	s_mov_b64 s[26:27], -1
                                        ; implicit-def: $sgpr38
	s_and_saveexec_b64 s[30:31], s[4:5]
; %bb.463:                              ;   in Loop: Header=BB294_13 Depth=1
	s_mov_b32 s38, 0x7fc02000
	s_xor_b64 s[26:27], exec, -1
; %bb.464:                              ;   in Loop: Header=BB294_13 Depth=1
	s_or_b64 exec, exec, s[30:31]
	s_and_b64 s[26:27], s[26:27], exec
	s_or_saveexec_b64 s[28:29], s[28:29]
	v_mov_b32_e32 v48, s38
	s_xor_b64 exec, exec, s[28:29]
	s_cbranch_execz .LBB294_234
.LBB294_465:                            ;   in Loop: Header=BB294_13 Depth=1
	v_cmp_ne_u16_e64 s[4:5], 0, v8
	s_andn2_b64 s[26:27], s[26:27], exec
	s_and_b64 s[4:5], s[4:5], exec
	v_mov_b32_e32 v48, 0
	s_or_b64 s[26:27], s[26:27], s[4:5]
	s_or_b64 exec, exec, s[28:29]
	s_and_saveexec_b64 s[28:29], s[26:27]
	s_cbranch_execnz .LBB294_235
	s_branch .LBB294_236
.LBB294_466:                            ;   in Loop: Header=BB294_13 Depth=1
	v_cmp_eq_u16_sdwa s[38:39], v50, s36 src0_sel:BYTE_0 src1_sel:DWORD
	s_mov_b64 s[4:5], -1
                                        ; implicit-def: $sgpr30
	s_and_saveexec_b64 s[28:29], s[38:39]
; %bb.467:                              ;   in Loop: Header=BB294_13 Depth=1
	s_mov_b32 s30, 0x7fc02000
	s_xor_b64 s[4:5], exec, -1
; %bb.468:                              ;   in Loop: Header=BB294_13 Depth=1
	s_or_b64 exec, exec, s[28:29]
	s_and_b64 s[4:5], s[4:5], exec
	s_or_saveexec_b64 s[26:27], s[26:27]
	v_mov_b32_e32 v56, s30
	s_xor_b64 exec, exec, s[26:27]
	s_cbranch_execz .LBB294_238
.LBB294_469:                            ;   in Loop: Header=BB294_13 Depth=1
	v_cmp_ne_u16_sdwa s[28:29], v50, v9 src0_sel:BYTE_0 src1_sel:DWORD
	s_andn2_b64 s[4:5], s[4:5], exec
	s_and_b64 s[28:29], s[28:29], exec
	v_mov_b32_e32 v56, 0
	s_or_b64 s[4:5], s[4:5], s[28:29]
	s_or_b64 exec, exec, s[26:27]
	s_and_saveexec_b64 s[26:27], s[4:5]
	s_cbranch_execnz .LBB294_239
	s_branch .LBB294_240
.LBB294_470:                            ;   in Loop: Header=BB294_13 Depth=1
	v_cmp_eq_u16_e64 s[4:5], s36, v8
	s_mov_b64 s[26:27], -1
                                        ; implicit-def: $sgpr38
	s_and_saveexec_b64 s[30:31], s[4:5]
; %bb.471:                              ;   in Loop: Header=BB294_13 Depth=1
	s_mov_b32 s38, 0x7fc02000
	s_xor_b64 s[26:27], exec, -1
; %bb.472:                              ;   in Loop: Header=BB294_13 Depth=1
	s_or_b64 exec, exec, s[30:31]
	s_and_b64 s[26:27], s[26:27], exec
	s_or_saveexec_b64 s[28:29], s[28:29]
	v_mov_b32_e32 v5, s38
	s_xor_b64 exec, exec, s[28:29]
	s_cbranch_execz .LBB294_242
.LBB294_473:                            ;   in Loop: Header=BB294_13 Depth=1
	v_cmp_ne_u16_e64 s[4:5], 0, v8
	s_andn2_b64 s[26:27], s[26:27], exec
	s_and_b64 s[4:5], s[4:5], exec
	v_mov_b32_e32 v5, 0
	s_or_b64 s[26:27], s[26:27], s[4:5]
	s_or_b64 exec, exec, s[28:29]
	s_and_saveexec_b64 s[28:29], s[26:27]
	s_cbranch_execnz .LBB294_243
	s_branch .LBB294_244
.LBB294_474:                            ;   in Loop: Header=BB294_13 Depth=1
	v_cmp_eq_u16_sdwa s[38:39], v8, s36 src0_sel:BYTE_0 src1_sel:DWORD
	s_mov_b64 s[4:5], -1
                                        ; implicit-def: $sgpr30
	s_and_saveexec_b64 s[28:29], s[38:39]
; %bb.475:                              ;   in Loop: Header=BB294_13 Depth=1
	s_mov_b32 s30, 0x7fc02000
	s_xor_b64 s[4:5], exec, -1
; %bb.476:                              ;   in Loop: Header=BB294_13 Depth=1
	s_or_b64 exec, exec, s[28:29]
	s_and_b64 s[4:5], s[4:5], exec
	s_or_saveexec_b64 s[26:27], s[26:27]
	v_mov_b32_e32 v28, s30
	s_xor_b64 exec, exec, s[26:27]
	s_cbranch_execz .LBB294_246
.LBB294_477:                            ;   in Loop: Header=BB294_13 Depth=1
	v_cmp_ne_u16_sdwa s[28:29], v8, v9 src0_sel:BYTE_0 src1_sel:DWORD
	s_andn2_b64 s[4:5], s[4:5], exec
	s_and_b64 s[28:29], s[28:29], exec
	v_mov_b32_e32 v28, 0
	s_or_b64 s[4:5], s[4:5], s[28:29]
	s_or_b64 exec, exec, s[26:27]
	s_and_saveexec_b64 s[26:27], s[4:5]
	s_cbranch_execnz .LBB294_247
	s_branch .LBB294_248
.LBB294_478:                            ;   in Loop: Header=BB294_13 Depth=1
	v_cmp_eq_u16_e64 s[4:5], s36, v8
	s_mov_b64 s[26:27], -1
                                        ; implicit-def: $sgpr38
	s_and_saveexec_b64 s[30:31], s[4:5]
; %bb.479:                              ;   in Loop: Header=BB294_13 Depth=1
	s_mov_b32 s38, 0x7fc02000
	s_xor_b64 s[26:27], exec, -1
; %bb.480:                              ;   in Loop: Header=BB294_13 Depth=1
	s_or_b64 exec, exec, s[30:31]
	s_and_b64 s[26:27], s[26:27], exec
	s_or_saveexec_b64 s[28:29], s[28:29]
	v_mov_b32_e32 v29, s38
	s_xor_b64 exec, exec, s[28:29]
	s_cbranch_execz .LBB294_250
.LBB294_481:                            ;   in Loop: Header=BB294_13 Depth=1
	v_cmp_ne_u16_e64 s[4:5], 0, v8
	s_andn2_b64 s[26:27], s[26:27], exec
	s_and_b64 s[4:5], s[4:5], exec
	v_mov_b32_e32 v29, 0
	s_or_b64 s[26:27], s[26:27], s[4:5]
	s_or_b64 exec, exec, s[28:29]
	s_and_saveexec_b64 s[28:29], s[26:27]
	s_cbranch_execnz .LBB294_251
	s_branch .LBB294_252
.LBB294_482:                            ;   in Loop: Header=BB294_13 Depth=1
	v_cmp_eq_u16_sdwa s[38:39], v50, s36 src0_sel:BYTE_0 src1_sel:DWORD
	s_mov_b64 s[4:5], -1
                                        ; implicit-def: $sgpr30
	s_and_saveexec_b64 s[28:29], s[38:39]
; %bb.483:                              ;   in Loop: Header=BB294_13 Depth=1
	s_mov_b32 s30, 0x7fc02000
	s_xor_b64 s[4:5], exec, -1
; %bb.484:                              ;   in Loop: Header=BB294_13 Depth=1
	s_or_b64 exec, exec, s[28:29]
	s_and_b64 s[4:5], s[4:5], exec
	s_or_saveexec_b64 s[26:27], s[26:27]
	v_mov_b32_e32 v17, s30
	s_xor_b64 exec, exec, s[26:27]
	s_cbranch_execz .LBB294_254
.LBB294_485:                            ;   in Loop: Header=BB294_13 Depth=1
	v_cmp_ne_u16_sdwa s[28:29], v50, v9 src0_sel:BYTE_0 src1_sel:DWORD
	s_andn2_b64 s[4:5], s[4:5], exec
	s_and_b64 s[28:29], s[28:29], exec
	v_mov_b32_e32 v17, 0
	s_or_b64 s[4:5], s[4:5], s[28:29]
	s_or_b64 exec, exec, s[26:27]
	s_and_saveexec_b64 s[26:27], s[4:5]
	s_cbranch_execnz .LBB294_255
	s_branch .LBB294_256
.LBB294_486:                            ;   in Loop: Header=BB294_13 Depth=1
	v_cmp_eq_u16_e64 s[4:5], s36, v8
	s_mov_b64 s[26:27], -1
                                        ; implicit-def: $sgpr38
	s_and_saveexec_b64 s[30:31], s[4:5]
; %bb.487:                              ;   in Loop: Header=BB294_13 Depth=1
	s_mov_b32 s38, 0x7fc02000
	s_xor_b64 s[26:27], exec, -1
; %bb.488:                              ;   in Loop: Header=BB294_13 Depth=1
	s_or_b64 exec, exec, s[30:31]
	s_and_b64 s[26:27], s[26:27], exec
	s_or_saveexec_b64 s[28:29], s[28:29]
	v_mov_b32_e32 v20, s38
	s_xor_b64 exec, exec, s[28:29]
	s_cbranch_execz .LBB294_258
.LBB294_489:                            ;   in Loop: Header=BB294_13 Depth=1
	v_cmp_ne_u16_e64 s[4:5], 0, v8
	s_andn2_b64 s[26:27], s[26:27], exec
	s_and_b64 s[4:5], s[4:5], exec
	v_mov_b32_e32 v20, 0
	s_or_b64 s[26:27], s[26:27], s[4:5]
	s_or_b64 exec, exec, s[28:29]
	s_and_saveexec_b64 s[28:29], s[26:27]
	s_cbranch_execnz .LBB294_259
	s_branch .LBB294_260
.LBB294_490:                            ;   in Loop: Header=BB294_13 Depth=1
	v_cmp_eq_u16_sdwa s[38:39], v8, s36 src0_sel:BYTE_0 src1_sel:DWORD
	s_mov_b64 s[4:5], -1
                                        ; implicit-def: $sgpr30
	s_and_saveexec_b64 s[28:29], s[38:39]
; %bb.491:                              ;   in Loop: Header=BB294_13 Depth=1
	s_mov_b32 s30, 0x7fc02000
	s_xor_b64 s[4:5], exec, -1
; %bb.492:                              ;   in Loop: Header=BB294_13 Depth=1
	s_or_b64 exec, exec, s[28:29]
	s_and_b64 s[4:5], s[4:5], exec
	s_or_saveexec_b64 s[26:27], s[26:27]
	v_mov_b32_e32 v21, s30
	s_xor_b64 exec, exec, s[26:27]
	s_cbranch_execz .LBB294_262
.LBB294_493:                            ;   in Loop: Header=BB294_13 Depth=1
	v_cmp_ne_u16_sdwa s[28:29], v8, v9 src0_sel:BYTE_0 src1_sel:DWORD
	s_andn2_b64 s[4:5], s[4:5], exec
	s_and_b64 s[28:29], s[28:29], exec
	v_mov_b32_e32 v21, 0
	s_or_b64 s[4:5], s[4:5], s[28:29]
	s_or_b64 exec, exec, s[26:27]
	s_and_saveexec_b64 s[26:27], s[4:5]
	s_cbranch_execnz .LBB294_263
	s_branch .LBB294_264
.LBB294_494:                            ;   in Loop: Header=BB294_13 Depth=1
	v_cmp_eq_u16_e64 s[4:5], s36, v8
	s_mov_b64 s[26:27], -1
                                        ; implicit-def: $sgpr38
	s_and_saveexec_b64 s[30:31], s[4:5]
; %bb.495:                              ;   in Loop: Header=BB294_13 Depth=1
	s_mov_b32 s38, 0x7fc02000
	s_xor_b64 s[26:27], exec, -1
; %bb.496:                              ;   in Loop: Header=BB294_13 Depth=1
	s_or_b64 exec, exec, s[30:31]
	s_and_b64 s[26:27], s[26:27], exec
	s_or_saveexec_b64 s[28:29], s[28:29]
	v_mov_b32_e32 v13, s38
	s_xor_b64 exec, exec, s[28:29]
	s_cbranch_execz .LBB294_266
.LBB294_497:                            ;   in Loop: Header=BB294_13 Depth=1
	v_cmp_ne_u16_e64 s[4:5], 0, v8
	s_andn2_b64 s[26:27], s[26:27], exec
	s_and_b64 s[4:5], s[4:5], exec
	v_mov_b32_e32 v13, 0
	s_or_b64 s[26:27], s[26:27], s[4:5]
	s_or_b64 exec, exec, s[28:29]
	s_and_saveexec_b64 s[28:29], s[26:27]
	s_cbranch_execnz .LBB294_267
	s_branch .LBB294_268
.LBB294_498:                            ;   in Loop: Header=BB294_13 Depth=1
	v_cmp_eq_u16_sdwa s[38:39], v50, s36 src0_sel:BYTE_0 src1_sel:DWORD
	s_mov_b64 s[4:5], -1
                                        ; implicit-def: $sgpr30
	s_and_saveexec_b64 s[28:29], s[38:39]
; %bb.499:                              ;   in Loop: Header=BB294_13 Depth=1
	s_mov_b32 s30, 0x7fc02000
	s_xor_b64 s[4:5], exec, -1
; %bb.500:                              ;   in Loop: Header=BB294_13 Depth=1
	s_or_b64 exec, exec, s[28:29]
	s_and_b64 s[4:5], s[4:5], exec
	s_or_saveexec_b64 s[26:27], s[26:27]
	v_mov_b32_e32 v16, s30
	s_xor_b64 exec, exec, s[26:27]
	s_cbranch_execz .LBB294_270
.LBB294_501:                            ;   in Loop: Header=BB294_13 Depth=1
	v_cmp_ne_u16_sdwa s[28:29], v50, v9 src0_sel:BYTE_0 src1_sel:DWORD
	s_andn2_b64 s[4:5], s[4:5], exec
	s_and_b64 s[28:29], s[28:29], exec
	v_mov_b32_e32 v16, 0
	s_or_b64 s[4:5], s[4:5], s[28:29]
	s_or_b64 exec, exec, s[26:27]
	s_and_saveexec_b64 s[26:27], s[4:5]
	s_cbranch_execnz .LBB294_271
	s_branch .LBB294_272
.LBB294_502:                            ;   in Loop: Header=BB294_13 Depth=1
	v_cmp_eq_u16_e64 s[4:5], s36, v8
	s_mov_b64 s[26:27], -1
                                        ; implicit-def: $sgpr38
	s_and_saveexec_b64 s[30:31], s[4:5]
; %bb.503:                              ;   in Loop: Header=BB294_13 Depth=1
	s_mov_b32 s38, 0x7fc02000
	s_xor_b64 s[26:27], exec, -1
; %bb.504:                              ;   in Loop: Header=BB294_13 Depth=1
	s_or_b64 exec, exec, s[30:31]
	s_and_b64 s[26:27], s[26:27], exec
	s_or_saveexec_b64 s[28:29], s[28:29]
	v_mov_b32_e32 v18, s38
	s_xor_b64 exec, exec, s[28:29]
	s_cbranch_execz .LBB294_274
.LBB294_505:                            ;   in Loop: Header=BB294_13 Depth=1
	v_cmp_ne_u16_e64 s[4:5], 0, v8
	s_andn2_b64 s[26:27], s[26:27], exec
	s_and_b64 s[4:5], s[4:5], exec
	v_mov_b32_e32 v18, 0
	s_or_b64 s[26:27], s[26:27], s[4:5]
	s_or_b64 exec, exec, s[28:29]
	s_and_saveexec_b64 s[28:29], s[26:27]
	s_cbranch_execnz .LBB294_275
	s_branch .LBB294_276
.LBB294_506:                            ;   in Loop: Header=BB294_13 Depth=1
	v_cmp_eq_u16_sdwa s[38:39], v8, s36 src0_sel:BYTE_0 src1_sel:DWORD
	s_mov_b64 s[4:5], -1
                                        ; implicit-def: $sgpr30
	s_and_saveexec_b64 s[28:29], s[38:39]
; %bb.507:                              ;   in Loop: Header=BB294_13 Depth=1
	s_mov_b32 s30, 0x7fc02000
	s_xor_b64 s[4:5], exec, -1
; %bb.508:                              ;   in Loop: Header=BB294_13 Depth=1
	s_or_b64 exec, exec, s[28:29]
	s_and_b64 s[4:5], s[4:5], exec
	s_or_saveexec_b64 s[26:27], s[26:27]
	v_mov_b32_e32 v1, s30
	s_xor_b64 exec, exec, s[26:27]
	s_cbranch_execz .LBB294_278
.LBB294_509:                            ;   in Loop: Header=BB294_13 Depth=1
	v_cmp_ne_u16_sdwa s[28:29], v8, v9 src0_sel:BYTE_0 src1_sel:DWORD
	s_andn2_b64 s[4:5], s[4:5], exec
	s_and_b64 s[28:29], s[28:29], exec
	v_mov_b32_e32 v1, 0
	s_or_b64 s[4:5], s[4:5], s[28:29]
	s_or_b64 exec, exec, s[26:27]
	s_and_saveexec_b64 s[26:27], s[4:5]
	s_cbranch_execnz .LBB294_279
	s_branch .LBB294_280
.LBB294_510:                            ;   in Loop: Header=BB294_13 Depth=1
	v_cmp_eq_u16_e64 s[4:5], s36, v8
	s_mov_b64 s[26:27], -1
                                        ; implicit-def: $sgpr38
	s_and_saveexec_b64 s[30:31], s[4:5]
; %bb.511:                              ;   in Loop: Header=BB294_13 Depth=1
	s_mov_b32 s38, 0x7fc02000
	s_xor_b64 s[26:27], exec, -1
; %bb.512:                              ;   in Loop: Header=BB294_13 Depth=1
	s_or_b64 exec, exec, s[30:31]
	s_and_b64 s[26:27], s[26:27], exec
	s_or_saveexec_b64 s[28:29], s[28:29]
	v_mov_b32_e32 v3, s38
	s_xor_b64 exec, exec, s[28:29]
	s_cbranch_execz .LBB294_282
.LBB294_513:                            ;   in Loop: Header=BB294_13 Depth=1
	v_cmp_ne_u16_e64 s[4:5], 0, v8
	s_andn2_b64 s[26:27], s[26:27], exec
	s_and_b64 s[4:5], s[4:5], exec
	v_mov_b32_e32 v3, 0
	s_or_b64 s[26:27], s[26:27], s[4:5]
	s_or_b64 exec, exec, s[28:29]
	s_and_saveexec_b64 s[28:29], s[26:27]
	s_cbranch_execnz .LBB294_283
	s_branch .LBB294_284
.LBB294_514:                            ;   in Loop: Header=BB294_13 Depth=1
	v_cmp_eq_u16_sdwa s[38:39], v38, s36 src0_sel:BYTE_0 src1_sel:DWORD
	s_mov_b64 s[4:5], -1
                                        ; implicit-def: $sgpr30
	s_and_saveexec_b64 s[28:29], s[38:39]
; %bb.515:                              ;   in Loop: Header=BB294_13 Depth=1
	s_mov_b32 s30, 0x7fc02000
	s_xor_b64 s[4:5], exec, -1
; %bb.516:                              ;   in Loop: Header=BB294_13 Depth=1
	s_or_b64 exec, exec, s[28:29]
	s_and_b64 s[4:5], s[4:5], exec
	s_or_saveexec_b64 s[26:27], s[26:27]
	v_mov_b32_e32 v50, s30
	s_xor_b64 exec, exec, s[26:27]
	s_cbranch_execz .LBB294_286
.LBB294_517:                            ;   in Loop: Header=BB294_13 Depth=1
	v_cmp_ne_u16_sdwa s[28:29], v38, v9 src0_sel:BYTE_0 src1_sel:DWORD
	s_andn2_b64 s[4:5], s[4:5], exec
	s_and_b64 s[28:29], s[28:29], exec
	v_mov_b32_e32 v50, 0
	s_or_b64 s[4:5], s[4:5], s[28:29]
	s_or_b64 exec, exec, s[26:27]
	s_and_saveexec_b64 s[26:27], s[4:5]
	s_cbranch_execnz .LBB294_287
	s_branch .LBB294_288
.LBB294_518:                            ;   in Loop: Header=BB294_13 Depth=1
	v_cmp_eq_u16_e64 s[4:5], s36, v8
	s_mov_b64 s[26:27], -1
                                        ; implicit-def: $sgpr38
	s_and_saveexec_b64 s[30:31], s[4:5]
; %bb.519:                              ;   in Loop: Header=BB294_13 Depth=1
	s_mov_b32 s38, 0x7fc02000
	s_xor_b64 s[26:27], exec, -1
; %bb.520:                              ;   in Loop: Header=BB294_13 Depth=1
	s_or_b64 exec, exec, s[30:31]
	s_and_b64 s[26:27], s[26:27], exec
	s_or_saveexec_b64 s[28:29], s[28:29]
	v_mov_b32_e32 v6, s38
	s_xor_b64 exec, exec, s[28:29]
	s_cbranch_execz .LBB294_290
.LBB294_521:                            ;   in Loop: Header=BB294_13 Depth=1
	v_cmp_ne_u16_e64 s[4:5], 0, v8
	s_andn2_b64 s[26:27], s[26:27], exec
	s_and_b64 s[4:5], s[4:5], exec
	v_mov_b32_e32 v6, 0
	s_or_b64 s[26:27], s[26:27], s[4:5]
	s_or_b64 exec, exec, s[28:29]
	s_and_saveexec_b64 s[28:29], s[26:27]
	s_cbranch_execnz .LBB294_291
	s_branch .LBB294_292
.LBB294_522:                            ;   in Loop: Header=BB294_13 Depth=1
	v_cmp_eq_u16_sdwa s[38:39], v8, s36 src0_sel:BYTE_0 src1_sel:DWORD
	s_mov_b64 s[4:5], -1
                                        ; implicit-def: $sgpr30
	s_and_saveexec_b64 s[28:29], s[38:39]
; %bb.523:                              ;   in Loop: Header=BB294_13 Depth=1
	s_mov_b32 s30, 0x7fc02000
	s_xor_b64 s[4:5], exec, -1
; %bb.524:                              ;   in Loop: Header=BB294_13 Depth=1
	s_or_b64 exec, exec, s[28:29]
	s_and_b64 s[4:5], s[4:5], exec
	s_or_saveexec_b64 s[26:27], s[26:27]
	v_mov_b32_e32 v24, s30
	s_xor_b64 exec, exec, s[26:27]
	s_cbranch_execz .LBB294_294
.LBB294_525:                            ;   in Loop: Header=BB294_13 Depth=1
	v_cmp_ne_u16_sdwa s[28:29], v8, v9 src0_sel:BYTE_0 src1_sel:DWORD
	s_andn2_b64 s[4:5], s[4:5], exec
	s_and_b64 s[28:29], s[28:29], exec
	v_mov_b32_e32 v24, 0
	s_or_b64 s[4:5], s[4:5], s[28:29]
	s_or_b64 exec, exec, s[26:27]
	s_and_saveexec_b64 s[26:27], s[4:5]
	s_cbranch_execnz .LBB294_295
	s_branch .LBB294_296
.LBB294_526:                            ;   in Loop: Header=BB294_13 Depth=1
	v_cmp_eq_u16_e64 s[4:5], s36, v8
	s_mov_b64 s[26:27], -1
                                        ; implicit-def: $sgpr38
	s_and_saveexec_b64 s[30:31], s[4:5]
; %bb.527:                              ;   in Loop: Header=BB294_13 Depth=1
	s_mov_b32 s38, 0x7fc02000
	s_xor_b64 s[26:27], exec, -1
; %bb.528:                              ;   in Loop: Header=BB294_13 Depth=1
	s_or_b64 exec, exec, s[30:31]
	s_and_b64 s[26:27], s[26:27], exec
	s_or_saveexec_b64 s[28:29], s[28:29]
	v_mov_b32_e32 v55, s38
	s_xor_b64 exec, exec, s[28:29]
	s_cbranch_execz .LBB294_298
.LBB294_529:                            ;   in Loop: Header=BB294_13 Depth=1
	v_cmp_ne_u16_e64 s[4:5], 0, v8
	s_andn2_b64 s[26:27], s[26:27], exec
	s_and_b64 s[4:5], s[4:5], exec
	v_mov_b32_e32 v55, 0
	s_or_b64 s[26:27], s[26:27], s[4:5]
	s_or_b64 exec, exec, s[28:29]
	v_accvgpr_write_b32 a50, v45
	s_and_saveexec_b64 s[28:29], s[26:27]
	s_cbranch_execnz .LBB294_299
	s_branch .LBB294_300
.LBB294_530:
	s_or_b64 exec, exec, s[24:25]
	scratch_load_dword v22, off, s32 offset:232 ; 4-byte Folded Reload
	scratch_load_dwordx2 v[28:29], off, s32 offset:236 ; 8-byte Folded Reload
	scratch_load_dword v23, off, s32 offset:244 ; 4-byte Folded Reload
	scratch_load_dword v6, off, s32 offset:224 ; 4-byte Folded Reload
	v_accvgpr_read_b32 v14, a16
	v_accvgpr_read_b32 v25, a21
	;; [unrolled: 1-line block ×14, first 2 shown]
.LBB294_531:
	s_or_b64 exec, exec, s[8:9]
	v_mbcnt_hi_u32_b32 v0, -1, v4
	v_and_b32_e32 v1, 64, v0
	v_add_u32_e32 v1, 64, v1
	v_xor_b32_e32 v2, 32, v0
	v_cmp_lt_i32_e32 vcc, v2, v1
	v_xor_b32_e32 v5, 16, v0
	s_waitcnt vmcnt(0)
	v_max_f32_e32 v4, v6, v6
	v_cndmask_b32_e32 v2, v0, v2, vcc
	v_lshlrev_b32_e32 v2, 2, v2
	ds_bpermute_b32 v3, v2, v6
	v_cmp_lt_i32_e32 vcc, v5, v1
	v_xor_b32_e32 v6, 8, v0
	v_xor_b32_e32 v7, 4, v0
	;; [unrolled: 1-line block ×3, first 2 shown]
	s_waitcnt lgkmcnt(0)
	v_max_f32_e32 v3, v3, v3
	v_max_f32_e32 v4, v4, v3
	v_cndmask_b32_e32 v3, v0, v5, vcc
	v_lshlrev_b32_e32 v3, 2, v3
	ds_bpermute_b32 v5, v3, v4
	v_cmp_lt_i32_e32 vcc, v6, v1
	s_lshr_b32 s24, s34, 16
	s_waitcnt lgkmcnt(0)
	v_max_f32_e32 v5, v5, v5
	v_max_f32_e32 v5, v4, v5
	v_cndmask_b32_e32 v4, v0, v6, vcc
	v_lshlrev_b32_e32 v4, 2, v4
	ds_bpermute_b32 v6, v4, v5
	v_cmp_lt_i32_e32 vcc, v7, v1
	s_waitcnt lgkmcnt(0)
	v_max_f32_e32 v6, v6, v6
	v_max_f32_e32 v6, v5, v6
	v_cndmask_b32_e32 v5, v0, v7, vcc
	v_lshlrev_b32_e32 v5, 2, v5
	ds_bpermute_b32 v7, v5, v6
	v_cmp_lt_i32_e32 vcc, v8, v1
	s_waitcnt lgkmcnt(0)
	v_max_f32_e32 v7, v7, v7
	v_max_f32_e32 v7, v6, v7
	v_cndmask_b32_e32 v6, v0, v8, vcc
	v_lshlrev_b32_e32 v40, 2, v6
	ds_bpermute_b32 v8, v40, v7
	v_accvgpr_read_b32 v6, a2
	v_and_b32_e32 v53, 63, v6
	v_cmp_eq_u32_e32 vcc, 0, v53
	v_lshlrev_b32_e32 v6, 2, v21
	s_and_saveexec_b64 s[2:3], vcc
	s_cbranch_execz .LBB294_533
; %bb.532:
	s_waitcnt lgkmcnt(0)
	v_max_f32_e32 v8, v8, v8
	v_max_f32_e32 v7, v7, v7
	;; [unrolled: 1-line block ×3, first 2 shown]
	ds_write_b32 v6, v7 offset:256
.LBB294_533:
	s_or_b64 exec, exec, s[2:3]
	v_cmp_gt_u32_e64 s[2:3], 2, v53
	s_waitcnt lgkmcnt(0)
	v_mov_b32_e32 v8, 0xff7fffff
	v_lshlrev_b32_e32 v7, 2, v53
	s_barrier
	s_and_saveexec_b64 s[4:5], s[2:3]
	s_cbranch_execz .LBB294_535
; %bb.534:
	ds_read_b32 v8, v7 offset:256
.LBB294_535:
	s_or_b64 exec, exec, s[4:5]
	v_xor_b32_e32 v9, 1, v0
	v_cmp_lt_i32_e64 s[4:5], v9, v1
	v_accvgpr_read_b32 v10, a8
	s_nop 0
	v_cndmask_b32_e64 v1, v0, v9, s[4:5]
	v_lshlrev_b32_e32 v41, 2, v1
	s_waitcnt lgkmcnt(0)
	ds_bpermute_b32 v1, v41, v8
	v_max_f32_e32 v8, v8, v8
	v_lshlrev_b32_e32 v0, 2, v0
	v_accvgpr_read_b32 v9, a11
	v_subrev_u32_e32 v9, s19, v9
	s_waitcnt lgkmcnt(0)
	v_max_f32_e32 v1, v1, v1
	v_max_f32_e32 v1, v8, v1
	v_and_b32_e32 v8, 0x100, v0
	ds_bpermute_b32 v0, v8, v1
	v_lshl_add_u32 v9, v9, 5, s21
	v_min_i32_e32 v9, v9, v10
	v_subrev_u32_e32 v1, s21, v9
	v_accvgpr_read_b32 v10, a2
	v_cmp_lt_i32_e64 s[4:5], v10, v1
	v_mov_b32_e32 v10, 0
	s_and_saveexec_b64 s[8:9], s[4:5]
	s_cbranch_execz .LBB294_539
; %bb.536:
	s_ashr_i32 s11, s10, 31
	s_lshl_b64 s[6:7], s[10:11], 2
	s_getpc_b64 s[22:23]
	s_add_u32 s22, s22, llvm.amdgcn.dynlds.offset.table@rel32@lo+4
	s_addc_u32 s23, s23, llvm.amdgcn.dynlds.offset.table@rel32@hi+12
	s_add_u32 s6, s6, s22
	s_addc_u32 s7, s7, s23
	s_load_dword s6, s[6:7], 0x0
	v_accvgpr_read_b32 v12, a2
	s_mov_b64 s[22:23], 0
	v_mov_b32_e32 v10, 0
	s_waitcnt lgkmcnt(0)
	v_lshl_add_u32 v11, v12, 2, s6
.LBB294_537:                            ; =>This Inner Loop Header: Depth=1
	ds_read_b32 v13, v11
	v_add_u32_e32 v12, 0x80, v12
	v_cmp_ge_i32_e64 s[6:7], v12, v1
	s_or_b64 s[22:23], s[6:7], s[22:23]
	s_waitcnt lgkmcnt(0)
	v_sub_f32_e32 v13, v13, v0
	v_mul_f32_e32 v13, 0x3fb8aa3b, v13
	v_exp_f32_e32 v13, v13
	ds_write_b32 v11, v13
	v_add_f32_e32 v10, v10, v13
	v_add_u32_e32 v11, 0x200, v11
	s_andn2_b64 exec, exec, s[22:23]
	s_cbranch_execnz .LBB294_537
; %bb.538:
	s_or_b64 exec, exec, s[22:23]
.LBB294_539:
	s_or_b64 exec, exec, s[8:9]
	ds_bpermute_b32 v2, v2, v10
	s_waitcnt lgkmcnt(0)
	v_add_f32_e32 v2, v10, v2
	ds_bpermute_b32 v3, v3, v2
	s_waitcnt lgkmcnt(0)
	v_add_f32_e32 v2, v2, v3
	;; [unrolled: 3-line block ×6, first 2 shown]
	s_and_saveexec_b64 s[6:7], vcc
	s_cbranch_execz .LBB294_541
; %bb.540:
	ds_write_b32 v6, v2 offset:264
.LBB294_541:
	s_or_b64 exec, exec, s[6:7]
	s_waitcnt lgkmcnt(0)
	s_barrier
	s_and_saveexec_b64 s[6:7], s[2:3]
	s_cbranch_execz .LBB294_543
; %bb.542:
	ds_read_b32 v2, v7 offset:264
.LBB294_543:
	s_or_b64 exec, exec, s[6:7]
	s_waitcnt lgkmcnt(0)
	ds_bpermute_b32 v3, v41, v2
	s_waitcnt lgkmcnt(0)
	v_add_f32_e32 v2, v2, v3
	ds_bpermute_b32 v2, v8, v2
	s_and_saveexec_b64 s[2:3], s[4:5]
	s_cbranch_execz .LBB294_556
; %bb.544:
	s_waitcnt lgkmcnt(0)
	v_add_f32_e32 v3, 0x358637bd, v2
	v_div_scale_f32 v4, s[4:5], v3, v3, 1.0
	v_rcp_f32_e32 v5, v4
	v_div_scale_f32 v6, vcc, 1.0, v3, 1.0
	s_movk_i32 s4, 0x7f
	v_fma_f32 v7, -v4, v5, 1.0
	v_fmac_f32_e32 v5, v7, v5
	v_mul_f32_e32 v7, v6, v5
	v_fma_f32 v8, -v4, v7, v6
	v_fmac_f32_e32 v7, v8, v5
	v_fma_f32 v4, -v4, v7, v6
	v_div_fmas_f32 v4, v4, v5, v7
	v_accvgpr_read_b32 v5, a2
	v_div_fixup_f32 v8, v4, v3, 1.0
	v_xad_u32 v3, v5, -1, v9
	v_subrev_u32_e32 v4, s21, v3
	v_cmp_lt_u32_e32 vcc, s4, v4
	s_mov_b64 s[6:7], -1
	v_accvgpr_read_b32 v3, a2
	s_and_saveexec_b64 s[4:5], vcc
	s_cbranch_execz .LBB294_553
; %bb.545:
	v_lshrrev_b32_e32 v3, 7, v4
	v_add_u32_e32 v5, -1, v3
	v_lshrrev_b32_e32 v4, 1, v5
	v_mov_b32_e32 v9, v8
	v_add_u32_e32 v4, 1, v4
	v_cmp_lt_u32_e32 vcc, 13, v5
	v_mov_b32_e32 v7, 0
	s_and_saveexec_b64 s[6:7], vcc
	s_cbranch_execz .LBB294_549
; %bb.546:
	s_ashr_i32 s11, s10, 31
	s_lshl_b64 s[8:9], s[10:11], 2
	s_getpc_b64 s[22:23]
	s_add_u32 s22, s22, llvm.amdgcn.dynlds.offset.table@rel32@lo+4
	s_addc_u32 s23, s23, llvm.amdgcn.dynlds.offset.table@rel32@hi+12
	s_add_u32 s8, s8, s22
	s_addc_u32 s9, s9, s23
	s_load_dword s8, s[8:9], 0x0
	v_accvgpr_read_b32 v6, a2
	v_and_b32_e32 v5, -8, v4
	s_mov_b32 s11, 0
	s_waitcnt lgkmcnt(0)
	v_lshl_add_u32 v6, v6, 2, s8
	s_mov_b64 s[8:9], 0
.LBB294_547:                            ; =>This Inner Loop Header: Depth=1
	ds_read2st64_b32 v[10:11], v6 offset1:2
	ds_read2st64_b32 v[12:13], v6 offset0:4 offset1:6
	ds_read2st64_b32 v[18:19], v6 offset0:8 offset1:10
	;; [unrolled: 1-line block ×3, first 2 shown]
	v_add_u32_e32 v5, -8, v5
	s_waitcnt lgkmcnt(3)
	v_pk_mul_f32 v[10:11], v[8:9], v[10:11]
	s_waitcnt lgkmcnt(2)
	v_pk_mul_f32 v[12:13], v[8:9], v[12:13]
	ds_write2st64_b32 v6, v10, v11 offset1:2
	ds_write2st64_b32 v6, v12, v13 offset0:4 offset1:6
	ds_read2st64_b32 v[12:13], v6 offset0:16 offset1:18
	s_waitcnt lgkmcnt(4)
	v_pk_mul_f32 v[10:11], v[8:9], v[18:19]
	ds_write2st64_b32 v6, v10, v11 offset0:8 offset1:10
	s_waitcnt lgkmcnt(4)
	v_pk_mul_f32 v[10:11], v[8:9], v[16:17]
	ds_write2st64_b32 v6, v10, v11 offset0:12 offset1:14
	ds_read2st64_b32 v[10:11], v6 offset0:20 offset1:22
	s_waitcnt lgkmcnt(3)
	v_pk_mul_f32 v[12:13], v[8:9], v[12:13]
	ds_read2st64_b32 v[16:17], v6 offset0:24 offset1:26
	ds_write2st64_b32 v6, v12, v13 offset0:16 offset1:18
	ds_read2st64_b32 v[12:13], v6 offset0:28 offset1:30
	s_waitcnt lgkmcnt(3)
	v_pk_mul_f32 v[10:11], v[8:9], v[10:11]
	ds_write2st64_b32 v6, v10, v11 offset0:20 offset1:22
	s_waitcnt lgkmcnt(3)
	v_pk_mul_f32 v[10:11], v[8:9], v[16:17]
	ds_write2st64_b32 v6, v10, v11 offset0:24 offset1:26
	s_waitcnt lgkmcnt(2)
	v_pk_mul_f32 v[10:11], v[8:9], v[12:13]
	s_add_i32 s11, s11, 16
	v_cmp_eq_u32_e32 vcc, 0, v5
	ds_write2st64_b32 v6, v10, v11 offset0:28 offset1:30
	v_add_u32_e32 v6, 0x2000, v6
	s_or_b64 s[8:9], vcc, s[8:9]
	v_mov_b32_e32 v7, s11
	s_andn2_b64 exec, exec, s[8:9]
	s_cbranch_execnz .LBB294_547
; %bb.548:
	s_or_b64 exec, exec, s[8:9]
.LBB294_549:
	s_or_b64 exec, exec, s[6:7]
	v_and_b32_e32 v4, 7, v4
	v_cmp_ne_u32_e32 vcc, 0, v4
	s_and_saveexec_b64 s[6:7], vcc
	s_cbranch_execz .LBB294_552
; %bb.550:
	s_ashr_i32 s11, s10, 31
	s_lshl_b64 s[8:9], s[10:11], 2
	s_getpc_b64 s[22:23]
	s_add_u32 s22, s22, llvm.amdgcn.dynlds.offset.table@rel32@lo+4
	s_addc_u32 s23, s23, llvm.amdgcn.dynlds.offset.table@rel32@hi+12
	s_add_u32 s8, s8, s22
	s_addc_u32 s9, s9, s23
	s_load_dword s8, s[8:9], 0x0
	v_accvgpr_read_b32 v6, a2
	v_lshlrev_b32_e32 v5, 9, v7
	v_lshlrev_b32_e32 v6, 2, v6
	s_waitcnt lgkmcnt(0)
	v_add3_u32 v5, v5, v6, s8
	s_mov_b64 s[8:9], 0
.LBB294_551:                            ; =>This Inner Loop Header: Depth=1
	ds_read2st64_b32 v[6:7], v5 offset1:2
	v_add_u32_e32 v4, -1, v4
	v_cmp_eq_u32_e32 vcc, 0, v4
	s_or_b64 s[8:9], vcc, s[8:9]
	s_waitcnt lgkmcnt(0)
	v_pk_mul_f32 v[6:7], v[8:9], v[6:7]
	ds_write2st64_b32 v5, v6, v7 offset1:2
	v_add_u32_e32 v5, 0x400, v5
	s_andn2_b64 exec, exec, s[8:9]
	s_cbranch_execnz .LBB294_551
.LBB294_552:
	s_or_b64 exec, exec, s[6:7]
	v_add_u32_e32 v4, 1, v3
	v_and_b32_e32 v5, 0x3fffffe, v4
	v_accvgpr_read_b32 v3, a2
	v_cmp_ne_u32_e32 vcc, v4, v5
	v_lshl_add_u32 v3, v5, 7, v3
	s_orn2_b64 s[6:7], vcc, exec
.LBB294_553:
	s_or_b64 exec, exec, s[4:5]
	s_and_b64 exec, exec, s[6:7]
	s_cbranch_execz .LBB294_556
; %bb.554:
	s_ashr_i32 s11, s10, 31
	s_lshl_b64 s[4:5], s[10:11], 2
	s_getpc_b64 s[6:7]
	s_add_u32 s6, s6, llvm.amdgcn.dynlds.offset.table@rel32@lo+4
	s_addc_u32 s7, s7, llvm.amdgcn.dynlds.offset.table@rel32@hi+12
	s_add_u32 s4, s4, s6
	s_addc_u32 s5, s5, s7
	s_load_dword s4, s[4:5], 0x0
	s_waitcnt lgkmcnt(0)
	v_lshl_add_u32 v4, v3, 2, s4
	s_mov_b64 s[4:5], 0
.LBB294_555:                            ; =>This Inner Loop Header: Depth=1
	ds_read_b32 v5, v4
	v_add_u32_e32 v3, 0x80, v3
	v_cmp_ge_i32_e32 vcc, v3, v1
	s_or_b64 s[4:5], vcc, s[4:5]
	s_waitcnt lgkmcnt(0)
	v_mul_f32_e32 v5, v8, v5
	ds_write_b32 v4, v5
	v_add_u32_e32 v4, 0x200, v4
	s_andn2_b64 exec, exec, s[4:5]
	s_cbranch_execnz .LBB294_555
.LBB294_556:
	s_or_b64 exec, exec, s[2:3]
	v_cmp_ne_u16_e64 s[2:3], s24, 0
	s_cmp_lg_u64 s[2:3], 0
	s_addc_u32 s19, s13, 0
	v_accvgpr_read_b32 v1, a2
	s_mul_i32 s2, s19, s20
	v_cmp_eq_u32_e32 vcc, 0, v1
	s_mul_i32 s2, s2, s15
	s_waitcnt lgkmcnt(0)
	s_barrier
	s_and_saveexec_b64 s[4:5], vcc
	s_cbranch_execz .LBB294_558
; %bb.557:
	s_mul_i32 s8, s19, s12
	s_ashr_i32 s3, s2, 31
	s_ashr_i32 s9, s8, 31
	;; [unrolled: 1-line block ×3, first 2 shown]
	s_lshl_b64 s[6:7], s[2:3], 2
	s_lshl_b64 s[8:9], s[8:9], 2
	;; [unrolled: 1-line block ×3, first 2 shown]
	s_add_u32 s3, s12, s8
	s_addc_u32 s8, s13, s9
	s_add_u32 s6, s3, s6
	s_addc_u32 s7, s8, s7
	v_lshl_add_u64 v[4:5], s[6:7], 0, v[36:37]
	flat_store_dword v[4:5], v0
	v_lshl_add_u64 v[0:1], s[6:7], 0, v[26:27]
	flat_store_dword v[0:1], v2
.LBB294_558:
	s_or_b64 exec, exec, s[4:5]
	s_ashr_i32 s11, s10, 31
	s_lshl_b64 s[4:5], s[10:11], 2
	s_getpc_b64 s[6:7]
	s_add_u32 s6, s6, llvm.amdgcn.dynlds.offset.table@rel32@lo+4
	s_addc_u32 s7, s7, llvm.amdgcn.dynlds.offset.table@rel32@hi+12
	s_add_u32 s12, s4, s6
	v_accvgpr_read_b32 v0, a2
	s_addc_u32 s13, s5, s7
	s_mov_b32 s4, 0
	v_mov_b32_e32 v39, 0
	v_and_b32_e32 v26, 3, v0
	v_mov_b32_e32 v38, 0
	v_mov_b32_e32 v37, 0
	;; [unrolled: 1-line block ×7, first 2 shown]
	s_and_saveexec_b64 s[20:21], s[0:1]
	s_cbranch_execz .LBB294_1092
; %bb.559:
	v_max_i32_e32 v30, v30, v23
	v_cvt_f32_u32_e32 v0, v30
	v_and_b32_e32 v1, 24, v20
	s_load_dword s0, s[12:13], 0x0
	v_accvgpr_write_b32 a16, v1
	v_rcp_iflag_f32_e32 v2, v0
	v_add_u32_e32 v0, -1, v22
	v_lshl_add_u64 v[4:5], v[24:25], 0, v[28:29]
	v_accvgpr_write_b32 a17, v0
	v_mul_f32_e32 v2, 0x4f7ffffe, v2
	v_cvt_u32_f32_e32 v2, v2
	v_and_b32_e32 v0, 0x1f8, v20
	v_mov_b32_e32 v1, 0
	v_sub_u32_e32 v6, 0, v30
	v_lshl_add_u64 v[8:9], v[4:5], 0, v[0:1]
	v_mul_lo_u32 v0, v6, v2
	v_accvgpr_read_b32 v4, a12
	v_mul_hi_u32 v0, v2, v0
	v_accvgpr_read_b32 v5, a13
	v_add_u32_e32 v2, v2, v0
	v_lshlrev_b64 v[4:5], 2, v[4:5]
	v_lshlrev_b32_e32 v0, 5, v26
	s_mov_b32 s10, s4
	s_mov_b32 s11, s4
	v_lshl_add_u64 v[4:5], v[48:49], 2, v[4:5]
	v_lshl_or_b32 v0, v21, 7, v0
	s_mov_b32 s5, s4
	s_mov_b32 s6, s4
	;; [unrolled: 1-line block ×5, first 2 shown]
	v_mov_b64_e32 v[38:39], s[10:11]
	v_accvgpr_read_b32 v3, a8
	v_lshl_add_u64 v[10:11], v[14:15], 0, v[4:5]
	v_accvgpr_write_b32 a13, v26
	s_waitcnt lgkmcnt(0)
	v_add_u32_e32 v19, s0, v0
	s_mov_b64 s[22:23], 0
	v_mov_b64_e32 v[36:37], s[8:9]
	v_mov_b64_e32 v[34:35], s[6:7]
	;; [unrolled: 1-line block ×3, first 2 shown]
	s_movk_i32 s3, 0x7f
	s_movk_i32 s15, 0x80
	s_mov_b32 s24, 0x8000
	s_movk_i32 s25, 0x380
	s_mov_b32 s26, 0x3020706
	s_mov_b32 s27, 0x1000504
	;; [unrolled: 1-line block ×3, first 2 shown]
	v_mov_b32_e32 v48, 0x1c00
	v_accvgpr_read_b32 v5, a15
	s_branch .LBB294_562
.LBB294_560:                            ;   in Loop: Header=BB294_562 Depth=1
	s_or_b64 exec, exec, s[0:1]
	v_add_f32_e32 v4, v4, v5
	v_add_f32_e32 v34, v34, v4
	v_add_f32_e32 v4, v55, v54
	v_add_f32_e32 v35, v35, v4
	v_add_f32_e32 v4, v7, v22
	v_add_f32_e32 v36, v36, v4
	v_add_f32_e32 v4, v6, v51
	v_add_f32_e32 v37, v37, v4
	v_add_f32_e32 v4, v26, v27
	v_add_f32_e32 v38, v38, v4
	;;#ASMSTART
	v_pk_mul_f16 v4, v61, v15;

	;;#ASMEND
	;;#ASMSTART
	v_pk_mul_f16 v0, v60, v0;

	;;#ASMEND
	;; [unrolled: 4-line block ×4, first 2 shown]
	v_add_f32_e32 v14, v62, v42
	;;#ASMSTART
	v_pk_add_f16 v0, v4, v0;

	;;#ASMEND
	v_add_f32_e32 v32, v32, v14
	;;#ASMSTART
	v_pk_add_f16 v0, v0, v5;

	;;#ASMEND
	;; [unrolled: 5-line block ×3, first 2 shown]
	v_add_f32_e32 v33, v33, v14
	v_lshrrev_b32_e32 v4, 16, v0
	v_and_b32_e32 v0, 0xffff, v0
	;;#ASMSTART
	v_cvt_f32_f16 v0, v0;
	;;#ASMEND
	;;#ASMSTART
	v_cvt_f32_f16 v4, v4;
	;;#ASMEND
	s_nop 0
	v_add_f32_e32 v0, v0, v4
	v_add_f32_e32 v39, v39, v0
.LBB294_561:                            ;   in Loop: Header=BB294_562 Depth=1
	s_or_b64 exec, exec, s[4:5]
	v_accvgpr_read_b32 v4, a12
	v_add_u32_e32 v4, 2, v4
	v_accvgpr_read_b32 v0, a11
	v_mov_b32_e32 v5, v52
	v_cmp_ge_i32_e32 vcc, v4, v0
	v_lshl_add_u64 v[10:11], v[10:11], 0, 8
	v_add_u32_e32 v5, 64, v5
	v_accvgpr_write_b32 a12, v4
	s_or_b64 s[22:23], vcc, s[22:23]
	v_add_u32_e32 v19, 0x100, v19
	s_andn2_b64 exec, exec, s[22:23]
	s_cbranch_execz .LBB294_1091
.LBB294_562:                            ; =>This Inner Loop Header: Depth=1
	v_ashrrev_i32_e32 v0, 31, v5
	v_accvgpr_read_b32 v4, a9
	v_xor_b32_e32 v0, v0, v4
	v_sub_u32_e32 v4, 0, v5
	v_mov_b32_e32 v52, v5
	v_max_i32_e32 v4, v5, v4
	v_accvgpr_read_b32 v5, a7
	v_mul_hi_u32 v5, v4, v5
	v_accvgpr_read_b32 v7, a3
	v_mul_lo_u32 v6, v5, v7
	v_sub_u32_e32 v4, v4, v6
	v_add_u32_e32 v6, 1, v5
	v_cmp_ge_u32_e32 vcc, v4, v7
	s_nop 1
	v_cndmask_b32_e32 v5, v5, v6, vcc
	v_sub_u32_e32 v6, v4, v7
	v_cndmask_b32_e32 v4, v4, v6, vcc
	v_add_u32_e32 v6, 1, v5
	v_cmp_ge_u32_e32 vcc, v4, v7
	s_nop 1
	v_cndmask_b32_e32 v4, v5, v6, vcc
	v_xor_b32_e32 v4, v4, v0
	v_sub_u32_e32 v0, v4, v0
	v_accvgpr_read_b32 v4, a10
	v_add_u32_e32 v4, v0, v4
	v_sub_u32_e32 v6, 0, v4
	v_ashrrev_i32_e32 v5, 31, v4
	v_max_i32_e32 v4, v4, v6
	v_mul_hi_u32 v6, v4, v2
	v_mul_lo_u32 v6, v6, v30
	v_sub_u32_e32 v4, v4, v6
	v_sub_u32_e32 v6, v4, v30
	v_cmp_ge_u32_e32 vcc, v4, v30
	s_nop 1
	v_cndmask_b32_e32 v4, v4, v6, vcc
	v_sub_u32_e32 v6, v4, v30
	v_cmp_ge_u32_e32 vcc, v4, v30
	s_nop 1
	v_cndmask_b32_e32 v4, v4, v6, vcc
	v_xor_b32_e32 v4, v4, v5
	v_sub_u32_e32 v4, v4, v5
	v_cmp_eq_u32_e32 vcc, 0, v4
	v_accvgpr_read_b32 v4, a14
	v_cmp_gt_i32_e64 s[0:1], v0, v4
	s_or_b64 s[0:1], vcc, s[0:1]
	s_and_saveexec_b64 s[4:5], s[0:1]
	s_cbranch_execz .LBB294_561
; %bb.563:                              ;   in Loop: Header=BB294_562 Depth=1
	ds_read2_b64 v[4:7], v19 offset1:1
	ds_read2_b64 v[20:23], v19 offset0:2 offset1:3
	v_accvgpr_read_b32 v12, a6
	v_accvgpr_read_b32 v25, a5
	;; [unrolled: 1-line block ×3, first 2 shown]
	s_waitcnt lgkmcnt(0)
	;;#ASMSTART
	v_cvt_f16_f32 v4, v4;

	;;#ASMEND
	;;#ASMSTART
	v_cvt_f16_f32 v5, v5;

	;;#ASMEND
	;; [unrolled: 4-line block ×8, first 2 shown]
	flat_load_dword v0, v[10:11]
	flat_load_dword v14, v[24:25]
                                        ; implicit-def: $sgpr10
	s_waitcnt vmcnt(0) lgkmcnt(0)
	v_mad_i64_i32 v[12:13], s[0:1], v0, v12, v[8:9]
	flat_load_dwordx2 v[20:21], v[12:13]
	s_mov_b64 s[0:1], 0
	s_waitcnt vmcnt(0) lgkmcnt(0)
	v_cmp_gt_i16_sdwa s[6:7], v20, s3 src0_sel:BYTE_0 src1_sel:DWORD
	s_and_saveexec_b64 s[8:9], s[6:7]
	s_xor_b64 s[6:7], exec, s[8:9]
	s_cbranch_execnz .LBB294_835
; %bb.564:                              ;   in Loop: Header=BB294_562 Depth=1
	s_or_saveexec_b64 s[6:7], s[6:7]
	v_mov_b32_e32 v24, s10
	s_xor_b64 exec, exec, s[6:7]
	s_cbranch_execnz .LBB294_838
.LBB294_565:                            ;   in Loop: Header=BB294_562 Depth=1
	s_or_b64 exec, exec, s[6:7]
	s_and_saveexec_b64 s[6:7], s[0:1]
	s_cbranch_execz .LBB294_567
.LBB294_566:                            ;   in Loop: Header=BB294_562 Depth=1
	v_and_b32_e32 v0, 7, v20
	v_ffbh_u32_e32 v0, v0
	v_bfe_u32 v16, v20, 3, 4
	v_min_u32_e32 v0, 32, v0
	v_subrev_u32_e32 v18, 28, v0
	v_sub_u32_e32 v0, 29, v0
	v_cmp_eq_u32_e32 vcc, 0, v16
	s_nop 1
	v_cndmask_b32_e32 v0, v16, v0, vcc
	v_cndmask_b32_e32 v16, 0, v18, vcc
	v_lshlrev_b64 v[24:25], v16, v[20:21]
	v_lshlrev_b32_e32 v18, 8, v20
	v_lshl_add_u32 v0, v0, 10, v48
	v_lshlrev_b32_e32 v16, 7, v24
	v_and_or_b32 v0, v18, s24, v0
	v_and_or_b32 v0, v16, s25, v0
	v_cvt_f32_f16_e32 v24, v0
.LBB294_567:                            ;   in Loop: Header=BB294_562 Depth=1
	s_or_b64 exec, exec, s[6:7]
	v_lshrrev_b16_e32 v0, 8, v20
	v_cmp_lt_i16_e32 vcc, s3, v0
	s_mov_b64 s[0:1], 0
                                        ; implicit-def: $sgpr10
	s_and_saveexec_b64 s[6:7], vcc
	s_xor_b64 s[6:7], exec, s[6:7]
	s_cbranch_execnz .LBB294_839
; %bb.568:                              ;   in Loop: Header=BB294_562 Depth=1
	s_or_saveexec_b64 s[6:7], s[6:7]
	v_mov_b32_e32 v28, s10
	s_xor_b64 exec, exec, s[6:7]
	s_cbranch_execnz .LBB294_842
.LBB294_569:                            ;   in Loop: Header=BB294_562 Depth=1
	s_or_b64 exec, exec, s[6:7]
	s_and_saveexec_b64 s[6:7], s[0:1]
	s_cbranch_execz .LBB294_571
.LBB294_570:                            ;   in Loop: Header=BB294_562 Depth=1
	v_and_b32_e32 v16, 7, v0
	v_ffbh_u32_e32 v23, v16
	v_bfe_u32 v18, v0, 3, 4
	v_min_u32_e32 v23, 32, v23
	v_subrev_u32_e32 v25, 28, v23
	v_sub_u32_e32 v23, 29, v23
	v_cmp_eq_u32_e32 vcc, 0, v18
	v_lshlrev_b64 v[28:29], v25, v[0:1]
	v_and_b32_e32 v25, 7, v28
	v_cndmask_b32_e32 v18, v18, v23, vcc
	v_lshlrev_b32_e32 v0, 8, v0
	v_lshl_add_u32 v18, v18, 10, v48
	v_cndmask_b32_e32 v16, v16, v25, vcc
	v_and_or_b32 v0, v0, s24, v18
	v_lshl_or_b32 v0, v16, 7, v0
	v_cvt_f32_f16_e32 v28, v0
.LBB294_571:                            ;   in Loop: Header=BB294_562 Depth=1
	s_or_b64 exec, exec, s[6:7]
	v_lshrrev_b32_e32 v0, 16, v20
	v_cmp_gt_i16_sdwa s[6:7], v0, s3 src0_sel:BYTE_0 src1_sel:DWORD
	s_mov_b64 s[0:1], 0
                                        ; implicit-def: $sgpr10
	s_and_saveexec_b64 s[8:9], s[6:7]
	s_xor_b64 s[6:7], exec, s[8:9]
	s_cbranch_execnz .LBB294_843
; %bb.572:                              ;   in Loop: Header=BB294_562 Depth=1
	s_or_saveexec_b64 s[6:7], s[6:7]
	v_mov_b32_e32 v25, s10
	s_xor_b64 exec, exec, s[6:7]
	s_cbranch_execnz .LBB294_846
.LBB294_573:                            ;   in Loop: Header=BB294_562 Depth=1
	s_or_b64 exec, exec, s[6:7]
	s_and_saveexec_b64 s[6:7], s[0:1]
	s_cbranch_execz .LBB294_575
.LBB294_574:                            ;   in Loop: Header=BB294_562 Depth=1
	v_bfe_u32 v16, v20, 16, 3
	v_ffbh_u32_e32 v23, v16
	v_bfe_u32 v18, v20, 19, 4
	v_min_u32_e32 v23, 32, v23
	v_subrev_u32_e32 v25, 28, v23
	v_sub_u32_e32 v23, 29, v23
	v_cmp_eq_u32_e32 vcc, 0, v18
	v_lshlrev_b64 v[50:51], v25, v[0:1]
	v_and_b32_e32 v25, 7, v50
	v_cndmask_b32_e32 v18, v18, v23, vcc
	v_lshlrev_b32_e32 v0, 8, v0
	v_lshl_add_u32 v18, v18, 10, v48
	v_cndmask_b32_e32 v16, v16, v25, vcc
	v_and_or_b32 v0, v0, s24, v18
	v_lshl_or_b32 v0, v16, 7, v0
	v_cvt_f32_f16_e32 v25, v0
.LBB294_575:                            ;   in Loop: Header=BB294_562 Depth=1
	s_or_b64 exec, exec, s[6:7]
	v_lshrrev_b32_e32 v0, 24, v20
	v_cmp_lt_i16_e32 vcc, s3, v0
	s_mov_b64 s[0:1], 0
                                        ; implicit-def: $sgpr10
	s_and_saveexec_b64 s[6:7], vcc
	s_xor_b64 s[6:7], exec, s[6:7]
	s_cbranch_execnz .LBB294_847
; %bb.576:                              ;   in Loop: Header=BB294_562 Depth=1
	s_or_saveexec_b64 s[6:7], s[6:7]
	v_mov_b32_e32 v29, s10
	s_xor_b64 exec, exec, s[6:7]
	s_cbranch_execnz .LBB294_850
.LBB294_577:                            ;   in Loop: Header=BB294_562 Depth=1
	s_or_b64 exec, exec, s[6:7]
	s_and_saveexec_b64 s[6:7], s[0:1]
	s_cbranch_execz .LBB294_579
.LBB294_578:                            ;   in Loop: Header=BB294_562 Depth=1
	v_bfe_u32 v16, v20, 24, 3
	v_bfe_u32 v18, v20, 27, 4
	v_ffbh_u32_e32 v20, v16
	v_min_u32_e32 v20, 32, v20
	v_subrev_u32_e32 v23, 28, v20
	v_sub_u32_e32 v20, 29, v20
	v_cmp_eq_u32_e32 vcc, 0, v18
	v_lshlrev_b64 v[50:51], v23, v[0:1]
	v_and_b32_e32 v23, 7, v50
	v_cndmask_b32_e32 v18, v18, v20, vcc
	v_lshlrev_b32_e32 v0, 8, v0
	v_lshl_add_u32 v18, v18, 10, v48
	v_cndmask_b32_e32 v16, v16, v23, vcc
	v_and_or_b32 v0, v0, s24, v18
	v_lshl_or_b32 v0, v16, 7, v0
	v_cvt_f32_f16_e32 v29, v0
.LBB294_579:                            ;   in Loop: Header=BB294_562 Depth=1
	s_or_b64 exec, exec, s[6:7]
	v_cmp_gt_i16_sdwa s[6:7], v21, s3 src0_sel:BYTE_0 src1_sel:DWORD
	s_mov_b64 s[0:1], 0
                                        ; implicit-def: $sgpr10
	s_and_saveexec_b64 s[8:9], s[6:7]
	s_xor_b64 s[6:7], exec, s[8:9]
	s_cbranch_execnz .LBB294_851
; %bb.580:                              ;   in Loop: Header=BB294_562 Depth=1
	s_or_saveexec_b64 s[6:7], s[6:7]
	v_mov_b32_e32 v16, s10
	s_xor_b64 exec, exec, s[6:7]
	s_cbranch_execnz .LBB294_854
.LBB294_581:                            ;   in Loop: Header=BB294_562 Depth=1
	s_or_b64 exec, exec, s[6:7]
	v_mov_b32_e32 v0, v21
	s_and_saveexec_b64 s[6:7], s[0:1]
	s_cbranch_execz .LBB294_583
.LBB294_582:                            ;   in Loop: Header=BB294_562 Depth=1
	v_and_b32_e32 v16, 7, v21
	v_ffbh_u32_e32 v16, v16
	v_bfe_u32 v18, v21, 3, 4
	v_min_u32_e32 v16, 32, v16
	v_subrev_u32_e32 v20, 28, v16
	v_sub_u32_e32 v16, 29, v16
	v_cmp_eq_u32_e32 vcc, 0, v18
	s_nop 1
	v_cndmask_b32_e32 v16, v18, v16, vcc
	v_cndmask_b32_e32 v18, 0, v20, vcc
	v_lshlrev_b64 v[50:51], v18, v[0:1]
	v_lshlrev_b32_e32 v20, 8, v21
	v_lshl_add_u32 v16, v16, 10, v48
	v_lshlrev_b32_e32 v18, 7, v50
	v_and_or_b32 v16, v20, s24, v16
	v_and_or_b32 v16, v18, s25, v16
	v_cvt_f32_f16_e32 v16, v16
.LBB294_583:                            ;   in Loop: Header=BB294_562 Depth=1
	s_or_b64 exec, exec, s[6:7]
	v_lshrrev_b16_e32 v0, 8, v0
	v_cmp_lt_i16_e32 vcc, s3, v0
	s_mov_b64 s[0:1], 0
                                        ; implicit-def: $sgpr10
	s_and_saveexec_b64 s[6:7], vcc
	s_xor_b64 s[6:7], exec, s[6:7]
	s_cbranch_execnz .LBB294_855
; %bb.584:                              ;   in Loop: Header=BB294_562 Depth=1
	s_or_saveexec_b64 s[6:7], s[6:7]
	v_mov_b32_e32 v18, s10
	s_xor_b64 exec, exec, s[6:7]
	s_cbranch_execnz .LBB294_858
.LBB294_585:                            ;   in Loop: Header=BB294_562 Depth=1
	s_or_b64 exec, exec, s[6:7]
	s_and_saveexec_b64 s[6:7], s[0:1]
	s_cbranch_execz .LBB294_587
.LBB294_586:                            ;   in Loop: Header=BB294_562 Depth=1
	v_and_b32_e32 v18, 7, v0
	v_ffbh_u32_e32 v23, v18
	v_bfe_u32 v20, v0, 3, 4
	v_min_u32_e32 v23, 32, v23
	v_subrev_u32_e32 v27, 28, v23
	v_sub_u32_e32 v23, 29, v23
	v_cmp_eq_u32_e32 vcc, 0, v20
	v_lshlrev_b64 v[50:51], v27, v[0:1]
	v_and_b32_e32 v27, 7, v50
	v_cndmask_b32_e32 v20, v20, v23, vcc
	v_lshlrev_b32_e32 v0, 8, v0
	v_lshl_add_u32 v20, v20, 10, v48
	v_cndmask_b32_e32 v18, v18, v27, vcc
	v_and_or_b32 v0, v0, s24, v20
	v_lshl_or_b32 v0, v18, 7, v0
	v_cvt_f32_f16_e32 v18, v0
.LBB294_587:                            ;   in Loop: Header=BB294_562 Depth=1
	s_or_b64 exec, exec, s[6:7]
	v_lshrrev_b32_e32 v0, 16, v21
	v_cmp_gt_i16_sdwa s[6:7], v0, s3 src0_sel:BYTE_0 src1_sel:DWORD
	s_mov_b64 s[0:1], 0
                                        ; implicit-def: $sgpr10
	s_and_saveexec_b64 s[8:9], s[6:7]
	s_xor_b64 s[6:7], exec, s[8:9]
	s_cbranch_execnz .LBB294_859
; %bb.588:                              ;   in Loop: Header=BB294_562 Depth=1
	s_or_saveexec_b64 s[6:7], s[6:7]
	v_mov_b32_e32 v20, s10
	s_xor_b64 exec, exec, s[6:7]
	s_cbranch_execnz .LBB294_862
.LBB294_589:                            ;   in Loop: Header=BB294_562 Depth=1
	s_or_b64 exec, exec, s[6:7]
	s_and_saveexec_b64 s[6:7], s[0:1]
	s_cbranch_execz .LBB294_591
.LBB294_590:                            ;   in Loop: Header=BB294_562 Depth=1
	v_bfe_u32 v20, v21, 16, 3
	v_ffbh_u32_e32 v27, v20
	v_bfe_u32 v23, v21, 19, 4
	v_min_u32_e32 v27, 32, v27
	v_subrev_u32_e32 v31, 28, v27
	v_sub_u32_e32 v27, 29, v27
	v_cmp_eq_u32_e32 vcc, 0, v23
	v_lshlrev_b64 v[50:51], v31, v[0:1]
	v_and_b32_e32 v31, 7, v50
	v_cndmask_b32_e32 v23, v23, v27, vcc
	v_lshlrev_b32_e32 v0, 8, v0
	v_lshl_add_u32 v23, v23, 10, v48
	v_cndmask_b32_e32 v20, v20, v31, vcc
	v_and_or_b32 v0, v0, s24, v23
	v_lshl_or_b32 v0, v20, 7, v0
	v_cvt_f32_f16_e32 v20, v0
.LBB294_591:                            ;   in Loop: Header=BB294_562 Depth=1
	s_or_b64 exec, exec, s[6:7]
	v_lshrrev_b32_e32 v0, 24, v21
	v_cmp_lt_i16_e32 vcc, s3, v0
	s_mov_b64 s[0:1], 0
                                        ; implicit-def: $sgpr10
	s_and_saveexec_b64 s[6:7], vcc
	s_xor_b64 s[6:7], exec, s[6:7]
	s_cbranch_execnz .LBB294_863
; %bb.592:                              ;   in Loop: Header=BB294_562 Depth=1
	s_or_saveexec_b64 s[6:7], s[6:7]
	v_mov_b32_e32 v23, s10
	s_xor_b64 exec, exec, s[6:7]
	s_cbranch_execnz .LBB294_866
.LBB294_593:                            ;   in Loop: Header=BB294_562 Depth=1
	s_or_b64 exec, exec, s[6:7]
	s_and_saveexec_b64 s[6:7], s[0:1]
	s_cbranch_execz .LBB294_595
.LBB294_594:                            ;   in Loop: Header=BB294_562 Depth=1
	v_bfe_u32 v23, v21, 24, 3
	v_ffbh_u32_e32 v27, v23
	v_bfe_u32 v21, v21, 27, 4
	v_min_u32_e32 v27, 32, v27
	v_subrev_u32_e32 v31, 28, v27
	v_sub_u32_e32 v27, 29, v27
	v_cmp_eq_u32_e32 vcc, 0, v21
	v_lshlrev_b64 v[50:51], v31, v[0:1]
	v_and_b32_e32 v31, 7, v50
	v_cndmask_b32_e32 v21, v21, v27, vcc
	v_lshlrev_b32_e32 v0, 8, v0
	v_lshl_add_u32 v21, v21, 10, v48
	v_cndmask_b32_e32 v23, v23, v31, vcc
	v_and_or_b32 v0, v0, s24, v21
	v_lshl_or_b32 v0, v23, 7, v0
	v_cvt_f32_f16_e32 v23, v0
.LBB294_595:                            ;   in Loop: Header=BB294_562 Depth=1
	s_or_b64 exec, exec, s[6:7]
	v_pk_mul_f32 v[28:29], v[14:15], v[28:29] op_sel_hi:[0,1]
	v_pk_mul_f32 v[24:25], v[14:15], v[24:25] op_sel_hi:[0,1]
	v_cvt_f16_f32_e32 v0, v29
	v_cvt_f16_f32_e32 v21, v28
	;; [unrolled: 1-line block ×4, first 2 shown]
	v_fma_mixlo_f16 v18, v14, v18, 0
	v_lshlrev_b32_e32 v18, 16, v18
	v_fma_mixlo_f16 v16, v14, v16, 0
	v_mov_b32_e32 v27, v52
	v_accvgpr_read_b32 v28, a16
	v_or_b32_sdwa v16, v18, v16 dst_sel:DWORD dst_unused:UNUSED_PAD src0_sel:DWORD src1_sel:WORD_0
	v_fma_mixlo_f16 v18, v14, v20, 0
	v_fma_mixlo_f16 v14, v14, v23, 0
	v_add_u32_e32 v44, v28, v27
	v_accvgpr_read_b32 v28, a12
	v_accvgpr_read_b32 v27, a17
	v_pack_b32_f16 v21, v21, v0
	v_pack_b32_f16 v24, v24, v25
	v_lshlrev_b32_e32 v14, 16, v14
	v_cmp_eq_u32_e32 vcc, v27, v28
	v_perm_b32 v0, v24, v21, s26
	v_perm_b32 v21, v24, v21, s27
	v_or_b32_sdwa v14, v14, v18 dst_sel:DWORD dst_unused:UNUSED_PAD src0_sel:DWORD src1_sel:WORD_0
	v_add_u32_e32 v57, 1, v44
	v_or_b32_e32 v56, 3, v44
	v_or_b32_e32 v47, 2, v44
	v_or_b32_e32 v46, 5, v44
	v_or_b32_e32 v45, 4, v44
	v_or_b32_e32 v43, 7, v44
	v_or_b32_e32 v49, 6, v44
	s_and_saveexec_b64 s[6:7], vcc
	s_cbranch_execz .LBB294_597
; %bb.596:                              ;   in Loop: Header=BB294_562 Depth=1
	v_lshrrev_b32_e32 v20, 16, v21
	v_cmp_lt_i32_e64 s[0:1], v57, v3
	v_accvgpr_read_b32 v24, a8
	v_lshrrev_b32_e32 v14, 16, v14
	v_cndmask_b32_e64 v20, 0, v20, s[0:1]
	v_cmp_lt_i32_e64 s[0:1], v44, v24
	s_nop 1
	v_cndmask_b32_e64 v21, 0, v21, s[0:1]
	v_perm_b32 v21, v20, v21, s28
	v_lshrrev_b32_e32 v20, 16, v0
	v_cmp_lt_i32_e64 s[0:1], v56, v3
	s_nop 1
	v_cndmask_b32_e64 v20, 0, v20, s[0:1]
	v_cmp_lt_i32_e64 s[0:1], v47, v24
	s_nop 1
	v_cndmask_b32_e64 v0, 0, v0, s[0:1]
	v_perm_b32 v0, v20, v0, s28
	v_lshrrev_b32_e32 v20, 16, v16
	v_cmp_lt_i32_e64 s[0:1], v46, v3
	s_nop 1
	v_cndmask_b32_e64 v20, 0, v20, s[0:1]
	v_cmp_lt_i32_e64 s[0:1], v45, v24
	s_nop 1
	v_cndmask_b32_e64 v16, 0, v16, s[0:1]
	v_cmp_lt_i32_e64 s[0:1], v43, v3
	v_perm_b32 v16, v20, v16, s28
	s_nop 0
	v_cndmask_b32_e64 v14, 0, v14, s[0:1]
	v_cmp_lt_i32_e64 s[0:1], v49, v24
	s_nop 1
	v_cndmask_b32_e64 v18, 0, v18, s[0:1]
	v_perm_b32 v14, v14, v18, s28
.LBB294_597:                            ;   in Loop: Header=BB294_562 Depth=1
	s_or_b64 exec, exec, s[6:7]
	v_and_b32_e32 v4, 0xffff, v4
	v_lshl_or_b32 v61, v5, 16, v4
	v_and_b32_e32 v4, 0xffff, v6
	v_lshl_or_b32 v60, v7, 16, v4
	;; [unrolled: 2-line block ×4, first 2 shown]
	;;#ASMSTART
	v_pk_mul_f16 v4, v61, v21;

	;;#ASMEND
	;;#ASMSTART
	v_pk_mul_f16 v0, v60, v0;

	;;#ASMEND
	;; [unrolled: 4-line block ×4, first 2 shown]
	s_mov_b64 s[0:1], 0
	;;#ASMSTART
	v_pk_add_f16 v0, v4, v0;

	;;#ASMEND
                                        ; implicit-def: $sgpr10
	s_nop 0
	;;#ASMSTART
	v_pk_add_f16 v0, v0, v5;

	;;#ASMEND
	s_nop 0
	;;#ASMSTART
	v_pk_add_f16 v0, v0, v6;

	;;#ASMEND
	s_nop 0
	v_lshrrev_b32_e32 v4, 16, v0
	v_and_b32_e32 v0, 0xffff, v0
	;;#ASMSTART
	v_cvt_f32_f16 v62, v0;
	;;#ASMEND
	;;#ASMSTART
	v_cvt_f32_f16 v42, v4;
	;;#ASMEND
	v_accvgpr_read_b32 v4, a4
	flat_load_dwordx2 v[20:21], v[12:13] offset:512
	v_accvgpr_read_b32 v5, a5
	flat_load_dword v14, v[4:5]
	s_waitcnt vmcnt(0) lgkmcnt(0)
	v_cmp_gt_i16_sdwa s[6:7], v20, s3 src0_sel:BYTE_0 src1_sel:DWORD
	s_and_saveexec_b64 s[8:9], s[6:7]
	s_xor_b64 s[6:7], exec, s[8:9]
	s_cbranch_execnz .LBB294_867
; %bb.598:                              ;   in Loop: Header=BB294_562 Depth=1
	s_or_saveexec_b64 s[6:7], s[6:7]
	v_mov_b32_e32 v24, s10
	s_xor_b64 exec, exec, s[6:7]
	s_cbranch_execnz .LBB294_870
.LBB294_599:                            ;   in Loop: Header=BB294_562 Depth=1
	s_or_b64 exec, exec, s[6:7]
	s_and_saveexec_b64 s[6:7], s[0:1]
	s_cbranch_execz .LBB294_601
.LBB294_600:                            ;   in Loop: Header=BB294_562 Depth=1
	v_and_b32_e32 v0, 7, v20
	v_ffbh_u32_e32 v0, v0
	v_bfe_u32 v4, v20, 3, 4
	v_min_u32_e32 v0, 32, v0
	v_subrev_u32_e32 v5, 28, v0
	v_sub_u32_e32 v0, 29, v0
	v_cmp_eq_u32_e64 s[0:1], 0, v4
	s_nop 1
	v_cndmask_b32_e64 v0, v4, v0, s[0:1]
	v_cndmask_b32_e64 v4, 0, v5, s[0:1]
	v_lshlrev_b64 v[4:5], v4, v[20:21]
	v_lshlrev_b32_e32 v5, 8, v20
	v_lshl_add_u32 v0, v0, 10, v48
	v_lshlrev_b32_e32 v4, 7, v4
	v_and_or_b32 v0, v5, s24, v0
	v_and_or_b32 v0, v4, s25, v0
	v_cvt_f32_f16_e32 v24, v0
.LBB294_601:                            ;   in Loop: Header=BB294_562 Depth=1
	s_or_b64 exec, exec, s[6:7]
	v_lshrrev_b16_e32 v0, 8, v20
	v_cmp_lt_i16_e64 s[0:1], s3, v0
	s_mov_b64 s[6:7], 0
                                        ; implicit-def: $sgpr29
	s_and_saveexec_b64 s[8:9], s[0:1]
	s_xor_b64 s[8:9], exec, s[8:9]
	s_cbranch_execnz .LBB294_871
; %bb.602:                              ;   in Loop: Header=BB294_562 Depth=1
	s_or_saveexec_b64 s[8:9], s[8:9]
	v_mov_b32_e32 v28, s29
	s_xor_b64 exec, exec, s[8:9]
	s_cbranch_execnz .LBB294_874
.LBB294_603:                            ;   in Loop: Header=BB294_562 Depth=1
	s_or_b64 exec, exec, s[8:9]
	s_and_saveexec_b64 s[8:9], s[6:7]
	s_cbranch_execz .LBB294_605
.LBB294_604:                            ;   in Loop: Header=BB294_562 Depth=1
	v_and_b32_e32 v6, 7, v0
	v_ffbh_u32_e32 v4, v6
	v_min_u32_e32 v15, 32, v4
	v_subrev_u32_e32 v4, 28, v15
	v_bfe_u32 v7, v0, 3, 4
	v_lshlrev_b64 v[4:5], v4, v[0:1]
	v_sub_u32_e32 v5, 29, v15
	v_cmp_eq_u32_e64 s[0:1], 0, v7
	v_and_b32_e32 v4, 7, v4
	v_lshlrev_b32_e32 v0, 8, v0
	v_cndmask_b32_e64 v5, v7, v5, s[0:1]
	v_lshl_add_u32 v5, v5, 10, v48
	v_cndmask_b32_e64 v4, v6, v4, s[0:1]
	v_and_or_b32 v0, v0, s24, v5
	v_lshl_or_b32 v0, v4, 7, v0
	v_cvt_f32_f16_e32 v28, v0
.LBB294_605:                            ;   in Loop: Header=BB294_562 Depth=1
	s_or_b64 exec, exec, s[8:9]
	v_lshrrev_b32_e32 v0, 16, v20
	v_cmp_gt_i16_sdwa s[6:7], v0, s3 src0_sel:BYTE_0 src1_sel:DWORD
	s_mov_b64 s[0:1], 0
                                        ; implicit-def: $sgpr10
	s_and_saveexec_b64 s[8:9], s[6:7]
	s_xor_b64 s[6:7], exec, s[8:9]
	s_cbranch_execnz .LBB294_875
; %bb.606:                              ;   in Loop: Header=BB294_562 Depth=1
	s_or_saveexec_b64 s[6:7], s[6:7]
	v_mov_b32_e32 v25, s10
	s_xor_b64 exec, exec, s[6:7]
	s_cbranch_execnz .LBB294_878
.LBB294_607:                            ;   in Loop: Header=BB294_562 Depth=1
	s_or_b64 exec, exec, s[6:7]
	s_and_saveexec_b64 s[6:7], s[0:1]
	s_cbranch_execz .LBB294_609
.LBB294_608:                            ;   in Loop: Header=BB294_562 Depth=1
	v_bfe_u32 v6, v20, 16, 3
	v_ffbh_u32_e32 v4, v6
	v_min_u32_e32 v15, 32, v4
	v_subrev_u32_e32 v4, 28, v15
	v_bfe_u32 v7, v20, 19, 4
	v_lshlrev_b64 v[4:5], v4, v[0:1]
	v_sub_u32_e32 v5, 29, v15
	v_cmp_eq_u32_e64 s[0:1], 0, v7
	v_and_b32_e32 v4, 7, v4
	v_lshlrev_b32_e32 v0, 8, v0
	v_cndmask_b32_e64 v5, v7, v5, s[0:1]
	v_lshl_add_u32 v5, v5, 10, v48
	v_cndmask_b32_e64 v4, v6, v4, s[0:1]
	v_and_or_b32 v0, v0, s24, v5
	v_lshl_or_b32 v0, v4, 7, v0
	v_cvt_f32_f16_e32 v25, v0
.LBB294_609:                            ;   in Loop: Header=BB294_562 Depth=1
	s_or_b64 exec, exec, s[6:7]
	v_lshrrev_b32_e32 v0, 24, v20
	v_cmp_lt_i16_e64 s[0:1], s3, v0
	s_mov_b64 s[6:7], 0
                                        ; implicit-def: $sgpr29
	s_and_saveexec_b64 s[8:9], s[0:1]
	s_xor_b64 s[8:9], exec, s[8:9]
	s_cbranch_execnz .LBB294_879
; %bb.610:                              ;   in Loop: Header=BB294_562 Depth=1
	s_or_saveexec_b64 s[8:9], s[8:9]
	v_mov_b32_e32 v29, s29
	s_xor_b64 exec, exec, s[8:9]
	s_cbranch_execnz .LBB294_882
.LBB294_611:                            ;   in Loop: Header=BB294_562 Depth=1
	s_or_b64 exec, exec, s[8:9]
	s_and_saveexec_b64 s[8:9], s[6:7]
	s_cbranch_execz .LBB294_613
.LBB294_612:                            ;   in Loop: Header=BB294_562 Depth=1
	v_bfe_u32 v6, v20, 24, 3
	v_ffbh_u32_e32 v4, v6
	v_min_u32_e32 v15, 32, v4
	v_subrev_u32_e32 v4, 28, v15
	v_bfe_u32 v7, v20, 27, 4
	v_lshlrev_b64 v[4:5], v4, v[0:1]
	v_sub_u32_e32 v5, 29, v15
	v_cmp_eq_u32_e64 s[0:1], 0, v7
	v_and_b32_e32 v4, 7, v4
	v_lshlrev_b32_e32 v0, 8, v0
	v_cndmask_b32_e64 v5, v7, v5, s[0:1]
	v_lshl_add_u32 v5, v5, 10, v48
	v_cndmask_b32_e64 v4, v6, v4, s[0:1]
	v_and_or_b32 v0, v0, s24, v5
	v_lshl_or_b32 v0, v4, 7, v0
	v_cvt_f32_f16_e32 v29, v0
.LBB294_613:                            ;   in Loop: Header=BB294_562 Depth=1
	s_or_b64 exec, exec, s[8:9]
	v_cmp_gt_i16_sdwa s[6:7], v21, s3 src0_sel:BYTE_0 src1_sel:DWORD
	s_mov_b64 s[0:1], 0
                                        ; implicit-def: $sgpr10
	s_and_saveexec_b64 s[8:9], s[6:7]
	s_xor_b64 s[6:7], exec, s[8:9]
	s_cbranch_execnz .LBB294_883
; %bb.614:                              ;   in Loop: Header=BB294_562 Depth=1
	s_or_saveexec_b64 s[6:7], s[6:7]
	v_mov_b32_e32 v4, s10
	s_xor_b64 exec, exec, s[6:7]
	s_cbranch_execnz .LBB294_886
.LBB294_615:                            ;   in Loop: Header=BB294_562 Depth=1
	s_or_b64 exec, exec, s[6:7]
	v_mov_b32_e32 v0, v21
	s_and_saveexec_b64 s[6:7], s[0:1]
	s_cbranch_execz .LBB294_617
.LBB294_616:                            ;   in Loop: Header=BB294_562 Depth=1
	v_and_b32_e32 v4, 7, v21
	v_ffbh_u32_e32 v4, v4
	v_bfe_u32 v5, v21, 3, 4
	v_min_u32_e32 v4, 32, v4
	v_subrev_u32_e32 v6, 28, v4
	v_sub_u32_e32 v4, 29, v4
	v_cmp_eq_u32_e64 s[0:1], 0, v5
	s_nop 1
	v_cndmask_b32_e64 v7, v5, v4, s[0:1]
	v_cndmask_b32_e64 v4, 0, v6, s[0:1]
	v_lshlrev_b64 v[4:5], v4, v[0:1]
	v_lshlrev_b32_e32 v5, 8, v21
	v_lshl_add_u32 v6, v7, 10, v48
	v_lshlrev_b32_e32 v4, 7, v4
	v_and_or_b32 v5, v5, s24, v6
	v_and_or_b32 v4, v4, s25, v5
	v_cvt_f32_f16_e32 v4, v4
.LBB294_617:                            ;   in Loop: Header=BB294_562 Depth=1
	s_or_b64 exec, exec, s[6:7]
	v_lshrrev_b16_e32 v0, 8, v0
	v_cmp_lt_i16_e64 s[0:1], s3, v0
	s_mov_b64 s[6:7], 0
                                        ; implicit-def: $sgpr29
	s_and_saveexec_b64 s[8:9], s[0:1]
	s_xor_b64 s[8:9], exec, s[8:9]
	s_cbranch_execnz .LBB294_887
; %bb.618:                              ;   in Loop: Header=BB294_562 Depth=1
	s_or_saveexec_b64 s[8:9], s[8:9]
	v_mov_b32_e32 v5, s29
	s_xor_b64 exec, exec, s[8:9]
	s_cbranch_execnz .LBB294_890
.LBB294_619:                            ;   in Loop: Header=BB294_562 Depth=1
	s_or_b64 exec, exec, s[8:9]
	s_and_saveexec_b64 s[8:9], s[6:7]
	s_cbranch_execz .LBB294_621
.LBB294_620:                            ;   in Loop: Header=BB294_562 Depth=1
	v_and_b32_e32 v5, 7, v0
	v_ffbh_u32_e32 v6, v5
	v_min_u32_e32 v16, 32, v6
	v_subrev_u32_e32 v6, 28, v16
	v_bfe_u32 v15, v0, 3, 4
	v_lshlrev_b64 v[6:7], v6, v[0:1]
	v_sub_u32_e32 v7, 29, v16
	v_cmp_eq_u32_e64 s[0:1], 0, v15
	v_and_b32_e32 v6, 7, v6
	v_lshlrev_b32_e32 v0, 8, v0
	v_cndmask_b32_e64 v7, v15, v7, s[0:1]
	v_cndmask_b32_e64 v5, v5, v6, s[0:1]
	v_lshl_add_u32 v6, v7, 10, v48
	v_and_or_b32 v0, v0, s24, v6
	v_lshl_or_b32 v0, v5, 7, v0
	v_cvt_f32_f16_e32 v5, v0
.LBB294_621:                            ;   in Loop: Header=BB294_562 Depth=1
	s_or_b64 exec, exec, s[8:9]
	v_lshrrev_b32_e32 v0, 16, v21
	v_cmp_gt_i16_sdwa s[6:7], v0, s3 src0_sel:BYTE_0 src1_sel:DWORD
	s_mov_b64 s[0:1], 0
                                        ; implicit-def: $sgpr10
	s_and_saveexec_b64 s[8:9], s[6:7]
	s_xor_b64 s[6:7], exec, s[8:9]
	s_cbranch_execnz .LBB294_891
; %bb.622:                              ;   in Loop: Header=BB294_562 Depth=1
	s_or_saveexec_b64 s[6:7], s[6:7]
	v_mov_b32_e32 v6, s10
	s_xor_b64 exec, exec, s[6:7]
	s_cbranch_execnz .LBB294_894
.LBB294_623:                            ;   in Loop: Header=BB294_562 Depth=1
	s_or_b64 exec, exec, s[6:7]
	s_and_saveexec_b64 s[6:7], s[0:1]
	s_cbranch_execz .LBB294_625
.LBB294_624:                            ;   in Loop: Header=BB294_562 Depth=1
	v_bfe_u32 v15, v21, 16, 3
	v_ffbh_u32_e32 v6, v15
	v_min_u32_e32 v17, 32, v6
	v_subrev_u32_e32 v6, 28, v17
	v_bfe_u32 v16, v21, 19, 4
	v_lshlrev_b64 v[6:7], v6, v[0:1]
	v_sub_u32_e32 v7, 29, v17
	v_cmp_eq_u32_e64 s[0:1], 0, v16
	v_and_b32_e32 v6, 7, v6
	v_lshlrev_b32_e32 v0, 8, v0
	v_cndmask_b32_e64 v7, v16, v7, s[0:1]
	v_lshl_add_u32 v7, v7, 10, v48
	v_cndmask_b32_e64 v6, v15, v6, s[0:1]
	v_and_or_b32 v0, v0, s24, v7
	v_lshl_or_b32 v0, v6, 7, v0
	v_cvt_f32_f16_e32 v6, v0
.LBB294_625:                            ;   in Loop: Header=BB294_562 Depth=1
	s_or_b64 exec, exec, s[6:7]
	v_lshrrev_b32_e32 v0, 24, v21
	v_cmp_lt_i16_e64 s[0:1], s3, v0
	s_mov_b64 s[6:7], 0
                                        ; implicit-def: $sgpr29
	s_and_saveexec_b64 s[8:9], s[0:1]
	s_xor_b64 s[8:9], exec, s[8:9]
	s_cbranch_execnz .LBB294_895
; %bb.626:                              ;   in Loop: Header=BB294_562 Depth=1
	s_or_saveexec_b64 s[8:9], s[8:9]
	v_mov_b32_e32 v15, s29
	s_xor_b64 exec, exec, s[8:9]
	s_cbranch_execnz .LBB294_898
.LBB294_627:                            ;   in Loop: Header=BB294_562 Depth=1
	s_or_b64 exec, exec, s[8:9]
	s_and_saveexec_b64 s[8:9], s[6:7]
	s_cbranch_execz .LBB294_629
.LBB294_628:                            ;   in Loop: Header=BB294_562 Depth=1
	v_bfe_u32 v7, v21, 24, 3
	v_ffbh_u32_e32 v16, v7
	v_min_u32_e32 v18, 32, v16
	v_subrev_u32_e32 v16, 28, v18
	v_bfe_u32 v15, v21, 27, 4
	v_lshlrev_b64 v[16:17], v16, v[0:1]
	v_sub_u32_e32 v17, 29, v18
	v_cmp_eq_u32_e64 s[0:1], 0, v15
	v_and_b32_e32 v16, 7, v16
	v_lshlrev_b32_e32 v0, 8, v0
	v_cndmask_b32_e64 v15, v15, v17, s[0:1]
	v_lshl_add_u32 v15, v15, 10, v48
	v_cndmask_b32_e64 v7, v7, v16, s[0:1]
	v_and_or_b32 v0, v0, s24, v15
	v_lshl_or_b32 v0, v7, 7, v0
	v_cvt_f32_f16_e32 v15, v0
.LBB294_629:                            ;   in Loop: Header=BB294_562 Depth=1
	s_or_b64 exec, exec, s[8:9]
	v_pk_mul_f32 v[16:17], v[14:15], v[28:29] op_sel_hi:[0,1]
	v_pk_mul_f32 v[20:21], v[14:15], v[24:25] op_sel_hi:[0,1]
	v_cvt_f16_f32_e32 v0, v17
	v_cvt_f16_f32_e32 v7, v16
	;; [unrolled: 1-line block ×4, first 2 shown]
	v_fma_mixlo_f16 v5, v14, v5, 0
	v_lshlrev_b32_e32 v5, 16, v5
	v_fma_mixlo_f16 v4, v14, v4, 0
	v_or_b32_sdwa v4, v5, v4 dst_sel:DWORD dst_unused:UNUSED_PAD src0_sel:DWORD src1_sel:WORD_0
	v_fma_mixlo_f16 v5, v14, v15, 0
	v_pack_b32_f16 v7, v7, v0
	v_pack_b32_f16 v16, v17, v16
	v_fma_mixlo_f16 v6, v14, v6, 0
	v_lshlrev_b32_e32 v5, 16, v5
	v_perm_b32 v0, v16, v7, s26
	v_perm_b32 v7, v16, v7, s27
	v_or_b32_sdwa v5, v5, v6 dst_sel:DWORD dst_unused:UNUSED_PAD src0_sel:DWORD src1_sel:WORD_0
	s_and_saveexec_b64 s[6:7], vcc
	s_cbranch_execz .LBB294_631
; %bb.630:                              ;   in Loop: Header=BB294_562 Depth=1
	v_lshrrev_b32_e32 v14, 16, v7
	v_cmp_lt_i32_e64 s[0:1], v57, v3
	v_accvgpr_read_b32 v16, a8
	v_lshrrev_b32_e32 v5, 16, v5
	v_cndmask_b32_e64 v14, 0, v14, s[0:1]
	v_cmp_lt_i32_e64 s[0:1], v44, v16
	s_nop 1
	v_cndmask_b32_e64 v7, 0, v7, s[0:1]
	v_perm_b32 v7, v14, v7, s28
	v_lshrrev_b32_e32 v14, 16, v0
	v_cmp_lt_i32_e64 s[0:1], v56, v3
	s_nop 1
	v_cndmask_b32_e64 v14, 0, v14, s[0:1]
	v_cmp_lt_i32_e64 s[0:1], v47, v16
	s_nop 1
	v_cndmask_b32_e64 v0, 0, v0, s[0:1]
	v_perm_b32 v0, v14, v0, s28
	v_lshrrev_b32_e32 v14, 16, v4
	v_cmp_lt_i32_e64 s[0:1], v46, v3
	s_nop 1
	v_cndmask_b32_e64 v14, 0, v14, s[0:1]
	v_cmp_lt_i32_e64 s[0:1], v45, v16
	s_nop 1
	v_cndmask_b32_e64 v4, 0, v4, s[0:1]
	v_cmp_lt_i32_e64 s[0:1], v43, v3
	v_perm_b32 v4, v14, v4, s28
	s_nop 0
	v_cndmask_b32_e64 v5, 0, v5, s[0:1]
	v_cmp_lt_i32_e64 s[0:1], v49, v16
	s_nop 1
	v_cndmask_b32_e64 v6, 0, v6, s[0:1]
	v_perm_b32 v5, v5, v6, s28
.LBB294_631:                            ;   in Loop: Header=BB294_562 Depth=1
	s_or_b64 exec, exec, s[6:7]
	;;#ASMSTART
	v_pk_mul_f16 v6, v61, v7;

	;;#ASMEND
	;;#ASMSTART
	v_pk_mul_f16 v0, v60, v0;

	;;#ASMEND
	;; [unrolled: 4-line block ×4, first 2 shown]
	s_mov_b64 s[0:1], 0
	;;#ASMSTART
	v_pk_add_f16 v0, v6, v0;

	;;#ASMEND
                                        ; implicit-def: $sgpr10
	s_nop 0
	;;#ASMSTART
	v_pk_add_f16 v0, v0, v4;

	;;#ASMEND
	s_nop 0
	;;#ASMSTART
	v_pk_add_f16 v0, v0, v5;

	;;#ASMEND
	s_nop 0
	v_lshrrev_b32_e32 v4, 16, v0
	v_and_b32_e32 v0, 0xffff, v0
	;;#ASMSTART
	v_cvt_f32_f16 v50, v0;
	;;#ASMEND
	;;#ASMSTART
	v_cvt_f32_f16 v17, v4;
	;;#ASMEND
	v_accvgpr_read_b32 v4, a4
	flat_load_dwordx2 v[20:21], v[12:13] offset:1024
	v_accvgpr_read_b32 v5, a5
	flat_load_dword v14, v[4:5]
	s_waitcnt vmcnt(0) lgkmcnt(0)
	v_cmp_gt_i16_sdwa s[6:7], v20, s3 src0_sel:BYTE_0 src1_sel:DWORD
	s_and_saveexec_b64 s[8:9], s[6:7]
	s_xor_b64 s[6:7], exec, s[8:9]
	s_cbranch_execnz .LBB294_899
; %bb.632:                              ;   in Loop: Header=BB294_562 Depth=1
	s_or_saveexec_b64 s[6:7], s[6:7]
	v_mov_b32_e32 v24, s10
	s_xor_b64 exec, exec, s[6:7]
	s_cbranch_execnz .LBB294_902
.LBB294_633:                            ;   in Loop: Header=BB294_562 Depth=1
	s_or_b64 exec, exec, s[6:7]
	s_and_saveexec_b64 s[6:7], s[0:1]
	s_cbranch_execz .LBB294_635
.LBB294_634:                            ;   in Loop: Header=BB294_562 Depth=1
	v_and_b32_e32 v0, 7, v20
	v_ffbh_u32_e32 v0, v0
	v_bfe_u32 v4, v20, 3, 4
	v_min_u32_e32 v0, 32, v0
	v_subrev_u32_e32 v5, 28, v0
	v_sub_u32_e32 v0, 29, v0
	v_cmp_eq_u32_e64 s[0:1], 0, v4
	s_nop 1
	v_cndmask_b32_e64 v0, v4, v0, s[0:1]
	v_cndmask_b32_e64 v4, 0, v5, s[0:1]
	v_lshlrev_b64 v[4:5], v4, v[20:21]
	v_lshlrev_b32_e32 v5, 8, v20
	v_lshl_add_u32 v0, v0, 10, v48
	v_lshlrev_b32_e32 v4, 7, v4
	v_and_or_b32 v0, v5, s24, v0
	v_and_or_b32 v0, v4, s25, v0
	v_cvt_f32_f16_e32 v24, v0
.LBB294_635:                            ;   in Loop: Header=BB294_562 Depth=1
	s_or_b64 exec, exec, s[6:7]
	v_lshrrev_b16_e32 v0, 8, v20
	v_cmp_lt_i16_e64 s[0:1], s3, v0
	s_mov_b64 s[6:7], 0
                                        ; implicit-def: $sgpr29
	s_and_saveexec_b64 s[8:9], s[0:1]
	s_xor_b64 s[8:9], exec, s[8:9]
	s_cbranch_execnz .LBB294_903
; %bb.636:                              ;   in Loop: Header=BB294_562 Depth=1
	s_or_saveexec_b64 s[8:9], s[8:9]
	v_mov_b32_e32 v28, s29
	s_xor_b64 exec, exec, s[8:9]
	s_cbranch_execnz .LBB294_906
.LBB294_637:                            ;   in Loop: Header=BB294_562 Depth=1
	s_or_b64 exec, exec, s[8:9]
	s_and_saveexec_b64 s[8:9], s[6:7]
	s_cbranch_execz .LBB294_639
.LBB294_638:                            ;   in Loop: Header=BB294_562 Depth=1
	v_and_b32_e32 v6, 7, v0
	v_ffbh_u32_e32 v4, v6
	v_min_u32_e32 v15, 32, v4
	v_subrev_u32_e32 v4, 28, v15
	v_bfe_u32 v7, v0, 3, 4
	v_lshlrev_b64 v[4:5], v4, v[0:1]
	v_sub_u32_e32 v5, 29, v15
	v_cmp_eq_u32_e64 s[0:1], 0, v7
	v_and_b32_e32 v4, 7, v4
	v_lshlrev_b32_e32 v0, 8, v0
	v_cndmask_b32_e64 v5, v7, v5, s[0:1]
	v_lshl_add_u32 v5, v5, 10, v48
	v_cndmask_b32_e64 v4, v6, v4, s[0:1]
	v_and_or_b32 v0, v0, s24, v5
	v_lshl_or_b32 v0, v4, 7, v0
	v_cvt_f32_f16_e32 v28, v0
.LBB294_639:                            ;   in Loop: Header=BB294_562 Depth=1
	s_or_b64 exec, exec, s[8:9]
	v_lshrrev_b32_e32 v0, 16, v20
	v_cmp_gt_i16_sdwa s[6:7], v0, s3 src0_sel:BYTE_0 src1_sel:DWORD
	s_mov_b64 s[0:1], 0
                                        ; implicit-def: $sgpr10
	s_and_saveexec_b64 s[8:9], s[6:7]
	s_xor_b64 s[6:7], exec, s[8:9]
	s_cbranch_execnz .LBB294_907
; %bb.640:                              ;   in Loop: Header=BB294_562 Depth=1
	s_or_saveexec_b64 s[6:7], s[6:7]
	v_mov_b32_e32 v25, s10
	s_xor_b64 exec, exec, s[6:7]
	s_cbranch_execnz .LBB294_910
.LBB294_641:                            ;   in Loop: Header=BB294_562 Depth=1
	s_or_b64 exec, exec, s[6:7]
	s_and_saveexec_b64 s[6:7], s[0:1]
	s_cbranch_execz .LBB294_643
.LBB294_642:                            ;   in Loop: Header=BB294_562 Depth=1
	v_bfe_u32 v6, v20, 16, 3
	v_ffbh_u32_e32 v4, v6
	v_min_u32_e32 v15, 32, v4
	v_subrev_u32_e32 v4, 28, v15
	v_bfe_u32 v7, v20, 19, 4
	v_lshlrev_b64 v[4:5], v4, v[0:1]
	v_sub_u32_e32 v5, 29, v15
	v_cmp_eq_u32_e64 s[0:1], 0, v7
	v_and_b32_e32 v4, 7, v4
	v_lshlrev_b32_e32 v0, 8, v0
	v_cndmask_b32_e64 v5, v7, v5, s[0:1]
	v_lshl_add_u32 v5, v5, 10, v48
	v_cndmask_b32_e64 v4, v6, v4, s[0:1]
	v_and_or_b32 v0, v0, s24, v5
	v_lshl_or_b32 v0, v4, 7, v0
	v_cvt_f32_f16_e32 v25, v0
.LBB294_643:                            ;   in Loop: Header=BB294_562 Depth=1
	s_or_b64 exec, exec, s[6:7]
	v_lshrrev_b32_e32 v0, 24, v20
	v_cmp_lt_i16_e64 s[0:1], s3, v0
	s_mov_b64 s[6:7], 0
                                        ; implicit-def: $sgpr29
	s_and_saveexec_b64 s[8:9], s[0:1]
	s_xor_b64 s[8:9], exec, s[8:9]
	s_cbranch_execnz .LBB294_911
; %bb.644:                              ;   in Loop: Header=BB294_562 Depth=1
	s_or_saveexec_b64 s[8:9], s[8:9]
	v_mov_b32_e32 v29, s29
	s_xor_b64 exec, exec, s[8:9]
	s_cbranch_execnz .LBB294_914
.LBB294_645:                            ;   in Loop: Header=BB294_562 Depth=1
	s_or_b64 exec, exec, s[8:9]
	s_and_saveexec_b64 s[8:9], s[6:7]
	s_cbranch_execz .LBB294_647
.LBB294_646:                            ;   in Loop: Header=BB294_562 Depth=1
	v_bfe_u32 v6, v20, 24, 3
	v_ffbh_u32_e32 v4, v6
	v_min_u32_e32 v15, 32, v4
	v_subrev_u32_e32 v4, 28, v15
	v_bfe_u32 v7, v20, 27, 4
	v_lshlrev_b64 v[4:5], v4, v[0:1]
	v_sub_u32_e32 v5, 29, v15
	v_cmp_eq_u32_e64 s[0:1], 0, v7
	v_and_b32_e32 v4, 7, v4
	v_lshlrev_b32_e32 v0, 8, v0
	v_cndmask_b32_e64 v5, v7, v5, s[0:1]
	v_lshl_add_u32 v5, v5, 10, v48
	v_cndmask_b32_e64 v4, v6, v4, s[0:1]
	v_and_or_b32 v0, v0, s24, v5
	v_lshl_or_b32 v0, v4, 7, v0
	v_cvt_f32_f16_e32 v29, v0
.LBB294_647:                            ;   in Loop: Header=BB294_562 Depth=1
	s_or_b64 exec, exec, s[8:9]
	v_cmp_gt_i16_sdwa s[6:7], v21, s3 src0_sel:BYTE_0 src1_sel:DWORD
	s_mov_b64 s[0:1], 0
                                        ; implicit-def: $sgpr10
	s_and_saveexec_b64 s[8:9], s[6:7]
	s_xor_b64 s[6:7], exec, s[8:9]
	s_cbranch_execnz .LBB294_915
; %bb.648:                              ;   in Loop: Header=BB294_562 Depth=1
	s_or_saveexec_b64 s[6:7], s[6:7]
	v_mov_b32_e32 v4, s10
	s_xor_b64 exec, exec, s[6:7]
	s_cbranch_execnz .LBB294_918
.LBB294_649:                            ;   in Loop: Header=BB294_562 Depth=1
	s_or_b64 exec, exec, s[6:7]
	v_mov_b32_e32 v0, v21
	s_and_saveexec_b64 s[6:7], s[0:1]
	s_cbranch_execz .LBB294_651
.LBB294_650:                            ;   in Loop: Header=BB294_562 Depth=1
	v_and_b32_e32 v4, 7, v21
	v_ffbh_u32_e32 v4, v4
	v_bfe_u32 v5, v21, 3, 4
	v_min_u32_e32 v4, 32, v4
	v_subrev_u32_e32 v6, 28, v4
	v_sub_u32_e32 v4, 29, v4
	v_cmp_eq_u32_e64 s[0:1], 0, v5
	s_nop 1
	v_cndmask_b32_e64 v7, v5, v4, s[0:1]
	v_cndmask_b32_e64 v4, 0, v6, s[0:1]
	v_lshlrev_b64 v[4:5], v4, v[0:1]
	v_lshlrev_b32_e32 v5, 8, v21
	v_lshl_add_u32 v6, v7, 10, v48
	v_lshlrev_b32_e32 v4, 7, v4
	v_and_or_b32 v5, v5, s24, v6
	v_and_or_b32 v4, v4, s25, v5
	v_cvt_f32_f16_e32 v4, v4
.LBB294_651:                            ;   in Loop: Header=BB294_562 Depth=1
	s_or_b64 exec, exec, s[6:7]
	v_lshrrev_b16_e32 v0, 8, v0
	v_cmp_lt_i16_e64 s[0:1], s3, v0
	s_mov_b64 s[6:7], 0
                                        ; implicit-def: $sgpr29
	s_and_saveexec_b64 s[8:9], s[0:1]
	s_xor_b64 s[8:9], exec, s[8:9]
	s_cbranch_execnz .LBB294_919
; %bb.652:                              ;   in Loop: Header=BB294_562 Depth=1
	s_or_saveexec_b64 s[8:9], s[8:9]
	v_mov_b32_e32 v5, s29
	s_xor_b64 exec, exec, s[8:9]
	s_cbranch_execnz .LBB294_922
.LBB294_653:                            ;   in Loop: Header=BB294_562 Depth=1
	s_or_b64 exec, exec, s[8:9]
	s_and_saveexec_b64 s[8:9], s[6:7]
	s_cbranch_execz .LBB294_655
.LBB294_654:                            ;   in Loop: Header=BB294_562 Depth=1
	v_and_b32_e32 v5, 7, v0
	v_ffbh_u32_e32 v6, v5
	v_min_u32_e32 v16, 32, v6
	v_subrev_u32_e32 v6, 28, v16
	v_bfe_u32 v15, v0, 3, 4
	v_lshlrev_b64 v[6:7], v6, v[0:1]
	v_sub_u32_e32 v7, 29, v16
	v_cmp_eq_u32_e64 s[0:1], 0, v15
	v_and_b32_e32 v6, 7, v6
	v_lshlrev_b32_e32 v0, 8, v0
	v_cndmask_b32_e64 v7, v15, v7, s[0:1]
	v_cndmask_b32_e64 v5, v5, v6, s[0:1]
	v_lshl_add_u32 v6, v7, 10, v48
	v_and_or_b32 v0, v0, s24, v6
	v_lshl_or_b32 v0, v5, 7, v0
	v_cvt_f32_f16_e32 v5, v0
.LBB294_655:                            ;   in Loop: Header=BB294_562 Depth=1
	s_or_b64 exec, exec, s[8:9]
	v_lshrrev_b32_e32 v0, 16, v21
	v_cmp_gt_i16_sdwa s[6:7], v0, s3 src0_sel:BYTE_0 src1_sel:DWORD
	s_mov_b64 s[0:1], 0
                                        ; implicit-def: $sgpr10
	s_and_saveexec_b64 s[8:9], s[6:7]
	s_xor_b64 s[6:7], exec, s[8:9]
	s_cbranch_execnz .LBB294_923
; %bb.656:                              ;   in Loop: Header=BB294_562 Depth=1
	s_or_saveexec_b64 s[6:7], s[6:7]
	v_mov_b32_e32 v6, s10
	s_xor_b64 exec, exec, s[6:7]
	s_cbranch_execnz .LBB294_926
.LBB294_657:                            ;   in Loop: Header=BB294_562 Depth=1
	s_or_b64 exec, exec, s[6:7]
	s_and_saveexec_b64 s[6:7], s[0:1]
	s_cbranch_execz .LBB294_659
.LBB294_658:                            ;   in Loop: Header=BB294_562 Depth=1
	v_bfe_u32 v15, v21, 16, 3
	v_ffbh_u32_e32 v6, v15
	v_min_u32_e32 v18, 32, v6
	v_subrev_u32_e32 v6, 28, v18
	v_bfe_u32 v16, v21, 19, 4
	v_lshlrev_b64 v[6:7], v6, v[0:1]
	v_sub_u32_e32 v7, 29, v18
	v_cmp_eq_u32_e64 s[0:1], 0, v16
	v_and_b32_e32 v6, 7, v6
	v_lshlrev_b32_e32 v0, 8, v0
	v_cndmask_b32_e64 v7, v16, v7, s[0:1]
	v_lshl_add_u32 v7, v7, 10, v48
	v_cndmask_b32_e64 v6, v15, v6, s[0:1]
	v_and_or_b32 v0, v0, s24, v7
	v_lshl_or_b32 v0, v6, 7, v0
	v_cvt_f32_f16_e32 v6, v0
.LBB294_659:                            ;   in Loop: Header=BB294_562 Depth=1
	s_or_b64 exec, exec, s[6:7]
	v_lshrrev_b32_e32 v0, 24, v21
	v_cmp_lt_i16_e64 s[0:1], s3, v0
	s_mov_b64 s[6:7], 0
                                        ; implicit-def: $sgpr29
	s_and_saveexec_b64 s[8:9], s[0:1]
	s_xor_b64 s[8:9], exec, s[8:9]
	s_cbranch_execnz .LBB294_927
; %bb.660:                              ;   in Loop: Header=BB294_562 Depth=1
	s_or_saveexec_b64 s[8:9], s[8:9]
	v_mov_b32_e32 v15, s29
	s_xor_b64 exec, exec, s[8:9]
	s_cbranch_execnz .LBB294_930
.LBB294_661:                            ;   in Loop: Header=BB294_562 Depth=1
	s_or_b64 exec, exec, s[8:9]
	s_and_saveexec_b64 s[8:9], s[6:7]
	s_cbranch_execz .LBB294_663
.LBB294_662:                            ;   in Loop: Header=BB294_562 Depth=1
	v_bfe_u32 v7, v21, 24, 3
	v_ffbh_u32_e32 v16, v7
	v_bfe_u32 v15, v21, 27, 4
	v_min_u32_e32 v16, 32, v16
	v_subrev_u32_e32 v18, 28, v16
	v_sub_u32_e32 v16, 29, v16
	v_cmp_eq_u32_e64 s[0:1], 0, v15
	v_lshlrev_b64 v[20:21], v18, v[0:1]
	v_and_b32_e32 v18, 7, v20
	v_cndmask_b32_e64 v15, v15, v16, s[0:1]
	v_lshlrev_b32_e32 v0, 8, v0
	v_lshl_add_u32 v15, v15, 10, v48
	v_cndmask_b32_e64 v7, v7, v18, s[0:1]
	v_and_or_b32 v0, v0, s24, v15
	v_lshl_or_b32 v0, v7, 7, v0
	v_cvt_f32_f16_e32 v15, v0
.LBB294_663:                            ;   in Loop: Header=BB294_562 Depth=1
	s_or_b64 exec, exec, s[8:9]
	v_pk_mul_f32 v[20:21], v[14:15], v[28:29] op_sel_hi:[0,1]
	v_pk_mul_f32 v[22:23], v[14:15], v[24:25] op_sel_hi:[0,1]
	v_cvt_f16_f32_e32 v0, v21
	v_cvt_f16_f32_e32 v7, v20
	;; [unrolled: 1-line block ×4, first 2 shown]
	v_fma_mixlo_f16 v5, v14, v5, 0
	v_lshlrev_b32_e32 v5, 16, v5
	v_fma_mixlo_f16 v4, v14, v4, 0
	v_or_b32_sdwa v4, v5, v4 dst_sel:DWORD dst_unused:UNUSED_PAD src0_sel:DWORD src1_sel:WORD_0
	v_fma_mixlo_f16 v5, v14, v15, 0
	v_pack_b32_f16 v7, v7, v0
	v_pack_b32_f16 v16, v18, v16
	v_fma_mixlo_f16 v6, v14, v6, 0
	v_lshlrev_b32_e32 v5, 16, v5
	v_perm_b32 v0, v16, v7, s26
	v_perm_b32 v7, v16, v7, s27
	v_or_b32_sdwa v5, v5, v6 dst_sel:DWORD dst_unused:UNUSED_PAD src0_sel:DWORD src1_sel:WORD_0
	s_and_saveexec_b64 s[6:7], vcc
	s_cbranch_execz .LBB294_665
; %bb.664:                              ;   in Loop: Header=BB294_562 Depth=1
	v_lshrrev_b32_e32 v14, 16, v7
	v_cmp_lt_i32_e64 s[0:1], v57, v3
	v_accvgpr_read_b32 v16, a8
	v_lshrrev_b32_e32 v5, 16, v5
	v_cndmask_b32_e64 v14, 0, v14, s[0:1]
	v_cmp_lt_i32_e64 s[0:1], v44, v16
	s_nop 1
	v_cndmask_b32_e64 v7, 0, v7, s[0:1]
	v_perm_b32 v7, v14, v7, s28
	v_lshrrev_b32_e32 v14, 16, v0
	v_cmp_lt_i32_e64 s[0:1], v56, v3
	s_nop 1
	v_cndmask_b32_e64 v14, 0, v14, s[0:1]
	v_cmp_lt_i32_e64 s[0:1], v47, v16
	s_nop 1
	v_cndmask_b32_e64 v0, 0, v0, s[0:1]
	v_perm_b32 v0, v14, v0, s28
	v_lshrrev_b32_e32 v14, 16, v4
	v_cmp_lt_i32_e64 s[0:1], v46, v3
	s_nop 1
	v_cndmask_b32_e64 v14, 0, v14, s[0:1]
	v_cmp_lt_i32_e64 s[0:1], v45, v16
	s_nop 1
	v_cndmask_b32_e64 v4, 0, v4, s[0:1]
	v_cmp_lt_i32_e64 s[0:1], v43, v3
	v_perm_b32 v4, v14, v4, s28
	s_nop 0
	v_cndmask_b32_e64 v5, 0, v5, s[0:1]
	v_cmp_lt_i32_e64 s[0:1], v49, v16
	s_nop 1
	v_cndmask_b32_e64 v6, 0, v6, s[0:1]
	v_perm_b32 v5, v5, v6, s28
.LBB294_665:                            ;   in Loop: Header=BB294_562 Depth=1
	s_or_b64 exec, exec, s[6:7]
	;;#ASMSTART
	v_pk_mul_f16 v6, v61, v7;

	;;#ASMEND
	;;#ASMSTART
	v_pk_mul_f16 v0, v60, v0;

	;;#ASMEND
	;; [unrolled: 4-line block ×4, first 2 shown]
	s_mov_b64 s[0:1], 0
	;;#ASMSTART
	v_pk_add_f16 v0, v6, v0;

	;;#ASMEND
	v_accvgpr_read_b32 v7, a5
	;;#ASMSTART
	v_pk_add_f16 v0, v0, v4;

	;;#ASMEND
	v_accvgpr_read_b32 v6, a4
	;;#ASMSTART
	v_pk_add_f16 v0, v0, v5;

	;;#ASMEND
                                        ; implicit-def: $sgpr10
	s_nop 0
	v_lshrrev_b32_e32 v5, 16, v0
	v_and_b32_e32 v0, 0xffff, v0
	;;#ASMSTART
	v_cvt_f32_f16 v4, v0;
	;;#ASMEND
	;;#ASMSTART
	v_cvt_f32_f16 v5, v5;
	;;#ASMEND
	flat_load_dwordx2 v[20:21], v[12:13] offset:1536
	flat_load_dword v14, v[6:7]
	s_waitcnt vmcnt(0) lgkmcnt(0)
	v_cmp_gt_i16_sdwa s[6:7], v20, s3 src0_sel:BYTE_0 src1_sel:DWORD
	s_and_saveexec_b64 s[8:9], s[6:7]
	s_xor_b64 s[6:7], exec, s[8:9]
	s_cbranch_execnz .LBB294_931
; %bb.666:                              ;   in Loop: Header=BB294_562 Depth=1
	s_or_saveexec_b64 s[6:7], s[6:7]
	v_mov_b32_e32 v24, s10
	s_xor_b64 exec, exec, s[6:7]
	s_cbranch_execnz .LBB294_934
.LBB294_667:                            ;   in Loop: Header=BB294_562 Depth=1
	s_or_b64 exec, exec, s[6:7]
	s_and_saveexec_b64 s[6:7], s[0:1]
	s_cbranch_execz .LBB294_669
.LBB294_668:                            ;   in Loop: Header=BB294_562 Depth=1
	v_and_b32_e32 v0, 7, v20
	v_ffbh_u32_e32 v0, v0
	v_bfe_u32 v6, v20, 3, 4
	v_min_u32_e32 v0, 32, v0
	v_subrev_u32_e32 v7, 28, v0
	v_sub_u32_e32 v0, 29, v0
	v_cmp_eq_u32_e64 s[0:1], 0, v6
	s_nop 1
	v_cndmask_b32_e64 v0, v6, v0, s[0:1]
	v_cndmask_b32_e64 v6, 0, v7, s[0:1]
	v_lshlrev_b64 v[6:7], v6, v[20:21]
	v_lshlrev_b32_e32 v7, 8, v20
	v_lshl_add_u32 v0, v0, 10, v48
	v_lshlrev_b32_e32 v6, 7, v6
	v_and_or_b32 v0, v7, s24, v0
	v_and_or_b32 v0, v6, s25, v0
	v_cvt_f32_f16_e32 v24, v0
.LBB294_669:                            ;   in Loop: Header=BB294_562 Depth=1
	s_or_b64 exec, exec, s[6:7]
	v_lshrrev_b16_e32 v0, 8, v20
	v_cmp_lt_i16_e64 s[0:1], s3, v0
	s_mov_b64 s[6:7], 0
                                        ; implicit-def: $sgpr29
	s_and_saveexec_b64 s[8:9], s[0:1]
	s_xor_b64 s[8:9], exec, s[8:9]
	s_cbranch_execnz .LBB294_935
; %bb.670:                              ;   in Loop: Header=BB294_562 Depth=1
	s_or_saveexec_b64 s[8:9], s[8:9]
	v_mov_b32_e32 v28, s29
	s_xor_b64 exec, exec, s[8:9]
	s_cbranch_execnz .LBB294_938
.LBB294_671:                            ;   in Loop: Header=BB294_562 Depth=1
	s_or_b64 exec, exec, s[8:9]
	s_and_saveexec_b64 s[8:9], s[6:7]
	s_cbranch_execz .LBB294_673
.LBB294_672:                            ;   in Loop: Header=BB294_562 Depth=1
	v_and_b32_e32 v15, 7, v0
	v_ffbh_u32_e32 v6, v15
	v_min_u32_e32 v18, 32, v6
	v_subrev_u32_e32 v6, 28, v18
	v_bfe_u32 v16, v0, 3, 4
	v_lshlrev_b64 v[6:7], v6, v[0:1]
	v_sub_u32_e32 v7, 29, v18
	v_cmp_eq_u32_e64 s[0:1], 0, v16
	v_and_b32_e32 v6, 7, v6
	v_lshlrev_b32_e32 v0, 8, v0
	v_cndmask_b32_e64 v7, v16, v7, s[0:1]
	v_lshl_add_u32 v7, v7, 10, v48
	v_cndmask_b32_e64 v6, v15, v6, s[0:1]
	v_and_or_b32 v0, v0, s24, v7
	v_lshl_or_b32 v0, v6, 7, v0
	v_cvt_f32_f16_e32 v28, v0
.LBB294_673:                            ;   in Loop: Header=BB294_562 Depth=1
	s_or_b64 exec, exec, s[8:9]
	v_lshrrev_b32_e32 v0, 16, v20
	v_cmp_gt_i16_sdwa s[6:7], v0, s3 src0_sel:BYTE_0 src1_sel:DWORD
	s_mov_b64 s[0:1], 0
                                        ; implicit-def: $sgpr10
	s_and_saveexec_b64 s[8:9], s[6:7]
	s_xor_b64 s[6:7], exec, s[8:9]
	s_cbranch_execnz .LBB294_939
; %bb.674:                              ;   in Loop: Header=BB294_562 Depth=1
	s_or_saveexec_b64 s[6:7], s[6:7]
	v_mov_b32_e32 v25, s10
	s_xor_b64 exec, exec, s[6:7]
	s_cbranch_execnz .LBB294_942
.LBB294_675:                            ;   in Loop: Header=BB294_562 Depth=1
	s_or_b64 exec, exec, s[6:7]
	s_and_saveexec_b64 s[6:7], s[0:1]
	s_cbranch_execz .LBB294_677
.LBB294_676:                            ;   in Loop: Header=BB294_562 Depth=1
	v_bfe_u32 v15, v20, 16, 3
	v_ffbh_u32_e32 v6, v15
	v_min_u32_e32 v18, 32, v6
	v_subrev_u32_e32 v6, 28, v18
	v_bfe_u32 v16, v20, 19, 4
	v_lshlrev_b64 v[6:7], v6, v[0:1]
	v_sub_u32_e32 v7, 29, v18
	v_cmp_eq_u32_e64 s[0:1], 0, v16
	v_and_b32_e32 v6, 7, v6
	v_lshlrev_b32_e32 v0, 8, v0
	v_cndmask_b32_e64 v7, v16, v7, s[0:1]
	v_lshl_add_u32 v7, v7, 10, v48
	v_cndmask_b32_e64 v6, v15, v6, s[0:1]
	v_and_or_b32 v0, v0, s24, v7
	v_lshl_or_b32 v0, v6, 7, v0
	v_cvt_f32_f16_e32 v25, v0
.LBB294_677:                            ;   in Loop: Header=BB294_562 Depth=1
	s_or_b64 exec, exec, s[6:7]
	v_lshrrev_b32_e32 v0, 24, v20
	v_cmp_lt_i16_e64 s[0:1], s3, v0
	s_mov_b64 s[6:7], 0
                                        ; implicit-def: $sgpr29
	s_and_saveexec_b64 s[8:9], s[0:1]
	s_xor_b64 s[8:9], exec, s[8:9]
	s_cbranch_execnz .LBB294_943
; %bb.678:                              ;   in Loop: Header=BB294_562 Depth=1
	s_or_saveexec_b64 s[8:9], s[8:9]
	v_mov_b32_e32 v29, s29
	s_xor_b64 exec, exec, s[8:9]
	s_cbranch_execnz .LBB294_946
.LBB294_679:                            ;   in Loop: Header=BB294_562 Depth=1
	s_or_b64 exec, exec, s[8:9]
	s_and_saveexec_b64 s[8:9], s[6:7]
	s_cbranch_execz .LBB294_681
.LBB294_680:                            ;   in Loop: Header=BB294_562 Depth=1
	v_bfe_u32 v15, v20, 24, 3
	v_ffbh_u32_e32 v6, v15
	v_min_u32_e32 v18, 32, v6
	v_subrev_u32_e32 v6, 28, v18
	v_bfe_u32 v16, v20, 27, 4
	v_lshlrev_b64 v[6:7], v6, v[0:1]
	v_sub_u32_e32 v7, 29, v18
	v_cmp_eq_u32_e64 s[0:1], 0, v16
	v_and_b32_e32 v6, 7, v6
	v_lshlrev_b32_e32 v0, 8, v0
	v_cndmask_b32_e64 v7, v16, v7, s[0:1]
	v_lshl_add_u32 v7, v7, 10, v48
	v_cndmask_b32_e64 v6, v15, v6, s[0:1]
	v_and_or_b32 v0, v0, s24, v7
	v_lshl_or_b32 v0, v6, 7, v0
	v_cvt_f32_f16_e32 v29, v0
.LBB294_681:                            ;   in Loop: Header=BB294_562 Depth=1
	s_or_b64 exec, exec, s[8:9]
	v_cmp_gt_i16_sdwa s[6:7], v21, s3 src0_sel:BYTE_0 src1_sel:DWORD
	s_mov_b64 s[0:1], 0
                                        ; implicit-def: $sgpr10
	s_and_saveexec_b64 s[8:9], s[6:7]
	s_xor_b64 s[6:7], exec, s[8:9]
	s_cbranch_execnz .LBB294_947
; %bb.682:                              ;   in Loop: Header=BB294_562 Depth=1
	s_or_saveexec_b64 s[6:7], s[6:7]
	v_mov_b32_e32 v6, s10
	s_xor_b64 exec, exec, s[6:7]
	s_cbranch_execnz .LBB294_950
.LBB294_683:                            ;   in Loop: Header=BB294_562 Depth=1
	s_or_b64 exec, exec, s[6:7]
	v_mov_b32_e32 v0, v21
	s_and_saveexec_b64 s[6:7], s[0:1]
	s_cbranch_execz .LBB294_685
.LBB294_684:                            ;   in Loop: Header=BB294_562 Depth=1
	v_and_b32_e32 v6, 7, v21
	v_ffbh_u32_e32 v6, v6
	v_bfe_u32 v7, v21, 3, 4
	v_min_u32_e32 v6, 32, v6
	v_subrev_u32_e32 v15, 28, v6
	v_sub_u32_e32 v6, 29, v6
	v_cmp_eq_u32_e64 s[0:1], 0, v7
	s_nop 1
	v_cndmask_b32_e64 v16, v7, v6, s[0:1]
	v_cndmask_b32_e64 v6, 0, v15, s[0:1]
	v_lshlrev_b64 v[6:7], v6, v[0:1]
	v_lshlrev_b32_e32 v7, 8, v21
	v_lshl_add_u32 v15, v16, 10, v48
	v_lshlrev_b32_e32 v6, 7, v6
	v_and_or_b32 v7, v7, s24, v15
	v_and_or_b32 v6, v6, s25, v7
	v_cvt_f32_f16_e32 v6, v6
.LBB294_685:                            ;   in Loop: Header=BB294_562 Depth=1
	s_or_b64 exec, exec, s[6:7]
	v_lshrrev_b16_e32 v0, 8, v0
	v_cmp_lt_i16_e64 s[0:1], s3, v0
	s_mov_b64 s[6:7], 0
                                        ; implicit-def: $sgpr29
	s_and_saveexec_b64 s[8:9], s[0:1]
	s_xor_b64 s[8:9], exec, s[8:9]
	s_cbranch_execnz .LBB294_951
; %bb.686:                              ;   in Loop: Header=BB294_562 Depth=1
	s_or_saveexec_b64 s[8:9], s[8:9]
	v_mov_b32_e32 v7, s29
	s_xor_b64 exec, exec, s[8:9]
	s_cbranch_execnz .LBB294_954
.LBB294_687:                            ;   in Loop: Header=BB294_562 Depth=1
	s_or_b64 exec, exec, s[8:9]
	s_and_saveexec_b64 s[8:9], s[6:7]
	s_cbranch_execz .LBB294_689
.LBB294_688:                            ;   in Loop: Header=BB294_562 Depth=1
	v_and_b32_e32 v7, 7, v0
	v_ffbh_u32_e32 v16, v7
	v_bfe_u32 v15, v0, 3, 4
	v_min_u32_e32 v16, 32, v16
	v_subrev_u32_e32 v18, 28, v16
	v_sub_u32_e32 v16, 29, v16
	v_cmp_eq_u32_e64 s[0:1], 0, v15
	v_lshlrev_b64 v[22:23], v18, v[0:1]
	v_and_b32_e32 v18, 7, v22
	v_cndmask_b32_e64 v15, v15, v16, s[0:1]
	v_lshlrev_b32_e32 v0, 8, v0
	v_lshl_add_u32 v15, v15, 10, v48
	v_cndmask_b32_e64 v7, v7, v18, s[0:1]
	v_and_or_b32 v0, v0, s24, v15
	v_lshl_or_b32 v0, v7, 7, v0
	v_cvt_f32_f16_e32 v7, v0
.LBB294_689:                            ;   in Loop: Header=BB294_562 Depth=1
	s_or_b64 exec, exec, s[8:9]
	v_lshrrev_b32_e32 v0, 16, v21
	v_cmp_gt_i16_sdwa s[6:7], v0, s3 src0_sel:BYTE_0 src1_sel:DWORD
	s_mov_b64 s[0:1], 0
                                        ; implicit-def: $sgpr10
	s_and_saveexec_b64 s[8:9], s[6:7]
	s_xor_b64 s[6:7], exec, s[8:9]
	s_cbranch_execnz .LBB294_955
; %bb.690:                              ;   in Loop: Header=BB294_562 Depth=1
	s_or_saveexec_b64 s[6:7], s[6:7]
	v_mov_b32_e32 v15, s10
	s_xor_b64 exec, exec, s[6:7]
	s_cbranch_execnz .LBB294_958
.LBB294_691:                            ;   in Loop: Header=BB294_562 Depth=1
	s_or_b64 exec, exec, s[6:7]
	s_and_saveexec_b64 s[6:7], s[0:1]
	s_cbranch_execz .LBB294_693
.LBB294_692:                            ;   in Loop: Header=BB294_562 Depth=1
	v_bfe_u32 v15, v21, 16, 3
	v_ffbh_u32_e32 v18, v15
	v_bfe_u32 v16, v21, 19, 4
	v_min_u32_e32 v18, 32, v18
	v_subrev_u32_e32 v20, 28, v18
	v_sub_u32_e32 v18, 29, v18
	v_cmp_eq_u32_e64 s[0:1], 0, v16
	v_lshlrev_b64 v[22:23], v20, v[0:1]
	v_and_b32_e32 v20, 7, v22
	v_cndmask_b32_e64 v16, v16, v18, s[0:1]
	v_lshlrev_b32_e32 v0, 8, v0
	v_lshl_add_u32 v16, v16, 10, v48
	v_cndmask_b32_e64 v15, v15, v20, s[0:1]
	v_and_or_b32 v0, v0, s24, v16
	v_lshl_or_b32 v0, v15, 7, v0
	v_cvt_f32_f16_e32 v15, v0
.LBB294_693:                            ;   in Loop: Header=BB294_562 Depth=1
	s_or_b64 exec, exec, s[6:7]
	v_lshrrev_b32_e32 v0, 24, v21
	v_cmp_lt_i16_e64 s[0:1], s3, v0
	s_mov_b64 s[6:7], 0
                                        ; implicit-def: $sgpr29
	s_and_saveexec_b64 s[8:9], s[0:1]
	s_xor_b64 s[8:9], exec, s[8:9]
	s_cbranch_execnz .LBB294_959
; %bb.694:                              ;   in Loop: Header=BB294_562 Depth=1
	s_or_saveexec_b64 s[8:9], s[8:9]
	v_mov_b32_e32 v18, s29
	s_xor_b64 exec, exec, s[8:9]
	s_cbranch_execnz .LBB294_962
.LBB294_695:                            ;   in Loop: Header=BB294_562 Depth=1
	s_or_b64 exec, exec, s[8:9]
	s_and_saveexec_b64 s[8:9], s[6:7]
	s_cbranch_execz .LBB294_697
.LBB294_696:                            ;   in Loop: Header=BB294_562 Depth=1
	v_bfe_u32 v16, v21, 24, 3
	v_ffbh_u32_e32 v20, v16
	v_min_u32_e32 v22, 32, v20
	v_subrev_u32_e32 v20, 28, v22
	v_bfe_u32 v18, v21, 27, 4
	v_lshlrev_b64 v[20:21], v20, v[0:1]
	v_sub_u32_e32 v21, 29, v22
	v_cmp_eq_u32_e64 s[0:1], 0, v18
	v_and_b32_e32 v20, 7, v20
	v_lshlrev_b32_e32 v0, 8, v0
	v_cndmask_b32_e64 v18, v18, v21, s[0:1]
	v_lshl_add_u32 v18, v18, 10, v48
	v_cndmask_b32_e64 v16, v16, v20, s[0:1]
	v_and_or_b32 v0, v0, s24, v18
	v_lshl_or_b32 v0, v16, 7, v0
	v_cvt_f32_f16_e32 v18, v0
.LBB294_697:                            ;   in Loop: Header=BB294_562 Depth=1
	s_or_b64 exec, exec, s[8:9]
	v_pk_mul_f32 v[20:21], v[14:15], v[28:29] op_sel_hi:[0,1]
	v_pk_mul_f32 v[22:23], v[14:15], v[24:25] op_sel_hi:[0,1]
	v_cvt_f16_f32_e32 v0, v21
	v_cvt_f16_f32_e32 v16, v20
	;; [unrolled: 1-line block ×4, first 2 shown]
	v_fma_mixlo_f16 v7, v14, v7, 0
	v_lshlrev_b32_e32 v7, 16, v7
	v_fma_mixlo_f16 v6, v14, v6, 0
	v_or_b32_sdwa v6, v7, v6 dst_sel:DWORD dst_unused:UNUSED_PAD src0_sel:DWORD src1_sel:WORD_0
	v_fma_mixlo_f16 v7, v14, v18, 0
	v_pack_b32_f16 v16, v16, v0
	v_pack_b32_f16 v20, v21, v20
	v_fma_mixlo_f16 v15, v14, v15, 0
	v_lshlrev_b32_e32 v7, 16, v7
	v_perm_b32 v0, v20, v16, s26
	v_perm_b32 v16, v20, v16, s27
	v_or_b32_sdwa v7, v7, v15 dst_sel:DWORD dst_unused:UNUSED_PAD src0_sel:DWORD src1_sel:WORD_0
	s_and_saveexec_b64 s[6:7], vcc
	s_cbranch_execz .LBB294_699
; %bb.698:                              ;   in Loop: Header=BB294_562 Depth=1
	v_lshrrev_b32_e32 v14, 16, v16
	v_cmp_lt_i32_e64 s[0:1], v57, v3
	v_accvgpr_read_b32 v18, a8
	v_lshrrev_b32_e32 v7, 16, v7
	v_cndmask_b32_e64 v14, 0, v14, s[0:1]
	v_cmp_lt_i32_e64 s[0:1], v44, v18
	s_nop 1
	v_cndmask_b32_e64 v16, 0, v16, s[0:1]
	v_perm_b32 v16, v14, v16, s28
	v_lshrrev_b32_e32 v14, 16, v0
	v_cmp_lt_i32_e64 s[0:1], v56, v3
	s_nop 1
	v_cndmask_b32_e64 v14, 0, v14, s[0:1]
	v_cmp_lt_i32_e64 s[0:1], v47, v18
	s_nop 1
	v_cndmask_b32_e64 v0, 0, v0, s[0:1]
	v_perm_b32 v0, v14, v0, s28
	v_lshrrev_b32_e32 v14, 16, v6
	v_cmp_lt_i32_e64 s[0:1], v46, v3
	s_nop 1
	v_cndmask_b32_e64 v14, 0, v14, s[0:1]
	v_cmp_lt_i32_e64 s[0:1], v45, v18
	s_nop 1
	v_cndmask_b32_e64 v6, 0, v6, s[0:1]
	v_cmp_lt_i32_e64 s[0:1], v43, v3
	v_perm_b32 v6, v14, v6, s28
	s_nop 0
	v_cndmask_b32_e64 v7, 0, v7, s[0:1]
	v_cmp_lt_i32_e64 s[0:1], v49, v18
	s_nop 1
	v_cndmask_b32_e64 v14, 0, v15, s[0:1]
	v_perm_b32 v7, v7, v14, s28
.LBB294_699:                            ;   in Loop: Header=BB294_562 Depth=1
	s_or_b64 exec, exec, s[6:7]
	;;#ASMSTART
	v_pk_mul_f16 v14, v61, v16;

	;;#ASMEND
	;;#ASMSTART
	v_pk_mul_f16 v0, v60, v0;

	;;#ASMEND
	;; [unrolled: 4-line block ×4, first 2 shown]
	s_mov_b64 s[0:1], 0
	;;#ASMSTART
	v_pk_add_f16 v0, v14, v0;

	;;#ASMEND
                                        ; implicit-def: $sgpr10
	s_nop 0
	;;#ASMSTART
	v_pk_add_f16 v0, v0, v6;

	;;#ASMEND
	s_nop 0
	;;#ASMSTART
	v_pk_add_f16 v0, v0, v7;

	;;#ASMEND
	s_nop 0
	v_lshrrev_b32_e32 v6, 16, v0
	v_and_b32_e32 v0, 0xffff, v0
	;;#ASMSTART
	v_cvt_f32_f16 v55, v0;
	;;#ASMEND
	;;#ASMSTART
	v_cvt_f32_f16 v54, v6;
	;;#ASMEND
	v_accvgpr_read_b32 v7, a5
	flat_load_dwordx2 v[20:21], v[12:13] offset:2048
	v_accvgpr_read_b32 v6, a4
	flat_load_dword v14, v[6:7]
	s_waitcnt vmcnt(0) lgkmcnt(0)
	v_cmp_gt_i16_sdwa s[6:7], v20, s3 src0_sel:BYTE_0 src1_sel:DWORD
	s_and_saveexec_b64 s[8:9], s[6:7]
	s_xor_b64 s[6:7], exec, s[8:9]
	s_cbranch_execnz .LBB294_963
; %bb.700:                              ;   in Loop: Header=BB294_562 Depth=1
	s_or_saveexec_b64 s[6:7], s[6:7]
	v_mov_b32_e32 v24, s10
	s_xor_b64 exec, exec, s[6:7]
	s_cbranch_execnz .LBB294_966
.LBB294_701:                            ;   in Loop: Header=BB294_562 Depth=1
	s_or_b64 exec, exec, s[6:7]
	s_and_saveexec_b64 s[6:7], s[0:1]
	s_cbranch_execz .LBB294_703
.LBB294_702:                            ;   in Loop: Header=BB294_562 Depth=1
	v_and_b32_e32 v0, 7, v20
	v_ffbh_u32_e32 v0, v0
	v_bfe_u32 v6, v20, 3, 4
	v_min_u32_e32 v0, 32, v0
	v_subrev_u32_e32 v7, 28, v0
	v_sub_u32_e32 v0, 29, v0
	v_cmp_eq_u32_e64 s[0:1], 0, v6
	s_nop 1
	v_cndmask_b32_e64 v0, v6, v0, s[0:1]
	v_cndmask_b32_e64 v6, 0, v7, s[0:1]
	v_lshlrev_b64 v[6:7], v6, v[20:21]
	v_lshlrev_b32_e32 v7, 8, v20
	v_lshl_add_u32 v0, v0, 10, v48
	v_lshlrev_b32_e32 v6, 7, v6
	v_and_or_b32 v0, v7, s24, v0
	v_and_or_b32 v0, v6, s25, v0
	v_cvt_f32_f16_e32 v24, v0
.LBB294_703:                            ;   in Loop: Header=BB294_562 Depth=1
	s_or_b64 exec, exec, s[6:7]
	v_lshrrev_b16_e32 v0, 8, v20
	v_cmp_lt_i16_e64 s[0:1], s3, v0
	s_mov_b64 s[6:7], 0
                                        ; implicit-def: $sgpr29
	s_and_saveexec_b64 s[8:9], s[0:1]
	s_xor_b64 s[8:9], exec, s[8:9]
	s_cbranch_execnz .LBB294_967
; %bb.704:                              ;   in Loop: Header=BB294_562 Depth=1
	s_or_saveexec_b64 s[8:9], s[8:9]
	v_mov_b32_e32 v28, s29
	s_xor_b64 exec, exec, s[8:9]
	s_cbranch_execnz .LBB294_970
.LBB294_705:                            ;   in Loop: Header=BB294_562 Depth=1
	s_or_b64 exec, exec, s[8:9]
	s_and_saveexec_b64 s[8:9], s[6:7]
	s_cbranch_execz .LBB294_707
.LBB294_706:                            ;   in Loop: Header=BB294_562 Depth=1
	v_and_b32_e32 v15, 7, v0
	v_ffbh_u32_e32 v6, v15
	v_min_u32_e32 v18, 32, v6
	v_subrev_u32_e32 v6, 28, v18
	v_bfe_u32 v16, v0, 3, 4
	v_lshlrev_b64 v[6:7], v6, v[0:1]
	v_sub_u32_e32 v7, 29, v18
	v_cmp_eq_u32_e64 s[0:1], 0, v16
	v_and_b32_e32 v6, 7, v6
	v_lshlrev_b32_e32 v0, 8, v0
	v_cndmask_b32_e64 v7, v16, v7, s[0:1]
	v_lshl_add_u32 v7, v7, 10, v48
	v_cndmask_b32_e64 v6, v15, v6, s[0:1]
	v_and_or_b32 v0, v0, s24, v7
	v_lshl_or_b32 v0, v6, 7, v0
	v_cvt_f32_f16_e32 v28, v0
.LBB294_707:                            ;   in Loop: Header=BB294_562 Depth=1
	s_or_b64 exec, exec, s[8:9]
	v_lshrrev_b32_e32 v0, 16, v20
	v_cmp_gt_i16_sdwa s[6:7], v0, s3 src0_sel:BYTE_0 src1_sel:DWORD
	s_mov_b64 s[0:1], 0
                                        ; implicit-def: $sgpr10
	s_and_saveexec_b64 s[8:9], s[6:7]
	s_xor_b64 s[6:7], exec, s[8:9]
	s_cbranch_execnz .LBB294_971
; %bb.708:                              ;   in Loop: Header=BB294_562 Depth=1
	s_or_saveexec_b64 s[6:7], s[6:7]
	v_mov_b32_e32 v25, s10
	s_xor_b64 exec, exec, s[6:7]
	s_cbranch_execnz .LBB294_974
.LBB294_709:                            ;   in Loop: Header=BB294_562 Depth=1
	s_or_b64 exec, exec, s[6:7]
	s_and_saveexec_b64 s[6:7], s[0:1]
	s_cbranch_execz .LBB294_711
.LBB294_710:                            ;   in Loop: Header=BB294_562 Depth=1
	v_bfe_u32 v15, v20, 16, 3
	v_ffbh_u32_e32 v6, v15
	v_min_u32_e32 v18, 32, v6
	v_subrev_u32_e32 v6, 28, v18
	v_bfe_u32 v16, v20, 19, 4
	v_lshlrev_b64 v[6:7], v6, v[0:1]
	v_sub_u32_e32 v7, 29, v18
	v_cmp_eq_u32_e64 s[0:1], 0, v16
	v_and_b32_e32 v6, 7, v6
	v_lshlrev_b32_e32 v0, 8, v0
	v_cndmask_b32_e64 v7, v16, v7, s[0:1]
	v_lshl_add_u32 v7, v7, 10, v48
	v_cndmask_b32_e64 v6, v15, v6, s[0:1]
	v_and_or_b32 v0, v0, s24, v7
	v_lshl_or_b32 v0, v6, 7, v0
	v_cvt_f32_f16_e32 v25, v0
.LBB294_711:                            ;   in Loop: Header=BB294_562 Depth=1
	s_or_b64 exec, exec, s[6:7]
	v_lshrrev_b32_e32 v0, 24, v20
	v_cmp_lt_i16_e64 s[0:1], s3, v0
	s_mov_b64 s[6:7], 0
                                        ; implicit-def: $sgpr29
	s_and_saveexec_b64 s[8:9], s[0:1]
	s_xor_b64 s[8:9], exec, s[8:9]
	s_cbranch_execnz .LBB294_975
; %bb.712:                              ;   in Loop: Header=BB294_562 Depth=1
	s_or_saveexec_b64 s[8:9], s[8:9]
	v_mov_b32_e32 v29, s29
	s_xor_b64 exec, exec, s[8:9]
	s_cbranch_execnz .LBB294_978
.LBB294_713:                            ;   in Loop: Header=BB294_562 Depth=1
	s_or_b64 exec, exec, s[8:9]
	s_and_saveexec_b64 s[8:9], s[6:7]
	s_cbranch_execz .LBB294_715
.LBB294_714:                            ;   in Loop: Header=BB294_562 Depth=1
	v_bfe_u32 v15, v20, 24, 3
	v_ffbh_u32_e32 v6, v15
	v_min_u32_e32 v18, 32, v6
	v_subrev_u32_e32 v6, 28, v18
	v_bfe_u32 v16, v20, 27, 4
	v_lshlrev_b64 v[6:7], v6, v[0:1]
	v_sub_u32_e32 v7, 29, v18
	v_cmp_eq_u32_e64 s[0:1], 0, v16
	v_and_b32_e32 v6, 7, v6
	v_lshlrev_b32_e32 v0, 8, v0
	v_cndmask_b32_e64 v7, v16, v7, s[0:1]
	v_lshl_add_u32 v7, v7, 10, v48
	v_cndmask_b32_e64 v6, v15, v6, s[0:1]
	v_and_or_b32 v0, v0, s24, v7
	v_lshl_or_b32 v0, v6, 7, v0
	v_cvt_f32_f16_e32 v29, v0
.LBB294_715:                            ;   in Loop: Header=BB294_562 Depth=1
	s_or_b64 exec, exec, s[8:9]
	v_cmp_gt_i16_sdwa s[6:7], v21, s3 src0_sel:BYTE_0 src1_sel:DWORD
	s_mov_b64 s[0:1], 0
                                        ; implicit-def: $sgpr10
	s_and_saveexec_b64 s[8:9], s[6:7]
	s_xor_b64 s[6:7], exec, s[8:9]
	s_cbranch_execnz .LBB294_979
; %bb.716:                              ;   in Loop: Header=BB294_562 Depth=1
	s_or_saveexec_b64 s[6:7], s[6:7]
	v_mov_b32_e32 v6, s10
	s_xor_b64 exec, exec, s[6:7]
	s_cbranch_execnz .LBB294_982
.LBB294_717:                            ;   in Loop: Header=BB294_562 Depth=1
	s_or_b64 exec, exec, s[6:7]
	v_mov_b32_e32 v0, v21
	s_and_saveexec_b64 s[6:7], s[0:1]
	s_cbranch_execz .LBB294_719
.LBB294_718:                            ;   in Loop: Header=BB294_562 Depth=1
	v_and_b32_e32 v6, 7, v21
	v_ffbh_u32_e32 v6, v6
	v_bfe_u32 v7, v21, 3, 4
	v_min_u32_e32 v6, 32, v6
	v_subrev_u32_e32 v15, 28, v6
	v_sub_u32_e32 v6, 29, v6
	v_cmp_eq_u32_e64 s[0:1], 0, v7
	s_nop 1
	v_cndmask_b32_e64 v16, v7, v6, s[0:1]
	v_cndmask_b32_e64 v6, 0, v15, s[0:1]
	v_lshlrev_b64 v[6:7], v6, v[0:1]
	v_lshlrev_b32_e32 v7, 8, v21
	v_lshl_add_u32 v15, v16, 10, v48
	v_lshlrev_b32_e32 v6, 7, v6
	v_and_or_b32 v7, v7, s24, v15
	v_and_or_b32 v6, v6, s25, v7
	v_cvt_f32_f16_e32 v6, v6
.LBB294_719:                            ;   in Loop: Header=BB294_562 Depth=1
	s_or_b64 exec, exec, s[6:7]
	v_lshrrev_b16_e32 v0, 8, v0
	v_cmp_lt_i16_e64 s[0:1], s3, v0
	s_mov_b64 s[6:7], 0
                                        ; implicit-def: $sgpr29
	s_and_saveexec_b64 s[8:9], s[0:1]
	s_xor_b64 s[8:9], exec, s[8:9]
	s_cbranch_execnz .LBB294_983
; %bb.720:                              ;   in Loop: Header=BB294_562 Depth=1
	s_or_saveexec_b64 s[8:9], s[8:9]
	v_mov_b32_e32 v7, s29
	s_xor_b64 exec, exec, s[8:9]
	s_cbranch_execnz .LBB294_986
.LBB294_721:                            ;   in Loop: Header=BB294_562 Depth=1
	s_or_b64 exec, exec, s[8:9]
	s_and_saveexec_b64 s[8:9], s[6:7]
	s_cbranch_execz .LBB294_723
.LBB294_722:                            ;   in Loop: Header=BB294_562 Depth=1
	v_and_b32_e32 v7, 7, v0
	v_ffbh_u32_e32 v16, v7
	v_bfe_u32 v15, v0, 3, 4
	v_min_u32_e32 v16, 32, v16
	v_subrev_u32_e32 v18, 28, v16
	v_sub_u32_e32 v16, 29, v16
	v_cmp_eq_u32_e64 s[0:1], 0, v15
	v_lshlrev_b64 v[22:23], v18, v[0:1]
	v_and_b32_e32 v18, 7, v22
	v_cndmask_b32_e64 v15, v15, v16, s[0:1]
	v_lshlrev_b32_e32 v0, 8, v0
	v_lshl_add_u32 v15, v15, 10, v48
	v_cndmask_b32_e64 v7, v7, v18, s[0:1]
	v_and_or_b32 v0, v0, s24, v15
	v_lshl_or_b32 v0, v7, 7, v0
	v_cvt_f32_f16_e32 v7, v0
.LBB294_723:                            ;   in Loop: Header=BB294_562 Depth=1
	s_or_b64 exec, exec, s[8:9]
	v_lshrrev_b32_e32 v0, 16, v21
	v_cmp_gt_i16_sdwa s[6:7], v0, s3 src0_sel:BYTE_0 src1_sel:DWORD
	s_mov_b64 s[0:1], 0
                                        ; implicit-def: $sgpr10
	s_and_saveexec_b64 s[8:9], s[6:7]
	s_xor_b64 s[6:7], exec, s[8:9]
	s_cbranch_execnz .LBB294_987
; %bb.724:                              ;   in Loop: Header=BB294_562 Depth=1
	s_or_saveexec_b64 s[6:7], s[6:7]
	v_mov_b32_e32 v15, s10
	s_xor_b64 exec, exec, s[6:7]
	s_cbranch_execnz .LBB294_990
.LBB294_725:                            ;   in Loop: Header=BB294_562 Depth=1
	s_or_b64 exec, exec, s[6:7]
	s_and_saveexec_b64 s[6:7], s[0:1]
	s_cbranch_execz .LBB294_727
.LBB294_726:                            ;   in Loop: Header=BB294_562 Depth=1
	v_bfe_u32 v15, v21, 16, 3
	v_ffbh_u32_e32 v18, v15
	v_bfe_u32 v16, v21, 19, 4
	v_min_u32_e32 v18, 32, v18
	v_subrev_u32_e32 v20, 28, v18
	v_sub_u32_e32 v18, 29, v18
	v_cmp_eq_u32_e64 s[0:1], 0, v16
	v_lshlrev_b64 v[22:23], v20, v[0:1]
	v_and_b32_e32 v20, 7, v22
	v_cndmask_b32_e64 v16, v16, v18, s[0:1]
	v_lshlrev_b32_e32 v0, 8, v0
	v_lshl_add_u32 v16, v16, 10, v48
	v_cndmask_b32_e64 v15, v15, v20, s[0:1]
	v_and_or_b32 v0, v0, s24, v16
	v_lshl_or_b32 v0, v15, 7, v0
	v_cvt_f32_f16_e32 v15, v0
.LBB294_727:                            ;   in Loop: Header=BB294_562 Depth=1
	s_or_b64 exec, exec, s[6:7]
	v_lshrrev_b32_e32 v0, 24, v21
	v_cmp_lt_i16_e64 s[0:1], s3, v0
	s_mov_b64 s[6:7], 0
                                        ; implicit-def: $sgpr29
	s_and_saveexec_b64 s[8:9], s[0:1]
	s_xor_b64 s[8:9], exec, s[8:9]
	s_cbranch_execnz .LBB294_991
; %bb.728:                              ;   in Loop: Header=BB294_562 Depth=1
	s_or_saveexec_b64 s[8:9], s[8:9]
	v_mov_b32_e32 v18, s29
	s_xor_b64 exec, exec, s[8:9]
	s_cbranch_execnz .LBB294_994
.LBB294_729:                            ;   in Loop: Header=BB294_562 Depth=1
	s_or_b64 exec, exec, s[8:9]
	s_and_saveexec_b64 s[8:9], s[6:7]
	s_cbranch_execz .LBB294_731
.LBB294_730:                            ;   in Loop: Header=BB294_562 Depth=1
	v_bfe_u32 v16, v21, 24, 3
	v_ffbh_u32_e32 v20, v16
	v_min_u32_e32 v22, 32, v20
	v_subrev_u32_e32 v20, 28, v22
	v_bfe_u32 v18, v21, 27, 4
	v_lshlrev_b64 v[20:21], v20, v[0:1]
	v_sub_u32_e32 v21, 29, v22
	v_cmp_eq_u32_e64 s[0:1], 0, v18
	v_and_b32_e32 v20, 7, v20
	v_lshlrev_b32_e32 v0, 8, v0
	v_cndmask_b32_e64 v18, v18, v21, s[0:1]
	v_lshl_add_u32 v18, v18, 10, v48
	v_cndmask_b32_e64 v16, v16, v20, s[0:1]
	v_and_or_b32 v0, v0, s24, v18
	v_lshl_or_b32 v0, v16, 7, v0
	v_cvt_f32_f16_e32 v18, v0
.LBB294_731:                            ;   in Loop: Header=BB294_562 Depth=1
	s_or_b64 exec, exec, s[8:9]
	v_pk_mul_f32 v[20:21], v[14:15], v[28:29] op_sel_hi:[0,1]
	v_pk_mul_f32 v[22:23], v[14:15], v[24:25] op_sel_hi:[0,1]
	v_cvt_f16_f32_e32 v0, v21
	v_cvt_f16_f32_e32 v16, v20
	;; [unrolled: 1-line block ×4, first 2 shown]
	v_fma_mixlo_f16 v7, v14, v7, 0
	v_lshlrev_b32_e32 v7, 16, v7
	v_fma_mixlo_f16 v6, v14, v6, 0
	v_or_b32_sdwa v6, v7, v6 dst_sel:DWORD dst_unused:UNUSED_PAD src0_sel:DWORD src1_sel:WORD_0
	v_fma_mixlo_f16 v7, v14, v18, 0
	v_pack_b32_f16 v16, v16, v0
	v_pack_b32_f16 v20, v21, v20
	v_fma_mixlo_f16 v15, v14, v15, 0
	v_lshlrev_b32_e32 v7, 16, v7
	v_perm_b32 v0, v20, v16, s26
	v_perm_b32 v16, v20, v16, s27
	v_or_b32_sdwa v7, v7, v15 dst_sel:DWORD dst_unused:UNUSED_PAD src0_sel:DWORD src1_sel:WORD_0
	s_and_saveexec_b64 s[6:7], vcc
	s_cbranch_execz .LBB294_733
; %bb.732:                              ;   in Loop: Header=BB294_562 Depth=1
	v_lshrrev_b32_e32 v14, 16, v16
	v_cmp_lt_i32_e64 s[0:1], v57, v3
	v_accvgpr_read_b32 v18, a8
	v_lshrrev_b32_e32 v7, 16, v7
	v_cndmask_b32_e64 v14, 0, v14, s[0:1]
	v_cmp_lt_i32_e64 s[0:1], v44, v18
	s_nop 1
	v_cndmask_b32_e64 v16, 0, v16, s[0:1]
	v_perm_b32 v16, v14, v16, s28
	v_lshrrev_b32_e32 v14, 16, v0
	v_cmp_lt_i32_e64 s[0:1], v56, v3
	s_nop 1
	v_cndmask_b32_e64 v14, 0, v14, s[0:1]
	v_cmp_lt_i32_e64 s[0:1], v47, v18
	s_nop 1
	v_cndmask_b32_e64 v0, 0, v0, s[0:1]
	v_perm_b32 v0, v14, v0, s28
	v_lshrrev_b32_e32 v14, 16, v6
	v_cmp_lt_i32_e64 s[0:1], v46, v3
	s_nop 1
	v_cndmask_b32_e64 v14, 0, v14, s[0:1]
	v_cmp_lt_i32_e64 s[0:1], v45, v18
	s_nop 1
	v_cndmask_b32_e64 v6, 0, v6, s[0:1]
	v_cmp_lt_i32_e64 s[0:1], v43, v3
	v_perm_b32 v6, v14, v6, s28
	s_nop 0
	v_cndmask_b32_e64 v7, 0, v7, s[0:1]
	v_cmp_lt_i32_e64 s[0:1], v49, v18
	s_nop 1
	v_cndmask_b32_e64 v14, 0, v15, s[0:1]
	v_perm_b32 v7, v7, v14, s28
.LBB294_733:                            ;   in Loop: Header=BB294_562 Depth=1
	s_or_b64 exec, exec, s[6:7]
	;;#ASMSTART
	v_pk_mul_f16 v14, v61, v16;

	;;#ASMEND
	;;#ASMSTART
	v_pk_mul_f16 v0, v60, v0;

	;;#ASMEND
	;; [unrolled: 4-line block ×4, first 2 shown]
	s_mov_b64 s[0:1], 0
	;;#ASMSTART
	v_pk_add_f16 v0, v14, v0;

	;;#ASMEND
	v_accvgpr_read_b32 v15, a5
	;;#ASMSTART
	v_pk_add_f16 v0, v0, v6;

	;;#ASMEND
	v_accvgpr_read_b32 v14, a4
	;;#ASMSTART
	v_pk_add_f16 v0, v0, v7;

	;;#ASMEND
                                        ; implicit-def: $sgpr10
	s_nop 0
	v_lshrrev_b32_e32 v6, 16, v0
	v_and_b32_e32 v0, 0xffff, v0
	;;#ASMSTART
	v_cvt_f32_f16 v7, v0;
	;;#ASMEND
	;;#ASMSTART
	v_cvt_f32_f16 v22, v6;
	;;#ASMEND
	flat_load_dwordx2 v[20:21], v[12:13] offset:2560
	s_waitcnt vmcnt(0) lgkmcnt(0)
	v_cmp_gt_i16_sdwa s[6:7], v20, s3 src0_sel:BYTE_0 src1_sel:DWORD
	flat_load_dword v14, v[14:15]
	s_and_saveexec_b64 s[8:9], s[6:7]
	s_xor_b64 s[6:7], exec, s[8:9]
	s_cbranch_execnz .LBB294_995
; %bb.734:                              ;   in Loop: Header=BB294_562 Depth=1
	s_or_saveexec_b64 s[6:7], s[6:7]
	v_mov_b32_e32 v24, s10
	s_xor_b64 exec, exec, s[6:7]
	s_cbranch_execnz .LBB294_998
.LBB294_735:                            ;   in Loop: Header=BB294_562 Depth=1
	s_or_b64 exec, exec, s[6:7]
	s_and_saveexec_b64 s[6:7], s[0:1]
	s_cbranch_execz .LBB294_737
.LBB294_736:                            ;   in Loop: Header=BB294_562 Depth=1
	v_and_b32_e32 v0, 7, v20
	v_ffbh_u32_e32 v0, v0
	v_bfe_u32 v6, v20, 3, 4
	v_min_u32_e32 v0, 32, v0
	v_subrev_u32_e32 v15, 28, v0
	v_sub_u32_e32 v0, 29, v0
	v_cmp_eq_u32_e64 s[0:1], 0, v6
	s_nop 1
	v_cndmask_b32_e64 v0, v6, v0, s[0:1]
	v_cndmask_b32_e64 v6, 0, v15, s[0:1]
	v_lshlrev_b64 v[24:25], v6, v[20:21]
	v_lshlrev_b32_e32 v15, 8, v20
	v_lshl_add_u32 v0, v0, 10, v48
	v_lshlrev_b32_e32 v6, 7, v24
	v_and_or_b32 v0, v15, s24, v0
	v_and_or_b32 v0, v6, s25, v0
	v_cvt_f32_f16_e32 v24, v0
.LBB294_737:                            ;   in Loop: Header=BB294_562 Depth=1
	s_or_b64 exec, exec, s[6:7]
	v_lshrrev_b16_e32 v0, 8, v20
	v_cmp_lt_i16_e64 s[0:1], s3, v0
	s_mov_b64 s[6:7], 0
                                        ; implicit-def: $sgpr29
	s_and_saveexec_b64 s[8:9], s[0:1]
	s_xor_b64 s[8:9], exec, s[8:9]
	s_cbranch_execnz .LBB294_999
; %bb.738:                              ;   in Loop: Header=BB294_562 Depth=1
	s_or_saveexec_b64 s[8:9], s[8:9]
	v_mov_b32_e32 v28, s29
	s_xor_b64 exec, exec, s[8:9]
	s_cbranch_execnz .LBB294_1002
.LBB294_739:                            ;   in Loop: Header=BB294_562 Depth=1
	s_or_b64 exec, exec, s[8:9]
	s_and_saveexec_b64 s[8:9], s[6:7]
	s_cbranch_execz .LBB294_741
.LBB294_740:                            ;   in Loop: Header=BB294_562 Depth=1
	v_and_b32_e32 v6, 7, v0
	v_ffbh_u32_e32 v16, v6
	v_bfe_u32 v15, v0, 3, 4
	v_min_u32_e32 v16, 32, v16
	v_subrev_u32_e32 v18, 28, v16
	v_sub_u32_e32 v16, 29, v16
	v_cmp_eq_u32_e64 s[0:1], 0, v15
	v_lshlrev_b64 v[26:27], v18, v[0:1]
	v_and_b32_e32 v18, 7, v26
	v_cndmask_b32_e64 v15, v15, v16, s[0:1]
	v_lshlrev_b32_e32 v0, 8, v0
	v_lshl_add_u32 v15, v15, 10, v48
	v_cndmask_b32_e64 v6, v6, v18, s[0:1]
	v_and_or_b32 v0, v0, s24, v15
	v_lshl_or_b32 v0, v6, 7, v0
	v_cvt_f32_f16_e32 v28, v0
.LBB294_741:                            ;   in Loop: Header=BB294_562 Depth=1
	s_or_b64 exec, exec, s[8:9]
	v_lshrrev_b32_e32 v0, 16, v20
	v_cmp_gt_i16_sdwa s[6:7], v0, s3 src0_sel:BYTE_0 src1_sel:DWORD
	s_mov_b64 s[0:1], 0
                                        ; implicit-def: $sgpr10
	s_and_saveexec_b64 s[8:9], s[6:7]
	s_xor_b64 s[6:7], exec, s[8:9]
	s_cbranch_execnz .LBB294_1003
; %bb.742:                              ;   in Loop: Header=BB294_562 Depth=1
	s_or_saveexec_b64 s[6:7], s[6:7]
	v_mov_b32_e32 v25, s10
	s_xor_b64 exec, exec, s[6:7]
	s_cbranch_execnz .LBB294_1006
.LBB294_743:                            ;   in Loop: Header=BB294_562 Depth=1
	s_or_b64 exec, exec, s[6:7]
	s_and_saveexec_b64 s[6:7], s[0:1]
	s_cbranch_execz .LBB294_745
.LBB294_744:                            ;   in Loop: Header=BB294_562 Depth=1
	v_bfe_u32 v6, v20, 16, 3
	v_ffbh_u32_e32 v16, v6
	v_bfe_u32 v15, v20, 19, 4
	v_min_u32_e32 v16, 32, v16
	v_subrev_u32_e32 v18, 28, v16
	v_sub_u32_e32 v16, 29, v16
	v_cmp_eq_u32_e64 s[0:1], 0, v15
	v_lshlrev_b64 v[26:27], v18, v[0:1]
	v_and_b32_e32 v18, 7, v26
	v_cndmask_b32_e64 v15, v15, v16, s[0:1]
	v_lshlrev_b32_e32 v0, 8, v0
	v_lshl_add_u32 v15, v15, 10, v48
	v_cndmask_b32_e64 v6, v6, v18, s[0:1]
	v_and_or_b32 v0, v0, s24, v15
	v_lshl_or_b32 v0, v6, 7, v0
	v_cvt_f32_f16_e32 v25, v0
.LBB294_745:                            ;   in Loop: Header=BB294_562 Depth=1
	s_or_b64 exec, exec, s[6:7]
	v_lshrrev_b32_e32 v0, 24, v20
	v_cmp_lt_i16_e64 s[0:1], s3, v0
	s_mov_b64 s[6:7], 0
                                        ; implicit-def: $sgpr29
	s_and_saveexec_b64 s[8:9], s[0:1]
	s_xor_b64 s[8:9], exec, s[8:9]
	s_cbranch_execnz .LBB294_1007
; %bb.746:                              ;   in Loop: Header=BB294_562 Depth=1
	s_or_saveexec_b64 s[8:9], s[8:9]
	v_mov_b32_e32 v29, s29
	s_xor_b64 exec, exec, s[8:9]
	s_cbranch_execnz .LBB294_1010
.LBB294_747:                            ;   in Loop: Header=BB294_562 Depth=1
	s_or_b64 exec, exec, s[8:9]
	s_and_saveexec_b64 s[8:9], s[6:7]
	s_cbranch_execz .LBB294_749
.LBB294_748:                            ;   in Loop: Header=BB294_562 Depth=1
	v_bfe_u32 v6, v20, 24, 3
	v_ffbh_u32_e32 v16, v6
	v_bfe_u32 v15, v20, 27, 4
	v_min_u32_e32 v16, 32, v16
	v_subrev_u32_e32 v18, 28, v16
	v_sub_u32_e32 v16, 29, v16
	v_cmp_eq_u32_e64 s[0:1], 0, v15
	v_lshlrev_b64 v[26:27], v18, v[0:1]
	v_and_b32_e32 v18, 7, v26
	v_cndmask_b32_e64 v15, v15, v16, s[0:1]
	v_lshlrev_b32_e32 v0, 8, v0
	v_lshl_add_u32 v15, v15, 10, v48
	v_cndmask_b32_e64 v6, v6, v18, s[0:1]
	v_and_or_b32 v0, v0, s24, v15
	v_lshl_or_b32 v0, v6, 7, v0
	v_cvt_f32_f16_e32 v29, v0
.LBB294_749:                            ;   in Loop: Header=BB294_562 Depth=1
	s_or_b64 exec, exec, s[8:9]
	v_cmp_gt_i16_sdwa s[6:7], v21, s3 src0_sel:BYTE_0 src1_sel:DWORD
	s_mov_b64 s[0:1], 0
                                        ; implicit-def: $sgpr10
	s_and_saveexec_b64 s[8:9], s[6:7]
	s_xor_b64 s[6:7], exec, s[8:9]
	s_cbranch_execnz .LBB294_1011
; %bb.750:                              ;   in Loop: Header=BB294_562 Depth=1
	s_or_saveexec_b64 s[6:7], s[6:7]
	v_mov_b32_e32 v6, s10
	s_xor_b64 exec, exec, s[6:7]
	s_cbranch_execnz .LBB294_1014
.LBB294_751:                            ;   in Loop: Header=BB294_562 Depth=1
	s_or_b64 exec, exec, s[6:7]
	v_mov_b32_e32 v0, v21
	s_and_saveexec_b64 s[6:7], s[0:1]
	s_cbranch_execz .LBB294_753
.LBB294_752:                            ;   in Loop: Header=BB294_562 Depth=1
	v_and_b32_e32 v6, 7, v21
	v_ffbh_u32_e32 v6, v6
	v_bfe_u32 v15, v21, 3, 4
	v_min_u32_e32 v6, 32, v6
	v_subrev_u32_e32 v16, 28, v6
	v_sub_u32_e32 v6, 29, v6
	v_cmp_eq_u32_e64 s[0:1], 0, v15
	s_nop 1
	v_cndmask_b32_e64 v6, v15, v6, s[0:1]
	v_cndmask_b32_e64 v15, 0, v16, s[0:1]
	v_lshlrev_b64 v[26:27], v15, v[0:1]
	v_lshlrev_b32_e32 v16, 8, v21
	v_lshl_add_u32 v6, v6, 10, v48
	v_lshlrev_b32_e32 v15, 7, v26
	v_and_or_b32 v6, v16, s24, v6
	v_and_or_b32 v6, v15, s25, v6
	v_cvt_f32_f16_e32 v6, v6
.LBB294_753:                            ;   in Loop: Header=BB294_562 Depth=1
	s_or_b64 exec, exec, s[6:7]
	v_lshrrev_b16_e32 v0, 8, v0
	v_cmp_lt_i16_e64 s[0:1], s3, v0
	s_mov_b64 s[6:7], 0
                                        ; implicit-def: $sgpr29
	s_and_saveexec_b64 s[8:9], s[0:1]
	s_xor_b64 s[8:9], exec, s[8:9]
	s_cbranch_execnz .LBB294_1015
; %bb.754:                              ;   in Loop: Header=BB294_562 Depth=1
	s_or_saveexec_b64 s[8:9], s[8:9]
	v_mov_b32_e32 v15, s29
	s_xor_b64 exec, exec, s[8:9]
	s_cbranch_execnz .LBB294_1018
.LBB294_755:                            ;   in Loop: Header=BB294_562 Depth=1
	s_or_b64 exec, exec, s[8:9]
	s_and_saveexec_b64 s[8:9], s[6:7]
	s_cbranch_execz .LBB294_757
.LBB294_756:                            ;   in Loop: Header=BB294_562 Depth=1
	v_and_b32_e32 v15, 7, v0
	v_ffbh_u32_e32 v18, v15
	v_bfe_u32 v16, v0, 3, 4
	v_min_u32_e32 v18, 32, v18
	v_subrev_u32_e32 v20, 28, v18
	v_sub_u32_e32 v18, 29, v18
	v_cmp_eq_u32_e64 s[0:1], 0, v16
	v_lshlrev_b64 v[26:27], v20, v[0:1]
	v_and_b32_e32 v20, 7, v26
	v_cndmask_b32_e64 v16, v16, v18, s[0:1]
	v_lshlrev_b32_e32 v0, 8, v0
	v_lshl_add_u32 v16, v16, 10, v48
	v_cndmask_b32_e64 v15, v15, v20, s[0:1]
	v_and_or_b32 v0, v0, s24, v16
	v_lshl_or_b32 v0, v15, 7, v0
	v_cvt_f32_f16_e32 v15, v0
.LBB294_757:                            ;   in Loop: Header=BB294_562 Depth=1
	s_or_b64 exec, exec, s[8:9]
	v_lshrrev_b32_e32 v0, 16, v21
	v_cmp_gt_i16_sdwa s[6:7], v0, s3 src0_sel:BYTE_0 src1_sel:DWORD
	s_mov_b64 s[0:1], 0
                                        ; implicit-def: $sgpr10
	s_and_saveexec_b64 s[8:9], s[6:7]
	s_xor_b64 s[6:7], exec, s[8:9]
	s_cbranch_execnz .LBB294_1019
; %bb.758:                              ;   in Loop: Header=BB294_562 Depth=1
	s_or_saveexec_b64 s[6:7], s[6:7]
	v_mov_b32_e32 v16, s10
	s_xor_b64 exec, exec, s[6:7]
	s_cbranch_execnz .LBB294_1022
.LBB294_759:                            ;   in Loop: Header=BB294_562 Depth=1
	s_or_b64 exec, exec, s[6:7]
	s_and_saveexec_b64 s[6:7], s[0:1]
	s_cbranch_execz .LBB294_761
.LBB294_760:                            ;   in Loop: Header=BB294_562 Depth=1
	v_bfe_u32 v16, v21, 16, 3
	v_ffbh_u32_e32 v20, v16
	v_bfe_u32 v18, v21, 19, 4
	v_min_u32_e32 v20, 32, v20
	v_subrev_u32_e32 v23, 28, v20
	v_sub_u32_e32 v20, 29, v20
	v_cmp_eq_u32_e64 s[0:1], 0, v18
	v_lshlrev_b64 v[26:27], v23, v[0:1]
	v_and_b32_e32 v23, 7, v26
	v_cndmask_b32_e64 v18, v18, v20, s[0:1]
	v_lshlrev_b32_e32 v0, 8, v0
	v_lshl_add_u32 v18, v18, 10, v48
	v_cndmask_b32_e64 v16, v16, v23, s[0:1]
	v_and_or_b32 v0, v0, s24, v18
	v_lshl_or_b32 v0, v16, 7, v0
	v_cvt_f32_f16_e32 v16, v0
.LBB294_761:                            ;   in Loop: Header=BB294_562 Depth=1
	s_or_b64 exec, exec, s[6:7]
	v_lshrrev_b32_e32 v0, 24, v21
	v_cmp_lt_i16_e64 s[0:1], s3, v0
	s_mov_b64 s[6:7], 0
                                        ; implicit-def: $sgpr29
	s_and_saveexec_b64 s[8:9], s[0:1]
	s_xor_b64 s[8:9], exec, s[8:9]
	s_cbranch_execnz .LBB294_1023
; %bb.762:                              ;   in Loop: Header=BB294_562 Depth=1
	s_or_saveexec_b64 s[8:9], s[8:9]
	v_mov_b32_e32 v20, s29
	s_xor_b64 exec, exec, s[8:9]
	s_cbranch_execnz .LBB294_1026
.LBB294_763:                            ;   in Loop: Header=BB294_562 Depth=1
	s_or_b64 exec, exec, s[8:9]
	s_and_saveexec_b64 s[8:9], s[6:7]
	s_cbranch_execz .LBB294_765
.LBB294_764:                            ;   in Loop: Header=BB294_562 Depth=1
	v_bfe_u32 v18, v21, 24, 3
	v_ffbh_u32_e32 v20, v18
	v_min_u32_e32 v26, 32, v20
	v_subrev_u32_e32 v20, 28, v26
	v_bfe_u32 v23, v21, 27, 4
	v_lshlrev_b64 v[20:21], v20, v[0:1]
	v_sub_u32_e32 v21, 29, v26
	v_cmp_eq_u32_e64 s[0:1], 0, v23
	v_and_b32_e32 v20, 7, v20
	v_lshlrev_b32_e32 v0, 8, v0
	v_cndmask_b32_e64 v21, v23, v21, s[0:1]
	v_cndmask_b32_e64 v18, v18, v20, s[0:1]
	v_lshl_add_u32 v20, v21, 10, v48
	v_and_or_b32 v0, v0, s24, v20
	v_lshl_or_b32 v0, v18, 7, v0
	v_cvt_f32_f16_e32 v20, v0
.LBB294_765:                            ;   in Loop: Header=BB294_562 Depth=1
	s_or_b64 exec, exec, s[8:9]
	s_waitcnt vmcnt(0) lgkmcnt(0)
	v_pk_mul_f32 v[26:27], v[14:15], v[28:29] op_sel_hi:[0,1]
	v_pk_mul_f32 v[24:25], v[14:15], v[24:25] op_sel_hi:[0,1]
	v_cvt_f16_f32_e32 v0, v27
	v_cvt_f16_f32_e32 v18, v26
	;; [unrolled: 1-line block ×4, first 2 shown]
	v_fma_mixlo_f16 v15, v14, v15, 0
	v_lshlrev_b32_e32 v15, 16, v15
	v_fma_mixlo_f16 v6, v14, v6, 0
	v_or_b32_sdwa v6, v15, v6 dst_sel:DWORD dst_unused:UNUSED_PAD src0_sel:DWORD src1_sel:WORD_0
	v_fma_mixlo_f16 v15, v14, v16, 0
	v_fma_mixlo_f16 v14, v14, v20, 0
	v_pack_b32_f16 v18, v18, v0
	v_pack_b32_f16 v21, v23, v21
	v_lshlrev_b32_e32 v14, 16, v14
	v_perm_b32 v0, v21, v18, s26
	v_perm_b32 v18, v21, v18, s27
	v_or_b32_sdwa v14, v14, v15 dst_sel:DWORD dst_unused:UNUSED_PAD src0_sel:DWORD src1_sel:WORD_0
	s_and_saveexec_b64 s[6:7], vcc
	s_cbranch_execz .LBB294_767
; %bb.766:                              ;   in Loop: Header=BB294_562 Depth=1
	v_lshrrev_b32_e32 v16, 16, v18
	v_cmp_lt_i32_e64 s[0:1], v57, v3
	v_accvgpr_read_b32 v20, a8
	v_lshrrev_b32_e32 v14, 16, v14
	v_cndmask_b32_e64 v16, 0, v16, s[0:1]
	v_cmp_lt_i32_e64 s[0:1], v44, v20
	s_nop 1
	v_cndmask_b32_e64 v18, 0, v18, s[0:1]
	v_perm_b32 v18, v16, v18, s28
	v_lshrrev_b32_e32 v16, 16, v0
	v_cmp_lt_i32_e64 s[0:1], v56, v3
	s_nop 1
	v_cndmask_b32_e64 v16, 0, v16, s[0:1]
	v_cmp_lt_i32_e64 s[0:1], v47, v20
	s_nop 1
	v_cndmask_b32_e64 v0, 0, v0, s[0:1]
	v_perm_b32 v0, v16, v0, s28
	v_lshrrev_b32_e32 v16, 16, v6
	v_cmp_lt_i32_e64 s[0:1], v46, v3
	s_nop 1
	v_cndmask_b32_e64 v16, 0, v16, s[0:1]
	v_cmp_lt_i32_e64 s[0:1], v45, v20
	s_nop 1
	v_cndmask_b32_e64 v6, 0, v6, s[0:1]
	v_cmp_lt_i32_e64 s[0:1], v43, v3
	v_perm_b32 v6, v16, v6, s28
	s_nop 0
	v_cndmask_b32_e64 v14, 0, v14, s[0:1]
	v_cmp_lt_i32_e64 s[0:1], v49, v20
	s_nop 1
	v_cndmask_b32_e64 v15, 0, v15, s[0:1]
	v_perm_b32 v14, v14, v15, s28
.LBB294_767:                            ;   in Loop: Header=BB294_562 Depth=1
	s_or_b64 exec, exec, s[6:7]
	;;#ASMSTART
	v_pk_mul_f16 v15, v61, v18;

	;;#ASMEND
	;;#ASMSTART
	v_pk_mul_f16 v0, v60, v0;

	;;#ASMEND
	;; [unrolled: 4-line block ×4, first 2 shown]
	s_mov_b64 s[0:1], 0
	;;#ASMSTART
	v_pk_add_f16 v0, v15, v0;

	;;#ASMEND
                                        ; implicit-def: $sgpr10
	s_nop 0
	;;#ASMSTART
	v_pk_add_f16 v0, v0, v6;

	;;#ASMEND
	s_nop 0
	;;#ASMSTART
	v_pk_add_f16 v0, v0, v14;

	;;#ASMEND
	s_nop 0
	v_lshrrev_b32_e32 v14, 16, v0
	v_and_b32_e32 v0, 0xffff, v0
	;;#ASMSTART
	v_cvt_f32_f16 v6, v0;
	;;#ASMEND
	;;#ASMSTART
	v_cvt_f32_f16 v51, v14;
	;;#ASMEND
	v_accvgpr_read_b32 v15, a5
	flat_load_dwordx2 v[20:21], v[12:13] offset:3072
	v_accvgpr_read_b32 v14, a4
	flat_load_dword v14, v[14:15]
	s_waitcnt vmcnt(0) lgkmcnt(0)
	v_cmp_gt_i16_sdwa s[6:7], v20, s3 src0_sel:BYTE_0 src1_sel:DWORD
	s_and_saveexec_b64 s[8:9], s[6:7]
	s_xor_b64 s[6:7], exec, s[8:9]
	s_cbranch_execnz .LBB294_1027
; %bb.768:                              ;   in Loop: Header=BB294_562 Depth=1
	s_or_saveexec_b64 s[6:7], s[6:7]
	v_mov_b32_e32 v24, s10
	s_xor_b64 exec, exec, s[6:7]
	s_cbranch_execnz .LBB294_1030
.LBB294_769:                            ;   in Loop: Header=BB294_562 Depth=1
	s_or_b64 exec, exec, s[6:7]
	s_and_saveexec_b64 s[6:7], s[0:1]
	s_cbranch_execz .LBB294_771
.LBB294_770:                            ;   in Loop: Header=BB294_562 Depth=1
	v_and_b32_e32 v0, 7, v20
	v_ffbh_u32_e32 v0, v0
	v_bfe_u32 v15, v20, 3, 4
	v_min_u32_e32 v0, 32, v0
	v_subrev_u32_e32 v16, 28, v0
	v_sub_u32_e32 v0, 29, v0
	v_cmp_eq_u32_e64 s[0:1], 0, v15
	s_nop 1
	v_cndmask_b32_e64 v0, v15, v0, s[0:1]
	v_cndmask_b32_e64 v15, 0, v16, s[0:1]
	v_lshlrev_b64 v[24:25], v15, v[20:21]
	v_lshlrev_b32_e32 v16, 8, v20
	v_lshl_add_u32 v0, v0, 10, v48
	v_lshlrev_b32_e32 v15, 7, v24
	v_and_or_b32 v0, v16, s24, v0
	v_and_or_b32 v0, v15, s25, v0
	v_cvt_f32_f16_e32 v24, v0
.LBB294_771:                            ;   in Loop: Header=BB294_562 Depth=1
	s_or_b64 exec, exec, s[6:7]
	v_lshrrev_b16_e32 v0, 8, v20
	v_cmp_lt_i16_e64 s[0:1], s3, v0
	s_mov_b64 s[6:7], 0
                                        ; implicit-def: $sgpr29
	s_and_saveexec_b64 s[8:9], s[0:1]
	s_xor_b64 s[8:9], exec, s[8:9]
	s_cbranch_execnz .LBB294_1031
; %bb.772:                              ;   in Loop: Header=BB294_562 Depth=1
	s_or_saveexec_b64 s[8:9], s[8:9]
	v_mov_b32_e32 v28, s29
	s_xor_b64 exec, exec, s[8:9]
	s_cbranch_execnz .LBB294_1034
.LBB294_773:                            ;   in Loop: Header=BB294_562 Depth=1
	s_or_b64 exec, exec, s[8:9]
	s_and_saveexec_b64 s[8:9], s[6:7]
	s_cbranch_execz .LBB294_775
.LBB294_774:                            ;   in Loop: Header=BB294_562 Depth=1
	v_and_b32_e32 v15, 7, v0
	v_ffbh_u32_e32 v18, v15
	v_bfe_u32 v16, v0, 3, 4
	v_min_u32_e32 v18, 32, v18
	v_subrev_u32_e32 v23, 28, v18
	v_sub_u32_e32 v18, 29, v18
	v_cmp_eq_u32_e64 s[0:1], 0, v16
	v_lshlrev_b64 v[26:27], v23, v[0:1]
	v_and_b32_e32 v23, 7, v26
	v_cndmask_b32_e64 v16, v16, v18, s[0:1]
	v_lshlrev_b32_e32 v0, 8, v0
	v_lshl_add_u32 v16, v16, 10, v48
	v_cndmask_b32_e64 v15, v15, v23, s[0:1]
	v_and_or_b32 v0, v0, s24, v16
	v_lshl_or_b32 v0, v15, 7, v0
	v_cvt_f32_f16_e32 v28, v0
.LBB294_775:                            ;   in Loop: Header=BB294_562 Depth=1
	s_or_b64 exec, exec, s[8:9]
	v_lshrrev_b32_e32 v0, 16, v20
	v_cmp_gt_i16_sdwa s[6:7], v0, s3 src0_sel:BYTE_0 src1_sel:DWORD
	s_mov_b64 s[0:1], 0
                                        ; implicit-def: $sgpr10
	s_and_saveexec_b64 s[8:9], s[6:7]
	s_xor_b64 s[6:7], exec, s[8:9]
	s_cbranch_execnz .LBB294_1035
; %bb.776:                              ;   in Loop: Header=BB294_562 Depth=1
	s_or_saveexec_b64 s[6:7], s[6:7]
	v_mov_b32_e32 v25, s10
	s_xor_b64 exec, exec, s[6:7]
	s_cbranch_execnz .LBB294_1038
.LBB294_777:                            ;   in Loop: Header=BB294_562 Depth=1
	s_or_b64 exec, exec, s[6:7]
	s_and_saveexec_b64 s[6:7], s[0:1]
	s_cbranch_execz .LBB294_779
.LBB294_778:                            ;   in Loop: Header=BB294_562 Depth=1
	v_bfe_u32 v15, v20, 16, 3
	v_ffbh_u32_e32 v18, v15
	v_bfe_u32 v16, v20, 19, 4
	v_min_u32_e32 v18, 32, v18
	v_subrev_u32_e32 v23, 28, v18
	v_sub_u32_e32 v18, 29, v18
	v_cmp_eq_u32_e64 s[0:1], 0, v16
	v_lshlrev_b64 v[26:27], v23, v[0:1]
	v_and_b32_e32 v23, 7, v26
	v_cndmask_b32_e64 v16, v16, v18, s[0:1]
	v_lshlrev_b32_e32 v0, 8, v0
	v_lshl_add_u32 v16, v16, 10, v48
	v_cndmask_b32_e64 v15, v15, v23, s[0:1]
	v_and_or_b32 v0, v0, s24, v16
	v_lshl_or_b32 v0, v15, 7, v0
	v_cvt_f32_f16_e32 v25, v0
.LBB294_779:                            ;   in Loop: Header=BB294_562 Depth=1
	s_or_b64 exec, exec, s[6:7]
	v_lshrrev_b32_e32 v0, 24, v20
	v_cmp_lt_i16_e64 s[0:1], s3, v0
	s_mov_b64 s[6:7], 0
                                        ; implicit-def: $sgpr29
	s_and_saveexec_b64 s[8:9], s[0:1]
	s_xor_b64 s[8:9], exec, s[8:9]
	s_cbranch_execnz .LBB294_1039
; %bb.780:                              ;   in Loop: Header=BB294_562 Depth=1
	s_or_saveexec_b64 s[8:9], s[8:9]
	v_mov_b32_e32 v29, s29
	s_xor_b64 exec, exec, s[8:9]
	s_cbranch_execnz .LBB294_1042
.LBB294_781:                            ;   in Loop: Header=BB294_562 Depth=1
	s_or_b64 exec, exec, s[8:9]
	s_and_saveexec_b64 s[8:9], s[6:7]
	s_cbranch_execz .LBB294_783
.LBB294_782:                            ;   in Loop: Header=BB294_562 Depth=1
	v_bfe_u32 v15, v20, 24, 3
	v_ffbh_u32_e32 v18, v15
	v_bfe_u32 v16, v20, 27, 4
	v_min_u32_e32 v18, 32, v18
	v_subrev_u32_e32 v20, 28, v18
	v_sub_u32_e32 v18, 29, v18
	v_cmp_eq_u32_e64 s[0:1], 0, v16
	v_lshlrev_b64 v[26:27], v20, v[0:1]
	v_and_b32_e32 v20, 7, v26
	v_cndmask_b32_e64 v16, v16, v18, s[0:1]
	v_lshlrev_b32_e32 v0, 8, v0
	v_lshl_add_u32 v16, v16, 10, v48
	v_cndmask_b32_e64 v15, v15, v20, s[0:1]
	v_and_or_b32 v0, v0, s24, v16
	v_lshl_or_b32 v0, v15, 7, v0
	v_cvt_f32_f16_e32 v29, v0
.LBB294_783:                            ;   in Loop: Header=BB294_562 Depth=1
	s_or_b64 exec, exec, s[8:9]
	v_cmp_gt_i16_sdwa s[6:7], v21, s3 src0_sel:BYTE_0 src1_sel:DWORD
	s_mov_b64 s[0:1], 0
                                        ; implicit-def: $sgpr10
	s_and_saveexec_b64 s[8:9], s[6:7]
	s_xor_b64 s[6:7], exec, s[8:9]
	s_cbranch_execnz .LBB294_1043
; %bb.784:                              ;   in Loop: Header=BB294_562 Depth=1
	s_or_saveexec_b64 s[6:7], s[6:7]
	v_mov_b32_e32 v15, s10
	s_xor_b64 exec, exec, s[6:7]
	s_cbranch_execnz .LBB294_1046
.LBB294_785:                            ;   in Loop: Header=BB294_562 Depth=1
	s_or_b64 exec, exec, s[6:7]
	v_mov_b32_e32 v0, v21
	s_and_saveexec_b64 s[6:7], s[0:1]
	s_cbranch_execz .LBB294_787
.LBB294_786:                            ;   in Loop: Header=BB294_562 Depth=1
	v_and_b32_e32 v15, 7, v21
	v_ffbh_u32_e32 v15, v15
	v_bfe_u32 v16, v21, 3, 4
	v_min_u32_e32 v15, 32, v15
	v_subrev_u32_e32 v18, 28, v15
	v_sub_u32_e32 v15, 29, v15
	v_cmp_eq_u32_e64 s[0:1], 0, v16
	s_nop 1
	v_cndmask_b32_e64 v15, v16, v15, s[0:1]
	v_cndmask_b32_e64 v16, 0, v18, s[0:1]
	v_lshlrev_b64 v[26:27], v16, v[0:1]
	v_lshlrev_b32_e32 v18, 8, v21
	v_lshl_add_u32 v15, v15, 10, v48
	v_lshlrev_b32_e32 v16, 7, v26
	v_and_or_b32 v15, v18, s24, v15
	v_and_or_b32 v15, v16, s25, v15
	v_cvt_f32_f16_e32 v15, v15
.LBB294_787:                            ;   in Loop: Header=BB294_562 Depth=1
	s_or_b64 exec, exec, s[6:7]
	v_lshrrev_b16_e32 v0, 8, v0
	v_cmp_lt_i16_e64 s[0:1], s3, v0
	s_mov_b64 s[6:7], 0
                                        ; implicit-def: $sgpr29
	s_and_saveexec_b64 s[8:9], s[0:1]
	s_xor_b64 s[8:9], exec, s[8:9]
	s_cbranch_execnz .LBB294_1047
; %bb.788:                              ;   in Loop: Header=BB294_562 Depth=1
	s_or_saveexec_b64 s[8:9], s[8:9]
	v_mov_b32_e32 v16, s29
	s_xor_b64 exec, exec, s[8:9]
	s_cbranch_execnz .LBB294_1050
.LBB294_789:                            ;   in Loop: Header=BB294_562 Depth=1
	s_or_b64 exec, exec, s[8:9]
	s_and_saveexec_b64 s[8:9], s[6:7]
	s_cbranch_execz .LBB294_791
.LBB294_790:                            ;   in Loop: Header=BB294_562 Depth=1
	v_and_b32_e32 v16, 7, v0
	v_ffbh_u32_e32 v20, v16
	v_bfe_u32 v18, v0, 3, 4
	v_min_u32_e32 v20, 32, v20
	v_subrev_u32_e32 v23, 28, v20
	v_sub_u32_e32 v20, 29, v20
	v_cmp_eq_u32_e64 s[0:1], 0, v18
	v_lshlrev_b64 v[26:27], v23, v[0:1]
	v_and_b32_e32 v23, 7, v26
	v_cndmask_b32_e64 v18, v18, v20, s[0:1]
	v_lshlrev_b32_e32 v0, 8, v0
	v_lshl_add_u32 v18, v18, 10, v48
	v_cndmask_b32_e64 v16, v16, v23, s[0:1]
	v_and_or_b32 v0, v0, s24, v18
	v_lshl_or_b32 v0, v16, 7, v0
	v_cvt_f32_f16_e32 v16, v0
.LBB294_791:                            ;   in Loop: Header=BB294_562 Depth=1
	s_or_b64 exec, exec, s[8:9]
	v_lshrrev_b32_e32 v0, 16, v21
	v_cmp_gt_i16_sdwa s[6:7], v0, s3 src0_sel:BYTE_0 src1_sel:DWORD
	s_mov_b64 s[0:1], 0
                                        ; implicit-def: $sgpr10
	s_and_saveexec_b64 s[8:9], s[6:7]
	s_xor_b64 s[6:7], exec, s[8:9]
	s_cbranch_execnz .LBB294_1051
; %bb.792:                              ;   in Loop: Header=BB294_562 Depth=1
	s_or_saveexec_b64 s[6:7], s[6:7]
	v_mov_b32_e32 v18, s10
	s_xor_b64 exec, exec, s[6:7]
	s_cbranch_execnz .LBB294_1054
.LBB294_793:                            ;   in Loop: Header=BB294_562 Depth=1
	s_or_b64 exec, exec, s[6:7]
	s_and_saveexec_b64 s[6:7], s[0:1]
	s_cbranch_execz .LBB294_795
.LBB294_794:                            ;   in Loop: Header=BB294_562 Depth=1
	v_bfe_u32 v18, v21, 16, 3
	v_ffbh_u32_e32 v23, v18
	v_bfe_u32 v20, v21, 19, 4
	v_min_u32_e32 v23, 32, v23
	v_subrev_u32_e32 v26, 28, v23
	v_sub_u32_e32 v23, 29, v23
	v_cmp_eq_u32_e64 s[0:1], 0, v20
	v_lshlrev_b64 v[26:27], v26, v[0:1]
	v_and_b32_e32 v26, 7, v26
	v_cndmask_b32_e64 v20, v20, v23, s[0:1]
	v_lshlrev_b32_e32 v0, 8, v0
	v_lshl_add_u32 v20, v20, 10, v48
	v_cndmask_b32_e64 v18, v18, v26, s[0:1]
	v_and_or_b32 v0, v0, s24, v20
	v_lshl_or_b32 v0, v18, 7, v0
	v_cvt_f32_f16_e32 v18, v0
.LBB294_795:                            ;   in Loop: Header=BB294_562 Depth=1
	s_or_b64 exec, exec, s[6:7]
	v_lshrrev_b32_e32 v0, 24, v21
	v_cmp_lt_i16_e64 s[0:1], s3, v0
	s_mov_b64 s[6:7], 0
                                        ; implicit-def: $sgpr29
	s_and_saveexec_b64 s[8:9], s[0:1]
	s_xor_b64 s[8:9], exec, s[8:9]
	s_cbranch_execnz .LBB294_1055
; %bb.796:                              ;   in Loop: Header=BB294_562 Depth=1
	s_or_saveexec_b64 s[8:9], s[8:9]
	v_mov_b32_e32 v23, s29
	s_xor_b64 exec, exec, s[8:9]
	s_cbranch_execnz .LBB294_1058
.LBB294_797:                            ;   in Loop: Header=BB294_562 Depth=1
	s_or_b64 exec, exec, s[8:9]
	s_and_saveexec_b64 s[8:9], s[6:7]
	s_cbranch_execz .LBB294_799
.LBB294_798:                            ;   in Loop: Header=BB294_562 Depth=1
	v_bfe_u32 v23, v21, 24, 3
	v_ffbh_u32_e32 v20, v23
	v_min_u32_e32 v27, 32, v20
	v_subrev_u32_e32 v20, 28, v27
	v_bfe_u32 v26, v21, 27, 4
	v_lshlrev_b64 v[20:21], v20, v[0:1]
	v_sub_u32_e32 v21, 29, v27
	v_cmp_eq_u32_e64 s[0:1], 0, v26
	v_and_b32_e32 v20, 7, v20
	v_lshlrev_b32_e32 v0, 8, v0
	v_cndmask_b32_e64 v21, v26, v21, s[0:1]
	v_lshl_add_u32 v21, v21, 10, v48
	v_cndmask_b32_e64 v20, v23, v20, s[0:1]
	v_and_or_b32 v0, v0, s24, v21
	v_lshl_or_b32 v0, v20, 7, v0
	v_cvt_f32_f16_e32 v23, v0
.LBB294_799:                            ;   in Loop: Header=BB294_562 Depth=1
	s_or_b64 exec, exec, s[8:9]
	v_pk_mul_f32 v[20:21], v[14:15], v[28:29] op_sel_hi:[0,1]
	v_pk_mul_f32 v[24:25], v[14:15], v[24:25] op_sel_hi:[0,1]
	v_cvt_f16_f32_e32 v0, v21
	v_cvt_f16_f32_e32 v20, v20
	;; [unrolled: 1-line block ×4, first 2 shown]
	v_fma_mixlo_f16 v16, v14, v16, 0
	v_lshlrev_b32_e32 v16, 16, v16
	v_fma_mixlo_f16 v15, v14, v15, 0
	v_or_b32_sdwa v15, v16, v15 dst_sel:DWORD dst_unused:UNUSED_PAD src0_sel:DWORD src1_sel:WORD_0
	v_fma_mixlo_f16 v16, v14, v18, 0
	v_fma_mixlo_f16 v14, v14, v23, 0
	v_pack_b32_f16 v20, v20, v0
	v_pack_b32_f16 v21, v24, v21
	v_lshlrev_b32_e32 v14, 16, v14
	v_perm_b32 v0, v21, v20, s26
	v_perm_b32 v20, v21, v20, s27
	v_or_b32_sdwa v14, v14, v16 dst_sel:DWORD dst_unused:UNUSED_PAD src0_sel:DWORD src1_sel:WORD_0
	s_and_saveexec_b64 s[6:7], vcc
	s_cbranch_execz .LBB294_801
; %bb.800:                              ;   in Loop: Header=BB294_562 Depth=1
	v_lshrrev_b32_e32 v18, 16, v20
	v_cmp_lt_i32_e64 s[0:1], v57, v3
	v_accvgpr_read_b32 v24, a8
	v_lshrrev_b32_e32 v14, 16, v14
	v_cndmask_b32_e64 v18, 0, v18, s[0:1]
	v_cmp_lt_i32_e64 s[0:1], v44, v24
	s_nop 1
	v_cndmask_b32_e64 v20, 0, v20, s[0:1]
	v_perm_b32 v20, v18, v20, s28
	v_lshrrev_b32_e32 v18, 16, v0
	v_cmp_lt_i32_e64 s[0:1], v56, v3
	s_nop 1
	v_cndmask_b32_e64 v18, 0, v18, s[0:1]
	v_cmp_lt_i32_e64 s[0:1], v47, v24
	s_nop 1
	v_cndmask_b32_e64 v0, 0, v0, s[0:1]
	v_perm_b32 v0, v18, v0, s28
	v_lshrrev_b32_e32 v18, 16, v15
	v_cmp_lt_i32_e64 s[0:1], v46, v3
	s_nop 1
	v_cndmask_b32_e64 v18, 0, v18, s[0:1]
	v_cmp_lt_i32_e64 s[0:1], v45, v24
	s_nop 1
	v_cndmask_b32_e64 v15, 0, v15, s[0:1]
	v_cmp_lt_i32_e64 s[0:1], v43, v3
	v_perm_b32 v15, v18, v15, s28
	s_nop 0
	v_cndmask_b32_e64 v14, 0, v14, s[0:1]
	v_cmp_lt_i32_e64 s[0:1], v49, v24
	s_nop 1
	v_cndmask_b32_e64 v16, 0, v16, s[0:1]
	v_perm_b32 v14, v14, v16, s28
.LBB294_801:                            ;   in Loop: Header=BB294_562 Depth=1
	s_or_b64 exec, exec, s[6:7]
	;;#ASMSTART
	v_pk_mul_f16 v16, v61, v20;

	;;#ASMEND
	;;#ASMSTART
	v_pk_mul_f16 v0, v60, v0;

	;;#ASMEND
	;; [unrolled: 4-line block ×4, first 2 shown]
	s_mov_b64 s[0:1], 0
	;;#ASMSTART
	v_pk_add_f16 v0, v16, v0;

	;;#ASMEND
                                        ; implicit-def: $sgpr10
	s_nop 0
	;;#ASMSTART
	v_pk_add_f16 v0, v0, v15;

	;;#ASMEND
	s_nop 0
	;;#ASMSTART
	v_pk_add_f16 v0, v0, v14;

	;;#ASMEND
	s_nop 0
	v_lshrrev_b32_e32 v14, 16, v0
	v_and_b32_e32 v0, 0xffff, v0
	;;#ASMSTART
	v_cvt_f32_f16 v26, v0;
	;;#ASMEND
	;;#ASMSTART
	v_cvt_f32_f16 v27, v14;
	;;#ASMEND
	flat_load_dwordx2 v[14:15], v[12:13] offset:3584
	v_accvgpr_read_b32 v13, a5
	v_accvgpr_read_b32 v12, a4
	flat_load_dword v12, v[12:13]
	s_waitcnt vmcnt(0) lgkmcnt(0)
	v_cmp_gt_i16_sdwa s[6:7], v14, s3 src0_sel:BYTE_0 src1_sel:DWORD
	s_and_saveexec_b64 s[8:9], s[6:7]
	s_xor_b64 s[6:7], exec, s[8:9]
	s_cbranch_execnz .LBB294_1059
; %bb.802:                              ;   in Loop: Header=BB294_562 Depth=1
	s_or_saveexec_b64 s[6:7], s[6:7]
	v_mov_b32_e32 v20, s10
	s_xor_b64 exec, exec, s[6:7]
	s_cbranch_execnz .LBB294_1062
.LBB294_803:                            ;   in Loop: Header=BB294_562 Depth=1
	s_or_b64 exec, exec, s[6:7]
	s_and_saveexec_b64 s[6:7], s[0:1]
	s_cbranch_execz .LBB294_805
.LBB294_804:                            ;   in Loop: Header=BB294_562 Depth=1
	v_and_b32_e32 v0, 7, v14
	v_ffbh_u32_e32 v0, v0
	v_bfe_u32 v13, v14, 3, 4
	v_min_u32_e32 v0, 32, v0
	v_subrev_u32_e32 v16, 28, v0
	v_sub_u32_e32 v0, 29, v0
	v_cmp_eq_u32_e64 s[0:1], 0, v13
	s_nop 1
	v_cndmask_b32_e64 v0, v13, v0, s[0:1]
	v_cndmask_b32_e64 v13, 0, v16, s[0:1]
	v_lshlrev_b64 v[20:21], v13, v[14:15]
	v_lshlrev_b32_e32 v16, 8, v14
	v_lshl_add_u32 v0, v0, 10, v48
	v_lshlrev_b32_e32 v13, 7, v20
	v_and_or_b32 v0, v16, s24, v0
	v_and_or_b32 v0, v13, s25, v0
	v_cvt_f32_f16_e32 v20, v0
.LBB294_805:                            ;   in Loop: Header=BB294_562 Depth=1
	s_or_b64 exec, exec, s[6:7]
	v_lshrrev_b16_e32 v0, 8, v14
	v_cmp_lt_i16_e64 s[0:1], s3, v0
	s_mov_b64 s[6:7], 0
                                        ; implicit-def: $sgpr29
	s_and_saveexec_b64 s[8:9], s[0:1]
	s_xor_b64 s[8:9], exec, s[8:9]
	s_cbranch_execnz .LBB294_1063
; %bb.806:                              ;   in Loop: Header=BB294_562 Depth=1
	s_or_saveexec_b64 s[8:9], s[8:9]
	v_mov_b32_e32 v24, s29
	s_xor_b64 exec, exec, s[8:9]
	s_cbranch_execnz .LBB294_1066
.LBB294_807:                            ;   in Loop: Header=BB294_562 Depth=1
	s_or_b64 exec, exec, s[8:9]
	s_and_saveexec_b64 s[8:9], s[6:7]
	s_cbranch_execz .LBB294_809
.LBB294_808:                            ;   in Loop: Header=BB294_562 Depth=1
	v_and_b32_e32 v13, 7, v0
	v_ffbh_u32_e32 v18, v13
	v_bfe_u32 v16, v0, 3, 4
	v_min_u32_e32 v18, 32, v18
	v_subrev_u32_e32 v21, 28, v18
	v_sub_u32_e32 v18, 29, v18
	v_cmp_eq_u32_e64 s[0:1], 0, v16
	v_lshlrev_b64 v[24:25], v21, v[0:1]
	v_and_b32_e32 v21, 7, v24
	v_cndmask_b32_e64 v16, v16, v18, s[0:1]
	v_lshlrev_b32_e32 v0, 8, v0
	v_lshl_add_u32 v16, v16, 10, v48
	v_cndmask_b32_e64 v13, v13, v21, s[0:1]
	v_and_or_b32 v0, v0, s24, v16
	v_lshl_or_b32 v0, v13, 7, v0
	v_cvt_f32_f16_e32 v24, v0
.LBB294_809:                            ;   in Loop: Header=BB294_562 Depth=1
	s_or_b64 exec, exec, s[8:9]
	v_lshrrev_b32_e32 v0, 16, v14
	v_cmp_gt_i16_sdwa s[6:7], v0, s3 src0_sel:BYTE_0 src1_sel:DWORD
	s_mov_b64 s[0:1], 0
                                        ; implicit-def: $sgpr10
	s_and_saveexec_b64 s[8:9], s[6:7]
	s_xor_b64 s[6:7], exec, s[8:9]
	s_cbranch_execnz .LBB294_1067
; %bb.810:                              ;   in Loop: Header=BB294_562 Depth=1
	s_or_saveexec_b64 s[6:7], s[6:7]
	v_mov_b32_e32 v21, s10
	s_xor_b64 exec, exec, s[6:7]
	s_cbranch_execnz .LBB294_1070
.LBB294_811:                            ;   in Loop: Header=BB294_562 Depth=1
	s_or_b64 exec, exec, s[6:7]
	s_and_saveexec_b64 s[6:7], s[0:1]
	s_cbranch_execz .LBB294_813
.LBB294_812:                            ;   in Loop: Header=BB294_562 Depth=1
	v_bfe_u32 v13, v14, 16, 3
	v_ffbh_u32_e32 v18, v13
	v_bfe_u32 v16, v14, 19, 4
	v_min_u32_e32 v18, 32, v18
	v_subrev_u32_e32 v21, 28, v18
	v_sub_u32_e32 v18, 29, v18
	v_cmp_eq_u32_e64 s[0:1], 0, v16
	v_lshlrev_b64 v[28:29], v21, v[0:1]
	v_and_b32_e32 v21, 7, v28
	v_cndmask_b32_e64 v16, v16, v18, s[0:1]
	v_lshlrev_b32_e32 v0, 8, v0
	v_lshl_add_u32 v16, v16, 10, v48
	v_cndmask_b32_e64 v13, v13, v21, s[0:1]
	v_and_or_b32 v0, v0, s24, v16
	v_lshl_or_b32 v0, v13, 7, v0
	v_cvt_f32_f16_e32 v21, v0
.LBB294_813:                            ;   in Loop: Header=BB294_562 Depth=1
	s_or_b64 exec, exec, s[6:7]
	v_lshrrev_b32_e32 v0, 24, v14
	v_cmp_lt_i16_e64 s[0:1], s3, v0
	s_mov_b64 s[6:7], 0
                                        ; implicit-def: $sgpr29
	s_and_saveexec_b64 s[8:9], s[0:1]
	s_xor_b64 s[8:9], exec, s[8:9]
	s_cbranch_execnz .LBB294_1071
; %bb.814:                              ;   in Loop: Header=BB294_562 Depth=1
	s_or_saveexec_b64 s[8:9], s[8:9]
	v_mov_b32_e32 v25, s29
	s_xor_b64 exec, exec, s[8:9]
	s_cbranch_execnz .LBB294_1074
.LBB294_815:                            ;   in Loop: Header=BB294_562 Depth=1
	s_or_b64 exec, exec, s[8:9]
	s_and_saveexec_b64 s[8:9], s[6:7]
	s_cbranch_execz .LBB294_817
.LBB294_816:                            ;   in Loop: Header=BB294_562 Depth=1
	v_bfe_u32 v13, v14, 24, 3
	v_ffbh_u32_e32 v16, v13
	v_bfe_u32 v14, v14, 27, 4
	v_min_u32_e32 v16, 32, v16
	v_subrev_u32_e32 v18, 28, v16
	v_sub_u32_e32 v16, 29, v16
	v_cmp_eq_u32_e64 s[0:1], 0, v14
	v_lshlrev_b64 v[28:29], v18, v[0:1]
	v_and_b32_e32 v18, 7, v28
	v_cndmask_b32_e64 v14, v14, v16, s[0:1]
	v_lshlrev_b32_e32 v0, 8, v0
	v_lshl_add_u32 v14, v14, 10, v48
	v_cndmask_b32_e64 v13, v13, v18, s[0:1]
	v_and_or_b32 v0, v0, s24, v14
	v_lshl_or_b32 v0, v13, 7, v0
	v_cvt_f32_f16_e32 v25, v0
.LBB294_817:                            ;   in Loop: Header=BB294_562 Depth=1
	s_or_b64 exec, exec, s[8:9]
	v_cmp_gt_i16_sdwa s[6:7], v15, s3 src0_sel:BYTE_0 src1_sel:DWORD
	s_mov_b64 s[0:1], 0
                                        ; implicit-def: $sgpr10
	s_and_saveexec_b64 s[8:9], s[6:7]
	s_xor_b64 s[6:7], exec, s[8:9]
	s_cbranch_execnz .LBB294_1075
; %bb.818:                              ;   in Loop: Header=BB294_562 Depth=1
	s_or_saveexec_b64 s[6:7], s[6:7]
	v_mov_b32_e32 v13, s10
	s_xor_b64 exec, exec, s[6:7]
	s_cbranch_execnz .LBB294_1078
.LBB294_819:                            ;   in Loop: Header=BB294_562 Depth=1
	s_or_b64 exec, exec, s[6:7]
	v_mov_b32_e32 v0, v15
	s_and_saveexec_b64 s[6:7], s[0:1]
	s_cbranch_execz .LBB294_821
.LBB294_820:                            ;   in Loop: Header=BB294_562 Depth=1
	v_and_b32_e32 v13, 7, v15
	v_ffbh_u32_e32 v13, v13
	v_bfe_u32 v14, v15, 3, 4
	v_min_u32_e32 v13, 32, v13
	v_subrev_u32_e32 v16, 28, v13
	v_sub_u32_e32 v13, 29, v13
	v_cmp_eq_u32_e64 s[0:1], 0, v14
	s_nop 1
	v_cndmask_b32_e64 v13, v14, v13, s[0:1]
	v_cndmask_b32_e64 v14, 0, v16, s[0:1]
	v_lshlrev_b64 v[28:29], v14, v[0:1]
	v_lshlrev_b32_e32 v16, 8, v15
	v_lshl_add_u32 v13, v13, 10, v48
	v_lshlrev_b32_e32 v14, 7, v28
	v_and_or_b32 v13, v16, s24, v13
	v_and_or_b32 v13, v14, s25, v13
	v_cvt_f32_f16_e32 v13, v13
.LBB294_821:                            ;   in Loop: Header=BB294_562 Depth=1
	s_or_b64 exec, exec, s[6:7]
	v_lshrrev_b16_e32 v0, 8, v0
	v_cmp_lt_i16_e64 s[0:1], s3, v0
	s_mov_b64 s[6:7], 0
                                        ; implicit-def: $sgpr29
	s_and_saveexec_b64 s[8:9], s[0:1]
	s_xor_b64 s[8:9], exec, s[8:9]
	s_cbranch_execnz .LBB294_1079
; %bb.822:                              ;   in Loop: Header=BB294_562 Depth=1
	s_or_saveexec_b64 s[8:9], s[8:9]
	v_mov_b32_e32 v14, s29
	s_xor_b64 exec, exec, s[8:9]
	s_cbranch_execnz .LBB294_1082
.LBB294_823:                            ;   in Loop: Header=BB294_562 Depth=1
	s_or_b64 exec, exec, s[8:9]
	s_and_saveexec_b64 s[8:9], s[6:7]
	s_cbranch_execz .LBB294_825
.LBB294_824:                            ;   in Loop: Header=BB294_562 Depth=1
	v_and_b32_e32 v14, 7, v0
	v_ffbh_u32_e32 v18, v14
	v_bfe_u32 v16, v0, 3, 4
	v_min_u32_e32 v18, 32, v18
	v_subrev_u32_e32 v23, 28, v18
	v_sub_u32_e32 v18, 29, v18
	v_cmp_eq_u32_e64 s[0:1], 0, v16
	v_lshlrev_b64 v[28:29], v23, v[0:1]
	v_and_b32_e32 v23, 7, v28
	v_cndmask_b32_e64 v16, v16, v18, s[0:1]
	v_lshlrev_b32_e32 v0, 8, v0
	v_lshl_add_u32 v16, v16, 10, v48
	v_cndmask_b32_e64 v14, v14, v23, s[0:1]
	v_and_or_b32 v0, v0, s24, v16
	v_lshl_or_b32 v0, v14, 7, v0
	v_cvt_f32_f16_e32 v14, v0
.LBB294_825:                            ;   in Loop: Header=BB294_562 Depth=1
	s_or_b64 exec, exec, s[8:9]
	v_lshrrev_b32_e32 v0, 16, v15
	v_cmp_gt_i16_sdwa s[6:7], v0, s3 src0_sel:BYTE_0 src1_sel:DWORD
	s_mov_b64 s[0:1], 0
                                        ; implicit-def: $sgpr10
	s_and_saveexec_b64 s[8:9], s[6:7]
	s_xor_b64 s[6:7], exec, s[8:9]
	s_cbranch_execnz .LBB294_1083
; %bb.826:                              ;   in Loop: Header=BB294_562 Depth=1
	s_or_saveexec_b64 s[6:7], s[6:7]
	v_mov_b32_e32 v16, s10
	s_xor_b64 exec, exec, s[6:7]
	s_cbranch_execnz .LBB294_1086
.LBB294_827:                            ;   in Loop: Header=BB294_562 Depth=1
	s_or_b64 exec, exec, s[6:7]
	s_and_saveexec_b64 s[6:7], s[0:1]
	s_cbranch_execz .LBB294_829
.LBB294_828:                            ;   in Loop: Header=BB294_562 Depth=1
	v_bfe_u32 v16, v15, 16, 3
	v_ffbh_u32_e32 v23, v16
	v_bfe_u32 v18, v15, 19, 4
	v_min_u32_e32 v23, 32, v23
	v_subrev_u32_e32 v28, 28, v23
	v_sub_u32_e32 v23, 29, v23
	v_cmp_eq_u32_e64 s[0:1], 0, v18
	v_lshlrev_b64 v[28:29], v28, v[0:1]
	v_and_b32_e32 v28, 7, v28
	v_cndmask_b32_e64 v18, v18, v23, s[0:1]
	v_lshlrev_b32_e32 v0, 8, v0
	v_lshl_add_u32 v18, v18, 10, v48
	v_cndmask_b32_e64 v16, v16, v28, s[0:1]
	v_and_or_b32 v0, v0, s24, v18
	v_lshl_or_b32 v0, v16, 7, v0
	v_cvt_f32_f16_e32 v16, v0
.LBB294_829:                            ;   in Loop: Header=BB294_562 Depth=1
	s_or_b64 exec, exec, s[6:7]
	v_lshrrev_b32_e32 v0, 24, v15
	v_cmp_lt_i16_e64 s[0:1], s3, v0
	s_mov_b64 s[6:7], 0
                                        ; implicit-def: $sgpr29
	s_and_saveexec_b64 s[8:9], s[0:1]
	s_xor_b64 s[8:9], exec, s[8:9]
	s_cbranch_execnz .LBB294_1087
; %bb.830:                              ;   in Loop: Header=BB294_562 Depth=1
	s_or_saveexec_b64 s[8:9], s[8:9]
	v_mov_b32_e32 v18, s29
	s_xor_b64 exec, exec, s[8:9]
	s_cbranch_execnz .LBB294_1090
.LBB294_831:                            ;   in Loop: Header=BB294_562 Depth=1
	s_or_b64 exec, exec, s[8:9]
	s_and_saveexec_b64 s[8:9], s[6:7]
	s_cbranch_execz .LBB294_833
.LBB294_832:                            ;   in Loop: Header=BB294_562 Depth=1
	v_bfe_u32 v18, v15, 24, 3
	v_ffbh_u32_e32 v23, v18
	v_bfe_u32 v15, v15, 27, 4
	v_min_u32_e32 v23, 32, v23
	v_subrev_u32_e32 v28, 28, v23
	v_sub_u32_e32 v23, 29, v23
	v_cmp_eq_u32_e64 s[0:1], 0, v15
	v_lshlrev_b64 v[28:29], v28, v[0:1]
	v_and_b32_e32 v28, 7, v28
	v_cndmask_b32_e64 v15, v15, v23, s[0:1]
	v_lshlrev_b32_e32 v0, 8, v0
	v_lshl_add_u32 v15, v15, 10, v48
	v_cndmask_b32_e64 v18, v18, v28, s[0:1]
	v_and_or_b32 v0, v0, s24, v15
	v_lshl_or_b32 v0, v18, 7, v0
	v_cvt_f32_f16_e32 v18, v0
.LBB294_833:                            ;   in Loop: Header=BB294_562 Depth=1
	s_or_b64 exec, exec, s[8:9]
	v_pk_mul_f32 v[24:25], v[12:13], v[24:25] op_sel_hi:[0,1]
	v_pk_mul_f32 v[20:21], v[12:13], v[20:21] op_sel_hi:[0,1]
	v_cvt_f16_f32_e32 v0, v25
	v_cvt_f16_f32_e32 v15, v24
	;; [unrolled: 1-line block ×4, first 2 shown]
	v_fma_mixlo_f16 v14, v12, v14, 0
	v_lshlrev_b32_e32 v14, 16, v14
	v_fma_mixlo_f16 v13, v12, v13, 0
	v_or_b32_sdwa v13, v14, v13 dst_sel:DWORD dst_unused:UNUSED_PAD src0_sel:DWORD src1_sel:WORD_0
	v_fma_mixlo_f16 v14, v12, v16, 0
	v_fma_mixlo_f16 v12, v12, v18, 0
	v_pack_b32_f16 v15, v15, v0
	v_pack_b32_f16 v20, v20, v21
	v_lshlrev_b32_e32 v12, 16, v12
	v_perm_b32 v0, v20, v15, s26
	v_perm_b32 v15, v20, v15, s27
	v_or_b32_sdwa v12, v12, v14 dst_sel:DWORD dst_unused:UNUSED_PAD src0_sel:DWORD src1_sel:WORD_0
	s_and_saveexec_b64 s[0:1], vcc
	s_cbranch_execz .LBB294_560
; %bb.834:                              ;   in Loop: Header=BB294_562 Depth=1
	v_lshrrev_b32_e32 v16, 16, v15
	v_cmp_lt_i32_e32 vcc, v57, v3
	v_accvgpr_read_b32 v18, a8
	v_lshrrev_b32_e32 v12, 16, v12
	v_cndmask_b32_e32 v16, 0, v16, vcc
	v_cmp_lt_i32_e32 vcc, v44, v18
	s_nop 1
	v_cndmask_b32_e32 v15, 0, v15, vcc
	v_perm_b32 v15, v16, v15, s28
	v_lshrrev_b32_e32 v16, 16, v0
	v_cmp_lt_i32_e32 vcc, v56, v3
	s_nop 1
	v_cndmask_b32_e32 v16, 0, v16, vcc
	v_cmp_lt_i32_e32 vcc, v47, v18
	s_nop 1
	v_cndmask_b32_e32 v0, 0, v0, vcc
	v_perm_b32 v0, v16, v0, s28
	v_lshrrev_b32_e32 v16, 16, v13
	v_cmp_lt_i32_e32 vcc, v46, v3
	s_nop 1
	v_cndmask_b32_e32 v16, 0, v16, vcc
	v_cmp_lt_i32_e32 vcc, v45, v18
	s_nop 1
	v_cndmask_b32_e32 v13, 0, v13, vcc
	v_cmp_lt_i32_e32 vcc, v43, v3
	v_perm_b32 v13, v16, v13, s28
	s_nop 0
	v_cndmask_b32_e32 v12, 0, v12, vcc
	v_cmp_lt_i32_e32 vcc, v49, v18
	s_nop 1
	v_cndmask_b32_e32 v14, 0, v14, vcc
	v_perm_b32 v12, v12, v14, s28
	s_branch .LBB294_560
.LBB294_835:                            ;   in Loop: Header=BB294_562 Depth=1
	v_cmp_eq_u16_sdwa vcc, v20, s15 src0_sel:BYTE_0 src1_sel:DWORD
	s_mov_b64 s[0:1], -1
                                        ; implicit-def: $sgpr10
	s_and_saveexec_b64 s[8:9], vcc
; %bb.836:                              ;   in Loop: Header=BB294_562 Depth=1
	s_mov_b32 s10, 0x7fc02000
	s_xor_b64 s[0:1], exec, -1
; %bb.837:                              ;   in Loop: Header=BB294_562 Depth=1
	s_or_b64 exec, exec, s[8:9]
	s_and_b64 s[0:1], s[0:1], exec
	s_or_saveexec_b64 s[6:7], s[6:7]
	v_mov_b32_e32 v24, s10
	s_xor_b64 exec, exec, s[6:7]
	s_cbranch_execz .LBB294_565
.LBB294_838:                            ;   in Loop: Header=BB294_562 Depth=1
	v_cmp_ne_u16_sdwa s[8:9], v20, v1 src0_sel:BYTE_0 src1_sel:DWORD
	s_andn2_b64 s[0:1], s[0:1], exec
	s_and_b64 s[8:9], s[8:9], exec
	v_mov_b32_e32 v24, 0
	s_or_b64 s[0:1], s[0:1], s[8:9]
	s_or_b64 exec, exec, s[6:7]
	s_and_saveexec_b64 s[6:7], s[0:1]
	s_cbranch_execnz .LBB294_566
	s_branch .LBB294_567
.LBB294_839:                            ;   in Loop: Header=BB294_562 Depth=1
	v_cmp_eq_u16_e32 vcc, s15, v0
	s_mov_b64 s[0:1], -1
                                        ; implicit-def: $sgpr10
	s_and_saveexec_b64 s[8:9], vcc
; %bb.840:                              ;   in Loop: Header=BB294_562 Depth=1
	s_mov_b32 s10, 0x7fc02000
	s_xor_b64 s[0:1], exec, -1
; %bb.841:                              ;   in Loop: Header=BB294_562 Depth=1
	s_or_b64 exec, exec, s[8:9]
	s_and_b64 s[0:1], s[0:1], exec
	s_or_saveexec_b64 s[6:7], s[6:7]
	v_mov_b32_e32 v28, s10
	s_xor_b64 exec, exec, s[6:7]
	s_cbranch_execz .LBB294_569
.LBB294_842:                            ;   in Loop: Header=BB294_562 Depth=1
	v_cmp_ne_u16_e32 vcc, 0, v0
	s_andn2_b64 s[0:1], s[0:1], exec
	s_and_b64 s[8:9], vcc, exec
	v_mov_b32_e32 v28, 0
	s_or_b64 s[0:1], s[0:1], s[8:9]
	s_or_b64 exec, exec, s[6:7]
	s_and_saveexec_b64 s[6:7], s[0:1]
	s_cbranch_execnz .LBB294_570
	s_branch .LBB294_571
.LBB294_843:                            ;   in Loop: Header=BB294_562 Depth=1
	v_cmp_eq_u16_sdwa vcc, v0, s15 src0_sel:BYTE_0 src1_sel:DWORD
	s_mov_b64 s[0:1], -1
                                        ; implicit-def: $sgpr10
	s_and_saveexec_b64 s[8:9], vcc
; %bb.844:                              ;   in Loop: Header=BB294_562 Depth=1
	s_mov_b32 s10, 0x7fc02000
	s_xor_b64 s[0:1], exec, -1
; %bb.845:                              ;   in Loop: Header=BB294_562 Depth=1
	s_or_b64 exec, exec, s[8:9]
	s_and_b64 s[0:1], s[0:1], exec
	s_or_saveexec_b64 s[6:7], s[6:7]
	v_mov_b32_e32 v25, s10
	s_xor_b64 exec, exec, s[6:7]
	s_cbranch_execz .LBB294_573
.LBB294_846:                            ;   in Loop: Header=BB294_562 Depth=1
	v_cmp_ne_u16_sdwa s[8:9], v0, v1 src0_sel:BYTE_0 src1_sel:DWORD
	s_andn2_b64 s[0:1], s[0:1], exec
	s_and_b64 s[8:9], s[8:9], exec
	v_mov_b32_e32 v25, 0
	s_or_b64 s[0:1], s[0:1], s[8:9]
	s_or_b64 exec, exec, s[6:7]
	s_and_saveexec_b64 s[6:7], s[0:1]
	s_cbranch_execnz .LBB294_574
	s_branch .LBB294_575
.LBB294_847:                            ;   in Loop: Header=BB294_562 Depth=1
	v_cmp_eq_u16_e32 vcc, s15, v0
	s_mov_b64 s[0:1], -1
                                        ; implicit-def: $sgpr10
	s_and_saveexec_b64 s[8:9], vcc
; %bb.848:                              ;   in Loop: Header=BB294_562 Depth=1
	s_mov_b32 s10, 0x7fc02000
	s_xor_b64 s[0:1], exec, -1
; %bb.849:                              ;   in Loop: Header=BB294_562 Depth=1
	s_or_b64 exec, exec, s[8:9]
	s_and_b64 s[0:1], s[0:1], exec
	s_or_saveexec_b64 s[6:7], s[6:7]
	v_mov_b32_e32 v29, s10
	s_xor_b64 exec, exec, s[6:7]
	s_cbranch_execz .LBB294_577
.LBB294_850:                            ;   in Loop: Header=BB294_562 Depth=1
	v_cmp_ne_u16_e32 vcc, 0, v0
	s_andn2_b64 s[0:1], s[0:1], exec
	s_and_b64 s[8:9], vcc, exec
	v_mov_b32_e32 v29, 0
	s_or_b64 s[0:1], s[0:1], s[8:9]
	s_or_b64 exec, exec, s[6:7]
	s_and_saveexec_b64 s[6:7], s[0:1]
	s_cbranch_execnz .LBB294_578
	s_branch .LBB294_579
.LBB294_851:                            ;   in Loop: Header=BB294_562 Depth=1
	v_cmp_eq_u16_sdwa vcc, v21, s15 src0_sel:BYTE_0 src1_sel:DWORD
	s_mov_b64 s[0:1], -1
                                        ; implicit-def: $sgpr10
	s_and_saveexec_b64 s[8:9], vcc
; %bb.852:                              ;   in Loop: Header=BB294_562 Depth=1
	s_mov_b32 s10, 0x7fc02000
	s_xor_b64 s[0:1], exec, -1
; %bb.853:                              ;   in Loop: Header=BB294_562 Depth=1
	s_or_b64 exec, exec, s[8:9]
	s_and_b64 s[0:1], s[0:1], exec
	s_or_saveexec_b64 s[6:7], s[6:7]
	v_mov_b32_e32 v16, s10
	s_xor_b64 exec, exec, s[6:7]
	s_cbranch_execz .LBB294_581
.LBB294_854:                            ;   in Loop: Header=BB294_562 Depth=1
	v_cmp_ne_u16_sdwa s[8:9], v21, v1 src0_sel:BYTE_0 src1_sel:DWORD
	s_andn2_b64 s[0:1], s[0:1], exec
	s_and_b64 s[8:9], s[8:9], exec
	v_mov_b32_e32 v16, 0
	s_or_b64 s[0:1], s[0:1], s[8:9]
	s_or_b64 exec, exec, s[6:7]
	v_mov_b32_e32 v0, v21
	s_and_saveexec_b64 s[6:7], s[0:1]
	s_cbranch_execnz .LBB294_582
	s_branch .LBB294_583
.LBB294_855:                            ;   in Loop: Header=BB294_562 Depth=1
	v_cmp_eq_u16_e32 vcc, s15, v0
	s_mov_b64 s[0:1], -1
                                        ; implicit-def: $sgpr10
	s_and_saveexec_b64 s[8:9], vcc
; %bb.856:                              ;   in Loop: Header=BB294_562 Depth=1
	s_mov_b32 s10, 0x7fc02000
	s_xor_b64 s[0:1], exec, -1
; %bb.857:                              ;   in Loop: Header=BB294_562 Depth=1
	s_or_b64 exec, exec, s[8:9]
	s_and_b64 s[0:1], s[0:1], exec
	s_or_saveexec_b64 s[6:7], s[6:7]
	v_mov_b32_e32 v18, s10
	s_xor_b64 exec, exec, s[6:7]
	s_cbranch_execz .LBB294_585
.LBB294_858:                            ;   in Loop: Header=BB294_562 Depth=1
	v_cmp_ne_u16_e32 vcc, 0, v0
	s_andn2_b64 s[0:1], s[0:1], exec
	s_and_b64 s[8:9], vcc, exec
	v_mov_b32_e32 v18, 0
	s_or_b64 s[0:1], s[0:1], s[8:9]
	s_or_b64 exec, exec, s[6:7]
	s_and_saveexec_b64 s[6:7], s[0:1]
	s_cbranch_execnz .LBB294_586
	s_branch .LBB294_587
.LBB294_859:                            ;   in Loop: Header=BB294_562 Depth=1
	v_cmp_eq_u16_sdwa vcc, v0, s15 src0_sel:BYTE_0 src1_sel:DWORD
	s_mov_b64 s[0:1], -1
                                        ; implicit-def: $sgpr10
	s_and_saveexec_b64 s[8:9], vcc
; %bb.860:                              ;   in Loop: Header=BB294_562 Depth=1
	s_mov_b32 s10, 0x7fc02000
	s_xor_b64 s[0:1], exec, -1
; %bb.861:                              ;   in Loop: Header=BB294_562 Depth=1
	s_or_b64 exec, exec, s[8:9]
	s_and_b64 s[0:1], s[0:1], exec
	s_or_saveexec_b64 s[6:7], s[6:7]
	v_mov_b32_e32 v20, s10
	s_xor_b64 exec, exec, s[6:7]
	s_cbranch_execz .LBB294_589
.LBB294_862:                            ;   in Loop: Header=BB294_562 Depth=1
	v_cmp_ne_u16_sdwa s[8:9], v0, v1 src0_sel:BYTE_0 src1_sel:DWORD
	s_andn2_b64 s[0:1], s[0:1], exec
	s_and_b64 s[8:9], s[8:9], exec
	v_mov_b32_e32 v20, 0
	s_or_b64 s[0:1], s[0:1], s[8:9]
	s_or_b64 exec, exec, s[6:7]
	s_and_saveexec_b64 s[6:7], s[0:1]
	s_cbranch_execnz .LBB294_590
	s_branch .LBB294_591
.LBB294_863:                            ;   in Loop: Header=BB294_562 Depth=1
	v_cmp_eq_u16_e32 vcc, s15, v0
	s_mov_b64 s[0:1], -1
                                        ; implicit-def: $sgpr10
	s_and_saveexec_b64 s[8:9], vcc
; %bb.864:                              ;   in Loop: Header=BB294_562 Depth=1
	s_mov_b32 s10, 0x7fc02000
	s_xor_b64 s[0:1], exec, -1
; %bb.865:                              ;   in Loop: Header=BB294_562 Depth=1
	s_or_b64 exec, exec, s[8:9]
	s_and_b64 s[0:1], s[0:1], exec
	s_or_saveexec_b64 s[6:7], s[6:7]
	v_mov_b32_e32 v23, s10
	s_xor_b64 exec, exec, s[6:7]
	s_cbranch_execz .LBB294_593
.LBB294_866:                            ;   in Loop: Header=BB294_562 Depth=1
	v_cmp_ne_u16_e32 vcc, 0, v0
	s_andn2_b64 s[0:1], s[0:1], exec
	s_and_b64 s[8:9], vcc, exec
	v_mov_b32_e32 v23, 0
	s_or_b64 s[0:1], s[0:1], s[8:9]
	s_or_b64 exec, exec, s[6:7]
	s_and_saveexec_b64 s[6:7], s[0:1]
	s_cbranch_execnz .LBB294_594
	s_branch .LBB294_595
.LBB294_867:                            ;   in Loop: Header=BB294_562 Depth=1
	v_cmp_eq_u16_sdwa s[30:31], v20, s15 src0_sel:BYTE_0 src1_sel:DWORD
	s_mov_b64 s[0:1], -1
                                        ; implicit-def: $sgpr10
	s_and_saveexec_b64 s[8:9], s[30:31]
; %bb.868:                              ;   in Loop: Header=BB294_562 Depth=1
	s_mov_b32 s10, 0x7fc02000
	s_xor_b64 s[0:1], exec, -1
; %bb.869:                              ;   in Loop: Header=BB294_562 Depth=1
	s_or_b64 exec, exec, s[8:9]
	s_and_b64 s[0:1], s[0:1], exec
	s_or_saveexec_b64 s[6:7], s[6:7]
	v_mov_b32_e32 v24, s10
	s_xor_b64 exec, exec, s[6:7]
	s_cbranch_execz .LBB294_599
.LBB294_870:                            ;   in Loop: Header=BB294_562 Depth=1
	v_cmp_ne_u16_sdwa s[8:9], v20, v1 src0_sel:BYTE_0 src1_sel:DWORD
	s_andn2_b64 s[0:1], s[0:1], exec
	s_and_b64 s[8:9], s[8:9], exec
	v_mov_b32_e32 v24, 0
	s_or_b64 s[0:1], s[0:1], s[8:9]
	s_or_b64 exec, exec, s[6:7]
	s_and_saveexec_b64 s[6:7], s[0:1]
	s_cbranch_execnz .LBB294_600
	s_branch .LBB294_601
.LBB294_871:                            ;   in Loop: Header=BB294_562 Depth=1
	v_cmp_eq_u16_e64 s[0:1], s15, v0
	s_mov_b64 s[6:7], -1
                                        ; implicit-def: $sgpr29
	s_and_saveexec_b64 s[10:11], s[0:1]
; %bb.872:                              ;   in Loop: Header=BB294_562 Depth=1
	s_mov_b32 s29, 0x7fc02000
	s_xor_b64 s[6:7], exec, -1
; %bb.873:                              ;   in Loop: Header=BB294_562 Depth=1
	s_or_b64 exec, exec, s[10:11]
	s_and_b64 s[6:7], s[6:7], exec
	s_or_saveexec_b64 s[8:9], s[8:9]
	v_mov_b32_e32 v28, s29
	s_xor_b64 exec, exec, s[8:9]
	s_cbranch_execz .LBB294_603
.LBB294_874:                            ;   in Loop: Header=BB294_562 Depth=1
	v_cmp_ne_u16_e64 s[0:1], 0, v0
	s_andn2_b64 s[6:7], s[6:7], exec
	s_and_b64 s[0:1], s[0:1], exec
	v_mov_b32_e32 v28, 0
	s_or_b64 s[6:7], s[6:7], s[0:1]
	s_or_b64 exec, exec, s[8:9]
	s_and_saveexec_b64 s[8:9], s[6:7]
	s_cbranch_execnz .LBB294_604
	s_branch .LBB294_605
.LBB294_875:                            ;   in Loop: Header=BB294_562 Depth=1
	v_cmp_eq_u16_sdwa s[30:31], v0, s15 src0_sel:BYTE_0 src1_sel:DWORD
	s_mov_b64 s[0:1], -1
                                        ; implicit-def: $sgpr10
	s_and_saveexec_b64 s[8:9], s[30:31]
; %bb.876:                              ;   in Loop: Header=BB294_562 Depth=1
	s_mov_b32 s10, 0x7fc02000
	s_xor_b64 s[0:1], exec, -1
; %bb.877:                              ;   in Loop: Header=BB294_562 Depth=1
	s_or_b64 exec, exec, s[8:9]
	s_and_b64 s[0:1], s[0:1], exec
	s_or_saveexec_b64 s[6:7], s[6:7]
	v_mov_b32_e32 v25, s10
	s_xor_b64 exec, exec, s[6:7]
	s_cbranch_execz .LBB294_607
.LBB294_878:                            ;   in Loop: Header=BB294_562 Depth=1
	v_cmp_ne_u16_sdwa s[8:9], v0, v1 src0_sel:BYTE_0 src1_sel:DWORD
	s_andn2_b64 s[0:1], s[0:1], exec
	s_and_b64 s[8:9], s[8:9], exec
	v_mov_b32_e32 v25, 0
	s_or_b64 s[0:1], s[0:1], s[8:9]
	s_or_b64 exec, exec, s[6:7]
	s_and_saveexec_b64 s[6:7], s[0:1]
	s_cbranch_execnz .LBB294_608
	s_branch .LBB294_609
.LBB294_879:                            ;   in Loop: Header=BB294_562 Depth=1
	v_cmp_eq_u16_e64 s[0:1], s15, v0
	s_mov_b64 s[6:7], -1
                                        ; implicit-def: $sgpr29
	s_and_saveexec_b64 s[10:11], s[0:1]
; %bb.880:                              ;   in Loop: Header=BB294_562 Depth=1
	s_mov_b32 s29, 0x7fc02000
	s_xor_b64 s[6:7], exec, -1
; %bb.881:                              ;   in Loop: Header=BB294_562 Depth=1
	s_or_b64 exec, exec, s[10:11]
	s_and_b64 s[6:7], s[6:7], exec
	s_or_saveexec_b64 s[8:9], s[8:9]
	v_mov_b32_e32 v29, s29
	s_xor_b64 exec, exec, s[8:9]
	s_cbranch_execz .LBB294_611
.LBB294_882:                            ;   in Loop: Header=BB294_562 Depth=1
	v_cmp_ne_u16_e64 s[0:1], 0, v0
	s_andn2_b64 s[6:7], s[6:7], exec
	s_and_b64 s[0:1], s[0:1], exec
	v_mov_b32_e32 v29, 0
	s_or_b64 s[6:7], s[6:7], s[0:1]
	s_or_b64 exec, exec, s[8:9]
	s_and_saveexec_b64 s[8:9], s[6:7]
	s_cbranch_execnz .LBB294_612
	s_branch .LBB294_613
.LBB294_883:                            ;   in Loop: Header=BB294_562 Depth=1
	v_cmp_eq_u16_sdwa s[30:31], v21, s15 src0_sel:BYTE_0 src1_sel:DWORD
	s_mov_b64 s[0:1], -1
                                        ; implicit-def: $sgpr10
	s_and_saveexec_b64 s[8:9], s[30:31]
; %bb.884:                              ;   in Loop: Header=BB294_562 Depth=1
	s_mov_b32 s10, 0x7fc02000
	s_xor_b64 s[0:1], exec, -1
; %bb.885:                              ;   in Loop: Header=BB294_562 Depth=1
	s_or_b64 exec, exec, s[8:9]
	s_and_b64 s[0:1], s[0:1], exec
	s_or_saveexec_b64 s[6:7], s[6:7]
	v_mov_b32_e32 v4, s10
	s_xor_b64 exec, exec, s[6:7]
	s_cbranch_execz .LBB294_615
.LBB294_886:                            ;   in Loop: Header=BB294_562 Depth=1
	v_cmp_ne_u16_sdwa s[8:9], v21, v1 src0_sel:BYTE_0 src1_sel:DWORD
	s_andn2_b64 s[0:1], s[0:1], exec
	s_and_b64 s[8:9], s[8:9], exec
	v_mov_b32_e32 v4, 0
	s_or_b64 s[0:1], s[0:1], s[8:9]
	s_or_b64 exec, exec, s[6:7]
	v_mov_b32_e32 v0, v21
	s_and_saveexec_b64 s[6:7], s[0:1]
	s_cbranch_execnz .LBB294_616
	s_branch .LBB294_617
.LBB294_887:                            ;   in Loop: Header=BB294_562 Depth=1
	v_cmp_eq_u16_e64 s[0:1], s15, v0
	s_mov_b64 s[6:7], -1
                                        ; implicit-def: $sgpr29
	s_and_saveexec_b64 s[10:11], s[0:1]
; %bb.888:                              ;   in Loop: Header=BB294_562 Depth=1
	s_mov_b32 s29, 0x7fc02000
	s_xor_b64 s[6:7], exec, -1
; %bb.889:                              ;   in Loop: Header=BB294_562 Depth=1
	s_or_b64 exec, exec, s[10:11]
	s_and_b64 s[6:7], s[6:7], exec
	s_or_saveexec_b64 s[8:9], s[8:9]
	v_mov_b32_e32 v5, s29
	s_xor_b64 exec, exec, s[8:9]
	s_cbranch_execz .LBB294_619
.LBB294_890:                            ;   in Loop: Header=BB294_562 Depth=1
	v_cmp_ne_u16_e64 s[0:1], 0, v0
	s_andn2_b64 s[6:7], s[6:7], exec
	s_and_b64 s[0:1], s[0:1], exec
	v_mov_b32_e32 v5, 0
	s_or_b64 s[6:7], s[6:7], s[0:1]
	s_or_b64 exec, exec, s[8:9]
	s_and_saveexec_b64 s[8:9], s[6:7]
	s_cbranch_execnz .LBB294_620
	s_branch .LBB294_621
.LBB294_891:                            ;   in Loop: Header=BB294_562 Depth=1
	v_cmp_eq_u16_sdwa s[30:31], v0, s15 src0_sel:BYTE_0 src1_sel:DWORD
	s_mov_b64 s[0:1], -1
                                        ; implicit-def: $sgpr10
	s_and_saveexec_b64 s[8:9], s[30:31]
; %bb.892:                              ;   in Loop: Header=BB294_562 Depth=1
	s_mov_b32 s10, 0x7fc02000
	s_xor_b64 s[0:1], exec, -1
; %bb.893:                              ;   in Loop: Header=BB294_562 Depth=1
	s_or_b64 exec, exec, s[8:9]
	s_and_b64 s[0:1], s[0:1], exec
	s_or_saveexec_b64 s[6:7], s[6:7]
	v_mov_b32_e32 v6, s10
	s_xor_b64 exec, exec, s[6:7]
	s_cbranch_execz .LBB294_623
.LBB294_894:                            ;   in Loop: Header=BB294_562 Depth=1
	v_cmp_ne_u16_sdwa s[8:9], v0, v1 src0_sel:BYTE_0 src1_sel:DWORD
	s_andn2_b64 s[0:1], s[0:1], exec
	s_and_b64 s[8:9], s[8:9], exec
	v_mov_b32_e32 v6, 0
	s_or_b64 s[0:1], s[0:1], s[8:9]
	s_or_b64 exec, exec, s[6:7]
	s_and_saveexec_b64 s[6:7], s[0:1]
	s_cbranch_execnz .LBB294_624
	s_branch .LBB294_625
.LBB294_895:                            ;   in Loop: Header=BB294_562 Depth=1
	v_cmp_eq_u16_e64 s[0:1], s15, v0
	s_mov_b64 s[6:7], -1
                                        ; implicit-def: $sgpr29
	s_and_saveexec_b64 s[10:11], s[0:1]
; %bb.896:                              ;   in Loop: Header=BB294_562 Depth=1
	s_mov_b32 s29, 0x7fc02000
	s_xor_b64 s[6:7], exec, -1
; %bb.897:                              ;   in Loop: Header=BB294_562 Depth=1
	s_or_b64 exec, exec, s[10:11]
	s_and_b64 s[6:7], s[6:7], exec
	s_or_saveexec_b64 s[8:9], s[8:9]
	v_mov_b32_e32 v15, s29
	s_xor_b64 exec, exec, s[8:9]
	s_cbranch_execz .LBB294_627
.LBB294_898:                            ;   in Loop: Header=BB294_562 Depth=1
	v_cmp_ne_u16_e64 s[0:1], 0, v0
	s_andn2_b64 s[6:7], s[6:7], exec
	s_and_b64 s[0:1], s[0:1], exec
	v_mov_b32_e32 v15, 0
	s_or_b64 s[6:7], s[6:7], s[0:1]
	s_or_b64 exec, exec, s[8:9]
	s_and_saveexec_b64 s[8:9], s[6:7]
	s_cbranch_execnz .LBB294_628
	s_branch .LBB294_629
.LBB294_899:                            ;   in Loop: Header=BB294_562 Depth=1
	v_cmp_eq_u16_sdwa s[30:31], v20, s15 src0_sel:BYTE_0 src1_sel:DWORD
	s_mov_b64 s[0:1], -1
                                        ; implicit-def: $sgpr10
	s_and_saveexec_b64 s[8:9], s[30:31]
; %bb.900:                              ;   in Loop: Header=BB294_562 Depth=1
	s_mov_b32 s10, 0x7fc02000
	s_xor_b64 s[0:1], exec, -1
; %bb.901:                              ;   in Loop: Header=BB294_562 Depth=1
	s_or_b64 exec, exec, s[8:9]
	s_and_b64 s[0:1], s[0:1], exec
	s_or_saveexec_b64 s[6:7], s[6:7]
	v_mov_b32_e32 v24, s10
	s_xor_b64 exec, exec, s[6:7]
	s_cbranch_execz .LBB294_633
.LBB294_902:                            ;   in Loop: Header=BB294_562 Depth=1
	v_cmp_ne_u16_sdwa s[8:9], v20, v1 src0_sel:BYTE_0 src1_sel:DWORD
	s_andn2_b64 s[0:1], s[0:1], exec
	s_and_b64 s[8:9], s[8:9], exec
	v_mov_b32_e32 v24, 0
	s_or_b64 s[0:1], s[0:1], s[8:9]
	s_or_b64 exec, exec, s[6:7]
	s_and_saveexec_b64 s[6:7], s[0:1]
	s_cbranch_execnz .LBB294_634
	s_branch .LBB294_635
.LBB294_903:                            ;   in Loop: Header=BB294_562 Depth=1
	v_cmp_eq_u16_e64 s[0:1], s15, v0
	s_mov_b64 s[6:7], -1
                                        ; implicit-def: $sgpr29
	s_and_saveexec_b64 s[10:11], s[0:1]
; %bb.904:                              ;   in Loop: Header=BB294_562 Depth=1
	s_mov_b32 s29, 0x7fc02000
	s_xor_b64 s[6:7], exec, -1
; %bb.905:                              ;   in Loop: Header=BB294_562 Depth=1
	s_or_b64 exec, exec, s[10:11]
	s_and_b64 s[6:7], s[6:7], exec
	s_or_saveexec_b64 s[8:9], s[8:9]
	v_mov_b32_e32 v28, s29
	s_xor_b64 exec, exec, s[8:9]
	s_cbranch_execz .LBB294_637
.LBB294_906:                            ;   in Loop: Header=BB294_562 Depth=1
	v_cmp_ne_u16_e64 s[0:1], 0, v0
	s_andn2_b64 s[6:7], s[6:7], exec
	s_and_b64 s[0:1], s[0:1], exec
	v_mov_b32_e32 v28, 0
	s_or_b64 s[6:7], s[6:7], s[0:1]
	s_or_b64 exec, exec, s[8:9]
	s_and_saveexec_b64 s[8:9], s[6:7]
	s_cbranch_execnz .LBB294_638
	s_branch .LBB294_639
.LBB294_907:                            ;   in Loop: Header=BB294_562 Depth=1
	v_cmp_eq_u16_sdwa s[30:31], v0, s15 src0_sel:BYTE_0 src1_sel:DWORD
	s_mov_b64 s[0:1], -1
                                        ; implicit-def: $sgpr10
	s_and_saveexec_b64 s[8:9], s[30:31]
; %bb.908:                              ;   in Loop: Header=BB294_562 Depth=1
	s_mov_b32 s10, 0x7fc02000
	s_xor_b64 s[0:1], exec, -1
; %bb.909:                              ;   in Loop: Header=BB294_562 Depth=1
	s_or_b64 exec, exec, s[8:9]
	s_and_b64 s[0:1], s[0:1], exec
	s_or_saveexec_b64 s[6:7], s[6:7]
	v_mov_b32_e32 v25, s10
	s_xor_b64 exec, exec, s[6:7]
	s_cbranch_execz .LBB294_641
.LBB294_910:                            ;   in Loop: Header=BB294_562 Depth=1
	v_cmp_ne_u16_sdwa s[8:9], v0, v1 src0_sel:BYTE_0 src1_sel:DWORD
	s_andn2_b64 s[0:1], s[0:1], exec
	s_and_b64 s[8:9], s[8:9], exec
	v_mov_b32_e32 v25, 0
	s_or_b64 s[0:1], s[0:1], s[8:9]
	s_or_b64 exec, exec, s[6:7]
	s_and_saveexec_b64 s[6:7], s[0:1]
	s_cbranch_execnz .LBB294_642
	s_branch .LBB294_643
.LBB294_911:                            ;   in Loop: Header=BB294_562 Depth=1
	v_cmp_eq_u16_e64 s[0:1], s15, v0
	s_mov_b64 s[6:7], -1
                                        ; implicit-def: $sgpr29
	s_and_saveexec_b64 s[10:11], s[0:1]
; %bb.912:                              ;   in Loop: Header=BB294_562 Depth=1
	s_mov_b32 s29, 0x7fc02000
	s_xor_b64 s[6:7], exec, -1
; %bb.913:                              ;   in Loop: Header=BB294_562 Depth=1
	s_or_b64 exec, exec, s[10:11]
	s_and_b64 s[6:7], s[6:7], exec
	s_or_saveexec_b64 s[8:9], s[8:9]
	v_mov_b32_e32 v29, s29
	s_xor_b64 exec, exec, s[8:9]
	s_cbranch_execz .LBB294_645
.LBB294_914:                            ;   in Loop: Header=BB294_562 Depth=1
	v_cmp_ne_u16_e64 s[0:1], 0, v0
	s_andn2_b64 s[6:7], s[6:7], exec
	s_and_b64 s[0:1], s[0:1], exec
	v_mov_b32_e32 v29, 0
	s_or_b64 s[6:7], s[6:7], s[0:1]
	s_or_b64 exec, exec, s[8:9]
	s_and_saveexec_b64 s[8:9], s[6:7]
	s_cbranch_execnz .LBB294_646
	s_branch .LBB294_647
.LBB294_915:                            ;   in Loop: Header=BB294_562 Depth=1
	v_cmp_eq_u16_sdwa s[30:31], v21, s15 src0_sel:BYTE_0 src1_sel:DWORD
	s_mov_b64 s[0:1], -1
                                        ; implicit-def: $sgpr10
	s_and_saveexec_b64 s[8:9], s[30:31]
; %bb.916:                              ;   in Loop: Header=BB294_562 Depth=1
	s_mov_b32 s10, 0x7fc02000
	s_xor_b64 s[0:1], exec, -1
; %bb.917:                              ;   in Loop: Header=BB294_562 Depth=1
	s_or_b64 exec, exec, s[8:9]
	s_and_b64 s[0:1], s[0:1], exec
	s_or_saveexec_b64 s[6:7], s[6:7]
	v_mov_b32_e32 v4, s10
	s_xor_b64 exec, exec, s[6:7]
	s_cbranch_execz .LBB294_649
.LBB294_918:                            ;   in Loop: Header=BB294_562 Depth=1
	v_cmp_ne_u16_sdwa s[8:9], v21, v1 src0_sel:BYTE_0 src1_sel:DWORD
	s_andn2_b64 s[0:1], s[0:1], exec
	s_and_b64 s[8:9], s[8:9], exec
	v_mov_b32_e32 v4, 0
	s_or_b64 s[0:1], s[0:1], s[8:9]
	s_or_b64 exec, exec, s[6:7]
	v_mov_b32_e32 v0, v21
	s_and_saveexec_b64 s[6:7], s[0:1]
	s_cbranch_execnz .LBB294_650
	s_branch .LBB294_651
.LBB294_919:                            ;   in Loop: Header=BB294_562 Depth=1
	v_cmp_eq_u16_e64 s[0:1], s15, v0
	s_mov_b64 s[6:7], -1
                                        ; implicit-def: $sgpr29
	s_and_saveexec_b64 s[10:11], s[0:1]
; %bb.920:                              ;   in Loop: Header=BB294_562 Depth=1
	s_mov_b32 s29, 0x7fc02000
	s_xor_b64 s[6:7], exec, -1
; %bb.921:                              ;   in Loop: Header=BB294_562 Depth=1
	s_or_b64 exec, exec, s[10:11]
	s_and_b64 s[6:7], s[6:7], exec
	s_or_saveexec_b64 s[8:9], s[8:9]
	v_mov_b32_e32 v5, s29
	s_xor_b64 exec, exec, s[8:9]
	s_cbranch_execz .LBB294_653
.LBB294_922:                            ;   in Loop: Header=BB294_562 Depth=1
	v_cmp_ne_u16_e64 s[0:1], 0, v0
	s_andn2_b64 s[6:7], s[6:7], exec
	s_and_b64 s[0:1], s[0:1], exec
	v_mov_b32_e32 v5, 0
	s_or_b64 s[6:7], s[6:7], s[0:1]
	s_or_b64 exec, exec, s[8:9]
	s_and_saveexec_b64 s[8:9], s[6:7]
	s_cbranch_execnz .LBB294_654
	s_branch .LBB294_655
.LBB294_923:                            ;   in Loop: Header=BB294_562 Depth=1
	v_cmp_eq_u16_sdwa s[30:31], v0, s15 src0_sel:BYTE_0 src1_sel:DWORD
	s_mov_b64 s[0:1], -1
                                        ; implicit-def: $sgpr10
	s_and_saveexec_b64 s[8:9], s[30:31]
; %bb.924:                              ;   in Loop: Header=BB294_562 Depth=1
	s_mov_b32 s10, 0x7fc02000
	s_xor_b64 s[0:1], exec, -1
; %bb.925:                              ;   in Loop: Header=BB294_562 Depth=1
	s_or_b64 exec, exec, s[8:9]
	s_and_b64 s[0:1], s[0:1], exec
	s_or_saveexec_b64 s[6:7], s[6:7]
	v_mov_b32_e32 v6, s10
	s_xor_b64 exec, exec, s[6:7]
	s_cbranch_execz .LBB294_657
.LBB294_926:                            ;   in Loop: Header=BB294_562 Depth=1
	v_cmp_ne_u16_sdwa s[8:9], v0, v1 src0_sel:BYTE_0 src1_sel:DWORD
	s_andn2_b64 s[0:1], s[0:1], exec
	s_and_b64 s[8:9], s[8:9], exec
	v_mov_b32_e32 v6, 0
	s_or_b64 s[0:1], s[0:1], s[8:9]
	s_or_b64 exec, exec, s[6:7]
	s_and_saveexec_b64 s[6:7], s[0:1]
	s_cbranch_execnz .LBB294_658
	s_branch .LBB294_659
.LBB294_927:                            ;   in Loop: Header=BB294_562 Depth=1
	v_cmp_eq_u16_e64 s[0:1], s15, v0
	s_mov_b64 s[6:7], -1
                                        ; implicit-def: $sgpr29
	s_and_saveexec_b64 s[10:11], s[0:1]
; %bb.928:                              ;   in Loop: Header=BB294_562 Depth=1
	s_mov_b32 s29, 0x7fc02000
	s_xor_b64 s[6:7], exec, -1
; %bb.929:                              ;   in Loop: Header=BB294_562 Depth=1
	s_or_b64 exec, exec, s[10:11]
	s_and_b64 s[6:7], s[6:7], exec
	s_or_saveexec_b64 s[8:9], s[8:9]
	v_mov_b32_e32 v15, s29
	s_xor_b64 exec, exec, s[8:9]
	s_cbranch_execz .LBB294_661
.LBB294_930:                            ;   in Loop: Header=BB294_562 Depth=1
	v_cmp_ne_u16_e64 s[0:1], 0, v0
	s_andn2_b64 s[6:7], s[6:7], exec
	s_and_b64 s[0:1], s[0:1], exec
	v_mov_b32_e32 v15, 0
	s_or_b64 s[6:7], s[6:7], s[0:1]
	s_or_b64 exec, exec, s[8:9]
	s_and_saveexec_b64 s[8:9], s[6:7]
	s_cbranch_execnz .LBB294_662
	s_branch .LBB294_663
.LBB294_931:                            ;   in Loop: Header=BB294_562 Depth=1
	v_cmp_eq_u16_sdwa s[30:31], v20, s15 src0_sel:BYTE_0 src1_sel:DWORD
	s_mov_b64 s[0:1], -1
                                        ; implicit-def: $sgpr10
	s_and_saveexec_b64 s[8:9], s[30:31]
; %bb.932:                              ;   in Loop: Header=BB294_562 Depth=1
	s_mov_b32 s10, 0x7fc02000
	s_xor_b64 s[0:1], exec, -1
; %bb.933:                              ;   in Loop: Header=BB294_562 Depth=1
	s_or_b64 exec, exec, s[8:9]
	s_and_b64 s[0:1], s[0:1], exec
	s_or_saveexec_b64 s[6:7], s[6:7]
	v_mov_b32_e32 v24, s10
	s_xor_b64 exec, exec, s[6:7]
	s_cbranch_execz .LBB294_667
.LBB294_934:                            ;   in Loop: Header=BB294_562 Depth=1
	v_cmp_ne_u16_sdwa s[8:9], v20, v1 src0_sel:BYTE_0 src1_sel:DWORD
	s_andn2_b64 s[0:1], s[0:1], exec
	s_and_b64 s[8:9], s[8:9], exec
	v_mov_b32_e32 v24, 0
	s_or_b64 s[0:1], s[0:1], s[8:9]
	s_or_b64 exec, exec, s[6:7]
	s_and_saveexec_b64 s[6:7], s[0:1]
	s_cbranch_execnz .LBB294_668
	s_branch .LBB294_669
.LBB294_935:                            ;   in Loop: Header=BB294_562 Depth=1
	v_cmp_eq_u16_e64 s[0:1], s15, v0
	s_mov_b64 s[6:7], -1
                                        ; implicit-def: $sgpr29
	s_and_saveexec_b64 s[10:11], s[0:1]
; %bb.936:                              ;   in Loop: Header=BB294_562 Depth=1
	s_mov_b32 s29, 0x7fc02000
	s_xor_b64 s[6:7], exec, -1
; %bb.937:                              ;   in Loop: Header=BB294_562 Depth=1
	s_or_b64 exec, exec, s[10:11]
	s_and_b64 s[6:7], s[6:7], exec
	s_or_saveexec_b64 s[8:9], s[8:9]
	v_mov_b32_e32 v28, s29
	s_xor_b64 exec, exec, s[8:9]
	s_cbranch_execz .LBB294_671
.LBB294_938:                            ;   in Loop: Header=BB294_562 Depth=1
	v_cmp_ne_u16_e64 s[0:1], 0, v0
	s_andn2_b64 s[6:7], s[6:7], exec
	s_and_b64 s[0:1], s[0:1], exec
	v_mov_b32_e32 v28, 0
	s_or_b64 s[6:7], s[6:7], s[0:1]
	s_or_b64 exec, exec, s[8:9]
	s_and_saveexec_b64 s[8:9], s[6:7]
	s_cbranch_execnz .LBB294_672
	s_branch .LBB294_673
.LBB294_939:                            ;   in Loop: Header=BB294_562 Depth=1
	v_cmp_eq_u16_sdwa s[30:31], v0, s15 src0_sel:BYTE_0 src1_sel:DWORD
	s_mov_b64 s[0:1], -1
                                        ; implicit-def: $sgpr10
	s_and_saveexec_b64 s[8:9], s[30:31]
; %bb.940:                              ;   in Loop: Header=BB294_562 Depth=1
	s_mov_b32 s10, 0x7fc02000
	s_xor_b64 s[0:1], exec, -1
; %bb.941:                              ;   in Loop: Header=BB294_562 Depth=1
	s_or_b64 exec, exec, s[8:9]
	s_and_b64 s[0:1], s[0:1], exec
	s_or_saveexec_b64 s[6:7], s[6:7]
	v_mov_b32_e32 v25, s10
	s_xor_b64 exec, exec, s[6:7]
	s_cbranch_execz .LBB294_675
.LBB294_942:                            ;   in Loop: Header=BB294_562 Depth=1
	v_cmp_ne_u16_sdwa s[8:9], v0, v1 src0_sel:BYTE_0 src1_sel:DWORD
	s_andn2_b64 s[0:1], s[0:1], exec
	s_and_b64 s[8:9], s[8:9], exec
	v_mov_b32_e32 v25, 0
	s_or_b64 s[0:1], s[0:1], s[8:9]
	s_or_b64 exec, exec, s[6:7]
	s_and_saveexec_b64 s[6:7], s[0:1]
	s_cbranch_execnz .LBB294_676
	s_branch .LBB294_677
.LBB294_943:                            ;   in Loop: Header=BB294_562 Depth=1
	v_cmp_eq_u16_e64 s[0:1], s15, v0
	s_mov_b64 s[6:7], -1
                                        ; implicit-def: $sgpr29
	s_and_saveexec_b64 s[10:11], s[0:1]
; %bb.944:                              ;   in Loop: Header=BB294_562 Depth=1
	s_mov_b32 s29, 0x7fc02000
	s_xor_b64 s[6:7], exec, -1
; %bb.945:                              ;   in Loop: Header=BB294_562 Depth=1
	s_or_b64 exec, exec, s[10:11]
	s_and_b64 s[6:7], s[6:7], exec
	s_or_saveexec_b64 s[8:9], s[8:9]
	v_mov_b32_e32 v29, s29
	s_xor_b64 exec, exec, s[8:9]
	s_cbranch_execz .LBB294_679
.LBB294_946:                            ;   in Loop: Header=BB294_562 Depth=1
	v_cmp_ne_u16_e64 s[0:1], 0, v0
	s_andn2_b64 s[6:7], s[6:7], exec
	s_and_b64 s[0:1], s[0:1], exec
	v_mov_b32_e32 v29, 0
	s_or_b64 s[6:7], s[6:7], s[0:1]
	s_or_b64 exec, exec, s[8:9]
	s_and_saveexec_b64 s[8:9], s[6:7]
	s_cbranch_execnz .LBB294_680
	s_branch .LBB294_681
.LBB294_947:                            ;   in Loop: Header=BB294_562 Depth=1
	v_cmp_eq_u16_sdwa s[30:31], v21, s15 src0_sel:BYTE_0 src1_sel:DWORD
	s_mov_b64 s[0:1], -1
                                        ; implicit-def: $sgpr10
	s_and_saveexec_b64 s[8:9], s[30:31]
; %bb.948:                              ;   in Loop: Header=BB294_562 Depth=1
	s_mov_b32 s10, 0x7fc02000
	s_xor_b64 s[0:1], exec, -1
; %bb.949:                              ;   in Loop: Header=BB294_562 Depth=1
	s_or_b64 exec, exec, s[8:9]
	s_and_b64 s[0:1], s[0:1], exec
	s_or_saveexec_b64 s[6:7], s[6:7]
	v_mov_b32_e32 v6, s10
	s_xor_b64 exec, exec, s[6:7]
	s_cbranch_execz .LBB294_683
.LBB294_950:                            ;   in Loop: Header=BB294_562 Depth=1
	v_cmp_ne_u16_sdwa s[8:9], v21, v1 src0_sel:BYTE_0 src1_sel:DWORD
	s_andn2_b64 s[0:1], s[0:1], exec
	s_and_b64 s[8:9], s[8:9], exec
	v_mov_b32_e32 v6, 0
	s_or_b64 s[0:1], s[0:1], s[8:9]
	s_or_b64 exec, exec, s[6:7]
	v_mov_b32_e32 v0, v21
	s_and_saveexec_b64 s[6:7], s[0:1]
	s_cbranch_execnz .LBB294_684
	s_branch .LBB294_685
.LBB294_951:                            ;   in Loop: Header=BB294_562 Depth=1
	v_cmp_eq_u16_e64 s[0:1], s15, v0
	s_mov_b64 s[6:7], -1
                                        ; implicit-def: $sgpr29
	s_and_saveexec_b64 s[10:11], s[0:1]
; %bb.952:                              ;   in Loop: Header=BB294_562 Depth=1
	s_mov_b32 s29, 0x7fc02000
	s_xor_b64 s[6:7], exec, -1
; %bb.953:                              ;   in Loop: Header=BB294_562 Depth=1
	s_or_b64 exec, exec, s[10:11]
	s_and_b64 s[6:7], s[6:7], exec
	s_or_saveexec_b64 s[8:9], s[8:9]
	v_mov_b32_e32 v7, s29
	s_xor_b64 exec, exec, s[8:9]
	s_cbranch_execz .LBB294_687
.LBB294_954:                            ;   in Loop: Header=BB294_562 Depth=1
	v_cmp_ne_u16_e64 s[0:1], 0, v0
	s_andn2_b64 s[6:7], s[6:7], exec
	s_and_b64 s[0:1], s[0:1], exec
	v_mov_b32_e32 v7, 0
	s_or_b64 s[6:7], s[6:7], s[0:1]
	s_or_b64 exec, exec, s[8:9]
	s_and_saveexec_b64 s[8:9], s[6:7]
	s_cbranch_execnz .LBB294_688
	s_branch .LBB294_689
.LBB294_955:                            ;   in Loop: Header=BB294_562 Depth=1
	v_cmp_eq_u16_sdwa s[30:31], v0, s15 src0_sel:BYTE_0 src1_sel:DWORD
	s_mov_b64 s[0:1], -1
                                        ; implicit-def: $sgpr10
	s_and_saveexec_b64 s[8:9], s[30:31]
; %bb.956:                              ;   in Loop: Header=BB294_562 Depth=1
	s_mov_b32 s10, 0x7fc02000
	s_xor_b64 s[0:1], exec, -1
; %bb.957:                              ;   in Loop: Header=BB294_562 Depth=1
	s_or_b64 exec, exec, s[8:9]
	s_and_b64 s[0:1], s[0:1], exec
	s_or_saveexec_b64 s[6:7], s[6:7]
	v_mov_b32_e32 v15, s10
	s_xor_b64 exec, exec, s[6:7]
	s_cbranch_execz .LBB294_691
.LBB294_958:                            ;   in Loop: Header=BB294_562 Depth=1
	v_cmp_ne_u16_sdwa s[8:9], v0, v1 src0_sel:BYTE_0 src1_sel:DWORD
	s_andn2_b64 s[0:1], s[0:1], exec
	s_and_b64 s[8:9], s[8:9], exec
	v_mov_b32_e32 v15, 0
	s_or_b64 s[0:1], s[0:1], s[8:9]
	s_or_b64 exec, exec, s[6:7]
	s_and_saveexec_b64 s[6:7], s[0:1]
	s_cbranch_execnz .LBB294_692
	s_branch .LBB294_693
.LBB294_959:                            ;   in Loop: Header=BB294_562 Depth=1
	v_cmp_eq_u16_e64 s[0:1], s15, v0
	s_mov_b64 s[6:7], -1
                                        ; implicit-def: $sgpr29
	s_and_saveexec_b64 s[10:11], s[0:1]
; %bb.960:                              ;   in Loop: Header=BB294_562 Depth=1
	s_mov_b32 s29, 0x7fc02000
	s_xor_b64 s[6:7], exec, -1
; %bb.961:                              ;   in Loop: Header=BB294_562 Depth=1
	s_or_b64 exec, exec, s[10:11]
	s_and_b64 s[6:7], s[6:7], exec
	s_or_saveexec_b64 s[8:9], s[8:9]
	v_mov_b32_e32 v18, s29
	s_xor_b64 exec, exec, s[8:9]
	s_cbranch_execz .LBB294_695
.LBB294_962:                            ;   in Loop: Header=BB294_562 Depth=1
	v_cmp_ne_u16_e64 s[0:1], 0, v0
	s_andn2_b64 s[6:7], s[6:7], exec
	s_and_b64 s[0:1], s[0:1], exec
	v_mov_b32_e32 v18, 0
	s_or_b64 s[6:7], s[6:7], s[0:1]
	s_or_b64 exec, exec, s[8:9]
	s_and_saveexec_b64 s[8:9], s[6:7]
	s_cbranch_execnz .LBB294_696
	s_branch .LBB294_697
.LBB294_963:                            ;   in Loop: Header=BB294_562 Depth=1
	v_cmp_eq_u16_sdwa s[30:31], v20, s15 src0_sel:BYTE_0 src1_sel:DWORD
	s_mov_b64 s[0:1], -1
                                        ; implicit-def: $sgpr10
	s_and_saveexec_b64 s[8:9], s[30:31]
; %bb.964:                              ;   in Loop: Header=BB294_562 Depth=1
	s_mov_b32 s10, 0x7fc02000
	s_xor_b64 s[0:1], exec, -1
; %bb.965:                              ;   in Loop: Header=BB294_562 Depth=1
	s_or_b64 exec, exec, s[8:9]
	s_and_b64 s[0:1], s[0:1], exec
	s_or_saveexec_b64 s[6:7], s[6:7]
	v_mov_b32_e32 v24, s10
	s_xor_b64 exec, exec, s[6:7]
	s_cbranch_execz .LBB294_701
.LBB294_966:                            ;   in Loop: Header=BB294_562 Depth=1
	v_cmp_ne_u16_sdwa s[8:9], v20, v1 src0_sel:BYTE_0 src1_sel:DWORD
	s_andn2_b64 s[0:1], s[0:1], exec
	s_and_b64 s[8:9], s[8:9], exec
	v_mov_b32_e32 v24, 0
	s_or_b64 s[0:1], s[0:1], s[8:9]
	s_or_b64 exec, exec, s[6:7]
	s_and_saveexec_b64 s[6:7], s[0:1]
	s_cbranch_execnz .LBB294_702
	s_branch .LBB294_703
.LBB294_967:                            ;   in Loop: Header=BB294_562 Depth=1
	v_cmp_eq_u16_e64 s[0:1], s15, v0
	s_mov_b64 s[6:7], -1
                                        ; implicit-def: $sgpr29
	s_and_saveexec_b64 s[10:11], s[0:1]
; %bb.968:                              ;   in Loop: Header=BB294_562 Depth=1
	s_mov_b32 s29, 0x7fc02000
	s_xor_b64 s[6:7], exec, -1
; %bb.969:                              ;   in Loop: Header=BB294_562 Depth=1
	s_or_b64 exec, exec, s[10:11]
	s_and_b64 s[6:7], s[6:7], exec
	s_or_saveexec_b64 s[8:9], s[8:9]
	v_mov_b32_e32 v28, s29
	s_xor_b64 exec, exec, s[8:9]
	s_cbranch_execz .LBB294_705
.LBB294_970:                            ;   in Loop: Header=BB294_562 Depth=1
	v_cmp_ne_u16_e64 s[0:1], 0, v0
	s_andn2_b64 s[6:7], s[6:7], exec
	s_and_b64 s[0:1], s[0:1], exec
	v_mov_b32_e32 v28, 0
	s_or_b64 s[6:7], s[6:7], s[0:1]
	s_or_b64 exec, exec, s[8:9]
	s_and_saveexec_b64 s[8:9], s[6:7]
	s_cbranch_execnz .LBB294_706
	s_branch .LBB294_707
.LBB294_971:                            ;   in Loop: Header=BB294_562 Depth=1
	v_cmp_eq_u16_sdwa s[30:31], v0, s15 src0_sel:BYTE_0 src1_sel:DWORD
	s_mov_b64 s[0:1], -1
                                        ; implicit-def: $sgpr10
	s_and_saveexec_b64 s[8:9], s[30:31]
; %bb.972:                              ;   in Loop: Header=BB294_562 Depth=1
	s_mov_b32 s10, 0x7fc02000
	s_xor_b64 s[0:1], exec, -1
; %bb.973:                              ;   in Loop: Header=BB294_562 Depth=1
	s_or_b64 exec, exec, s[8:9]
	s_and_b64 s[0:1], s[0:1], exec
	s_or_saveexec_b64 s[6:7], s[6:7]
	v_mov_b32_e32 v25, s10
	s_xor_b64 exec, exec, s[6:7]
	s_cbranch_execz .LBB294_709
.LBB294_974:                            ;   in Loop: Header=BB294_562 Depth=1
	v_cmp_ne_u16_sdwa s[8:9], v0, v1 src0_sel:BYTE_0 src1_sel:DWORD
	s_andn2_b64 s[0:1], s[0:1], exec
	s_and_b64 s[8:9], s[8:9], exec
	v_mov_b32_e32 v25, 0
	s_or_b64 s[0:1], s[0:1], s[8:9]
	s_or_b64 exec, exec, s[6:7]
	s_and_saveexec_b64 s[6:7], s[0:1]
	s_cbranch_execnz .LBB294_710
	s_branch .LBB294_711
.LBB294_975:                            ;   in Loop: Header=BB294_562 Depth=1
	v_cmp_eq_u16_e64 s[0:1], s15, v0
	s_mov_b64 s[6:7], -1
                                        ; implicit-def: $sgpr29
	s_and_saveexec_b64 s[10:11], s[0:1]
; %bb.976:                              ;   in Loop: Header=BB294_562 Depth=1
	s_mov_b32 s29, 0x7fc02000
	s_xor_b64 s[6:7], exec, -1
; %bb.977:                              ;   in Loop: Header=BB294_562 Depth=1
	s_or_b64 exec, exec, s[10:11]
	s_and_b64 s[6:7], s[6:7], exec
	s_or_saveexec_b64 s[8:9], s[8:9]
	v_mov_b32_e32 v29, s29
	s_xor_b64 exec, exec, s[8:9]
	s_cbranch_execz .LBB294_713
.LBB294_978:                            ;   in Loop: Header=BB294_562 Depth=1
	v_cmp_ne_u16_e64 s[0:1], 0, v0
	s_andn2_b64 s[6:7], s[6:7], exec
	s_and_b64 s[0:1], s[0:1], exec
	v_mov_b32_e32 v29, 0
	s_or_b64 s[6:7], s[6:7], s[0:1]
	s_or_b64 exec, exec, s[8:9]
	s_and_saveexec_b64 s[8:9], s[6:7]
	s_cbranch_execnz .LBB294_714
	s_branch .LBB294_715
.LBB294_979:                            ;   in Loop: Header=BB294_562 Depth=1
	v_cmp_eq_u16_sdwa s[30:31], v21, s15 src0_sel:BYTE_0 src1_sel:DWORD
	s_mov_b64 s[0:1], -1
                                        ; implicit-def: $sgpr10
	s_and_saveexec_b64 s[8:9], s[30:31]
; %bb.980:                              ;   in Loop: Header=BB294_562 Depth=1
	s_mov_b32 s10, 0x7fc02000
	s_xor_b64 s[0:1], exec, -1
; %bb.981:                              ;   in Loop: Header=BB294_562 Depth=1
	s_or_b64 exec, exec, s[8:9]
	s_and_b64 s[0:1], s[0:1], exec
	s_or_saveexec_b64 s[6:7], s[6:7]
	v_mov_b32_e32 v6, s10
	s_xor_b64 exec, exec, s[6:7]
	s_cbranch_execz .LBB294_717
.LBB294_982:                            ;   in Loop: Header=BB294_562 Depth=1
	v_cmp_ne_u16_sdwa s[8:9], v21, v1 src0_sel:BYTE_0 src1_sel:DWORD
	s_andn2_b64 s[0:1], s[0:1], exec
	s_and_b64 s[8:9], s[8:9], exec
	v_mov_b32_e32 v6, 0
	s_or_b64 s[0:1], s[0:1], s[8:9]
	s_or_b64 exec, exec, s[6:7]
	v_mov_b32_e32 v0, v21
	s_and_saveexec_b64 s[6:7], s[0:1]
	s_cbranch_execnz .LBB294_718
	s_branch .LBB294_719
.LBB294_983:                            ;   in Loop: Header=BB294_562 Depth=1
	v_cmp_eq_u16_e64 s[0:1], s15, v0
	s_mov_b64 s[6:7], -1
                                        ; implicit-def: $sgpr29
	s_and_saveexec_b64 s[10:11], s[0:1]
; %bb.984:                              ;   in Loop: Header=BB294_562 Depth=1
	s_mov_b32 s29, 0x7fc02000
	s_xor_b64 s[6:7], exec, -1
; %bb.985:                              ;   in Loop: Header=BB294_562 Depth=1
	s_or_b64 exec, exec, s[10:11]
	s_and_b64 s[6:7], s[6:7], exec
	s_or_saveexec_b64 s[8:9], s[8:9]
	v_mov_b32_e32 v7, s29
	s_xor_b64 exec, exec, s[8:9]
	s_cbranch_execz .LBB294_721
.LBB294_986:                            ;   in Loop: Header=BB294_562 Depth=1
	v_cmp_ne_u16_e64 s[0:1], 0, v0
	s_andn2_b64 s[6:7], s[6:7], exec
	s_and_b64 s[0:1], s[0:1], exec
	v_mov_b32_e32 v7, 0
	s_or_b64 s[6:7], s[6:7], s[0:1]
	s_or_b64 exec, exec, s[8:9]
	s_and_saveexec_b64 s[8:9], s[6:7]
	s_cbranch_execnz .LBB294_722
	s_branch .LBB294_723
.LBB294_987:                            ;   in Loop: Header=BB294_562 Depth=1
	v_cmp_eq_u16_sdwa s[30:31], v0, s15 src0_sel:BYTE_0 src1_sel:DWORD
	s_mov_b64 s[0:1], -1
                                        ; implicit-def: $sgpr10
	s_and_saveexec_b64 s[8:9], s[30:31]
; %bb.988:                              ;   in Loop: Header=BB294_562 Depth=1
	s_mov_b32 s10, 0x7fc02000
	s_xor_b64 s[0:1], exec, -1
; %bb.989:                              ;   in Loop: Header=BB294_562 Depth=1
	s_or_b64 exec, exec, s[8:9]
	s_and_b64 s[0:1], s[0:1], exec
	s_or_saveexec_b64 s[6:7], s[6:7]
	v_mov_b32_e32 v15, s10
	s_xor_b64 exec, exec, s[6:7]
	s_cbranch_execz .LBB294_725
.LBB294_990:                            ;   in Loop: Header=BB294_562 Depth=1
	v_cmp_ne_u16_sdwa s[8:9], v0, v1 src0_sel:BYTE_0 src1_sel:DWORD
	s_andn2_b64 s[0:1], s[0:1], exec
	s_and_b64 s[8:9], s[8:9], exec
	v_mov_b32_e32 v15, 0
	s_or_b64 s[0:1], s[0:1], s[8:9]
	s_or_b64 exec, exec, s[6:7]
	s_and_saveexec_b64 s[6:7], s[0:1]
	s_cbranch_execnz .LBB294_726
	s_branch .LBB294_727
.LBB294_991:                            ;   in Loop: Header=BB294_562 Depth=1
	v_cmp_eq_u16_e64 s[0:1], s15, v0
	s_mov_b64 s[6:7], -1
                                        ; implicit-def: $sgpr29
	s_and_saveexec_b64 s[10:11], s[0:1]
; %bb.992:                              ;   in Loop: Header=BB294_562 Depth=1
	s_mov_b32 s29, 0x7fc02000
	s_xor_b64 s[6:7], exec, -1
; %bb.993:                              ;   in Loop: Header=BB294_562 Depth=1
	s_or_b64 exec, exec, s[10:11]
	s_and_b64 s[6:7], s[6:7], exec
	s_or_saveexec_b64 s[8:9], s[8:9]
	v_mov_b32_e32 v18, s29
	s_xor_b64 exec, exec, s[8:9]
	s_cbranch_execz .LBB294_729
.LBB294_994:                            ;   in Loop: Header=BB294_562 Depth=1
	v_cmp_ne_u16_e64 s[0:1], 0, v0
	s_andn2_b64 s[6:7], s[6:7], exec
	s_and_b64 s[0:1], s[0:1], exec
	v_mov_b32_e32 v18, 0
	s_or_b64 s[6:7], s[6:7], s[0:1]
	s_or_b64 exec, exec, s[8:9]
	s_and_saveexec_b64 s[8:9], s[6:7]
	s_cbranch_execnz .LBB294_730
	s_branch .LBB294_731
.LBB294_995:                            ;   in Loop: Header=BB294_562 Depth=1
	v_cmp_eq_u16_sdwa s[30:31], v20, s15 src0_sel:BYTE_0 src1_sel:DWORD
	s_mov_b64 s[0:1], -1
                                        ; implicit-def: $sgpr10
	s_and_saveexec_b64 s[8:9], s[30:31]
; %bb.996:                              ;   in Loop: Header=BB294_562 Depth=1
	s_mov_b32 s10, 0x7fc02000
	s_xor_b64 s[0:1], exec, -1
; %bb.997:                              ;   in Loop: Header=BB294_562 Depth=1
	s_or_b64 exec, exec, s[8:9]
	s_and_b64 s[0:1], s[0:1], exec
	s_or_saveexec_b64 s[6:7], s[6:7]
	v_mov_b32_e32 v24, s10
	s_xor_b64 exec, exec, s[6:7]
	s_cbranch_execz .LBB294_735
.LBB294_998:                            ;   in Loop: Header=BB294_562 Depth=1
	v_cmp_ne_u16_sdwa s[8:9], v20, v1 src0_sel:BYTE_0 src1_sel:DWORD
	s_andn2_b64 s[0:1], s[0:1], exec
	s_and_b64 s[8:9], s[8:9], exec
	v_mov_b32_e32 v24, 0
	s_or_b64 s[0:1], s[0:1], s[8:9]
	s_or_b64 exec, exec, s[6:7]
	s_and_saveexec_b64 s[6:7], s[0:1]
	s_cbranch_execnz .LBB294_736
	s_branch .LBB294_737
.LBB294_999:                            ;   in Loop: Header=BB294_562 Depth=1
	v_cmp_eq_u16_e64 s[0:1], s15, v0
	s_mov_b64 s[6:7], -1
                                        ; implicit-def: $sgpr29
	s_and_saveexec_b64 s[10:11], s[0:1]
; %bb.1000:                             ;   in Loop: Header=BB294_562 Depth=1
	s_mov_b32 s29, 0x7fc02000
	s_xor_b64 s[6:7], exec, -1
; %bb.1001:                             ;   in Loop: Header=BB294_562 Depth=1
	s_or_b64 exec, exec, s[10:11]
	s_and_b64 s[6:7], s[6:7], exec
	s_or_saveexec_b64 s[8:9], s[8:9]
	v_mov_b32_e32 v28, s29
	s_xor_b64 exec, exec, s[8:9]
	s_cbranch_execz .LBB294_739
.LBB294_1002:                           ;   in Loop: Header=BB294_562 Depth=1
	v_cmp_ne_u16_e64 s[0:1], 0, v0
	s_andn2_b64 s[6:7], s[6:7], exec
	s_and_b64 s[0:1], s[0:1], exec
	v_mov_b32_e32 v28, 0
	s_or_b64 s[6:7], s[6:7], s[0:1]
	s_or_b64 exec, exec, s[8:9]
	s_and_saveexec_b64 s[8:9], s[6:7]
	s_cbranch_execnz .LBB294_740
	s_branch .LBB294_741
.LBB294_1003:                           ;   in Loop: Header=BB294_562 Depth=1
	v_cmp_eq_u16_sdwa s[30:31], v0, s15 src0_sel:BYTE_0 src1_sel:DWORD
	s_mov_b64 s[0:1], -1
                                        ; implicit-def: $sgpr10
	s_and_saveexec_b64 s[8:9], s[30:31]
; %bb.1004:                             ;   in Loop: Header=BB294_562 Depth=1
	s_mov_b32 s10, 0x7fc02000
	s_xor_b64 s[0:1], exec, -1
; %bb.1005:                             ;   in Loop: Header=BB294_562 Depth=1
	s_or_b64 exec, exec, s[8:9]
	s_and_b64 s[0:1], s[0:1], exec
	s_or_saveexec_b64 s[6:7], s[6:7]
	v_mov_b32_e32 v25, s10
	s_xor_b64 exec, exec, s[6:7]
	s_cbranch_execz .LBB294_743
.LBB294_1006:                           ;   in Loop: Header=BB294_562 Depth=1
	v_cmp_ne_u16_sdwa s[8:9], v0, v1 src0_sel:BYTE_0 src1_sel:DWORD
	s_andn2_b64 s[0:1], s[0:1], exec
	s_and_b64 s[8:9], s[8:9], exec
	v_mov_b32_e32 v25, 0
	s_or_b64 s[0:1], s[0:1], s[8:9]
	s_or_b64 exec, exec, s[6:7]
	s_and_saveexec_b64 s[6:7], s[0:1]
	s_cbranch_execnz .LBB294_744
	s_branch .LBB294_745
.LBB294_1007:                           ;   in Loop: Header=BB294_562 Depth=1
	v_cmp_eq_u16_e64 s[0:1], s15, v0
	s_mov_b64 s[6:7], -1
                                        ; implicit-def: $sgpr29
	s_and_saveexec_b64 s[10:11], s[0:1]
; %bb.1008:                             ;   in Loop: Header=BB294_562 Depth=1
	s_mov_b32 s29, 0x7fc02000
	s_xor_b64 s[6:7], exec, -1
; %bb.1009:                             ;   in Loop: Header=BB294_562 Depth=1
	s_or_b64 exec, exec, s[10:11]
	s_and_b64 s[6:7], s[6:7], exec
	s_or_saveexec_b64 s[8:9], s[8:9]
	v_mov_b32_e32 v29, s29
	s_xor_b64 exec, exec, s[8:9]
	s_cbranch_execz .LBB294_747
.LBB294_1010:                           ;   in Loop: Header=BB294_562 Depth=1
	v_cmp_ne_u16_e64 s[0:1], 0, v0
	s_andn2_b64 s[6:7], s[6:7], exec
	s_and_b64 s[0:1], s[0:1], exec
	v_mov_b32_e32 v29, 0
	s_or_b64 s[6:7], s[6:7], s[0:1]
	s_or_b64 exec, exec, s[8:9]
	s_and_saveexec_b64 s[8:9], s[6:7]
	s_cbranch_execnz .LBB294_748
	s_branch .LBB294_749
.LBB294_1011:                           ;   in Loop: Header=BB294_562 Depth=1
	v_cmp_eq_u16_sdwa s[30:31], v21, s15 src0_sel:BYTE_0 src1_sel:DWORD
	s_mov_b64 s[0:1], -1
                                        ; implicit-def: $sgpr10
	s_and_saveexec_b64 s[8:9], s[30:31]
; %bb.1012:                             ;   in Loop: Header=BB294_562 Depth=1
	s_mov_b32 s10, 0x7fc02000
	s_xor_b64 s[0:1], exec, -1
; %bb.1013:                             ;   in Loop: Header=BB294_562 Depth=1
	s_or_b64 exec, exec, s[8:9]
	s_and_b64 s[0:1], s[0:1], exec
	s_or_saveexec_b64 s[6:7], s[6:7]
	v_mov_b32_e32 v6, s10
	s_xor_b64 exec, exec, s[6:7]
	s_cbranch_execz .LBB294_751
.LBB294_1014:                           ;   in Loop: Header=BB294_562 Depth=1
	v_cmp_ne_u16_sdwa s[8:9], v21, v1 src0_sel:BYTE_0 src1_sel:DWORD
	s_andn2_b64 s[0:1], s[0:1], exec
	s_and_b64 s[8:9], s[8:9], exec
	v_mov_b32_e32 v6, 0
	s_or_b64 s[0:1], s[0:1], s[8:9]
	s_or_b64 exec, exec, s[6:7]
	v_mov_b32_e32 v0, v21
	s_and_saveexec_b64 s[6:7], s[0:1]
	s_cbranch_execnz .LBB294_752
	s_branch .LBB294_753
.LBB294_1015:                           ;   in Loop: Header=BB294_562 Depth=1
	v_cmp_eq_u16_e64 s[0:1], s15, v0
	s_mov_b64 s[6:7], -1
                                        ; implicit-def: $sgpr29
	s_and_saveexec_b64 s[10:11], s[0:1]
; %bb.1016:                             ;   in Loop: Header=BB294_562 Depth=1
	s_mov_b32 s29, 0x7fc02000
	s_xor_b64 s[6:7], exec, -1
; %bb.1017:                             ;   in Loop: Header=BB294_562 Depth=1
	s_or_b64 exec, exec, s[10:11]
	s_and_b64 s[6:7], s[6:7], exec
	s_or_saveexec_b64 s[8:9], s[8:9]
	v_mov_b32_e32 v15, s29
	s_xor_b64 exec, exec, s[8:9]
	s_cbranch_execz .LBB294_755
.LBB294_1018:                           ;   in Loop: Header=BB294_562 Depth=1
	v_cmp_ne_u16_e64 s[0:1], 0, v0
	s_andn2_b64 s[6:7], s[6:7], exec
	s_and_b64 s[0:1], s[0:1], exec
	v_mov_b32_e32 v15, 0
	s_or_b64 s[6:7], s[6:7], s[0:1]
	s_or_b64 exec, exec, s[8:9]
	s_and_saveexec_b64 s[8:9], s[6:7]
	s_cbranch_execnz .LBB294_756
	s_branch .LBB294_757
.LBB294_1019:                           ;   in Loop: Header=BB294_562 Depth=1
	v_cmp_eq_u16_sdwa s[30:31], v0, s15 src0_sel:BYTE_0 src1_sel:DWORD
	s_mov_b64 s[0:1], -1
                                        ; implicit-def: $sgpr10
	s_and_saveexec_b64 s[8:9], s[30:31]
; %bb.1020:                             ;   in Loop: Header=BB294_562 Depth=1
	s_mov_b32 s10, 0x7fc02000
	s_xor_b64 s[0:1], exec, -1
; %bb.1021:                             ;   in Loop: Header=BB294_562 Depth=1
	s_or_b64 exec, exec, s[8:9]
	s_and_b64 s[0:1], s[0:1], exec
	s_or_saveexec_b64 s[6:7], s[6:7]
	v_mov_b32_e32 v16, s10
	s_xor_b64 exec, exec, s[6:7]
	s_cbranch_execz .LBB294_759
.LBB294_1022:                           ;   in Loop: Header=BB294_562 Depth=1
	v_cmp_ne_u16_sdwa s[8:9], v0, v1 src0_sel:BYTE_0 src1_sel:DWORD
	s_andn2_b64 s[0:1], s[0:1], exec
	s_and_b64 s[8:9], s[8:9], exec
	v_mov_b32_e32 v16, 0
	s_or_b64 s[0:1], s[0:1], s[8:9]
	s_or_b64 exec, exec, s[6:7]
	s_and_saveexec_b64 s[6:7], s[0:1]
	s_cbranch_execnz .LBB294_760
	s_branch .LBB294_761
.LBB294_1023:                           ;   in Loop: Header=BB294_562 Depth=1
	v_cmp_eq_u16_e64 s[0:1], s15, v0
	s_mov_b64 s[6:7], -1
                                        ; implicit-def: $sgpr29
	s_and_saveexec_b64 s[10:11], s[0:1]
; %bb.1024:                             ;   in Loop: Header=BB294_562 Depth=1
	s_mov_b32 s29, 0x7fc02000
	s_xor_b64 s[6:7], exec, -1
; %bb.1025:                             ;   in Loop: Header=BB294_562 Depth=1
	s_or_b64 exec, exec, s[10:11]
	s_and_b64 s[6:7], s[6:7], exec
	s_or_saveexec_b64 s[8:9], s[8:9]
	v_mov_b32_e32 v20, s29
	s_xor_b64 exec, exec, s[8:9]
	s_cbranch_execz .LBB294_763
.LBB294_1026:                           ;   in Loop: Header=BB294_562 Depth=1
	v_cmp_ne_u16_e64 s[0:1], 0, v0
	s_andn2_b64 s[6:7], s[6:7], exec
	s_and_b64 s[0:1], s[0:1], exec
	v_mov_b32_e32 v20, 0
	s_or_b64 s[6:7], s[6:7], s[0:1]
	s_or_b64 exec, exec, s[8:9]
	s_and_saveexec_b64 s[8:9], s[6:7]
	s_cbranch_execnz .LBB294_764
	s_branch .LBB294_765
.LBB294_1027:                           ;   in Loop: Header=BB294_562 Depth=1
	v_cmp_eq_u16_sdwa s[30:31], v20, s15 src0_sel:BYTE_0 src1_sel:DWORD
	s_mov_b64 s[0:1], -1
                                        ; implicit-def: $sgpr10
	s_and_saveexec_b64 s[8:9], s[30:31]
; %bb.1028:                             ;   in Loop: Header=BB294_562 Depth=1
	s_mov_b32 s10, 0x7fc02000
	s_xor_b64 s[0:1], exec, -1
; %bb.1029:                             ;   in Loop: Header=BB294_562 Depth=1
	s_or_b64 exec, exec, s[8:9]
	s_and_b64 s[0:1], s[0:1], exec
	s_or_saveexec_b64 s[6:7], s[6:7]
	v_mov_b32_e32 v24, s10
	s_xor_b64 exec, exec, s[6:7]
	s_cbranch_execz .LBB294_769
.LBB294_1030:                           ;   in Loop: Header=BB294_562 Depth=1
	v_cmp_ne_u16_sdwa s[8:9], v20, v1 src0_sel:BYTE_0 src1_sel:DWORD
	s_andn2_b64 s[0:1], s[0:1], exec
	s_and_b64 s[8:9], s[8:9], exec
	v_mov_b32_e32 v24, 0
	s_or_b64 s[0:1], s[0:1], s[8:9]
	s_or_b64 exec, exec, s[6:7]
	s_and_saveexec_b64 s[6:7], s[0:1]
	s_cbranch_execnz .LBB294_770
	s_branch .LBB294_771
.LBB294_1031:                           ;   in Loop: Header=BB294_562 Depth=1
	v_cmp_eq_u16_e64 s[0:1], s15, v0
	s_mov_b64 s[6:7], -1
                                        ; implicit-def: $sgpr29
	s_and_saveexec_b64 s[10:11], s[0:1]
; %bb.1032:                             ;   in Loop: Header=BB294_562 Depth=1
	s_mov_b32 s29, 0x7fc02000
	s_xor_b64 s[6:7], exec, -1
; %bb.1033:                             ;   in Loop: Header=BB294_562 Depth=1
	s_or_b64 exec, exec, s[10:11]
	s_and_b64 s[6:7], s[6:7], exec
	s_or_saveexec_b64 s[8:9], s[8:9]
	v_mov_b32_e32 v28, s29
	s_xor_b64 exec, exec, s[8:9]
	s_cbranch_execz .LBB294_773
.LBB294_1034:                           ;   in Loop: Header=BB294_562 Depth=1
	v_cmp_ne_u16_e64 s[0:1], 0, v0
	s_andn2_b64 s[6:7], s[6:7], exec
	s_and_b64 s[0:1], s[0:1], exec
	v_mov_b32_e32 v28, 0
	s_or_b64 s[6:7], s[6:7], s[0:1]
	s_or_b64 exec, exec, s[8:9]
	s_and_saveexec_b64 s[8:9], s[6:7]
	s_cbranch_execnz .LBB294_774
	s_branch .LBB294_775
.LBB294_1035:                           ;   in Loop: Header=BB294_562 Depth=1
	v_cmp_eq_u16_sdwa s[30:31], v0, s15 src0_sel:BYTE_0 src1_sel:DWORD
	s_mov_b64 s[0:1], -1
                                        ; implicit-def: $sgpr10
	s_and_saveexec_b64 s[8:9], s[30:31]
; %bb.1036:                             ;   in Loop: Header=BB294_562 Depth=1
	s_mov_b32 s10, 0x7fc02000
	s_xor_b64 s[0:1], exec, -1
; %bb.1037:                             ;   in Loop: Header=BB294_562 Depth=1
	s_or_b64 exec, exec, s[8:9]
	s_and_b64 s[0:1], s[0:1], exec
	s_or_saveexec_b64 s[6:7], s[6:7]
	v_mov_b32_e32 v25, s10
	s_xor_b64 exec, exec, s[6:7]
	s_cbranch_execz .LBB294_777
.LBB294_1038:                           ;   in Loop: Header=BB294_562 Depth=1
	v_cmp_ne_u16_sdwa s[8:9], v0, v1 src0_sel:BYTE_0 src1_sel:DWORD
	s_andn2_b64 s[0:1], s[0:1], exec
	s_and_b64 s[8:9], s[8:9], exec
	v_mov_b32_e32 v25, 0
	s_or_b64 s[0:1], s[0:1], s[8:9]
	s_or_b64 exec, exec, s[6:7]
	s_and_saveexec_b64 s[6:7], s[0:1]
	s_cbranch_execnz .LBB294_778
	s_branch .LBB294_779
.LBB294_1039:                           ;   in Loop: Header=BB294_562 Depth=1
	v_cmp_eq_u16_e64 s[0:1], s15, v0
	s_mov_b64 s[6:7], -1
                                        ; implicit-def: $sgpr29
	s_and_saveexec_b64 s[10:11], s[0:1]
; %bb.1040:                             ;   in Loop: Header=BB294_562 Depth=1
	s_mov_b32 s29, 0x7fc02000
	s_xor_b64 s[6:7], exec, -1
; %bb.1041:                             ;   in Loop: Header=BB294_562 Depth=1
	s_or_b64 exec, exec, s[10:11]
	s_and_b64 s[6:7], s[6:7], exec
	s_or_saveexec_b64 s[8:9], s[8:9]
	v_mov_b32_e32 v29, s29
	s_xor_b64 exec, exec, s[8:9]
	s_cbranch_execz .LBB294_781
.LBB294_1042:                           ;   in Loop: Header=BB294_562 Depth=1
	v_cmp_ne_u16_e64 s[0:1], 0, v0
	s_andn2_b64 s[6:7], s[6:7], exec
	s_and_b64 s[0:1], s[0:1], exec
	v_mov_b32_e32 v29, 0
	s_or_b64 s[6:7], s[6:7], s[0:1]
	s_or_b64 exec, exec, s[8:9]
	s_and_saveexec_b64 s[8:9], s[6:7]
	s_cbranch_execnz .LBB294_782
	s_branch .LBB294_783
.LBB294_1043:                           ;   in Loop: Header=BB294_562 Depth=1
	v_cmp_eq_u16_sdwa s[30:31], v21, s15 src0_sel:BYTE_0 src1_sel:DWORD
	s_mov_b64 s[0:1], -1
                                        ; implicit-def: $sgpr10
	s_and_saveexec_b64 s[8:9], s[30:31]
; %bb.1044:                             ;   in Loop: Header=BB294_562 Depth=1
	s_mov_b32 s10, 0x7fc02000
	s_xor_b64 s[0:1], exec, -1
; %bb.1045:                             ;   in Loop: Header=BB294_562 Depth=1
	s_or_b64 exec, exec, s[8:9]
	s_and_b64 s[0:1], s[0:1], exec
	s_or_saveexec_b64 s[6:7], s[6:7]
	v_mov_b32_e32 v15, s10
	s_xor_b64 exec, exec, s[6:7]
	s_cbranch_execz .LBB294_785
.LBB294_1046:                           ;   in Loop: Header=BB294_562 Depth=1
	v_cmp_ne_u16_sdwa s[8:9], v21, v1 src0_sel:BYTE_0 src1_sel:DWORD
	s_andn2_b64 s[0:1], s[0:1], exec
	s_and_b64 s[8:9], s[8:9], exec
	v_mov_b32_e32 v15, 0
	s_or_b64 s[0:1], s[0:1], s[8:9]
	s_or_b64 exec, exec, s[6:7]
	v_mov_b32_e32 v0, v21
	s_and_saveexec_b64 s[6:7], s[0:1]
	s_cbranch_execnz .LBB294_786
	s_branch .LBB294_787
.LBB294_1047:                           ;   in Loop: Header=BB294_562 Depth=1
	v_cmp_eq_u16_e64 s[0:1], s15, v0
	s_mov_b64 s[6:7], -1
                                        ; implicit-def: $sgpr29
	s_and_saveexec_b64 s[10:11], s[0:1]
; %bb.1048:                             ;   in Loop: Header=BB294_562 Depth=1
	s_mov_b32 s29, 0x7fc02000
	s_xor_b64 s[6:7], exec, -1
; %bb.1049:                             ;   in Loop: Header=BB294_562 Depth=1
	s_or_b64 exec, exec, s[10:11]
	s_and_b64 s[6:7], s[6:7], exec
	s_or_saveexec_b64 s[8:9], s[8:9]
	v_mov_b32_e32 v16, s29
	s_xor_b64 exec, exec, s[8:9]
	s_cbranch_execz .LBB294_789
.LBB294_1050:                           ;   in Loop: Header=BB294_562 Depth=1
	v_cmp_ne_u16_e64 s[0:1], 0, v0
	s_andn2_b64 s[6:7], s[6:7], exec
	s_and_b64 s[0:1], s[0:1], exec
	v_mov_b32_e32 v16, 0
	s_or_b64 s[6:7], s[6:7], s[0:1]
	s_or_b64 exec, exec, s[8:9]
	s_and_saveexec_b64 s[8:9], s[6:7]
	s_cbranch_execnz .LBB294_790
	s_branch .LBB294_791
.LBB294_1051:                           ;   in Loop: Header=BB294_562 Depth=1
	v_cmp_eq_u16_sdwa s[30:31], v0, s15 src0_sel:BYTE_0 src1_sel:DWORD
	s_mov_b64 s[0:1], -1
                                        ; implicit-def: $sgpr10
	s_and_saveexec_b64 s[8:9], s[30:31]
; %bb.1052:                             ;   in Loop: Header=BB294_562 Depth=1
	s_mov_b32 s10, 0x7fc02000
	s_xor_b64 s[0:1], exec, -1
; %bb.1053:                             ;   in Loop: Header=BB294_562 Depth=1
	s_or_b64 exec, exec, s[8:9]
	s_and_b64 s[0:1], s[0:1], exec
	s_or_saveexec_b64 s[6:7], s[6:7]
	v_mov_b32_e32 v18, s10
	s_xor_b64 exec, exec, s[6:7]
	s_cbranch_execz .LBB294_793
.LBB294_1054:                           ;   in Loop: Header=BB294_562 Depth=1
	v_cmp_ne_u16_sdwa s[8:9], v0, v1 src0_sel:BYTE_0 src1_sel:DWORD
	s_andn2_b64 s[0:1], s[0:1], exec
	s_and_b64 s[8:9], s[8:9], exec
	v_mov_b32_e32 v18, 0
	s_or_b64 s[0:1], s[0:1], s[8:9]
	s_or_b64 exec, exec, s[6:7]
	s_and_saveexec_b64 s[6:7], s[0:1]
	s_cbranch_execnz .LBB294_794
	s_branch .LBB294_795
.LBB294_1055:                           ;   in Loop: Header=BB294_562 Depth=1
	v_cmp_eq_u16_e64 s[0:1], s15, v0
	s_mov_b64 s[6:7], -1
                                        ; implicit-def: $sgpr29
	s_and_saveexec_b64 s[10:11], s[0:1]
; %bb.1056:                             ;   in Loop: Header=BB294_562 Depth=1
	s_mov_b32 s29, 0x7fc02000
	s_xor_b64 s[6:7], exec, -1
; %bb.1057:                             ;   in Loop: Header=BB294_562 Depth=1
	s_or_b64 exec, exec, s[10:11]
	s_and_b64 s[6:7], s[6:7], exec
	s_or_saveexec_b64 s[8:9], s[8:9]
	v_mov_b32_e32 v23, s29
	s_xor_b64 exec, exec, s[8:9]
	s_cbranch_execz .LBB294_797
.LBB294_1058:                           ;   in Loop: Header=BB294_562 Depth=1
	v_cmp_ne_u16_e64 s[0:1], 0, v0
	s_andn2_b64 s[6:7], s[6:7], exec
	s_and_b64 s[0:1], s[0:1], exec
	v_mov_b32_e32 v23, 0
	s_or_b64 s[6:7], s[6:7], s[0:1]
	s_or_b64 exec, exec, s[8:9]
	s_and_saveexec_b64 s[8:9], s[6:7]
	s_cbranch_execnz .LBB294_798
	s_branch .LBB294_799
.LBB294_1059:                           ;   in Loop: Header=BB294_562 Depth=1
	v_cmp_eq_u16_sdwa s[30:31], v14, s15 src0_sel:BYTE_0 src1_sel:DWORD
	s_mov_b64 s[0:1], -1
                                        ; implicit-def: $sgpr10
	s_and_saveexec_b64 s[8:9], s[30:31]
; %bb.1060:                             ;   in Loop: Header=BB294_562 Depth=1
	s_mov_b32 s10, 0x7fc02000
	s_xor_b64 s[0:1], exec, -1
; %bb.1061:                             ;   in Loop: Header=BB294_562 Depth=1
	s_or_b64 exec, exec, s[8:9]
	s_and_b64 s[0:1], s[0:1], exec
	s_or_saveexec_b64 s[6:7], s[6:7]
	v_mov_b32_e32 v20, s10
	s_xor_b64 exec, exec, s[6:7]
	s_cbranch_execz .LBB294_803
.LBB294_1062:                           ;   in Loop: Header=BB294_562 Depth=1
	v_cmp_ne_u16_sdwa s[8:9], v14, v1 src0_sel:BYTE_0 src1_sel:DWORD
	s_andn2_b64 s[0:1], s[0:1], exec
	s_and_b64 s[8:9], s[8:9], exec
	v_mov_b32_e32 v20, 0
	s_or_b64 s[0:1], s[0:1], s[8:9]
	s_or_b64 exec, exec, s[6:7]
	s_and_saveexec_b64 s[6:7], s[0:1]
	s_cbranch_execnz .LBB294_804
	s_branch .LBB294_805
.LBB294_1063:                           ;   in Loop: Header=BB294_562 Depth=1
	v_cmp_eq_u16_e64 s[0:1], s15, v0
	s_mov_b64 s[6:7], -1
                                        ; implicit-def: $sgpr29
	s_and_saveexec_b64 s[10:11], s[0:1]
; %bb.1064:                             ;   in Loop: Header=BB294_562 Depth=1
	s_mov_b32 s29, 0x7fc02000
	s_xor_b64 s[6:7], exec, -1
; %bb.1065:                             ;   in Loop: Header=BB294_562 Depth=1
	s_or_b64 exec, exec, s[10:11]
	s_and_b64 s[6:7], s[6:7], exec
	s_or_saveexec_b64 s[8:9], s[8:9]
	v_mov_b32_e32 v24, s29
	s_xor_b64 exec, exec, s[8:9]
	s_cbranch_execz .LBB294_807
.LBB294_1066:                           ;   in Loop: Header=BB294_562 Depth=1
	v_cmp_ne_u16_e64 s[0:1], 0, v0
	s_andn2_b64 s[6:7], s[6:7], exec
	s_and_b64 s[0:1], s[0:1], exec
	v_mov_b32_e32 v24, 0
	s_or_b64 s[6:7], s[6:7], s[0:1]
	s_or_b64 exec, exec, s[8:9]
	s_and_saveexec_b64 s[8:9], s[6:7]
	s_cbranch_execnz .LBB294_808
	s_branch .LBB294_809
.LBB294_1067:                           ;   in Loop: Header=BB294_562 Depth=1
	v_cmp_eq_u16_sdwa s[30:31], v0, s15 src0_sel:BYTE_0 src1_sel:DWORD
	s_mov_b64 s[0:1], -1
                                        ; implicit-def: $sgpr10
	s_and_saveexec_b64 s[8:9], s[30:31]
; %bb.1068:                             ;   in Loop: Header=BB294_562 Depth=1
	s_mov_b32 s10, 0x7fc02000
	s_xor_b64 s[0:1], exec, -1
; %bb.1069:                             ;   in Loop: Header=BB294_562 Depth=1
	s_or_b64 exec, exec, s[8:9]
	s_and_b64 s[0:1], s[0:1], exec
	s_or_saveexec_b64 s[6:7], s[6:7]
	v_mov_b32_e32 v21, s10
	s_xor_b64 exec, exec, s[6:7]
	s_cbranch_execz .LBB294_811
.LBB294_1070:                           ;   in Loop: Header=BB294_562 Depth=1
	v_cmp_ne_u16_sdwa s[8:9], v0, v1 src0_sel:BYTE_0 src1_sel:DWORD
	s_andn2_b64 s[0:1], s[0:1], exec
	s_and_b64 s[8:9], s[8:9], exec
	v_mov_b32_e32 v21, 0
	s_or_b64 s[0:1], s[0:1], s[8:9]
	s_or_b64 exec, exec, s[6:7]
	s_and_saveexec_b64 s[6:7], s[0:1]
	s_cbranch_execnz .LBB294_812
	s_branch .LBB294_813
.LBB294_1071:                           ;   in Loop: Header=BB294_562 Depth=1
	v_cmp_eq_u16_e64 s[0:1], s15, v0
	s_mov_b64 s[6:7], -1
                                        ; implicit-def: $sgpr29
	s_and_saveexec_b64 s[10:11], s[0:1]
; %bb.1072:                             ;   in Loop: Header=BB294_562 Depth=1
	s_mov_b32 s29, 0x7fc02000
	s_xor_b64 s[6:7], exec, -1
; %bb.1073:                             ;   in Loop: Header=BB294_562 Depth=1
	s_or_b64 exec, exec, s[10:11]
	s_and_b64 s[6:7], s[6:7], exec
	s_or_saveexec_b64 s[8:9], s[8:9]
	v_mov_b32_e32 v25, s29
	s_xor_b64 exec, exec, s[8:9]
	s_cbranch_execz .LBB294_815
.LBB294_1074:                           ;   in Loop: Header=BB294_562 Depth=1
	v_cmp_ne_u16_e64 s[0:1], 0, v0
	s_andn2_b64 s[6:7], s[6:7], exec
	s_and_b64 s[0:1], s[0:1], exec
	v_mov_b32_e32 v25, 0
	s_or_b64 s[6:7], s[6:7], s[0:1]
	s_or_b64 exec, exec, s[8:9]
	s_and_saveexec_b64 s[8:9], s[6:7]
	s_cbranch_execnz .LBB294_816
	s_branch .LBB294_817
.LBB294_1075:                           ;   in Loop: Header=BB294_562 Depth=1
	v_cmp_eq_u16_sdwa s[30:31], v15, s15 src0_sel:BYTE_0 src1_sel:DWORD
	s_mov_b64 s[0:1], -1
                                        ; implicit-def: $sgpr10
	s_and_saveexec_b64 s[8:9], s[30:31]
; %bb.1076:                             ;   in Loop: Header=BB294_562 Depth=1
	s_mov_b32 s10, 0x7fc02000
	s_xor_b64 s[0:1], exec, -1
; %bb.1077:                             ;   in Loop: Header=BB294_562 Depth=1
	s_or_b64 exec, exec, s[8:9]
	s_and_b64 s[0:1], s[0:1], exec
	s_or_saveexec_b64 s[6:7], s[6:7]
	v_mov_b32_e32 v13, s10
	s_xor_b64 exec, exec, s[6:7]
	s_cbranch_execz .LBB294_819
.LBB294_1078:                           ;   in Loop: Header=BB294_562 Depth=1
	v_cmp_ne_u16_sdwa s[8:9], v15, v1 src0_sel:BYTE_0 src1_sel:DWORD
	s_andn2_b64 s[0:1], s[0:1], exec
	s_and_b64 s[8:9], s[8:9], exec
	v_mov_b32_e32 v13, 0
	s_or_b64 s[0:1], s[0:1], s[8:9]
	s_or_b64 exec, exec, s[6:7]
	v_mov_b32_e32 v0, v15
	s_and_saveexec_b64 s[6:7], s[0:1]
	s_cbranch_execnz .LBB294_820
	s_branch .LBB294_821
.LBB294_1079:                           ;   in Loop: Header=BB294_562 Depth=1
	v_cmp_eq_u16_e64 s[0:1], s15, v0
	s_mov_b64 s[6:7], -1
                                        ; implicit-def: $sgpr29
	s_and_saveexec_b64 s[10:11], s[0:1]
; %bb.1080:                             ;   in Loop: Header=BB294_562 Depth=1
	s_mov_b32 s29, 0x7fc02000
	s_xor_b64 s[6:7], exec, -1
; %bb.1081:                             ;   in Loop: Header=BB294_562 Depth=1
	s_or_b64 exec, exec, s[10:11]
	s_and_b64 s[6:7], s[6:7], exec
	s_or_saveexec_b64 s[8:9], s[8:9]
	v_mov_b32_e32 v14, s29
	s_xor_b64 exec, exec, s[8:9]
	s_cbranch_execz .LBB294_823
.LBB294_1082:                           ;   in Loop: Header=BB294_562 Depth=1
	v_cmp_ne_u16_e64 s[0:1], 0, v0
	s_andn2_b64 s[6:7], s[6:7], exec
	s_and_b64 s[0:1], s[0:1], exec
	v_mov_b32_e32 v14, 0
	s_or_b64 s[6:7], s[6:7], s[0:1]
	s_or_b64 exec, exec, s[8:9]
	s_and_saveexec_b64 s[8:9], s[6:7]
	s_cbranch_execnz .LBB294_824
	s_branch .LBB294_825
.LBB294_1083:                           ;   in Loop: Header=BB294_562 Depth=1
	v_cmp_eq_u16_sdwa s[30:31], v0, s15 src0_sel:BYTE_0 src1_sel:DWORD
	s_mov_b64 s[0:1], -1
                                        ; implicit-def: $sgpr10
	s_and_saveexec_b64 s[8:9], s[30:31]
; %bb.1084:                             ;   in Loop: Header=BB294_562 Depth=1
	s_mov_b32 s10, 0x7fc02000
	s_xor_b64 s[0:1], exec, -1
; %bb.1085:                             ;   in Loop: Header=BB294_562 Depth=1
	s_or_b64 exec, exec, s[8:9]
	s_and_b64 s[0:1], s[0:1], exec
	s_or_saveexec_b64 s[6:7], s[6:7]
	v_mov_b32_e32 v16, s10
	s_xor_b64 exec, exec, s[6:7]
	s_cbranch_execz .LBB294_827
.LBB294_1086:                           ;   in Loop: Header=BB294_562 Depth=1
	v_cmp_ne_u16_sdwa s[8:9], v0, v1 src0_sel:BYTE_0 src1_sel:DWORD
	s_andn2_b64 s[0:1], s[0:1], exec
	s_and_b64 s[8:9], s[8:9], exec
	v_mov_b32_e32 v16, 0
	s_or_b64 s[0:1], s[0:1], s[8:9]
	s_or_b64 exec, exec, s[6:7]
	s_and_saveexec_b64 s[6:7], s[0:1]
	s_cbranch_execnz .LBB294_828
	s_branch .LBB294_829
.LBB294_1087:                           ;   in Loop: Header=BB294_562 Depth=1
	v_cmp_eq_u16_e64 s[0:1], s15, v0
	s_mov_b64 s[6:7], -1
                                        ; implicit-def: $sgpr29
	s_and_saveexec_b64 s[10:11], s[0:1]
; %bb.1088:                             ;   in Loop: Header=BB294_562 Depth=1
	s_mov_b32 s29, 0x7fc02000
	s_xor_b64 s[6:7], exec, -1
; %bb.1089:                             ;   in Loop: Header=BB294_562 Depth=1
	s_or_b64 exec, exec, s[10:11]
	s_and_b64 s[6:7], s[6:7], exec
	s_or_saveexec_b64 s[8:9], s[8:9]
	v_mov_b32_e32 v18, s29
	s_xor_b64 exec, exec, s[8:9]
	s_cbranch_execz .LBB294_831
.LBB294_1090:                           ;   in Loop: Header=BB294_562 Depth=1
	v_cmp_ne_u16_e64 s[0:1], 0, v0
	s_andn2_b64 s[6:7], s[6:7], exec
	s_and_b64 s[0:1], s[0:1], exec
	v_mov_b32_e32 v18, 0
	s_or_b64 s[6:7], s[6:7], s[0:1]
	s_or_b64 exec, exec, s[8:9]
	s_and_saveexec_b64 s[8:9], s[6:7]
	s_cbranch_execnz .LBB294_832
	s_branch .LBB294_833
.LBB294_1091:
	s_or_b64 exec, exec, s[22:23]
	v_accvgpr_read_b32 v26, a13
.LBB294_1092:
	s_or_b64 exec, exec, s[20:21]
	ds_bpermute_b32 v0, v40, v32
	ds_bpermute_b32 v1, v40, v33
	;; [unrolled: 1-line block ×8, first 2 shown]
	s_waitcnt lgkmcnt(0)
	v_pk_add_f32 v[0:1], v[32:33], v[0:1]
	ds_bpermute_b32 v4, v41, v0
	ds_bpermute_b32 v5, v41, v1
	v_pk_add_f32 v[2:3], v[34:35], v[2:3]
	v_pk_add_f32 v[12:13], v[36:37], v[6:7]
	;; [unrolled: 1-line block ×3, first 2 shown]
	ds_bpermute_b32 v10, v41, v2
	ds_bpermute_b32 v11, v41, v3
	;; [unrolled: 1-line block ×6, first 2 shown]
	s_waitcnt lgkmcnt(0)
	v_pk_add_f32 v[8:9], v[0:1], v[4:5]
	v_accvgpr_read_b32 v4, a2
	v_and_b32_e32 v4, 0x3c3, v4
	v_pk_add_f32 v[6:7], v[2:3], v[10:11]
	v_pk_add_f32 v[2:3], v[12:13], v[14:15]
	v_pk_add_f32 v[0:1], v[16:17], v[18:19]
	v_cmp_eq_u32_e32 vcc, 64, v4
	s_barrier
	s_and_saveexec_b64 s[0:1], vcc
	s_cbranch_execz .LBB294_1094
; %bb.1093:
	s_load_dword s3, s[12:13], 0x0
	s_waitcnt lgkmcnt(0)
	v_add_u32_e32 v5, s3, v53
	ds_write2_b32 v5, v8, v9 offset1:16
	ds_write2_b32 v5, v6, v7 offset0:32 offset1:48
	ds_write2_b32 v5, v2, v3 offset0:64 offset1:80
	;; [unrolled: 1-line block ×3, first 2 shown]
.LBB294_1094:
	s_or_b64 exec, exec, s[0:1]
	v_accvgpr_read_b32 v5, a2
	s_waitcnt lgkmcnt(0)
	s_barrier
	v_cmp_gt_u32_e32 vcc, 64, v5
	s_mov_b64 s[0:1], exec
	v_accvgpr_read_b32 v13, a1
	s_and_b64 s[4:5], s[0:1], vcc
	v_accvgpr_read_b32 v12, a0
	s_mov_b64 exec, s[4:5]
	s_cbranch_execz .LBB294_1105
; %bb.1095:
	v_accvgpr_read_b32 v5, a2
	v_cmp_eq_u32_e32 vcc, 0, v26
	v_lshrrev_b32_e32 v5, 2, v5
	s_and_saveexec_b64 s[4:5], vcc
	s_cbranch_execnz .LBB294_1108
; %bb.1096:
	s_or_b64 exec, exec, s[4:5]
	s_and_saveexec_b64 s[4:5], vcc
	s_cbranch_execnz .LBB294_1109
.LBB294_1097:
	s_or_b64 exec, exec, s[4:5]
	s_and_saveexec_b64 s[4:5], vcc
	s_cbranch_execnz .LBB294_1110
.LBB294_1098:
	s_or_b64 exec, exec, s[4:5]
	s_and_saveexec_b64 s[4:5], vcc
	s_cbranch_execnz .LBB294_1111
.LBB294_1099:
	s_or_b64 exec, exec, s[4:5]
	s_and_saveexec_b64 s[4:5], vcc
	s_cbranch_execnz .LBB294_1112
.LBB294_1100:
	s_or_b64 exec, exec, s[4:5]
	s_and_saveexec_b64 s[4:5], vcc
	s_cbranch_execnz .LBB294_1113
.LBB294_1101:
	s_or_b64 exec, exec, s[4:5]
	s_and_saveexec_b64 s[4:5], vcc
	s_cbranch_execnz .LBB294_1114
.LBB294_1102:
	s_or_b64 exec, exec, s[4:5]
	s_and_saveexec_b64 s[4:5], vcc
	s_cbranch_execz .LBB294_1104
.LBB294_1103:
	s_load_dword s3, s[12:13], 0x0
	s_waitcnt lgkmcnt(0)
	v_lshl_add_u32 v5, v5, 2, s3
	ds_read_b32 v5, v5 offset:448
	s_waitcnt lgkmcnt(0)
	v_add_f32_e32 v1, v1, v5
.LBB294_1104:
	s_or_b64 exec, exec, s[4:5]
.LBB294_1105:
	s_or_b64 exec, exec, s[0:1]
	v_cmp_eq_u32_e32 vcc, 0, v4
	s_barrier
	s_and_b64 exec, exec, vcc
	s_cbranch_execz .LBB294_1107
; %bb.1106:
	s_lshl_b32 s0, s2, 7
	s_mul_i32 s2, s18, s19
	s_lshl_b32 s4, s14, 7
	s_ashr_i32 s1, s0, 31
	s_ashr_i32 s3, s2, 31
	;; [unrolled: 1-line block ×3, first 2 shown]
	s_lshl_b64 s[0:1], s[0:1], 1
	s_lshl_b64 s[2:3], s[2:3], 1
	;; [unrolled: 1-line block ×3, first 2 shown]
	s_add_u32 s2, s4, s2
	s_addc_u32 s3, s5, s3
	s_add_u32 s0, s2, s0
	s_addc_u32 s1, s3, s1
	v_accvgpr_read_b32 v10, a2
	v_lshl_add_u64 v[4:5], s[0:1], 0, v[12:13]
	v_lshrrev_b32_e32 v10, 1, v10
	v_mov_b32_e32 v11, 0
	v_lshl_add_u64 v[4:5], v[4:5], 0, v[10:11]
	;;#ASMSTART
	v_cvt_f16_f32 v8, v8;

	;;#ASMEND
	flat_store_short v[4:5], v8
	;;#ASMSTART
	v_cvt_f16_f32 v8, v9;

	;;#ASMEND
	flat_store_short v[4:5], v8 offset:32
	;;#ASMSTART
	v_cvt_f16_f32 v6, v6;

	;;#ASMEND
	flat_store_short v[4:5], v6 offset:64
	;;#ASMSTART
	v_cvt_f16_f32 v6, v7;

	;;#ASMEND
	flat_store_short v[4:5], v6 offset:96
	;;#ASMSTART
	v_cvt_f16_f32 v2, v2;

	;;#ASMEND
	flat_store_short v[4:5], v2 offset:128
	;;#ASMSTART
	v_cvt_f16_f32 v2, v3;

	;;#ASMEND
	flat_store_short v[4:5], v2 offset:160
	;;#ASMSTART
	v_cvt_f16_f32 v0, v0;

	;;#ASMEND
	flat_store_short v[4:5], v0 offset:192
	;;#ASMSTART
	v_cvt_f16_f32 v0, v1;

	;;#ASMEND
	flat_store_short v[4:5], v0 offset:224
.LBB294_1107:
	s_or_b64 exec, exec, s[16:17]
	scratch_load_dword a63, off, s32 offset:8 ; 4-byte Folded Reload
	scratch_load_dword a62, off, s32 offset:12 ; 4-byte Folded Reload
	;; [unrolled: 1-line block ×47, first 2 shown]
	v_readlane_b32 s30, v63, 6
	v_readlane_b32 s31, v63, 7
	;; [unrolled: 1-line block ×8, first 2 shown]
	s_or_saveexec_b64 s[0:1], -1
	scratch_load_dword v63, off, s32 offset:248 ; 4-byte Folded Reload
	s_mov_b64 exec, s[0:1]
	s_waitcnt vmcnt(0) lgkmcnt(0)
	s_setpc_b64 s[30:31]
.LBB294_1108:
	s_load_dword s3, s[12:13], 0x0
	s_waitcnt lgkmcnt(0)
	v_lshl_add_u32 v10, v5, 2, s3
	ds_read_b32 v10, v10
	s_waitcnt lgkmcnt(0)
	v_add_f32_e32 v8, v8, v10
	s_or_b64 exec, exec, s[4:5]
	s_and_saveexec_b64 s[4:5], vcc
	s_cbranch_execz .LBB294_1097
.LBB294_1109:
	s_load_dword s3, s[12:13], 0x0
	s_waitcnt lgkmcnt(0)
	v_lshl_add_u32 v10, v5, 2, s3
	ds_read_b32 v10, v10 offset:64
	s_waitcnt lgkmcnt(0)
	v_add_f32_e32 v9, v9, v10
	s_or_b64 exec, exec, s[4:5]
	s_and_saveexec_b64 s[4:5], vcc
	s_cbranch_execz .LBB294_1098
.LBB294_1110:
	s_load_dword s3, s[12:13], 0x0
	s_waitcnt lgkmcnt(0)
	v_lshl_add_u32 v10, v5, 2, s3
	ds_read_b32 v10, v10 offset:128
	s_waitcnt lgkmcnt(0)
	v_add_f32_e32 v6, v6, v10
	s_or_b64 exec, exec, s[4:5]
	s_and_saveexec_b64 s[4:5], vcc
	s_cbranch_execz .LBB294_1099
.LBB294_1111:
	s_load_dword s3, s[12:13], 0x0
	s_waitcnt lgkmcnt(0)
	v_lshl_add_u32 v10, v5, 2, s3
	ds_read_b32 v10, v10 offset:192
	s_waitcnt lgkmcnt(0)
	v_add_f32_e32 v7, v7, v10
	s_or_b64 exec, exec, s[4:5]
	s_and_saveexec_b64 s[4:5], vcc
	s_cbranch_execz .LBB294_1100
.LBB294_1112:
	s_load_dword s3, s[12:13], 0x0
	s_waitcnt lgkmcnt(0)
	v_lshl_add_u32 v10, v5, 2, s3
	ds_read_b32 v10, v10 offset:256
	s_waitcnt lgkmcnt(0)
	v_add_f32_e32 v2, v2, v10
	s_or_b64 exec, exec, s[4:5]
	s_and_saveexec_b64 s[4:5], vcc
	s_cbranch_execz .LBB294_1101
.LBB294_1113:
	s_load_dword s3, s[12:13], 0x0
	s_waitcnt lgkmcnt(0)
	v_lshl_add_u32 v10, v5, 2, s3
	ds_read_b32 v10, v10 offset:320
	s_waitcnt lgkmcnt(0)
	v_add_f32_e32 v3, v3, v10
	s_or_b64 exec, exec, s[4:5]
	s_and_saveexec_b64 s[4:5], vcc
	s_cbranch_execz .LBB294_1102
.LBB294_1114:
	s_load_dword s3, s[12:13], 0x0
	s_waitcnt lgkmcnt(0)
	v_lshl_add_u32 v10, v5, 2, s3
	ds_read_b32 v10, v10 offset:384
	s_waitcnt lgkmcnt(0)
	v_add_f32_e32 v0, v0, v10
	s_or_b64 exec, exec, s[4:5]
	s_and_saveexec_b64 s[4:5], vcc
	s_cbranch_execnz .LBB294_1103
	s_branch .LBB294_1104
.Lfunc_end294:
	.size	_ZN4vllm22paged_attention_kernelIthLi128ELi32ELi128ELNS_18Fp8KVCacheDataTypeE1ELb1ELi512EEEvPfS2_PT_PKS3_PKT0_S9_ifPKiSB_iPKfiiiSD_SD_iiiii, .Lfunc_end294-_ZN4vllm22paged_attention_kernelIthLi128ELi32ELi128ELNS_18Fp8KVCacheDataTypeE1ELb1ELi512EEEvPfS2_PT_PKS3_PKT0_S9_ifPKiSB_iPKfiiiSD_SD_iiiii
                                        ; -- End function
	.section	.AMDGPU.csdata,"",@progbits
; Function info:
; codeLenInByte = 46544
; NumSgprs: 46
; NumVgprs: 64
; NumAgprs: 64
; TotalNumVgprs: 128
; ScratchSize: 256
; MemoryBound: 0
	.section	.text._ZN4vllm25paged_attention_v2_kernelIthLi128ELi32ELi128ELNS_18Fp8KVCacheDataTypeE1ELb1ELi512EEEvPfS2_PT_PKS3_PKT0_S9_ifPKiSB_iPKfiiiSD_SD_iiiii,"axG",@progbits,_ZN4vllm25paged_attention_v2_kernelIthLi128ELi32ELi128ELNS_18Fp8KVCacheDataTypeE1ELb1ELi512EEEvPfS2_PT_PKS3_PKT0_S9_ifPKiSB_iPKfiiiSD_SD_iiiii,comdat
	.protected	_ZN4vllm25paged_attention_v2_kernelIthLi128ELi32ELi128ELNS_18Fp8KVCacheDataTypeE1ELb1ELi512EEEvPfS2_PT_PKS3_PKT0_S9_ifPKiSB_iPKfiiiSD_SD_iiiii ; -- Begin function _ZN4vllm25paged_attention_v2_kernelIthLi128ELi32ELi128ELNS_18Fp8KVCacheDataTypeE1ELb1ELi512EEEvPfS2_PT_PKS3_PKT0_S9_ifPKiSB_iPKfiiiSD_SD_iiiii
	.globl	_ZN4vllm25paged_attention_v2_kernelIthLi128ELi32ELi128ELNS_18Fp8KVCacheDataTypeE1ELb1ELi512EEEvPfS2_PT_PKS3_PKT0_S9_ifPKiSB_iPKfiiiSD_SD_iiiii
	.p2align	8
	.type	_ZN4vllm25paged_attention_v2_kernelIthLi128ELi32ELi128ELNS_18Fp8KVCacheDataTypeE1ELb1ELi512EEEvPfS2_PT_PKS3_PKT0_S9_ifPKiSB_iPKfiiiSD_SD_iiiii,@function
_ZN4vllm25paged_attention_v2_kernelIthLi128ELi32ELi128ELNS_18Fp8KVCacheDataTypeE1ELb1ELi512EEEvPfS2_PT_PKS3_PKT0_S9_ifPKiSB_iPKfiiiSD_SD_iiiii: ; @_ZN4vllm25paged_attention_v2_kernelIthLi128ELi32ELi128ELNS_18Fp8KVCacheDataTypeE1ELb1ELi512EEEvPfS2_PT_PKS3_PKT0_S9_ifPKiSB_iPKfiiiSD_SD_iiiii
; %bb.0:
	s_load_dwordx8 s[24:31], s[0:1], 0x0
	s_load_dwordx8 s[16:23], s[0:1], 0x20
	s_load_dwordx2 s[6:7], s[0:1], 0x40
	s_load_dwordx4 s[44:47], s[0:1], 0x78
	s_load_dword s5, s[0:1], 0x88
	s_load_dwordx2 s[10:11], s[0:1], 0x50
	s_load_dword s33, s[0:1], 0x48
	s_load_dwordx8 s[36:43], s[0:1], 0x58
	s_mov_b32 s32, 0
	s_waitcnt lgkmcnt(0)
	v_mov_b32_e32 v2, s47
	v_mov_b32_e32 v3, s5
	s_add_u32 s8, s0, 0x90
	scratch_store_dwordx2 off, v[2:3], s32
	s_addc_u32 s9, s1, 0
	s_mov_b32 s12, s2
	s_mov_b32 s13, s3
	;; [unrolled: 1-line block ×4, first 2 shown]
	v_mov_b32_e32 v31, v0
	v_mov_b32_e32 v0, s24
	;; [unrolled: 1-line block ×32, first 2 shown]
	s_getpc_b64 s[0:1]
	s_add_u32 s0, s0, _ZN4vllm22paged_attention_kernelIthLi128ELi32ELi128ELNS_18Fp8KVCacheDataTypeE1ELb1ELi512EEEvPfS2_PT_PKS3_PKT0_S9_ifPKiSB_iPKfiiiSD_SD_iiiii@rel32@lo+4
	s_addc_u32 s1, s1, _ZN4vllm22paged_attention_kernelIthLi128ELi32ELi128ELNS_18Fp8KVCacheDataTypeE1ELb1ELi512EEEvPfS2_PT_PKS3_PKT0_S9_ifPKiSB_iPKfiiiSD_SD_iiiii@rel32@hi+12
	s_swappc_b64 s[30:31], s[0:1]
	s_endpgm
	.section	.rodata,"a",@progbits
	.p2align	6, 0x0
	.amdhsa_kernel _ZN4vllm25paged_attention_v2_kernelIthLi128ELi32ELi128ELNS_18Fp8KVCacheDataTypeE1ELb1ELi512EEEvPfS2_PT_PKS3_PKT0_S9_ifPKiSB_iPKfiiiSD_SD_iiiii
		.amdhsa_group_segment_fixed_size 272
		.amdhsa_private_segment_fixed_size 256
		.amdhsa_kernarg_size 400
		.amdhsa_user_sgpr_count 2
		.amdhsa_user_sgpr_dispatch_ptr 0
		.amdhsa_user_sgpr_queue_ptr 0
		.amdhsa_user_sgpr_kernarg_segment_ptr 1
		.amdhsa_user_sgpr_dispatch_id 0
		.amdhsa_user_sgpr_kernarg_preload_length 0
		.amdhsa_user_sgpr_kernarg_preload_offset 0
		.amdhsa_user_sgpr_private_segment_size 0
		.amdhsa_uses_dynamic_stack 0
		.amdhsa_enable_private_segment 1
		.amdhsa_system_sgpr_workgroup_id_x 1
		.amdhsa_system_sgpr_workgroup_id_y 1
		.amdhsa_system_sgpr_workgroup_id_z 1
		.amdhsa_system_sgpr_workgroup_info 0
		.amdhsa_system_vgpr_workitem_id 0
		.amdhsa_next_free_vgpr 128
		.amdhsa_next_free_sgpr 48
		.amdhsa_accum_offset 64
		.amdhsa_reserve_vcc 1
		.amdhsa_float_round_mode_32 0
		.amdhsa_float_round_mode_16_64 0
		.amdhsa_float_denorm_mode_32 3
		.amdhsa_float_denorm_mode_16_64 3
		.amdhsa_dx10_clamp 1
		.amdhsa_ieee_mode 1
		.amdhsa_fp16_overflow 0
		.amdhsa_tg_split 0
		.amdhsa_exception_fp_ieee_invalid_op 0
		.amdhsa_exception_fp_denorm_src 0
		.amdhsa_exception_fp_ieee_div_zero 0
		.amdhsa_exception_fp_ieee_overflow 0
		.amdhsa_exception_fp_ieee_underflow 0
		.amdhsa_exception_fp_ieee_inexact 0
		.amdhsa_exception_int_div_zero 0
	.end_amdhsa_kernel
	.section	.text._ZN4vllm25paged_attention_v2_kernelIthLi128ELi32ELi128ELNS_18Fp8KVCacheDataTypeE1ELb1ELi512EEEvPfS2_PT_PKS3_PKT0_S9_ifPKiSB_iPKfiiiSD_SD_iiiii,"axG",@progbits,_ZN4vllm25paged_attention_v2_kernelIthLi128ELi32ELi128ELNS_18Fp8KVCacheDataTypeE1ELb1ELi512EEEvPfS2_PT_PKS3_PKT0_S9_ifPKiSB_iPKfiiiSD_SD_iiiii,comdat
.Lfunc_end295:
	.size	_ZN4vllm25paged_attention_v2_kernelIthLi128ELi32ELi128ELNS_18Fp8KVCacheDataTypeE1ELb1ELi512EEEvPfS2_PT_PKS3_PKT0_S9_ifPKiSB_iPKfiiiSD_SD_iiiii, .Lfunc_end295-_ZN4vllm25paged_attention_v2_kernelIthLi128ELi32ELi128ELNS_18Fp8KVCacheDataTypeE1ELb1ELi512EEEvPfS2_PT_PKS3_PKT0_S9_ifPKiSB_iPKfiiiSD_SD_iiiii
                                        ; -- End function
	.section	.AMDGPU.csdata,"",@progbits
; Kernel info:
; codeLenInByte = 272
; NumSgprs: 54
; NumVgprs: 64
; NumAgprs: 64
; TotalNumVgprs: 128
; ScratchSize: 256
; MemoryBound: 0
; FloatMode: 240
; IeeeMode: 1
; LDSByteSize: 272 bytes/workgroup (compile time only)
; SGPRBlocks: 6
; VGPRBlocks: 15
; NumSGPRsForWavesPerEU: 54
; NumVGPRsForWavesPerEU: 128
; AccumOffset: 64
; Occupancy: 4
; WaveLimiterHint : 1
; COMPUTE_PGM_RSRC2:SCRATCH_EN: 1
; COMPUTE_PGM_RSRC2:USER_SGPR: 2
; COMPUTE_PGM_RSRC2:TRAP_HANDLER: 0
; COMPUTE_PGM_RSRC2:TGID_X_EN: 1
; COMPUTE_PGM_RSRC2:TGID_Y_EN: 1
; COMPUTE_PGM_RSRC2:TGID_Z_EN: 1
; COMPUTE_PGM_RSRC2:TIDIG_COMP_CNT: 0
; COMPUTE_PGM_RSRC3_GFX90A:ACCUM_OFFSET: 15
; COMPUTE_PGM_RSRC3_GFX90A:TG_SPLIT: 0
	.text
	.p2align	2                               ; -- Begin function _ZN4vllm22paged_attention_kernelIthLi192ELi32ELi128ELNS_18Fp8KVCacheDataTypeE1ELb1ELi512EEEvPfS2_PT_PKS3_PKT0_S9_ifPKiSB_iPKfiiiSD_SD_iiiii
	.type	_ZN4vllm22paged_attention_kernelIthLi192ELi32ELi128ELNS_18Fp8KVCacheDataTypeE1ELb1ELi512EEEvPfS2_PT_PKS3_PKT0_S9_ifPKiSB_iPKfiiiSD_SD_iiiii,@function
_ZN4vllm22paged_attention_kernelIthLi192ELi32ELi128ELNS_18Fp8KVCacheDataTypeE1ELb1ELi512EEEvPfS2_PT_PKS3_PKT0_S9_ifPKiSB_iPKfiiiSD_SD_iiiii: ; @_ZN4vllm22paged_attention_kernelIthLi192ELi32ELi128ELNS_18Fp8KVCacheDataTypeE1ELb1ELi512EEEvPfS2_PT_PKS3_PKT0_S9_ifPKiSB_iPKfiiiSD_SD_iiiii
; %bb.0:
	s_waitcnt vmcnt(0) expcnt(0) lgkmcnt(0)
	s_or_saveexec_b64 s[0:1], -1
	scratch_store_dword off, v63, s32 offset:512 ; 4-byte Folded Spill
	s_mov_b64 exec, s[0:1]
	scratch_store_dword off, v40, s32 offset:192 ; 4-byte Folded Spill
	scratch_store_dword off, v41, s32 offset:188 ; 4-byte Folded Spill
	;; [unrolled: 1-line block ×47, first 2 shown]
	v_writelane_b32 v63, s34, 0
	v_writelane_b32 v63, s35, 1
	;; [unrolled: 1-line block ×15, first 2 shown]
	s_nop 1
	v_writelane_b32 v63, s31, 15
	s_mov_b32 s20, s13
	s_ashr_i32 s21, s13, 31
	scratch_store_dword off, v30, s32 offset:428 ; 4-byte Folded Spill
	v_accvgpr_write_b32 a4, v26
	scratch_store_dwordx2 off, v[24:25], s32 offset:376 ; 8-byte Folded Spill
	scratch_store_dwordx2 off, v[22:23], s32 offset:340 ; 8-byte Folded Spill
	;; [unrolled: 1-line block ×3, first 2 shown]
	scratch_store_dword off, v13, s32 offset:416 ; 4-byte Folded Spill
	v_mov_b32_e32 v39, v3
	v_mov_b32_e32 v38, v2
	v_lshl_add_u64 v[2:3], s[20:21], 2, v[16:17]
	v_accvgpr_write_b32 a5, v27
	v_mov_b32_e32 v27, v1
	v_mov_b32_e32 v26, v0
	scratch_load_dword v0, off, s32 offset:4
	s_nop 0
	flat_load_dword v2, v[2:3]
	s_nop 0
	scratch_load_dword v1, off, s32
	s_lshl_b32 s21, s14, 9
	v_mov_b32_e32 v33, v20
	v_mov_b32_e32 v32, v19
	;; [unrolled: 1-line block ×4, first 2 shown]
	s_waitcnt vmcnt(0) lgkmcnt(0)
	v_accvgpr_write_b32 a8, v2
	v_cmp_lt_i32_e32 vcc, s21, v2
	s_and_saveexec_b64 s[10:11], vcc
	s_cbranch_execz .LBB296_1633
; %bb.1:
	v_sub_u32_e32 v2, 0, v12
	v_max_i32_e32 v2, v12, v2
	v_cvt_f32_u32_e32 v3, v2
	scratch_store_dwordx2 off, v[4:5], s32 offset:440 ; 8-byte Folded Spill
	s_load_dword s0, s[8:9], 0x10
	s_load_dword s2, s[8:9], 0x0
	v_sub_u32_e32 v5, 0, v2
	v_rcp_iflag_f32_e32 v3, v3
	s_mov_b32 s18, s15
	s_waitcnt lgkmcnt(0)
	s_lshr_b32 s0, s0, 16
	s_cmp_lg_u32 s0, 0
	v_mul_f32_e32 v3, 0x4f7ffffe, v3
	v_cvt_u32_f32_e32 v3, v3
	s_cselect_b64 s[0:1], -1, 0
	s_cmp_lg_u64 s[0:1], 0
	s_addc_u32 s15, s2, 0
	v_mul_lo_u32 v5, v5, v3
	v_mul_hi_u32 v5, v3, v5
	s_abs_i32 s0, s15
	v_add_u32_e32 v3, v3, v5
	v_mul_hi_u32 v3, s0, v3
	v_mul_lo_u32 v5, v3, v2
	v_sub_u32_e32 v5, s0, v5
	v_add_u32_e32 v10, 1, v3
	v_cmp_ge_u32_e32 vcc, v5, v2
	v_xor_b32_e32 v4, s15, v12
	v_ashrrev_i32_e32 v4, 31, v4
	v_cndmask_b32_e32 v3, v3, v10, vcc
	v_sub_u32_e32 v10, v5, v2
	v_cndmask_b32_e32 v5, v5, v10, vcc
	v_add_u32_e32 v10, 1, v3
	v_cmp_ge_u32_e32 vcc, v5, v2
	s_abs_i32 s2, s12
	s_nop 0
	v_cndmask_b32_e32 v2, v3, v10, vcc
	v_xor_b32_e32 v2, v2, v4
	v_sub_u32_e32 v2, v2, v4
	v_sub_u32_e32 v3, 0, v2
	v_max_i32_e32 v3, v2, v3
	v_cvt_f32_u32_e32 v4, v3
	v_sub_u32_e32 v5, 0, v3
	v_cmp_ne_u64_e32 vcc, 0, v[32:33]
	v_rcp_iflag_f32_e32 v4, v4
	s_nop 0
	v_mul_f32_e32 v4, 0x4f7ffffe, v4
	v_cvt_u32_f32_e32 v4, v4
	v_mul_lo_u32 v5, v5, v4
	v_mul_hi_u32 v5, v4, v5
	v_add_u32_e32 v4, v4, v5
	v_mad_u64_u32 v[34:35], s[0:1], s2, v4, 0
	v_mov_b32_e32 v4, 0
	scratch_store_dword off, v4, s32 offset:412 ; 4-byte Folded Spill
	s_and_saveexec_b64 s[0:1], vcc
	s_cbranch_execz .LBB296_3
; %bb.2:
	s_ashr_i32 s13, s12, 31
	v_lshl_add_u64 v[4:5], s[12:13], 2, v[32:33]
	flat_load_dword v4, v[4:5]
	s_waitcnt vmcnt(0) lgkmcnt(0)
	scratch_store_dword off, v4, s32 offset:412 ; 4-byte Folded Spill
.LBB296_3:
	s_or_b64 exec, exec, s[0:1]
	v_and_b32_e32 v5, 0x3ff, v31
	s_ashr_i32 s3, s12, 31
	v_ashrrev_i32_e32 v4, 31, v2
	v_and_b32_e32 v2, 1, v5
	s_movk_i32 s4, 0xc0
	s_mul_i32 s16, s12, 0xc0
	v_cmp_gt_u32_e32 vcc, 48, v5
	v_lshlrev_b32_e32 v20, 3, v5
	scratch_store_dword off, v5, s32 offset:372 ; 4-byte Folded Spill
	s_and_saveexec_b64 s[0:1], vcc
	s_cbranch_execz .LBB296_5
; %bb.4:
	v_mul_lo_u32 v10, s20, v21
	v_ashrrev_i32_e32 v11, 31, v10
	v_lshl_add_u64 v[6:7], v[10:11], 1, v[6:7]
	s_ashr_i32 s17, s16, 31
	v_lshl_add_u64 v[6:7], s[16:17], 1, v[6:7]
	v_mov_b32_e32 v21, 0
	v_lshl_add_u64 v[6:7], v[6:7], 0, v[20:21]
	flat_load_dwordx2 v[6:7], v[6:7]
	s_nop 0
	scratch_load_dword v5, off, s32 offset:372 ; 4-byte Folded Reload
	s_waitcnt vmcnt(0)
	v_lshlrev_b32_e32 v5, 2, v5
	v_and_b32_e32 v5, 0xff8, v5
	v_mad_u32_u24 v5, v2, s4, v5
	s_waitcnt lgkmcnt(0)
	ds_write_b64 v5, v[6:7]
.LBB296_5:
	s_or_b64 exec, exec, s[0:1]
	v_mul_lo_u32 v5, v35, v3
	v_sub_u32_e32 v5, s2, v5
	v_add_u32_e32 v6, 1, v35
	v_cmp_ge_u32_e32 vcc, v5, v3
	v_sub_u32_e32 v7, v5, v3
	v_xor_b32_e32 v4, s3, v4
	v_cndmask_b32_e32 v6, v35, v6, vcc
	v_cndmask_b32_e32 v5, v5, v7, vcc
	v_add_u32_e32 v7, 1, v6
	v_cmp_ge_u32_e32 vcc, v5, v3
	v_sub_u32_e32 v5, 0, v1
	s_waitcnt lgkmcnt(0)
	v_cndmask_b32_e32 v3, v6, v7, vcc
	v_max_i32_e32 v6, v1, v5
	v_cvt_f32_u32_e32 v5, v6
	v_xor_b32_e32 v3, v3, v4
	v_sub_u32_e32 v34, v3, v4
	s_barrier
	v_rcp_iflag_f32_e32 v3, v5
	v_accvgpr_read_b32 v4, a8
	scratch_store_dword off, v6, s32 offset:196 ; 4-byte Folded Spill
	v_mul_f32_e32 v3, 0x4f7ffffe, v3
	v_cvt_u32_f32_e32 v5, v3
	v_sub_u32_e32 v6, 0, v6
	v_add_u32_e32 v4, -1, v4
	v_sub_u32_e32 v3, 0, v4
	v_mul_lo_u32 v6, v6, v5
	v_mul_hi_u32 v6, v5, v6
	v_max_i32_e32 v3, v4, v3
	v_add_u32_e32 v5, v5, v6
	v_mad_u64_u32 v[36:37], s[0:1], v3, v5, 0
	v_cmp_gt_i32_e32 vcc, 0, v0
	scratch_store_dword off, v5, s32 offset:216 ; 4-byte Folded Spill
                                        ; implicit-def: $vgpr6
	scratch_store_dwordx2 off, v[6:7], s32 offset:208 ; 8-byte Folded Spill
	s_and_saveexec_b64 s[0:1], vcc
	s_xor_b64 s[0:1], exec, s[0:1]
	s_cbranch_execz .LBB296_7
; %bb.6:
	v_mad_u64_u32 v[6:7], s[2:3], v28, v12, v[34:35]
	v_mul_lo_u32 v0, v6, v0
	v_sub_u32_e32 v0, 1, v0
	scratch_store_dwordx2 off, v[0:1], s32 offset:208 ; 8-byte Folded Spill
                                        ; implicit-def: $vgpr28
                                        ; implicit-def: $vgpr0
.LBB296_7:
	s_or_saveexec_b64 s[0:1], s[0:1]
	v_ashrrev_i32_e32 v4, 31, v4
	v_ashrrev_i32_e32 v1, 31, v1
	scratch_store_dword off, v1, s32 offset:200 ; 4-byte Folded Spill
	s_xor_b64 exec, exec, s[0:1]
	s_cbranch_execz .LBB296_9
; %bb.8:
	v_mul_lo_u32 v1, s15, v28
	v_add_u32_e32 v1, s12, v1
	v_mad_u64_u32 v[0:1], s[2:3], v1, v0, 1
	scratch_store_dwordx2 off, v[0:1], s32 offset:208 ; 8-byte Folded Spill
.LBB296_9:
	s_or_b64 exec, exec, s[0:1]
	s_load_dword s42, s[8:9], 0x14
	s_load_dword s13, s[8:9], 0x8
	scratch_load_dword v0, off, s32 offset:200 ; 4-byte Folded Reload
	scratch_load_dword v5, off, s32 offset:196 ; 4-byte Folded Reload
	s_lshl_b32 s17, s14, 4
	s_add_i32 s0, s17, 16
	v_mul_lo_u32 v32, s20, v18
	v_mul_lo_u32 v28, v34, v23
	v_ashrrev_i32_e32 v33, 31, v32
	v_mov_b32_e32 v6, 0xff7fffff
	s_waitcnt vmcnt(1)
	v_xor_b32_e32 v0, v4, v0
	s_waitcnt vmcnt(0)
	v_mul_lo_u32 v1, v37, v5
	v_sub_u32_e32 v1, v3, v1
	v_add_u32_e32 v3, 1, v37
	v_cmp_ge_u32_e32 vcc, v1, v5
	v_sub_u32_e32 v4, v1, v5
	s_nop 0
	v_cndmask_b32_e32 v3, v37, v3, vcc
	v_cndmask_b32_e32 v1, v1, v4, vcc
	v_add_u32_e32 v4, 1, v3
	v_cmp_ge_u32_e32 vcc, v1, v5
	s_nop 1
	v_cndmask_b32_e32 v1, v3, v4, vcc
	v_xor_b32_e32 v1, v1, v0
	v_accvgpr_read_b32 v4, a8
	v_sub_u32_e32 v0, v1, v0
	v_add_u32_e32 v1, 31, v4
	v_ashrrev_i32_e32 v3, 31, v1
	v_lshrrev_b32_e32 v3, 27, v3
	v_add_u32_e32 v1, v1, v3
	v_ashrrev_i32_e32 v22, 5, v1
	scratch_load_dword v1, off, s32 offset:372 ; 4-byte Folded Reload
	v_sub_u32_e32 v0, v0, v29
	scratch_store_dword off, v0, s32 offset:220 ; 4-byte Folded Spill
	scratch_load_dword v0, off, s32 offset:428 ; 4-byte Folded Reload
	v_min_i32_e32 v3, s0, v22
	v_ashrrev_i32_e32 v29, 31, v28
	scratch_store_dword off, v3, s32 offset:204 ; 4-byte Folded Spill
	s_waitcnt vmcnt(3)
	v_lshrrev_b32_e32 v19, 6, v1
	v_or_b32_e32 v4, s17, v19
	v_ashrrev_i32_e32 v5, 31, v4
	v_accvgpr_write_b32 a13, v5
	v_cmp_lt_i32_e64 s[0:1], v4, v3
	v_accvgpr_write_b32 a12, v4
	s_waitcnt vmcnt(1)
	v_sub_u32_e32 v21, 0, v0
	v_lshl_add_u32 v16, v19, 5, s21
	v_mbcnt_lo_u32_b32 v0, -1, 0
	s_and_saveexec_b64 s[8:9], s[0:1]
	s_cbranch_execz .LBB296_787
; %bb.10:
	scratch_store_dword off, v22, s32 offset:448 ; 4-byte Folded Spill
	scratch_store_dwordx2 off, v[20:21], s32 offset:480 ; 8-byte Folded Spill
	scratch_store_dwordx2 off, v[38:39], s32 offset:488 ; 8-byte Folded Spill
	scratch_store_dwordx2 off, v[26:27], s32 offset:496 ; 8-byte Folded Spill
	scratch_store_dwordx2 off, v[24:25], s32 offset:504 ; 8-byte Folded Spill
	scratch_store_dword off, v16, s32 offset:452 ; 4-byte Folded Spill
	v_mov_b32_e32 v6, v0
	scratch_load_dword v0, off, s32 offset:372 ; 4-byte Folded Reload
	s_ashr_i32 s19, s18, 31
	scratch_store_dwordx2 off, v[28:29], s32 offset:456 ; 8-byte Folded Spill
	s_lshl_b64 s[6:7], s[18:19], 2
	s_getpc_b64 s[22:23]
	s_add_u32 s22, s22, llvm.amdgcn.dynlds.offset.table@rel32@lo+4
	s_addc_u32 s23, s23, llvm.amdgcn.dynlds.offset.table@rel32@hi+12
	s_add_u32 s22, s6, s22
	v_lshlrev_b32_e32 v4, 2, v2
	s_addc_u32 s23, s7, s23
	v_cmp_eq_u32_e64 s[2:3], 0, v2
	s_mov_b64 s[24:25], 0
	s_movk_i32 s43, 0x7f
	s_movk_i32 s44, 0x80
	s_mov_b32 s45, 0x8000
	s_mov_b64 s[26:27], 0x1000
	s_mov_b64 s[28:29], 0x1200
	;; [unrolled: 1-line block ×4, first 2 shown]
	v_mov_b32_e32 v56, 0x1c00
	s_waitcnt vmcnt(1)
	v_bfe_u32 v7, v0, 1, 5
	v_lshl_add_u64 v[0:1], v[8:9], 0, v[28:29]
	v_lshlrev_b32_e32 v8, 4, v7
	v_mov_b32_e32 v9, 0
	v_lshl_add_u64 v[0:1], v[0:1], 0, v[8:9]
	scratch_store_dwordx2 off, v[0:1], s32 offset:396 ; 8-byte Folded Spill
	v_mul_u32_u24_e32 v0, 0xc0, v2
	scratch_store_dword off, v0, s32 offset:388 ; 4-byte Folded Spill
	scratch_store_dword off, v21, s32 offset:464 ; 4-byte Folded Spill
	scratch_load_dword v0, off, s32 offset:428 ; 4-byte Folded Reload
	v_mov_b32_e32 v5, v9
	scratch_load_dword v1, off, s32 offset:412 ; 4-byte Folded Reload
	s_load_dword s19, s[22:23], 0x0
	s_waitcnt vmcnt(1)
	v_max_i32_e32 v2, v0, v21
	scratch_store_dwordx2 off, v[4:5], s32 offset:404 ; 8-byte Folded Spill
	scratch_store_dword off, v2, s32 offset:348 ; 4-byte Folded Spill
	scratch_load_dwordx2 v[4:5], off, s32 offset:432 ; 8-byte Folded Reload
	v_cvt_f32_u32_e32 v0, v2
	s_waitcnt vmcnt(3)
	v_cmp_neq_f32_e64 s[4:5], 0, v1
	v_sub_u32_e32 v1, 0, v2
	v_accvgpr_read_b32 v2, a12
	v_rcp_iflag_f32_e32 v0, v0
	v_accvgpr_read_b32 v3, a13
	scratch_store_dwordx2 off, v[32:33], s32 offset:468 ; 8-byte Folded Spill
	scratch_store_dword off, v19, s32 offset:476 ; 4-byte Folded Spill
	v_mul_f32_e32 v0, 0x4f7ffffe, v0
	v_cvt_u32_f32_e32 v0, v0
	scratch_store_dword off, v7, s32 offset:420 ; 4-byte Folded Spill
	v_mul_lo_u32 v1, v1, v0
	v_mul_hi_u32 v1, v0, v1
	v_add_u32_e32 v0, v0, v1
	scratch_store_dwordx2 off, v[0:1], s32 offset:352 ; 8-byte Folded Spill
	v_lshlrev_b64 v[0:1], 2, v[2:3]
	v_lshl_add_u64 v[0:1], v[32:33], 2, v[0:1]
	s_waitcnt vmcnt(4)
	v_lshl_add_u64 v[0:1], v[4:5], 0, v[0:1]
	v_accvgpr_write_b32 a47, v1
	v_accvgpr_write_b32 a46, v0
	v_lshlrev_b32_e32 v0, 2, v7
	v_lshl_or_b32 v0, v19, 7, v0
	v_accvgpr_write_b32 a48, v0
	v_accvgpr_read_b32 v0, a8
	v_sub_u32_e32 v0, v7, v0
	v_add_u32_e32 v0, 1, v0
	scratch_store_dword off, v0, s32 offset:424 ; 4-byte Folded Spill
	v_mbcnt_hi_u32_b32 v0, -1, v6
	v_lshl_add_u32 v1, v19, 5, s21
	scratch_store_dword off, v0, s32 offset:392 ; 4-byte Folded Spill
	v_mov_b32_e32 v0, 0xff7fffff
	scratch_store_dword off, v0, s32 offset:384 ; 4-byte Folded Spill
	s_branch .LBB296_13
.LBB296_11:                             ;   in Loop: Header=BB296_13 Depth=1
	s_or_b64 exec, exec, s[36:37]
.LBB296_12:                             ;   in Loop: Header=BB296_13 Depth=1
	s_or_b64 exec, exec, s[6:7]
	s_waitcnt lgkmcnt(0)
	v_accvgpr_read_b32 v0, a46
	v_accvgpr_read_b32 v1, a47
	v_lshl_add_u64 v[0:1], v[0:1], 0, 8
	v_accvgpr_write_b32 a47, v1
	v_accvgpr_write_b32 a46, v0
	scratch_load_dword v0, off, s32 offset:204 ; 4-byte Folded Reload
	v_accvgpr_read_b32 v2, a51
	v_add_u32_e32 v2, 2, v2
	v_accvgpr_read_b32 v1, a45
	v_add_u32_e32 v1, 64, v1
	s_waitcnt vmcnt(0)
	v_cmp_ge_i32_e32 vcc, v2, v0
	v_accvgpr_read_b32 v0, a48
	v_add_u32_e32 v0, 0x100, v0
	s_or_b64 s[24:25], vcc, s[24:25]
	v_accvgpr_write_b32 a48, v0
	s_andn2_b64 exec, exec, s[24:25]
	s_cbranch_execz .LBB296_786
.LBB296_13:                             ; =>This Inner Loop Header: Depth=1
	v_accvgpr_write_b32 a51, v2
	v_ashrrev_i32_e32 v0, 31, v1
	v_mov_b32_e32 v2, v1
	scratch_load_dword v1, off, s32 offset:200 ; 4-byte Folded Reload
	scratch_load_dword v4, off, s32 offset:196 ; 4-byte Folded Reload
	v_accvgpr_write_b32 a45, v2
	s_waitcnt vmcnt(1)
	v_xor_b32_e32 v0, v0, v1
	v_sub_u32_e32 v1, 0, v2
	v_max_i32_e32 v1, v2, v1
	scratch_load_dword v2, off, s32 offset:216 ; 4-byte Folded Reload
	s_waitcnt vmcnt(0)
	v_mul_hi_u32 v2, v1, v2
	v_mul_lo_u32 v3, v2, v4
	v_sub_u32_e32 v1, v1, v3
	v_add_u32_e32 v3, 1, v2
	v_cmp_ge_u32_e32 vcc, v1, v4
	s_nop 1
	v_cndmask_b32_e32 v2, v2, v3, vcc
	v_sub_u32_e32 v3, v1, v4
	v_cndmask_b32_e32 v1, v1, v3, vcc
	v_add_u32_e32 v3, 1, v2
	v_cmp_ge_u32_e32 vcc, v1, v4
	scratch_load_dwordx2 v[4:5], off, s32 offset:352 ; 8-byte Folded Reload
	s_nop 0
	v_cndmask_b32_e32 v1, v2, v3, vcc
	scratch_load_dwordx2 v[2:3], off, s32 offset:208 ; 8-byte Folded Reload
	v_xor_b32_e32 v1, v1, v0
	v_sub_u32_e32 v0, v1, v0
	s_waitcnt vmcnt(0)
	v_add_u32_e32 v1, v0, v2
	v_sub_u32_e32 v3, 0, v1
	v_ashrrev_i32_e32 v2, 31, v1
	v_max_i32_e32 v1, v1, v3
	v_mul_hi_u32 v3, v1, v4
	scratch_load_dword v4, off, s32 offset:348 ; 4-byte Folded Reload
	s_waitcnt vmcnt(0)
	v_mul_lo_u32 v3, v3, v4
	v_sub_u32_e32 v1, v1, v3
	v_sub_u32_e32 v3, v1, v4
	v_cmp_ge_u32_e32 vcc, v1, v4
	s_nop 1
	v_cndmask_b32_e32 v1, v1, v3, vcc
	v_sub_u32_e32 v3, v1, v4
	v_cmp_ge_u32_e32 vcc, v1, v4
	s_nop 1
	v_cndmask_b32_e32 v1, v1, v3, vcc
	v_xor_b32_e32 v1, v1, v2
	v_sub_u32_e32 v1, v1, v2
	v_cmp_ne_u32_e32 vcc, 0, v1
	scratch_load_dword v1, off, s32 offset:220 ; 4-byte Folded Reload
	s_waitcnt vmcnt(0)
	v_cmp_le_i32_e64 s[6:7], v0, v1
	s_and_b64 s[6:7], vcc, s[6:7]
	s_and_b64 s[36:37], s[2:3], s[6:7]
	s_and_saveexec_b64 vcc, s[36:37]
	s_cbranch_execz .LBB296_15
; %bb.14:                               ;   in Loop: Header=BB296_13 Depth=1
	v_accvgpr_read_b32 v0, a48
	s_waitcnt lgkmcnt(0)
	v_add_u32_e32 v0, s19, v0
	v_mov_b32_e32 v1, 0xff7fffff
	ds_write_b32 v0, v1
.LBB296_15:                             ;   in Loop: Header=BB296_13 Depth=1
	s_or_b64 exec, exec, vcc
	s_xor_b64 vcc, s[6:7], -1
	s_and_saveexec_b64 s[6:7], vcc
	s_cbranch_execz .LBB296_12
; %bb.16:                               ;   in Loop: Header=BB296_13 Depth=1
	v_accvgpr_read_b32 v0, a46
	v_accvgpr_read_b32 v1, a47
	flat_load_dword v0, v[0:1]
	s_nop 0
	scratch_load_dwordx2 v[4:5], off, s32 offset:396 ; 8-byte Folded Reload
	scratch_load_dwordx2 v[2:3], off, s32 offset:340 ; 8-byte Folded Reload
                                        ; implicit-def: $sgpr40
	s_waitcnt vmcnt(0) lgkmcnt(0)
	v_mad_i64_i32 v[0:1], vcc, v0, v2, v[4:5]
	scratch_load_dwordx2 v[2:3], off, s32 offset:404 ; 8-byte Folded Reload
	s_mov_b64 vcc, 0
	s_waitcnt vmcnt(0)
	v_lshl_add_u64 v[48:49], v[0:1], 0, v[2:3]
	flat_load_dword v50, v[48:49]
	scratch_load_dwordx2 v[0:1], off, s32 offset:376 ; 8-byte Folded Reload
	s_waitcnt vmcnt(0) lgkmcnt(0)
	v_cmp_gt_i16_sdwa s[36:37], v50, s43 src0_sel:BYTE_0 src1_sel:DWORD
	flat_load_dword v4, v[0:1]
	s_and_saveexec_b64 s[38:39], s[36:37]
	s_xor_b64 s[36:37], exec, s[38:39]
	s_cbranch_execnz .LBB296_522
; %bb.17:                               ;   in Loop: Header=BB296_13 Depth=1
	s_or_saveexec_b64 s[36:37], s[36:37]
	v_mov_b32_e32 v0, s40
	s_xor_b64 exec, exec, s[36:37]
	s_cbranch_execnz .LBB296_525
.LBB296_18:                             ;   in Loop: Header=BB296_13 Depth=1
	s_or_b64 exec, exec, s[36:37]
	s_and_saveexec_b64 s[36:37], vcc
	s_cbranch_execz .LBB296_20
.LBB296_19:                             ;   in Loop: Header=BB296_13 Depth=1
	v_and_b32_e32 v2, 7, v50
	v_ffbh_u32_e32 v0, v2
	v_min_u32_e32 v5, 32, v0
	v_subrev_u32_e32 v0, 28, v5
	v_bfe_u32 v3, v50, 3, 4
	v_lshlrev_b64 v[0:1], v0, v[50:51]
	v_sub_u32_e32 v1, 29, v5
	v_cmp_eq_u32_e32 vcc, 0, v3
	v_and_b32_e32 v0, 7, v0
	s_nop 0
	v_cndmask_b32_e32 v1, v3, v1, vcc
	v_cndmask_b32_e32 v0, v2, v0, vcc
	v_lshlrev_b32_e32 v2, 8, v50
	v_lshl_add_u32 v1, v1, 10, v56
	v_and_or_b32 v1, v2, s45, v1
	v_lshl_or_b32 v0, v0, 7, v1
	v_cvt_f32_f16_e32 v0, v0
.LBB296_20:                             ;   in Loop: Header=BB296_13 Depth=1
	s_or_b64 exec, exec, s[36:37]
	v_lshrrev_b16_e32 v8, 8, v50
	v_cmp_lt_i16_e32 vcc, s43, v8
	s_mov_b64 s[36:37], 0
	scratch_store_dword off, v0, s32 offset:360 ; 4-byte Folded Spill
                                        ; implicit-def: $sgpr46
	s_and_saveexec_b64 s[38:39], vcc
	s_xor_b64 s[38:39], exec, s[38:39]
	s_cbranch_execz .LBB296_24
; %bb.21:                               ;   in Loop: Header=BB296_13 Depth=1
	v_cmp_eq_u16_e32 vcc, s44, v8
	s_mov_b64 s[36:37], -1
                                        ; implicit-def: $sgpr46
	s_and_saveexec_b64 s[40:41], vcc
; %bb.22:                               ;   in Loop: Header=BB296_13 Depth=1
	s_mov_b32 s46, 0x7fc02000
	s_xor_b64 s[36:37], exec, -1
; %bb.23:                               ;   in Loop: Header=BB296_13 Depth=1
	s_or_b64 exec, exec, s[40:41]
	s_and_b64 s[36:37], s[36:37], exec
.LBB296_24:                             ;   in Loop: Header=BB296_13 Depth=1
	s_or_saveexec_b64 s[38:39], s[38:39]
	v_mov_b32_e32 v0, s46
	scratch_store_dword off, v0, s32 offset:224 ; 4-byte Folded Spill
	s_xor_b64 exec, exec, s[38:39]
	s_cbranch_execz .LBB296_26
; %bb.25:                               ;   in Loop: Header=BB296_13 Depth=1
	v_cmp_ne_u16_e32 vcc, 0, v8
	s_andn2_b64 s[36:37], s[36:37], exec
	s_and_b64 vcc, vcc, exec
	v_mov_b32_e32 v0, 0
	s_or_b64 s[36:37], s[36:37], vcc
	scratch_store_dword off, v0, s32 offset:224 ; 4-byte Folded Spill
.LBB296_26:                             ;   in Loop: Header=BB296_13 Depth=1
	s_or_b64 exec, exec, s[38:39]
	s_and_saveexec_b64 s[38:39], s[36:37]
	s_cbranch_execz .LBB296_28
; %bb.27:                               ;   in Loop: Header=BB296_13 Depth=1
	v_and_b32_e32 v2, 7, v8
	v_ffbh_u32_e32 v0, v2
	v_min_u32_e32 v5, 32, v0
	v_subrev_u32_e32 v0, 28, v5
	v_bfe_u32 v3, v8, 3, 4
	v_lshlrev_b64 v[0:1], v0, v[8:9]
	v_sub_u32_e32 v1, 29, v5
	v_cmp_eq_u32_e32 vcc, 0, v3
	v_and_b32_e32 v0, 7, v0
	s_nop 0
	v_cndmask_b32_e32 v1, v3, v1, vcc
	v_cndmask_b32_e32 v0, v2, v0, vcc
	v_lshlrev_b32_e32 v2, 8, v8
	v_lshl_add_u32 v1, v1, 10, v56
	v_and_or_b32 v1, v2, s45, v1
	v_lshl_or_b32 v0, v0, 7, v1
	v_cvt_f32_f16_e32 v0, v0
	scratch_store_dword off, v0, s32 offset:224 ; 4-byte Folded Spill
.LBB296_28:                             ;   in Loop: Header=BB296_13 Depth=1
	s_or_b64 exec, exec, s[38:39]
	v_lshrrev_b32_e32 v8, 16, v50
	v_cmp_gt_i16_sdwa s[36:37], v8, s43 src0_sel:BYTE_0 src1_sel:DWORD
	s_mov_b64 vcc, 0
                                        ; implicit-def: $sgpr40
	s_and_saveexec_b64 s[38:39], s[36:37]
	s_xor_b64 s[36:37], exec, s[38:39]
	s_cbranch_execnz .LBB296_526
; %bb.29:                               ;   in Loop: Header=BB296_13 Depth=1
	s_or_saveexec_b64 s[36:37], s[36:37]
	v_mov_b32_e32 v57, s40
	s_xor_b64 exec, exec, s[36:37]
	s_cbranch_execnz .LBB296_529
.LBB296_30:                             ;   in Loop: Header=BB296_13 Depth=1
	s_or_b64 exec, exec, s[36:37]
	s_and_saveexec_b64 s[36:37], vcc
	s_cbranch_execz .LBB296_32
.LBB296_31:                             ;   in Loop: Header=BB296_13 Depth=1
	v_bfe_u32 v2, v50, 16, 3
	v_ffbh_u32_e32 v0, v2
	v_min_u32_e32 v5, 32, v0
	v_subrev_u32_e32 v0, 28, v5
	v_bfe_u32 v3, v50, 19, 4
	v_lshlrev_b64 v[0:1], v0, v[8:9]
	v_sub_u32_e32 v1, 29, v5
	v_cmp_eq_u32_e32 vcc, 0, v3
	v_and_b32_e32 v0, 7, v0
	s_nop 0
	v_cndmask_b32_e32 v1, v3, v1, vcc
	v_cndmask_b32_e32 v0, v2, v0, vcc
	v_lshlrev_b32_e32 v2, 8, v8
	v_lshl_add_u32 v1, v1, 10, v56
	v_and_or_b32 v1, v2, s45, v1
	v_lshl_or_b32 v0, v0, 7, v1
	v_cvt_f32_f16_e32 v57, v0
.LBB296_32:                             ;   in Loop: Header=BB296_13 Depth=1
	s_or_b64 exec, exec, s[36:37]
	v_lshrrev_b32_e32 v8, 24, v50
	v_cmp_lt_i16_e32 vcc, s43, v8
	s_mov_b64 s[36:37], 0
                                        ; implicit-def: $sgpr46
	s_and_saveexec_b64 s[38:39], vcc
	s_xor_b64 s[38:39], exec, s[38:39]
	s_cbranch_execz .LBB296_36
; %bb.33:                               ;   in Loop: Header=BB296_13 Depth=1
	v_cmp_eq_u16_e32 vcc, s44, v8
	s_mov_b64 s[36:37], -1
                                        ; implicit-def: $sgpr46
	s_and_saveexec_b64 s[40:41], vcc
; %bb.34:                               ;   in Loop: Header=BB296_13 Depth=1
	s_mov_b32 s46, 0x7fc02000
	s_xor_b64 s[36:37], exec, -1
; %bb.35:                               ;   in Loop: Header=BB296_13 Depth=1
	s_or_b64 exec, exec, s[40:41]
	s_and_b64 s[36:37], s[36:37], exec
.LBB296_36:                             ;   in Loop: Header=BB296_13 Depth=1
	s_or_saveexec_b64 s[38:39], s[38:39]
	v_mov_b32_e32 v0, s46
	scratch_store_dword off, v0, s32 offset:228 ; 4-byte Folded Spill
	s_xor_b64 exec, exec, s[38:39]
	s_cbranch_execz .LBB296_38
; %bb.37:                               ;   in Loop: Header=BB296_13 Depth=1
	v_cmp_ne_u16_e32 vcc, 0, v8
	s_andn2_b64 s[36:37], s[36:37], exec
	s_and_b64 vcc, vcc, exec
	v_mov_b32_e32 v0, 0
	s_or_b64 s[36:37], s[36:37], vcc
	scratch_store_dword off, v0, s32 offset:228 ; 4-byte Folded Spill
.LBB296_38:                             ;   in Loop: Header=BB296_13 Depth=1
	s_or_b64 exec, exec, s[38:39]
	s_and_saveexec_b64 s[38:39], s[36:37]
	s_cbranch_execz .LBB296_40
; %bb.39:                               ;   in Loop: Header=BB296_13 Depth=1
	v_bfe_u32 v2, v50, 24, 3
	v_ffbh_u32_e32 v0, v2
	v_min_u32_e32 v5, 32, v0
	v_subrev_u32_e32 v0, 28, v5
	v_bfe_u32 v3, v50, 27, 4
	v_lshlrev_b64 v[0:1], v0, v[8:9]
	v_sub_u32_e32 v1, 29, v5
	v_cmp_eq_u32_e32 vcc, 0, v3
	v_and_b32_e32 v0, 7, v0
	s_nop 0
	v_cndmask_b32_e32 v1, v3, v1, vcc
	v_cndmask_b32_e32 v0, v2, v0, vcc
	v_lshlrev_b32_e32 v2, 8, v8
	v_lshl_add_u32 v1, v1, 10, v56
	v_and_or_b32 v1, v2, s45, v1
	v_lshl_or_b32 v0, v0, 7, v1
	v_cvt_f32_f16_e32 v0, v0
	scratch_store_dword off, v0, s32 offset:228 ; 4-byte Folded Spill
.LBB296_40:                             ;   in Loop: Header=BB296_13 Depth=1
	s_or_b64 exec, exec, s[38:39]
	flat_load_dword v50, v[48:49] offset:8
	s_mov_b64 vcc, 0
                                        ; implicit-def: $sgpr40
	s_waitcnt vmcnt(0) lgkmcnt(0)
	v_cmp_gt_i16_sdwa s[36:37], v50, s43 src0_sel:BYTE_0 src1_sel:DWORD
	s_and_saveexec_b64 s[38:39], s[36:37]
	s_xor_b64 s[36:37], exec, s[38:39]
	s_cbranch_execnz .LBB296_530
; %bb.41:                               ;   in Loop: Header=BB296_13 Depth=1
	s_or_saveexec_b64 s[36:37], s[36:37]
	v_mov_b32_e32 v0, s40
	s_xor_b64 exec, exec, s[36:37]
	s_cbranch_execnz .LBB296_533
.LBB296_42:                             ;   in Loop: Header=BB296_13 Depth=1
	s_or_b64 exec, exec, s[36:37]
	s_and_saveexec_b64 s[36:37], vcc
	s_cbranch_execz .LBB296_44
.LBB296_43:                             ;   in Loop: Header=BB296_13 Depth=1
	v_and_b32_e32 v2, 7, v50
	v_ffbh_u32_e32 v0, v2
	v_min_u32_e32 v5, 32, v0
	v_subrev_u32_e32 v0, 28, v5
	v_bfe_u32 v3, v50, 3, 4
	v_lshlrev_b64 v[0:1], v0, v[50:51]
	v_sub_u32_e32 v1, 29, v5
	v_cmp_eq_u32_e32 vcc, 0, v3
	v_and_b32_e32 v0, 7, v0
	s_nop 0
	v_cndmask_b32_e32 v1, v3, v1, vcc
	v_cndmask_b32_e32 v0, v2, v0, vcc
	v_lshlrev_b32_e32 v2, 8, v50
	v_lshl_add_u32 v1, v1, 10, v56
	v_and_or_b32 v1, v2, s45, v1
	v_lshl_or_b32 v0, v0, 7, v1
	v_cvt_f32_f16_e32 v0, v0
.LBB296_44:                             ;   in Loop: Header=BB296_13 Depth=1
	s_or_b64 exec, exec, s[36:37]
	v_lshrrev_b16_e32 v8, 8, v50
	v_cmp_lt_i16_e32 vcc, s43, v8
	s_mov_b64 s[36:37], 0
	scratch_store_dword off, v0, s32 offset:364 ; 4-byte Folded Spill
                                        ; implicit-def: $sgpr46
	s_and_saveexec_b64 s[38:39], vcc
	s_xor_b64 s[38:39], exec, s[38:39]
	s_cbranch_execnz .LBB296_534
; %bb.45:                               ;   in Loop: Header=BB296_13 Depth=1
	s_or_saveexec_b64 s[38:39], s[38:39]
	v_mov_b32_e32 v41, s46
	s_xor_b64 exec, exec, s[38:39]
	s_cbranch_execnz .LBB296_537
.LBB296_46:                             ;   in Loop: Header=BB296_13 Depth=1
	s_or_b64 exec, exec, s[38:39]
	s_and_saveexec_b64 s[38:39], s[36:37]
	s_cbranch_execz .LBB296_48
.LBB296_47:                             ;   in Loop: Header=BB296_13 Depth=1
	v_and_b32_e32 v2, 7, v8
	v_ffbh_u32_e32 v0, v2
	v_min_u32_e32 v5, 32, v0
	v_subrev_u32_e32 v0, 28, v5
	v_bfe_u32 v3, v8, 3, 4
	v_lshlrev_b64 v[0:1], v0, v[8:9]
	v_sub_u32_e32 v1, 29, v5
	v_cmp_eq_u32_e32 vcc, 0, v3
	v_and_b32_e32 v0, 7, v0
	s_nop 0
	v_cndmask_b32_e32 v1, v3, v1, vcc
	v_cndmask_b32_e32 v0, v2, v0, vcc
	v_lshlrev_b32_e32 v2, 8, v8
	v_lshl_add_u32 v1, v1, 10, v56
	v_and_or_b32 v1, v2, s45, v1
	v_lshl_or_b32 v0, v0, 7, v1
	v_cvt_f32_f16_e32 v41, v0
.LBB296_48:                             ;   in Loop: Header=BB296_13 Depth=1
	s_or_b64 exec, exec, s[38:39]
	v_lshrrev_b32_e32 v8, 16, v50
	v_cmp_gt_i16_sdwa s[36:37], v8, s43 src0_sel:BYTE_0 src1_sel:DWORD
	s_mov_b64 vcc, 0
                                        ; implicit-def: $sgpr40
	s_and_saveexec_b64 s[38:39], s[36:37]
	s_xor_b64 s[36:37], exec, s[38:39]
	s_cbranch_execz .LBB296_52
; %bb.49:                               ;   in Loop: Header=BB296_13 Depth=1
	v_cmp_eq_u16_sdwa s[46:47], v8, s44 src0_sel:BYTE_0 src1_sel:DWORD
	s_mov_b64 vcc, -1
                                        ; implicit-def: $sgpr40
	s_and_saveexec_b64 s[38:39], s[46:47]
; %bb.50:                               ;   in Loop: Header=BB296_13 Depth=1
	s_mov_b32 s40, 0x7fc02000
	s_xor_b64 vcc, exec, -1
; %bb.51:                               ;   in Loop: Header=BB296_13 Depth=1
	s_or_b64 exec, exec, s[38:39]
	s_and_b64 vcc, vcc, exec
.LBB296_52:                             ;   in Loop: Header=BB296_13 Depth=1
	s_or_saveexec_b64 s[36:37], s[36:37]
	v_mov_b32_e32 v0, s40
	scratch_store_dword off, v0, s32 offset:268 ; 4-byte Folded Spill
	s_xor_b64 exec, exec, s[36:37]
	s_cbranch_execz .LBB296_54
; %bb.53:                               ;   in Loop: Header=BB296_13 Depth=1
	v_cmp_ne_u16_sdwa s[38:39], v8, v9 src0_sel:BYTE_0 src1_sel:DWORD
	s_andn2_b64 vcc, vcc, exec
	s_and_b64 s[38:39], s[38:39], exec
	v_mov_b32_e32 v0, 0
	s_or_b64 vcc, vcc, s[38:39]
	scratch_store_dword off, v0, s32 offset:268 ; 4-byte Folded Spill
.LBB296_54:                             ;   in Loop: Header=BB296_13 Depth=1
	s_or_b64 exec, exec, s[36:37]
	s_and_saveexec_b64 s[36:37], vcc
	s_cbranch_execz .LBB296_56
; %bb.55:                               ;   in Loop: Header=BB296_13 Depth=1
	v_bfe_u32 v2, v50, 16, 3
	v_ffbh_u32_e32 v0, v2
	v_min_u32_e32 v5, 32, v0
	v_subrev_u32_e32 v0, 28, v5
	v_bfe_u32 v3, v50, 19, 4
	v_lshlrev_b64 v[0:1], v0, v[8:9]
	v_sub_u32_e32 v1, 29, v5
	v_cmp_eq_u32_e32 vcc, 0, v3
	v_and_b32_e32 v0, 7, v0
	s_nop 0
	v_cndmask_b32_e32 v1, v3, v1, vcc
	v_cndmask_b32_e32 v0, v2, v0, vcc
	v_lshlrev_b32_e32 v2, 8, v8
	v_lshl_add_u32 v1, v1, 10, v56
	v_and_or_b32 v1, v2, s45, v1
	v_lshl_or_b32 v0, v0, 7, v1
	v_cvt_f32_f16_e32 v0, v0
	scratch_store_dword off, v0, s32 offset:268 ; 4-byte Folded Spill
.LBB296_56:                             ;   in Loop: Header=BB296_13 Depth=1
	s_or_b64 exec, exec, s[36:37]
	v_lshrrev_b32_e32 v8, 24, v50
	v_cmp_lt_i16_e32 vcc, s43, v8
	s_mov_b64 s[36:37], 0
                                        ; implicit-def: $sgpr46
	s_and_saveexec_b64 s[38:39], vcc
	s_xor_b64 s[38:39], exec, s[38:39]
	s_cbranch_execz .LBB296_60
; %bb.57:                               ;   in Loop: Header=BB296_13 Depth=1
	v_cmp_eq_u16_e32 vcc, s44, v8
	s_mov_b64 s[36:37], -1
                                        ; implicit-def: $sgpr46
	s_and_saveexec_b64 s[40:41], vcc
; %bb.58:                               ;   in Loop: Header=BB296_13 Depth=1
	s_mov_b32 s46, 0x7fc02000
	s_xor_b64 s[36:37], exec, -1
; %bb.59:                               ;   in Loop: Header=BB296_13 Depth=1
	s_or_b64 exec, exec, s[40:41]
	s_and_b64 s[36:37], s[36:37], exec
.LBB296_60:                             ;   in Loop: Header=BB296_13 Depth=1
	s_or_saveexec_b64 s[38:39], s[38:39]
	v_mov_b32_e32 v0, s46
	scratch_store_dword off, v0, s32 offset:292 ; 4-byte Folded Spill
	s_xor_b64 exec, exec, s[38:39]
	s_cbranch_execz .LBB296_62
; %bb.61:                               ;   in Loop: Header=BB296_13 Depth=1
	v_cmp_ne_u16_e32 vcc, 0, v8
	s_andn2_b64 s[36:37], s[36:37], exec
	s_and_b64 vcc, vcc, exec
	v_mov_b32_e32 v0, 0
	s_or_b64 s[36:37], s[36:37], vcc
	scratch_store_dword off, v0, s32 offset:292 ; 4-byte Folded Spill
.LBB296_62:                             ;   in Loop: Header=BB296_13 Depth=1
	s_or_b64 exec, exec, s[38:39]
	s_and_saveexec_b64 s[38:39], s[36:37]
	s_cbranch_execz .LBB296_64
; %bb.63:                               ;   in Loop: Header=BB296_13 Depth=1
	v_bfe_u32 v2, v50, 24, 3
	v_ffbh_u32_e32 v0, v2
	v_min_u32_e32 v5, 32, v0
	v_subrev_u32_e32 v0, 28, v5
	v_bfe_u32 v3, v50, 27, 4
	v_lshlrev_b64 v[0:1], v0, v[8:9]
	v_sub_u32_e32 v1, 29, v5
	v_cmp_eq_u32_e32 vcc, 0, v3
	v_and_b32_e32 v0, 7, v0
	s_nop 0
	v_cndmask_b32_e32 v1, v3, v1, vcc
	v_cndmask_b32_e32 v0, v2, v0, vcc
	v_lshlrev_b32_e32 v2, 8, v8
	v_lshl_add_u32 v1, v1, 10, v56
	v_and_or_b32 v1, v2, s45, v1
	v_lshl_or_b32 v0, v0, 7, v1
	v_cvt_f32_f16_e32 v0, v0
	scratch_store_dword off, v0, s32 offset:292 ; 4-byte Folded Spill
.LBB296_64:                             ;   in Loop: Header=BB296_13 Depth=1
	s_or_b64 exec, exec, s[38:39]
	flat_load_dword v50, v[48:49] offset:512
	s_mov_b64 vcc, 0
                                        ; implicit-def: $sgpr40
	s_waitcnt vmcnt(0) lgkmcnt(0)
	v_cmp_gt_i16_sdwa s[36:37], v50, s43 src0_sel:BYTE_0 src1_sel:DWORD
	s_and_saveexec_b64 s[38:39], s[36:37]
	s_xor_b64 s[36:37], exec, s[38:39]
	s_cbranch_execnz .LBB296_538
; %bb.65:                               ;   in Loop: Header=BB296_13 Depth=1
	s_or_saveexec_b64 s[36:37], s[36:37]
	v_mov_b32_e32 v0, s40
	s_xor_b64 exec, exec, s[36:37]
	s_cbranch_execnz .LBB296_541
.LBB296_66:                             ;   in Loop: Header=BB296_13 Depth=1
	s_or_b64 exec, exec, s[36:37]
	s_and_saveexec_b64 s[36:37], vcc
	s_cbranch_execz .LBB296_68
.LBB296_67:                             ;   in Loop: Header=BB296_13 Depth=1
	v_and_b32_e32 v2, 7, v50
	v_ffbh_u32_e32 v0, v2
	v_min_u32_e32 v5, 32, v0
	v_subrev_u32_e32 v0, 28, v5
	v_bfe_u32 v3, v50, 3, 4
	v_lshlrev_b64 v[0:1], v0, v[50:51]
	v_sub_u32_e32 v1, 29, v5
	v_cmp_eq_u32_e32 vcc, 0, v3
	v_and_b32_e32 v0, 7, v0
	s_nop 0
	v_cndmask_b32_e32 v1, v3, v1, vcc
	v_cndmask_b32_e32 v0, v2, v0, vcc
	v_lshlrev_b32_e32 v2, 8, v50
	v_lshl_add_u32 v1, v1, 10, v56
	v_and_or_b32 v1, v2, s45, v1
	v_lshl_or_b32 v0, v0, 7, v1
	v_cvt_f32_f16_e32 v0, v0
.LBB296_68:                             ;   in Loop: Header=BB296_13 Depth=1
	s_or_b64 exec, exec, s[36:37]
	v_lshrrev_b16_e32 v8, 8, v50
	v_cmp_lt_i16_e32 vcc, s43, v8
	s_mov_b64 s[36:37], 0
	scratch_store_dword off, v0, s32 offset:368 ; 4-byte Folded Spill
                                        ; implicit-def: $sgpr46
	s_and_saveexec_b64 s[38:39], vcc
	s_xor_b64 s[38:39], exec, s[38:39]
	s_cbranch_execz .LBB296_72
; %bb.69:                               ;   in Loop: Header=BB296_13 Depth=1
	v_cmp_eq_u16_e32 vcc, s44, v8
	s_mov_b64 s[36:37], -1
                                        ; implicit-def: $sgpr46
	s_and_saveexec_b64 s[40:41], vcc
; %bb.70:                               ;   in Loop: Header=BB296_13 Depth=1
	s_mov_b32 s46, 0x7fc02000
	s_xor_b64 s[36:37], exec, -1
; %bb.71:                               ;   in Loop: Header=BB296_13 Depth=1
	s_or_b64 exec, exec, s[40:41]
	s_and_b64 s[36:37], s[36:37], exec
.LBB296_72:                             ;   in Loop: Header=BB296_13 Depth=1
	s_or_saveexec_b64 s[38:39], s[38:39]
	v_mov_b32_e32 v0, s46
	scratch_store_dword off, v0, s32 offset:296 ; 4-byte Folded Spill
	s_xor_b64 exec, exec, s[38:39]
	s_cbranch_execz .LBB296_74
; %bb.73:                               ;   in Loop: Header=BB296_13 Depth=1
	v_cmp_ne_u16_e32 vcc, 0, v8
	s_andn2_b64 s[36:37], s[36:37], exec
	s_and_b64 vcc, vcc, exec
	v_mov_b32_e32 v0, 0
	s_or_b64 s[36:37], s[36:37], vcc
	scratch_store_dword off, v0, s32 offset:296 ; 4-byte Folded Spill
.LBB296_74:                             ;   in Loop: Header=BB296_13 Depth=1
	s_or_b64 exec, exec, s[38:39]
	s_and_saveexec_b64 s[38:39], s[36:37]
	s_cbranch_execz .LBB296_76
; %bb.75:                               ;   in Loop: Header=BB296_13 Depth=1
	v_and_b32_e32 v2, 7, v8
	v_ffbh_u32_e32 v0, v2
	v_min_u32_e32 v5, 32, v0
	v_subrev_u32_e32 v0, 28, v5
	v_bfe_u32 v3, v8, 3, 4
	v_lshlrev_b64 v[0:1], v0, v[8:9]
	v_sub_u32_e32 v1, 29, v5
	v_cmp_eq_u32_e32 vcc, 0, v3
	v_and_b32_e32 v0, 7, v0
	s_nop 0
	v_cndmask_b32_e32 v1, v3, v1, vcc
	v_cndmask_b32_e32 v0, v2, v0, vcc
	v_lshlrev_b32_e32 v2, 8, v8
	v_lshl_add_u32 v1, v1, 10, v56
	v_and_or_b32 v1, v2, s45, v1
	v_lshl_or_b32 v0, v0, 7, v1
	v_cvt_f32_f16_e32 v0, v0
	scratch_store_dword off, v0, s32 offset:296 ; 4-byte Folded Spill
.LBB296_76:                             ;   in Loop: Header=BB296_13 Depth=1
	s_or_b64 exec, exec, s[38:39]
	v_lshrrev_b32_e32 v8, 16, v50
	v_cmp_gt_i16_sdwa s[36:37], v8, s43 src0_sel:BYTE_0 src1_sel:DWORD
	s_mov_b64 vcc, 0
                                        ; implicit-def: $sgpr40
	s_and_saveexec_b64 s[38:39], s[36:37]
	s_xor_b64 s[36:37], exec, s[38:39]
	s_cbranch_execz .LBB296_80
; %bb.77:                               ;   in Loop: Header=BB296_13 Depth=1
	v_cmp_eq_u16_sdwa s[46:47], v8, s44 src0_sel:BYTE_0 src1_sel:DWORD
	s_mov_b64 vcc, -1
                                        ; implicit-def: $sgpr40
	s_and_saveexec_b64 s[38:39], s[46:47]
; %bb.78:                               ;   in Loop: Header=BB296_13 Depth=1
	s_mov_b32 s40, 0x7fc02000
	s_xor_b64 vcc, exec, -1
; %bb.79:                               ;   in Loop: Header=BB296_13 Depth=1
	s_or_b64 exec, exec, s[38:39]
	s_and_b64 vcc, vcc, exec
.LBB296_80:                             ;   in Loop: Header=BB296_13 Depth=1
	s_or_saveexec_b64 s[36:37], s[36:37]
	v_mov_b32_e32 v0, s40
	scratch_store_dword off, v0, s32 offset:232 ; 4-byte Folded Spill
	s_xor_b64 exec, exec, s[36:37]
	s_cbranch_execz .LBB296_82
; %bb.81:                               ;   in Loop: Header=BB296_13 Depth=1
	v_cmp_ne_u16_sdwa s[38:39], v8, v9 src0_sel:BYTE_0 src1_sel:DWORD
	s_andn2_b64 vcc, vcc, exec
	s_and_b64 s[38:39], s[38:39], exec
	v_mov_b32_e32 v0, 0
	s_or_b64 vcc, vcc, s[38:39]
	scratch_store_dword off, v0, s32 offset:232 ; 4-byte Folded Spill
.LBB296_82:                             ;   in Loop: Header=BB296_13 Depth=1
	s_or_b64 exec, exec, s[36:37]
	s_and_saveexec_b64 s[36:37], vcc
	s_cbranch_execz .LBB296_84
; %bb.83:                               ;   in Loop: Header=BB296_13 Depth=1
	v_bfe_u32 v2, v50, 16, 3
	v_ffbh_u32_e32 v0, v2
	v_min_u32_e32 v5, 32, v0
	v_subrev_u32_e32 v0, 28, v5
	v_bfe_u32 v3, v50, 19, 4
	v_lshlrev_b64 v[0:1], v0, v[8:9]
	v_sub_u32_e32 v1, 29, v5
	v_cmp_eq_u32_e32 vcc, 0, v3
	v_and_b32_e32 v0, 7, v0
	s_nop 0
	v_cndmask_b32_e32 v1, v3, v1, vcc
	v_cndmask_b32_e32 v0, v2, v0, vcc
	v_lshlrev_b32_e32 v2, 8, v8
	v_lshl_add_u32 v1, v1, 10, v56
	v_and_or_b32 v1, v2, s45, v1
	v_lshl_or_b32 v0, v0, 7, v1
	v_cvt_f32_f16_e32 v0, v0
	scratch_store_dword off, v0, s32 offset:232 ; 4-byte Folded Spill
.LBB296_84:                             ;   in Loop: Header=BB296_13 Depth=1
	s_or_b64 exec, exec, s[36:37]
	v_lshrrev_b32_e32 v8, 24, v50
	v_cmp_lt_i16_e32 vcc, s43, v8
	s_mov_b64 s[36:37], 0
                                        ; implicit-def: $sgpr46
	s_and_saveexec_b64 s[38:39], vcc
	s_xor_b64 s[38:39], exec, s[38:39]
	s_cbranch_execz .LBB296_88
; %bb.85:                               ;   in Loop: Header=BB296_13 Depth=1
	v_cmp_eq_u16_e32 vcc, s44, v8
	s_mov_b64 s[36:37], -1
                                        ; implicit-def: $sgpr46
	s_and_saveexec_b64 s[40:41], vcc
; %bb.86:                               ;   in Loop: Header=BB296_13 Depth=1
	s_mov_b32 s46, 0x7fc02000
	s_xor_b64 s[36:37], exec, -1
; %bb.87:                               ;   in Loop: Header=BB296_13 Depth=1
	s_or_b64 exec, exec, s[40:41]
	s_and_b64 s[36:37], s[36:37], exec
.LBB296_88:                             ;   in Loop: Header=BB296_13 Depth=1
	s_or_saveexec_b64 s[38:39], s[38:39]
	v_mov_b32_e32 v0, s46
	scratch_store_dword off, v0, s32 offset:236 ; 4-byte Folded Spill
	s_xor_b64 exec, exec, s[38:39]
	s_cbranch_execz .LBB296_90
; %bb.89:                               ;   in Loop: Header=BB296_13 Depth=1
	v_cmp_ne_u16_e32 vcc, 0, v8
	s_andn2_b64 s[36:37], s[36:37], exec
	s_and_b64 vcc, vcc, exec
	v_mov_b32_e32 v0, 0
	s_or_b64 s[36:37], s[36:37], vcc
	scratch_store_dword off, v0, s32 offset:236 ; 4-byte Folded Spill
.LBB296_90:                             ;   in Loop: Header=BB296_13 Depth=1
	s_or_b64 exec, exec, s[38:39]
	s_and_saveexec_b64 s[38:39], s[36:37]
	s_cbranch_execz .LBB296_92
; %bb.91:                               ;   in Loop: Header=BB296_13 Depth=1
	v_bfe_u32 v2, v50, 24, 3
	v_ffbh_u32_e32 v0, v2
	v_min_u32_e32 v5, 32, v0
	v_subrev_u32_e32 v0, 28, v5
	v_bfe_u32 v3, v50, 27, 4
	v_lshlrev_b64 v[0:1], v0, v[8:9]
	v_sub_u32_e32 v1, 29, v5
	v_cmp_eq_u32_e32 vcc, 0, v3
	v_and_b32_e32 v0, 7, v0
	s_nop 0
	v_cndmask_b32_e32 v1, v3, v1, vcc
	v_cndmask_b32_e32 v0, v2, v0, vcc
	v_lshlrev_b32_e32 v2, 8, v8
	v_lshl_add_u32 v1, v1, 10, v56
	v_and_or_b32 v1, v2, s45, v1
	v_lshl_or_b32 v0, v0, 7, v1
	v_cvt_f32_f16_e32 v0, v0
	scratch_store_dword off, v0, s32 offset:236 ; 4-byte Folded Spill
.LBB296_92:                             ;   in Loop: Header=BB296_13 Depth=1
	s_or_b64 exec, exec, s[38:39]
	flat_load_dword v50, v[48:49] offset:520
	s_mov_b64 vcc, 0
                                        ; implicit-def: $sgpr40
	s_waitcnt vmcnt(0) lgkmcnt(0)
	v_cmp_gt_i16_sdwa s[36:37], v50, s43 src0_sel:BYTE_0 src1_sel:DWORD
	s_and_saveexec_b64 s[38:39], s[36:37]
	s_xor_b64 s[36:37], exec, s[38:39]
	s_cbranch_execnz .LBB296_542
; %bb.93:                               ;   in Loop: Header=BB296_13 Depth=1
	s_or_saveexec_b64 s[36:37], s[36:37]
	v_mov_b32_e32 v0, s40
	s_xor_b64 exec, exec, s[36:37]
	s_cbranch_execnz .LBB296_545
.LBB296_94:                             ;   in Loop: Header=BB296_13 Depth=1
	s_or_b64 exec, exec, s[36:37]
	s_and_saveexec_b64 s[36:37], vcc
	s_cbranch_execz .LBB296_96
.LBB296_95:                             ;   in Loop: Header=BB296_13 Depth=1
	v_and_b32_e32 v2, 7, v50
	v_ffbh_u32_e32 v0, v2
	v_min_u32_e32 v5, 32, v0
	v_subrev_u32_e32 v0, 28, v5
	v_bfe_u32 v3, v50, 3, 4
	v_lshlrev_b64 v[0:1], v0, v[50:51]
	v_sub_u32_e32 v1, 29, v5
	v_cmp_eq_u32_e32 vcc, 0, v3
	v_and_b32_e32 v0, 7, v0
	s_nop 0
	v_cndmask_b32_e32 v1, v3, v1, vcc
	v_cndmask_b32_e32 v0, v2, v0, vcc
	v_lshlrev_b32_e32 v2, 8, v50
	v_lshl_add_u32 v1, v1, 10, v56
	v_and_or_b32 v1, v2, s45, v1
	v_lshl_or_b32 v0, v0, 7, v1
	v_cvt_f32_f16_e32 v0, v0
.LBB296_96:                             ;   in Loop: Header=BB296_13 Depth=1
	s_or_b64 exec, exec, s[36:37]
	v_lshrrev_b16_e32 v8, 8, v50
	v_accvgpr_write_b32 a59, v0
	v_cmp_lt_i16_e32 vcc, s43, v8
	s_mov_b64 s[36:37], 0
                                        ; implicit-def: $sgpr46
	s_and_saveexec_b64 s[38:39], vcc
	s_xor_b64 s[38:39], exec, s[38:39]
	s_cbranch_execz .LBB296_100
; %bb.97:                               ;   in Loop: Header=BB296_13 Depth=1
	v_cmp_eq_u16_e32 vcc, s44, v8
	s_mov_b64 s[36:37], -1
                                        ; implicit-def: $sgpr46
	s_and_saveexec_b64 s[40:41], vcc
; %bb.98:                               ;   in Loop: Header=BB296_13 Depth=1
	s_mov_b32 s46, 0x7fc02000
	s_xor_b64 s[36:37], exec, -1
; %bb.99:                               ;   in Loop: Header=BB296_13 Depth=1
	s_or_b64 exec, exec, s[40:41]
	s_and_b64 s[36:37], s[36:37], exec
.LBB296_100:                            ;   in Loop: Header=BB296_13 Depth=1
	s_or_saveexec_b64 s[38:39], s[38:39]
	v_mov_b32_e32 v0, s46
	scratch_store_dword off, v0, s32 offset:240 ; 4-byte Folded Spill
	s_xor_b64 exec, exec, s[38:39]
	s_cbranch_execz .LBB296_102
; %bb.101:                              ;   in Loop: Header=BB296_13 Depth=1
	v_cmp_ne_u16_e32 vcc, 0, v8
	s_andn2_b64 s[36:37], s[36:37], exec
	s_and_b64 vcc, vcc, exec
	v_mov_b32_e32 v0, 0
	s_or_b64 s[36:37], s[36:37], vcc
	scratch_store_dword off, v0, s32 offset:240 ; 4-byte Folded Spill
.LBB296_102:                            ;   in Loop: Header=BB296_13 Depth=1
	s_or_b64 exec, exec, s[38:39]
	s_and_saveexec_b64 s[38:39], s[36:37]
	s_cbranch_execz .LBB296_104
; %bb.103:                              ;   in Loop: Header=BB296_13 Depth=1
	v_and_b32_e32 v2, 7, v8
	v_ffbh_u32_e32 v0, v2
	v_min_u32_e32 v5, 32, v0
	v_subrev_u32_e32 v0, 28, v5
	v_bfe_u32 v3, v8, 3, 4
	v_lshlrev_b64 v[0:1], v0, v[8:9]
	v_sub_u32_e32 v1, 29, v5
	v_cmp_eq_u32_e32 vcc, 0, v3
	v_and_b32_e32 v0, 7, v0
	s_nop 0
	v_cndmask_b32_e32 v1, v3, v1, vcc
	v_cndmask_b32_e32 v0, v2, v0, vcc
	v_lshlrev_b32_e32 v2, 8, v8
	v_lshl_add_u32 v1, v1, 10, v56
	v_and_or_b32 v1, v2, s45, v1
	v_lshl_or_b32 v0, v0, 7, v1
	v_cvt_f32_f16_e32 v0, v0
	scratch_store_dword off, v0, s32 offset:240 ; 4-byte Folded Spill
.LBB296_104:                            ;   in Loop: Header=BB296_13 Depth=1
	s_or_b64 exec, exec, s[38:39]
	v_lshrrev_b32_e32 v8, 16, v50
	v_cmp_gt_i16_sdwa s[36:37], v8, s43 src0_sel:BYTE_0 src1_sel:DWORD
	s_mov_b64 vcc, 0
                                        ; implicit-def: $sgpr40
	s_and_saveexec_b64 s[38:39], s[36:37]
	s_xor_b64 s[36:37], exec, s[38:39]
	s_cbranch_execz .LBB296_108
; %bb.105:                              ;   in Loop: Header=BB296_13 Depth=1
	v_cmp_eq_u16_sdwa s[46:47], v8, s44 src0_sel:BYTE_0 src1_sel:DWORD
	s_mov_b64 vcc, -1
                                        ; implicit-def: $sgpr40
	s_and_saveexec_b64 s[38:39], s[46:47]
; %bb.106:                              ;   in Loop: Header=BB296_13 Depth=1
	s_mov_b32 s40, 0x7fc02000
	s_xor_b64 vcc, exec, -1
; %bb.107:                              ;   in Loop: Header=BB296_13 Depth=1
	s_or_b64 exec, exec, s[38:39]
	s_and_b64 vcc, vcc, exec
.LBB296_108:                            ;   in Loop: Header=BB296_13 Depth=1
	s_or_saveexec_b64 s[36:37], s[36:37]
	v_mov_b32_e32 v0, s40
	scratch_store_dword off, v0, s32 offset:244 ; 4-byte Folded Spill
	s_xor_b64 exec, exec, s[36:37]
	s_cbranch_execz .LBB296_110
; %bb.109:                              ;   in Loop: Header=BB296_13 Depth=1
	v_cmp_ne_u16_sdwa s[38:39], v8, v9 src0_sel:BYTE_0 src1_sel:DWORD
	s_andn2_b64 vcc, vcc, exec
	s_and_b64 s[38:39], s[38:39], exec
	v_mov_b32_e32 v0, 0
	s_or_b64 vcc, vcc, s[38:39]
	scratch_store_dword off, v0, s32 offset:244 ; 4-byte Folded Spill
.LBB296_110:                            ;   in Loop: Header=BB296_13 Depth=1
	s_or_b64 exec, exec, s[36:37]
	s_and_saveexec_b64 s[36:37], vcc
	s_cbranch_execz .LBB296_112
; %bb.111:                              ;   in Loop: Header=BB296_13 Depth=1
	v_bfe_u32 v2, v50, 16, 3
	v_ffbh_u32_e32 v0, v2
	v_min_u32_e32 v5, 32, v0
	v_subrev_u32_e32 v0, 28, v5
	v_bfe_u32 v3, v50, 19, 4
	v_lshlrev_b64 v[0:1], v0, v[8:9]
	v_sub_u32_e32 v1, 29, v5
	v_cmp_eq_u32_e32 vcc, 0, v3
	v_and_b32_e32 v0, 7, v0
	s_nop 0
	v_cndmask_b32_e32 v1, v3, v1, vcc
	v_cndmask_b32_e32 v0, v2, v0, vcc
	v_lshlrev_b32_e32 v2, 8, v8
	v_lshl_add_u32 v1, v1, 10, v56
	v_and_or_b32 v1, v2, s45, v1
	v_lshl_or_b32 v0, v0, 7, v1
	v_cvt_f32_f16_e32 v0, v0
	scratch_store_dword off, v0, s32 offset:244 ; 4-byte Folded Spill
.LBB296_112:                            ;   in Loop: Header=BB296_13 Depth=1
	s_or_b64 exec, exec, s[36:37]
	v_lshrrev_b32_e32 v8, 24, v50
	v_cmp_lt_i16_e32 vcc, s43, v8
	s_mov_b64 s[36:37], 0
                                        ; implicit-def: $sgpr46
	s_and_saveexec_b64 s[38:39], vcc
	s_xor_b64 s[38:39], exec, s[38:39]
	s_cbranch_execz .LBB296_116
; %bb.113:                              ;   in Loop: Header=BB296_13 Depth=1
	v_cmp_eq_u16_e32 vcc, s44, v8
	s_mov_b64 s[36:37], -1
                                        ; implicit-def: $sgpr46
	s_and_saveexec_b64 s[40:41], vcc
; %bb.114:                              ;   in Loop: Header=BB296_13 Depth=1
	s_mov_b32 s46, 0x7fc02000
	s_xor_b64 s[36:37], exec, -1
; %bb.115:                              ;   in Loop: Header=BB296_13 Depth=1
	s_or_b64 exec, exec, s[40:41]
	s_and_b64 s[36:37], s[36:37], exec
.LBB296_116:                            ;   in Loop: Header=BB296_13 Depth=1
	s_or_saveexec_b64 s[38:39], s[38:39]
	v_mov_b32_e32 v0, s46
	scratch_store_dword off, v0, s32 offset:248 ; 4-byte Folded Spill
	s_xor_b64 exec, exec, s[38:39]
	s_cbranch_execz .LBB296_118
; %bb.117:                              ;   in Loop: Header=BB296_13 Depth=1
	v_cmp_ne_u16_e32 vcc, 0, v8
	s_andn2_b64 s[36:37], s[36:37], exec
	s_and_b64 vcc, vcc, exec
	v_mov_b32_e32 v0, 0
	s_or_b64 s[36:37], s[36:37], vcc
	scratch_store_dword off, v0, s32 offset:248 ; 4-byte Folded Spill
.LBB296_118:                            ;   in Loop: Header=BB296_13 Depth=1
	s_or_b64 exec, exec, s[38:39]
	s_and_saveexec_b64 s[38:39], s[36:37]
	s_cbranch_execz .LBB296_120
; %bb.119:                              ;   in Loop: Header=BB296_13 Depth=1
	v_bfe_u32 v2, v50, 24, 3
	v_ffbh_u32_e32 v0, v2
	v_min_u32_e32 v5, 32, v0
	v_subrev_u32_e32 v0, 28, v5
	v_bfe_u32 v3, v50, 27, 4
	v_lshlrev_b64 v[0:1], v0, v[8:9]
	v_sub_u32_e32 v1, 29, v5
	v_cmp_eq_u32_e32 vcc, 0, v3
	v_and_b32_e32 v0, 7, v0
	s_nop 0
	v_cndmask_b32_e32 v1, v3, v1, vcc
	v_cndmask_b32_e32 v0, v2, v0, vcc
	v_lshlrev_b32_e32 v2, 8, v8
	v_lshl_add_u32 v1, v1, 10, v56
	v_and_or_b32 v1, v2, s45, v1
	v_lshl_or_b32 v0, v0, 7, v1
	v_cvt_f32_f16_e32 v0, v0
	scratch_store_dword off, v0, s32 offset:248 ; 4-byte Folded Spill
.LBB296_120:                            ;   in Loop: Header=BB296_13 Depth=1
	s_or_b64 exec, exec, s[38:39]
	flat_load_dword v50, v[48:49] offset:1024
	s_mov_b64 vcc, 0
                                        ; implicit-def: $sgpr40
	s_waitcnt vmcnt(0) lgkmcnt(0)
	v_cmp_gt_i16_sdwa s[36:37], v50, s43 src0_sel:BYTE_0 src1_sel:DWORD
	s_and_saveexec_b64 s[38:39], s[36:37]
	s_xor_b64 s[36:37], exec, s[38:39]
	s_cbranch_execnz .LBB296_546
; %bb.121:                              ;   in Loop: Header=BB296_13 Depth=1
	s_or_saveexec_b64 s[36:37], s[36:37]
	v_mov_b32_e32 v0, s40
	s_xor_b64 exec, exec, s[36:37]
	s_cbranch_execnz .LBB296_549
.LBB296_122:                            ;   in Loop: Header=BB296_13 Depth=1
	s_or_b64 exec, exec, s[36:37]
	s_and_saveexec_b64 s[36:37], vcc
	s_cbranch_execz .LBB296_124
.LBB296_123:                            ;   in Loop: Header=BB296_13 Depth=1
	v_and_b32_e32 v2, 7, v50
	v_ffbh_u32_e32 v0, v2
	v_min_u32_e32 v5, 32, v0
	v_subrev_u32_e32 v0, 28, v5
	v_bfe_u32 v3, v50, 3, 4
	v_lshlrev_b64 v[0:1], v0, v[50:51]
	v_sub_u32_e32 v1, 29, v5
	v_cmp_eq_u32_e32 vcc, 0, v3
	v_and_b32_e32 v0, 7, v0
	s_nop 0
	v_cndmask_b32_e32 v1, v3, v1, vcc
	v_cndmask_b32_e32 v0, v2, v0, vcc
	v_lshlrev_b32_e32 v2, 8, v50
	v_lshl_add_u32 v1, v1, 10, v56
	v_and_or_b32 v1, v2, s45, v1
	v_lshl_or_b32 v0, v0, 7, v1
	v_cvt_f32_f16_e32 v0, v0
.LBB296_124:                            ;   in Loop: Header=BB296_13 Depth=1
	s_or_b64 exec, exec, s[36:37]
	v_lshrrev_b16_e32 v8, 8, v50
	v_accvgpr_write_b32 a61, v0
	v_cmp_lt_i16_e32 vcc, s43, v8
	s_mov_b64 s[36:37], 0
                                        ; implicit-def: $sgpr46
	s_and_saveexec_b64 s[38:39], vcc
	s_xor_b64 s[38:39], exec, s[38:39]
	s_cbranch_execz .LBB296_128
; %bb.125:                              ;   in Loop: Header=BB296_13 Depth=1
	v_cmp_eq_u16_e32 vcc, s44, v8
	s_mov_b64 s[36:37], -1
                                        ; implicit-def: $sgpr46
	s_and_saveexec_b64 s[40:41], vcc
; %bb.126:                              ;   in Loop: Header=BB296_13 Depth=1
	s_mov_b32 s46, 0x7fc02000
	s_xor_b64 s[36:37], exec, -1
; %bb.127:                              ;   in Loop: Header=BB296_13 Depth=1
	s_or_b64 exec, exec, s[40:41]
	s_and_b64 s[36:37], s[36:37], exec
.LBB296_128:                            ;   in Loop: Header=BB296_13 Depth=1
	s_or_saveexec_b64 s[38:39], s[38:39]
	v_mov_b32_e32 v0, s46
	scratch_store_dword off, v0, s32 offset:252 ; 4-byte Folded Spill
	s_xor_b64 exec, exec, s[38:39]
	s_cbranch_execz .LBB296_130
; %bb.129:                              ;   in Loop: Header=BB296_13 Depth=1
	v_cmp_ne_u16_e32 vcc, 0, v8
	s_andn2_b64 s[36:37], s[36:37], exec
	s_and_b64 vcc, vcc, exec
	v_mov_b32_e32 v0, 0
	s_or_b64 s[36:37], s[36:37], vcc
	scratch_store_dword off, v0, s32 offset:252 ; 4-byte Folded Spill
.LBB296_130:                            ;   in Loop: Header=BB296_13 Depth=1
	s_or_b64 exec, exec, s[38:39]
	s_and_saveexec_b64 s[38:39], s[36:37]
	s_cbranch_execz .LBB296_132
; %bb.131:                              ;   in Loop: Header=BB296_13 Depth=1
	v_and_b32_e32 v2, 7, v8
	v_ffbh_u32_e32 v0, v2
	v_min_u32_e32 v5, 32, v0
	v_subrev_u32_e32 v0, 28, v5
	v_bfe_u32 v3, v8, 3, 4
	v_lshlrev_b64 v[0:1], v0, v[8:9]
	v_sub_u32_e32 v1, 29, v5
	v_cmp_eq_u32_e32 vcc, 0, v3
	v_and_b32_e32 v0, 7, v0
	s_nop 0
	v_cndmask_b32_e32 v1, v3, v1, vcc
	v_cndmask_b32_e32 v0, v2, v0, vcc
	v_lshlrev_b32_e32 v2, 8, v8
	v_lshl_add_u32 v1, v1, 10, v56
	v_and_or_b32 v1, v2, s45, v1
	v_lshl_or_b32 v0, v0, 7, v1
	v_cvt_f32_f16_e32 v0, v0
	scratch_store_dword off, v0, s32 offset:252 ; 4-byte Folded Spill
.LBB296_132:                            ;   in Loop: Header=BB296_13 Depth=1
	s_or_b64 exec, exec, s[38:39]
	v_lshrrev_b32_e32 v8, 16, v50
	v_cmp_gt_i16_sdwa s[36:37], v8, s43 src0_sel:BYTE_0 src1_sel:DWORD
	s_mov_b64 vcc, 0
                                        ; implicit-def: $sgpr40
	s_and_saveexec_b64 s[38:39], s[36:37]
	s_xor_b64 s[36:37], exec, s[38:39]
	s_cbranch_execz .LBB296_136
; %bb.133:                              ;   in Loop: Header=BB296_13 Depth=1
	v_cmp_eq_u16_sdwa s[46:47], v8, s44 src0_sel:BYTE_0 src1_sel:DWORD
	s_mov_b64 vcc, -1
                                        ; implicit-def: $sgpr40
	s_and_saveexec_b64 s[38:39], s[46:47]
; %bb.134:                              ;   in Loop: Header=BB296_13 Depth=1
	s_mov_b32 s40, 0x7fc02000
	s_xor_b64 vcc, exec, -1
; %bb.135:                              ;   in Loop: Header=BB296_13 Depth=1
	s_or_b64 exec, exec, s[38:39]
	s_and_b64 vcc, vcc, exec
.LBB296_136:                            ;   in Loop: Header=BB296_13 Depth=1
	s_or_saveexec_b64 s[36:37], s[36:37]
	v_mov_b32_e32 v0, s40
	scratch_store_dword off, v0, s32 offset:256 ; 4-byte Folded Spill
	s_xor_b64 exec, exec, s[36:37]
	s_cbranch_execz .LBB296_138
; %bb.137:                              ;   in Loop: Header=BB296_13 Depth=1
	v_cmp_ne_u16_sdwa s[38:39], v8, v9 src0_sel:BYTE_0 src1_sel:DWORD
	s_andn2_b64 vcc, vcc, exec
	s_and_b64 s[38:39], s[38:39], exec
	v_mov_b32_e32 v0, 0
	s_or_b64 vcc, vcc, s[38:39]
	scratch_store_dword off, v0, s32 offset:256 ; 4-byte Folded Spill
.LBB296_138:                            ;   in Loop: Header=BB296_13 Depth=1
	s_or_b64 exec, exec, s[36:37]
	s_and_saveexec_b64 s[36:37], vcc
	s_cbranch_execz .LBB296_140
; %bb.139:                              ;   in Loop: Header=BB296_13 Depth=1
	v_bfe_u32 v2, v50, 16, 3
	v_ffbh_u32_e32 v0, v2
	v_min_u32_e32 v5, 32, v0
	v_subrev_u32_e32 v0, 28, v5
	v_bfe_u32 v3, v50, 19, 4
	v_lshlrev_b64 v[0:1], v0, v[8:9]
	v_sub_u32_e32 v1, 29, v5
	v_cmp_eq_u32_e32 vcc, 0, v3
	v_and_b32_e32 v0, 7, v0
	s_nop 0
	v_cndmask_b32_e32 v1, v3, v1, vcc
	v_cndmask_b32_e32 v0, v2, v0, vcc
	v_lshlrev_b32_e32 v2, 8, v8
	v_lshl_add_u32 v1, v1, 10, v56
	v_and_or_b32 v1, v2, s45, v1
	v_lshl_or_b32 v0, v0, 7, v1
	v_cvt_f32_f16_e32 v0, v0
	scratch_store_dword off, v0, s32 offset:256 ; 4-byte Folded Spill
.LBB296_140:                            ;   in Loop: Header=BB296_13 Depth=1
	s_or_b64 exec, exec, s[36:37]
	v_lshrrev_b32_e32 v8, 24, v50
	v_cmp_lt_i16_e32 vcc, s43, v8
	s_mov_b64 s[36:37], 0
                                        ; implicit-def: $sgpr46
	s_and_saveexec_b64 s[38:39], vcc
	s_xor_b64 s[38:39], exec, s[38:39]
	s_cbranch_execz .LBB296_144
; %bb.141:                              ;   in Loop: Header=BB296_13 Depth=1
	v_cmp_eq_u16_e32 vcc, s44, v8
	s_mov_b64 s[36:37], -1
                                        ; implicit-def: $sgpr46
	s_and_saveexec_b64 s[40:41], vcc
; %bb.142:                              ;   in Loop: Header=BB296_13 Depth=1
	s_mov_b32 s46, 0x7fc02000
	s_xor_b64 s[36:37], exec, -1
; %bb.143:                              ;   in Loop: Header=BB296_13 Depth=1
	s_or_b64 exec, exec, s[40:41]
	s_and_b64 s[36:37], s[36:37], exec
.LBB296_144:                            ;   in Loop: Header=BB296_13 Depth=1
	s_or_saveexec_b64 s[38:39], s[38:39]
	v_mov_b32_e32 v0, s46
	scratch_store_dword off, v0, s32 offset:260 ; 4-byte Folded Spill
	s_xor_b64 exec, exec, s[38:39]
	s_cbranch_execz .LBB296_146
; %bb.145:                              ;   in Loop: Header=BB296_13 Depth=1
	v_cmp_ne_u16_e32 vcc, 0, v8
	s_andn2_b64 s[36:37], s[36:37], exec
	s_and_b64 vcc, vcc, exec
	v_mov_b32_e32 v0, 0
	s_or_b64 s[36:37], s[36:37], vcc
	scratch_store_dword off, v0, s32 offset:260 ; 4-byte Folded Spill
.LBB296_146:                            ;   in Loop: Header=BB296_13 Depth=1
	s_or_b64 exec, exec, s[38:39]
	s_and_saveexec_b64 s[38:39], s[36:37]
	s_cbranch_execz .LBB296_148
; %bb.147:                              ;   in Loop: Header=BB296_13 Depth=1
	v_bfe_u32 v2, v50, 24, 3
	v_ffbh_u32_e32 v0, v2
	v_min_u32_e32 v5, 32, v0
	v_subrev_u32_e32 v0, 28, v5
	v_bfe_u32 v3, v50, 27, 4
	v_lshlrev_b64 v[0:1], v0, v[8:9]
	v_sub_u32_e32 v1, 29, v5
	v_cmp_eq_u32_e32 vcc, 0, v3
	v_and_b32_e32 v0, 7, v0
	s_nop 0
	v_cndmask_b32_e32 v1, v3, v1, vcc
	v_cndmask_b32_e32 v0, v2, v0, vcc
	v_lshlrev_b32_e32 v2, 8, v8
	v_lshl_add_u32 v1, v1, 10, v56
	v_and_or_b32 v1, v2, s45, v1
	v_lshl_or_b32 v0, v0, 7, v1
	v_cvt_f32_f16_e32 v0, v0
	scratch_store_dword off, v0, s32 offset:260 ; 4-byte Folded Spill
.LBB296_148:                            ;   in Loop: Header=BB296_13 Depth=1
	s_or_b64 exec, exec, s[38:39]
	flat_load_dword v50, v[48:49] offset:1032
	s_mov_b64 vcc, 0
                                        ; implicit-def: $sgpr40
	s_waitcnt vmcnt(0) lgkmcnt(0)
	v_cmp_gt_i16_sdwa s[36:37], v50, s43 src0_sel:BYTE_0 src1_sel:DWORD
	s_and_saveexec_b64 s[38:39], s[36:37]
	s_xor_b64 s[36:37], exec, s[38:39]
	s_cbranch_execnz .LBB296_550
; %bb.149:                              ;   in Loop: Header=BB296_13 Depth=1
	s_or_saveexec_b64 s[36:37], s[36:37]
	v_mov_b32_e32 v0, s40
	s_xor_b64 exec, exec, s[36:37]
	s_cbranch_execnz .LBB296_553
.LBB296_150:                            ;   in Loop: Header=BB296_13 Depth=1
	s_or_b64 exec, exec, s[36:37]
	s_and_saveexec_b64 s[36:37], vcc
	s_cbranch_execz .LBB296_152
.LBB296_151:                            ;   in Loop: Header=BB296_13 Depth=1
	v_and_b32_e32 v2, 7, v50
	v_ffbh_u32_e32 v0, v2
	v_min_u32_e32 v5, 32, v0
	v_subrev_u32_e32 v0, 28, v5
	v_bfe_u32 v3, v50, 3, 4
	v_lshlrev_b64 v[0:1], v0, v[50:51]
	v_sub_u32_e32 v1, 29, v5
	v_cmp_eq_u32_e32 vcc, 0, v3
	v_and_b32_e32 v0, 7, v0
	s_nop 0
	v_cndmask_b32_e32 v1, v3, v1, vcc
	v_cndmask_b32_e32 v0, v2, v0, vcc
	v_lshlrev_b32_e32 v2, 8, v50
	v_lshl_add_u32 v1, v1, 10, v56
	v_and_or_b32 v1, v2, s45, v1
	v_lshl_or_b32 v0, v0, 7, v1
	v_cvt_f32_f16_e32 v0, v0
.LBB296_152:                            ;   in Loop: Header=BB296_13 Depth=1
	s_or_b64 exec, exec, s[36:37]
	v_lshrrev_b16_e32 v8, 8, v50
	v_accvgpr_write_b32 a62, v0
	v_cmp_lt_i16_e32 vcc, s43, v8
	s_mov_b64 s[36:37], 0
                                        ; implicit-def: $sgpr46
	s_and_saveexec_b64 s[38:39], vcc
	s_xor_b64 s[38:39], exec, s[38:39]
	s_cbranch_execz .LBB296_156
; %bb.153:                              ;   in Loop: Header=BB296_13 Depth=1
	v_cmp_eq_u16_e32 vcc, s44, v8
	s_mov_b64 s[36:37], -1
                                        ; implicit-def: $sgpr46
	s_and_saveexec_b64 s[40:41], vcc
; %bb.154:                              ;   in Loop: Header=BB296_13 Depth=1
	s_mov_b32 s46, 0x7fc02000
	s_xor_b64 s[36:37], exec, -1
; %bb.155:                              ;   in Loop: Header=BB296_13 Depth=1
	s_or_b64 exec, exec, s[40:41]
	s_and_b64 s[36:37], s[36:37], exec
.LBB296_156:                            ;   in Loop: Header=BB296_13 Depth=1
	s_or_saveexec_b64 s[38:39], s[38:39]
	v_mov_b32_e32 v0, s46
	scratch_store_dword off, v0, s32 offset:264 ; 4-byte Folded Spill
	s_xor_b64 exec, exec, s[38:39]
	s_cbranch_execz .LBB296_158
; %bb.157:                              ;   in Loop: Header=BB296_13 Depth=1
	v_cmp_ne_u16_e32 vcc, 0, v8
	s_andn2_b64 s[36:37], s[36:37], exec
	s_and_b64 vcc, vcc, exec
	v_mov_b32_e32 v0, 0
	s_or_b64 s[36:37], s[36:37], vcc
	scratch_store_dword off, v0, s32 offset:264 ; 4-byte Folded Spill
.LBB296_158:                            ;   in Loop: Header=BB296_13 Depth=1
	s_or_b64 exec, exec, s[38:39]
	s_and_saveexec_b64 s[38:39], s[36:37]
	s_cbranch_execz .LBB296_160
; %bb.159:                              ;   in Loop: Header=BB296_13 Depth=1
	v_and_b32_e32 v2, 7, v8
	v_ffbh_u32_e32 v0, v2
	v_min_u32_e32 v5, 32, v0
	v_subrev_u32_e32 v0, 28, v5
	v_bfe_u32 v3, v8, 3, 4
	v_lshlrev_b64 v[0:1], v0, v[8:9]
	v_sub_u32_e32 v1, 29, v5
	v_cmp_eq_u32_e32 vcc, 0, v3
	v_and_b32_e32 v0, 7, v0
	s_nop 0
	v_cndmask_b32_e32 v1, v3, v1, vcc
	v_cndmask_b32_e32 v0, v2, v0, vcc
	v_lshlrev_b32_e32 v2, 8, v8
	v_lshl_add_u32 v1, v1, 10, v56
	v_and_or_b32 v1, v2, s45, v1
	v_lshl_or_b32 v0, v0, 7, v1
	v_cvt_f32_f16_e32 v0, v0
	scratch_store_dword off, v0, s32 offset:264 ; 4-byte Folded Spill
.LBB296_160:                            ;   in Loop: Header=BB296_13 Depth=1
	s_or_b64 exec, exec, s[38:39]
	v_lshrrev_b32_e32 v8, 16, v50
	v_cmp_gt_i16_sdwa s[36:37], v8, s43 src0_sel:BYTE_0 src1_sel:DWORD
	s_mov_b64 vcc, 0
                                        ; implicit-def: $sgpr40
	s_and_saveexec_b64 s[38:39], s[36:37]
	s_xor_b64 s[36:37], exec, s[38:39]
	s_cbranch_execz .LBB296_164
; %bb.161:                              ;   in Loop: Header=BB296_13 Depth=1
	v_cmp_eq_u16_sdwa s[46:47], v8, s44 src0_sel:BYTE_0 src1_sel:DWORD
	s_mov_b64 vcc, -1
                                        ; implicit-def: $sgpr40
	s_and_saveexec_b64 s[38:39], s[46:47]
; %bb.162:                              ;   in Loop: Header=BB296_13 Depth=1
	s_mov_b32 s40, 0x7fc02000
	s_xor_b64 vcc, exec, -1
; %bb.163:                              ;   in Loop: Header=BB296_13 Depth=1
	s_or_b64 exec, exec, s[38:39]
	s_and_b64 vcc, vcc, exec
.LBB296_164:                            ;   in Loop: Header=BB296_13 Depth=1
	s_or_saveexec_b64 s[36:37], s[36:37]
	v_mov_b32_e32 v0, s40
	scratch_store_dword off, v0, s32 offset:272 ; 4-byte Folded Spill
	s_xor_b64 exec, exec, s[36:37]
	s_cbranch_execz .LBB296_166
; %bb.165:                              ;   in Loop: Header=BB296_13 Depth=1
	v_cmp_ne_u16_sdwa s[38:39], v8, v9 src0_sel:BYTE_0 src1_sel:DWORD
	s_andn2_b64 vcc, vcc, exec
	s_and_b64 s[38:39], s[38:39], exec
	v_mov_b32_e32 v0, 0
	s_or_b64 vcc, vcc, s[38:39]
	scratch_store_dword off, v0, s32 offset:272 ; 4-byte Folded Spill
.LBB296_166:                            ;   in Loop: Header=BB296_13 Depth=1
	s_or_b64 exec, exec, s[36:37]
	s_and_saveexec_b64 s[36:37], vcc
	s_cbranch_execz .LBB296_168
; %bb.167:                              ;   in Loop: Header=BB296_13 Depth=1
	v_bfe_u32 v2, v50, 16, 3
	v_ffbh_u32_e32 v0, v2
	v_min_u32_e32 v5, 32, v0
	v_subrev_u32_e32 v0, 28, v5
	v_bfe_u32 v3, v50, 19, 4
	v_lshlrev_b64 v[0:1], v0, v[8:9]
	v_sub_u32_e32 v1, 29, v5
	v_cmp_eq_u32_e32 vcc, 0, v3
	v_and_b32_e32 v0, 7, v0
	s_nop 0
	v_cndmask_b32_e32 v1, v3, v1, vcc
	v_cndmask_b32_e32 v0, v2, v0, vcc
	v_lshlrev_b32_e32 v2, 8, v8
	v_lshl_add_u32 v1, v1, 10, v56
	v_and_or_b32 v1, v2, s45, v1
	v_lshl_or_b32 v0, v0, 7, v1
	v_cvt_f32_f16_e32 v0, v0
	scratch_store_dword off, v0, s32 offset:272 ; 4-byte Folded Spill
.LBB296_168:                            ;   in Loop: Header=BB296_13 Depth=1
	s_or_b64 exec, exec, s[36:37]
	v_lshrrev_b32_e32 v8, 24, v50
	v_cmp_lt_i16_e32 vcc, s43, v8
	s_mov_b64 s[36:37], 0
                                        ; implicit-def: $sgpr46
	s_and_saveexec_b64 s[38:39], vcc
	s_xor_b64 s[38:39], exec, s[38:39]
	s_cbranch_execz .LBB296_172
; %bb.169:                              ;   in Loop: Header=BB296_13 Depth=1
	v_cmp_eq_u16_e32 vcc, s44, v8
	s_mov_b64 s[36:37], -1
                                        ; implicit-def: $sgpr46
	s_and_saveexec_b64 s[40:41], vcc
; %bb.170:                              ;   in Loop: Header=BB296_13 Depth=1
	s_mov_b32 s46, 0x7fc02000
	s_xor_b64 s[36:37], exec, -1
; %bb.171:                              ;   in Loop: Header=BB296_13 Depth=1
	s_or_b64 exec, exec, s[40:41]
	s_and_b64 s[36:37], s[36:37], exec
.LBB296_172:                            ;   in Loop: Header=BB296_13 Depth=1
	s_or_saveexec_b64 s[38:39], s[38:39]
	v_mov_b32_e32 v0, s46
	scratch_store_dword off, v0, s32 offset:276 ; 4-byte Folded Spill
	s_xor_b64 exec, exec, s[38:39]
	s_cbranch_execz .LBB296_174
; %bb.173:                              ;   in Loop: Header=BB296_13 Depth=1
	v_cmp_ne_u16_e32 vcc, 0, v8
	s_andn2_b64 s[36:37], s[36:37], exec
	s_and_b64 vcc, vcc, exec
	v_mov_b32_e32 v0, 0
	s_or_b64 s[36:37], s[36:37], vcc
	scratch_store_dword off, v0, s32 offset:276 ; 4-byte Folded Spill
.LBB296_174:                            ;   in Loop: Header=BB296_13 Depth=1
	s_or_b64 exec, exec, s[38:39]
	s_and_saveexec_b64 s[38:39], s[36:37]
	s_cbranch_execz .LBB296_176
; %bb.175:                              ;   in Loop: Header=BB296_13 Depth=1
	v_bfe_u32 v2, v50, 24, 3
	v_ffbh_u32_e32 v0, v2
	v_min_u32_e32 v5, 32, v0
	v_subrev_u32_e32 v0, 28, v5
	v_bfe_u32 v3, v50, 27, 4
	v_lshlrev_b64 v[0:1], v0, v[8:9]
	v_sub_u32_e32 v1, 29, v5
	v_cmp_eq_u32_e32 vcc, 0, v3
	v_and_b32_e32 v0, 7, v0
	s_nop 0
	v_cndmask_b32_e32 v1, v3, v1, vcc
	v_cndmask_b32_e32 v0, v2, v0, vcc
	v_lshlrev_b32_e32 v2, 8, v8
	v_lshl_add_u32 v1, v1, 10, v56
	v_and_or_b32 v1, v2, s45, v1
	v_lshl_or_b32 v0, v0, 7, v1
	v_cvt_f32_f16_e32 v0, v0
	scratch_store_dword off, v0, s32 offset:276 ; 4-byte Folded Spill
.LBB296_176:                            ;   in Loop: Header=BB296_13 Depth=1
	s_or_b64 exec, exec, s[38:39]
	flat_load_dword v50, v[48:49] offset:1536
	s_mov_b64 vcc, 0
                                        ; implicit-def: $sgpr40
	s_waitcnt vmcnt(0) lgkmcnt(0)
	v_cmp_gt_i16_sdwa s[36:37], v50, s43 src0_sel:BYTE_0 src1_sel:DWORD
	s_and_saveexec_b64 s[38:39], s[36:37]
	s_xor_b64 s[36:37], exec, s[38:39]
	s_cbranch_execnz .LBB296_554
; %bb.177:                              ;   in Loop: Header=BB296_13 Depth=1
	s_or_saveexec_b64 s[36:37], s[36:37]
	v_mov_b32_e32 v0, s40
	s_xor_b64 exec, exec, s[36:37]
	s_cbranch_execnz .LBB296_557
.LBB296_178:                            ;   in Loop: Header=BB296_13 Depth=1
	s_or_b64 exec, exec, s[36:37]
	s_and_saveexec_b64 s[36:37], vcc
	s_cbranch_execz .LBB296_180
.LBB296_179:                            ;   in Loop: Header=BB296_13 Depth=1
	v_and_b32_e32 v2, 7, v50
	v_ffbh_u32_e32 v0, v2
	v_min_u32_e32 v5, 32, v0
	v_subrev_u32_e32 v0, 28, v5
	v_bfe_u32 v3, v50, 3, 4
	v_lshlrev_b64 v[0:1], v0, v[50:51]
	v_sub_u32_e32 v1, 29, v5
	v_cmp_eq_u32_e32 vcc, 0, v3
	v_and_b32_e32 v0, 7, v0
	s_nop 0
	v_cndmask_b32_e32 v1, v3, v1, vcc
	v_cndmask_b32_e32 v0, v2, v0, vcc
	v_lshlrev_b32_e32 v2, 8, v50
	v_lshl_add_u32 v1, v1, 10, v56
	v_and_or_b32 v1, v2, s45, v1
	v_lshl_or_b32 v0, v0, 7, v1
	v_cvt_f32_f16_e32 v0, v0
.LBB296_180:                            ;   in Loop: Header=BB296_13 Depth=1
	s_or_b64 exec, exec, s[36:37]
	v_lshrrev_b16_e32 v8, 8, v50
	v_accvgpr_write_b32 a63, v0
	v_cmp_lt_i16_e32 vcc, s43, v8
	s_mov_b64 s[36:37], 0
                                        ; implicit-def: $sgpr46
	s_and_saveexec_b64 s[38:39], vcc
	s_xor_b64 s[38:39], exec, s[38:39]
	s_cbranch_execz .LBB296_184
; %bb.181:                              ;   in Loop: Header=BB296_13 Depth=1
	v_cmp_eq_u16_e32 vcc, s44, v8
	s_mov_b64 s[36:37], -1
                                        ; implicit-def: $sgpr46
	s_and_saveexec_b64 s[40:41], vcc
; %bb.182:                              ;   in Loop: Header=BB296_13 Depth=1
	s_mov_b32 s46, 0x7fc02000
	s_xor_b64 s[36:37], exec, -1
; %bb.183:                              ;   in Loop: Header=BB296_13 Depth=1
	s_or_b64 exec, exec, s[40:41]
	s_and_b64 s[36:37], s[36:37], exec
.LBB296_184:                            ;   in Loop: Header=BB296_13 Depth=1
	s_or_saveexec_b64 s[38:39], s[38:39]
	v_mov_b32_e32 v0, s46
	scratch_store_dword off, v0, s32 offset:280 ; 4-byte Folded Spill
	s_xor_b64 exec, exec, s[38:39]
	s_cbranch_execz .LBB296_186
; %bb.185:                              ;   in Loop: Header=BB296_13 Depth=1
	v_cmp_ne_u16_e32 vcc, 0, v8
	s_andn2_b64 s[36:37], s[36:37], exec
	s_and_b64 vcc, vcc, exec
	v_mov_b32_e32 v0, 0
	s_or_b64 s[36:37], s[36:37], vcc
	scratch_store_dword off, v0, s32 offset:280 ; 4-byte Folded Spill
.LBB296_186:                            ;   in Loop: Header=BB296_13 Depth=1
	s_or_b64 exec, exec, s[38:39]
	s_and_saveexec_b64 s[38:39], s[36:37]
	s_cbranch_execz .LBB296_188
; %bb.187:                              ;   in Loop: Header=BB296_13 Depth=1
	v_and_b32_e32 v2, 7, v8
	v_ffbh_u32_e32 v0, v2
	v_min_u32_e32 v5, 32, v0
	v_subrev_u32_e32 v0, 28, v5
	v_bfe_u32 v3, v8, 3, 4
	v_lshlrev_b64 v[0:1], v0, v[8:9]
	v_sub_u32_e32 v1, 29, v5
	v_cmp_eq_u32_e32 vcc, 0, v3
	v_and_b32_e32 v0, 7, v0
	s_nop 0
	v_cndmask_b32_e32 v1, v3, v1, vcc
	v_cndmask_b32_e32 v0, v2, v0, vcc
	v_lshlrev_b32_e32 v2, 8, v8
	v_lshl_add_u32 v1, v1, 10, v56
	v_and_or_b32 v1, v2, s45, v1
	v_lshl_or_b32 v0, v0, 7, v1
	v_cvt_f32_f16_e32 v0, v0
	scratch_store_dword off, v0, s32 offset:280 ; 4-byte Folded Spill
.LBB296_188:                            ;   in Loop: Header=BB296_13 Depth=1
	s_or_b64 exec, exec, s[38:39]
	v_lshrrev_b32_e32 v8, 16, v50
	v_cmp_gt_i16_sdwa s[36:37], v8, s43 src0_sel:BYTE_0 src1_sel:DWORD
	s_mov_b64 vcc, 0
                                        ; implicit-def: $sgpr40
	s_and_saveexec_b64 s[38:39], s[36:37]
	s_xor_b64 s[36:37], exec, s[38:39]
	s_cbranch_execz .LBB296_192
; %bb.189:                              ;   in Loop: Header=BB296_13 Depth=1
	v_cmp_eq_u16_sdwa s[46:47], v8, s44 src0_sel:BYTE_0 src1_sel:DWORD
	s_mov_b64 vcc, -1
                                        ; implicit-def: $sgpr40
	s_and_saveexec_b64 s[38:39], s[46:47]
; %bb.190:                              ;   in Loop: Header=BB296_13 Depth=1
	s_mov_b32 s40, 0x7fc02000
	s_xor_b64 vcc, exec, -1
; %bb.191:                              ;   in Loop: Header=BB296_13 Depth=1
	s_or_b64 exec, exec, s[38:39]
	s_and_b64 vcc, vcc, exec
.LBB296_192:                            ;   in Loop: Header=BB296_13 Depth=1
	s_or_saveexec_b64 s[36:37], s[36:37]
	v_mov_b32_e32 v0, s40
	scratch_store_dword off, v0, s32 offset:284 ; 4-byte Folded Spill
	s_xor_b64 exec, exec, s[36:37]
	s_cbranch_execz .LBB296_194
; %bb.193:                              ;   in Loop: Header=BB296_13 Depth=1
	v_cmp_ne_u16_sdwa s[38:39], v8, v9 src0_sel:BYTE_0 src1_sel:DWORD
	s_andn2_b64 vcc, vcc, exec
	s_and_b64 s[38:39], s[38:39], exec
	v_mov_b32_e32 v0, 0
	s_or_b64 vcc, vcc, s[38:39]
	scratch_store_dword off, v0, s32 offset:284 ; 4-byte Folded Spill
.LBB296_194:                            ;   in Loop: Header=BB296_13 Depth=1
	s_or_b64 exec, exec, s[36:37]
	s_and_saveexec_b64 s[36:37], vcc
	s_cbranch_execz .LBB296_196
; %bb.195:                              ;   in Loop: Header=BB296_13 Depth=1
	v_bfe_u32 v2, v50, 16, 3
	v_ffbh_u32_e32 v0, v2
	v_min_u32_e32 v5, 32, v0
	v_subrev_u32_e32 v0, 28, v5
	v_bfe_u32 v3, v50, 19, 4
	v_lshlrev_b64 v[0:1], v0, v[8:9]
	v_sub_u32_e32 v1, 29, v5
	v_cmp_eq_u32_e32 vcc, 0, v3
	v_and_b32_e32 v0, 7, v0
	s_nop 0
	v_cndmask_b32_e32 v1, v3, v1, vcc
	v_cndmask_b32_e32 v0, v2, v0, vcc
	v_lshlrev_b32_e32 v2, 8, v8
	v_lshl_add_u32 v1, v1, 10, v56
	v_and_or_b32 v1, v2, s45, v1
	v_lshl_or_b32 v0, v0, 7, v1
	v_cvt_f32_f16_e32 v0, v0
	scratch_store_dword off, v0, s32 offset:284 ; 4-byte Folded Spill
.LBB296_196:                            ;   in Loop: Header=BB296_13 Depth=1
	s_or_b64 exec, exec, s[36:37]
	v_lshrrev_b32_e32 v8, 24, v50
	v_cmp_lt_i16_e32 vcc, s43, v8
	s_mov_b64 s[36:37], 0
                                        ; implicit-def: $sgpr46
	s_and_saveexec_b64 s[38:39], vcc
	s_xor_b64 s[38:39], exec, s[38:39]
	s_cbranch_execz .LBB296_200
; %bb.197:                              ;   in Loop: Header=BB296_13 Depth=1
	v_cmp_eq_u16_e32 vcc, s44, v8
	s_mov_b64 s[36:37], -1
                                        ; implicit-def: $sgpr46
	s_and_saveexec_b64 s[40:41], vcc
; %bb.198:                              ;   in Loop: Header=BB296_13 Depth=1
	s_mov_b32 s46, 0x7fc02000
	s_xor_b64 s[36:37], exec, -1
; %bb.199:                              ;   in Loop: Header=BB296_13 Depth=1
	s_or_b64 exec, exec, s[40:41]
	s_and_b64 s[36:37], s[36:37], exec
.LBB296_200:                            ;   in Loop: Header=BB296_13 Depth=1
	s_or_saveexec_b64 s[38:39], s[38:39]
	v_mov_b32_e32 v0, s46
	scratch_store_dword off, v0, s32 offset:288 ; 4-byte Folded Spill
	s_xor_b64 exec, exec, s[38:39]
	s_cbranch_execz .LBB296_202
; %bb.201:                              ;   in Loop: Header=BB296_13 Depth=1
	v_cmp_ne_u16_e32 vcc, 0, v8
	s_andn2_b64 s[36:37], s[36:37], exec
	s_and_b64 vcc, vcc, exec
	v_mov_b32_e32 v0, 0
	s_or_b64 s[36:37], s[36:37], vcc
	scratch_store_dword off, v0, s32 offset:288 ; 4-byte Folded Spill
.LBB296_202:                            ;   in Loop: Header=BB296_13 Depth=1
	s_or_b64 exec, exec, s[38:39]
	s_and_saveexec_b64 s[38:39], s[36:37]
	s_cbranch_execz .LBB296_204
; %bb.203:                              ;   in Loop: Header=BB296_13 Depth=1
	v_bfe_u32 v2, v50, 24, 3
	v_ffbh_u32_e32 v0, v2
	v_min_u32_e32 v5, 32, v0
	v_subrev_u32_e32 v0, 28, v5
	v_bfe_u32 v3, v50, 27, 4
	v_lshlrev_b64 v[0:1], v0, v[8:9]
	v_sub_u32_e32 v1, 29, v5
	v_cmp_eq_u32_e32 vcc, 0, v3
	v_and_b32_e32 v0, 7, v0
	s_nop 0
	v_cndmask_b32_e32 v1, v3, v1, vcc
	v_cndmask_b32_e32 v0, v2, v0, vcc
	v_lshlrev_b32_e32 v2, 8, v8
	v_lshl_add_u32 v1, v1, 10, v56
	v_and_or_b32 v1, v2, s45, v1
	v_lshl_or_b32 v0, v0, 7, v1
	v_cvt_f32_f16_e32 v0, v0
	scratch_store_dword off, v0, s32 offset:288 ; 4-byte Folded Spill
.LBB296_204:                            ;   in Loop: Header=BB296_13 Depth=1
	s_or_b64 exec, exec, s[38:39]
	flat_load_dword v50, v[48:49] offset:1544
	s_mov_b64 vcc, 0
                                        ; implicit-def: $sgpr40
	s_waitcnt vmcnt(0) lgkmcnt(0)
	v_cmp_gt_i16_sdwa s[36:37], v50, s43 src0_sel:BYTE_0 src1_sel:DWORD
	s_and_saveexec_b64 s[38:39], s[36:37]
	s_xor_b64 s[36:37], exec, s[38:39]
	s_cbranch_execnz .LBB296_558
; %bb.205:                              ;   in Loop: Header=BB296_13 Depth=1
	s_or_saveexec_b64 s[36:37], s[36:37]
	v_mov_b32_e32 v0, s40
	s_xor_b64 exec, exec, s[36:37]
	s_cbranch_execnz .LBB296_561
.LBB296_206:                            ;   in Loop: Header=BB296_13 Depth=1
	s_or_b64 exec, exec, s[36:37]
	s_and_saveexec_b64 s[36:37], vcc
	s_cbranch_execz .LBB296_208
.LBB296_207:                            ;   in Loop: Header=BB296_13 Depth=1
	v_and_b32_e32 v2, 7, v50
	v_ffbh_u32_e32 v0, v2
	v_min_u32_e32 v5, 32, v0
	v_subrev_u32_e32 v0, 28, v5
	v_bfe_u32 v3, v50, 3, 4
	v_lshlrev_b64 v[0:1], v0, v[50:51]
	v_sub_u32_e32 v1, 29, v5
	v_cmp_eq_u32_e32 vcc, 0, v3
	v_and_b32_e32 v0, 7, v0
	s_nop 0
	v_cndmask_b32_e32 v1, v3, v1, vcc
	v_cndmask_b32_e32 v0, v2, v0, vcc
	v_lshlrev_b32_e32 v2, 8, v50
	v_lshl_add_u32 v1, v1, 10, v56
	v_and_or_b32 v1, v2, s45, v1
	v_lshl_or_b32 v0, v0, 7, v1
	v_cvt_f32_f16_e32 v0, v0
.LBB296_208:                            ;   in Loop: Header=BB296_13 Depth=1
	s_or_b64 exec, exec, s[36:37]
	v_lshrrev_b16_e32 v8, 8, v50
	v_accvgpr_write_b32 a29, v0
	v_cmp_lt_i16_e32 vcc, s43, v8
	s_mov_b64 s[36:37], 0
                                        ; implicit-def: $sgpr46
	s_and_saveexec_b64 s[38:39], vcc
	s_xor_b64 s[38:39], exec, s[38:39]
	s_cbranch_execz .LBB296_212
; %bb.209:                              ;   in Loop: Header=BB296_13 Depth=1
	v_cmp_eq_u16_e32 vcc, s44, v8
	s_mov_b64 s[36:37], -1
                                        ; implicit-def: $sgpr46
	s_and_saveexec_b64 s[40:41], vcc
; %bb.210:                              ;   in Loop: Header=BB296_13 Depth=1
	s_mov_b32 s46, 0x7fc02000
	s_xor_b64 s[36:37], exec, -1
; %bb.211:                              ;   in Loop: Header=BB296_13 Depth=1
	s_or_b64 exec, exec, s[40:41]
	s_and_b64 s[36:37], s[36:37], exec
.LBB296_212:                            ;   in Loop: Header=BB296_13 Depth=1
	s_or_saveexec_b64 s[38:39], s[38:39]
	v_mov_b32_e32 v0, s46
	scratch_store_dword off, v0, s32 offset:300 ; 4-byte Folded Spill
	s_xor_b64 exec, exec, s[38:39]
	s_cbranch_execz .LBB296_214
; %bb.213:                              ;   in Loop: Header=BB296_13 Depth=1
	v_cmp_ne_u16_e32 vcc, 0, v8
	s_andn2_b64 s[36:37], s[36:37], exec
	s_and_b64 vcc, vcc, exec
	v_mov_b32_e32 v0, 0
	s_or_b64 s[36:37], s[36:37], vcc
	scratch_store_dword off, v0, s32 offset:300 ; 4-byte Folded Spill
.LBB296_214:                            ;   in Loop: Header=BB296_13 Depth=1
	s_or_b64 exec, exec, s[38:39]
	s_and_saveexec_b64 s[38:39], s[36:37]
	s_cbranch_execz .LBB296_216
; %bb.215:                              ;   in Loop: Header=BB296_13 Depth=1
	v_and_b32_e32 v2, 7, v8
	v_ffbh_u32_e32 v0, v2
	v_min_u32_e32 v5, 32, v0
	v_subrev_u32_e32 v0, 28, v5
	v_bfe_u32 v3, v8, 3, 4
	v_lshlrev_b64 v[0:1], v0, v[8:9]
	v_sub_u32_e32 v1, 29, v5
	v_cmp_eq_u32_e32 vcc, 0, v3
	v_and_b32_e32 v0, 7, v0
	s_nop 0
	v_cndmask_b32_e32 v1, v3, v1, vcc
	v_cndmask_b32_e32 v0, v2, v0, vcc
	v_lshlrev_b32_e32 v2, 8, v8
	v_lshl_add_u32 v1, v1, 10, v56
	v_and_or_b32 v1, v2, s45, v1
	v_lshl_or_b32 v0, v0, 7, v1
	v_cvt_f32_f16_e32 v0, v0
	scratch_store_dword off, v0, s32 offset:300 ; 4-byte Folded Spill
.LBB296_216:                            ;   in Loop: Header=BB296_13 Depth=1
	s_or_b64 exec, exec, s[38:39]
	v_lshrrev_b32_e32 v8, 16, v50
	v_cmp_gt_i16_sdwa s[36:37], v8, s43 src0_sel:BYTE_0 src1_sel:DWORD
	s_mov_b64 vcc, 0
                                        ; implicit-def: $sgpr40
	s_and_saveexec_b64 s[38:39], s[36:37]
	s_xor_b64 s[36:37], exec, s[38:39]
	s_cbranch_execz .LBB296_220
; %bb.217:                              ;   in Loop: Header=BB296_13 Depth=1
	v_cmp_eq_u16_sdwa s[46:47], v8, s44 src0_sel:BYTE_0 src1_sel:DWORD
	s_mov_b64 vcc, -1
                                        ; implicit-def: $sgpr40
	s_and_saveexec_b64 s[38:39], s[46:47]
; %bb.218:                              ;   in Loop: Header=BB296_13 Depth=1
	s_mov_b32 s40, 0x7fc02000
	s_xor_b64 vcc, exec, -1
; %bb.219:                              ;   in Loop: Header=BB296_13 Depth=1
	s_or_b64 exec, exec, s[38:39]
	s_and_b64 vcc, vcc, exec
.LBB296_220:                            ;   in Loop: Header=BB296_13 Depth=1
	s_or_saveexec_b64 s[36:37], s[36:37]
	v_mov_b32_e32 v0, s40
	scratch_store_dword off, v0, s32 offset:304 ; 4-byte Folded Spill
	s_xor_b64 exec, exec, s[36:37]
	s_cbranch_execz .LBB296_222
; %bb.221:                              ;   in Loop: Header=BB296_13 Depth=1
	v_cmp_ne_u16_sdwa s[38:39], v8, v9 src0_sel:BYTE_0 src1_sel:DWORD
	s_andn2_b64 vcc, vcc, exec
	s_and_b64 s[38:39], s[38:39], exec
	v_mov_b32_e32 v0, 0
	s_or_b64 vcc, vcc, s[38:39]
	scratch_store_dword off, v0, s32 offset:304 ; 4-byte Folded Spill
.LBB296_222:                            ;   in Loop: Header=BB296_13 Depth=1
	s_or_b64 exec, exec, s[36:37]
	s_and_saveexec_b64 s[36:37], vcc
	s_cbranch_execz .LBB296_224
; %bb.223:                              ;   in Loop: Header=BB296_13 Depth=1
	v_bfe_u32 v2, v50, 16, 3
	v_ffbh_u32_e32 v0, v2
	v_min_u32_e32 v5, 32, v0
	v_subrev_u32_e32 v0, 28, v5
	v_bfe_u32 v3, v50, 19, 4
	v_lshlrev_b64 v[0:1], v0, v[8:9]
	v_sub_u32_e32 v1, 29, v5
	v_cmp_eq_u32_e32 vcc, 0, v3
	v_and_b32_e32 v0, 7, v0
	s_nop 0
	v_cndmask_b32_e32 v1, v3, v1, vcc
	v_cndmask_b32_e32 v0, v2, v0, vcc
	v_lshlrev_b32_e32 v2, 8, v8
	v_lshl_add_u32 v1, v1, 10, v56
	v_and_or_b32 v1, v2, s45, v1
	v_lshl_or_b32 v0, v0, 7, v1
	v_cvt_f32_f16_e32 v0, v0
	scratch_store_dword off, v0, s32 offset:304 ; 4-byte Folded Spill
.LBB296_224:                            ;   in Loop: Header=BB296_13 Depth=1
	s_or_b64 exec, exec, s[36:37]
	v_lshrrev_b32_e32 v8, 24, v50
	v_cmp_lt_i16_e32 vcc, s43, v8
	s_mov_b64 s[36:37], 0
                                        ; implicit-def: $sgpr46
	s_and_saveexec_b64 s[38:39], vcc
	s_xor_b64 s[38:39], exec, s[38:39]
	s_cbranch_execz .LBB296_228
; %bb.225:                              ;   in Loop: Header=BB296_13 Depth=1
	v_cmp_eq_u16_e32 vcc, s44, v8
	s_mov_b64 s[36:37], -1
                                        ; implicit-def: $sgpr46
	s_and_saveexec_b64 s[40:41], vcc
; %bb.226:                              ;   in Loop: Header=BB296_13 Depth=1
	s_mov_b32 s46, 0x7fc02000
	s_xor_b64 s[36:37], exec, -1
; %bb.227:                              ;   in Loop: Header=BB296_13 Depth=1
	s_or_b64 exec, exec, s[40:41]
	s_and_b64 s[36:37], s[36:37], exec
.LBB296_228:                            ;   in Loop: Header=BB296_13 Depth=1
	s_or_saveexec_b64 s[38:39], s[38:39]
	v_mov_b32_e32 v0, s46
	scratch_store_dword off, v0, s32 offset:308 ; 4-byte Folded Spill
	s_xor_b64 exec, exec, s[38:39]
	s_cbranch_execz .LBB296_230
; %bb.229:                              ;   in Loop: Header=BB296_13 Depth=1
	v_cmp_ne_u16_e32 vcc, 0, v8
	s_andn2_b64 s[36:37], s[36:37], exec
	s_and_b64 vcc, vcc, exec
	v_mov_b32_e32 v0, 0
	s_or_b64 s[36:37], s[36:37], vcc
	scratch_store_dword off, v0, s32 offset:308 ; 4-byte Folded Spill
.LBB296_230:                            ;   in Loop: Header=BB296_13 Depth=1
	s_or_b64 exec, exec, s[38:39]
	s_and_saveexec_b64 s[38:39], s[36:37]
	s_cbranch_execz .LBB296_232
; %bb.231:                              ;   in Loop: Header=BB296_13 Depth=1
	v_bfe_u32 v2, v50, 24, 3
	v_ffbh_u32_e32 v0, v2
	v_min_u32_e32 v5, 32, v0
	v_subrev_u32_e32 v0, 28, v5
	v_bfe_u32 v3, v50, 27, 4
	v_lshlrev_b64 v[0:1], v0, v[8:9]
	v_sub_u32_e32 v1, 29, v5
	v_cmp_eq_u32_e32 vcc, 0, v3
	v_and_b32_e32 v0, 7, v0
	s_nop 0
	v_cndmask_b32_e32 v1, v3, v1, vcc
	v_cndmask_b32_e32 v0, v2, v0, vcc
	v_lshlrev_b32_e32 v2, 8, v8
	v_lshl_add_u32 v1, v1, 10, v56
	v_and_or_b32 v1, v2, s45, v1
	v_lshl_or_b32 v0, v0, 7, v1
	v_cvt_f32_f16_e32 v0, v0
	scratch_store_dword off, v0, s32 offset:308 ; 4-byte Folded Spill
.LBB296_232:                            ;   in Loop: Header=BB296_13 Depth=1
	s_or_b64 exec, exec, s[38:39]
	flat_load_dword v50, v[48:49] offset:2048
	s_mov_b64 vcc, 0
                                        ; implicit-def: $sgpr40
	s_waitcnt vmcnt(0) lgkmcnt(0)
	v_cmp_gt_i16_sdwa s[36:37], v50, s43 src0_sel:BYTE_0 src1_sel:DWORD
	s_and_saveexec_b64 s[38:39], s[36:37]
	s_xor_b64 s[36:37], exec, s[38:39]
	s_cbranch_execnz .LBB296_562
; %bb.233:                              ;   in Loop: Header=BB296_13 Depth=1
	s_or_saveexec_b64 s[36:37], s[36:37]
	v_mov_b32_e32 v0, s40
	s_xor_b64 exec, exec, s[36:37]
	s_cbranch_execnz .LBB296_565
.LBB296_234:                            ;   in Loop: Header=BB296_13 Depth=1
	s_or_b64 exec, exec, s[36:37]
	s_and_saveexec_b64 s[36:37], vcc
	s_cbranch_execz .LBB296_236
.LBB296_235:                            ;   in Loop: Header=BB296_13 Depth=1
	v_and_b32_e32 v2, 7, v50
	v_ffbh_u32_e32 v0, v2
	v_min_u32_e32 v5, 32, v0
	v_subrev_u32_e32 v0, 28, v5
	v_bfe_u32 v3, v50, 3, 4
	v_lshlrev_b64 v[0:1], v0, v[50:51]
	v_sub_u32_e32 v1, 29, v5
	v_cmp_eq_u32_e32 vcc, 0, v3
	v_and_b32_e32 v0, 7, v0
	s_nop 0
	v_cndmask_b32_e32 v1, v3, v1, vcc
	v_cndmask_b32_e32 v0, v2, v0, vcc
	v_lshlrev_b32_e32 v2, 8, v50
	v_lshl_add_u32 v1, v1, 10, v56
	v_and_or_b32 v1, v2, s45, v1
	v_lshl_or_b32 v0, v0, 7, v1
	v_cvt_f32_f16_e32 v0, v0
.LBB296_236:                            ;   in Loop: Header=BB296_13 Depth=1
	s_or_b64 exec, exec, s[36:37]
	v_lshrrev_b16_e32 v8, 8, v50
	v_accvgpr_write_b32 a15, v0
	v_cmp_lt_i16_e32 vcc, s43, v8
	s_mov_b64 s[36:37], 0
                                        ; implicit-def: $sgpr46
	s_and_saveexec_b64 s[38:39], vcc
	s_xor_b64 s[38:39], exec, s[38:39]
	s_cbranch_execz .LBB296_240
; %bb.237:                              ;   in Loop: Header=BB296_13 Depth=1
	v_cmp_eq_u16_e32 vcc, s44, v8
	s_mov_b64 s[36:37], -1
                                        ; implicit-def: $sgpr46
	s_and_saveexec_b64 s[40:41], vcc
; %bb.238:                              ;   in Loop: Header=BB296_13 Depth=1
	s_mov_b32 s46, 0x7fc02000
	s_xor_b64 s[36:37], exec, -1
; %bb.239:                              ;   in Loop: Header=BB296_13 Depth=1
	s_or_b64 exec, exec, s[40:41]
	s_and_b64 s[36:37], s[36:37], exec
.LBB296_240:                            ;   in Loop: Header=BB296_13 Depth=1
	s_or_saveexec_b64 s[38:39], s[38:39]
	v_mov_b32_e32 v0, s46
	scratch_store_dword off, v0, s32 offset:312 ; 4-byte Folded Spill
	s_xor_b64 exec, exec, s[38:39]
	s_cbranch_execz .LBB296_242
; %bb.241:                              ;   in Loop: Header=BB296_13 Depth=1
	v_cmp_ne_u16_e32 vcc, 0, v8
	s_andn2_b64 s[36:37], s[36:37], exec
	s_and_b64 vcc, vcc, exec
	v_mov_b32_e32 v0, 0
	s_or_b64 s[36:37], s[36:37], vcc
	scratch_store_dword off, v0, s32 offset:312 ; 4-byte Folded Spill
.LBB296_242:                            ;   in Loop: Header=BB296_13 Depth=1
	s_or_b64 exec, exec, s[38:39]
	s_and_saveexec_b64 s[38:39], s[36:37]
	s_cbranch_execz .LBB296_244
; %bb.243:                              ;   in Loop: Header=BB296_13 Depth=1
	v_and_b32_e32 v2, 7, v8
	v_ffbh_u32_e32 v0, v2
	v_min_u32_e32 v5, 32, v0
	v_subrev_u32_e32 v0, 28, v5
	v_bfe_u32 v3, v8, 3, 4
	v_lshlrev_b64 v[0:1], v0, v[8:9]
	v_sub_u32_e32 v1, 29, v5
	v_cmp_eq_u32_e32 vcc, 0, v3
	v_and_b32_e32 v0, 7, v0
	s_nop 0
	v_cndmask_b32_e32 v1, v3, v1, vcc
	v_cndmask_b32_e32 v0, v2, v0, vcc
	v_lshlrev_b32_e32 v2, 8, v8
	v_lshl_add_u32 v1, v1, 10, v56
	v_and_or_b32 v1, v2, s45, v1
	v_lshl_or_b32 v0, v0, 7, v1
	v_cvt_f32_f16_e32 v0, v0
	scratch_store_dword off, v0, s32 offset:312 ; 4-byte Folded Spill
.LBB296_244:                            ;   in Loop: Header=BB296_13 Depth=1
	s_or_b64 exec, exec, s[38:39]
	v_lshrrev_b32_e32 v8, 16, v50
	v_cmp_gt_i16_sdwa s[36:37], v8, s43 src0_sel:BYTE_0 src1_sel:DWORD
	s_mov_b64 vcc, 0
                                        ; implicit-def: $sgpr40
	s_and_saveexec_b64 s[38:39], s[36:37]
	s_xor_b64 s[36:37], exec, s[38:39]
	s_cbranch_execz .LBB296_248
; %bb.245:                              ;   in Loop: Header=BB296_13 Depth=1
	v_cmp_eq_u16_sdwa s[46:47], v8, s44 src0_sel:BYTE_0 src1_sel:DWORD
	s_mov_b64 vcc, -1
                                        ; implicit-def: $sgpr40
	s_and_saveexec_b64 s[38:39], s[46:47]
; %bb.246:                              ;   in Loop: Header=BB296_13 Depth=1
	s_mov_b32 s40, 0x7fc02000
	s_xor_b64 vcc, exec, -1
; %bb.247:                              ;   in Loop: Header=BB296_13 Depth=1
	s_or_b64 exec, exec, s[38:39]
	s_and_b64 vcc, vcc, exec
.LBB296_248:                            ;   in Loop: Header=BB296_13 Depth=1
	s_or_saveexec_b64 s[36:37], s[36:37]
	v_mov_b32_e32 v0, s40
	scratch_store_dword off, v0, s32 offset:316 ; 4-byte Folded Spill
	s_xor_b64 exec, exec, s[36:37]
	s_cbranch_execz .LBB296_250
; %bb.249:                              ;   in Loop: Header=BB296_13 Depth=1
	v_cmp_ne_u16_sdwa s[38:39], v8, v9 src0_sel:BYTE_0 src1_sel:DWORD
	s_andn2_b64 vcc, vcc, exec
	s_and_b64 s[38:39], s[38:39], exec
	v_mov_b32_e32 v0, 0
	s_or_b64 vcc, vcc, s[38:39]
	scratch_store_dword off, v0, s32 offset:316 ; 4-byte Folded Spill
.LBB296_250:                            ;   in Loop: Header=BB296_13 Depth=1
	s_or_b64 exec, exec, s[36:37]
	s_and_saveexec_b64 s[36:37], vcc
	s_cbranch_execz .LBB296_252
; %bb.251:                              ;   in Loop: Header=BB296_13 Depth=1
	v_bfe_u32 v2, v50, 16, 3
	v_ffbh_u32_e32 v0, v2
	v_min_u32_e32 v5, 32, v0
	v_subrev_u32_e32 v0, 28, v5
	v_bfe_u32 v3, v50, 19, 4
	v_lshlrev_b64 v[0:1], v0, v[8:9]
	v_sub_u32_e32 v1, 29, v5
	v_cmp_eq_u32_e32 vcc, 0, v3
	v_and_b32_e32 v0, 7, v0
	s_nop 0
	v_cndmask_b32_e32 v1, v3, v1, vcc
	v_cndmask_b32_e32 v0, v2, v0, vcc
	v_lshlrev_b32_e32 v2, 8, v8
	v_lshl_add_u32 v1, v1, 10, v56
	v_and_or_b32 v1, v2, s45, v1
	v_lshl_or_b32 v0, v0, 7, v1
	v_cvt_f32_f16_e32 v0, v0
	scratch_store_dword off, v0, s32 offset:316 ; 4-byte Folded Spill
.LBB296_252:                            ;   in Loop: Header=BB296_13 Depth=1
	s_or_b64 exec, exec, s[36:37]
	v_lshrrev_b32_e32 v8, 24, v50
	v_cmp_lt_i16_e32 vcc, s43, v8
	s_mov_b64 s[36:37], 0
                                        ; implicit-def: $sgpr46
	s_and_saveexec_b64 s[38:39], vcc
	s_xor_b64 s[38:39], exec, s[38:39]
	s_cbranch_execz .LBB296_256
; %bb.253:                              ;   in Loop: Header=BB296_13 Depth=1
	v_cmp_eq_u16_e32 vcc, s44, v8
	s_mov_b64 s[36:37], -1
                                        ; implicit-def: $sgpr46
	s_and_saveexec_b64 s[40:41], vcc
; %bb.254:                              ;   in Loop: Header=BB296_13 Depth=1
	s_mov_b32 s46, 0x7fc02000
	s_xor_b64 s[36:37], exec, -1
; %bb.255:                              ;   in Loop: Header=BB296_13 Depth=1
	s_or_b64 exec, exec, s[40:41]
	s_and_b64 s[36:37], s[36:37], exec
.LBB296_256:                            ;   in Loop: Header=BB296_13 Depth=1
	s_or_saveexec_b64 s[38:39], s[38:39]
	v_mov_b32_e32 v0, s46
	scratch_store_dword off, v0, s32 offset:320 ; 4-byte Folded Spill
	s_xor_b64 exec, exec, s[38:39]
	s_cbranch_execz .LBB296_258
; %bb.257:                              ;   in Loop: Header=BB296_13 Depth=1
	v_cmp_ne_u16_e32 vcc, 0, v8
	s_andn2_b64 s[36:37], s[36:37], exec
	s_and_b64 vcc, vcc, exec
	v_mov_b32_e32 v0, 0
	s_or_b64 s[36:37], s[36:37], vcc
	scratch_store_dword off, v0, s32 offset:320 ; 4-byte Folded Spill
.LBB296_258:                            ;   in Loop: Header=BB296_13 Depth=1
	s_or_b64 exec, exec, s[38:39]
	s_and_saveexec_b64 s[38:39], s[36:37]
	s_cbranch_execz .LBB296_260
; %bb.259:                              ;   in Loop: Header=BB296_13 Depth=1
	v_bfe_u32 v2, v50, 24, 3
	v_ffbh_u32_e32 v0, v2
	v_min_u32_e32 v5, 32, v0
	v_subrev_u32_e32 v0, 28, v5
	v_bfe_u32 v3, v50, 27, 4
	v_lshlrev_b64 v[0:1], v0, v[8:9]
	v_sub_u32_e32 v1, 29, v5
	v_cmp_eq_u32_e32 vcc, 0, v3
	v_and_b32_e32 v0, 7, v0
	s_nop 0
	v_cndmask_b32_e32 v1, v3, v1, vcc
	v_cndmask_b32_e32 v0, v2, v0, vcc
	v_lshlrev_b32_e32 v2, 8, v8
	v_lshl_add_u32 v1, v1, 10, v56
	v_and_or_b32 v1, v2, s45, v1
	v_lshl_or_b32 v0, v0, 7, v1
	v_cvt_f32_f16_e32 v0, v0
	scratch_store_dword off, v0, s32 offset:320 ; 4-byte Folded Spill
.LBB296_260:                            ;   in Loop: Header=BB296_13 Depth=1
	s_or_b64 exec, exec, s[38:39]
	flat_load_dword v50, v[48:49] offset:2056
	s_mov_b64 vcc, 0
                                        ; implicit-def: $sgpr40
	s_waitcnt vmcnt(0) lgkmcnt(0)
	v_cmp_gt_i16_sdwa s[36:37], v50, s43 src0_sel:BYTE_0 src1_sel:DWORD
	s_and_saveexec_b64 s[38:39], s[36:37]
	s_xor_b64 s[36:37], exec, s[38:39]
	s_cbranch_execnz .LBB296_566
; %bb.261:                              ;   in Loop: Header=BB296_13 Depth=1
	s_or_saveexec_b64 s[36:37], s[36:37]
	v_mov_b32_e32 v0, s40
	s_xor_b64 exec, exec, s[36:37]
	s_cbranch_execnz .LBB296_569
.LBB296_262:                            ;   in Loop: Header=BB296_13 Depth=1
	s_or_b64 exec, exec, s[36:37]
	s_and_saveexec_b64 s[36:37], vcc
	s_cbranch_execz .LBB296_264
.LBB296_263:                            ;   in Loop: Header=BB296_13 Depth=1
	v_and_b32_e32 v2, 7, v50
	v_ffbh_u32_e32 v0, v2
	v_min_u32_e32 v5, 32, v0
	v_subrev_u32_e32 v0, 28, v5
	v_bfe_u32 v3, v50, 3, 4
	v_lshlrev_b64 v[0:1], v0, v[50:51]
	v_sub_u32_e32 v1, 29, v5
	v_cmp_eq_u32_e32 vcc, 0, v3
	v_and_b32_e32 v0, 7, v0
	s_nop 0
	v_cndmask_b32_e32 v1, v3, v1, vcc
	v_cndmask_b32_e32 v0, v2, v0, vcc
	v_lshlrev_b32_e32 v2, 8, v50
	v_lshl_add_u32 v1, v1, 10, v56
	v_and_or_b32 v1, v2, s45, v1
	v_lshl_or_b32 v0, v0, 7, v1
	v_cvt_f32_f16_e32 v0, v0
.LBB296_264:                            ;   in Loop: Header=BB296_13 Depth=1
	s_or_b64 exec, exec, s[36:37]
	v_lshrrev_b16_e32 v8, 8, v50
	v_accvgpr_write_b32 a30, v0
	v_cmp_lt_i16_e32 vcc, s43, v8
	s_mov_b64 s[36:37], 0
                                        ; implicit-def: $sgpr46
	s_and_saveexec_b64 s[38:39], vcc
	s_xor_b64 s[38:39], exec, s[38:39]
	s_cbranch_execz .LBB296_268
; %bb.265:                              ;   in Loop: Header=BB296_13 Depth=1
	v_cmp_eq_u16_e32 vcc, s44, v8
	s_mov_b64 s[36:37], -1
                                        ; implicit-def: $sgpr46
	s_and_saveexec_b64 s[40:41], vcc
; %bb.266:                              ;   in Loop: Header=BB296_13 Depth=1
	s_mov_b32 s46, 0x7fc02000
	s_xor_b64 s[36:37], exec, -1
; %bb.267:                              ;   in Loop: Header=BB296_13 Depth=1
	s_or_b64 exec, exec, s[40:41]
	s_and_b64 s[36:37], s[36:37], exec
.LBB296_268:                            ;   in Loop: Header=BB296_13 Depth=1
	s_or_saveexec_b64 s[38:39], s[38:39]
	v_mov_b32_e32 v0, s46
	scratch_store_dword off, v0, s32 offset:324 ; 4-byte Folded Spill
	s_xor_b64 exec, exec, s[38:39]
	s_cbranch_execz .LBB296_270
; %bb.269:                              ;   in Loop: Header=BB296_13 Depth=1
	v_cmp_ne_u16_e32 vcc, 0, v8
	s_andn2_b64 s[36:37], s[36:37], exec
	s_and_b64 vcc, vcc, exec
	v_mov_b32_e32 v0, 0
	s_or_b64 s[36:37], s[36:37], vcc
	scratch_store_dword off, v0, s32 offset:324 ; 4-byte Folded Spill
.LBB296_270:                            ;   in Loop: Header=BB296_13 Depth=1
	s_or_b64 exec, exec, s[38:39]
	s_and_saveexec_b64 s[38:39], s[36:37]
	s_cbranch_execz .LBB296_272
; %bb.271:                              ;   in Loop: Header=BB296_13 Depth=1
	v_and_b32_e32 v2, 7, v8
	v_ffbh_u32_e32 v0, v2
	v_min_u32_e32 v5, 32, v0
	v_subrev_u32_e32 v0, 28, v5
	v_bfe_u32 v3, v8, 3, 4
	v_lshlrev_b64 v[0:1], v0, v[8:9]
	v_sub_u32_e32 v1, 29, v5
	v_cmp_eq_u32_e32 vcc, 0, v3
	v_and_b32_e32 v0, 7, v0
	s_nop 0
	v_cndmask_b32_e32 v1, v3, v1, vcc
	v_cndmask_b32_e32 v0, v2, v0, vcc
	v_lshlrev_b32_e32 v2, 8, v8
	v_lshl_add_u32 v1, v1, 10, v56
	v_and_or_b32 v1, v2, s45, v1
	v_lshl_or_b32 v0, v0, 7, v1
	v_cvt_f32_f16_e32 v0, v0
	scratch_store_dword off, v0, s32 offset:324 ; 4-byte Folded Spill
.LBB296_272:                            ;   in Loop: Header=BB296_13 Depth=1
	s_or_b64 exec, exec, s[38:39]
	v_lshrrev_b32_e32 v8, 16, v50
	v_cmp_gt_i16_sdwa s[36:37], v8, s43 src0_sel:BYTE_0 src1_sel:DWORD
	s_mov_b64 vcc, 0
                                        ; implicit-def: $sgpr40
	s_and_saveexec_b64 s[38:39], s[36:37]
	s_xor_b64 s[36:37], exec, s[38:39]
	s_cbranch_execz .LBB296_276
; %bb.273:                              ;   in Loop: Header=BB296_13 Depth=1
	v_cmp_eq_u16_sdwa s[46:47], v8, s44 src0_sel:BYTE_0 src1_sel:DWORD
	s_mov_b64 vcc, -1
                                        ; implicit-def: $sgpr40
	s_and_saveexec_b64 s[38:39], s[46:47]
; %bb.274:                              ;   in Loop: Header=BB296_13 Depth=1
	s_mov_b32 s40, 0x7fc02000
	s_xor_b64 vcc, exec, -1
; %bb.275:                              ;   in Loop: Header=BB296_13 Depth=1
	s_or_b64 exec, exec, s[38:39]
	s_and_b64 vcc, vcc, exec
.LBB296_276:                            ;   in Loop: Header=BB296_13 Depth=1
	s_or_saveexec_b64 s[36:37], s[36:37]
	v_mov_b32_e32 v0, s40
	scratch_store_dword off, v0, s32 offset:328 ; 4-byte Folded Spill
	s_xor_b64 exec, exec, s[36:37]
	s_cbranch_execz .LBB296_278
; %bb.277:                              ;   in Loop: Header=BB296_13 Depth=1
	v_cmp_ne_u16_sdwa s[38:39], v8, v9 src0_sel:BYTE_0 src1_sel:DWORD
	s_andn2_b64 vcc, vcc, exec
	s_and_b64 s[38:39], s[38:39], exec
	v_mov_b32_e32 v0, 0
	s_or_b64 vcc, vcc, s[38:39]
	scratch_store_dword off, v0, s32 offset:328 ; 4-byte Folded Spill
.LBB296_278:                            ;   in Loop: Header=BB296_13 Depth=1
	s_or_b64 exec, exec, s[36:37]
	s_and_saveexec_b64 s[36:37], vcc
	s_cbranch_execz .LBB296_280
; %bb.279:                              ;   in Loop: Header=BB296_13 Depth=1
	v_bfe_u32 v2, v50, 16, 3
	v_ffbh_u32_e32 v0, v2
	v_min_u32_e32 v5, 32, v0
	v_subrev_u32_e32 v0, 28, v5
	v_bfe_u32 v3, v50, 19, 4
	v_lshlrev_b64 v[0:1], v0, v[8:9]
	v_sub_u32_e32 v1, 29, v5
	v_cmp_eq_u32_e32 vcc, 0, v3
	v_and_b32_e32 v0, 7, v0
	s_nop 0
	v_cndmask_b32_e32 v1, v3, v1, vcc
	v_cndmask_b32_e32 v0, v2, v0, vcc
	v_lshlrev_b32_e32 v2, 8, v8
	v_lshl_add_u32 v1, v1, 10, v56
	v_and_or_b32 v1, v2, s45, v1
	v_lshl_or_b32 v0, v0, 7, v1
	v_cvt_f32_f16_e32 v0, v0
	scratch_store_dword off, v0, s32 offset:328 ; 4-byte Folded Spill
.LBB296_280:                            ;   in Loop: Header=BB296_13 Depth=1
	s_or_b64 exec, exec, s[36:37]
	v_lshrrev_b32_e32 v8, 24, v50
	v_cmp_lt_i16_e32 vcc, s43, v8
	s_mov_b64 s[36:37], 0
                                        ; implicit-def: $sgpr46
	s_and_saveexec_b64 s[38:39], vcc
	s_xor_b64 s[38:39], exec, s[38:39]
	s_cbranch_execz .LBB296_284
; %bb.281:                              ;   in Loop: Header=BB296_13 Depth=1
	v_cmp_eq_u16_e32 vcc, s44, v8
	s_mov_b64 s[36:37], -1
                                        ; implicit-def: $sgpr46
	s_and_saveexec_b64 s[40:41], vcc
; %bb.282:                              ;   in Loop: Header=BB296_13 Depth=1
	s_mov_b32 s46, 0x7fc02000
	s_xor_b64 s[36:37], exec, -1
; %bb.283:                              ;   in Loop: Header=BB296_13 Depth=1
	s_or_b64 exec, exec, s[40:41]
	s_and_b64 s[36:37], s[36:37], exec
.LBB296_284:                            ;   in Loop: Header=BB296_13 Depth=1
	s_or_saveexec_b64 s[38:39], s[38:39]
	v_mov_b32_e32 v0, s46
	scratch_store_dword off, v0, s32 offset:332 ; 4-byte Folded Spill
	s_xor_b64 exec, exec, s[38:39]
	s_cbranch_execz .LBB296_286
; %bb.285:                              ;   in Loop: Header=BB296_13 Depth=1
	v_cmp_ne_u16_e32 vcc, 0, v8
	s_andn2_b64 s[36:37], s[36:37], exec
	s_and_b64 vcc, vcc, exec
	v_mov_b32_e32 v0, 0
	s_or_b64 s[36:37], s[36:37], vcc
	scratch_store_dword off, v0, s32 offset:332 ; 4-byte Folded Spill
.LBB296_286:                            ;   in Loop: Header=BB296_13 Depth=1
	s_or_b64 exec, exec, s[38:39]
	s_and_saveexec_b64 s[38:39], s[36:37]
	s_cbranch_execz .LBB296_288
; %bb.287:                              ;   in Loop: Header=BB296_13 Depth=1
	v_bfe_u32 v2, v50, 24, 3
	v_ffbh_u32_e32 v0, v2
	v_min_u32_e32 v5, 32, v0
	v_subrev_u32_e32 v0, 28, v5
	v_bfe_u32 v3, v50, 27, 4
	v_lshlrev_b64 v[0:1], v0, v[8:9]
	v_sub_u32_e32 v1, 29, v5
	v_cmp_eq_u32_e32 vcc, 0, v3
	v_and_b32_e32 v0, 7, v0
	s_nop 0
	v_cndmask_b32_e32 v1, v3, v1, vcc
	v_cndmask_b32_e32 v0, v2, v0, vcc
	v_lshlrev_b32_e32 v2, 8, v8
	v_lshl_add_u32 v1, v1, 10, v56
	v_and_or_b32 v1, v2, s45, v1
	v_lshl_or_b32 v0, v0, 7, v1
	v_cvt_f32_f16_e32 v0, v0
	scratch_store_dword off, v0, s32 offset:332 ; 4-byte Folded Spill
.LBB296_288:                            ;   in Loop: Header=BB296_13 Depth=1
	s_or_b64 exec, exec, s[38:39]
	flat_load_dword v50, v[48:49] offset:2560
	s_mov_b64 vcc, 0
                                        ; implicit-def: $sgpr40
	s_waitcnt vmcnt(0) lgkmcnt(0)
	v_cmp_gt_i16_sdwa s[36:37], v50, s43 src0_sel:BYTE_0 src1_sel:DWORD
	s_and_saveexec_b64 s[38:39], s[36:37]
	s_xor_b64 s[36:37], exec, s[38:39]
	s_cbranch_execnz .LBB296_570
; %bb.289:                              ;   in Loop: Header=BB296_13 Depth=1
	s_or_saveexec_b64 s[36:37], s[36:37]
	v_mov_b32_e32 v0, s40
	s_xor_b64 exec, exec, s[36:37]
	s_cbranch_execnz .LBB296_573
.LBB296_290:                            ;   in Loop: Header=BB296_13 Depth=1
	s_or_b64 exec, exec, s[36:37]
	s_and_saveexec_b64 s[36:37], vcc
	s_cbranch_execz .LBB296_292
.LBB296_291:                            ;   in Loop: Header=BB296_13 Depth=1
	v_and_b32_e32 v2, 7, v50
	v_ffbh_u32_e32 v0, v2
	v_min_u32_e32 v5, 32, v0
	v_subrev_u32_e32 v0, 28, v5
	v_bfe_u32 v3, v50, 3, 4
	v_lshlrev_b64 v[0:1], v0, v[50:51]
	v_sub_u32_e32 v1, 29, v5
	v_cmp_eq_u32_e32 vcc, 0, v3
	v_and_b32_e32 v0, 7, v0
	s_nop 0
	v_cndmask_b32_e32 v1, v3, v1, vcc
	v_cndmask_b32_e32 v0, v2, v0, vcc
	v_lshlrev_b32_e32 v2, 8, v50
	v_lshl_add_u32 v1, v1, 10, v56
	v_and_or_b32 v1, v2, s45, v1
	v_lshl_or_b32 v0, v0, 7, v1
	v_cvt_f32_f16_e32 v0, v0
.LBB296_292:                            ;   in Loop: Header=BB296_13 Depth=1
	s_or_b64 exec, exec, s[36:37]
	v_lshrrev_b16_e32 v8, 8, v50
	v_accvgpr_write_b32 a31, v0
	v_cmp_lt_i16_e32 vcc, s43, v8
	s_mov_b64 s[36:37], 0
                                        ; implicit-def: $sgpr46
	s_and_saveexec_b64 s[38:39], vcc
	s_xor_b64 s[38:39], exec, s[38:39]
	s_cbranch_execz .LBB296_296
; %bb.293:                              ;   in Loop: Header=BB296_13 Depth=1
	v_cmp_eq_u16_e32 vcc, s44, v8
	s_mov_b64 s[36:37], -1
                                        ; implicit-def: $sgpr46
	s_and_saveexec_b64 s[40:41], vcc
; %bb.294:                              ;   in Loop: Header=BB296_13 Depth=1
	s_mov_b32 s46, 0x7fc02000
	s_xor_b64 s[36:37], exec, -1
; %bb.295:                              ;   in Loop: Header=BB296_13 Depth=1
	s_or_b64 exec, exec, s[40:41]
	s_and_b64 s[36:37], s[36:37], exec
.LBB296_296:                            ;   in Loop: Header=BB296_13 Depth=1
	s_or_saveexec_b64 s[38:39], s[38:39]
	v_mov_b32_e32 v0, s46
	scratch_store_dword off, v0, s32 offset:336 ; 4-byte Folded Spill
	s_xor_b64 exec, exec, s[38:39]
	s_cbranch_execz .LBB296_298
; %bb.297:                              ;   in Loop: Header=BB296_13 Depth=1
	v_cmp_ne_u16_e32 vcc, 0, v8
	s_andn2_b64 s[36:37], s[36:37], exec
	s_and_b64 vcc, vcc, exec
	v_mov_b32_e32 v0, 0
	s_or_b64 s[36:37], s[36:37], vcc
	scratch_store_dword off, v0, s32 offset:336 ; 4-byte Folded Spill
.LBB296_298:                            ;   in Loop: Header=BB296_13 Depth=1
	s_or_b64 exec, exec, s[38:39]
	s_and_saveexec_b64 s[38:39], s[36:37]
	s_cbranch_execz .LBB296_300
; %bb.299:                              ;   in Loop: Header=BB296_13 Depth=1
	v_and_b32_e32 v2, 7, v8
	v_ffbh_u32_e32 v0, v2
	v_min_u32_e32 v5, 32, v0
	v_subrev_u32_e32 v0, 28, v5
	v_bfe_u32 v3, v8, 3, 4
	v_lshlrev_b64 v[0:1], v0, v[8:9]
	v_sub_u32_e32 v1, 29, v5
	v_cmp_eq_u32_e32 vcc, 0, v3
	v_and_b32_e32 v0, 7, v0
	s_nop 0
	v_cndmask_b32_e32 v1, v3, v1, vcc
	v_cndmask_b32_e32 v0, v2, v0, vcc
	v_lshlrev_b32_e32 v2, 8, v8
	v_lshl_add_u32 v1, v1, 10, v56
	v_and_or_b32 v1, v2, s45, v1
	v_lshl_or_b32 v0, v0, 7, v1
	v_cvt_f32_f16_e32 v0, v0
	scratch_store_dword off, v0, s32 offset:336 ; 4-byte Folded Spill
.LBB296_300:                            ;   in Loop: Header=BB296_13 Depth=1
	s_or_b64 exec, exec, s[38:39]
	v_lshrrev_b32_e32 v8, 16, v50
	v_cmp_gt_i16_sdwa s[36:37], v8, s43 src0_sel:BYTE_0 src1_sel:DWORD
	s_mov_b64 vcc, 0
                                        ; implicit-def: $sgpr40
	s_and_saveexec_b64 s[38:39], s[36:37]
	s_xor_b64 s[36:37], exec, s[38:39]
	s_cbranch_execnz .LBB296_574
; %bb.301:                              ;   in Loop: Header=BB296_13 Depth=1
	s_or_saveexec_b64 s[36:37], s[36:37]
	v_mov_b32_e32 v30, s40
	s_xor_b64 exec, exec, s[36:37]
	s_cbranch_execnz .LBB296_577
.LBB296_302:                            ;   in Loop: Header=BB296_13 Depth=1
	s_or_b64 exec, exec, s[36:37]
	s_and_saveexec_b64 s[36:37], vcc
	s_cbranch_execz .LBB296_304
.LBB296_303:                            ;   in Loop: Header=BB296_13 Depth=1
	v_bfe_u32 v2, v50, 16, 3
	v_ffbh_u32_e32 v0, v2
	v_min_u32_e32 v5, 32, v0
	v_subrev_u32_e32 v0, 28, v5
	v_bfe_u32 v3, v50, 19, 4
	v_lshlrev_b64 v[0:1], v0, v[8:9]
	v_sub_u32_e32 v1, 29, v5
	v_cmp_eq_u32_e32 vcc, 0, v3
	v_and_b32_e32 v0, 7, v0
	s_nop 0
	v_cndmask_b32_e32 v1, v3, v1, vcc
	v_cndmask_b32_e32 v0, v2, v0, vcc
	v_lshlrev_b32_e32 v2, 8, v8
	v_lshl_add_u32 v1, v1, 10, v56
	v_and_or_b32 v1, v2, s45, v1
	v_lshl_or_b32 v0, v0, 7, v1
	v_cvt_f32_f16_e32 v30, v0
.LBB296_304:                            ;   in Loop: Header=BB296_13 Depth=1
	s_or_b64 exec, exec, s[36:37]
	v_lshrrev_b32_e32 v8, 24, v50
	v_cmp_lt_i16_e32 vcc, s43, v8
	s_mov_b64 s[36:37], 0
                                        ; implicit-def: $sgpr46
	s_and_saveexec_b64 s[38:39], vcc
	s_xor_b64 s[38:39], exec, s[38:39]
	s_cbranch_execnz .LBB296_578
; %bb.305:                              ;   in Loop: Header=BB296_13 Depth=1
	s_or_saveexec_b64 s[38:39], s[38:39]
	v_mov_b32_e32 v60, s46
	s_xor_b64 exec, exec, s[38:39]
	s_cbranch_execnz .LBB296_581
.LBB296_306:                            ;   in Loop: Header=BB296_13 Depth=1
	s_or_b64 exec, exec, s[38:39]
	s_and_saveexec_b64 s[38:39], s[36:37]
	s_cbranch_execz .LBB296_308
.LBB296_307:                            ;   in Loop: Header=BB296_13 Depth=1
	v_bfe_u32 v2, v50, 24, 3
	v_ffbh_u32_e32 v0, v2
	v_min_u32_e32 v5, 32, v0
	v_subrev_u32_e32 v0, 28, v5
	v_bfe_u32 v3, v50, 27, 4
	v_lshlrev_b64 v[0:1], v0, v[8:9]
	v_sub_u32_e32 v1, 29, v5
	v_cmp_eq_u32_e32 vcc, 0, v3
	v_and_b32_e32 v0, 7, v0
	s_nop 0
	v_cndmask_b32_e32 v1, v3, v1, vcc
	v_cndmask_b32_e32 v0, v2, v0, vcc
	v_lshlrev_b32_e32 v2, 8, v8
	v_lshl_add_u32 v1, v1, 10, v56
	v_and_or_b32 v1, v2, s45, v1
	v_lshl_or_b32 v0, v0, 7, v1
	v_cvt_f32_f16_e32 v60, v0
.LBB296_308:                            ;   in Loop: Header=BB296_13 Depth=1
	s_or_b64 exec, exec, s[38:39]
	flat_load_dword v50, v[48:49] offset:2568
	s_mov_b64 vcc, 0
                                        ; implicit-def: $sgpr40
	s_waitcnt vmcnt(0) lgkmcnt(0)
	v_cmp_gt_i16_sdwa s[36:37], v50, s43 src0_sel:BYTE_0 src1_sel:DWORD
	s_and_saveexec_b64 s[38:39], s[36:37]
	s_xor_b64 s[36:37], exec, s[38:39]
	s_cbranch_execnz .LBB296_582
; %bb.309:                              ;   in Loop: Header=BB296_13 Depth=1
	s_or_saveexec_b64 s[36:37], s[36:37]
	v_mov_b32_e32 v0, s40
	s_xor_b64 exec, exec, s[36:37]
	s_cbranch_execnz .LBB296_585
.LBB296_310:                            ;   in Loop: Header=BB296_13 Depth=1
	s_or_b64 exec, exec, s[36:37]
	s_and_saveexec_b64 s[36:37], vcc
	s_cbranch_execz .LBB296_312
.LBB296_311:                            ;   in Loop: Header=BB296_13 Depth=1
	v_and_b32_e32 v2, 7, v50
	v_ffbh_u32_e32 v0, v2
	v_min_u32_e32 v5, 32, v0
	v_subrev_u32_e32 v0, 28, v5
	v_bfe_u32 v3, v50, 3, 4
	v_lshlrev_b64 v[0:1], v0, v[50:51]
	v_sub_u32_e32 v1, 29, v5
	v_cmp_eq_u32_e32 vcc, 0, v3
	v_and_b32_e32 v0, 7, v0
	s_nop 0
	v_cndmask_b32_e32 v1, v3, v1, vcc
	v_cndmask_b32_e32 v0, v2, v0, vcc
	v_lshlrev_b32_e32 v2, 8, v50
	v_lshl_add_u32 v1, v1, 10, v56
	v_and_or_b32 v1, v2, s45, v1
	v_lshl_or_b32 v0, v0, 7, v1
	v_cvt_f32_f16_e32 v0, v0
.LBB296_312:                            ;   in Loop: Header=BB296_13 Depth=1
	s_or_b64 exec, exec, s[36:37]
	v_lshrrev_b16_e32 v8, 8, v50
	v_accvgpr_write_b32 a28, v0
	v_cmp_lt_i16_e32 vcc, s43, v8
	s_mov_b64 s[36:37], 0
                                        ; implicit-def: $sgpr46
	s_and_saveexec_b64 s[38:39], vcc
	s_xor_b64 s[38:39], exec, s[38:39]
	s_cbranch_execnz .LBB296_586
; %bb.313:                              ;   in Loop: Header=BB296_13 Depth=1
	s_or_saveexec_b64 s[38:39], s[38:39]
	v_mov_b32_e32 v61, s46
	s_xor_b64 exec, exec, s[38:39]
	s_cbranch_execnz .LBB296_589
.LBB296_314:                            ;   in Loop: Header=BB296_13 Depth=1
	s_or_b64 exec, exec, s[38:39]
	s_and_saveexec_b64 s[38:39], s[36:37]
	s_cbranch_execz .LBB296_316
.LBB296_315:                            ;   in Loop: Header=BB296_13 Depth=1
	v_and_b32_e32 v2, 7, v8
	v_ffbh_u32_e32 v0, v2
	v_min_u32_e32 v5, 32, v0
	v_subrev_u32_e32 v0, 28, v5
	v_bfe_u32 v3, v8, 3, 4
	v_lshlrev_b64 v[0:1], v0, v[8:9]
	v_sub_u32_e32 v1, 29, v5
	v_cmp_eq_u32_e32 vcc, 0, v3
	v_and_b32_e32 v0, 7, v0
	s_nop 0
	v_cndmask_b32_e32 v1, v3, v1, vcc
	v_cndmask_b32_e32 v0, v2, v0, vcc
	v_lshlrev_b32_e32 v2, 8, v8
	v_lshl_add_u32 v1, v1, 10, v56
	v_and_or_b32 v1, v2, s45, v1
	v_lshl_or_b32 v0, v0, 7, v1
	v_cvt_f32_f16_e32 v61, v0
.LBB296_316:                            ;   in Loop: Header=BB296_13 Depth=1
	s_or_b64 exec, exec, s[38:39]
	v_lshrrev_b32_e32 v8, 16, v50
	v_cmp_gt_i16_sdwa s[36:37], v8, s43 src0_sel:BYTE_0 src1_sel:DWORD
	s_mov_b64 vcc, 0
                                        ; implicit-def: $sgpr40
	s_and_saveexec_b64 s[38:39], s[36:37]
	s_xor_b64 s[36:37], exec, s[38:39]
	s_cbranch_execnz .LBB296_590
; %bb.317:                              ;   in Loop: Header=BB296_13 Depth=1
	s_or_saveexec_b64 s[36:37], s[36:37]
	v_mov_b32_e32 v58, s40
	s_xor_b64 exec, exec, s[36:37]
	s_cbranch_execnz .LBB296_593
.LBB296_318:                            ;   in Loop: Header=BB296_13 Depth=1
	s_or_b64 exec, exec, s[36:37]
	s_and_saveexec_b64 s[36:37], vcc
	s_cbranch_execz .LBB296_320
.LBB296_319:                            ;   in Loop: Header=BB296_13 Depth=1
	v_bfe_u32 v2, v50, 16, 3
	v_ffbh_u32_e32 v0, v2
	v_min_u32_e32 v5, 32, v0
	v_subrev_u32_e32 v0, 28, v5
	v_bfe_u32 v3, v50, 19, 4
	v_lshlrev_b64 v[0:1], v0, v[8:9]
	v_sub_u32_e32 v1, 29, v5
	v_cmp_eq_u32_e32 vcc, 0, v3
	v_and_b32_e32 v0, 7, v0
	s_nop 0
	v_cndmask_b32_e32 v1, v3, v1, vcc
	v_cndmask_b32_e32 v0, v2, v0, vcc
	v_lshlrev_b32_e32 v2, 8, v8
	v_lshl_add_u32 v1, v1, 10, v56
	v_and_or_b32 v1, v2, s45, v1
	v_lshl_or_b32 v0, v0, 7, v1
	v_cvt_f32_f16_e32 v58, v0
.LBB296_320:                            ;   in Loop: Header=BB296_13 Depth=1
	s_or_b64 exec, exec, s[36:37]
	v_lshrrev_b32_e32 v8, 24, v50
	v_cmp_lt_i16_e32 vcc, s43, v8
	s_mov_b64 s[36:37], 0
                                        ; implicit-def: $sgpr46
	s_and_saveexec_b64 s[38:39], vcc
	s_xor_b64 s[38:39], exec, s[38:39]
	s_cbranch_execnz .LBB296_594
; %bb.321:                              ;   in Loop: Header=BB296_13 Depth=1
	s_or_saveexec_b64 s[38:39], s[38:39]
	v_mov_b32_e32 v47, s46
	s_xor_b64 exec, exec, s[38:39]
	s_cbranch_execnz .LBB296_597
.LBB296_322:                            ;   in Loop: Header=BB296_13 Depth=1
	s_or_b64 exec, exec, s[38:39]
	s_and_saveexec_b64 s[38:39], s[36:37]
	s_cbranch_execz .LBB296_324
.LBB296_323:                            ;   in Loop: Header=BB296_13 Depth=1
	v_bfe_u32 v2, v50, 24, 3
	v_ffbh_u32_e32 v0, v2
	v_min_u32_e32 v5, 32, v0
	v_subrev_u32_e32 v0, 28, v5
	v_bfe_u32 v3, v50, 27, 4
	v_lshlrev_b64 v[0:1], v0, v[8:9]
	v_sub_u32_e32 v1, 29, v5
	v_cmp_eq_u32_e32 vcc, 0, v3
	v_and_b32_e32 v0, 7, v0
	s_nop 0
	v_cndmask_b32_e32 v1, v3, v1, vcc
	v_cndmask_b32_e32 v0, v2, v0, vcc
	v_lshlrev_b32_e32 v2, 8, v8
	v_lshl_add_u32 v1, v1, 10, v56
	v_and_or_b32 v1, v2, s45, v1
	v_lshl_or_b32 v0, v0, 7, v1
	v_cvt_f32_f16_e32 v47, v0
.LBB296_324:                            ;   in Loop: Header=BB296_13 Depth=1
	s_or_b64 exec, exec, s[38:39]
	flat_load_dword v50, v[48:49] offset:3072
	s_mov_b64 vcc, 0
                                        ; implicit-def: $sgpr40
	s_waitcnt vmcnt(0) lgkmcnt(0)
	v_cmp_gt_i16_sdwa s[36:37], v50, s43 src0_sel:BYTE_0 src1_sel:DWORD
	s_and_saveexec_b64 s[38:39], s[36:37]
	s_xor_b64 s[36:37], exec, s[38:39]
	s_cbranch_execnz .LBB296_598
; %bb.325:                              ;   in Loop: Header=BB296_13 Depth=1
	s_or_saveexec_b64 s[36:37], s[36:37]
	v_mov_b32_e32 v46, s40
	s_xor_b64 exec, exec, s[36:37]
	s_cbranch_execnz .LBB296_601
.LBB296_326:                            ;   in Loop: Header=BB296_13 Depth=1
	s_or_b64 exec, exec, s[36:37]
	s_and_saveexec_b64 s[36:37], vcc
	s_cbranch_execz .LBB296_328
.LBB296_327:                            ;   in Loop: Header=BB296_13 Depth=1
	v_and_b32_e32 v2, 7, v50
	v_ffbh_u32_e32 v0, v2
	v_min_u32_e32 v5, 32, v0
	v_subrev_u32_e32 v0, 28, v5
	v_bfe_u32 v3, v50, 3, 4
	v_lshlrev_b64 v[0:1], v0, v[50:51]
	v_sub_u32_e32 v1, 29, v5
	v_cmp_eq_u32_e32 vcc, 0, v3
	v_and_b32_e32 v0, 7, v0
	s_nop 0
	v_cndmask_b32_e32 v1, v3, v1, vcc
	v_cndmask_b32_e32 v0, v2, v0, vcc
	v_lshlrev_b32_e32 v2, 8, v50
	v_lshl_add_u32 v1, v1, 10, v56
	v_and_or_b32 v1, v2, s45, v1
	v_lshl_or_b32 v0, v0, 7, v1
	v_cvt_f32_f16_e32 v46, v0
.LBB296_328:                            ;   in Loop: Header=BB296_13 Depth=1
	s_or_b64 exec, exec, s[36:37]
	v_lshrrev_b16_e32 v8, 8, v50
	v_cmp_lt_i16_e32 vcc, s43, v8
	s_mov_b64 s[36:37], 0
                                        ; implicit-def: $sgpr46
	s_and_saveexec_b64 s[38:39], vcc
	s_xor_b64 s[38:39], exec, s[38:39]
	s_cbranch_execnz .LBB296_602
; %bb.329:                              ;   in Loop: Header=BB296_13 Depth=1
	s_or_saveexec_b64 s[38:39], s[38:39]
	v_mov_b32_e32 v62, s46
	s_xor_b64 exec, exec, s[38:39]
	s_cbranch_execnz .LBB296_605
.LBB296_330:                            ;   in Loop: Header=BB296_13 Depth=1
	s_or_b64 exec, exec, s[38:39]
	s_and_saveexec_b64 s[38:39], s[36:37]
	s_cbranch_execz .LBB296_332
.LBB296_331:                            ;   in Loop: Header=BB296_13 Depth=1
	v_and_b32_e32 v2, 7, v8
	v_ffbh_u32_e32 v0, v2
	v_min_u32_e32 v5, 32, v0
	v_subrev_u32_e32 v0, 28, v5
	v_bfe_u32 v3, v8, 3, 4
	v_lshlrev_b64 v[0:1], v0, v[8:9]
	v_sub_u32_e32 v1, 29, v5
	v_cmp_eq_u32_e32 vcc, 0, v3
	v_and_b32_e32 v0, 7, v0
	s_nop 0
	v_cndmask_b32_e32 v1, v3, v1, vcc
	v_cndmask_b32_e32 v0, v2, v0, vcc
	v_lshlrev_b32_e32 v2, 8, v8
	v_lshl_add_u32 v1, v1, 10, v56
	v_and_or_b32 v1, v2, s45, v1
	v_lshl_or_b32 v0, v0, 7, v1
	v_cvt_f32_f16_e32 v62, v0
.LBB296_332:                            ;   in Loop: Header=BB296_13 Depth=1
	s_or_b64 exec, exec, s[38:39]
	v_lshrrev_b32_e32 v8, 16, v50
	v_cmp_gt_i16_sdwa s[36:37], v8, s43 src0_sel:BYTE_0 src1_sel:DWORD
	s_mov_b64 vcc, 0
                                        ; implicit-def: $sgpr40
	s_and_saveexec_b64 s[38:39], s[36:37]
	s_xor_b64 s[36:37], exec, s[38:39]
	s_cbranch_execnz .LBB296_606
; %bb.333:                              ;   in Loop: Header=BB296_13 Depth=1
	s_or_saveexec_b64 s[36:37], s[36:37]
	v_mov_b32_e32 v59, s40
	s_xor_b64 exec, exec, s[36:37]
	s_cbranch_execnz .LBB296_609
.LBB296_334:                            ;   in Loop: Header=BB296_13 Depth=1
	s_or_b64 exec, exec, s[36:37]
	s_and_saveexec_b64 s[36:37], vcc
	s_cbranch_execz .LBB296_336
.LBB296_335:                            ;   in Loop: Header=BB296_13 Depth=1
	v_bfe_u32 v2, v50, 16, 3
	v_ffbh_u32_e32 v0, v2
	v_min_u32_e32 v5, 32, v0
	v_subrev_u32_e32 v0, 28, v5
	v_bfe_u32 v3, v50, 19, 4
	v_lshlrev_b64 v[0:1], v0, v[8:9]
	v_sub_u32_e32 v1, 29, v5
	v_cmp_eq_u32_e32 vcc, 0, v3
	v_and_b32_e32 v0, 7, v0
	s_nop 0
	v_cndmask_b32_e32 v1, v3, v1, vcc
	v_cndmask_b32_e32 v0, v2, v0, vcc
	v_lshlrev_b32_e32 v2, 8, v8
	v_lshl_add_u32 v1, v1, 10, v56
	v_and_or_b32 v1, v2, s45, v1
	v_lshl_or_b32 v0, v0, 7, v1
	v_cvt_f32_f16_e32 v59, v0
.LBB296_336:                            ;   in Loop: Header=BB296_13 Depth=1
	s_or_b64 exec, exec, s[36:37]
	v_lshrrev_b32_e32 v8, 24, v50
	v_cmp_lt_i16_e32 vcc, s43, v8
	s_mov_b64 s[36:37], 0
                                        ; implicit-def: $sgpr46
	s_and_saveexec_b64 s[38:39], vcc
	s_xor_b64 s[38:39], exec, s[38:39]
	s_cbranch_execnz .LBB296_610
; %bb.337:                              ;   in Loop: Header=BB296_13 Depth=1
	s_or_saveexec_b64 s[38:39], s[38:39]
	v_mov_b32_e32 v54, s46
	s_xor_b64 exec, exec, s[38:39]
	s_cbranch_execnz .LBB296_613
.LBB296_338:                            ;   in Loop: Header=BB296_13 Depth=1
	s_or_b64 exec, exec, s[38:39]
	s_and_saveexec_b64 s[38:39], s[36:37]
	s_cbranch_execz .LBB296_340
.LBB296_339:                            ;   in Loop: Header=BB296_13 Depth=1
	v_bfe_u32 v2, v50, 24, 3
	v_ffbh_u32_e32 v0, v2
	v_min_u32_e32 v5, 32, v0
	v_subrev_u32_e32 v0, 28, v5
	v_bfe_u32 v3, v50, 27, 4
	v_lshlrev_b64 v[0:1], v0, v[8:9]
	v_sub_u32_e32 v1, 29, v5
	v_cmp_eq_u32_e32 vcc, 0, v3
	v_and_b32_e32 v0, 7, v0
	s_nop 0
	v_cndmask_b32_e32 v1, v3, v1, vcc
	v_cndmask_b32_e32 v0, v2, v0, vcc
	v_lshlrev_b32_e32 v2, 8, v8
	v_lshl_add_u32 v1, v1, 10, v56
	v_and_or_b32 v1, v2, s45, v1
	v_lshl_or_b32 v0, v0, 7, v1
	v_cvt_f32_f16_e32 v54, v0
.LBB296_340:                            ;   in Loop: Header=BB296_13 Depth=1
	s_or_b64 exec, exec, s[38:39]
	flat_load_dword v50, v[48:49] offset:3080
	s_mov_b64 vcc, 0
                                        ; implicit-def: $sgpr40
	s_waitcnt vmcnt(0) lgkmcnt(0)
	v_cmp_gt_i16_sdwa s[36:37], v50, s43 src0_sel:BYTE_0 src1_sel:DWORD
	s_and_saveexec_b64 s[38:39], s[36:37]
	s_xor_b64 s[36:37], exec, s[38:39]
	s_cbranch_execnz .LBB296_614
; %bb.341:                              ;   in Loop: Header=BB296_13 Depth=1
	s_or_saveexec_b64 s[36:37], s[36:37]
	v_mov_b32_e32 v36, s40
	s_xor_b64 exec, exec, s[36:37]
	s_cbranch_execnz .LBB296_617
.LBB296_342:                            ;   in Loop: Header=BB296_13 Depth=1
	s_or_b64 exec, exec, s[36:37]
	s_and_saveexec_b64 s[36:37], vcc
	s_cbranch_execz .LBB296_344
.LBB296_343:                            ;   in Loop: Header=BB296_13 Depth=1
	v_and_b32_e32 v2, 7, v50
	v_ffbh_u32_e32 v0, v2
	v_min_u32_e32 v5, 32, v0
	v_subrev_u32_e32 v0, 28, v5
	v_bfe_u32 v3, v50, 3, 4
	v_lshlrev_b64 v[0:1], v0, v[50:51]
	v_sub_u32_e32 v1, 29, v5
	v_cmp_eq_u32_e32 vcc, 0, v3
	v_and_b32_e32 v0, 7, v0
	s_nop 0
	v_cndmask_b32_e32 v1, v3, v1, vcc
	v_cndmask_b32_e32 v0, v2, v0, vcc
	v_lshlrev_b32_e32 v2, 8, v50
	v_lshl_add_u32 v1, v1, 10, v56
	v_and_or_b32 v1, v2, s45, v1
	v_lshl_or_b32 v0, v0, 7, v1
	v_cvt_f32_f16_e32 v36, v0
.LBB296_344:                            ;   in Loop: Header=BB296_13 Depth=1
	s_or_b64 exec, exec, s[36:37]
	v_lshrrev_b16_e32 v8, 8, v50
	v_cmp_lt_i16_e32 vcc, s43, v8
	s_mov_b64 s[36:37], 0
                                        ; implicit-def: $sgpr46
	s_and_saveexec_b64 s[38:39], vcc
	s_xor_b64 s[38:39], exec, s[38:39]
	s_cbranch_execnz .LBB296_618
; %bb.345:                              ;   in Loop: Header=BB296_13 Depth=1
	s_or_saveexec_b64 s[38:39], s[38:39]
	v_mov_b32_e32 v35, s46
	s_xor_b64 exec, exec, s[38:39]
	s_cbranch_execnz .LBB296_621
.LBB296_346:                            ;   in Loop: Header=BB296_13 Depth=1
	s_or_b64 exec, exec, s[38:39]
	s_and_saveexec_b64 s[38:39], s[36:37]
	s_cbranch_execz .LBB296_348
.LBB296_347:                            ;   in Loop: Header=BB296_13 Depth=1
	v_and_b32_e32 v2, 7, v8
	v_ffbh_u32_e32 v0, v2
	v_min_u32_e32 v5, 32, v0
	v_subrev_u32_e32 v0, 28, v5
	v_bfe_u32 v3, v8, 3, 4
	v_lshlrev_b64 v[0:1], v0, v[8:9]
	v_sub_u32_e32 v1, 29, v5
	v_cmp_eq_u32_e32 vcc, 0, v3
	v_and_b32_e32 v0, 7, v0
	s_nop 0
	v_cndmask_b32_e32 v1, v3, v1, vcc
	v_cndmask_b32_e32 v0, v2, v0, vcc
	v_lshlrev_b32_e32 v2, 8, v8
	v_lshl_add_u32 v1, v1, 10, v56
	v_and_or_b32 v1, v2, s45, v1
	v_lshl_or_b32 v0, v0, 7, v1
	v_cvt_f32_f16_e32 v35, v0
.LBB296_348:                            ;   in Loop: Header=BB296_13 Depth=1
	s_or_b64 exec, exec, s[38:39]
	v_lshrrev_b32_e32 v8, 16, v50
	v_cmp_gt_i16_sdwa s[36:37], v8, s43 src0_sel:BYTE_0 src1_sel:DWORD
	s_mov_b64 vcc, 0
                                        ; implicit-def: $sgpr40
	s_and_saveexec_b64 s[38:39], s[36:37]
	s_xor_b64 s[36:37], exec, s[38:39]
	s_cbranch_execnz .LBB296_622
; %bb.349:                              ;   in Loop: Header=BB296_13 Depth=1
	s_or_saveexec_b64 s[36:37], s[36:37]
	v_mov_b32_e32 v51, s40
	s_xor_b64 exec, exec, s[36:37]
	s_cbranch_execnz .LBB296_625
.LBB296_350:                            ;   in Loop: Header=BB296_13 Depth=1
	s_or_b64 exec, exec, s[36:37]
	s_and_saveexec_b64 s[36:37], vcc
	s_cbranch_execz .LBB296_352
.LBB296_351:                            ;   in Loop: Header=BB296_13 Depth=1
	v_bfe_u32 v2, v50, 16, 3
	v_ffbh_u32_e32 v0, v2
	v_min_u32_e32 v5, 32, v0
	v_subrev_u32_e32 v0, 28, v5
	v_bfe_u32 v3, v50, 19, 4
	v_lshlrev_b64 v[0:1], v0, v[8:9]
	v_sub_u32_e32 v1, 29, v5
	v_cmp_eq_u32_e32 vcc, 0, v3
	v_and_b32_e32 v0, 7, v0
	s_nop 0
	v_cndmask_b32_e32 v1, v3, v1, vcc
	v_cndmask_b32_e32 v0, v2, v0, vcc
	v_lshlrev_b32_e32 v2, 8, v8
	v_lshl_add_u32 v1, v1, 10, v56
	v_and_or_b32 v1, v2, s45, v1
	v_lshl_or_b32 v0, v0, 7, v1
	v_cvt_f32_f16_e32 v51, v0
.LBB296_352:                            ;   in Loop: Header=BB296_13 Depth=1
	s_or_b64 exec, exec, s[36:37]
	v_lshrrev_b32_e32 v8, 24, v50
	v_cmp_lt_i16_e32 vcc, s43, v8
	s_mov_b64 s[36:37], 0
                                        ; implicit-def: $sgpr46
	s_and_saveexec_b64 s[38:39], vcc
	s_xor_b64 s[38:39], exec, s[38:39]
	s_cbranch_execnz .LBB296_626
; %bb.353:                              ;   in Loop: Header=BB296_13 Depth=1
	s_or_saveexec_b64 s[38:39], s[38:39]
	v_mov_b32_e32 v20, s46
	s_xor_b64 exec, exec, s[38:39]
	s_cbranch_execnz .LBB296_629
.LBB296_354:                            ;   in Loop: Header=BB296_13 Depth=1
	s_or_b64 exec, exec, s[38:39]
	s_and_saveexec_b64 s[38:39], s[36:37]
	s_cbranch_execz .LBB296_356
.LBB296_355:                            ;   in Loop: Header=BB296_13 Depth=1
	v_bfe_u32 v2, v50, 24, 3
	v_ffbh_u32_e32 v0, v2
	v_min_u32_e32 v5, 32, v0
	v_subrev_u32_e32 v0, 28, v5
	v_bfe_u32 v3, v50, 27, 4
	v_lshlrev_b64 v[0:1], v0, v[8:9]
	v_sub_u32_e32 v1, 29, v5
	v_cmp_eq_u32_e32 vcc, 0, v3
	v_and_b32_e32 v0, 7, v0
	s_nop 0
	v_cndmask_b32_e32 v1, v3, v1, vcc
	v_cndmask_b32_e32 v0, v2, v0, vcc
	v_lshlrev_b32_e32 v2, 8, v8
	v_lshl_add_u32 v1, v1, 10, v56
	v_and_or_b32 v1, v2, s45, v1
	v_lshl_or_b32 v0, v0, 7, v1
	v_cvt_f32_f16_e32 v20, v0
.LBB296_356:                            ;   in Loop: Header=BB296_13 Depth=1
	s_or_b64 exec, exec, s[38:39]
	flat_load_dword v50, v[48:49] offset:3584
	s_mov_b64 vcc, 0
                                        ; implicit-def: $sgpr40
	s_waitcnt vmcnt(0) lgkmcnt(0)
	v_cmp_gt_i16_sdwa s[36:37], v50, s43 src0_sel:BYTE_0 src1_sel:DWORD
	s_and_saveexec_b64 s[38:39], s[36:37]
	s_xor_b64 s[36:37], exec, s[38:39]
	s_cbranch_execnz .LBB296_630
; %bb.357:                              ;   in Loop: Header=BB296_13 Depth=1
	s_or_saveexec_b64 s[36:37], s[36:37]
	v_mov_b32_e32 v31, s40
	s_xor_b64 exec, exec, s[36:37]
	s_cbranch_execnz .LBB296_633
.LBB296_358:                            ;   in Loop: Header=BB296_13 Depth=1
	s_or_b64 exec, exec, s[36:37]
	s_and_saveexec_b64 s[36:37], vcc
	s_cbranch_execz .LBB296_360
.LBB296_359:                            ;   in Loop: Header=BB296_13 Depth=1
	v_and_b32_e32 v2, 7, v50
	v_ffbh_u32_e32 v0, v2
	v_min_u32_e32 v5, 32, v0
	v_subrev_u32_e32 v0, 28, v5
	v_bfe_u32 v3, v50, 3, 4
	v_lshlrev_b64 v[0:1], v0, v[50:51]
	v_sub_u32_e32 v1, 29, v5
	v_cmp_eq_u32_e32 vcc, 0, v3
	v_and_b32_e32 v0, 7, v0
	s_nop 0
	v_cndmask_b32_e32 v1, v3, v1, vcc
	v_cndmask_b32_e32 v0, v2, v0, vcc
	v_lshlrev_b32_e32 v2, 8, v50
	v_lshl_add_u32 v1, v1, 10, v56
	v_and_or_b32 v1, v2, s45, v1
	v_lshl_or_b32 v0, v0, 7, v1
	v_cvt_f32_f16_e32 v31, v0
.LBB296_360:                            ;   in Loop: Header=BB296_13 Depth=1
	s_or_b64 exec, exec, s[36:37]
	v_lshrrev_b16_e32 v8, 8, v50
	v_cmp_lt_i16_e32 vcc, s43, v8
	s_mov_b64 s[36:37], 0
                                        ; implicit-def: $sgpr46
	s_and_saveexec_b64 s[38:39], vcc
	s_xor_b64 s[38:39], exec, s[38:39]
	s_cbranch_execnz .LBB296_634
; %bb.361:                              ;   in Loop: Header=BB296_13 Depth=1
	s_or_saveexec_b64 s[38:39], s[38:39]
	v_mov_b32_e32 v28, s46
	s_xor_b64 exec, exec, s[38:39]
	s_cbranch_execnz .LBB296_637
.LBB296_362:                            ;   in Loop: Header=BB296_13 Depth=1
	s_or_b64 exec, exec, s[38:39]
	s_and_saveexec_b64 s[38:39], s[36:37]
	s_cbranch_execz .LBB296_364
.LBB296_363:                            ;   in Loop: Header=BB296_13 Depth=1
	v_and_b32_e32 v2, 7, v8
	v_ffbh_u32_e32 v0, v2
	v_min_u32_e32 v5, 32, v0
	v_subrev_u32_e32 v0, 28, v5
	v_bfe_u32 v3, v8, 3, 4
	v_lshlrev_b64 v[0:1], v0, v[8:9]
	v_sub_u32_e32 v1, 29, v5
	v_cmp_eq_u32_e32 vcc, 0, v3
	v_and_b32_e32 v0, 7, v0
	s_nop 0
	v_cndmask_b32_e32 v1, v3, v1, vcc
	v_cndmask_b32_e32 v0, v2, v0, vcc
	v_lshlrev_b32_e32 v2, 8, v8
	v_lshl_add_u32 v1, v1, 10, v56
	v_and_or_b32 v1, v2, s45, v1
	v_lshl_or_b32 v0, v0, 7, v1
	v_cvt_f32_f16_e32 v28, v0
.LBB296_364:                            ;   in Loop: Header=BB296_13 Depth=1
	s_or_b64 exec, exec, s[38:39]
	v_lshrrev_b32_e32 v8, 16, v50
	v_cmp_gt_i16_sdwa s[36:37], v8, s43 src0_sel:BYTE_0 src1_sel:DWORD
	s_mov_b64 vcc, 0
                                        ; implicit-def: $sgpr40
	s_and_saveexec_b64 s[38:39], s[36:37]
	s_xor_b64 s[36:37], exec, s[38:39]
	s_cbranch_execnz .LBB296_638
; %bb.365:                              ;   in Loop: Header=BB296_13 Depth=1
	s_or_saveexec_b64 s[36:37], s[36:37]
	v_mov_b32_e32 v39, s40
	s_xor_b64 exec, exec, s[36:37]
	s_cbranch_execnz .LBB296_641
.LBB296_366:                            ;   in Loop: Header=BB296_13 Depth=1
	s_or_b64 exec, exec, s[36:37]
	s_and_saveexec_b64 s[36:37], vcc
	s_cbranch_execz .LBB296_368
.LBB296_367:                            ;   in Loop: Header=BB296_13 Depth=1
	v_bfe_u32 v2, v50, 16, 3
	v_ffbh_u32_e32 v0, v2
	v_min_u32_e32 v5, 32, v0
	v_subrev_u32_e32 v0, 28, v5
	v_bfe_u32 v3, v50, 19, 4
	v_lshlrev_b64 v[0:1], v0, v[8:9]
	v_sub_u32_e32 v1, 29, v5
	v_cmp_eq_u32_e32 vcc, 0, v3
	v_and_b32_e32 v0, 7, v0
	s_nop 0
	v_cndmask_b32_e32 v1, v3, v1, vcc
	v_cndmask_b32_e32 v0, v2, v0, vcc
	v_lshlrev_b32_e32 v2, 8, v8
	v_lshl_add_u32 v1, v1, 10, v56
	v_and_or_b32 v1, v2, s45, v1
	v_lshl_or_b32 v0, v0, 7, v1
	v_cvt_f32_f16_e32 v39, v0
.LBB296_368:                            ;   in Loop: Header=BB296_13 Depth=1
	s_or_b64 exec, exec, s[36:37]
	v_lshrrev_b32_e32 v8, 24, v50
	v_cmp_lt_i16_e32 vcc, s43, v8
	s_mov_b64 s[36:37], 0
                                        ; implicit-def: $sgpr46
	s_and_saveexec_b64 s[38:39], vcc
	s_xor_b64 s[38:39], exec, s[38:39]
	s_cbranch_execnz .LBB296_642
; %bb.369:                              ;   in Loop: Header=BB296_13 Depth=1
	s_or_saveexec_b64 s[38:39], s[38:39]
	v_mov_b32_e32 v45, s46
	s_xor_b64 exec, exec, s[38:39]
	s_cbranch_execnz .LBB296_645
.LBB296_370:                            ;   in Loop: Header=BB296_13 Depth=1
	s_or_b64 exec, exec, s[38:39]
	s_and_saveexec_b64 s[38:39], s[36:37]
	s_cbranch_execz .LBB296_372
.LBB296_371:                            ;   in Loop: Header=BB296_13 Depth=1
	v_bfe_u32 v2, v50, 24, 3
	v_ffbh_u32_e32 v0, v2
	v_min_u32_e32 v5, 32, v0
	v_subrev_u32_e32 v0, 28, v5
	v_bfe_u32 v3, v50, 27, 4
	v_lshlrev_b64 v[0:1], v0, v[8:9]
	v_sub_u32_e32 v1, 29, v5
	v_cmp_eq_u32_e32 vcc, 0, v3
	v_and_b32_e32 v0, 7, v0
	s_nop 0
	v_cndmask_b32_e32 v1, v3, v1, vcc
	v_cndmask_b32_e32 v0, v2, v0, vcc
	v_lshlrev_b32_e32 v2, 8, v8
	v_lshl_add_u32 v1, v1, 10, v56
	v_and_or_b32 v1, v2, s45, v1
	v_lshl_or_b32 v0, v0, 7, v1
	v_cvt_f32_f16_e32 v45, v0
.LBB296_372:                            ;   in Loop: Header=BB296_13 Depth=1
	s_or_b64 exec, exec, s[38:39]
	flat_load_dword v50, v[48:49] offset:3592
	s_mov_b64 vcc, 0
                                        ; implicit-def: $sgpr40
	s_waitcnt vmcnt(0) lgkmcnt(0)
	v_cmp_gt_i16_sdwa s[36:37], v50, s43 src0_sel:BYTE_0 src1_sel:DWORD
	s_and_saveexec_b64 s[38:39], s[36:37]
	s_xor_b64 s[36:37], exec, s[38:39]
	s_cbranch_execnz .LBB296_646
; %bb.373:                              ;   in Loop: Header=BB296_13 Depth=1
	s_or_saveexec_b64 s[36:37], s[36:37]
	v_mov_b32_e32 v12, s40
	s_xor_b64 exec, exec, s[36:37]
	s_cbranch_execnz .LBB296_649
.LBB296_374:                            ;   in Loop: Header=BB296_13 Depth=1
	s_or_b64 exec, exec, s[36:37]
	s_and_saveexec_b64 s[36:37], vcc
	s_cbranch_execz .LBB296_376
.LBB296_375:                            ;   in Loop: Header=BB296_13 Depth=1
	v_and_b32_e32 v2, 7, v50
	v_ffbh_u32_e32 v0, v2
	v_min_u32_e32 v5, 32, v0
	v_subrev_u32_e32 v0, 28, v5
	v_bfe_u32 v3, v50, 3, 4
	v_lshlrev_b64 v[0:1], v0, v[50:51]
	v_sub_u32_e32 v1, 29, v5
	v_cmp_eq_u32_e32 vcc, 0, v3
	v_and_b32_e32 v0, 7, v0
	s_nop 0
	v_cndmask_b32_e32 v1, v3, v1, vcc
	v_cndmask_b32_e32 v0, v2, v0, vcc
	v_lshlrev_b32_e32 v2, 8, v50
	v_lshl_add_u32 v1, v1, 10, v56
	v_and_or_b32 v1, v2, s45, v1
	v_lshl_or_b32 v0, v0, 7, v1
	v_cvt_f32_f16_e32 v12, v0
.LBB296_376:                            ;   in Loop: Header=BB296_13 Depth=1
	s_or_b64 exec, exec, s[36:37]
	v_lshrrev_b16_e32 v8, 8, v50
	v_cmp_lt_i16_e32 vcc, s43, v8
	s_mov_b64 s[36:37], 0
                                        ; implicit-def: $sgpr46
	s_and_saveexec_b64 s[38:39], vcc
	s_xor_b64 s[38:39], exec, s[38:39]
	s_cbranch_execnz .LBB296_650
; %bb.377:                              ;   in Loop: Header=BB296_13 Depth=1
	s_or_saveexec_b64 s[38:39], s[38:39]
	v_mov_b32_e32 v11, s46
	s_xor_b64 exec, exec, s[38:39]
	s_cbranch_execnz .LBB296_653
.LBB296_378:                            ;   in Loop: Header=BB296_13 Depth=1
	s_or_b64 exec, exec, s[38:39]
	s_and_saveexec_b64 s[38:39], s[36:37]
	s_cbranch_execz .LBB296_380
.LBB296_379:                            ;   in Loop: Header=BB296_13 Depth=1
	v_and_b32_e32 v2, 7, v8
	v_ffbh_u32_e32 v0, v2
	v_min_u32_e32 v5, 32, v0
	v_subrev_u32_e32 v0, 28, v5
	v_bfe_u32 v3, v8, 3, 4
	v_lshlrev_b64 v[0:1], v0, v[8:9]
	v_sub_u32_e32 v1, 29, v5
	v_cmp_eq_u32_e32 vcc, 0, v3
	v_and_b32_e32 v0, 7, v0
	s_nop 0
	v_cndmask_b32_e32 v1, v3, v1, vcc
	v_cndmask_b32_e32 v0, v2, v0, vcc
	v_lshlrev_b32_e32 v2, 8, v8
	v_lshl_add_u32 v1, v1, 10, v56
	v_and_or_b32 v1, v2, s45, v1
	v_lshl_or_b32 v0, v0, 7, v1
	v_cvt_f32_f16_e32 v11, v0
.LBB296_380:                            ;   in Loop: Header=BB296_13 Depth=1
	s_or_b64 exec, exec, s[38:39]
	v_lshrrev_b32_e32 v8, 16, v50
	v_cmp_gt_i16_sdwa s[36:37], v8, s43 src0_sel:BYTE_0 src1_sel:DWORD
	s_mov_b64 vcc, 0
                                        ; implicit-def: $sgpr40
	s_and_saveexec_b64 s[38:39], s[36:37]
	s_xor_b64 s[36:37], exec, s[38:39]
	s_cbranch_execnz .LBB296_654
; %bb.381:                              ;   in Loop: Header=BB296_13 Depth=1
	s_or_saveexec_b64 s[36:37], s[36:37]
	v_mov_b32_e32 v10, s40
	s_xor_b64 exec, exec, s[36:37]
	s_cbranch_execnz .LBB296_657
.LBB296_382:                            ;   in Loop: Header=BB296_13 Depth=1
	s_or_b64 exec, exec, s[36:37]
	s_and_saveexec_b64 s[36:37], vcc
	s_cbranch_execz .LBB296_384
.LBB296_383:                            ;   in Loop: Header=BB296_13 Depth=1
	v_bfe_u32 v2, v50, 16, 3
	v_ffbh_u32_e32 v0, v2
	v_min_u32_e32 v5, 32, v0
	v_subrev_u32_e32 v0, 28, v5
	v_bfe_u32 v3, v50, 19, 4
	v_lshlrev_b64 v[0:1], v0, v[8:9]
	v_sub_u32_e32 v1, 29, v5
	v_cmp_eq_u32_e32 vcc, 0, v3
	v_and_b32_e32 v0, 7, v0
	s_nop 0
	v_cndmask_b32_e32 v1, v3, v1, vcc
	v_cndmask_b32_e32 v0, v2, v0, vcc
	v_lshlrev_b32_e32 v2, 8, v8
	v_lshl_add_u32 v1, v1, 10, v56
	v_and_or_b32 v1, v2, s45, v1
	v_lshl_or_b32 v0, v0, 7, v1
	v_cvt_f32_f16_e32 v10, v0
.LBB296_384:                            ;   in Loop: Header=BB296_13 Depth=1
	s_or_b64 exec, exec, s[36:37]
	v_lshrrev_b32_e32 v8, 24, v50
	v_cmp_lt_i16_e32 vcc, s43, v8
	s_mov_b64 s[36:37], 0
                                        ; implicit-def: $sgpr46
	s_and_saveexec_b64 s[38:39], vcc
	s_xor_b64 s[38:39], exec, s[38:39]
	s_cbranch_execnz .LBB296_658
; %bb.385:                              ;   in Loop: Header=BB296_13 Depth=1
	s_or_saveexec_b64 s[38:39], s[38:39]
	v_mov_b32_e32 v27, s46
	s_xor_b64 exec, exec, s[38:39]
	s_cbranch_execnz .LBB296_661
.LBB296_386:                            ;   in Loop: Header=BB296_13 Depth=1
	s_or_b64 exec, exec, s[38:39]
	s_and_saveexec_b64 s[38:39], s[36:37]
	s_cbranch_execz .LBB296_388
.LBB296_387:                            ;   in Loop: Header=BB296_13 Depth=1
	v_bfe_u32 v2, v50, 24, 3
	v_ffbh_u32_e32 v0, v2
	v_min_u32_e32 v5, 32, v0
	v_subrev_u32_e32 v0, 28, v5
	v_bfe_u32 v3, v50, 27, 4
	v_lshlrev_b64 v[0:1], v0, v[8:9]
	v_sub_u32_e32 v1, 29, v5
	v_cmp_eq_u32_e32 vcc, 0, v3
	v_and_b32_e32 v0, 7, v0
	s_nop 0
	v_cndmask_b32_e32 v1, v3, v1, vcc
	v_cndmask_b32_e32 v0, v2, v0, vcc
	v_lshlrev_b32_e32 v2, 8, v8
	v_lshl_add_u32 v1, v1, 10, v56
	v_and_or_b32 v1, v2, s45, v1
	v_lshl_or_b32 v0, v0, 7, v1
	v_cvt_f32_f16_e32 v27, v0
.LBB296_388:                            ;   in Loop: Header=BB296_13 Depth=1
	s_or_b64 exec, exec, s[38:39]
	v_add_co_u32_e32 v0, vcc, 0x1000, v48
                                        ; implicit-def: $sgpr40
	s_nop 1
	v_addc_co_u32_e32 v1, vcc, 0, v49, vcc
	flat_load_dword v50, v[0:1]
	s_mov_b64 vcc, 0
	s_waitcnt vmcnt(0) lgkmcnt(0)
	v_cmp_gt_i16_sdwa s[36:37], v50, s43 src0_sel:BYTE_0 src1_sel:DWORD
	s_and_saveexec_b64 s[38:39], s[36:37]
	s_xor_b64 s[36:37], exec, s[38:39]
	s_cbranch_execnz .LBB296_662
; %bb.389:                              ;   in Loop: Header=BB296_13 Depth=1
	s_or_saveexec_b64 s[36:37], s[36:37]
	v_mov_b32_e32 v2, s40
	s_xor_b64 exec, exec, s[36:37]
	s_cbranch_execnz .LBB296_665
.LBB296_390:                            ;   in Loop: Header=BB296_13 Depth=1
	s_or_b64 exec, exec, s[36:37]
	s_and_saveexec_b64 s[36:37], vcc
	s_cbranch_execz .LBB296_392
.LBB296_391:                            ;   in Loop: Header=BB296_13 Depth=1
	v_and_b32_e32 v2, 7, v50
	v_ffbh_u32_e32 v0, v2
	v_min_u32_e32 v5, 32, v0
	v_subrev_u32_e32 v0, 28, v5
	v_bfe_u32 v3, v50, 3, 4
	v_lshlrev_b64 v[0:1], v0, v[50:51]
	v_sub_u32_e32 v1, 29, v5
	v_cmp_eq_u32_e32 vcc, 0, v3
	v_and_b32_e32 v0, 7, v0
	s_nop 0
	v_cndmask_b32_e32 v1, v3, v1, vcc
	v_cndmask_b32_e32 v0, v2, v0, vcc
	v_lshlrev_b32_e32 v2, 8, v50
	v_lshl_add_u32 v1, v1, 10, v56
	v_and_or_b32 v1, v2, s45, v1
	v_lshl_or_b32 v0, v0, 7, v1
	v_cvt_f32_f16_e32 v2, v0
.LBB296_392:                            ;   in Loop: Header=BB296_13 Depth=1
	s_or_b64 exec, exec, s[36:37]
	v_lshrrev_b16_e32 v8, 8, v50
	v_lshl_add_u64 v[52:53], v[48:49], 0, s[26:27]
	v_cmp_lt_i16_e32 vcc, s43, v8
	s_mov_b64 s[36:37], 0
                                        ; implicit-def: $sgpr46
	s_and_saveexec_b64 s[38:39], vcc
	s_xor_b64 s[38:39], exec, s[38:39]
	s_cbranch_execnz .LBB296_666
; %bb.393:                              ;   in Loop: Header=BB296_13 Depth=1
	s_or_saveexec_b64 s[38:39], s[38:39]
	v_mov_b32_e32 v0, s46
	s_xor_b64 exec, exec, s[38:39]
	s_cbranch_execnz .LBB296_669
.LBB296_394:                            ;   in Loop: Header=BB296_13 Depth=1
	s_or_b64 exec, exec, s[38:39]
	s_and_saveexec_b64 s[38:39], s[36:37]
	s_cbranch_execz .LBB296_396
.LBB296_395:                            ;   in Loop: Header=BB296_13 Depth=1
	v_and_b32_e32 v3, 7, v8
	v_ffbh_u32_e32 v0, v3
	v_min_u32_e32 v6, 32, v0
	v_subrev_u32_e32 v0, 28, v6
	v_bfe_u32 v5, v8, 3, 4
	v_lshlrev_b64 v[0:1], v0, v[8:9]
	v_sub_u32_e32 v1, 29, v6
	v_cmp_eq_u32_e32 vcc, 0, v5
	v_and_b32_e32 v0, 7, v0
	s_nop 0
	v_cndmask_b32_e32 v1, v5, v1, vcc
	v_cndmask_b32_e32 v0, v3, v0, vcc
	v_lshlrev_b32_e32 v3, 8, v8
	v_lshl_add_u32 v1, v1, 10, v56
	v_and_or_b32 v1, v3, s45, v1
	v_lshl_or_b32 v0, v0, 7, v1
	v_cvt_f32_f16_e32 v0, v0
.LBB296_396:                            ;   in Loop: Header=BB296_13 Depth=1
	s_or_b64 exec, exec, s[38:39]
	v_lshrrev_b32_e32 v8, 16, v50
	v_cmp_gt_i16_sdwa s[36:37], v8, s43 src0_sel:BYTE_0 src1_sel:DWORD
	s_mov_b64 vcc, 0
                                        ; implicit-def: $sgpr40
	s_and_saveexec_b64 s[38:39], s[36:37]
	s_xor_b64 s[36:37], exec, s[38:39]
	s_cbranch_execnz .LBB296_670
; %bb.397:                              ;   in Loop: Header=BB296_13 Depth=1
	s_or_saveexec_b64 s[36:37], s[36:37]
	v_mov_b32_e32 v55, s40
	s_xor_b64 exec, exec, s[36:37]
	s_cbranch_execnz .LBB296_673
.LBB296_398:                            ;   in Loop: Header=BB296_13 Depth=1
	s_or_b64 exec, exec, s[36:37]
	s_and_saveexec_b64 s[36:37], vcc
	s_cbranch_execz .LBB296_400
.LBB296_399:                            ;   in Loop: Header=BB296_13 Depth=1
	v_bfe_u32 v1, v50, 16, 3
	v_ffbh_u32_e32 v5, v1
	v_bfe_u32 v3, v50, 19, 4
	v_min_u32_e32 v5, 32, v5
	v_subrev_u32_e32 v6, 28, v5
	v_sub_u32_e32 v5, 29, v5
	v_cmp_eq_u32_e32 vcc, 0, v3
	v_lshlrev_b64 v[6:7], v6, v[8:9]
	v_and_b32_e32 v6, 7, v6
	v_cndmask_b32_e32 v3, v3, v5, vcc
	v_lshlrev_b32_e32 v5, 8, v8
	v_lshl_add_u32 v3, v3, 10, v56
	v_cndmask_b32_e32 v1, v1, v6, vcc
	v_and_or_b32 v3, v5, s45, v3
	v_lshl_or_b32 v1, v1, 7, v3
	v_cvt_f32_f16_e32 v55, v1
.LBB296_400:                            ;   in Loop: Header=BB296_13 Depth=1
	s_or_b64 exec, exec, s[36:37]
	v_lshrrev_b32_e32 v8, 24, v50
	v_cmp_lt_i16_e32 vcc, s43, v8
	s_mov_b64 s[36:37], 0
                                        ; implicit-def: $sgpr46
	s_and_saveexec_b64 s[38:39], vcc
	s_xor_b64 s[38:39], exec, s[38:39]
	s_cbranch_execnz .LBB296_674
; %bb.401:                              ;   in Loop: Header=BB296_13 Depth=1
	s_or_saveexec_b64 s[38:39], s[38:39]
	v_mov_b32_e32 v44, s46
	s_xor_b64 exec, exec, s[38:39]
	s_cbranch_execnz .LBB296_677
.LBB296_402:                            ;   in Loop: Header=BB296_13 Depth=1
	s_or_b64 exec, exec, s[38:39]
	s_and_saveexec_b64 s[38:39], s[36:37]
	s_cbranch_execz .LBB296_404
.LBB296_403:                            ;   in Loop: Header=BB296_13 Depth=1
	v_bfe_u32 v1, v50, 24, 3
	v_ffbh_u32_e32 v5, v1
	v_bfe_u32 v3, v50, 27, 4
	v_min_u32_e32 v5, 32, v5
	v_subrev_u32_e32 v6, 28, v5
	v_sub_u32_e32 v5, 29, v5
	v_cmp_eq_u32_e32 vcc, 0, v3
	v_lshlrev_b64 v[6:7], v6, v[8:9]
	v_and_b32_e32 v6, 7, v6
	v_cndmask_b32_e32 v3, v3, v5, vcc
	v_lshlrev_b32_e32 v5, 8, v8
	v_lshl_add_u32 v3, v3, 10, v56
	v_cndmask_b32_e32 v1, v1, v6, vcc
	v_and_or_b32 v3, v5, s45, v3
	v_lshl_or_b32 v1, v1, 7, v3
	v_cvt_f32_f16_e32 v44, v1
.LBB296_404:                            ;   in Loop: Header=BB296_13 Depth=1
	s_or_b64 exec, exec, s[38:39]
	flat_load_dword v50, v[52:53] offset:8
	s_mov_b64 vcc, 0
                                        ; implicit-def: $sgpr40
	s_waitcnt vmcnt(0) lgkmcnt(0)
	v_cmp_gt_i16_sdwa s[36:37], v50, s43 src0_sel:BYTE_0 src1_sel:DWORD
	s_and_saveexec_b64 s[38:39], s[36:37]
	s_xor_b64 s[36:37], exec, s[38:39]
	s_cbranch_execnz .LBB296_678
; %bb.405:                              ;   in Loop: Header=BB296_13 Depth=1
	s_or_saveexec_b64 s[36:37], s[36:37]
	v_mov_b32_e32 v15, s40
	s_xor_b64 exec, exec, s[36:37]
	s_cbranch_execnz .LBB296_681
.LBB296_406:                            ;   in Loop: Header=BB296_13 Depth=1
	s_or_b64 exec, exec, s[36:37]
	s_and_saveexec_b64 s[36:37], vcc
	s_cbranch_execz .LBB296_408
.LBB296_407:                            ;   in Loop: Header=BB296_13 Depth=1
	v_and_b32_e32 v1, 7, v50
	v_ffbh_u32_e32 v5, v1
	v_bfe_u32 v3, v50, 3, 4
	v_min_u32_e32 v5, 32, v5
	v_subrev_u32_e32 v6, 28, v5
	v_sub_u32_e32 v5, 29, v5
	v_cmp_eq_u32_e32 vcc, 0, v3
	v_lshlrev_b64 v[6:7], v6, v[50:51]
	v_and_b32_e32 v6, 7, v6
	v_cndmask_b32_e32 v3, v3, v5, vcc
	v_lshlrev_b32_e32 v5, 8, v50
	v_lshl_add_u32 v3, v3, 10, v56
	v_cndmask_b32_e32 v1, v1, v6, vcc
	v_and_or_b32 v3, v5, s45, v3
	v_lshl_or_b32 v1, v1, 7, v3
	v_cvt_f32_f16_e32 v15, v1
.LBB296_408:                            ;   in Loop: Header=BB296_13 Depth=1
	s_or_b64 exec, exec, s[36:37]
	v_lshrrev_b16_e32 v8, 8, v50
	v_cmp_lt_i16_e32 vcc, s43, v8
	s_mov_b64 s[36:37], 0
                                        ; implicit-def: $sgpr46
	s_and_saveexec_b64 s[38:39], vcc
	s_xor_b64 s[38:39], exec, s[38:39]
	s_cbranch_execnz .LBB296_682
; %bb.409:                              ;   in Loop: Header=BB296_13 Depth=1
	s_or_saveexec_b64 s[38:39], s[38:39]
	v_mov_b32_e32 v14, s46
	s_xor_b64 exec, exec, s[38:39]
	s_cbranch_execnz .LBB296_685
.LBB296_410:                            ;   in Loop: Header=BB296_13 Depth=1
	s_or_b64 exec, exec, s[38:39]
	s_and_saveexec_b64 s[38:39], s[36:37]
	s_cbranch_execz .LBB296_412
.LBB296_411:                            ;   in Loop: Header=BB296_13 Depth=1
	v_and_b32_e32 v1, 7, v8
	v_ffbh_u32_e32 v5, v1
	v_bfe_u32 v3, v8, 3, 4
	v_min_u32_e32 v5, 32, v5
	v_subrev_u32_e32 v6, 28, v5
	v_sub_u32_e32 v5, 29, v5
	v_cmp_eq_u32_e32 vcc, 0, v3
	v_lshlrev_b64 v[6:7], v6, v[8:9]
	v_and_b32_e32 v6, 7, v6
	v_cndmask_b32_e32 v3, v3, v5, vcc
	v_lshlrev_b32_e32 v5, 8, v8
	v_lshl_add_u32 v3, v3, 10, v56
	v_cndmask_b32_e32 v1, v1, v6, vcc
	v_and_or_b32 v3, v5, s45, v3
	v_lshl_or_b32 v1, v1, 7, v3
	v_cvt_f32_f16_e32 v14, v1
.LBB296_412:                            ;   in Loop: Header=BB296_13 Depth=1
	s_or_b64 exec, exec, s[38:39]
	v_lshrrev_b32_e32 v8, 16, v50
	v_cmp_gt_i16_sdwa s[36:37], v8, s43 src0_sel:BYTE_0 src1_sel:DWORD
	s_mov_b64 vcc, 0
                                        ; implicit-def: $sgpr40
	s_and_saveexec_b64 s[38:39], s[36:37]
	s_xor_b64 s[36:37], exec, s[38:39]
	s_cbranch_execnz .LBB296_686
; %bb.413:                              ;   in Loop: Header=BB296_13 Depth=1
	s_or_saveexec_b64 s[36:37], s[36:37]
	v_mov_b32_e32 v3, s40
	s_xor_b64 exec, exec, s[36:37]
	s_cbranch_execnz .LBB296_689
.LBB296_414:                            ;   in Loop: Header=BB296_13 Depth=1
	s_or_b64 exec, exec, s[36:37]
	s_and_saveexec_b64 s[36:37], vcc
	s_cbranch_execz .LBB296_416
.LBB296_415:                            ;   in Loop: Header=BB296_13 Depth=1
	v_bfe_u32 v1, v50, 16, 3
	v_ffbh_u32_e32 v5, v1
	v_bfe_u32 v3, v50, 19, 4
	v_min_u32_e32 v5, 32, v5
	v_subrev_u32_e32 v6, 28, v5
	v_sub_u32_e32 v5, 29, v5
	v_cmp_eq_u32_e32 vcc, 0, v3
	v_lshlrev_b64 v[6:7], v6, v[8:9]
	v_and_b32_e32 v6, 7, v6
	v_cndmask_b32_e32 v3, v3, v5, vcc
	v_lshlrev_b32_e32 v5, 8, v8
	v_lshl_add_u32 v3, v3, 10, v56
	v_cndmask_b32_e32 v1, v1, v6, vcc
	v_and_or_b32 v3, v5, s45, v3
	v_lshl_or_b32 v1, v1, 7, v3
	v_cvt_f32_f16_e32 v3, v1
.LBB296_416:                            ;   in Loop: Header=BB296_13 Depth=1
	s_or_b64 exec, exec, s[36:37]
	v_lshrrev_b32_e32 v8, 24, v50
	v_cmp_lt_i16_e32 vcc, s43, v8
	s_mov_b64 s[36:37], 0
                                        ; implicit-def: $sgpr46
	s_and_saveexec_b64 s[38:39], vcc
	s_xor_b64 s[38:39], exec, s[38:39]
	s_cbranch_execnz .LBB296_690
; %bb.417:                              ;   in Loop: Header=BB296_13 Depth=1
	s_or_saveexec_b64 s[38:39], s[38:39]
	v_mov_b32_e32 v13, s46
	s_xor_b64 exec, exec, s[38:39]
	s_cbranch_execnz .LBB296_693
.LBB296_418:                            ;   in Loop: Header=BB296_13 Depth=1
	s_or_b64 exec, exec, s[38:39]
	s_and_saveexec_b64 s[38:39], s[36:37]
	s_cbranch_execz .LBB296_420
.LBB296_419:                            ;   in Loop: Header=BB296_13 Depth=1
	v_bfe_u32 v1, v50, 24, 3
	v_ffbh_u32_e32 v6, v1
	v_min_u32_e32 v13, 32, v6
	v_subrev_u32_e32 v6, 28, v13
	v_bfe_u32 v5, v50, 27, 4
	v_lshlrev_b64 v[6:7], v6, v[8:9]
	v_sub_u32_e32 v7, 29, v13
	v_cmp_eq_u32_e32 vcc, 0, v5
	v_and_b32_e32 v6, 7, v6
	s_nop 0
	v_cndmask_b32_e32 v5, v5, v7, vcc
	v_cndmask_b32_e32 v1, v1, v6, vcc
	v_lshlrev_b32_e32 v6, 8, v8
	v_lshl_add_u32 v5, v5, 10, v56
	v_and_or_b32 v5, v6, s45, v5
	v_lshl_or_b32 v1, v1, 7, v5
	v_cvt_f32_f16_e32 v13, v1
.LBB296_420:                            ;   in Loop: Header=BB296_13 Depth=1
	s_or_b64 exec, exec, s[38:39]
	v_add_co_u32_e32 v6, vcc, 0x1000, v48
                                        ; implicit-def: $sgpr40
	s_nop 1
	v_addc_co_u32_e32 v7, vcc, 0, v49, vcc
	flat_load_dword v50, v[6:7] offset:512
	s_mov_b64 vcc, 0
	s_waitcnt vmcnt(0) lgkmcnt(0)
	v_cmp_gt_i16_sdwa s[36:37], v50, s43 src0_sel:BYTE_0 src1_sel:DWORD
	s_and_saveexec_b64 s[38:39], s[36:37]
	s_xor_b64 s[36:37], exec, s[38:39]
	s_cbranch_execnz .LBB296_694
; %bb.421:                              ;   in Loop: Header=BB296_13 Depth=1
	s_or_saveexec_b64 s[36:37], s[36:37]
	v_mov_b32_e32 v24, s40
	s_xor_b64 exec, exec, s[36:37]
	s_cbranch_execnz .LBB296_697
.LBB296_422:                            ;   in Loop: Header=BB296_13 Depth=1
	s_or_b64 exec, exec, s[36:37]
	s_and_saveexec_b64 s[36:37], vcc
	s_cbranch_execz .LBB296_424
.LBB296_423:                            ;   in Loop: Header=BB296_13 Depth=1
	v_and_b32_e32 v1, 7, v50
	v_ffbh_u32_e32 v6, v1
	v_min_u32_e32 v8, 32, v6
	v_subrev_u32_e32 v6, 28, v8
	v_bfe_u32 v5, v50, 3, 4
	v_lshlrev_b64 v[6:7], v6, v[50:51]
	v_sub_u32_e32 v7, 29, v8
	v_cmp_eq_u32_e32 vcc, 0, v5
	v_and_b32_e32 v6, 7, v6
	s_nop 0
	v_cndmask_b32_e32 v5, v5, v7, vcc
	v_cndmask_b32_e32 v1, v1, v6, vcc
	v_lshlrev_b32_e32 v6, 8, v50
	v_lshl_add_u32 v5, v5, 10, v56
	v_and_or_b32 v5, v6, s45, v5
	v_lshl_or_b32 v1, v1, 7, v5
	v_cvt_f32_f16_e32 v24, v1
.LBB296_424:                            ;   in Loop: Header=BB296_13 Depth=1
	s_or_b64 exec, exec, s[36:37]
	v_lshrrev_b16_e32 v8, 8, v50
	v_lshl_add_u64 v[52:53], v[48:49], 0, s[28:29]
	v_cmp_lt_i16_e32 vcc, s43, v8
	s_mov_b64 s[36:37], 0
                                        ; implicit-def: $sgpr46
	s_and_saveexec_b64 s[38:39], vcc
	s_xor_b64 s[38:39], exec, s[38:39]
	s_cbranch_execnz .LBB296_698
; %bb.425:                              ;   in Loop: Header=BB296_13 Depth=1
	s_or_saveexec_b64 s[38:39], s[38:39]
	v_mov_b32_e32 v29, s46
	s_xor_b64 exec, exec, s[38:39]
	s_cbranch_execnz .LBB296_701
.LBB296_426:                            ;   in Loop: Header=BB296_13 Depth=1
	s_or_b64 exec, exec, s[38:39]
	s_and_saveexec_b64 s[38:39], s[36:37]
	s_cbranch_execz .LBB296_428
.LBB296_427:                            ;   in Loop: Header=BB296_13 Depth=1
	v_and_b32_e32 v1, 7, v8
	v_ffbh_u32_e32 v6, v1
	v_min_u32_e32 v17, 32, v6
	v_subrev_u32_e32 v6, 28, v17
	v_bfe_u32 v5, v8, 3, 4
	v_lshlrev_b64 v[6:7], v6, v[8:9]
	v_sub_u32_e32 v7, 29, v17
	v_cmp_eq_u32_e32 vcc, 0, v5
	v_and_b32_e32 v6, 7, v6
	s_nop 0
	v_cndmask_b32_e32 v5, v5, v7, vcc
	v_cndmask_b32_e32 v1, v1, v6, vcc
	v_lshlrev_b32_e32 v6, 8, v8
	v_lshl_add_u32 v5, v5, 10, v56
	v_and_or_b32 v5, v6, s45, v5
	v_lshl_or_b32 v1, v1, 7, v5
	v_cvt_f32_f16_e32 v29, v1
.LBB296_428:                            ;   in Loop: Header=BB296_13 Depth=1
	s_or_b64 exec, exec, s[38:39]
	v_lshrrev_b32_e32 v8, 16, v50
	v_cmp_gt_i16_sdwa s[36:37], v8, s43 src0_sel:BYTE_0 src1_sel:DWORD
	s_mov_b64 vcc, 0
                                        ; implicit-def: $sgpr40
	s_and_saveexec_b64 s[38:39], s[36:37]
	s_xor_b64 s[36:37], exec, s[38:39]
	s_cbranch_execnz .LBB296_702
; %bb.429:                              ;   in Loop: Header=BB296_13 Depth=1
	s_or_saveexec_b64 s[36:37], s[36:37]
	v_mov_b32_e32 v32, s40
	s_xor_b64 exec, exec, s[36:37]
	s_cbranch_execnz .LBB296_705
.LBB296_430:                            ;   in Loop: Header=BB296_13 Depth=1
	s_or_b64 exec, exec, s[36:37]
	s_and_saveexec_b64 s[36:37], vcc
	s_cbranch_execz .LBB296_432
.LBB296_431:                            ;   in Loop: Header=BB296_13 Depth=1
	v_bfe_u32 v1, v50, 16, 3
	v_ffbh_u32_e32 v6, v1
	v_min_u32_e32 v17, 32, v6
	v_subrev_u32_e32 v6, 28, v17
	v_bfe_u32 v5, v50, 19, 4
	v_lshlrev_b64 v[6:7], v6, v[8:9]
	v_sub_u32_e32 v7, 29, v17
	v_cmp_eq_u32_e32 vcc, 0, v5
	v_and_b32_e32 v6, 7, v6
	s_nop 0
	v_cndmask_b32_e32 v5, v5, v7, vcc
	v_cndmask_b32_e32 v1, v1, v6, vcc
	v_lshlrev_b32_e32 v6, 8, v8
	v_lshl_add_u32 v5, v5, 10, v56
	v_and_or_b32 v5, v6, s45, v5
	v_lshl_or_b32 v1, v1, 7, v5
	v_cvt_f32_f16_e32 v32, v1
.LBB296_432:                            ;   in Loop: Header=BB296_13 Depth=1
	s_or_b64 exec, exec, s[36:37]
	v_lshrrev_b32_e32 v8, 24, v50
	v_cmp_lt_i16_e32 vcc, s43, v8
	s_mov_b64 s[36:37], 0
                                        ; implicit-def: $sgpr46
	s_and_saveexec_b64 s[38:39], vcc
	s_xor_b64 s[38:39], exec, s[38:39]
	s_cbranch_execnz .LBB296_706
; %bb.433:                              ;   in Loop: Header=BB296_13 Depth=1
	s_or_saveexec_b64 s[38:39], s[38:39]
	v_mov_b32_e32 v38, s46
	s_xor_b64 exec, exec, s[38:39]
	s_cbranch_execnz .LBB296_709
.LBB296_434:                            ;   in Loop: Header=BB296_13 Depth=1
	s_or_b64 exec, exec, s[38:39]
	s_and_saveexec_b64 s[38:39], s[36:37]
	s_cbranch_execz .LBB296_436
.LBB296_435:                            ;   in Loop: Header=BB296_13 Depth=1
	v_bfe_u32 v1, v50, 24, 3
	v_ffbh_u32_e32 v6, v1
	v_min_u32_e32 v17, 32, v6
	v_subrev_u32_e32 v6, 28, v17
	v_bfe_u32 v5, v50, 27, 4
	v_lshlrev_b64 v[6:7], v6, v[8:9]
	v_sub_u32_e32 v7, 29, v17
	v_cmp_eq_u32_e32 vcc, 0, v5
	v_and_b32_e32 v6, 7, v6
	s_nop 0
	v_cndmask_b32_e32 v5, v5, v7, vcc
	v_cndmask_b32_e32 v1, v1, v6, vcc
	v_lshlrev_b32_e32 v6, 8, v8
	v_lshl_add_u32 v5, v5, 10, v56
	v_and_or_b32 v5, v6, s45, v5
	v_lshl_or_b32 v1, v1, 7, v5
	v_cvt_f32_f16_e32 v38, v1
.LBB296_436:                            ;   in Loop: Header=BB296_13 Depth=1
	s_or_b64 exec, exec, s[38:39]
	flat_load_dword v50, v[52:53] offset:8
	s_mov_b64 vcc, 0
                                        ; implicit-def: $sgpr40
	s_waitcnt vmcnt(0) lgkmcnt(0)
	v_cmp_gt_i16_sdwa s[36:37], v50, s43 src0_sel:BYTE_0 src1_sel:DWORD
	s_and_saveexec_b64 s[38:39], s[36:37]
	s_xor_b64 s[36:37], exec, s[38:39]
	s_cbranch_execnz .LBB296_710
; %bb.437:                              ;   in Loop: Header=BB296_13 Depth=1
	s_or_saveexec_b64 s[36:37], s[36:37]
	v_mov_b32_e32 v19, s40
	s_xor_b64 exec, exec, s[36:37]
	s_cbranch_execnz .LBB296_713
.LBB296_438:                            ;   in Loop: Header=BB296_13 Depth=1
	s_or_b64 exec, exec, s[36:37]
	s_and_saveexec_b64 s[36:37], vcc
	s_cbranch_execz .LBB296_440
.LBB296_439:                            ;   in Loop: Header=BB296_13 Depth=1
	v_and_b32_e32 v1, 7, v50
	v_ffbh_u32_e32 v6, v1
	v_min_u32_e32 v8, 32, v6
	v_subrev_u32_e32 v6, 28, v8
	v_bfe_u32 v5, v50, 3, 4
	v_lshlrev_b64 v[6:7], v6, v[50:51]
	v_sub_u32_e32 v7, 29, v8
	v_cmp_eq_u32_e32 vcc, 0, v5
	v_and_b32_e32 v6, 7, v6
	s_nop 0
	v_cndmask_b32_e32 v5, v5, v7, vcc
	v_cndmask_b32_e32 v1, v1, v6, vcc
	v_lshlrev_b32_e32 v6, 8, v50
	v_lshl_add_u32 v5, v5, 10, v56
	v_and_or_b32 v5, v6, s45, v5
	v_lshl_or_b32 v1, v1, 7, v5
	v_cvt_f32_f16_e32 v19, v1
.LBB296_440:                            ;   in Loop: Header=BB296_13 Depth=1
	s_or_b64 exec, exec, s[36:37]
	v_lshrrev_b16_e32 v8, 8, v50
	v_cmp_lt_i16_e32 vcc, s43, v8
	s_mov_b64 s[36:37], 0
                                        ; implicit-def: $sgpr46
	s_and_saveexec_b64 s[38:39], vcc
	s_xor_b64 s[38:39], exec, s[38:39]
	s_cbranch_execnz .LBB296_714
; %bb.441:                              ;   in Loop: Header=BB296_13 Depth=1
	s_or_saveexec_b64 s[38:39], s[38:39]
	v_mov_b32_e32 v23, s46
	s_xor_b64 exec, exec, s[38:39]
	s_cbranch_execnz .LBB296_717
.LBB296_442:                            ;   in Loop: Header=BB296_13 Depth=1
	s_or_b64 exec, exec, s[38:39]
	s_and_saveexec_b64 s[38:39], s[36:37]
	s_cbranch_execz .LBB296_444
.LBB296_443:                            ;   in Loop: Header=BB296_13 Depth=1
	v_and_b32_e32 v1, 7, v8
	v_ffbh_u32_e32 v6, v1
	v_min_u32_e32 v17, 32, v6
	v_subrev_u32_e32 v6, 28, v17
	v_bfe_u32 v5, v8, 3, 4
	v_lshlrev_b64 v[6:7], v6, v[8:9]
	v_sub_u32_e32 v7, 29, v17
	v_cmp_eq_u32_e32 vcc, 0, v5
	v_and_b32_e32 v6, 7, v6
	s_nop 0
	v_cndmask_b32_e32 v5, v5, v7, vcc
	v_cndmask_b32_e32 v1, v1, v6, vcc
	v_lshlrev_b32_e32 v6, 8, v8
	v_lshl_add_u32 v5, v5, 10, v56
	v_and_or_b32 v5, v6, s45, v5
	v_lshl_or_b32 v1, v1, 7, v5
	v_cvt_f32_f16_e32 v23, v1
.LBB296_444:                            ;   in Loop: Header=BB296_13 Depth=1
	s_or_b64 exec, exec, s[38:39]
	v_lshrrev_b32_e32 v8, 16, v50
	v_cmp_gt_i16_sdwa s[36:37], v8, s43 src0_sel:BYTE_0 src1_sel:DWORD
	s_mov_b64 vcc, 0
                                        ; implicit-def: $sgpr40
	s_and_saveexec_b64 s[38:39], s[36:37]
	s_xor_b64 s[36:37], exec, s[38:39]
	s_cbranch_execnz .LBB296_718
; %bb.445:                              ;   in Loop: Header=BB296_13 Depth=1
	s_or_saveexec_b64 s[36:37], s[36:37]
	v_mov_b32_e32 v40, s40
	s_xor_b64 exec, exec, s[36:37]
	s_cbranch_execnz .LBB296_721
.LBB296_446:                            ;   in Loop: Header=BB296_13 Depth=1
	s_or_b64 exec, exec, s[36:37]
	s_and_saveexec_b64 s[36:37], vcc
	s_cbranch_execz .LBB296_448
.LBB296_447:                            ;   in Loop: Header=BB296_13 Depth=1
	v_bfe_u32 v1, v50, 16, 3
	v_ffbh_u32_e32 v6, v1
	v_min_u32_e32 v17, 32, v6
	v_subrev_u32_e32 v6, 28, v17
	v_bfe_u32 v5, v50, 19, 4
	v_lshlrev_b64 v[6:7], v6, v[8:9]
	v_sub_u32_e32 v7, 29, v17
	v_cmp_eq_u32_e32 vcc, 0, v5
	v_and_b32_e32 v6, 7, v6
	s_nop 0
	v_cndmask_b32_e32 v5, v5, v7, vcc
	v_cndmask_b32_e32 v1, v1, v6, vcc
	v_lshlrev_b32_e32 v6, 8, v8
	v_lshl_add_u32 v5, v5, 10, v56
	v_and_or_b32 v5, v6, s45, v5
	v_lshl_or_b32 v1, v1, 7, v5
	v_cvt_f32_f16_e32 v40, v1
.LBB296_448:                            ;   in Loop: Header=BB296_13 Depth=1
	s_or_b64 exec, exec, s[36:37]
	v_lshrrev_b32_e32 v8, 24, v50
	v_cmp_lt_i16_e32 vcc, s43, v8
	s_mov_b64 s[36:37], 0
                                        ; implicit-def: $sgpr46
	s_and_saveexec_b64 s[38:39], vcc
	s_xor_b64 s[38:39], exec, s[38:39]
	s_cbranch_execnz .LBB296_722
; %bb.449:                              ;   in Loop: Header=BB296_13 Depth=1
	s_or_saveexec_b64 s[38:39], s[38:39]
	v_mov_b32_e32 v16, s46
	s_xor_b64 exec, exec, s[38:39]
	s_cbranch_execnz .LBB296_725
.LBB296_450:                            ;   in Loop: Header=BB296_13 Depth=1
	s_or_b64 exec, exec, s[38:39]
	s_and_saveexec_b64 s[38:39], s[36:37]
	s_cbranch_execz .LBB296_452
.LBB296_451:                            ;   in Loop: Header=BB296_13 Depth=1
	v_bfe_u32 v1, v50, 24, 3
	v_ffbh_u32_e32 v6, v1
	v_min_u32_e32 v17, 32, v6
	v_subrev_u32_e32 v6, 28, v17
	v_bfe_u32 v5, v50, 27, 4
	v_lshlrev_b64 v[6:7], v6, v[8:9]
	v_sub_u32_e32 v7, 29, v17
	v_cmp_eq_u32_e32 vcc, 0, v5
	v_and_b32_e32 v6, 7, v6
	s_nop 0
	v_cndmask_b32_e32 v5, v5, v7, vcc
	v_cndmask_b32_e32 v1, v1, v6, vcc
	v_lshlrev_b32_e32 v6, 8, v8
	v_lshl_add_u32 v5, v5, 10, v56
	v_and_or_b32 v5, v6, s45, v5
	v_lshl_or_b32 v1, v1, 7, v5
	v_cvt_f32_f16_e32 v16, v1
.LBB296_452:                            ;   in Loop: Header=BB296_13 Depth=1
	s_or_b64 exec, exec, s[38:39]
	v_add_co_u32_e32 v6, vcc, 0x1000, v48
                                        ; implicit-def: $sgpr40
	s_nop 1
	v_addc_co_u32_e32 v7, vcc, 0, v49, vcc
	flat_load_dword v50, v[6:7] offset:1024
	s_mov_b64 vcc, 0
	s_waitcnt vmcnt(0) lgkmcnt(0)
	v_cmp_gt_i16_sdwa s[36:37], v50, s43 src0_sel:BYTE_0 src1_sel:DWORD
	s_and_saveexec_b64 s[38:39], s[36:37]
	s_xor_b64 s[36:37], exec, s[38:39]
	s_cbranch_execnz .LBB296_726
; %bb.453:                              ;   in Loop: Header=BB296_13 Depth=1
	s_or_saveexec_b64 s[36:37], s[36:37]
	v_mov_b32_e32 v5, s40
	s_xor_b64 exec, exec, s[36:37]
	s_cbranch_execnz .LBB296_729
.LBB296_454:                            ;   in Loop: Header=BB296_13 Depth=1
	s_or_b64 exec, exec, s[36:37]
	s_and_saveexec_b64 s[36:37], vcc
	s_cbranch_execz .LBB296_456
.LBB296_455:                            ;   in Loop: Header=BB296_13 Depth=1
	v_and_b32_e32 v1, 7, v50
	v_ffbh_u32_e32 v6, v1
	v_min_u32_e32 v8, 32, v6
	v_subrev_u32_e32 v6, 28, v8
	v_bfe_u32 v5, v50, 3, 4
	v_lshlrev_b64 v[6:7], v6, v[50:51]
	v_sub_u32_e32 v7, 29, v8
	v_cmp_eq_u32_e32 vcc, 0, v5
	v_and_b32_e32 v6, 7, v6
	s_nop 0
	v_cndmask_b32_e32 v5, v5, v7, vcc
	v_cndmask_b32_e32 v1, v1, v6, vcc
	v_lshlrev_b32_e32 v6, 8, v50
	v_lshl_add_u32 v5, v5, 10, v56
	v_and_or_b32 v5, v6, s45, v5
	v_lshl_or_b32 v1, v1, 7, v5
	v_cvt_f32_f16_e32 v5, v1
.LBB296_456:                            ;   in Loop: Header=BB296_13 Depth=1
	s_or_b64 exec, exec, s[36:37]
	v_lshrrev_b16_e32 v8, 8, v50
	v_lshl_add_u64 v[52:53], v[48:49], 0, s[30:31]
	v_cmp_lt_i16_e32 vcc, s43, v8
	s_mov_b64 s[36:37], 0
                                        ; implicit-def: $sgpr46
	s_and_saveexec_b64 s[38:39], vcc
	s_xor_b64 s[38:39], exec, s[38:39]
	s_cbranch_execnz .LBB296_730
; %bb.457:                              ;   in Loop: Header=BB296_13 Depth=1
	s_or_saveexec_b64 s[38:39], s[38:39]
	v_mov_b32_e32 v7, s46
	s_xor_b64 exec, exec, s[38:39]
	s_cbranch_execnz .LBB296_733
.LBB296_458:                            ;   in Loop: Header=BB296_13 Depth=1
	s_or_b64 exec, exec, s[38:39]
	s_and_saveexec_b64 s[38:39], s[36:37]
	s_cbranch_execz .LBB296_460
.LBB296_459:                            ;   in Loop: Header=BB296_13 Depth=1
	v_and_b32_e32 v1, 7, v8
	v_ffbh_u32_e32 v6, v1
	v_min_u32_e32 v18, 32, v6
	v_subrev_u32_e32 v6, 28, v18
	v_bfe_u32 v17, v8, 3, 4
	v_lshlrev_b64 v[6:7], v6, v[8:9]
	v_sub_u32_e32 v7, 29, v18
	v_cmp_eq_u32_e32 vcc, 0, v17
	v_and_b32_e32 v6, 7, v6
	s_nop 0
	v_cndmask_b32_e32 v7, v17, v7, vcc
	v_cndmask_b32_e32 v1, v1, v6, vcc
	v_lshlrev_b32_e32 v6, 8, v8
	v_lshl_add_u32 v7, v7, 10, v56
	v_and_or_b32 v6, v6, s45, v7
	v_lshl_or_b32 v1, v1, 7, v6
	v_cvt_f32_f16_e32 v7, v1
.LBB296_460:                            ;   in Loop: Header=BB296_13 Depth=1
	s_or_b64 exec, exec, s[38:39]
	v_lshrrev_b32_e32 v8, 16, v50
	v_cmp_gt_i16_sdwa s[36:37], v8, s43 src0_sel:BYTE_0 src1_sel:DWORD
	s_mov_b64 vcc, 0
                                        ; implicit-def: $sgpr40
	s_and_saveexec_b64 s[38:39], s[36:37]
	s_xor_b64 s[36:37], exec, s[38:39]
	s_cbranch_execnz .LBB296_734
; %bb.461:                              ;   in Loop: Header=BB296_13 Depth=1
	s_or_saveexec_b64 s[36:37], s[36:37]
	v_mov_b32_e32 v17, s40
	s_xor_b64 exec, exec, s[36:37]
	s_cbranch_execnz .LBB296_737
.LBB296_462:                            ;   in Loop: Header=BB296_13 Depth=1
	s_or_b64 exec, exec, s[36:37]
	s_and_saveexec_b64 s[36:37], vcc
	s_cbranch_execz .LBB296_464
.LBB296_463:                            ;   in Loop: Header=BB296_13 Depth=1
	v_bfe_u32 v1, v50, 16, 3
	v_ffbh_u32_e32 v17, v1
	v_bfe_u32 v6, v50, 19, 4
	v_min_u32_e32 v17, 32, v17
	v_subrev_u32_e32 v18, 28, v17
	v_sub_u32_e32 v17, 29, v17
	v_cmp_eq_u32_e32 vcc, 0, v6
	v_lshlrev_b64 v[42:43], v18, v[8:9]
	v_and_b32_e32 v18, 7, v42
	v_cndmask_b32_e32 v6, v6, v17, vcc
	v_lshlrev_b32_e32 v8, 8, v8
	v_lshl_add_u32 v6, v6, 10, v56
	v_cndmask_b32_e32 v1, v1, v18, vcc
	v_and_or_b32 v6, v8, s45, v6
	v_lshl_or_b32 v1, v1, 7, v6
	v_cvt_f32_f16_e32 v17, v1
.LBB296_464:                            ;   in Loop: Header=BB296_13 Depth=1
	s_or_b64 exec, exec, s[36:37]
	v_lshrrev_b32_e32 v8, 24, v50
	v_cmp_lt_i16_e32 vcc, s43, v8
	s_mov_b64 s[36:37], 0
                                        ; implicit-def: $sgpr46
	s_and_saveexec_b64 s[38:39], vcc
	s_xor_b64 s[38:39], exec, s[38:39]
	s_cbranch_execnz .LBB296_738
; %bb.465:                              ;   in Loop: Header=BB296_13 Depth=1
	s_or_saveexec_b64 s[38:39], s[38:39]
	v_mov_b32_e32 v18, s46
	s_xor_b64 exec, exec, s[38:39]
	s_cbranch_execnz .LBB296_741
.LBB296_466:                            ;   in Loop: Header=BB296_13 Depth=1
	s_or_b64 exec, exec, s[38:39]
	s_and_saveexec_b64 s[38:39], s[36:37]
	s_cbranch_execz .LBB296_468
.LBB296_467:                            ;   in Loop: Header=BB296_13 Depth=1
	v_bfe_u32 v1, v50, 24, 3
	v_ffbh_u32_e32 v18, v1
	v_bfe_u32 v6, v50, 27, 4
	v_min_u32_e32 v18, 32, v18
	v_subrev_u32_e32 v21, 28, v18
	v_sub_u32_e32 v18, 29, v18
	v_cmp_eq_u32_e32 vcc, 0, v6
	v_lshlrev_b64 v[42:43], v21, v[8:9]
	v_and_b32_e32 v21, 7, v42
	v_cndmask_b32_e32 v6, v6, v18, vcc
	v_lshlrev_b32_e32 v8, 8, v8
	v_lshl_add_u32 v6, v6, 10, v56
	v_cndmask_b32_e32 v1, v1, v21, vcc
	v_and_or_b32 v6, v8, s45, v6
	v_lshl_or_b32 v1, v1, 7, v6
	v_cvt_f32_f16_e32 v18, v1
.LBB296_468:                            ;   in Loop: Header=BB296_13 Depth=1
	s_or_b64 exec, exec, s[38:39]
	flat_load_dword v50, v[52:53] offset:8
	s_mov_b64 vcc, 0
                                        ; implicit-def: $sgpr40
	s_waitcnt vmcnt(0) lgkmcnt(0)
	v_cmp_gt_i16_sdwa s[36:37], v50, s43 src0_sel:BYTE_0 src1_sel:DWORD
	s_and_saveexec_b64 s[38:39], s[36:37]
	s_xor_b64 s[36:37], exec, s[38:39]
	s_cbranch_execnz .LBB296_742
; %bb.469:                              ;   in Loop: Header=BB296_13 Depth=1
	s_or_saveexec_b64 s[36:37], s[36:37]
	v_mov_b32_e32 v6, s40
	s_xor_b64 exec, exec, s[36:37]
	s_cbranch_execnz .LBB296_745
.LBB296_470:                            ;   in Loop: Header=BB296_13 Depth=1
	s_or_b64 exec, exec, s[36:37]
	s_and_saveexec_b64 s[36:37], vcc
	s_cbranch_execz .LBB296_472
.LBB296_471:                            ;   in Loop: Header=BB296_13 Depth=1
	v_and_b32_e32 v1, 7, v50
	v_ffbh_u32_e32 v8, v1
	v_bfe_u32 v6, v50, 3, 4
	v_min_u32_e32 v8, 32, v8
	v_subrev_u32_e32 v21, 28, v8
	v_sub_u32_e32 v8, 29, v8
	v_cmp_eq_u32_e32 vcc, 0, v6
	v_lshlrev_b64 v[52:53], v21, v[50:51]
	v_and_b32_e32 v21, 7, v52
	v_cndmask_b32_e32 v6, v6, v8, vcc
	v_lshlrev_b32_e32 v8, 8, v50
	v_lshl_add_u32 v6, v6, 10, v56
	v_cndmask_b32_e32 v1, v1, v21, vcc
	v_and_or_b32 v6, v8, s45, v6
	v_lshl_or_b32 v1, v1, 7, v6
	v_cvt_f32_f16_e32 v6, v1
.LBB296_472:                            ;   in Loop: Header=BB296_13 Depth=1
	s_or_b64 exec, exec, s[36:37]
	v_lshrrev_b16_e32 v8, 8, v50
	v_cmp_lt_i16_e32 vcc, s43, v8
	s_mov_b64 s[36:37], 0
                                        ; implicit-def: $sgpr46
	s_and_saveexec_b64 s[38:39], vcc
	s_xor_b64 s[38:39], exec, s[38:39]
	s_cbranch_execnz .LBB296_746
; %bb.473:                              ;   in Loop: Header=BB296_13 Depth=1
	s_or_saveexec_b64 s[38:39], s[38:39]
	v_mov_b32_e32 v1, s46
	s_xor_b64 exec, exec, s[38:39]
	s_cbranch_execnz .LBB296_749
.LBB296_474:                            ;   in Loop: Header=BB296_13 Depth=1
	s_or_b64 exec, exec, s[38:39]
	s_and_saveexec_b64 s[38:39], s[36:37]
	s_cbranch_execz .LBB296_476
.LBB296_475:                            ;   in Loop: Header=BB296_13 Depth=1
	v_and_b32_e32 v1, 7, v8
	v_ffbh_u32_e32 v22, v1
	v_bfe_u32 v21, v8, 3, 4
	v_min_u32_e32 v22, 32, v22
	v_subrev_u32_e32 v25, 28, v22
	v_sub_u32_e32 v22, 29, v22
	v_cmp_eq_u32_e32 vcc, 0, v21
	v_lshlrev_b64 v[52:53], v25, v[8:9]
	v_and_b32_e32 v25, 7, v52
	v_cndmask_b32_e32 v21, v21, v22, vcc
	v_lshlrev_b32_e32 v8, 8, v8
	v_lshl_add_u32 v21, v21, 10, v56
	v_cndmask_b32_e32 v1, v1, v25, vcc
	v_and_or_b32 v8, v8, s45, v21
	v_lshl_or_b32 v1, v1, 7, v8
	v_cvt_f32_f16_e32 v1, v1
.LBB296_476:                            ;   in Loop: Header=BB296_13 Depth=1
	s_or_b64 exec, exec, s[38:39]
	v_lshrrev_b32_e32 v8, 16, v50
	v_cmp_gt_i16_sdwa s[36:37], v8, s43 src0_sel:BYTE_0 src1_sel:DWORD
	s_mov_b64 vcc, 0
                                        ; implicit-def: $sgpr40
	s_and_saveexec_b64 s[38:39], s[36:37]
	s_xor_b64 s[36:37], exec, s[38:39]
	s_cbranch_execnz .LBB296_750
; %bb.477:                              ;   in Loop: Header=BB296_13 Depth=1
	s_or_saveexec_b64 s[36:37], s[36:37]
	v_mov_b32_e32 v21, s40
	s_xor_b64 exec, exec, s[36:37]
	s_cbranch_execnz .LBB296_753
.LBB296_478:                            ;   in Loop: Header=BB296_13 Depth=1
	s_or_b64 exec, exec, s[36:37]
	s_and_saveexec_b64 s[36:37], vcc
	s_cbranch_execz .LBB296_480
.LBB296_479:                            ;   in Loop: Header=BB296_13 Depth=1
	v_bfe_u32 v21, v50, 16, 3
	v_ffbh_u32_e32 v25, v21
	v_bfe_u32 v22, v50, 19, 4
	v_min_u32_e32 v25, 32, v25
	v_subrev_u32_e32 v26, 28, v25
	v_sub_u32_e32 v25, 29, v25
	v_cmp_eq_u32_e32 vcc, 0, v22
	v_lshlrev_b64 v[52:53], v26, v[8:9]
	v_and_b32_e32 v26, 7, v52
	v_cndmask_b32_e32 v22, v22, v25, vcc
	v_lshlrev_b32_e32 v8, 8, v8
	v_lshl_add_u32 v22, v22, 10, v56
	v_cndmask_b32_e32 v21, v21, v26, vcc
	v_and_or_b32 v8, v8, s45, v22
	v_lshl_or_b32 v8, v21, 7, v8
	v_cvt_f32_f16_e32 v21, v8
.LBB296_480:                            ;   in Loop: Header=BB296_13 Depth=1
	s_or_b64 exec, exec, s[36:37]
	v_lshrrev_b32_e32 v8, 24, v50
	v_cmp_lt_i16_e32 vcc, s43, v8
	s_mov_b64 s[36:37], 0
                                        ; implicit-def: $sgpr46
	s_and_saveexec_b64 s[38:39], vcc
	s_xor_b64 s[38:39], exec, s[38:39]
	s_cbranch_execnz .LBB296_754
; %bb.481:                              ;   in Loop: Header=BB296_13 Depth=1
	s_or_saveexec_b64 s[38:39], s[38:39]
	v_mov_b32_e32 v22, s46
	s_xor_b64 exec, exec, s[38:39]
	s_cbranch_execnz .LBB296_757
.LBB296_482:                            ;   in Loop: Header=BB296_13 Depth=1
	s_or_b64 exec, exec, s[38:39]
	s_and_saveexec_b64 s[38:39], s[36:37]
	s_cbranch_execz .LBB296_484
.LBB296_483:                            ;   in Loop: Header=BB296_13 Depth=1
	v_bfe_u32 v22, v50, 24, 3
	v_ffbh_u32_e32 v26, v22
	v_bfe_u32 v25, v50, 27, 4
	v_min_u32_e32 v26, 32, v26
	v_subrev_u32_e32 v33, 28, v26
	v_sub_u32_e32 v26, 29, v26
	v_cmp_eq_u32_e32 vcc, 0, v25
	v_lshlrev_b64 v[52:53], v33, v[8:9]
	v_and_b32_e32 v33, 7, v52
	v_cndmask_b32_e32 v25, v25, v26, vcc
	v_lshlrev_b32_e32 v8, 8, v8
	v_lshl_add_u32 v25, v25, 10, v56
	v_cndmask_b32_e32 v22, v22, v33, vcc
	v_and_or_b32 v8, v8, s45, v25
	v_lshl_or_b32 v8, v22, 7, v8
	v_cvt_f32_f16_e32 v22, v8
.LBB296_484:                            ;   in Loop: Header=BB296_13 Depth=1
	s_or_b64 exec, exec, s[38:39]
	v_add_co_u32_e32 v52, vcc, 0x1000, v48
                                        ; implicit-def: $sgpr40
	s_nop 1
	v_addc_co_u32_e32 v53, vcc, 0, v49, vcc
	flat_load_dword v50, v[52:53] offset:1536
	s_mov_b64 vcc, 0
	s_waitcnt vmcnt(0) lgkmcnt(0)
	v_cmp_gt_i16_sdwa s[36:37], v50, s43 src0_sel:BYTE_0 src1_sel:DWORD
	s_and_saveexec_b64 s[38:39], s[36:37]
	s_xor_b64 s[36:37], exec, s[38:39]
	s_cbranch_execnz .LBB296_758
; %bb.485:                              ;   in Loop: Header=BB296_13 Depth=1
	s_or_saveexec_b64 s[36:37], s[36:37]
	v_mov_b32_e32 v25, s40
	s_xor_b64 exec, exec, s[36:37]
	s_cbranch_execnz .LBB296_761
.LBB296_486:                            ;   in Loop: Header=BB296_13 Depth=1
	s_or_b64 exec, exec, s[36:37]
	s_and_saveexec_b64 s[36:37], vcc
	s_cbranch_execz .LBB296_488
.LBB296_487:                            ;   in Loop: Header=BB296_13 Depth=1
	v_and_b32_e32 v8, 7, v50
	v_ffbh_u32_e32 v26, v8
	v_bfe_u32 v25, v50, 3, 4
	v_min_u32_e32 v26, 32, v26
	v_subrev_u32_e32 v33, 28, v26
	v_sub_u32_e32 v26, 29, v26
	v_cmp_eq_u32_e32 vcc, 0, v25
	v_lshlrev_b64 v[52:53], v33, v[50:51]
	v_and_b32_e32 v33, 7, v52
	v_cndmask_b32_e32 v25, v25, v26, vcc
	v_lshlrev_b32_e32 v26, 8, v50
	v_lshl_add_u32 v25, v25, 10, v56
	v_cndmask_b32_e32 v8, v8, v33, vcc
	v_and_or_b32 v25, v26, s45, v25
	v_lshl_or_b32 v8, v8, 7, v25
	v_cvt_f32_f16_e32 v25, v8
.LBB296_488:                            ;   in Loop: Header=BB296_13 Depth=1
	s_or_b64 exec, exec, s[36:37]
	v_lshrrev_b16_e32 v8, 8, v50
	v_lshl_add_u64 v[48:49], v[48:49], 0, s[34:35]
	v_cmp_lt_i16_e32 vcc, s43, v8
	s_mov_b64 s[36:37], 0
                                        ; implicit-def: $sgpr46
	s_and_saveexec_b64 s[38:39], vcc
	s_xor_b64 s[38:39], exec, s[38:39]
	s_cbranch_execnz .LBB296_762
; %bb.489:                              ;   in Loop: Header=BB296_13 Depth=1
	s_or_saveexec_b64 s[38:39], s[38:39]
	v_mov_b32_e32 v34, s46
	s_xor_b64 exec, exec, s[38:39]
	s_cbranch_execnz .LBB296_765
.LBB296_490:                            ;   in Loop: Header=BB296_13 Depth=1
	s_or_b64 exec, exec, s[38:39]
	s_and_saveexec_b64 s[38:39], s[36:37]
	s_cbranch_execz .LBB296_492
.LBB296_491:                            ;   in Loop: Header=BB296_13 Depth=1
	v_and_b32_e32 v26, 7, v8
	v_ffbh_u32_e32 v34, v26
	v_bfe_u32 v33, v8, 3, 4
	v_min_u32_e32 v34, 32, v34
	v_subrev_u32_e32 v37, 28, v34
	v_sub_u32_e32 v34, 29, v34
	v_cmp_eq_u32_e32 vcc, 0, v33
	v_lshlrev_b64 v[52:53], v37, v[8:9]
	v_and_b32_e32 v37, 7, v52
	v_cndmask_b32_e32 v33, v33, v34, vcc
	v_lshlrev_b32_e32 v8, 8, v8
	v_lshl_add_u32 v33, v33, 10, v56
	v_cndmask_b32_e32 v26, v26, v37, vcc
	v_and_or_b32 v8, v8, s45, v33
	v_lshl_or_b32 v8, v26, 7, v8
	v_cvt_f32_f16_e32 v34, v8
.LBB296_492:                            ;   in Loop: Header=BB296_13 Depth=1
	s_or_b64 exec, exec, s[38:39]
	v_lshrrev_b32_e32 v8, 16, v50
	v_cmp_gt_i16_sdwa s[36:37], v8, s43 src0_sel:BYTE_0 src1_sel:DWORD
	s_mov_b64 vcc, 0
                                        ; implicit-def: $sgpr40
	s_and_saveexec_b64 s[38:39], s[36:37]
	s_xor_b64 s[36:37], exec, s[38:39]
	s_cbranch_execnz .LBB296_766
; %bb.493:                              ;   in Loop: Header=BB296_13 Depth=1
	s_or_saveexec_b64 s[36:37], s[36:37]
	v_mov_b32_e32 v37, s40
	s_xor_b64 exec, exec, s[36:37]
	s_cbranch_execnz .LBB296_769
.LBB296_494:                            ;   in Loop: Header=BB296_13 Depth=1
	s_or_b64 exec, exec, s[36:37]
	s_and_saveexec_b64 s[36:37], vcc
	s_cbranch_execz .LBB296_496
.LBB296_495:                            ;   in Loop: Header=BB296_13 Depth=1
	v_bfe_u32 v26, v50, 16, 3
	v_ffbh_u32_e32 v37, v26
	v_bfe_u32 v33, v50, 19, 4
	v_min_u32_e32 v37, 32, v37
	v_subrev_u32_e32 v52, 28, v37
	v_sub_u32_e32 v37, 29, v37
	v_cmp_eq_u32_e32 vcc, 0, v33
	v_lshlrev_b64 v[52:53], v52, v[8:9]
	v_and_b32_e32 v52, 7, v52
	v_cndmask_b32_e32 v33, v33, v37, vcc
	v_lshlrev_b32_e32 v8, 8, v8
	v_lshl_add_u32 v33, v33, 10, v56
	v_cndmask_b32_e32 v26, v26, v52, vcc
	v_and_or_b32 v8, v8, s45, v33
	v_lshl_or_b32 v8, v26, 7, v8
	v_cvt_f32_f16_e32 v37, v8
.LBB296_496:                            ;   in Loop: Header=BB296_13 Depth=1
	s_or_b64 exec, exec, s[36:37]
	v_lshrrev_b32_e32 v8, 24, v50
	v_cmp_lt_i16_e32 vcc, s43, v8
	s_mov_b64 s[36:37], 0
                                        ; implicit-def: $sgpr46
	s_and_saveexec_b64 s[38:39], vcc
	s_xor_b64 s[38:39], exec, s[38:39]
	s_cbranch_execnz .LBB296_770
; %bb.497:                              ;   in Loop: Header=BB296_13 Depth=1
	s_or_saveexec_b64 s[38:39], s[38:39]
	v_mov_b32_e32 v52, s46
	s_xor_b64 exec, exec, s[38:39]
	s_cbranch_execnz .LBB296_773
.LBB296_498:                            ;   in Loop: Header=BB296_13 Depth=1
	s_or_b64 exec, exec, s[38:39]
	s_and_saveexec_b64 s[38:39], s[36:37]
	s_cbranch_execz .LBB296_500
.LBB296_499:                            ;   in Loop: Header=BB296_13 Depth=1
	v_bfe_u32 v26, v50, 24, 3
	v_bfe_u32 v33, v50, 27, 4
	v_ffbh_u32_e32 v50, v26
	v_min_u32_e32 v50, 32, v50
	v_subrev_u32_e32 v52, 28, v50
	v_sub_u32_e32 v50, 29, v50
	v_cmp_eq_u32_e32 vcc, 0, v33
	v_lshlrev_b64 v[52:53], v52, v[8:9]
	v_and_b32_e32 v52, 7, v52
	v_cndmask_b32_e32 v33, v33, v50, vcc
	v_lshlrev_b32_e32 v8, 8, v8
	v_lshl_add_u32 v33, v33, 10, v56
	v_cndmask_b32_e32 v26, v26, v52, vcc
	v_and_or_b32 v8, v8, s45, v33
	v_lshl_or_b32 v8, v26, 7, v8
	v_cvt_f32_f16_e32 v52, v8
.LBB296_500:                            ;   in Loop: Header=BB296_13 Depth=1
	s_or_b64 exec, exec, s[38:39]
	flat_load_dword v48, v[48:49] offset:8
	s_mov_b64 vcc, 0
                                        ; implicit-def: $sgpr40
	s_waitcnt vmcnt(0) lgkmcnt(0)
	v_cmp_gt_i16_sdwa s[36:37], v48, s43 src0_sel:BYTE_0 src1_sel:DWORD
	s_and_saveexec_b64 s[38:39], s[36:37]
	s_xor_b64 s[36:37], exec, s[38:39]
	s_cbranch_execnz .LBB296_774
; %bb.501:                              ;   in Loop: Header=BB296_13 Depth=1
	s_or_saveexec_b64 s[36:37], s[36:37]
	v_mov_b32_e32 v33, s40
	s_xor_b64 exec, exec, s[36:37]
	s_cbranch_execnz .LBB296_777
.LBB296_502:                            ;   in Loop: Header=BB296_13 Depth=1
	s_or_b64 exec, exec, s[36:37]
	s_and_saveexec_b64 s[36:37], vcc
	s_cbranch_execz .LBB296_504
.LBB296_503:                            ;   in Loop: Header=BB296_13 Depth=1
	v_and_b32_e32 v8, 7, v48
	v_ffbh_u32_e32 v33, v8
	v_bfe_u32 v26, v48, 3, 4
	v_min_u32_e32 v33, 32, v33
	v_subrev_u32_e32 v49, 28, v33
	v_sub_u32_e32 v33, 29, v33
	v_cmp_eq_u32_e32 vcc, 0, v26
	v_lshlrev_b64 v[42:43], v49, v[48:49]
	v_and_b32_e32 v49, 7, v42
	v_cndmask_b32_e32 v26, v26, v33, vcc
	v_lshlrev_b32_e32 v33, 8, v48
	v_lshl_add_u32 v26, v26, 10, v56
	v_cndmask_b32_e32 v8, v8, v49, vcc
	v_and_or_b32 v26, v33, s45, v26
	v_lshl_or_b32 v8, v8, 7, v26
	v_cvt_f32_f16_e32 v33, v8
.LBB296_504:                            ;   in Loop: Header=BB296_13 Depth=1
	s_or_b64 exec, exec, s[36:37]
	v_lshrrev_b16_e32 v8, 8, v48
	v_cmp_lt_i16_e32 vcc, s43, v8
	s_mov_b64 s[36:37], 0
                                        ; implicit-def: $sgpr46
	s_and_saveexec_b64 s[38:39], vcc
	s_xor_b64 s[38:39], exec, s[38:39]
	s_cbranch_execnz .LBB296_778
; %bb.505:                              ;   in Loop: Header=BB296_13 Depth=1
	s_or_saveexec_b64 s[38:39], s[38:39]
	v_mov_b32_e32 v53, s46
	s_xor_b64 exec, exec, s[38:39]
	s_cbranch_execnz .LBB296_781
.LBB296_506:                            ;   in Loop: Header=BB296_13 Depth=1
	s_or_b64 exec, exec, s[38:39]
	s_and_saveexec_b64 s[38:39], s[36:37]
	s_cbranch_execz .LBB296_508
.LBB296_507:                            ;   in Loop: Header=BB296_13 Depth=1
	v_and_b32_e32 v26, 7, v8
	v_ffbh_u32_e32 v50, v26
	v_bfe_u32 v49, v8, 3, 4
	v_min_u32_e32 v50, 32, v50
	v_subrev_u32_e32 v53, 28, v50
	v_sub_u32_e32 v50, 29, v50
	v_cmp_eq_u32_e32 vcc, 0, v49
	v_lshlrev_b64 v[42:43], v53, v[8:9]
	v_and_b32_e32 v53, 7, v42
	v_cndmask_b32_e32 v49, v49, v50, vcc
	v_lshlrev_b32_e32 v8, 8, v8
	v_lshl_add_u32 v49, v49, 10, v56
	v_cndmask_b32_e32 v26, v26, v53, vcc
	v_and_or_b32 v8, v8, s45, v49
	v_lshl_or_b32 v8, v26, 7, v8
	v_cvt_f32_f16_e32 v53, v8
.LBB296_508:                            ;   in Loop: Header=BB296_13 Depth=1
	s_or_b64 exec, exec, s[38:39]
	v_lshrrev_b32_e32 v8, 16, v48
	v_cmp_gt_i16_sdwa s[36:37], v8, s43 src0_sel:BYTE_0 src1_sel:DWORD
	s_mov_b64 vcc, 0
                                        ; implicit-def: $sgpr40
	s_and_saveexec_b64 s[38:39], s[36:37]
	s_xor_b64 s[36:37], exec, s[38:39]
	s_cbranch_execnz .LBB296_782
; %bb.509:                              ;   in Loop: Header=BB296_13 Depth=1
	s_or_saveexec_b64 s[36:37], s[36:37]
	v_mov_b32_e32 v50, s40
	s_xor_b64 exec, exec, s[36:37]
	s_cbranch_execnz .LBB296_785
.LBB296_510:                            ;   in Loop: Header=BB296_13 Depth=1
	s_or_b64 exec, exec, s[36:37]
	s_and_saveexec_b64 s[36:37], vcc
	s_cbranch_execz .LBB296_512
.LBB296_511:                            ;   in Loop: Header=BB296_13 Depth=1
	v_bfe_u32 v26, v48, 16, 3
	v_ffbh_u32_e32 v50, v26
	v_bfe_u32 v49, v48, 19, 4
	v_min_u32_e32 v50, 32, v50
	v_accvgpr_write_b32 a52, v57
	v_mov_b32_e32 v57, v41
	v_subrev_u32_e32 v41, 28, v50
	v_sub_u32_e32 v50, 29, v50
	v_cmp_eq_u32_e32 vcc, 0, v49
	v_lshlrev_b64 v[42:43], v41, v[8:9]
	v_and_b32_e32 v41, 7, v42
	v_cndmask_b32_e32 v49, v49, v50, vcc
	v_lshlrev_b32_e32 v8, 8, v8
	v_lshl_add_u32 v49, v49, 10, v56
	v_cndmask_b32_e32 v26, v26, v41, vcc
	v_and_or_b32 v8, v8, s45, v49
	v_lshl_or_b32 v8, v26, 7, v8
	v_cvt_f32_f16_e32 v50, v8
	v_mov_b32_e32 v41, v57
	v_accvgpr_read_b32 v57, a52
.LBB296_512:                            ;   in Loop: Header=BB296_13 Depth=1
	s_or_b64 exec, exec, s[36:37]
	v_lshrrev_b32_e32 v8, 24, v48
	v_cmp_lt_i16_e32 vcc, s43, v8
	s_mov_b64 s[36:37], 0
                                        ; implicit-def: $sgpr46
	s_and_saveexec_b64 s[38:39], vcc
	s_xor_b64 s[38:39], exec, s[38:39]
	s_cbranch_execz .LBB296_516
; %bb.513:                              ;   in Loop: Header=BB296_13 Depth=1
	v_cmp_eq_u16_e32 vcc, s44, v8
	s_mov_b64 s[36:37], -1
                                        ; implicit-def: $sgpr46
	s_and_saveexec_b64 s[40:41], vcc
; %bb.514:                              ;   in Loop: Header=BB296_13 Depth=1
	s_mov_b32 s46, 0x7fc02000
	s_xor_b64 s[36:37], exec, -1
; %bb.515:                              ;   in Loop: Header=BB296_13 Depth=1
	s_or_b64 exec, exec, s[40:41]
	s_and_b64 s[36:37], s[36:37], exec
.LBB296_516:                            ;   in Loop: Header=BB296_13 Depth=1
	s_or_saveexec_b64 s[38:39], s[38:39]
	v_mov_b32_e32 v26, s46
	s_xor_b64 exec, exec, s[38:39]
; %bb.517:                              ;   in Loop: Header=BB296_13 Depth=1
	v_cmp_ne_u16_e32 vcc, 0, v8
	s_andn2_b64 s[36:37], s[36:37], exec
	s_and_b64 vcc, vcc, exec
	v_mov_b32_e32 v26, 0
	s_or_b64 s[36:37], s[36:37], vcc
; %bb.518:                              ;   in Loop: Header=BB296_13 Depth=1
	s_or_b64 exec, exec, s[38:39]
	scratch_load_dword v49, off, s32 offset:296 ; 4-byte Folded Reload
	v_accvgpr_write_b32 a52, v57
	s_waitcnt vmcnt(0)
	v_accvgpr_write_b32 a57, v49
	scratch_load_dword v49, off, s32 offset:292 ; 4-byte Folded Reload
	s_waitcnt vmcnt(0)
	v_accvgpr_write_b32 a56, v49
	scratch_load_dword v49, off, s32 offset:268 ; 4-byte Folded Reload
	s_waitcnt vmcnt(0)
	v_accvgpr_write_b32 a55, v49
	scratch_load_dword v49, off, s32 offset:228 ; 4-byte Folded Reload
	s_waitcnt vmcnt(0)
	v_accvgpr_write_b32 a53, v49
	s_and_saveexec_b64 s[38:39], s[36:37]
	s_cbranch_execz .LBB296_520
; %bb.519:                              ;   in Loop: Header=BB296_13 Depth=1
	v_bfe_u32 v26, v48, 24, 3
	v_mov_b32_e32 v43, v41
	v_bfe_u32 v41, v48, 27, 4
	v_ffbh_u32_e32 v48, v26
	v_min_u32_e32 v42, 32, v48
	v_subrev_u32_e32 v48, 28, v42
	v_lshlrev_b64 v[48:49], v48, v[8:9]
	v_sub_u32_e32 v49, 29, v42
	v_cmp_eq_u32_e32 vcc, 0, v41
	v_and_b32_e32 v48, 7, v48
	v_lshlrev_b32_e32 v8, 8, v8
	v_cndmask_b32_e32 v49, v41, v49, vcc
	v_cndmask_b32_e32 v26, v26, v48, vcc
	v_lshl_add_u32 v48, v49, 10, v56
	v_and_or_b32 v8, v8, s45, v48
	v_lshl_or_b32 v8, v26, 7, v8
	v_cvt_f32_f16_e32 v26, v8
	v_mov_b32_e32 v41, v43
.LBB296_520:                            ;   in Loop: Header=BB296_13 Depth=1
	s_or_b64 exec, exec, s[38:39]
	v_fma_mixlo_f16 v0, v4, v0, 0
	v_accvgpr_write_b32 a39, v0
	v_fma_mixlo_f16 v0, v4, v2, 0
	v_accvgpr_write_b32 a40, v0
	;; [unrolled: 2-line block ×11, first 2 shown]
	v_fma_mixlo_f16 v0, v4, v45, 0
	v_fma_mixlo_f16 v1, v4, v1, 0
	v_accvgpr_write_b32 a6, v0
	v_fma_mixlo_f16 v0, v4, v35, 0
	v_accvgpr_write_b32 a24, v1
	;; [unrolled: 2-line block ×9, first 2 shown]
	v_accvgpr_read_b32 v0, a28
	v_accvgpr_write_b32 a21, v1
	v_fma_mixlo_f16 v1, v4, v5, 0
	v_fma_mixlo_f16 v5, v4, v0, 0
	scratch_load_dword v0, off, s32 offset:336 ; 4-byte Folded Reload
	v_accvgpr_write_b32 a18, v1
	v_fma_mixlo_f16 v1, v4, v17, 0
	v_accvgpr_write_b32 a20, v1
	v_fma_mixlo_f16 v1, v4, v18, 0
	;; [unrolled: 2-line block ×10, first 2 shown]
	v_fma_mixlo_f16 v8, v4, v34, 0
	v_accvgpr_write_b32 a25, v8
	v_fma_mixlo_f16 v8, v4, v25, 0
	v_fma_mixlo_f16 v7, v4, v47, 0
	v_accvgpr_write_b32 a36, v8
	v_fma_mixlo_f16 v8, v4, v37, 0
	v_accvgpr_write_b32 a27, v8
	;; [unrolled: 2-line block ×6, first 2 shown]
	v_fma_mixlo_f16 v1, v4, v3, 0
	v_fma_mixlo_f16 v17, v4, v62, 0
	;; [unrolled: 1-line block ×8, first 2 shown]
	v_accvgpr_write_b32 a34, v1
	v_fma_mixlo_f16 v1, v4, v13, 0
	v_accvgpr_write_b32 a50, v1
	v_fma_mixlo_f16 v48, v4, v60, 0
	scratch_load_dword v30, off, s32 offset:388 ; 4-byte Folded Reload
	s_waitcnt vmcnt(1)
	v_fma_mixlo_f16 v24, v4, v0, 0
	v_accvgpr_read_b32 v0, a31
	v_fma_mixlo_f16 v38, v4, v0, 0
	scratch_load_dword v0, off, s32 offset:324 ; 4-byte Folded Reload
	s_waitcnt vmcnt(0)
	v_fma_mixlo_f16 v45, v4, v0, 0
	v_accvgpr_read_b32 v0, a30
	v_fma_mixlo_f16 v25, v4, v0, 0
	scratch_load_dword v0, off, s32 offset:328 ; 4-byte Folded Reload
	s_waitcnt vmcnt(0)
	v_fma_mixlo_f16 v47, v4, v0, 0
	scratch_load_dword v0, off, s32 offset:332 ; 4-byte Folded Reload
	s_waitcnt vmcnt(0)
	v_fma_mixlo_f16 v46, v4, v0, 0
	scratch_load_dword v0, off, s32 offset:312 ; 4-byte Folded Reload
	s_waitcnt vmcnt(0)
	v_fma_mixlo_f16 v39, v4, v0, 0
	v_accvgpr_read_b32 v0, a15
	v_fma_mixlo_f16 v27, v4, v0, 0
	scratch_load_dword v0, off, s32 offset:316 ; 4-byte Folded Reload
	s_waitcnt vmcnt(0)
	v_fma_mixlo_f16 v3, v4, v0, 0
	scratch_load_dword v0, off, s32 offset:320 ; 4-byte Folded Reload
	s_waitcnt vmcnt(0)
	;; [unrolled: 11-line block ×3, first 2 shown]
	v_fma_mixlo_f16 v57, v4, v0, 0
	scratch_load_dword v0, off, s32 offset:280 ; 4-byte Folded Reload
	s_waitcnt vmcnt(0)
	v_fma_mixlo_f16 v44, v4, v0, 0
	v_accvgpr_read_b32 v0, a63
	v_fma_mixlo_f16 v34, v4, v0, 0
	scratch_load_dword v0, off, s32 offset:284 ; 4-byte Folded Reload
	s_waitcnt vmcnt(0)
	v_fma_mixlo_f16 v2, v4, v0, 0
	scratch_load_dword v0, off, s32 offset:288 ; 4-byte Folded Reload
	v_and_b32_e32 v2, 0xffff, v2
	s_waitcnt vmcnt(0)
	v_fma_mixlo_f16 v43, v4, v0, 0
	scratch_load_dword v0, off, s32 offset:264 ; 4-byte Folded Reload
	s_waitcnt vmcnt(0)
	v_fma_mixlo_f16 v11, v4, v0, 0
	v_accvgpr_read_b32 v0, a62
	v_fma_mixlo_f16 v12, v4, v0, 0
	scratch_load_dword v0, off, s32 offset:272 ; 4-byte Folded Reload
	v_and_b32_e32 v12, 0xffff, v12
	v_and_b32_e32 v11, 0xffff, v11
	s_waitcnt vmcnt(0)
	v_fma_mixlo_f16 v10, v4, v0, 0
	scratch_load_dword v0, off, s32 offset:276 ; 4-byte Folded Reload
	v_and_b32_e32 v10, 0xffff, v10
	s_waitcnt vmcnt(0)
	v_fma_mixlo_f16 v35, v4, v0, 0
	scratch_load_dword v0, off, s32 offset:252 ; 4-byte Folded Reload
	s_waitcnt vmcnt(0)
	v_fma_mixlo_f16 v28, v4, v0, 0
	v_accvgpr_read_b32 v0, a61
	v_fma_mixlo_f16 v29, v4, v0, 0
	scratch_load_dword v0, off, s32 offset:256 ; 4-byte Folded Reload
	s_waitcnt vmcnt(0)
	v_fma_mixlo_f16 v36, v4, v0, 0
	scratch_load_dword v0, off, s32 offset:260 ; 4-byte Folded Reload
	s_waitcnt vmcnt(0)
	;; [unrolled: 3-line block ×3, first 2 shown]
	v_fma_mixlo_f16 v37, v4, v0, 0
	v_accvgpr_read_b32 v0, a59
	v_fma_mixlo_f16 v51, v4, v0, 0
	scratch_load_dword v0, off, s32 offset:244 ; 4-byte Folded Reload
	s_waitcnt vmcnt(0)
	v_fma_mixlo_f16 v32, v4, v0, 0
	scratch_load_dword v0, off, s32 offset:248 ; 4-byte Folded Reload
	s_waitcnt vmcnt(0)
	v_fma_mixlo_f16 v31, v4, v0, 0
	v_accvgpr_read_b32 v0, a57
	v_fma_mixlo_f16 v59, v4, v0, 0
	scratch_load_dword v0, off, s32 offset:368 ; 4-byte Folded Reload
	s_waitcnt vmcnt(0)
	v_fma_mixlo_f16 v58, v4, v0, 0
	scratch_load_dword v0, off, s32 offset:232 ; 4-byte Folded Reload
	s_waitcnt vmcnt(0)
	;; [unrolled: 3-line block ×4, first 2 shown]
	v_fma_mixlo_f16 v19, v4, v0, 0
	v_accvgpr_read_b32 v0, a55
	v_fma_mixlo_f16 v40, v4, v0, 0
	v_accvgpr_read_b32 v0, a56
	v_fma_mixlo_f16 v16, v4, v0, 0
	scratch_load_dword v0, off, s32 offset:224 ; 4-byte Folded Reload
	s_waitcnt vmcnt(0)
	v_fma_mixlo_f16 v41, v4, v0, 0
	scratch_load_dword v0, off, s32 offset:360 ; 4-byte Folded Reload
	s_waitcnt vmcnt(0)
	v_fma_mixlo_f16 v42, v4, v0, 0
	v_accvgpr_read_b32 v0, a52
	v_fma_mixlo_f16 v23, v4, v0, 0
	v_accvgpr_read_b32 v0, a53
	v_fma_mixlo_f16 v13, v4, v0, 0
	v_fma_mixlo_f16 v0, v4, v53, 0
	v_accvgpr_write_b32 a29, v0
	v_fma_mixlo_f16 v0, v4, v33, 0
	v_accvgpr_write_b32 a30, v0
	;; [unrolled: 2-line block ×4, first 2 shown]
	ds_read_b64 v[0:1], v30
	s_waitcnt lgkmcnt(0)
	v_lshrrev_b32_e32 v4, 16, v0
	v_and_b32_e32 v0, 0xffff, v0
	;;#ASMSTART
	v_cvt_f32_f16 v26, v0;
	;;#ASMEND
	v_and_b32_e32 v0, 0xffff, v42
	;;#ASMSTART
	v_cvt_f32_f16 v33, v4;
	;;#ASMEND
	;;#ASMSTART
	v_cvt_f32_f16 v50, v0;
	;;#ASMEND
	v_and_b32_e32 v0, 0xffff, v41
	;;#ASMSTART
	v_cvt_f32_f16 v53, v0;
	;;#ASMEND
	v_lshrrev_b32_e32 v0, 16, v1
	v_and_b32_e32 v1, 0xffff, v1
	;;#ASMSTART
	v_cvt_f32_f16 v41, v1;
	;;#ASMEND
	;;#ASMSTART
	v_cvt_f32_f16 v42, v0;
	;;#ASMEND
	v_and_b32_e32 v0, 0xffff, v23
	;;#ASMSTART
	v_cvt_f32_f16 v23, v0;
	;;#ASMEND
	v_and_b32_e32 v0, 0xffff, v13
	;;#ASMSTART
	v_cvt_f32_f16 v13, v0;
	;;#ASMEND
	ds_read_b64 v[0:1], v30 offset:8
	s_waitcnt lgkmcnt(0)
	v_lshrrev_b32_e32 v4, 16, v0
	v_and_b32_e32 v0, 0xffff, v0
	;;#ASMSTART
	v_cvt_f32_f16 v0, v0;
	;;#ASMEND
	;;#ASMSTART
	v_cvt_f32_f16 v60, v4;
	;;#ASMEND
	v_and_b32_e32 v4, 0xffff, v19
	;;#ASMSTART
	v_cvt_f32_f16 v4, v4;
	;;#ASMEND
	v_and_b32_e32 v19, 0xffff, v20
	;;#ASMSTART
	v_cvt_f32_f16 v19, v19;
	;;#ASMEND
	v_mul_f32_e32 v4, v0, v4
	v_lshrrev_b32_e32 v0, 16, v1
	v_and_b32_e32 v1, 0xffff, v1
	v_fmac_f32_e32 v4, v26, v50
	v_mul_f32_e32 v20, v60, v19
	;;#ASMSTART
	v_cvt_f32_f16 v1, v1;
	;;#ASMEND
	;;#ASMSTART
	v_cvt_f32_f16 v0, v0;
	;;#ASMEND
	v_and_b32_e32 v19, 0xffff, v40
	v_and_b32_e32 v26, 0xffff, v16
	v_fmac_f32_e32 v20, v33, v53
	;;#ASMSTART
	v_cvt_f32_f16 v19, v19;
	;;#ASMEND
	;;#ASMSTART
	v_cvt_f32_f16 v26, v26;
	;;#ASMEND
	s_nop 0
	v_mul_f32_e32 v50, v1, v19
	v_mul_f32_e32 v33, v0, v26
	ds_read_b64 v[0:1], v30 offset:16
	v_fmac_f32_e32 v33, v42, v13
	v_and_b32_e32 v19, 0xffff, v58
	v_fmac_f32_e32 v50, v41, v23
	v_and_b32_e32 v23, 0xffff, v59
	s_waitcnt lgkmcnt(0)
	v_lshrrev_b32_e32 v13, 16, v0
	v_and_b32_e32 v0, 0xffff, v0
	;;#ASMSTART
	v_cvt_f32_f16 v0, v0;
	;;#ASMEND
	;;#ASMSTART
	v_cvt_f32_f16 v13, v13;
	;;#ASMEND
	;; [unrolled: 3-line block ×4, first 2 shown]
	s_nop 0
	v_fmac_f32_e32 v4, v0, v19
	v_lshrrev_b32_e32 v0, 16, v1
	v_and_b32_e32 v1, 0xffff, v1
	v_fmac_f32_e32 v20, v13, v23
	;;#ASMSTART
	v_cvt_f32_f16 v1, v1;
	;;#ASMEND
	;;#ASMSTART
	v_cvt_f32_f16 v0, v0;
	;;#ASMEND
	v_and_b32_e32 v13, 0xffff, v61
	v_and_b32_e32 v19, 0xffff, v54
	;;#ASMSTART
	v_cvt_f32_f16 v13, v13;
	;;#ASMEND
	;;#ASMSTART
	v_cvt_f32_f16 v19, v19;
	;;#ASMEND
	v_and_b32_e32 v23, 0xffff, v37
	v_fmac_f32_e32 v50, v1, v13
	v_fmac_f32_e32 v33, v0, v19
	ds_read_b64 v[0:1], v30 offset:24
	v_and_b32_e32 v19, 0xffff, v51
	s_waitcnt lgkmcnt(0)
	v_lshrrev_b32_e32 v13, 16, v0
	v_and_b32_e32 v0, 0xffff, v0
	;;#ASMSTART
	v_cvt_f32_f16 v0, v0;
	;;#ASMEND
	;;#ASMSTART
	v_cvt_f32_f16 v13, v13;
	;;#ASMEND
	;; [unrolled: 3-line block ×4, first 2 shown]
	s_nop 0
	v_fmac_f32_e32 v4, v0, v19
	v_lshrrev_b32_e32 v0, 16, v1
	v_and_b32_e32 v1, 0xffff, v1
	v_fmac_f32_e32 v20, v13, v23
	;;#ASMSTART
	v_cvt_f32_f16 v1, v1;
	;;#ASMEND
	;;#ASMSTART
	v_cvt_f32_f16 v0, v0;
	;;#ASMEND
	v_and_b32_e32 v13, 0xffff, v32
	v_and_b32_e32 v19, 0xffff, v31
	;;#ASMSTART
	v_cvt_f32_f16 v13, v13;
	;;#ASMEND
	;;#ASMSTART
	v_cvt_f32_f16 v19, v19;
	;;#ASMEND
	v_and_b32_e32 v23, 0xffff, v28
	v_fmac_f32_e32 v50, v1, v13
	v_fmac_f32_e32 v33, v0, v19
	ds_read_b64 v[0:1], v30 offset:32
	v_and_b32_e32 v19, 0xffff, v29
	s_waitcnt lgkmcnt(0)
	v_lshrrev_b32_e32 v13, 16, v0
	v_and_b32_e32 v0, 0xffff, v0
	;;#ASMSTART
	v_cvt_f32_f16 v0, v0;
	;;#ASMEND
	;;#ASMSTART
	v_cvt_f32_f16 v13, v13;
	;;#ASMEND
	;; [unrolled: 3-line block ×4, first 2 shown]
	s_nop 0
	v_fmac_f32_e32 v4, v0, v19
	v_lshrrev_b32_e32 v0, 16, v1
	v_and_b32_e32 v1, 0xffff, v1
	v_fmac_f32_e32 v20, v13, v23
	;;#ASMSTART
	v_cvt_f32_f16 v1, v1;
	;;#ASMEND
	;;#ASMSTART
	v_cvt_f32_f16 v0, v0;
	;;#ASMEND
	v_and_b32_e32 v13, 0xffff, v36
	v_and_b32_e32 v19, 0xffff, v55
	;;#ASMSTART
	v_cvt_f32_f16 v13, v13;
	;;#ASMEND
	;;#ASMSTART
	v_cvt_f32_f16 v19, v19;
	;;#ASMEND
	s_nop 0
	v_fmac_f32_e32 v50, v1, v13
	v_fmac_f32_e32 v33, v0, v19
	ds_read_b64 v[0:1], v30 offset:40
	s_waitcnt lgkmcnt(0)
	v_lshrrev_b32_e32 v13, 16, v0
	v_and_b32_e32 v0, 0xffff, v0
	;;#ASMSTART
	v_cvt_f32_f16 v0, v0;
	;;#ASMEND
	;;#ASMSTART
	v_cvt_f32_f16 v13, v13;
	;;#ASMEND
	;; [unrolled: 3-line block ×4, first 2 shown]
	s_nop 0
	v_fmac_f32_e32 v4, v0, v12
	v_lshrrev_b32_e32 v0, 16, v1
	v_and_b32_e32 v1, 0xffff, v1
	v_fmac_f32_e32 v20, v13, v11
	;;#ASMSTART
	v_cvt_f32_f16 v1, v1;
	;;#ASMEND
	;;#ASMSTART
	v_cvt_f32_f16 v0, v0;
	;;#ASMEND
	v_and_b32_e32 v11, 0xffff, v35
	;;#ASMSTART
	v_cvt_f32_f16 v10, v10;
	;;#ASMEND
	;;#ASMSTART
	v_cvt_f32_f16 v11, v11;
	;;#ASMEND
	v_and_b32_e32 v12, 0xffff, v44
	v_fmac_f32_e32 v50, v1, v10
	v_fmac_f32_e32 v33, v0, v11
	ds_read_b64 v[0:1], v30 offset:48
	v_and_b32_e32 v11, 0xffff, v34
	s_waitcnt lgkmcnt(0)
	v_lshrrev_b32_e32 v10, 16, v0
	v_and_b32_e32 v0, 0xffff, v0
	;;#ASMSTART
	v_cvt_f32_f16 v0, v0;
	;;#ASMEND
	;;#ASMSTART
	v_cvt_f32_f16 v10, v10;
	;;#ASMEND
	;;#ASMSTART
	v_cvt_f32_f16 v11, v11;
	;;#ASMEND
	;;#ASMSTART
	v_cvt_f32_f16 v12, v12;
	;;#ASMEND
	s_nop 0
	v_fmac_f32_e32 v4, v0, v11
	v_lshrrev_b32_e32 v0, 16, v1
	v_and_b32_e32 v1, 0xffff, v1
	v_fmac_f32_e32 v20, v10, v12
	;;#ASMSTART
	v_cvt_f32_f16 v1, v1;
	;;#ASMEND
	;;#ASMSTART
	v_cvt_f32_f16 v0, v0;
	;;#ASMEND
	v_and_b32_e32 v10, 0xffff, v43
	;;#ASMSTART
	v_cvt_f32_f16 v2, v2;
	;;#ASMEND
	;;#ASMSTART
	v_cvt_f32_f16 v10, v10;
	;;#ASMEND
	v_and_b32_e32 v11, 0xffff, v14
	v_fmac_f32_e32 v50, v1, v2
	v_fmac_f32_e32 v33, v0, v10
	ds_read_b64 v[0:1], v30 offset:56
	v_and_b32_e32 v10, 0xffff, v15
	s_waitcnt lgkmcnt(0)
	v_lshrrev_b32_e32 v2, 16, v0
	v_and_b32_e32 v0, 0xffff, v0
	;;#ASMSTART
	v_cvt_f32_f16 v0, v0;
	;;#ASMEND
	;;#ASMSTART
	v_cvt_f32_f16 v2, v2;
	;;#ASMEND
	;;#ASMSTART
	v_cvt_f32_f16 v10, v10;
	;;#ASMEND
	;;#ASMSTART
	v_cvt_f32_f16 v11, v11;
	;;#ASMEND
	s_nop 0
	v_fmac_f32_e32 v4, v0, v10
	v_lshrrev_b32_e32 v0, 16, v1
	v_and_b32_e32 v1, 0xffff, v1
	v_fmac_f32_e32 v20, v2, v11
	;;#ASMSTART
	v_cvt_f32_f16 v1, v1;
	;;#ASMEND
	;;#ASMSTART
	v_cvt_f32_f16 v0, v0;
	;;#ASMEND
	v_and_b32_e32 v2, 0xffff, v62
	v_and_b32_e32 v10, 0xffff, v57
	;;#ASMSTART
	v_cvt_f32_f16 v2, v2;
	;;#ASMEND
	;;#ASMSTART
	v_cvt_f32_f16 v10, v10;
	;;#ASMEND
	v_and_b32_e32 v11, 0xffff, v39
	v_fmac_f32_e32 v50, v1, v2
	v_fmac_f32_e32 v33, v0, v10
	ds_read_b64 v[0:1], v30 offset:64
	v_and_b32_e32 v10, 0xffff, v27
	s_waitcnt lgkmcnt(0)
	v_lshrrev_b32_e32 v2, 16, v0
	v_and_b32_e32 v0, 0xffff, v0
	;;#ASMSTART
	v_cvt_f32_f16 v0, v0;
	;;#ASMEND
	;;#ASMSTART
	v_cvt_f32_f16 v2, v2;
	;;#ASMEND
	;;#ASMSTART
	v_cvt_f32_f16 v10, v10;
	;;#ASMEND
	;;#ASMSTART
	v_cvt_f32_f16 v11, v11;
	;;#ASMEND
	s_nop 0
	v_fmac_f32_e32 v4, v0, v10
	v_lshrrev_b32_e32 v0, 16, v1
	v_and_b32_e32 v1, 0xffff, v1
	v_fmac_f32_e32 v20, v2, v11
	;;#ASMSTART
	v_cvt_f32_f16 v1, v1;
	;;#ASMEND
	;;#ASMSTART
	v_cvt_f32_f16 v0, v0;
	;;#ASMEND
	v_and_b32_e32 v2, 0xffff, v3
	;; [unrolled: 39-line block ×3, first 2 shown]
	v_and_b32_e32 v3, 0xffff, v46
	;;#ASMSTART
	v_cvt_f32_f16 v2, v2;
	;;#ASMEND
	;;#ASMSTART
	v_cvt_f32_f16 v3, v3;
	;;#ASMEND
	v_and_b32_e32 v10, 0xffff, v24
	v_fmac_f32_e32 v50, v1, v2
	v_fmac_f32_e32 v33, v0, v3
	ds_read_b64 v[0:1], v30 offset:80
	v_and_b32_e32 v3, 0xffff, v38
	s_waitcnt lgkmcnt(0)
	v_lshrrev_b32_e32 v2, 16, v0
	v_and_b32_e32 v0, 0xffff, v0
	;;#ASMSTART
	v_cvt_f32_f16 v0, v0;
	;;#ASMEND
	;;#ASMSTART
	v_cvt_f32_f16 v2, v2;
	;;#ASMEND
	;; [unrolled: 3-line block ×4, first 2 shown]
	s_nop 0
	v_fmac_f32_e32 v4, v0, v3
	v_fmac_f32_e32 v20, v2, v10
	v_lshrrev_b32_e32 v0, 16, v1
	v_and_b32_e32 v1, 0xffff, v1
	v_and_b32_e32 v2, 0xffff, v49
	v_and_b32_e32 v3, 0xffff, v48
	;;#ASMSTART
	v_cvt_f32_f16 v1, v1;
	;;#ASMEND
	;;#ASMSTART
	v_cvt_f32_f16 v0, v0;
	;;#ASMEND
	;; [unrolled: 3-line block ×4, first 2 shown]
	ds_read_b64 v[48:49], v30 offset:88
	v_fmac_f32_e32 v50, v1, v2
	v_fmac_f32_e32 v33, v0, v3
	v_and_b32_e32 v2, 0xffff, v5
	v_and_b32_e32 v3, 0xffff, v18
	s_waitcnt lgkmcnt(0)
	v_lshrrev_b32_e32 v0, 16, v48
	v_and_b32_e32 v1, 0xffff, v48
	;;#ASMSTART
	v_cvt_f32_f16 v1, v1;
	;;#ASMEND
	;;#ASMSTART
	v_cvt_f32_f16 v0, v0;
	;;#ASMEND
	;; [unrolled: 3-line block ×4, first 2 shown]
	v_and_b32_e32 v5, 0xffff, v17
	v_fmac_f32_e32 v4, v1, v2
	v_fmac_f32_e32 v20, v0, v3
	v_lshrrev_b32_e32 v0, 16, v49
	v_and_b32_e32 v1, 0xffff, v49
	;;#ASMSTART
	v_cvt_f32_f16 v1, v1;
	;;#ASMEND
	;;#ASMSTART
	v_cvt_f32_f16 v0, v0;
	;;#ASMEND
	v_and_b32_e32 v2, 0xffff, v6
	v_and_b32_e32 v3, 0xffff, v7
	;;#ASMSTART
	v_cvt_f32_f16 v2, v2;
	;;#ASMEND
	;;#ASMSTART
	v_cvt_f32_f16 v3, v3;
	;;#ASMEND
	s_nop 0
	v_fmac_f32_e32 v50, v1, v2
	v_fmac_f32_e32 v33, v0, v3
	ds_read_b64 v[0:1], v30 offset:96
	v_and_b32_e32 v3, 0xffff, v8
	s_waitcnt lgkmcnt(0)
	v_lshrrev_b32_e32 v2, 16, v0
	v_and_b32_e32 v0, 0xffff, v0
	;;#ASMSTART
	v_cvt_f32_f16 v0, v0;
	;;#ASMEND
	;;#ASMSTART
	v_cvt_f32_f16 v2, v2;
	;;#ASMEND
	;; [unrolled: 3-line block ×4, first 2 shown]
	s_nop 0
	v_fmac_f32_e32 v20, v2, v5
	v_accvgpr_read_b32 v2, a60
	v_fmac_f32_e32 v4, v0, v3
	v_lshrrev_b32_e32 v0, 16, v1
	v_and_b32_e32 v1, 0xffff, v1
	v_and_b32_e32 v2, 0xffff, v2
	;; [unrolled: 1-line block ×3, first 2 shown]
	;;#ASMSTART
	v_cvt_f32_f16 v1, v1;
	;;#ASMEND
	;;#ASMSTART
	v_cvt_f32_f16 v0, v0;
	;;#ASMEND
	;; [unrolled: 3-line block ×4, first 2 shown]
	ds_read_b64 v[48:49], v30 offset:104
	v_fmac_f32_e32 v33, v0, v3
	v_accvgpr_read_b32 v3, a54
	v_fmac_f32_e32 v50, v1, v2
	v_and_b32_e32 v2, 0xffff, v52
	s_waitcnt lgkmcnt(0)
	v_lshrrev_b32_e32 v0, 16, v48
	v_and_b32_e32 v1, 0xffff, v48
	v_and_b32_e32 v3, 0xffff, v3
	;;#ASMSTART
	v_cvt_f32_f16 v1, v1;
	;;#ASMEND
	;;#ASMSTART
	v_cvt_f32_f16 v0, v0;
	;;#ASMEND
	;; [unrolled: 3-line block ×4, first 2 shown]
	v_accvgpr_read_b32 v5, a33
	v_fmac_f32_e32 v4, v1, v2
	v_fmac_f32_e32 v20, v0, v3
	v_lshrrev_b32_e32 v0, 16, v49
	v_and_b32_e32 v1, 0xffff, v49
	v_accvgpr_read_b32 v2, a58
	v_accvgpr_read_b32 v3, a10
	;;#ASMSTART
	v_cvt_f32_f16 v1, v1;
	;;#ASMEND
	;;#ASMSTART
	v_cvt_f32_f16 v0, v0;
	;;#ASMEND
	v_and_b32_e32 v2, 0xffff, v2
	v_and_b32_e32 v3, 0xffff, v3
	;;#ASMSTART
	v_cvt_f32_f16 v2, v2;
	;;#ASMEND
	;;#ASMSTART
	v_cvt_f32_f16 v3, v3;
	;;#ASMEND
	v_and_b32_e32 v5, 0xffff, v5
	v_fmac_f32_e32 v50, v1, v2
	v_fmac_f32_e32 v33, v0, v3
	ds_read_b64 v[0:1], v30 offset:112
	v_accvgpr_read_b32 v3, a44
	v_and_b32_e32 v3, 0xffff, v3
	s_waitcnt lgkmcnt(0)
	v_lshrrev_b32_e32 v2, 16, v0
	v_and_b32_e32 v0, 0xffff, v0
	;;#ASMSTART
	v_cvt_f32_f16 v0, v0;
	;;#ASMEND
	;;#ASMSTART
	v_cvt_f32_f16 v2, v2;
	;;#ASMEND
	;;#ASMSTART
	v_cvt_f32_f16 v3, v3;
	;;#ASMEND
	;;#ASMSTART
	v_cvt_f32_f16 v5, v5;
	;;#ASMEND
	s_nop 0
	v_fmac_f32_e32 v4, v0, v3
	v_fmac_f32_e32 v20, v2, v5
	v_lshrrev_b32_e32 v0, 16, v1
	v_and_b32_e32 v1, 0xffff, v1
	v_accvgpr_read_b32 v2, a32
	v_accvgpr_read_b32 v3, a6
	;;#ASMSTART
	v_cvt_f32_f16 v1, v1;
	;;#ASMEND
	;;#ASMSTART
	v_cvt_f32_f16 v0, v0;
	;;#ASMEND
	v_and_b32_e32 v2, 0xffff, v2
	v_and_b32_e32 v3, 0xffff, v3
	;;#ASMSTART
	v_cvt_f32_f16 v2, v2;
	;;#ASMEND
	;;#ASMSTART
	v_cvt_f32_f16 v3, v3;
	;;#ASMEND
	v_accvgpr_read_b32 v5, a9
	v_fmac_f32_e32 v50, v1, v2
	v_fmac_f32_e32 v33, v0, v3
	ds_read_b64 v[0:1], v30 offset:120
	v_accvgpr_read_b32 v3, a11
	v_and_b32_e32 v3, 0xffff, v3
	v_and_b32_e32 v5, 0xffff, v5
	s_waitcnt lgkmcnt(0)
	v_lshrrev_b32_e32 v2, 16, v0
	v_and_b32_e32 v0, 0xffff, v0
	;;#ASMSTART
	v_cvt_f32_f16 v0, v0;
	;;#ASMEND
	;;#ASMSTART
	v_cvt_f32_f16 v2, v2;
	;;#ASMEND
	;;#ASMSTART
	v_cvt_f32_f16 v3, v3;
	;;#ASMEND
	;;#ASMSTART
	v_cvt_f32_f16 v5, v5;
	;;#ASMEND
	s_nop 0
	v_fmac_f32_e32 v4, v0, v3
	v_fmac_f32_e32 v20, v2, v5
	v_lshrrev_b32_e32 v0, 16, v1
	v_and_b32_e32 v1, 0xffff, v1
	v_accvgpr_read_b32 v2, a3
	v_accvgpr_read_b32 v3, a41
	;;#ASMSTART
	v_cvt_f32_f16 v1, v1;
	;;#ASMEND
	;;#ASMSTART
	v_cvt_f32_f16 v0, v0;
	;;#ASMEND
	v_and_b32_e32 v2, 0xffff, v2
	v_and_b32_e32 v3, 0xffff, v3
	;;#ASMSTART
	v_cvt_f32_f16 v2, v2;
	;;#ASMEND
	;;#ASMSTART
	v_cvt_f32_f16 v3, v3;
	;;#ASMEND
	v_accvgpr_read_b32 v5, a39
	v_fmac_f32_e32 v50, v1, v2
	v_fmac_f32_e32 v33, v0, v3
	ds_read_b64 v[0:1], v30 offset:128
	v_accvgpr_read_b32 v3, a40
	v_and_b32_e32 v3, 0xffff, v3
	;; [unrolled: 43-line block ×9, first 2 shown]
	v_and_b32_e32 v5, 0xffff, v5
	s_waitcnt lgkmcnt(0)
	v_lshrrev_b32_e32 v2, 16, v0
	v_and_b32_e32 v0, 0xffff, v0
	;;#ASMSTART
	v_cvt_f32_f16 v0, v0;
	;;#ASMEND
	;;#ASMSTART
	v_cvt_f32_f16 v2, v2;
	;;#ASMEND
	;; [unrolled: 3-line block ×4, first 2 shown]
	s_nop 0
	v_fmac_f32_e32 v4, v0, v3
	v_fmac_f32_e32 v20, v2, v5
	v_accvgpr_read_b32 v2, a28
	v_accvgpr_read_b32 v3, a15
	v_lshrrev_b32_e32 v0, 16, v1
	v_and_b32_e32 v1, 0xffff, v1
	v_and_b32_e32 v2, 0xffff, v2
	v_and_b32_e32 v3, 0xffff, v3
	;;#ASMSTART
	v_cvt_f32_f16 v1, v1;
	;;#ASMEND
	;;#ASMSTART
	v_cvt_f32_f16 v0, v0;
	;;#ASMEND
	;;#ASMSTART
	v_cvt_f32_f16 v2, v2;
	;;#ASMEND
	;;#ASMSTART
	v_cvt_f32_f16 v3, v3;
	;;#ASMEND
	s_nop 0
	v_fmac_f32_e32 v33, v0, v3
	scratch_load_dword v3, off, s32 offset:392 ; 4-byte Folded Reload
	v_fmac_f32_e32 v50, v1, v2
	v_add_f32_e32 v0, v4, v20
	v_add_f32_e32 v0, v0, v50
	;; [unrolled: 1-line block ×3, first 2 shown]
	s_waitcnt vmcnt(0)
	v_and_b32_e32 v2, 64, v3
	v_xor_b32_e32 v1, 1, v3
	v_add_u32_e32 v2, 64, v2
	v_cmp_lt_i32_e32 vcc, v1, v2
	s_nop 1
	v_cndmask_b32_e32 v1, v3, v1, vcc
	v_lshlrev_b32_e32 v1, 2, v1
	ds_bpermute_b32 v1, v1, v0
	s_and_saveexec_b64 s[36:37], s[2:3]
	s_cbranch_execz .LBB296_11
; %bb.521:                              ;   in Loop: Header=BB296_13 Depth=1
	scratch_load_dword v2, off, s32 offset:424 ; 4-byte Folded Reload
	scratch_load_dword v3, off, s32 offset:420 ; 4-byte Folded Reload
	v_accvgpr_read_b32 v4, a45
	s_waitcnt lgkmcnt(0)
	v_add_f32_e32 v0, v0, v1
	s_load_dword vcc_lo, s[22:23], 0x0
	scratch_load_dword v1, off, s32 offset:416 ; 4-byte Folded Reload
	s_waitcnt vmcnt(2)
	v_add_u32_e32 v2, v2, v4
	s_waitcnt vmcnt(1)
	v_add_u32_e32 v3, v3, v4
	scratch_load_dword v4, off, s32 offset:412 ; 4-byte Folded Reload
	v_cvt_f32_i32_e32 v2, v2
	s_waitcnt vmcnt(0)
	v_mul_f32_e32 v2, v4, v2
	v_cndmask_b32_e64 v2, 0, v2, s[4:5]
	v_fmac_f32_e32 v2, v0, v1
	scratch_load_dword v1, off, s32 offset:384 ; 4-byte Folded Reload
	v_accvgpr_read_b32 v4, a48
	v_accvgpr_read_b32 v0, a8
	s_waitcnt lgkmcnt(0)
	v_add_u32_e32 v4, vcc_lo, v4
	v_cmp_lt_i32_e32 vcc, v3, v0
	s_nop 1
	v_cndmask_b32_e32 v0, 0, v2, vcc
	ds_write_b32 v4, v0
	s_waitcnt vmcnt(0)
	v_max_f32_e32 v0, v1, v1
	v_max_f32_e32 v0, v0, v2
	v_cndmask_b32_e32 v1, v1, v0, vcc
	scratch_store_dword off, v1, s32 offset:384 ; 4-byte Folded Spill
	s_branch .LBB296_11
.LBB296_522:                            ;   in Loop: Header=BB296_13 Depth=1
	v_cmp_eq_u16_sdwa s[46:47], v50, s44 src0_sel:BYTE_0 src1_sel:DWORD
	s_mov_b64 vcc, -1
                                        ; implicit-def: $sgpr40
	s_and_saveexec_b64 s[38:39], s[46:47]
; %bb.523:                              ;   in Loop: Header=BB296_13 Depth=1
	s_mov_b32 s40, 0x7fc02000
	s_xor_b64 vcc, exec, -1
; %bb.524:                              ;   in Loop: Header=BB296_13 Depth=1
	s_or_b64 exec, exec, s[38:39]
	s_and_b64 vcc, vcc, exec
	s_or_saveexec_b64 s[36:37], s[36:37]
	v_mov_b32_e32 v0, s40
	s_xor_b64 exec, exec, s[36:37]
	s_cbranch_execz .LBB296_18
.LBB296_525:                            ;   in Loop: Header=BB296_13 Depth=1
	v_cmp_ne_u16_sdwa s[38:39], v50, v9 src0_sel:BYTE_0 src1_sel:DWORD
	s_andn2_b64 vcc, vcc, exec
	s_and_b64 s[38:39], s[38:39], exec
	v_mov_b32_e32 v0, 0
	s_or_b64 vcc, vcc, s[38:39]
	s_or_b64 exec, exec, s[36:37]
	s_and_saveexec_b64 s[36:37], vcc
	s_cbranch_execnz .LBB296_19
	s_branch .LBB296_20
.LBB296_526:                            ;   in Loop: Header=BB296_13 Depth=1
	v_cmp_eq_u16_sdwa s[46:47], v8, s44 src0_sel:BYTE_0 src1_sel:DWORD
	s_mov_b64 vcc, -1
                                        ; implicit-def: $sgpr40
	s_and_saveexec_b64 s[38:39], s[46:47]
; %bb.527:                              ;   in Loop: Header=BB296_13 Depth=1
	s_mov_b32 s40, 0x7fc02000
	s_xor_b64 vcc, exec, -1
; %bb.528:                              ;   in Loop: Header=BB296_13 Depth=1
	s_or_b64 exec, exec, s[38:39]
	s_and_b64 vcc, vcc, exec
	s_or_saveexec_b64 s[36:37], s[36:37]
	v_mov_b32_e32 v57, s40
	s_xor_b64 exec, exec, s[36:37]
	s_cbranch_execz .LBB296_30
.LBB296_529:                            ;   in Loop: Header=BB296_13 Depth=1
	v_cmp_ne_u16_sdwa s[38:39], v8, v9 src0_sel:BYTE_0 src1_sel:DWORD
	s_andn2_b64 vcc, vcc, exec
	s_and_b64 s[38:39], s[38:39], exec
	v_mov_b32_e32 v57, 0
	s_or_b64 vcc, vcc, s[38:39]
	s_or_b64 exec, exec, s[36:37]
	s_and_saveexec_b64 s[36:37], vcc
	s_cbranch_execnz .LBB296_31
	s_branch .LBB296_32
.LBB296_530:                            ;   in Loop: Header=BB296_13 Depth=1
	v_cmp_eq_u16_sdwa s[46:47], v50, s44 src0_sel:BYTE_0 src1_sel:DWORD
	s_mov_b64 vcc, -1
                                        ; implicit-def: $sgpr40
	s_and_saveexec_b64 s[38:39], s[46:47]
; %bb.531:                              ;   in Loop: Header=BB296_13 Depth=1
	s_mov_b32 s40, 0x7fc02000
	s_xor_b64 vcc, exec, -1
; %bb.532:                              ;   in Loop: Header=BB296_13 Depth=1
	s_or_b64 exec, exec, s[38:39]
	s_and_b64 vcc, vcc, exec
	s_or_saveexec_b64 s[36:37], s[36:37]
	v_mov_b32_e32 v0, s40
	s_xor_b64 exec, exec, s[36:37]
	s_cbranch_execz .LBB296_42
.LBB296_533:                            ;   in Loop: Header=BB296_13 Depth=1
	v_cmp_ne_u16_sdwa s[38:39], v50, v9 src0_sel:BYTE_0 src1_sel:DWORD
	s_andn2_b64 vcc, vcc, exec
	s_and_b64 s[38:39], s[38:39], exec
	v_mov_b32_e32 v0, 0
	s_or_b64 vcc, vcc, s[38:39]
	s_or_b64 exec, exec, s[36:37]
	s_and_saveexec_b64 s[36:37], vcc
	s_cbranch_execnz .LBB296_43
	s_branch .LBB296_44
.LBB296_534:                            ;   in Loop: Header=BB296_13 Depth=1
	v_cmp_eq_u16_e32 vcc, s44, v8
	s_mov_b64 s[36:37], -1
                                        ; implicit-def: $sgpr46
	s_and_saveexec_b64 s[40:41], vcc
; %bb.535:                              ;   in Loop: Header=BB296_13 Depth=1
	s_mov_b32 s46, 0x7fc02000
	s_xor_b64 s[36:37], exec, -1
; %bb.536:                              ;   in Loop: Header=BB296_13 Depth=1
	s_or_b64 exec, exec, s[40:41]
	s_and_b64 s[36:37], s[36:37], exec
	s_or_saveexec_b64 s[38:39], s[38:39]
	v_mov_b32_e32 v41, s46
	s_xor_b64 exec, exec, s[38:39]
	s_cbranch_execz .LBB296_46
.LBB296_537:                            ;   in Loop: Header=BB296_13 Depth=1
	v_cmp_ne_u16_e32 vcc, 0, v8
	s_andn2_b64 s[36:37], s[36:37], exec
	s_and_b64 vcc, vcc, exec
	v_mov_b32_e32 v41, 0
	s_or_b64 s[36:37], s[36:37], vcc
	s_or_b64 exec, exec, s[38:39]
	s_and_saveexec_b64 s[38:39], s[36:37]
	s_cbranch_execnz .LBB296_47
	s_branch .LBB296_48
.LBB296_538:                            ;   in Loop: Header=BB296_13 Depth=1
	v_cmp_eq_u16_sdwa s[46:47], v50, s44 src0_sel:BYTE_0 src1_sel:DWORD
	s_mov_b64 vcc, -1
                                        ; implicit-def: $sgpr40
	s_and_saveexec_b64 s[38:39], s[46:47]
; %bb.539:                              ;   in Loop: Header=BB296_13 Depth=1
	s_mov_b32 s40, 0x7fc02000
	s_xor_b64 vcc, exec, -1
; %bb.540:                              ;   in Loop: Header=BB296_13 Depth=1
	s_or_b64 exec, exec, s[38:39]
	s_and_b64 vcc, vcc, exec
	s_or_saveexec_b64 s[36:37], s[36:37]
	v_mov_b32_e32 v0, s40
	s_xor_b64 exec, exec, s[36:37]
	s_cbranch_execz .LBB296_66
.LBB296_541:                            ;   in Loop: Header=BB296_13 Depth=1
	v_cmp_ne_u16_sdwa s[38:39], v50, v9 src0_sel:BYTE_0 src1_sel:DWORD
	s_andn2_b64 vcc, vcc, exec
	s_and_b64 s[38:39], s[38:39], exec
	v_mov_b32_e32 v0, 0
	s_or_b64 vcc, vcc, s[38:39]
	s_or_b64 exec, exec, s[36:37]
	s_and_saveexec_b64 s[36:37], vcc
	s_cbranch_execnz .LBB296_67
	s_branch .LBB296_68
.LBB296_542:                            ;   in Loop: Header=BB296_13 Depth=1
	v_cmp_eq_u16_sdwa s[46:47], v50, s44 src0_sel:BYTE_0 src1_sel:DWORD
	s_mov_b64 vcc, -1
                                        ; implicit-def: $sgpr40
	s_and_saveexec_b64 s[38:39], s[46:47]
; %bb.543:                              ;   in Loop: Header=BB296_13 Depth=1
	s_mov_b32 s40, 0x7fc02000
	s_xor_b64 vcc, exec, -1
; %bb.544:                              ;   in Loop: Header=BB296_13 Depth=1
	s_or_b64 exec, exec, s[38:39]
	s_and_b64 vcc, vcc, exec
	s_or_saveexec_b64 s[36:37], s[36:37]
	v_mov_b32_e32 v0, s40
	s_xor_b64 exec, exec, s[36:37]
	s_cbranch_execz .LBB296_94
.LBB296_545:                            ;   in Loop: Header=BB296_13 Depth=1
	v_cmp_ne_u16_sdwa s[38:39], v50, v9 src0_sel:BYTE_0 src1_sel:DWORD
	s_andn2_b64 vcc, vcc, exec
	s_and_b64 s[38:39], s[38:39], exec
	v_mov_b32_e32 v0, 0
	s_or_b64 vcc, vcc, s[38:39]
	s_or_b64 exec, exec, s[36:37]
	s_and_saveexec_b64 s[36:37], vcc
	s_cbranch_execnz .LBB296_95
	s_branch .LBB296_96
.LBB296_546:                            ;   in Loop: Header=BB296_13 Depth=1
	v_cmp_eq_u16_sdwa s[46:47], v50, s44 src0_sel:BYTE_0 src1_sel:DWORD
	s_mov_b64 vcc, -1
                                        ; implicit-def: $sgpr40
	s_and_saveexec_b64 s[38:39], s[46:47]
; %bb.547:                              ;   in Loop: Header=BB296_13 Depth=1
	s_mov_b32 s40, 0x7fc02000
	s_xor_b64 vcc, exec, -1
; %bb.548:                              ;   in Loop: Header=BB296_13 Depth=1
	s_or_b64 exec, exec, s[38:39]
	s_and_b64 vcc, vcc, exec
	s_or_saveexec_b64 s[36:37], s[36:37]
	v_mov_b32_e32 v0, s40
	s_xor_b64 exec, exec, s[36:37]
	s_cbranch_execz .LBB296_122
.LBB296_549:                            ;   in Loop: Header=BB296_13 Depth=1
	v_cmp_ne_u16_sdwa s[38:39], v50, v9 src0_sel:BYTE_0 src1_sel:DWORD
	s_andn2_b64 vcc, vcc, exec
	s_and_b64 s[38:39], s[38:39], exec
	v_mov_b32_e32 v0, 0
	s_or_b64 vcc, vcc, s[38:39]
	s_or_b64 exec, exec, s[36:37]
	s_and_saveexec_b64 s[36:37], vcc
	s_cbranch_execnz .LBB296_123
	s_branch .LBB296_124
.LBB296_550:                            ;   in Loop: Header=BB296_13 Depth=1
	v_cmp_eq_u16_sdwa s[46:47], v50, s44 src0_sel:BYTE_0 src1_sel:DWORD
	s_mov_b64 vcc, -1
                                        ; implicit-def: $sgpr40
	s_and_saveexec_b64 s[38:39], s[46:47]
; %bb.551:                              ;   in Loop: Header=BB296_13 Depth=1
	s_mov_b32 s40, 0x7fc02000
	s_xor_b64 vcc, exec, -1
; %bb.552:                              ;   in Loop: Header=BB296_13 Depth=1
	s_or_b64 exec, exec, s[38:39]
	s_and_b64 vcc, vcc, exec
	s_or_saveexec_b64 s[36:37], s[36:37]
	v_mov_b32_e32 v0, s40
	s_xor_b64 exec, exec, s[36:37]
	s_cbranch_execz .LBB296_150
.LBB296_553:                            ;   in Loop: Header=BB296_13 Depth=1
	v_cmp_ne_u16_sdwa s[38:39], v50, v9 src0_sel:BYTE_0 src1_sel:DWORD
	s_andn2_b64 vcc, vcc, exec
	s_and_b64 s[38:39], s[38:39], exec
	v_mov_b32_e32 v0, 0
	s_or_b64 vcc, vcc, s[38:39]
	s_or_b64 exec, exec, s[36:37]
	s_and_saveexec_b64 s[36:37], vcc
	s_cbranch_execnz .LBB296_151
	s_branch .LBB296_152
.LBB296_554:                            ;   in Loop: Header=BB296_13 Depth=1
	v_cmp_eq_u16_sdwa s[46:47], v50, s44 src0_sel:BYTE_0 src1_sel:DWORD
	s_mov_b64 vcc, -1
                                        ; implicit-def: $sgpr40
	s_and_saveexec_b64 s[38:39], s[46:47]
; %bb.555:                              ;   in Loop: Header=BB296_13 Depth=1
	s_mov_b32 s40, 0x7fc02000
	s_xor_b64 vcc, exec, -1
; %bb.556:                              ;   in Loop: Header=BB296_13 Depth=1
	s_or_b64 exec, exec, s[38:39]
	s_and_b64 vcc, vcc, exec
	s_or_saveexec_b64 s[36:37], s[36:37]
	v_mov_b32_e32 v0, s40
	s_xor_b64 exec, exec, s[36:37]
	s_cbranch_execz .LBB296_178
.LBB296_557:                            ;   in Loop: Header=BB296_13 Depth=1
	v_cmp_ne_u16_sdwa s[38:39], v50, v9 src0_sel:BYTE_0 src1_sel:DWORD
	s_andn2_b64 vcc, vcc, exec
	s_and_b64 s[38:39], s[38:39], exec
	v_mov_b32_e32 v0, 0
	s_or_b64 vcc, vcc, s[38:39]
	s_or_b64 exec, exec, s[36:37]
	s_and_saveexec_b64 s[36:37], vcc
	s_cbranch_execnz .LBB296_179
	s_branch .LBB296_180
.LBB296_558:                            ;   in Loop: Header=BB296_13 Depth=1
	v_cmp_eq_u16_sdwa s[46:47], v50, s44 src0_sel:BYTE_0 src1_sel:DWORD
	s_mov_b64 vcc, -1
                                        ; implicit-def: $sgpr40
	s_and_saveexec_b64 s[38:39], s[46:47]
; %bb.559:                              ;   in Loop: Header=BB296_13 Depth=1
	s_mov_b32 s40, 0x7fc02000
	s_xor_b64 vcc, exec, -1
; %bb.560:                              ;   in Loop: Header=BB296_13 Depth=1
	s_or_b64 exec, exec, s[38:39]
	s_and_b64 vcc, vcc, exec
	s_or_saveexec_b64 s[36:37], s[36:37]
	v_mov_b32_e32 v0, s40
	s_xor_b64 exec, exec, s[36:37]
	s_cbranch_execz .LBB296_206
.LBB296_561:                            ;   in Loop: Header=BB296_13 Depth=1
	v_cmp_ne_u16_sdwa s[38:39], v50, v9 src0_sel:BYTE_0 src1_sel:DWORD
	s_andn2_b64 vcc, vcc, exec
	s_and_b64 s[38:39], s[38:39], exec
	v_mov_b32_e32 v0, 0
	s_or_b64 vcc, vcc, s[38:39]
	s_or_b64 exec, exec, s[36:37]
	s_and_saveexec_b64 s[36:37], vcc
	s_cbranch_execnz .LBB296_207
	s_branch .LBB296_208
.LBB296_562:                            ;   in Loop: Header=BB296_13 Depth=1
	v_cmp_eq_u16_sdwa s[46:47], v50, s44 src0_sel:BYTE_0 src1_sel:DWORD
	s_mov_b64 vcc, -1
                                        ; implicit-def: $sgpr40
	s_and_saveexec_b64 s[38:39], s[46:47]
; %bb.563:                              ;   in Loop: Header=BB296_13 Depth=1
	s_mov_b32 s40, 0x7fc02000
	s_xor_b64 vcc, exec, -1
; %bb.564:                              ;   in Loop: Header=BB296_13 Depth=1
	s_or_b64 exec, exec, s[38:39]
	s_and_b64 vcc, vcc, exec
	s_or_saveexec_b64 s[36:37], s[36:37]
	v_mov_b32_e32 v0, s40
	s_xor_b64 exec, exec, s[36:37]
	s_cbranch_execz .LBB296_234
.LBB296_565:                            ;   in Loop: Header=BB296_13 Depth=1
	v_cmp_ne_u16_sdwa s[38:39], v50, v9 src0_sel:BYTE_0 src1_sel:DWORD
	s_andn2_b64 vcc, vcc, exec
	s_and_b64 s[38:39], s[38:39], exec
	v_mov_b32_e32 v0, 0
	s_or_b64 vcc, vcc, s[38:39]
	s_or_b64 exec, exec, s[36:37]
	s_and_saveexec_b64 s[36:37], vcc
	s_cbranch_execnz .LBB296_235
	s_branch .LBB296_236
.LBB296_566:                            ;   in Loop: Header=BB296_13 Depth=1
	v_cmp_eq_u16_sdwa s[46:47], v50, s44 src0_sel:BYTE_0 src1_sel:DWORD
	s_mov_b64 vcc, -1
                                        ; implicit-def: $sgpr40
	s_and_saveexec_b64 s[38:39], s[46:47]
; %bb.567:                              ;   in Loop: Header=BB296_13 Depth=1
	s_mov_b32 s40, 0x7fc02000
	s_xor_b64 vcc, exec, -1
; %bb.568:                              ;   in Loop: Header=BB296_13 Depth=1
	s_or_b64 exec, exec, s[38:39]
	s_and_b64 vcc, vcc, exec
	s_or_saveexec_b64 s[36:37], s[36:37]
	v_mov_b32_e32 v0, s40
	s_xor_b64 exec, exec, s[36:37]
	s_cbranch_execz .LBB296_262
.LBB296_569:                            ;   in Loop: Header=BB296_13 Depth=1
	v_cmp_ne_u16_sdwa s[38:39], v50, v9 src0_sel:BYTE_0 src1_sel:DWORD
	s_andn2_b64 vcc, vcc, exec
	s_and_b64 s[38:39], s[38:39], exec
	v_mov_b32_e32 v0, 0
	s_or_b64 vcc, vcc, s[38:39]
	s_or_b64 exec, exec, s[36:37]
	s_and_saveexec_b64 s[36:37], vcc
	s_cbranch_execnz .LBB296_263
	s_branch .LBB296_264
.LBB296_570:                            ;   in Loop: Header=BB296_13 Depth=1
	v_cmp_eq_u16_sdwa s[46:47], v50, s44 src0_sel:BYTE_0 src1_sel:DWORD
	s_mov_b64 vcc, -1
                                        ; implicit-def: $sgpr40
	s_and_saveexec_b64 s[38:39], s[46:47]
; %bb.571:                              ;   in Loop: Header=BB296_13 Depth=1
	s_mov_b32 s40, 0x7fc02000
	s_xor_b64 vcc, exec, -1
; %bb.572:                              ;   in Loop: Header=BB296_13 Depth=1
	s_or_b64 exec, exec, s[38:39]
	s_and_b64 vcc, vcc, exec
	s_or_saveexec_b64 s[36:37], s[36:37]
	v_mov_b32_e32 v0, s40
	s_xor_b64 exec, exec, s[36:37]
	s_cbranch_execz .LBB296_290
.LBB296_573:                            ;   in Loop: Header=BB296_13 Depth=1
	v_cmp_ne_u16_sdwa s[38:39], v50, v9 src0_sel:BYTE_0 src1_sel:DWORD
	s_andn2_b64 vcc, vcc, exec
	s_and_b64 s[38:39], s[38:39], exec
	v_mov_b32_e32 v0, 0
	s_or_b64 vcc, vcc, s[38:39]
	s_or_b64 exec, exec, s[36:37]
	s_and_saveexec_b64 s[36:37], vcc
	s_cbranch_execnz .LBB296_291
	s_branch .LBB296_292
.LBB296_574:                            ;   in Loop: Header=BB296_13 Depth=1
	v_cmp_eq_u16_sdwa s[46:47], v8, s44 src0_sel:BYTE_0 src1_sel:DWORD
	s_mov_b64 vcc, -1
                                        ; implicit-def: $sgpr40
	s_and_saveexec_b64 s[38:39], s[46:47]
; %bb.575:                              ;   in Loop: Header=BB296_13 Depth=1
	s_mov_b32 s40, 0x7fc02000
	s_xor_b64 vcc, exec, -1
; %bb.576:                              ;   in Loop: Header=BB296_13 Depth=1
	s_or_b64 exec, exec, s[38:39]
	s_and_b64 vcc, vcc, exec
	s_or_saveexec_b64 s[36:37], s[36:37]
	v_mov_b32_e32 v30, s40
	s_xor_b64 exec, exec, s[36:37]
	s_cbranch_execz .LBB296_302
.LBB296_577:                            ;   in Loop: Header=BB296_13 Depth=1
	v_cmp_ne_u16_sdwa s[38:39], v8, v9 src0_sel:BYTE_0 src1_sel:DWORD
	s_andn2_b64 vcc, vcc, exec
	s_and_b64 s[38:39], s[38:39], exec
	v_mov_b32_e32 v30, 0
	s_or_b64 vcc, vcc, s[38:39]
	s_or_b64 exec, exec, s[36:37]
	s_and_saveexec_b64 s[36:37], vcc
	s_cbranch_execnz .LBB296_303
	s_branch .LBB296_304
.LBB296_578:                            ;   in Loop: Header=BB296_13 Depth=1
	v_cmp_eq_u16_e32 vcc, s44, v8
	s_mov_b64 s[36:37], -1
                                        ; implicit-def: $sgpr46
	s_and_saveexec_b64 s[40:41], vcc
; %bb.579:                              ;   in Loop: Header=BB296_13 Depth=1
	s_mov_b32 s46, 0x7fc02000
	s_xor_b64 s[36:37], exec, -1
; %bb.580:                              ;   in Loop: Header=BB296_13 Depth=1
	s_or_b64 exec, exec, s[40:41]
	s_and_b64 s[36:37], s[36:37], exec
	s_or_saveexec_b64 s[38:39], s[38:39]
	v_mov_b32_e32 v60, s46
	s_xor_b64 exec, exec, s[38:39]
	s_cbranch_execz .LBB296_306
.LBB296_581:                            ;   in Loop: Header=BB296_13 Depth=1
	v_cmp_ne_u16_e32 vcc, 0, v8
	s_andn2_b64 s[36:37], s[36:37], exec
	s_and_b64 vcc, vcc, exec
	v_mov_b32_e32 v60, 0
	s_or_b64 s[36:37], s[36:37], vcc
	s_or_b64 exec, exec, s[38:39]
	s_and_saveexec_b64 s[38:39], s[36:37]
	s_cbranch_execnz .LBB296_307
	s_branch .LBB296_308
.LBB296_582:                            ;   in Loop: Header=BB296_13 Depth=1
	v_cmp_eq_u16_sdwa s[46:47], v50, s44 src0_sel:BYTE_0 src1_sel:DWORD
	s_mov_b64 vcc, -1
                                        ; implicit-def: $sgpr40
	s_and_saveexec_b64 s[38:39], s[46:47]
; %bb.583:                              ;   in Loop: Header=BB296_13 Depth=1
	s_mov_b32 s40, 0x7fc02000
	s_xor_b64 vcc, exec, -1
; %bb.584:                              ;   in Loop: Header=BB296_13 Depth=1
	s_or_b64 exec, exec, s[38:39]
	s_and_b64 vcc, vcc, exec
	s_or_saveexec_b64 s[36:37], s[36:37]
	v_mov_b32_e32 v0, s40
	s_xor_b64 exec, exec, s[36:37]
	s_cbranch_execz .LBB296_310
.LBB296_585:                            ;   in Loop: Header=BB296_13 Depth=1
	v_cmp_ne_u16_sdwa s[38:39], v50, v9 src0_sel:BYTE_0 src1_sel:DWORD
	s_andn2_b64 vcc, vcc, exec
	s_and_b64 s[38:39], s[38:39], exec
	v_mov_b32_e32 v0, 0
	s_or_b64 vcc, vcc, s[38:39]
	s_or_b64 exec, exec, s[36:37]
	s_and_saveexec_b64 s[36:37], vcc
	s_cbranch_execnz .LBB296_311
	s_branch .LBB296_312
.LBB296_586:                            ;   in Loop: Header=BB296_13 Depth=1
	v_cmp_eq_u16_e32 vcc, s44, v8
	s_mov_b64 s[36:37], -1
                                        ; implicit-def: $sgpr46
	s_and_saveexec_b64 s[40:41], vcc
; %bb.587:                              ;   in Loop: Header=BB296_13 Depth=1
	s_mov_b32 s46, 0x7fc02000
	s_xor_b64 s[36:37], exec, -1
; %bb.588:                              ;   in Loop: Header=BB296_13 Depth=1
	s_or_b64 exec, exec, s[40:41]
	s_and_b64 s[36:37], s[36:37], exec
	s_or_saveexec_b64 s[38:39], s[38:39]
	v_mov_b32_e32 v61, s46
	s_xor_b64 exec, exec, s[38:39]
	s_cbranch_execz .LBB296_314
.LBB296_589:                            ;   in Loop: Header=BB296_13 Depth=1
	v_cmp_ne_u16_e32 vcc, 0, v8
	s_andn2_b64 s[36:37], s[36:37], exec
	s_and_b64 vcc, vcc, exec
	v_mov_b32_e32 v61, 0
	s_or_b64 s[36:37], s[36:37], vcc
	s_or_b64 exec, exec, s[38:39]
	s_and_saveexec_b64 s[38:39], s[36:37]
	s_cbranch_execnz .LBB296_315
	s_branch .LBB296_316
.LBB296_590:                            ;   in Loop: Header=BB296_13 Depth=1
	v_cmp_eq_u16_sdwa s[46:47], v8, s44 src0_sel:BYTE_0 src1_sel:DWORD
	s_mov_b64 vcc, -1
                                        ; implicit-def: $sgpr40
	s_and_saveexec_b64 s[38:39], s[46:47]
; %bb.591:                              ;   in Loop: Header=BB296_13 Depth=1
	s_mov_b32 s40, 0x7fc02000
	s_xor_b64 vcc, exec, -1
; %bb.592:                              ;   in Loop: Header=BB296_13 Depth=1
	s_or_b64 exec, exec, s[38:39]
	s_and_b64 vcc, vcc, exec
	s_or_saveexec_b64 s[36:37], s[36:37]
	v_mov_b32_e32 v58, s40
	s_xor_b64 exec, exec, s[36:37]
	s_cbranch_execz .LBB296_318
.LBB296_593:                            ;   in Loop: Header=BB296_13 Depth=1
	v_cmp_ne_u16_sdwa s[38:39], v8, v9 src0_sel:BYTE_0 src1_sel:DWORD
	s_andn2_b64 vcc, vcc, exec
	s_and_b64 s[38:39], s[38:39], exec
	v_mov_b32_e32 v58, 0
	s_or_b64 vcc, vcc, s[38:39]
	s_or_b64 exec, exec, s[36:37]
	s_and_saveexec_b64 s[36:37], vcc
	s_cbranch_execnz .LBB296_319
	s_branch .LBB296_320
.LBB296_594:                            ;   in Loop: Header=BB296_13 Depth=1
	v_cmp_eq_u16_e32 vcc, s44, v8
	s_mov_b64 s[36:37], -1
                                        ; implicit-def: $sgpr46
	s_and_saveexec_b64 s[40:41], vcc
; %bb.595:                              ;   in Loop: Header=BB296_13 Depth=1
	s_mov_b32 s46, 0x7fc02000
	s_xor_b64 s[36:37], exec, -1
; %bb.596:                              ;   in Loop: Header=BB296_13 Depth=1
	s_or_b64 exec, exec, s[40:41]
	s_and_b64 s[36:37], s[36:37], exec
	s_or_saveexec_b64 s[38:39], s[38:39]
	v_mov_b32_e32 v47, s46
	s_xor_b64 exec, exec, s[38:39]
	s_cbranch_execz .LBB296_322
.LBB296_597:                            ;   in Loop: Header=BB296_13 Depth=1
	v_cmp_ne_u16_e32 vcc, 0, v8
	s_andn2_b64 s[36:37], s[36:37], exec
	s_and_b64 vcc, vcc, exec
	v_mov_b32_e32 v47, 0
	s_or_b64 s[36:37], s[36:37], vcc
	s_or_b64 exec, exec, s[38:39]
	s_and_saveexec_b64 s[38:39], s[36:37]
	s_cbranch_execnz .LBB296_323
	s_branch .LBB296_324
.LBB296_598:                            ;   in Loop: Header=BB296_13 Depth=1
	v_cmp_eq_u16_sdwa s[46:47], v50, s44 src0_sel:BYTE_0 src1_sel:DWORD
	s_mov_b64 vcc, -1
                                        ; implicit-def: $sgpr40
	s_and_saveexec_b64 s[38:39], s[46:47]
; %bb.599:                              ;   in Loop: Header=BB296_13 Depth=1
	s_mov_b32 s40, 0x7fc02000
	s_xor_b64 vcc, exec, -1
; %bb.600:                              ;   in Loop: Header=BB296_13 Depth=1
	s_or_b64 exec, exec, s[38:39]
	s_and_b64 vcc, vcc, exec
	s_or_saveexec_b64 s[36:37], s[36:37]
	v_mov_b32_e32 v46, s40
	s_xor_b64 exec, exec, s[36:37]
	s_cbranch_execz .LBB296_326
.LBB296_601:                            ;   in Loop: Header=BB296_13 Depth=1
	v_cmp_ne_u16_sdwa s[38:39], v50, v9 src0_sel:BYTE_0 src1_sel:DWORD
	s_andn2_b64 vcc, vcc, exec
	s_and_b64 s[38:39], s[38:39], exec
	v_mov_b32_e32 v46, 0
	s_or_b64 vcc, vcc, s[38:39]
	s_or_b64 exec, exec, s[36:37]
	s_and_saveexec_b64 s[36:37], vcc
	s_cbranch_execnz .LBB296_327
	s_branch .LBB296_328
.LBB296_602:                            ;   in Loop: Header=BB296_13 Depth=1
	v_cmp_eq_u16_e32 vcc, s44, v8
	s_mov_b64 s[36:37], -1
                                        ; implicit-def: $sgpr46
	s_and_saveexec_b64 s[40:41], vcc
; %bb.603:                              ;   in Loop: Header=BB296_13 Depth=1
	s_mov_b32 s46, 0x7fc02000
	s_xor_b64 s[36:37], exec, -1
; %bb.604:                              ;   in Loop: Header=BB296_13 Depth=1
	s_or_b64 exec, exec, s[40:41]
	s_and_b64 s[36:37], s[36:37], exec
	s_or_saveexec_b64 s[38:39], s[38:39]
	v_mov_b32_e32 v62, s46
	s_xor_b64 exec, exec, s[38:39]
	s_cbranch_execz .LBB296_330
.LBB296_605:                            ;   in Loop: Header=BB296_13 Depth=1
	v_cmp_ne_u16_e32 vcc, 0, v8
	s_andn2_b64 s[36:37], s[36:37], exec
	s_and_b64 vcc, vcc, exec
	v_mov_b32_e32 v62, 0
	s_or_b64 s[36:37], s[36:37], vcc
	s_or_b64 exec, exec, s[38:39]
	s_and_saveexec_b64 s[38:39], s[36:37]
	s_cbranch_execnz .LBB296_331
	s_branch .LBB296_332
.LBB296_606:                            ;   in Loop: Header=BB296_13 Depth=1
	v_cmp_eq_u16_sdwa s[46:47], v8, s44 src0_sel:BYTE_0 src1_sel:DWORD
	s_mov_b64 vcc, -1
                                        ; implicit-def: $sgpr40
	s_and_saveexec_b64 s[38:39], s[46:47]
; %bb.607:                              ;   in Loop: Header=BB296_13 Depth=1
	s_mov_b32 s40, 0x7fc02000
	s_xor_b64 vcc, exec, -1
; %bb.608:                              ;   in Loop: Header=BB296_13 Depth=1
	s_or_b64 exec, exec, s[38:39]
	s_and_b64 vcc, vcc, exec
	s_or_saveexec_b64 s[36:37], s[36:37]
	v_mov_b32_e32 v59, s40
	s_xor_b64 exec, exec, s[36:37]
	s_cbranch_execz .LBB296_334
.LBB296_609:                            ;   in Loop: Header=BB296_13 Depth=1
	v_cmp_ne_u16_sdwa s[38:39], v8, v9 src0_sel:BYTE_0 src1_sel:DWORD
	s_andn2_b64 vcc, vcc, exec
	s_and_b64 s[38:39], s[38:39], exec
	v_mov_b32_e32 v59, 0
	s_or_b64 vcc, vcc, s[38:39]
	s_or_b64 exec, exec, s[36:37]
	s_and_saveexec_b64 s[36:37], vcc
	s_cbranch_execnz .LBB296_335
	s_branch .LBB296_336
.LBB296_610:                            ;   in Loop: Header=BB296_13 Depth=1
	v_cmp_eq_u16_e32 vcc, s44, v8
	s_mov_b64 s[36:37], -1
                                        ; implicit-def: $sgpr46
	s_and_saveexec_b64 s[40:41], vcc
; %bb.611:                              ;   in Loop: Header=BB296_13 Depth=1
	s_mov_b32 s46, 0x7fc02000
	s_xor_b64 s[36:37], exec, -1
; %bb.612:                              ;   in Loop: Header=BB296_13 Depth=1
	s_or_b64 exec, exec, s[40:41]
	s_and_b64 s[36:37], s[36:37], exec
	s_or_saveexec_b64 s[38:39], s[38:39]
	v_mov_b32_e32 v54, s46
	s_xor_b64 exec, exec, s[38:39]
	s_cbranch_execz .LBB296_338
.LBB296_613:                            ;   in Loop: Header=BB296_13 Depth=1
	v_cmp_ne_u16_e32 vcc, 0, v8
	s_andn2_b64 s[36:37], s[36:37], exec
	s_and_b64 vcc, vcc, exec
	v_mov_b32_e32 v54, 0
	s_or_b64 s[36:37], s[36:37], vcc
	s_or_b64 exec, exec, s[38:39]
	s_and_saveexec_b64 s[38:39], s[36:37]
	s_cbranch_execnz .LBB296_339
	s_branch .LBB296_340
.LBB296_614:                            ;   in Loop: Header=BB296_13 Depth=1
	v_cmp_eq_u16_sdwa s[46:47], v50, s44 src0_sel:BYTE_0 src1_sel:DWORD
	s_mov_b64 vcc, -1
                                        ; implicit-def: $sgpr40
	s_and_saveexec_b64 s[38:39], s[46:47]
; %bb.615:                              ;   in Loop: Header=BB296_13 Depth=1
	s_mov_b32 s40, 0x7fc02000
	s_xor_b64 vcc, exec, -1
; %bb.616:                              ;   in Loop: Header=BB296_13 Depth=1
	s_or_b64 exec, exec, s[38:39]
	s_and_b64 vcc, vcc, exec
	s_or_saveexec_b64 s[36:37], s[36:37]
	v_mov_b32_e32 v36, s40
	s_xor_b64 exec, exec, s[36:37]
	s_cbranch_execz .LBB296_342
.LBB296_617:                            ;   in Loop: Header=BB296_13 Depth=1
	v_cmp_ne_u16_sdwa s[38:39], v50, v9 src0_sel:BYTE_0 src1_sel:DWORD
	s_andn2_b64 vcc, vcc, exec
	s_and_b64 s[38:39], s[38:39], exec
	v_mov_b32_e32 v36, 0
	s_or_b64 vcc, vcc, s[38:39]
	s_or_b64 exec, exec, s[36:37]
	s_and_saveexec_b64 s[36:37], vcc
	s_cbranch_execnz .LBB296_343
	s_branch .LBB296_344
.LBB296_618:                            ;   in Loop: Header=BB296_13 Depth=1
	v_cmp_eq_u16_e32 vcc, s44, v8
	s_mov_b64 s[36:37], -1
                                        ; implicit-def: $sgpr46
	s_and_saveexec_b64 s[40:41], vcc
; %bb.619:                              ;   in Loop: Header=BB296_13 Depth=1
	s_mov_b32 s46, 0x7fc02000
	s_xor_b64 s[36:37], exec, -1
; %bb.620:                              ;   in Loop: Header=BB296_13 Depth=1
	s_or_b64 exec, exec, s[40:41]
	s_and_b64 s[36:37], s[36:37], exec
	s_or_saveexec_b64 s[38:39], s[38:39]
	v_mov_b32_e32 v35, s46
	s_xor_b64 exec, exec, s[38:39]
	s_cbranch_execz .LBB296_346
.LBB296_621:                            ;   in Loop: Header=BB296_13 Depth=1
	v_cmp_ne_u16_e32 vcc, 0, v8
	s_andn2_b64 s[36:37], s[36:37], exec
	s_and_b64 vcc, vcc, exec
	v_mov_b32_e32 v35, 0
	s_or_b64 s[36:37], s[36:37], vcc
	s_or_b64 exec, exec, s[38:39]
	s_and_saveexec_b64 s[38:39], s[36:37]
	s_cbranch_execnz .LBB296_347
	s_branch .LBB296_348
.LBB296_622:                            ;   in Loop: Header=BB296_13 Depth=1
	v_cmp_eq_u16_sdwa s[46:47], v8, s44 src0_sel:BYTE_0 src1_sel:DWORD
	s_mov_b64 vcc, -1
                                        ; implicit-def: $sgpr40
	s_and_saveexec_b64 s[38:39], s[46:47]
; %bb.623:                              ;   in Loop: Header=BB296_13 Depth=1
	s_mov_b32 s40, 0x7fc02000
	s_xor_b64 vcc, exec, -1
; %bb.624:                              ;   in Loop: Header=BB296_13 Depth=1
	s_or_b64 exec, exec, s[38:39]
	s_and_b64 vcc, vcc, exec
	s_or_saveexec_b64 s[36:37], s[36:37]
	v_mov_b32_e32 v51, s40
	s_xor_b64 exec, exec, s[36:37]
	s_cbranch_execz .LBB296_350
.LBB296_625:                            ;   in Loop: Header=BB296_13 Depth=1
	v_cmp_ne_u16_sdwa s[38:39], v8, v9 src0_sel:BYTE_0 src1_sel:DWORD
	s_andn2_b64 vcc, vcc, exec
	s_and_b64 s[38:39], s[38:39], exec
	v_mov_b32_e32 v51, 0
	s_or_b64 vcc, vcc, s[38:39]
	s_or_b64 exec, exec, s[36:37]
	s_and_saveexec_b64 s[36:37], vcc
	s_cbranch_execnz .LBB296_351
	s_branch .LBB296_352
.LBB296_626:                            ;   in Loop: Header=BB296_13 Depth=1
	v_cmp_eq_u16_e32 vcc, s44, v8
	s_mov_b64 s[36:37], -1
                                        ; implicit-def: $sgpr46
	s_and_saveexec_b64 s[40:41], vcc
; %bb.627:                              ;   in Loop: Header=BB296_13 Depth=1
	s_mov_b32 s46, 0x7fc02000
	s_xor_b64 s[36:37], exec, -1
; %bb.628:                              ;   in Loop: Header=BB296_13 Depth=1
	s_or_b64 exec, exec, s[40:41]
	s_and_b64 s[36:37], s[36:37], exec
	s_or_saveexec_b64 s[38:39], s[38:39]
	v_mov_b32_e32 v20, s46
	s_xor_b64 exec, exec, s[38:39]
	s_cbranch_execz .LBB296_354
.LBB296_629:                            ;   in Loop: Header=BB296_13 Depth=1
	v_cmp_ne_u16_e32 vcc, 0, v8
	s_andn2_b64 s[36:37], s[36:37], exec
	s_and_b64 vcc, vcc, exec
	v_mov_b32_e32 v20, 0
	s_or_b64 s[36:37], s[36:37], vcc
	s_or_b64 exec, exec, s[38:39]
	s_and_saveexec_b64 s[38:39], s[36:37]
	s_cbranch_execnz .LBB296_355
	s_branch .LBB296_356
.LBB296_630:                            ;   in Loop: Header=BB296_13 Depth=1
	v_cmp_eq_u16_sdwa s[46:47], v50, s44 src0_sel:BYTE_0 src1_sel:DWORD
	s_mov_b64 vcc, -1
                                        ; implicit-def: $sgpr40
	s_and_saveexec_b64 s[38:39], s[46:47]
; %bb.631:                              ;   in Loop: Header=BB296_13 Depth=1
	s_mov_b32 s40, 0x7fc02000
	s_xor_b64 vcc, exec, -1
; %bb.632:                              ;   in Loop: Header=BB296_13 Depth=1
	s_or_b64 exec, exec, s[38:39]
	s_and_b64 vcc, vcc, exec
	s_or_saveexec_b64 s[36:37], s[36:37]
	v_mov_b32_e32 v31, s40
	s_xor_b64 exec, exec, s[36:37]
	s_cbranch_execz .LBB296_358
.LBB296_633:                            ;   in Loop: Header=BB296_13 Depth=1
	v_cmp_ne_u16_sdwa s[38:39], v50, v9 src0_sel:BYTE_0 src1_sel:DWORD
	s_andn2_b64 vcc, vcc, exec
	s_and_b64 s[38:39], s[38:39], exec
	v_mov_b32_e32 v31, 0
	s_or_b64 vcc, vcc, s[38:39]
	s_or_b64 exec, exec, s[36:37]
	s_and_saveexec_b64 s[36:37], vcc
	s_cbranch_execnz .LBB296_359
	s_branch .LBB296_360
.LBB296_634:                            ;   in Loop: Header=BB296_13 Depth=1
	v_cmp_eq_u16_e32 vcc, s44, v8
	s_mov_b64 s[36:37], -1
                                        ; implicit-def: $sgpr46
	s_and_saveexec_b64 s[40:41], vcc
; %bb.635:                              ;   in Loop: Header=BB296_13 Depth=1
	s_mov_b32 s46, 0x7fc02000
	s_xor_b64 s[36:37], exec, -1
; %bb.636:                              ;   in Loop: Header=BB296_13 Depth=1
	s_or_b64 exec, exec, s[40:41]
	s_and_b64 s[36:37], s[36:37], exec
	s_or_saveexec_b64 s[38:39], s[38:39]
	v_mov_b32_e32 v28, s46
	s_xor_b64 exec, exec, s[38:39]
	s_cbranch_execz .LBB296_362
.LBB296_637:                            ;   in Loop: Header=BB296_13 Depth=1
	v_cmp_ne_u16_e32 vcc, 0, v8
	s_andn2_b64 s[36:37], s[36:37], exec
	s_and_b64 vcc, vcc, exec
	v_mov_b32_e32 v28, 0
	s_or_b64 s[36:37], s[36:37], vcc
	s_or_b64 exec, exec, s[38:39]
	s_and_saveexec_b64 s[38:39], s[36:37]
	s_cbranch_execnz .LBB296_363
	s_branch .LBB296_364
.LBB296_638:                            ;   in Loop: Header=BB296_13 Depth=1
	v_cmp_eq_u16_sdwa s[46:47], v8, s44 src0_sel:BYTE_0 src1_sel:DWORD
	s_mov_b64 vcc, -1
                                        ; implicit-def: $sgpr40
	s_and_saveexec_b64 s[38:39], s[46:47]
; %bb.639:                              ;   in Loop: Header=BB296_13 Depth=1
	s_mov_b32 s40, 0x7fc02000
	s_xor_b64 vcc, exec, -1
; %bb.640:                              ;   in Loop: Header=BB296_13 Depth=1
	s_or_b64 exec, exec, s[38:39]
	s_and_b64 vcc, vcc, exec
	s_or_saveexec_b64 s[36:37], s[36:37]
	v_mov_b32_e32 v39, s40
	s_xor_b64 exec, exec, s[36:37]
	s_cbranch_execz .LBB296_366
.LBB296_641:                            ;   in Loop: Header=BB296_13 Depth=1
	v_cmp_ne_u16_sdwa s[38:39], v8, v9 src0_sel:BYTE_0 src1_sel:DWORD
	s_andn2_b64 vcc, vcc, exec
	s_and_b64 s[38:39], s[38:39], exec
	v_mov_b32_e32 v39, 0
	s_or_b64 vcc, vcc, s[38:39]
	s_or_b64 exec, exec, s[36:37]
	s_and_saveexec_b64 s[36:37], vcc
	s_cbranch_execnz .LBB296_367
	s_branch .LBB296_368
.LBB296_642:                            ;   in Loop: Header=BB296_13 Depth=1
	v_cmp_eq_u16_e32 vcc, s44, v8
	s_mov_b64 s[36:37], -1
                                        ; implicit-def: $sgpr46
	s_and_saveexec_b64 s[40:41], vcc
; %bb.643:                              ;   in Loop: Header=BB296_13 Depth=1
	s_mov_b32 s46, 0x7fc02000
	s_xor_b64 s[36:37], exec, -1
; %bb.644:                              ;   in Loop: Header=BB296_13 Depth=1
	s_or_b64 exec, exec, s[40:41]
	s_and_b64 s[36:37], s[36:37], exec
	s_or_saveexec_b64 s[38:39], s[38:39]
	v_mov_b32_e32 v45, s46
	s_xor_b64 exec, exec, s[38:39]
	s_cbranch_execz .LBB296_370
.LBB296_645:                            ;   in Loop: Header=BB296_13 Depth=1
	v_cmp_ne_u16_e32 vcc, 0, v8
	s_andn2_b64 s[36:37], s[36:37], exec
	s_and_b64 vcc, vcc, exec
	v_mov_b32_e32 v45, 0
	s_or_b64 s[36:37], s[36:37], vcc
	s_or_b64 exec, exec, s[38:39]
	s_and_saveexec_b64 s[38:39], s[36:37]
	s_cbranch_execnz .LBB296_371
	s_branch .LBB296_372
.LBB296_646:                            ;   in Loop: Header=BB296_13 Depth=1
	v_cmp_eq_u16_sdwa s[46:47], v50, s44 src0_sel:BYTE_0 src1_sel:DWORD
	s_mov_b64 vcc, -1
                                        ; implicit-def: $sgpr40
	s_and_saveexec_b64 s[38:39], s[46:47]
; %bb.647:                              ;   in Loop: Header=BB296_13 Depth=1
	s_mov_b32 s40, 0x7fc02000
	s_xor_b64 vcc, exec, -1
; %bb.648:                              ;   in Loop: Header=BB296_13 Depth=1
	s_or_b64 exec, exec, s[38:39]
	s_and_b64 vcc, vcc, exec
	s_or_saveexec_b64 s[36:37], s[36:37]
	v_mov_b32_e32 v12, s40
	s_xor_b64 exec, exec, s[36:37]
	s_cbranch_execz .LBB296_374
.LBB296_649:                            ;   in Loop: Header=BB296_13 Depth=1
	v_cmp_ne_u16_sdwa s[38:39], v50, v9 src0_sel:BYTE_0 src1_sel:DWORD
	s_andn2_b64 vcc, vcc, exec
	s_and_b64 s[38:39], s[38:39], exec
	v_mov_b32_e32 v12, 0
	s_or_b64 vcc, vcc, s[38:39]
	s_or_b64 exec, exec, s[36:37]
	s_and_saveexec_b64 s[36:37], vcc
	s_cbranch_execnz .LBB296_375
	s_branch .LBB296_376
.LBB296_650:                            ;   in Loop: Header=BB296_13 Depth=1
	v_cmp_eq_u16_e32 vcc, s44, v8
	s_mov_b64 s[36:37], -1
                                        ; implicit-def: $sgpr46
	s_and_saveexec_b64 s[40:41], vcc
; %bb.651:                              ;   in Loop: Header=BB296_13 Depth=1
	s_mov_b32 s46, 0x7fc02000
	s_xor_b64 s[36:37], exec, -1
; %bb.652:                              ;   in Loop: Header=BB296_13 Depth=1
	s_or_b64 exec, exec, s[40:41]
	s_and_b64 s[36:37], s[36:37], exec
	s_or_saveexec_b64 s[38:39], s[38:39]
	v_mov_b32_e32 v11, s46
	s_xor_b64 exec, exec, s[38:39]
	s_cbranch_execz .LBB296_378
.LBB296_653:                            ;   in Loop: Header=BB296_13 Depth=1
	v_cmp_ne_u16_e32 vcc, 0, v8
	s_andn2_b64 s[36:37], s[36:37], exec
	s_and_b64 vcc, vcc, exec
	v_mov_b32_e32 v11, 0
	s_or_b64 s[36:37], s[36:37], vcc
	s_or_b64 exec, exec, s[38:39]
	s_and_saveexec_b64 s[38:39], s[36:37]
	s_cbranch_execnz .LBB296_379
	s_branch .LBB296_380
.LBB296_654:                            ;   in Loop: Header=BB296_13 Depth=1
	v_cmp_eq_u16_sdwa s[46:47], v8, s44 src0_sel:BYTE_0 src1_sel:DWORD
	s_mov_b64 vcc, -1
                                        ; implicit-def: $sgpr40
	s_and_saveexec_b64 s[38:39], s[46:47]
; %bb.655:                              ;   in Loop: Header=BB296_13 Depth=1
	s_mov_b32 s40, 0x7fc02000
	s_xor_b64 vcc, exec, -1
; %bb.656:                              ;   in Loop: Header=BB296_13 Depth=1
	s_or_b64 exec, exec, s[38:39]
	s_and_b64 vcc, vcc, exec
	s_or_saveexec_b64 s[36:37], s[36:37]
	v_mov_b32_e32 v10, s40
	s_xor_b64 exec, exec, s[36:37]
	s_cbranch_execz .LBB296_382
.LBB296_657:                            ;   in Loop: Header=BB296_13 Depth=1
	v_cmp_ne_u16_sdwa s[38:39], v8, v9 src0_sel:BYTE_0 src1_sel:DWORD
	s_andn2_b64 vcc, vcc, exec
	s_and_b64 s[38:39], s[38:39], exec
	v_mov_b32_e32 v10, 0
	s_or_b64 vcc, vcc, s[38:39]
	s_or_b64 exec, exec, s[36:37]
	s_and_saveexec_b64 s[36:37], vcc
	s_cbranch_execnz .LBB296_383
	s_branch .LBB296_384
.LBB296_658:                            ;   in Loop: Header=BB296_13 Depth=1
	v_cmp_eq_u16_e32 vcc, s44, v8
	s_mov_b64 s[36:37], -1
                                        ; implicit-def: $sgpr46
	s_and_saveexec_b64 s[40:41], vcc
; %bb.659:                              ;   in Loop: Header=BB296_13 Depth=1
	s_mov_b32 s46, 0x7fc02000
	s_xor_b64 s[36:37], exec, -1
; %bb.660:                              ;   in Loop: Header=BB296_13 Depth=1
	s_or_b64 exec, exec, s[40:41]
	s_and_b64 s[36:37], s[36:37], exec
	s_or_saveexec_b64 s[38:39], s[38:39]
	v_mov_b32_e32 v27, s46
	s_xor_b64 exec, exec, s[38:39]
	s_cbranch_execz .LBB296_386
.LBB296_661:                            ;   in Loop: Header=BB296_13 Depth=1
	v_cmp_ne_u16_e32 vcc, 0, v8
	s_andn2_b64 s[36:37], s[36:37], exec
	s_and_b64 vcc, vcc, exec
	v_mov_b32_e32 v27, 0
	s_or_b64 s[36:37], s[36:37], vcc
	s_or_b64 exec, exec, s[38:39]
	s_and_saveexec_b64 s[38:39], s[36:37]
	s_cbranch_execnz .LBB296_387
	s_branch .LBB296_388
.LBB296_662:                            ;   in Loop: Header=BB296_13 Depth=1
	v_cmp_eq_u16_sdwa s[46:47], v50, s44 src0_sel:BYTE_0 src1_sel:DWORD
	s_mov_b64 vcc, -1
                                        ; implicit-def: $sgpr40
	s_and_saveexec_b64 s[38:39], s[46:47]
; %bb.663:                              ;   in Loop: Header=BB296_13 Depth=1
	s_mov_b32 s40, 0x7fc02000
	s_xor_b64 vcc, exec, -1
; %bb.664:                              ;   in Loop: Header=BB296_13 Depth=1
	s_or_b64 exec, exec, s[38:39]
	s_and_b64 vcc, vcc, exec
	s_or_saveexec_b64 s[36:37], s[36:37]
	v_mov_b32_e32 v2, s40
	s_xor_b64 exec, exec, s[36:37]
	s_cbranch_execz .LBB296_390
.LBB296_665:                            ;   in Loop: Header=BB296_13 Depth=1
	v_cmp_ne_u16_sdwa s[38:39], v50, v9 src0_sel:BYTE_0 src1_sel:DWORD
	s_andn2_b64 vcc, vcc, exec
	s_and_b64 s[38:39], s[38:39], exec
	v_mov_b32_e32 v2, 0
	s_or_b64 vcc, vcc, s[38:39]
	s_or_b64 exec, exec, s[36:37]
	s_and_saveexec_b64 s[36:37], vcc
	s_cbranch_execnz .LBB296_391
	s_branch .LBB296_392
.LBB296_666:                            ;   in Loop: Header=BB296_13 Depth=1
	v_cmp_eq_u16_e32 vcc, s44, v8
	s_mov_b64 s[36:37], -1
                                        ; implicit-def: $sgpr46
	s_and_saveexec_b64 s[40:41], vcc
; %bb.667:                              ;   in Loop: Header=BB296_13 Depth=1
	s_mov_b32 s46, 0x7fc02000
	s_xor_b64 s[36:37], exec, -1
; %bb.668:                              ;   in Loop: Header=BB296_13 Depth=1
	s_or_b64 exec, exec, s[40:41]
	s_and_b64 s[36:37], s[36:37], exec
	s_or_saveexec_b64 s[38:39], s[38:39]
	v_mov_b32_e32 v0, s46
	s_xor_b64 exec, exec, s[38:39]
	s_cbranch_execz .LBB296_394
.LBB296_669:                            ;   in Loop: Header=BB296_13 Depth=1
	v_cmp_ne_u16_e32 vcc, 0, v8
	s_andn2_b64 s[36:37], s[36:37], exec
	s_and_b64 vcc, vcc, exec
	v_mov_b32_e32 v0, 0
	s_or_b64 s[36:37], s[36:37], vcc
	s_or_b64 exec, exec, s[38:39]
	s_and_saveexec_b64 s[38:39], s[36:37]
	s_cbranch_execnz .LBB296_395
	s_branch .LBB296_396
.LBB296_670:                            ;   in Loop: Header=BB296_13 Depth=1
	v_cmp_eq_u16_sdwa s[46:47], v8, s44 src0_sel:BYTE_0 src1_sel:DWORD
	s_mov_b64 vcc, -1
                                        ; implicit-def: $sgpr40
	s_and_saveexec_b64 s[38:39], s[46:47]
; %bb.671:                              ;   in Loop: Header=BB296_13 Depth=1
	s_mov_b32 s40, 0x7fc02000
	s_xor_b64 vcc, exec, -1
; %bb.672:                              ;   in Loop: Header=BB296_13 Depth=1
	s_or_b64 exec, exec, s[38:39]
	s_and_b64 vcc, vcc, exec
	s_or_saveexec_b64 s[36:37], s[36:37]
	v_mov_b32_e32 v55, s40
	s_xor_b64 exec, exec, s[36:37]
	s_cbranch_execz .LBB296_398
.LBB296_673:                            ;   in Loop: Header=BB296_13 Depth=1
	v_cmp_ne_u16_sdwa s[38:39], v8, v9 src0_sel:BYTE_0 src1_sel:DWORD
	s_andn2_b64 vcc, vcc, exec
	s_and_b64 s[38:39], s[38:39], exec
	v_mov_b32_e32 v55, 0
	s_or_b64 vcc, vcc, s[38:39]
	s_or_b64 exec, exec, s[36:37]
	s_and_saveexec_b64 s[36:37], vcc
	s_cbranch_execnz .LBB296_399
	s_branch .LBB296_400
.LBB296_674:                            ;   in Loop: Header=BB296_13 Depth=1
	v_cmp_eq_u16_e32 vcc, s44, v8
	s_mov_b64 s[36:37], -1
                                        ; implicit-def: $sgpr46
	s_and_saveexec_b64 s[40:41], vcc
; %bb.675:                              ;   in Loop: Header=BB296_13 Depth=1
	s_mov_b32 s46, 0x7fc02000
	s_xor_b64 s[36:37], exec, -1
; %bb.676:                              ;   in Loop: Header=BB296_13 Depth=1
	s_or_b64 exec, exec, s[40:41]
	s_and_b64 s[36:37], s[36:37], exec
	s_or_saveexec_b64 s[38:39], s[38:39]
	v_mov_b32_e32 v44, s46
	s_xor_b64 exec, exec, s[38:39]
	s_cbranch_execz .LBB296_402
.LBB296_677:                            ;   in Loop: Header=BB296_13 Depth=1
	v_cmp_ne_u16_e32 vcc, 0, v8
	s_andn2_b64 s[36:37], s[36:37], exec
	s_and_b64 vcc, vcc, exec
	v_mov_b32_e32 v44, 0
	s_or_b64 s[36:37], s[36:37], vcc
	s_or_b64 exec, exec, s[38:39]
	s_and_saveexec_b64 s[38:39], s[36:37]
	s_cbranch_execnz .LBB296_403
	s_branch .LBB296_404
.LBB296_678:                            ;   in Loop: Header=BB296_13 Depth=1
	v_cmp_eq_u16_sdwa s[46:47], v50, s44 src0_sel:BYTE_0 src1_sel:DWORD
	s_mov_b64 vcc, -1
                                        ; implicit-def: $sgpr40
	s_and_saveexec_b64 s[38:39], s[46:47]
; %bb.679:                              ;   in Loop: Header=BB296_13 Depth=1
	s_mov_b32 s40, 0x7fc02000
	s_xor_b64 vcc, exec, -1
; %bb.680:                              ;   in Loop: Header=BB296_13 Depth=1
	s_or_b64 exec, exec, s[38:39]
	s_and_b64 vcc, vcc, exec
	s_or_saveexec_b64 s[36:37], s[36:37]
	v_mov_b32_e32 v15, s40
	s_xor_b64 exec, exec, s[36:37]
	s_cbranch_execz .LBB296_406
.LBB296_681:                            ;   in Loop: Header=BB296_13 Depth=1
	v_cmp_ne_u16_sdwa s[38:39], v50, v9 src0_sel:BYTE_0 src1_sel:DWORD
	s_andn2_b64 vcc, vcc, exec
	s_and_b64 s[38:39], s[38:39], exec
	v_mov_b32_e32 v15, 0
	s_or_b64 vcc, vcc, s[38:39]
	s_or_b64 exec, exec, s[36:37]
	s_and_saveexec_b64 s[36:37], vcc
	s_cbranch_execnz .LBB296_407
	s_branch .LBB296_408
.LBB296_682:                            ;   in Loop: Header=BB296_13 Depth=1
	v_cmp_eq_u16_e32 vcc, s44, v8
	s_mov_b64 s[36:37], -1
                                        ; implicit-def: $sgpr46
	s_and_saveexec_b64 s[40:41], vcc
; %bb.683:                              ;   in Loop: Header=BB296_13 Depth=1
	s_mov_b32 s46, 0x7fc02000
	s_xor_b64 s[36:37], exec, -1
; %bb.684:                              ;   in Loop: Header=BB296_13 Depth=1
	s_or_b64 exec, exec, s[40:41]
	s_and_b64 s[36:37], s[36:37], exec
	s_or_saveexec_b64 s[38:39], s[38:39]
	v_mov_b32_e32 v14, s46
	s_xor_b64 exec, exec, s[38:39]
	s_cbranch_execz .LBB296_410
.LBB296_685:                            ;   in Loop: Header=BB296_13 Depth=1
	v_cmp_ne_u16_e32 vcc, 0, v8
	s_andn2_b64 s[36:37], s[36:37], exec
	s_and_b64 vcc, vcc, exec
	v_mov_b32_e32 v14, 0
	s_or_b64 s[36:37], s[36:37], vcc
	s_or_b64 exec, exec, s[38:39]
	s_and_saveexec_b64 s[38:39], s[36:37]
	s_cbranch_execnz .LBB296_411
	s_branch .LBB296_412
.LBB296_686:                            ;   in Loop: Header=BB296_13 Depth=1
	v_cmp_eq_u16_sdwa s[46:47], v8, s44 src0_sel:BYTE_0 src1_sel:DWORD
	s_mov_b64 vcc, -1
                                        ; implicit-def: $sgpr40
	s_and_saveexec_b64 s[38:39], s[46:47]
; %bb.687:                              ;   in Loop: Header=BB296_13 Depth=1
	s_mov_b32 s40, 0x7fc02000
	s_xor_b64 vcc, exec, -1
; %bb.688:                              ;   in Loop: Header=BB296_13 Depth=1
	s_or_b64 exec, exec, s[38:39]
	s_and_b64 vcc, vcc, exec
	s_or_saveexec_b64 s[36:37], s[36:37]
	v_mov_b32_e32 v3, s40
	s_xor_b64 exec, exec, s[36:37]
	s_cbranch_execz .LBB296_414
.LBB296_689:                            ;   in Loop: Header=BB296_13 Depth=1
	v_cmp_ne_u16_sdwa s[38:39], v8, v9 src0_sel:BYTE_0 src1_sel:DWORD
	s_andn2_b64 vcc, vcc, exec
	s_and_b64 s[38:39], s[38:39], exec
	v_mov_b32_e32 v3, 0
	s_or_b64 vcc, vcc, s[38:39]
	s_or_b64 exec, exec, s[36:37]
	s_and_saveexec_b64 s[36:37], vcc
	s_cbranch_execnz .LBB296_415
	s_branch .LBB296_416
.LBB296_690:                            ;   in Loop: Header=BB296_13 Depth=1
	v_cmp_eq_u16_e32 vcc, s44, v8
	s_mov_b64 s[36:37], -1
                                        ; implicit-def: $sgpr46
	s_and_saveexec_b64 s[40:41], vcc
; %bb.691:                              ;   in Loop: Header=BB296_13 Depth=1
	s_mov_b32 s46, 0x7fc02000
	s_xor_b64 s[36:37], exec, -1
; %bb.692:                              ;   in Loop: Header=BB296_13 Depth=1
	s_or_b64 exec, exec, s[40:41]
	s_and_b64 s[36:37], s[36:37], exec
	s_or_saveexec_b64 s[38:39], s[38:39]
	v_mov_b32_e32 v13, s46
	s_xor_b64 exec, exec, s[38:39]
	s_cbranch_execz .LBB296_418
.LBB296_693:                            ;   in Loop: Header=BB296_13 Depth=1
	v_cmp_ne_u16_e32 vcc, 0, v8
	s_andn2_b64 s[36:37], s[36:37], exec
	s_and_b64 vcc, vcc, exec
	v_mov_b32_e32 v13, 0
	s_or_b64 s[36:37], s[36:37], vcc
	s_or_b64 exec, exec, s[38:39]
	s_and_saveexec_b64 s[38:39], s[36:37]
	s_cbranch_execnz .LBB296_419
	s_branch .LBB296_420
.LBB296_694:                            ;   in Loop: Header=BB296_13 Depth=1
	v_cmp_eq_u16_sdwa s[46:47], v50, s44 src0_sel:BYTE_0 src1_sel:DWORD
	s_mov_b64 vcc, -1
                                        ; implicit-def: $sgpr40
	s_and_saveexec_b64 s[38:39], s[46:47]
; %bb.695:                              ;   in Loop: Header=BB296_13 Depth=1
	s_mov_b32 s40, 0x7fc02000
	s_xor_b64 vcc, exec, -1
; %bb.696:                              ;   in Loop: Header=BB296_13 Depth=1
	s_or_b64 exec, exec, s[38:39]
	s_and_b64 vcc, vcc, exec
	s_or_saveexec_b64 s[36:37], s[36:37]
	v_mov_b32_e32 v24, s40
	s_xor_b64 exec, exec, s[36:37]
	s_cbranch_execz .LBB296_422
.LBB296_697:                            ;   in Loop: Header=BB296_13 Depth=1
	v_cmp_ne_u16_sdwa s[38:39], v50, v9 src0_sel:BYTE_0 src1_sel:DWORD
	s_andn2_b64 vcc, vcc, exec
	s_and_b64 s[38:39], s[38:39], exec
	v_mov_b32_e32 v24, 0
	s_or_b64 vcc, vcc, s[38:39]
	s_or_b64 exec, exec, s[36:37]
	s_and_saveexec_b64 s[36:37], vcc
	s_cbranch_execnz .LBB296_423
	s_branch .LBB296_424
.LBB296_698:                            ;   in Loop: Header=BB296_13 Depth=1
	v_cmp_eq_u16_e32 vcc, s44, v8
	s_mov_b64 s[36:37], -1
                                        ; implicit-def: $sgpr46
	s_and_saveexec_b64 s[40:41], vcc
; %bb.699:                              ;   in Loop: Header=BB296_13 Depth=1
	s_mov_b32 s46, 0x7fc02000
	s_xor_b64 s[36:37], exec, -1
; %bb.700:                              ;   in Loop: Header=BB296_13 Depth=1
	s_or_b64 exec, exec, s[40:41]
	s_and_b64 s[36:37], s[36:37], exec
	s_or_saveexec_b64 s[38:39], s[38:39]
	v_mov_b32_e32 v29, s46
	s_xor_b64 exec, exec, s[38:39]
	s_cbranch_execz .LBB296_426
.LBB296_701:                            ;   in Loop: Header=BB296_13 Depth=1
	v_cmp_ne_u16_e32 vcc, 0, v8
	s_andn2_b64 s[36:37], s[36:37], exec
	s_and_b64 vcc, vcc, exec
	v_mov_b32_e32 v29, 0
	s_or_b64 s[36:37], s[36:37], vcc
	s_or_b64 exec, exec, s[38:39]
	s_and_saveexec_b64 s[38:39], s[36:37]
	s_cbranch_execnz .LBB296_427
	s_branch .LBB296_428
.LBB296_702:                            ;   in Loop: Header=BB296_13 Depth=1
	v_cmp_eq_u16_sdwa s[46:47], v8, s44 src0_sel:BYTE_0 src1_sel:DWORD
	s_mov_b64 vcc, -1
                                        ; implicit-def: $sgpr40
	s_and_saveexec_b64 s[38:39], s[46:47]
; %bb.703:                              ;   in Loop: Header=BB296_13 Depth=1
	s_mov_b32 s40, 0x7fc02000
	s_xor_b64 vcc, exec, -1
; %bb.704:                              ;   in Loop: Header=BB296_13 Depth=1
	s_or_b64 exec, exec, s[38:39]
	s_and_b64 vcc, vcc, exec
	s_or_saveexec_b64 s[36:37], s[36:37]
	v_mov_b32_e32 v32, s40
	s_xor_b64 exec, exec, s[36:37]
	s_cbranch_execz .LBB296_430
.LBB296_705:                            ;   in Loop: Header=BB296_13 Depth=1
	v_cmp_ne_u16_sdwa s[38:39], v8, v9 src0_sel:BYTE_0 src1_sel:DWORD
	s_andn2_b64 vcc, vcc, exec
	s_and_b64 s[38:39], s[38:39], exec
	v_mov_b32_e32 v32, 0
	s_or_b64 vcc, vcc, s[38:39]
	s_or_b64 exec, exec, s[36:37]
	s_and_saveexec_b64 s[36:37], vcc
	s_cbranch_execnz .LBB296_431
	s_branch .LBB296_432
.LBB296_706:                            ;   in Loop: Header=BB296_13 Depth=1
	v_cmp_eq_u16_e32 vcc, s44, v8
	s_mov_b64 s[36:37], -1
                                        ; implicit-def: $sgpr46
	s_and_saveexec_b64 s[40:41], vcc
; %bb.707:                              ;   in Loop: Header=BB296_13 Depth=1
	s_mov_b32 s46, 0x7fc02000
	s_xor_b64 s[36:37], exec, -1
; %bb.708:                              ;   in Loop: Header=BB296_13 Depth=1
	s_or_b64 exec, exec, s[40:41]
	s_and_b64 s[36:37], s[36:37], exec
	s_or_saveexec_b64 s[38:39], s[38:39]
	v_mov_b32_e32 v38, s46
	s_xor_b64 exec, exec, s[38:39]
	s_cbranch_execz .LBB296_434
.LBB296_709:                            ;   in Loop: Header=BB296_13 Depth=1
	v_cmp_ne_u16_e32 vcc, 0, v8
	s_andn2_b64 s[36:37], s[36:37], exec
	s_and_b64 vcc, vcc, exec
	v_mov_b32_e32 v38, 0
	s_or_b64 s[36:37], s[36:37], vcc
	s_or_b64 exec, exec, s[38:39]
	s_and_saveexec_b64 s[38:39], s[36:37]
	s_cbranch_execnz .LBB296_435
	s_branch .LBB296_436
.LBB296_710:                            ;   in Loop: Header=BB296_13 Depth=1
	v_cmp_eq_u16_sdwa s[46:47], v50, s44 src0_sel:BYTE_0 src1_sel:DWORD
	s_mov_b64 vcc, -1
                                        ; implicit-def: $sgpr40
	s_and_saveexec_b64 s[38:39], s[46:47]
; %bb.711:                              ;   in Loop: Header=BB296_13 Depth=1
	s_mov_b32 s40, 0x7fc02000
	s_xor_b64 vcc, exec, -1
; %bb.712:                              ;   in Loop: Header=BB296_13 Depth=1
	s_or_b64 exec, exec, s[38:39]
	s_and_b64 vcc, vcc, exec
	s_or_saveexec_b64 s[36:37], s[36:37]
	v_mov_b32_e32 v19, s40
	s_xor_b64 exec, exec, s[36:37]
	s_cbranch_execz .LBB296_438
.LBB296_713:                            ;   in Loop: Header=BB296_13 Depth=1
	v_cmp_ne_u16_sdwa s[38:39], v50, v9 src0_sel:BYTE_0 src1_sel:DWORD
	s_andn2_b64 vcc, vcc, exec
	s_and_b64 s[38:39], s[38:39], exec
	v_mov_b32_e32 v19, 0
	s_or_b64 vcc, vcc, s[38:39]
	s_or_b64 exec, exec, s[36:37]
	s_and_saveexec_b64 s[36:37], vcc
	s_cbranch_execnz .LBB296_439
	s_branch .LBB296_440
.LBB296_714:                            ;   in Loop: Header=BB296_13 Depth=1
	v_cmp_eq_u16_e32 vcc, s44, v8
	s_mov_b64 s[36:37], -1
                                        ; implicit-def: $sgpr46
	s_and_saveexec_b64 s[40:41], vcc
; %bb.715:                              ;   in Loop: Header=BB296_13 Depth=1
	s_mov_b32 s46, 0x7fc02000
	s_xor_b64 s[36:37], exec, -1
; %bb.716:                              ;   in Loop: Header=BB296_13 Depth=1
	s_or_b64 exec, exec, s[40:41]
	s_and_b64 s[36:37], s[36:37], exec
	s_or_saveexec_b64 s[38:39], s[38:39]
	v_mov_b32_e32 v23, s46
	s_xor_b64 exec, exec, s[38:39]
	s_cbranch_execz .LBB296_442
.LBB296_717:                            ;   in Loop: Header=BB296_13 Depth=1
	v_cmp_ne_u16_e32 vcc, 0, v8
	s_andn2_b64 s[36:37], s[36:37], exec
	s_and_b64 vcc, vcc, exec
	v_mov_b32_e32 v23, 0
	s_or_b64 s[36:37], s[36:37], vcc
	s_or_b64 exec, exec, s[38:39]
	s_and_saveexec_b64 s[38:39], s[36:37]
	s_cbranch_execnz .LBB296_443
	s_branch .LBB296_444
.LBB296_718:                            ;   in Loop: Header=BB296_13 Depth=1
	v_cmp_eq_u16_sdwa s[46:47], v8, s44 src0_sel:BYTE_0 src1_sel:DWORD
	s_mov_b64 vcc, -1
                                        ; implicit-def: $sgpr40
	s_and_saveexec_b64 s[38:39], s[46:47]
; %bb.719:                              ;   in Loop: Header=BB296_13 Depth=1
	s_mov_b32 s40, 0x7fc02000
	s_xor_b64 vcc, exec, -1
; %bb.720:                              ;   in Loop: Header=BB296_13 Depth=1
	s_or_b64 exec, exec, s[38:39]
	s_and_b64 vcc, vcc, exec
	s_or_saveexec_b64 s[36:37], s[36:37]
	v_mov_b32_e32 v40, s40
	s_xor_b64 exec, exec, s[36:37]
	s_cbranch_execz .LBB296_446
.LBB296_721:                            ;   in Loop: Header=BB296_13 Depth=1
	v_cmp_ne_u16_sdwa s[38:39], v8, v9 src0_sel:BYTE_0 src1_sel:DWORD
	s_andn2_b64 vcc, vcc, exec
	s_and_b64 s[38:39], s[38:39], exec
	v_mov_b32_e32 v40, 0
	s_or_b64 vcc, vcc, s[38:39]
	s_or_b64 exec, exec, s[36:37]
	s_and_saveexec_b64 s[36:37], vcc
	s_cbranch_execnz .LBB296_447
	s_branch .LBB296_448
.LBB296_722:                            ;   in Loop: Header=BB296_13 Depth=1
	v_cmp_eq_u16_e32 vcc, s44, v8
	s_mov_b64 s[36:37], -1
                                        ; implicit-def: $sgpr46
	s_and_saveexec_b64 s[40:41], vcc
; %bb.723:                              ;   in Loop: Header=BB296_13 Depth=1
	s_mov_b32 s46, 0x7fc02000
	s_xor_b64 s[36:37], exec, -1
; %bb.724:                              ;   in Loop: Header=BB296_13 Depth=1
	s_or_b64 exec, exec, s[40:41]
	s_and_b64 s[36:37], s[36:37], exec
	s_or_saveexec_b64 s[38:39], s[38:39]
	v_mov_b32_e32 v16, s46
	s_xor_b64 exec, exec, s[38:39]
	s_cbranch_execz .LBB296_450
.LBB296_725:                            ;   in Loop: Header=BB296_13 Depth=1
	v_cmp_ne_u16_e32 vcc, 0, v8
	s_andn2_b64 s[36:37], s[36:37], exec
	s_and_b64 vcc, vcc, exec
	v_mov_b32_e32 v16, 0
	s_or_b64 s[36:37], s[36:37], vcc
	s_or_b64 exec, exec, s[38:39]
	s_and_saveexec_b64 s[38:39], s[36:37]
	s_cbranch_execnz .LBB296_451
	s_branch .LBB296_452
.LBB296_726:                            ;   in Loop: Header=BB296_13 Depth=1
	v_cmp_eq_u16_sdwa s[46:47], v50, s44 src0_sel:BYTE_0 src1_sel:DWORD
	s_mov_b64 vcc, -1
                                        ; implicit-def: $sgpr40
	s_and_saveexec_b64 s[38:39], s[46:47]
; %bb.727:                              ;   in Loop: Header=BB296_13 Depth=1
	s_mov_b32 s40, 0x7fc02000
	s_xor_b64 vcc, exec, -1
; %bb.728:                              ;   in Loop: Header=BB296_13 Depth=1
	s_or_b64 exec, exec, s[38:39]
	s_and_b64 vcc, vcc, exec
	s_or_saveexec_b64 s[36:37], s[36:37]
	v_mov_b32_e32 v5, s40
	s_xor_b64 exec, exec, s[36:37]
	s_cbranch_execz .LBB296_454
.LBB296_729:                            ;   in Loop: Header=BB296_13 Depth=1
	v_cmp_ne_u16_sdwa s[38:39], v50, v9 src0_sel:BYTE_0 src1_sel:DWORD
	s_andn2_b64 vcc, vcc, exec
	s_and_b64 s[38:39], s[38:39], exec
	v_mov_b32_e32 v5, 0
	s_or_b64 vcc, vcc, s[38:39]
	s_or_b64 exec, exec, s[36:37]
	s_and_saveexec_b64 s[36:37], vcc
	s_cbranch_execnz .LBB296_455
	s_branch .LBB296_456
.LBB296_730:                            ;   in Loop: Header=BB296_13 Depth=1
	v_cmp_eq_u16_e32 vcc, s44, v8
	s_mov_b64 s[36:37], -1
                                        ; implicit-def: $sgpr46
	s_and_saveexec_b64 s[40:41], vcc
; %bb.731:                              ;   in Loop: Header=BB296_13 Depth=1
	s_mov_b32 s46, 0x7fc02000
	s_xor_b64 s[36:37], exec, -1
; %bb.732:                              ;   in Loop: Header=BB296_13 Depth=1
	s_or_b64 exec, exec, s[40:41]
	s_and_b64 s[36:37], s[36:37], exec
	s_or_saveexec_b64 s[38:39], s[38:39]
	v_mov_b32_e32 v7, s46
	s_xor_b64 exec, exec, s[38:39]
	s_cbranch_execz .LBB296_458
.LBB296_733:                            ;   in Loop: Header=BB296_13 Depth=1
	v_cmp_ne_u16_e32 vcc, 0, v8
	s_andn2_b64 s[36:37], s[36:37], exec
	s_and_b64 vcc, vcc, exec
	v_mov_b32_e32 v7, 0
	s_or_b64 s[36:37], s[36:37], vcc
	s_or_b64 exec, exec, s[38:39]
	s_and_saveexec_b64 s[38:39], s[36:37]
	s_cbranch_execnz .LBB296_459
	s_branch .LBB296_460
.LBB296_734:                            ;   in Loop: Header=BB296_13 Depth=1
	v_cmp_eq_u16_sdwa s[46:47], v8, s44 src0_sel:BYTE_0 src1_sel:DWORD
	s_mov_b64 vcc, -1
                                        ; implicit-def: $sgpr40
	s_and_saveexec_b64 s[38:39], s[46:47]
; %bb.735:                              ;   in Loop: Header=BB296_13 Depth=1
	s_mov_b32 s40, 0x7fc02000
	s_xor_b64 vcc, exec, -1
; %bb.736:                              ;   in Loop: Header=BB296_13 Depth=1
	s_or_b64 exec, exec, s[38:39]
	s_and_b64 vcc, vcc, exec
	s_or_saveexec_b64 s[36:37], s[36:37]
	v_mov_b32_e32 v17, s40
	s_xor_b64 exec, exec, s[36:37]
	s_cbranch_execz .LBB296_462
.LBB296_737:                            ;   in Loop: Header=BB296_13 Depth=1
	v_cmp_ne_u16_sdwa s[38:39], v8, v9 src0_sel:BYTE_0 src1_sel:DWORD
	s_andn2_b64 vcc, vcc, exec
	s_and_b64 s[38:39], s[38:39], exec
	v_mov_b32_e32 v17, 0
	s_or_b64 vcc, vcc, s[38:39]
	s_or_b64 exec, exec, s[36:37]
	s_and_saveexec_b64 s[36:37], vcc
	s_cbranch_execnz .LBB296_463
	s_branch .LBB296_464
.LBB296_738:                            ;   in Loop: Header=BB296_13 Depth=1
	v_cmp_eq_u16_e32 vcc, s44, v8
	s_mov_b64 s[36:37], -1
                                        ; implicit-def: $sgpr46
	s_and_saveexec_b64 s[40:41], vcc
; %bb.739:                              ;   in Loop: Header=BB296_13 Depth=1
	s_mov_b32 s46, 0x7fc02000
	s_xor_b64 s[36:37], exec, -1
; %bb.740:                              ;   in Loop: Header=BB296_13 Depth=1
	s_or_b64 exec, exec, s[40:41]
	s_and_b64 s[36:37], s[36:37], exec
	s_or_saveexec_b64 s[38:39], s[38:39]
	v_mov_b32_e32 v18, s46
	s_xor_b64 exec, exec, s[38:39]
	s_cbranch_execz .LBB296_466
.LBB296_741:                            ;   in Loop: Header=BB296_13 Depth=1
	v_cmp_ne_u16_e32 vcc, 0, v8
	s_andn2_b64 s[36:37], s[36:37], exec
	s_and_b64 vcc, vcc, exec
	v_mov_b32_e32 v18, 0
	s_or_b64 s[36:37], s[36:37], vcc
	s_or_b64 exec, exec, s[38:39]
	s_and_saveexec_b64 s[38:39], s[36:37]
	s_cbranch_execnz .LBB296_467
	s_branch .LBB296_468
.LBB296_742:                            ;   in Loop: Header=BB296_13 Depth=1
	v_cmp_eq_u16_sdwa s[46:47], v50, s44 src0_sel:BYTE_0 src1_sel:DWORD
	s_mov_b64 vcc, -1
                                        ; implicit-def: $sgpr40
	s_and_saveexec_b64 s[38:39], s[46:47]
; %bb.743:                              ;   in Loop: Header=BB296_13 Depth=1
	s_mov_b32 s40, 0x7fc02000
	s_xor_b64 vcc, exec, -1
; %bb.744:                              ;   in Loop: Header=BB296_13 Depth=1
	s_or_b64 exec, exec, s[38:39]
	s_and_b64 vcc, vcc, exec
	s_or_saveexec_b64 s[36:37], s[36:37]
	v_mov_b32_e32 v6, s40
	s_xor_b64 exec, exec, s[36:37]
	s_cbranch_execz .LBB296_470
.LBB296_745:                            ;   in Loop: Header=BB296_13 Depth=1
	v_cmp_ne_u16_sdwa s[38:39], v50, v9 src0_sel:BYTE_0 src1_sel:DWORD
	s_andn2_b64 vcc, vcc, exec
	s_and_b64 s[38:39], s[38:39], exec
	v_mov_b32_e32 v6, 0
	s_or_b64 vcc, vcc, s[38:39]
	s_or_b64 exec, exec, s[36:37]
	s_and_saveexec_b64 s[36:37], vcc
	s_cbranch_execnz .LBB296_471
	s_branch .LBB296_472
.LBB296_746:                            ;   in Loop: Header=BB296_13 Depth=1
	v_cmp_eq_u16_e32 vcc, s44, v8
	s_mov_b64 s[36:37], -1
                                        ; implicit-def: $sgpr46
	s_and_saveexec_b64 s[40:41], vcc
; %bb.747:                              ;   in Loop: Header=BB296_13 Depth=1
	s_mov_b32 s46, 0x7fc02000
	s_xor_b64 s[36:37], exec, -1
; %bb.748:                              ;   in Loop: Header=BB296_13 Depth=1
	s_or_b64 exec, exec, s[40:41]
	s_and_b64 s[36:37], s[36:37], exec
	s_or_saveexec_b64 s[38:39], s[38:39]
	v_mov_b32_e32 v1, s46
	s_xor_b64 exec, exec, s[38:39]
	s_cbranch_execz .LBB296_474
.LBB296_749:                            ;   in Loop: Header=BB296_13 Depth=1
	v_cmp_ne_u16_e32 vcc, 0, v8
	s_andn2_b64 s[36:37], s[36:37], exec
	s_and_b64 vcc, vcc, exec
	v_mov_b32_e32 v1, 0
	s_or_b64 s[36:37], s[36:37], vcc
	s_or_b64 exec, exec, s[38:39]
	s_and_saveexec_b64 s[38:39], s[36:37]
	s_cbranch_execnz .LBB296_475
	s_branch .LBB296_476
.LBB296_750:                            ;   in Loop: Header=BB296_13 Depth=1
	v_cmp_eq_u16_sdwa s[46:47], v8, s44 src0_sel:BYTE_0 src1_sel:DWORD
	s_mov_b64 vcc, -1
                                        ; implicit-def: $sgpr40
	s_and_saveexec_b64 s[38:39], s[46:47]
; %bb.751:                              ;   in Loop: Header=BB296_13 Depth=1
	s_mov_b32 s40, 0x7fc02000
	s_xor_b64 vcc, exec, -1
; %bb.752:                              ;   in Loop: Header=BB296_13 Depth=1
	s_or_b64 exec, exec, s[38:39]
	s_and_b64 vcc, vcc, exec
	s_or_saveexec_b64 s[36:37], s[36:37]
	v_mov_b32_e32 v21, s40
	s_xor_b64 exec, exec, s[36:37]
	s_cbranch_execz .LBB296_478
.LBB296_753:                            ;   in Loop: Header=BB296_13 Depth=1
	v_cmp_ne_u16_sdwa s[38:39], v8, v9 src0_sel:BYTE_0 src1_sel:DWORD
	s_andn2_b64 vcc, vcc, exec
	s_and_b64 s[38:39], s[38:39], exec
	v_mov_b32_e32 v21, 0
	s_or_b64 vcc, vcc, s[38:39]
	s_or_b64 exec, exec, s[36:37]
	s_and_saveexec_b64 s[36:37], vcc
	s_cbranch_execnz .LBB296_479
	s_branch .LBB296_480
.LBB296_754:                            ;   in Loop: Header=BB296_13 Depth=1
	v_cmp_eq_u16_e32 vcc, s44, v8
	s_mov_b64 s[36:37], -1
                                        ; implicit-def: $sgpr46
	s_and_saveexec_b64 s[40:41], vcc
; %bb.755:                              ;   in Loop: Header=BB296_13 Depth=1
	s_mov_b32 s46, 0x7fc02000
	s_xor_b64 s[36:37], exec, -1
; %bb.756:                              ;   in Loop: Header=BB296_13 Depth=1
	s_or_b64 exec, exec, s[40:41]
	s_and_b64 s[36:37], s[36:37], exec
	s_or_saveexec_b64 s[38:39], s[38:39]
	v_mov_b32_e32 v22, s46
	s_xor_b64 exec, exec, s[38:39]
	s_cbranch_execz .LBB296_482
.LBB296_757:                            ;   in Loop: Header=BB296_13 Depth=1
	v_cmp_ne_u16_e32 vcc, 0, v8
	s_andn2_b64 s[36:37], s[36:37], exec
	s_and_b64 vcc, vcc, exec
	v_mov_b32_e32 v22, 0
	s_or_b64 s[36:37], s[36:37], vcc
	s_or_b64 exec, exec, s[38:39]
	s_and_saveexec_b64 s[38:39], s[36:37]
	s_cbranch_execnz .LBB296_483
	s_branch .LBB296_484
.LBB296_758:                            ;   in Loop: Header=BB296_13 Depth=1
	v_cmp_eq_u16_sdwa s[46:47], v50, s44 src0_sel:BYTE_0 src1_sel:DWORD
	s_mov_b64 vcc, -1
                                        ; implicit-def: $sgpr40
	s_and_saveexec_b64 s[38:39], s[46:47]
; %bb.759:                              ;   in Loop: Header=BB296_13 Depth=1
	s_mov_b32 s40, 0x7fc02000
	s_xor_b64 vcc, exec, -1
; %bb.760:                              ;   in Loop: Header=BB296_13 Depth=1
	s_or_b64 exec, exec, s[38:39]
	s_and_b64 vcc, vcc, exec
	s_or_saveexec_b64 s[36:37], s[36:37]
	v_mov_b32_e32 v25, s40
	s_xor_b64 exec, exec, s[36:37]
	s_cbranch_execz .LBB296_486
.LBB296_761:                            ;   in Loop: Header=BB296_13 Depth=1
	v_cmp_ne_u16_sdwa s[38:39], v50, v9 src0_sel:BYTE_0 src1_sel:DWORD
	s_andn2_b64 vcc, vcc, exec
	s_and_b64 s[38:39], s[38:39], exec
	v_mov_b32_e32 v25, 0
	s_or_b64 vcc, vcc, s[38:39]
	s_or_b64 exec, exec, s[36:37]
	s_and_saveexec_b64 s[36:37], vcc
	s_cbranch_execnz .LBB296_487
	s_branch .LBB296_488
.LBB296_762:                            ;   in Loop: Header=BB296_13 Depth=1
	v_cmp_eq_u16_e32 vcc, s44, v8
	s_mov_b64 s[36:37], -1
                                        ; implicit-def: $sgpr46
	s_and_saveexec_b64 s[40:41], vcc
; %bb.763:                              ;   in Loop: Header=BB296_13 Depth=1
	s_mov_b32 s46, 0x7fc02000
	s_xor_b64 s[36:37], exec, -1
; %bb.764:                              ;   in Loop: Header=BB296_13 Depth=1
	s_or_b64 exec, exec, s[40:41]
	s_and_b64 s[36:37], s[36:37], exec
	s_or_saveexec_b64 s[38:39], s[38:39]
	v_mov_b32_e32 v34, s46
	s_xor_b64 exec, exec, s[38:39]
	s_cbranch_execz .LBB296_490
.LBB296_765:                            ;   in Loop: Header=BB296_13 Depth=1
	v_cmp_ne_u16_e32 vcc, 0, v8
	s_andn2_b64 s[36:37], s[36:37], exec
	s_and_b64 vcc, vcc, exec
	v_mov_b32_e32 v34, 0
	s_or_b64 s[36:37], s[36:37], vcc
	s_or_b64 exec, exec, s[38:39]
	s_and_saveexec_b64 s[38:39], s[36:37]
	s_cbranch_execnz .LBB296_491
	s_branch .LBB296_492
.LBB296_766:                            ;   in Loop: Header=BB296_13 Depth=1
	v_cmp_eq_u16_sdwa s[46:47], v8, s44 src0_sel:BYTE_0 src1_sel:DWORD
	s_mov_b64 vcc, -1
                                        ; implicit-def: $sgpr40
	s_and_saveexec_b64 s[38:39], s[46:47]
; %bb.767:                              ;   in Loop: Header=BB296_13 Depth=1
	s_mov_b32 s40, 0x7fc02000
	s_xor_b64 vcc, exec, -1
; %bb.768:                              ;   in Loop: Header=BB296_13 Depth=1
	s_or_b64 exec, exec, s[38:39]
	s_and_b64 vcc, vcc, exec
	s_or_saveexec_b64 s[36:37], s[36:37]
	v_mov_b32_e32 v37, s40
	s_xor_b64 exec, exec, s[36:37]
	s_cbranch_execz .LBB296_494
.LBB296_769:                            ;   in Loop: Header=BB296_13 Depth=1
	v_cmp_ne_u16_sdwa s[38:39], v8, v9 src0_sel:BYTE_0 src1_sel:DWORD
	s_andn2_b64 vcc, vcc, exec
	s_and_b64 s[38:39], s[38:39], exec
	v_mov_b32_e32 v37, 0
	s_or_b64 vcc, vcc, s[38:39]
	s_or_b64 exec, exec, s[36:37]
	s_and_saveexec_b64 s[36:37], vcc
	s_cbranch_execnz .LBB296_495
	s_branch .LBB296_496
.LBB296_770:                            ;   in Loop: Header=BB296_13 Depth=1
	v_cmp_eq_u16_e32 vcc, s44, v8
	s_mov_b64 s[36:37], -1
                                        ; implicit-def: $sgpr46
	s_and_saveexec_b64 s[40:41], vcc
; %bb.771:                              ;   in Loop: Header=BB296_13 Depth=1
	s_mov_b32 s46, 0x7fc02000
	s_xor_b64 s[36:37], exec, -1
; %bb.772:                              ;   in Loop: Header=BB296_13 Depth=1
	s_or_b64 exec, exec, s[40:41]
	s_and_b64 s[36:37], s[36:37], exec
	s_or_saveexec_b64 s[38:39], s[38:39]
	v_mov_b32_e32 v52, s46
	s_xor_b64 exec, exec, s[38:39]
	s_cbranch_execz .LBB296_498
.LBB296_773:                            ;   in Loop: Header=BB296_13 Depth=1
	v_cmp_ne_u16_e32 vcc, 0, v8
	s_andn2_b64 s[36:37], s[36:37], exec
	s_and_b64 vcc, vcc, exec
	v_mov_b32_e32 v52, 0
	s_or_b64 s[36:37], s[36:37], vcc
	s_or_b64 exec, exec, s[38:39]
	s_and_saveexec_b64 s[38:39], s[36:37]
	s_cbranch_execnz .LBB296_499
	s_branch .LBB296_500
.LBB296_774:                            ;   in Loop: Header=BB296_13 Depth=1
	v_cmp_eq_u16_sdwa s[46:47], v48, s44 src0_sel:BYTE_0 src1_sel:DWORD
	s_mov_b64 vcc, -1
                                        ; implicit-def: $sgpr40
	s_and_saveexec_b64 s[38:39], s[46:47]
; %bb.775:                              ;   in Loop: Header=BB296_13 Depth=1
	s_mov_b32 s40, 0x7fc02000
	s_xor_b64 vcc, exec, -1
; %bb.776:                              ;   in Loop: Header=BB296_13 Depth=1
	s_or_b64 exec, exec, s[38:39]
	s_and_b64 vcc, vcc, exec
	s_or_saveexec_b64 s[36:37], s[36:37]
	v_mov_b32_e32 v33, s40
	s_xor_b64 exec, exec, s[36:37]
	s_cbranch_execz .LBB296_502
.LBB296_777:                            ;   in Loop: Header=BB296_13 Depth=1
	v_cmp_ne_u16_sdwa s[38:39], v48, v9 src0_sel:BYTE_0 src1_sel:DWORD
	s_andn2_b64 vcc, vcc, exec
	s_and_b64 s[38:39], s[38:39], exec
	v_mov_b32_e32 v33, 0
	s_or_b64 vcc, vcc, s[38:39]
	s_or_b64 exec, exec, s[36:37]
	s_and_saveexec_b64 s[36:37], vcc
	s_cbranch_execnz .LBB296_503
	s_branch .LBB296_504
.LBB296_778:                            ;   in Loop: Header=BB296_13 Depth=1
	v_cmp_eq_u16_e32 vcc, s44, v8
	s_mov_b64 s[36:37], -1
                                        ; implicit-def: $sgpr46
	s_and_saveexec_b64 s[40:41], vcc
; %bb.779:                              ;   in Loop: Header=BB296_13 Depth=1
	s_mov_b32 s46, 0x7fc02000
	s_xor_b64 s[36:37], exec, -1
; %bb.780:                              ;   in Loop: Header=BB296_13 Depth=1
	s_or_b64 exec, exec, s[40:41]
	s_and_b64 s[36:37], s[36:37], exec
	s_or_saveexec_b64 s[38:39], s[38:39]
	v_mov_b32_e32 v53, s46
	s_xor_b64 exec, exec, s[38:39]
	s_cbranch_execz .LBB296_506
.LBB296_781:                            ;   in Loop: Header=BB296_13 Depth=1
	v_cmp_ne_u16_e32 vcc, 0, v8
	s_andn2_b64 s[36:37], s[36:37], exec
	s_and_b64 vcc, vcc, exec
	v_mov_b32_e32 v53, 0
	s_or_b64 s[36:37], s[36:37], vcc
	s_or_b64 exec, exec, s[38:39]
	s_and_saveexec_b64 s[38:39], s[36:37]
	s_cbranch_execnz .LBB296_507
	s_branch .LBB296_508
.LBB296_782:                            ;   in Loop: Header=BB296_13 Depth=1
	v_cmp_eq_u16_sdwa s[46:47], v8, s44 src0_sel:BYTE_0 src1_sel:DWORD
	s_mov_b64 vcc, -1
                                        ; implicit-def: $sgpr40
	s_and_saveexec_b64 s[38:39], s[46:47]
; %bb.783:                              ;   in Loop: Header=BB296_13 Depth=1
	s_mov_b32 s40, 0x7fc02000
	s_xor_b64 vcc, exec, -1
; %bb.784:                              ;   in Loop: Header=BB296_13 Depth=1
	s_or_b64 exec, exec, s[38:39]
	s_and_b64 vcc, vcc, exec
	s_or_saveexec_b64 s[36:37], s[36:37]
	v_mov_b32_e32 v50, s40
	s_xor_b64 exec, exec, s[36:37]
	s_cbranch_execz .LBB296_510
.LBB296_785:                            ;   in Loop: Header=BB296_13 Depth=1
	v_cmp_ne_u16_sdwa s[38:39], v8, v9 src0_sel:BYTE_0 src1_sel:DWORD
	s_andn2_b64 vcc, vcc, exec
	s_and_b64 s[38:39], s[38:39], exec
	v_mov_b32_e32 v50, 0
	s_or_b64 vcc, vcc, s[38:39]
	s_or_b64 exec, exec, s[36:37]
	s_and_saveexec_b64 s[36:37], vcc
	s_cbranch_execnz .LBB296_511
	s_branch .LBB296_512
.LBB296_786:
	s_or_b64 exec, exec, s[24:25]
	scratch_load_dword v16, off, s32 offset:452 ; 4-byte Folded Reload
	scratch_load_dwordx2 v[24:25], off, s32 offset:504 ; 8-byte Folded Reload
	scratch_load_dwordx2 v[26:27], off, s32 offset:496 ; 8-byte Folded Reload
	;; [unrolled: 1-line block ×5, first 2 shown]
	scratch_load_dword v19, off, s32 offset:476 ; 4-byte Folded Reload
	scratch_load_dword v21, off, s32 offset:464 ; 4-byte Folded Reload
	;; [unrolled: 1-line block ×3, first 2 shown]
	scratch_load_dwordx2 v[28:29], off, s32 offset:456 ; 8-byte Folded Reload
	scratch_load_dword v6, off, s32 offset:384 ; 4-byte Folded Reload
	v_mbcnt_lo_u32_b32 v0, -1, 0
.LBB296_787:
	s_or_b64 exec, exec, s[8:9]
	v_mbcnt_hi_u32_b32 v0, -1, v0
	v_and_b32_e32 v1, 64, v0
	v_add_u32_e32 v1, 64, v1
	v_xor_b32_e32 v2, 32, v0
	v_cmp_lt_i32_e32 vcc, v2, v1
	v_xor_b32_e32 v5, 16, v0
	s_waitcnt vmcnt(0)
	v_max_f32_e32 v4, v6, v6
	v_cndmask_b32_e32 v2, v0, v2, vcc
	v_lshlrev_b32_e32 v2, 2, v2
	ds_bpermute_b32 v3, v2, v6
	v_cmp_lt_i32_e32 vcc, v5, v1
	v_xor_b32_e32 v6, 8, v0
	v_xor_b32_e32 v7, 4, v0
	v_xor_b32_e32 v8, 2, v0
	s_waitcnt lgkmcnt(0)
	v_max_f32_e32 v3, v3, v3
	v_max_f32_e32 v4, v4, v3
	v_cndmask_b32_e32 v3, v0, v5, vcc
	v_lshlrev_b32_e32 v3, 2, v3
	ds_bpermute_b32 v5, v3, v4
	v_cmp_lt_i32_e32 vcc, v6, v1
	s_lshr_b32 s24, s42, 16
	s_waitcnt lgkmcnt(0)
	v_max_f32_e32 v5, v5, v5
	v_max_f32_e32 v5, v4, v5
	v_cndmask_b32_e32 v4, v0, v6, vcc
	v_lshlrev_b32_e32 v4, 2, v4
	ds_bpermute_b32 v6, v4, v5
	v_cmp_lt_i32_e32 vcc, v7, v1
	s_waitcnt lgkmcnt(0)
	v_max_f32_e32 v6, v6, v6
	v_max_f32_e32 v6, v5, v6
	v_cndmask_b32_e32 v5, v0, v7, vcc
	v_lshlrev_b32_e32 v5, 2, v5
	ds_bpermute_b32 v7, v5, v6
	v_cmp_lt_i32_e32 vcc, v8, v1
	s_waitcnt lgkmcnt(0)
	v_max_f32_e32 v7, v7, v7
	v_max_f32_e32 v7, v6, v7
	v_cndmask_b32_e32 v6, v0, v8, vcc
	v_lshlrev_b32_e32 v14, 2, v6
	scratch_load_dword v6, off, s32 offset:372 ; 4-byte Folded Reload
	ds_bpermute_b32 v8, v14, v7
	s_waitcnt vmcnt(0)
	v_and_b32_e32 v30, 63, v6
	v_cmp_eq_u32_e32 vcc, 0, v30
	v_lshlrev_b32_e32 v6, 2, v19
	s_and_saveexec_b64 s[2:3], vcc
	s_cbranch_execz .LBB296_789
; %bb.788:
	s_waitcnt lgkmcnt(0)
	v_max_f32_e32 v8, v8, v8
	v_max_f32_e32 v7, v7, v7
	v_max_f32_e32 v7, v7, v8
	ds_write_b32 v6, v7 offset:384
.LBB296_789:
	s_or_b64 exec, exec, s[2:3]
	v_cmp_gt_u32_e64 s[2:3], 2, v30
	s_waitcnt lgkmcnt(0)
	v_mov_b32_e32 v8, 0xff7fffff
	v_lshlrev_b32_e32 v7, 2, v30
	s_barrier
	s_and_saveexec_b64 s[4:5], s[2:3]
	s_cbranch_execz .LBB296_791
; %bb.790:
	ds_read_b32 v8, v7 offset:384
.LBB296_791:
	s_or_b64 exec, exec, s[4:5]
	v_xor_b32_e32 v9, 1, v0
	v_cmp_lt_i32_e64 s[4:5], v9, v1
	v_accvgpr_read_b32 v10, a8
	s_nop 0
	v_cndmask_b32_e64 v1, v0, v9, s[4:5]
	scratch_load_dword v9, off, s32 offset:204 ; 4-byte Folded Reload
	v_lshlrev_b32_e32 v15, 2, v1
	s_waitcnt lgkmcnt(0)
	ds_bpermute_b32 v1, v15, v8
	v_max_f32_e32 v8, v8, v8
	v_lshlrev_b32_e32 v0, 2, v0
	s_waitcnt lgkmcnt(0)
	v_max_f32_e32 v1, v1, v1
	v_max_f32_e32 v1, v8, v1
	v_and_b32_e32 v8, 0x100, v0
	ds_bpermute_b32 v0, v8, v1
	s_waitcnt vmcnt(0)
	v_subrev_u32_e32 v9, s17, v9
	v_lshl_add_u32 v9, v9, 5, s21
	v_min_i32_e32 v9, v9, v10
	scratch_load_dword v10, off, s32 offset:372 ; 4-byte Folded Reload
	v_subrev_u32_e32 v1, s21, v9
	s_waitcnt vmcnt(0)
	v_cmp_lt_i32_e64 s[4:5], v10, v1
	v_mov_b32_e32 v10, 0
	s_and_saveexec_b64 s[8:9], s[4:5]
	s_cbranch_execz .LBB296_795
; %bb.792:
	scratch_load_dword v12, off, s32 offset:372 ; 4-byte Folded Reload
	s_ashr_i32 s19, s18, 31
	s_lshl_b64 s[6:7], s[18:19], 2
	s_getpc_b64 s[22:23]
	s_add_u32 s22, s22, llvm.amdgcn.dynlds.offset.table@rel32@lo+4
	s_addc_u32 s23, s23, llvm.amdgcn.dynlds.offset.table@rel32@hi+12
	s_add_u32 s6, s6, s22
	s_addc_u32 s7, s7, s23
	s_load_dword s6, s[6:7], 0x0
	s_mov_b64 s[22:23], 0
	v_mov_b32_e32 v10, 0
	s_waitcnt vmcnt(0) lgkmcnt(0)
	v_lshl_add_u32 v11, v12, 2, s6
.LBB296_793:                            ; =>This Inner Loop Header: Depth=1
	ds_read_b32 v13, v11
	v_add_u32_e32 v12, 0x80, v12
	v_cmp_ge_i32_e64 s[6:7], v12, v1
	s_or_b64 s[22:23], s[6:7], s[22:23]
	s_waitcnt lgkmcnt(0)
	v_sub_f32_e32 v13, v13, v0
	v_mul_f32_e32 v13, 0x3fb8aa3b, v13
	v_exp_f32_e32 v13, v13
	ds_write_b32 v11, v13
	v_add_f32_e32 v10, v10, v13
	v_add_u32_e32 v11, 0x200, v11
	s_andn2_b64 exec, exec, s[22:23]
	s_cbranch_execnz .LBB296_793
; %bb.794:
	s_or_b64 exec, exec, s[22:23]
.LBB296_795:
	s_or_b64 exec, exec, s[8:9]
	ds_bpermute_b32 v2, v2, v10
	s_waitcnt lgkmcnt(0)
	v_add_f32_e32 v2, v10, v2
	ds_bpermute_b32 v3, v3, v2
	s_waitcnt lgkmcnt(0)
	v_add_f32_e32 v2, v2, v3
	;; [unrolled: 3-line block ×6, first 2 shown]
	s_and_saveexec_b64 s[6:7], vcc
	s_cbranch_execz .LBB296_797
; %bb.796:
	ds_write_b32 v6, v2 offset:392
.LBB296_797:
	s_or_b64 exec, exec, s[6:7]
	s_waitcnt lgkmcnt(0)
	s_barrier
	s_and_saveexec_b64 s[6:7], s[2:3]
	s_cbranch_execz .LBB296_799
; %bb.798:
	ds_read_b32 v2, v7 offset:392
.LBB296_799:
	s_or_b64 exec, exec, s[6:7]
	s_waitcnt lgkmcnt(0)
	ds_bpermute_b32 v3, v15, v2
	s_waitcnt lgkmcnt(0)
	v_add_f32_e32 v2, v2, v3
	ds_bpermute_b32 v2, v8, v2
	s_and_saveexec_b64 s[2:3], s[4:5]
	s_cbranch_execz .LBB296_812
; %bb.800:
	s_waitcnt lgkmcnt(0)
	v_add_f32_e32 v3, 0x358637bd, v2
	v_div_scale_f32 v4, s[4:5], v3, v3, 1.0
	v_rcp_f32_e32 v5, v4
	v_div_scale_f32 v6, vcc, 1.0, v3, 1.0
	s_movk_i32 s4, 0x7f
	v_fma_f32 v7, -v4, v5, 1.0
	v_fmac_f32_e32 v5, v7, v5
	v_mul_f32_e32 v7, v6, v5
	v_fma_f32 v8, -v4, v7, v6
	v_fmac_f32_e32 v7, v8, v5
	v_fma_f32 v4, -v4, v7, v6
	v_div_fmas_f32 v4, v4, v5, v7
	scratch_load_dword v5, off, s32 offset:372 ; 4-byte Folded Reload
	v_div_fixup_f32 v8, v4, v3, 1.0
	s_mov_b64 s[6:7], -1
	s_waitcnt vmcnt(0)
	v_xad_u32 v3, v5, -1, v9
	v_subrev_u32_e32 v4, s21, v3
	v_cmp_lt_u32_e32 vcc, s4, v4
	v_mov_b32_e32 v3, v5
	s_and_saveexec_b64 s[4:5], vcc
	s_cbranch_execz .LBB296_809
; %bb.801:
	v_lshrrev_b32_e32 v3, 7, v4
	v_add_u32_e32 v5, -1, v3
	v_lshrrev_b32_e32 v4, 1, v5
	v_mov_b32_e32 v9, v8
	v_add_u32_e32 v4, 1, v4
	v_cmp_lt_u32_e32 vcc, 13, v5
	v_mov_b32_e32 v7, 0
	s_and_saveexec_b64 s[6:7], vcc
	s_cbranch_execz .LBB296_805
; %bb.802:
	scratch_load_dword v6, off, s32 offset:372 ; 4-byte Folded Reload
	s_ashr_i32 s19, s18, 31
	s_lshl_b64 s[8:9], s[18:19], 2
	s_getpc_b64 s[22:23]
	s_add_u32 s22, s22, llvm.amdgcn.dynlds.offset.table@rel32@lo+4
	s_addc_u32 s23, s23, llvm.amdgcn.dynlds.offset.table@rel32@hi+12
	s_add_u32 s8, s8, s22
	s_addc_u32 s9, s9, s23
	s_load_dword s8, s[8:9], 0x0
	v_mov_b32_e32 v31, v15
	v_mov_b32_e32 v23, v14
	;; [unrolled: 1-line block ×3, first 2 shown]
	v_and_b32_e32 v5, -8, v4
	s_mov_b32 s17, 0
	s_waitcnt vmcnt(0) lgkmcnt(0)
	v_lshl_add_u32 v6, v6, 2, s8
	s_mov_b64 s[8:9], 0
.LBB296_803:                            ; =>This Inner Loop Header: Depth=1
	ds_read2st64_b32 v[10:11], v6 offset1:2
	ds_read2st64_b32 v[12:13], v6 offset0:4 offset1:6
	ds_read2st64_b32 v[14:15], v6 offset0:8 offset1:10
	;; [unrolled: 1-line block ×3, first 2 shown]
	v_add_u32_e32 v5, -8, v5
	s_waitcnt lgkmcnt(3)
	v_pk_mul_f32 v[10:11], v[8:9], v[10:11]
	s_waitcnt lgkmcnt(2)
	v_pk_mul_f32 v[12:13], v[8:9], v[12:13]
	ds_write2st64_b32 v6, v10, v11 offset1:2
	ds_write2st64_b32 v6, v12, v13 offset0:4 offset1:6
	ds_read2st64_b32 v[12:13], v6 offset0:16 offset1:18
	s_waitcnt lgkmcnt(4)
	v_pk_mul_f32 v[10:11], v[8:9], v[14:15]
	ds_write2st64_b32 v6, v10, v11 offset0:8 offset1:10
	s_waitcnt lgkmcnt(4)
	v_pk_mul_f32 v[10:11], v[8:9], v[16:17]
	ds_write2st64_b32 v6, v10, v11 offset0:12 offset1:14
	ds_read2st64_b32 v[10:11], v6 offset0:20 offset1:22
	s_waitcnt lgkmcnt(3)
	v_pk_mul_f32 v[12:13], v[8:9], v[12:13]
	ds_read2st64_b32 v[14:15], v6 offset0:24 offset1:26
	ds_write2st64_b32 v6, v12, v13 offset0:16 offset1:18
	ds_read2st64_b32 v[12:13], v6 offset0:28 offset1:30
	s_waitcnt lgkmcnt(3)
	v_pk_mul_f32 v[10:11], v[8:9], v[10:11]
	ds_write2st64_b32 v6, v10, v11 offset0:20 offset1:22
	s_waitcnt lgkmcnt(3)
	v_pk_mul_f32 v[10:11], v[8:9], v[14:15]
	ds_write2st64_b32 v6, v10, v11 offset0:24 offset1:26
	s_waitcnt lgkmcnt(2)
	v_pk_mul_f32 v[10:11], v[8:9], v[12:13]
	s_add_i32 s17, s17, 16
	v_cmp_eq_u32_e32 vcc, 0, v5
	ds_write2st64_b32 v6, v10, v11 offset0:28 offset1:30
	v_add_u32_e32 v6, 0x2000, v6
	s_or_b64 s[8:9], vcc, s[8:9]
	v_mov_b32_e32 v7, s17
	s_andn2_b64 exec, exec, s[8:9]
	s_cbranch_execnz .LBB296_803
; %bb.804:
	s_or_b64 exec, exec, s[8:9]
	v_mov_b32_e32 v16, v18
	v_mov_b32_e32 v14, v23
	;; [unrolled: 1-line block ×3, first 2 shown]
.LBB296_805:
	s_or_b64 exec, exec, s[6:7]
	v_and_b32_e32 v4, 7, v4
	v_cmp_ne_u32_e32 vcc, 0, v4
	s_and_saveexec_b64 s[6:7], vcc
	s_cbranch_execz .LBB296_808
; %bb.806:
	scratch_load_dword v6, off, s32 offset:372 ; 4-byte Folded Reload
	s_ashr_i32 s19, s18, 31
	s_lshl_b64 s[8:9], s[18:19], 2
	s_getpc_b64 s[22:23]
	s_add_u32 s22, s22, llvm.amdgcn.dynlds.offset.table@rel32@lo+4
	s_addc_u32 s23, s23, llvm.amdgcn.dynlds.offset.table@rel32@hi+12
	s_add_u32 s8, s8, s22
	s_addc_u32 s9, s9, s23
	s_load_dword s8, s[8:9], 0x0
	v_lshlrev_b32_e32 v5, 9, v7
	s_waitcnt vmcnt(0)
	v_lshlrev_b32_e32 v6, 2, v6
	s_waitcnt lgkmcnt(0)
	v_add3_u32 v5, v5, v6, s8
	s_mov_b64 s[8:9], 0
.LBB296_807:                            ; =>This Inner Loop Header: Depth=1
	ds_read2st64_b32 v[6:7], v5 offset1:2
	v_add_u32_e32 v4, -1, v4
	v_cmp_eq_u32_e32 vcc, 0, v4
	s_or_b64 s[8:9], vcc, s[8:9]
	s_waitcnt lgkmcnt(0)
	v_pk_mul_f32 v[6:7], v[8:9], v[6:7]
	ds_write2st64_b32 v5, v6, v7 offset1:2
	v_add_u32_e32 v5, 0x400, v5
	s_andn2_b64 exec, exec, s[8:9]
	s_cbranch_execnz .LBB296_807
.LBB296_808:
	s_or_b64 exec, exec, s[6:7]
	v_add_u32_e32 v4, 1, v3
	scratch_load_dword v3, off, s32 offset:372 ; 4-byte Folded Reload
	v_and_b32_e32 v5, 0x3fffffe, v4
	v_cmp_ne_u32_e32 vcc, v4, v5
	s_orn2_b64 s[6:7], vcc, exec
	s_waitcnt vmcnt(0)
	v_lshl_add_u32 v3, v5, 7, v3
.LBB296_809:
	s_or_b64 exec, exec, s[4:5]
	s_and_b64 exec, exec, s[6:7]
	s_cbranch_execz .LBB296_812
; %bb.810:
	s_ashr_i32 s19, s18, 31
	s_lshl_b64 s[4:5], s[18:19], 2
	s_getpc_b64 s[6:7]
	s_add_u32 s6, s6, llvm.amdgcn.dynlds.offset.table@rel32@lo+4
	s_addc_u32 s7, s7, llvm.amdgcn.dynlds.offset.table@rel32@hi+12
	s_add_u32 s4, s4, s6
	s_addc_u32 s5, s5, s7
	s_load_dword s4, s[4:5], 0x0
	s_waitcnt lgkmcnt(0)
	v_lshl_add_u32 v4, v3, 2, s4
	s_mov_b64 s[4:5], 0
.LBB296_811:                            ; =>This Inner Loop Header: Depth=1
	ds_read_b32 v5, v4
	v_add_u32_e32 v3, 0x80, v3
	v_cmp_ge_i32_e32 vcc, v3, v1
	s_or_b64 s[4:5], vcc, s[4:5]
	s_waitcnt lgkmcnt(0)
	v_mul_f32_e32 v5, v8, v5
	ds_write_b32 v4, v5
	v_add_u32_e32 v4, 0x200, v4
	s_andn2_b64 exec, exec, s[4:5]
	s_cbranch_execnz .LBB296_811
.LBB296_812:
	s_or_b64 exec, exec, s[2:3]
	s_waitcnt lgkmcnt(0)
	s_barrier
	scratch_load_dword v1, off, s32 offset:372 ; 4-byte Folded Reload
	v_cmp_ne_u16_e64 s[2:3], s24, 0
	s_cmp_lg_u64 s[2:3], 0
	s_addc_u32 s17, s13, 0
	s_mul_i32 s2, s17, s20
	s_mul_i32 s2, s2, s15
	s_waitcnt vmcnt(0)
	v_cmp_eq_u32_e32 vcc, 0, v1
	s_and_saveexec_b64 s[4:5], vcc
	s_cbranch_execz .LBB296_814
; %bb.813:
	s_mul_i32 s8, s17, s12
	s_ashr_i32 s3, s2, 31
	s_ashr_i32 s9, s8, 31
	;; [unrolled: 1-line block ×3, first 2 shown]
	s_lshl_b64 s[6:7], s[2:3], 2
	s_lshl_b64 s[8:9], s[8:9], 2
	;; [unrolled: 1-line block ×3, first 2 shown]
	s_add_u32 s3, s12, s8
	s_addc_u32 s8, s13, s9
	s_add_u32 s6, s3, s6
	s_addc_u32 s7, s8, s7
	v_lshl_add_u64 v[4:5], s[6:7], 0, v[38:39]
	flat_store_dword v[4:5], v0
	v_lshl_add_u64 v[0:1], s[6:7], 0, v[26:27]
	flat_store_dword v[0:1], v2
.LBB296_814:
	s_or_b64 exec, exec, s[4:5]
	scratch_load_dword v0, off, s32 offset:372 ; 4-byte Folded Reload
	s_ashr_i32 s19, s18, 31
	s_lshl_b64 s[4:5], s[18:19], 2
	s_getpc_b64 s[6:7]
	s_add_u32 s6, s6, llvm.amdgcn.dynlds.offset.table@rel32@lo+4
	s_addc_u32 s7, s7, llvm.amdgcn.dynlds.offset.table@rel32@hi+12
	s_add_u32 s4, s4, s6
	s_addc_u32 s5, s5, s7
	v_mov_b32_e32 v34, 0
	v_mov_b32_e32 v35, 0
	;; [unrolled: 1-line block ×11, first 2 shown]
	s_waitcnt vmcnt(0)
	v_and_b32_e32 v0, 3, v0
	v_accvgpr_write_b32 a20, v0
	v_mov_b32_e32 v0, 0
	s_and_saveexec_b64 s[6:7], s[0:1]
	s_cbranch_execz .LBB296_1612
; %bb.815:
	v_and_b32_e32 v0, 24, v20
	v_accvgpr_write_b32 a21, v0
	v_lshl_add_u64 v[0:1], v[24:25], 0, v[28:29]
	v_accvgpr_write_b32 a23, v1
	v_accvgpr_write_b32 a22, v0
	v_add_u32_e32 v0, -1, v22
	v_accvgpr_write_b32 a24, v0
	scratch_load_dword v0, off, s32 offset:428 ; 4-byte Folded Reload
	v_mov_b32_e32 v29, 0
	v_and_b32_e32 v2, 0x1f8, v20
	v_mov_b32_e32 v5, v29
	v_mov_b32_e32 v3, v29
	v_or_b32_e32 v4, 0x1000, v2
	v_accvgpr_write_b32 a29, v5
	v_accvgpr_write_b32 a28, v4
	v_or_b32_e32 v4, 0x1200, v2
	v_accvgpr_write_b32 a31, v5
	v_accvgpr_write_b32 a27, v3
	;; [unrolled: 1-line block ×3, first 2 shown]
	v_or_b32_e32 v4, 0x1400, v2
	v_accvgpr_write_b32 a26, v2
	v_or_b32_e32 v2, 0x1600, v2
	v_accvgpr_write_b32 a35, v3
	v_accvgpr_write_b32 a34, v2
	scratch_load_dwordx2 v[2:3], off, s32 offset:432 ; 8-byte Folded Reload
	s_load_dword s0, s[4:5], 0x0
	v_accvgpr_write_b32 a19, v15
	v_accvgpr_write_b32 a18, v14
	;; [unrolled: 1-line block ×5, first 2 shown]
	v_accvgpr_read_b32 v7, a8
	s_mov_b64 s[8:9], 0
	s_movk_i32 s3, 0x7f
	s_movk_i32 s15, 0x80
	s_mov_b32 s24, 0x8000
	s_movk_i32 s25, 0x380
	s_mov_b32 s26, 0x3020706
	s_mov_b32 s27, 0x1000504
	;; [unrolled: 1-line block ×3, first 2 shown]
	v_mov_b32_e32 v49, 0
	v_mov_b32_e32 v48, 0
	;; [unrolled: 1-line block ×8, first 2 shown]
	s_waitcnt vmcnt(0)
	v_max_i32_e32 v17, v0, v21
	v_cvt_f32_u32_e32 v0, v17
	v_sub_u32_e32 v1, 0, v17
	v_rcp_iflag_f32_e32 v0, v0
	s_nop 0
	v_mul_f32_e32 v0, 0x4f7ffffe, v0
	v_cvt_u32_f32_e32 v0, v0
	v_mul_lo_u32 v1, v1, v0
	v_mul_hi_u32 v1, v0, v1
	v_add_u32_e32 v0, v0, v1
	v_accvgpr_write_b32 a36, v0
	v_accvgpr_read_b32 v0, a12
	v_accvgpr_read_b32 v1, a13
	v_lshlrev_b64 v[0:1], 2, v[0:1]
	v_lshl_add_u64 v[0:1], v[32:33], 2, v[0:1]
	v_lshl_add_u64 v[14:15], v[2:3], 0, v[0:1]
	v_accvgpr_read_b32 v0, a20
	v_lshlrev_b32_e32 v0, 5, v0
	v_lshl_or_b32 v0, v19, 7, v0
	s_waitcnt lgkmcnt(0)
	v_add_u32_e32 v5, s0, v0
	v_mov_b32_e32 v19, 0x1c00
	v_mov_b32_e32 v1, 0
	v_mov_b32_e32 v0, 0
	v_mov_b32_e32 v3, 0
	v_mov_b32_e32 v2, 0
	s_branch .LBB296_818
.LBB296_816:                            ;   in Loop: Header=BB296_818 Depth=1
	s_or_b64 exec, exec, s[0:1]
	v_add_f32_e32 v4, v23, v24
	v_add_f32_e32 v0, v0, v4
	;; [unrolled: 1-line block ×18, first 2 shown]
	v_accvgpr_read_b32 v4, a25
	v_accvgpr_read_b32 v6, a37
	v_add_f32_e32 v4, v4, v6
	v_add_f32_e32 v35, v35, v4
	v_accvgpr_read_b32 v4, a16
	v_accvgpr_read_b32 v6, a17
	v_add_f32_e32 v4, v4, v6
	v_add_f32_e32 v34, v34, v4
	;;#ASMSTART
	v_pk_mul_f16 v4, v50, v53;

	;;#ASMEND
	;;#ASMSTART
	v_pk_mul_f16 v6, v56, v28;

	;;#ASMEND
	;; [unrolled: 4-line block ×4, first 2 shown]
	s_nop 0
	;;#ASMSTART
	v_pk_add_f16 v4, v4, v6;

	;;#ASMEND
	s_nop 0
	;;#ASMSTART
	v_pk_add_f16 v4, v4, v10;

	;;#ASMEND
	;; [unrolled: 5-line block ×3, first 2 shown]
	s_nop 0
	v_lshrrev_b32_e32 v6, 16, v4
	v_and_b32_e32 v4, 0xffff, v4
	;;#ASMSTART
	v_cvt_f32_f16 v4, v4;
	;;#ASMEND
	;;#ASMSTART
	v_cvt_f32_f16 v6, v6;
	;;#ASMEND
	s_nop 0
	v_add_f32_e32 v4, v4, v6
	v_add_f32_e32 v1, v1, v4
.LBB296_817:                            ;   in Loop: Header=BB296_818 Depth=1
	s_or_b64 exec, exec, s[12:13]
	scratch_load_dword v4, off, s32 offset:204 ; 4-byte Folded Reload
	v_accvgpr_read_b32 v6, a12
	v_add_u32_e32 v6, 2, v6
	v_accvgpr_read_b32 v16, a13
	v_lshl_add_u64 v[14:15], v[14:15], 0, 8
	v_add_u32_e32 v16, 64, v16
	v_accvgpr_write_b32 a12, v6
	v_add_u32_e32 v5, 0x100, v5
	s_waitcnt vmcnt(0)
	v_cmp_ge_i32_e32 vcc, v6, v4
	s_or_b64 s[8:9], vcc, s[8:9]
	s_andn2_b64 exec, exec, s[8:9]
	s_cbranch_execz .LBB296_1611
.LBB296_818:                            ; =>This Inner Loop Header: Depth=1
	scratch_load_dword v6, off, s32 offset:200 ; 4-byte Folded Reload
	v_ashrrev_i32_e32 v4, 31, v16
	scratch_load_dword v10, off, s32 offset:216 ; 4-byte Folded Reload
	v_accvgpr_write_b32 a13, v16
	s_waitcnt vmcnt(1)
	v_xor_b32_e32 v4, v4, v6
	v_sub_u32_e32 v6, 0, v16
	v_max_i32_e32 v6, v16, v6
	scratch_load_dword v16, off, s32 offset:196 ; 4-byte Folded Reload
	s_waitcnt vmcnt(1)
	v_mul_hi_u32 v10, v6, v10
	s_waitcnt vmcnt(0)
	v_mul_lo_u32 v11, v10, v16
	v_sub_u32_e32 v6, v6, v11
	v_add_u32_e32 v11, 1, v10
	v_cmp_ge_u32_e32 vcc, v6, v16
	s_nop 1
	v_cndmask_b32_e32 v10, v10, v11, vcc
	v_sub_u32_e32 v11, v6, v16
	v_cndmask_b32_e32 v6, v6, v11, vcc
	v_add_u32_e32 v11, 1, v10
	v_cmp_ge_u32_e32 vcc, v6, v16
	v_accvgpr_read_b32 v16, a36
	s_nop 0
	v_cndmask_b32_e32 v6, v10, v11, vcc
	scratch_load_dwordx2 v[10:11], off, s32 offset:208 ; 8-byte Folded Reload
	v_xor_b32_e32 v6, v6, v4
	v_sub_u32_e32 v4, v6, v4
	s_waitcnt vmcnt(0)
	v_add_u32_e32 v6, v4, v10
	v_sub_u32_e32 v11, 0, v6
	v_ashrrev_i32_e32 v10, 31, v6
	v_max_i32_e32 v6, v6, v11
	v_mul_hi_u32 v11, v6, v16
	v_mul_lo_u32 v11, v11, v17
	v_sub_u32_e32 v6, v6, v11
	v_sub_u32_e32 v11, v6, v17
	v_cmp_ge_u32_e32 vcc, v6, v17
	s_nop 1
	v_cndmask_b32_e32 v6, v6, v11, vcc
	v_sub_u32_e32 v11, v6, v17
	v_cmp_ge_u32_e32 vcc, v6, v17
	s_nop 1
	v_cndmask_b32_e32 v6, v6, v11, vcc
	v_xor_b32_e32 v6, v6, v10
	v_sub_u32_e32 v6, v6, v10
	v_cmp_eq_u32_e32 vcc, 0, v6
	scratch_load_dword v6, off, s32 offset:220 ; 4-byte Folded Reload
	s_waitcnt vmcnt(0)
	v_cmp_gt_i32_e64 s[0:1], v4, v6
	s_or_b64 s[0:1], vcc, s[0:1]
	s_and_saveexec_b64 s[12:13], s[0:1]
	s_cbranch_execz .LBB296_817
; %bb.819:                              ;   in Loop: Header=BB296_818 Depth=1
	ds_read2_b64 v[20:23], v5 offset1:1
	ds_read2_b64 v[24:27], v5 offset0:2 offset1:3
                                        ; implicit-def: $sgpr22
	s_waitcnt lgkmcnt(1)
	;;#ASMSTART
	v_cvt_f16_f32 v6, v20;

	;;#ASMEND
	;;#ASMSTART
	v_cvt_f16_f32 v11, v21;

	;;#ASMEND
	;; [unrolled: 4-line block ×4, first 2 shown]
	s_waitcnt lgkmcnt(0)
	;;#ASMSTART
	v_cvt_f16_f32 v20, v24;

	;;#ASMEND
	;;#ASMSTART
	v_cvt_f16_f32 v21, v25;

	;;#ASMEND
	;; [unrolled: 4-line block ×4, first 2 shown]
	flat_load_dword v4, v[14:15]
	scratch_load_dwordx2 v[26:27], off, s32 offset:340 ; 8-byte Folded Reload
	v_accvgpr_read_b32 v25, a23
	v_accvgpr_read_b32 v24, a22
	s_waitcnt vmcnt(0) lgkmcnt(0)
	v_mad_i64_i32 v[32:33], s[0:1], v4, v26, v[24:25]
	v_accvgpr_read_b32 v24, a26
	v_accvgpr_read_b32 v25, a27
	v_lshl_add_u64 v[52:53], v[32:33], 0, v[24:25]
	v_accvgpr_read_b32 v25, a5
	flat_load_dwordx2 v[40:41], v[52:53]
	v_accvgpr_read_b32 v24, a4
	flat_load_dword v54, v[24:25]
	s_mov_b64 s[0:1], 0
	s_waitcnt vmcnt(0) lgkmcnt(0)
	v_cmp_gt_i16_sdwa s[18:19], v40, s3 src0_sel:BYTE_0 src1_sel:DWORD
	s_and_saveexec_b64 s[20:21], s[18:19]
	s_xor_b64 s[18:19], exec, s[20:21]
	s_cbranch_execnz .LBB296_1227
; %bb.820:                              ;   in Loop: Header=BB296_818 Depth=1
	s_or_saveexec_b64 s[18:19], s[18:19]
	v_mov_b32_e32 v42, s22
	s_xor_b64 exec, exec, s[18:19]
	s_cbranch_execnz .LBB296_1230
.LBB296_821:                            ;   in Loop: Header=BB296_818 Depth=1
	s_or_b64 exec, exec, s[18:19]
	s_and_saveexec_b64 s[18:19], s[0:1]
	s_cbranch_execz .LBB296_823
.LBB296_822:                            ;   in Loop: Header=BB296_818 Depth=1
	v_and_b32_e32 v4, 7, v40
	v_ffbh_u32_e32 v4, v4
	v_bfe_u32 v10, v40, 3, 4
	v_min_u32_e32 v4, 32, v4
	v_subrev_u32_e32 v24, 28, v4
	v_sub_u32_e32 v4, 29, v4
	v_cmp_eq_u32_e32 vcc, 0, v10
	s_nop 1
	v_cndmask_b32_e32 v4, v10, v4, vcc
	v_cndmask_b32_e32 v10, 0, v24, vcc
	v_lshlrev_b64 v[24:25], v10, v[40:41]
	v_lshlrev_b32_e32 v10, 7, v24
	v_lshlrev_b32_e32 v24, 8, v40
	v_lshl_add_u32 v4, v4, 10, v19
	v_and_or_b32 v4, v24, s24, v4
	v_and_or_b32 v4, v10, s25, v4
	v_cvt_f32_f16_e32 v42, v4
.LBB296_823:                            ;   in Loop: Header=BB296_818 Depth=1
	s_or_b64 exec, exec, s[18:19]
	v_lshrrev_b16_e32 v28, 8, v40
	v_cmp_lt_i16_e32 vcc, s3, v28
	s_mov_b64 s[0:1], 0
                                        ; implicit-def: $sgpr22
	s_and_saveexec_b64 s[18:19], vcc
	s_xor_b64 s[18:19], exec, s[18:19]
	s_cbranch_execnz .LBB296_1231
; %bb.824:                              ;   in Loop: Header=BB296_818 Depth=1
	s_or_saveexec_b64 s[18:19], s[18:19]
	v_mov_b32_e32 v44, s22
	s_xor_b64 exec, exec, s[18:19]
	s_cbranch_execnz .LBB296_1234
.LBB296_825:                            ;   in Loop: Header=BB296_818 Depth=1
	s_or_b64 exec, exec, s[18:19]
	s_and_saveexec_b64 s[18:19], s[0:1]
	s_cbranch_execz .LBB296_827
.LBB296_826:                            ;   in Loop: Header=BB296_818 Depth=1
	v_and_b32_e32 v4, 7, v28
	v_ffbh_u32_e32 v24, v4
	v_min_u32_e32 v26, 32, v24
	v_subrev_u32_e32 v24, 28, v26
	v_bfe_u32 v10, v28, 3, 4
	v_lshlrev_b64 v[24:25], v24, v[28:29]
	v_sub_u32_e32 v25, 29, v26
	v_cmp_eq_u32_e32 vcc, 0, v10
	v_and_b32_e32 v24, 7, v24
	s_nop 0
	v_cndmask_b32_e32 v10, v10, v25, vcc
	v_cndmask_b32_e32 v4, v4, v24, vcc
	v_lshlrev_b32_e32 v24, 8, v28
	v_lshl_add_u32 v10, v10, 10, v19
	v_and_or_b32 v10, v24, s24, v10
	v_lshl_or_b32 v4, v4, 7, v10
	v_cvt_f32_f16_e32 v44, v4
.LBB296_827:                            ;   in Loop: Header=BB296_818 Depth=1
	s_or_b64 exec, exec, s[18:19]
	v_lshrrev_b32_e32 v28, 16, v40
	v_cmp_gt_i16_sdwa s[18:19], v28, s3 src0_sel:BYTE_0 src1_sel:DWORD
	s_mov_b64 s[0:1], 0
                                        ; implicit-def: $sgpr22
	s_and_saveexec_b64 s[20:21], s[18:19]
	s_xor_b64 s[18:19], exec, s[20:21]
	s_cbranch_execnz .LBB296_1235
; %bb.828:                              ;   in Loop: Header=BB296_818 Depth=1
	s_or_saveexec_b64 s[18:19], s[18:19]
	v_mov_b32_e32 v43, s22
	s_xor_b64 exec, exec, s[18:19]
	s_cbranch_execnz .LBB296_1238
.LBB296_829:                            ;   in Loop: Header=BB296_818 Depth=1
	s_or_b64 exec, exec, s[18:19]
	s_and_saveexec_b64 s[18:19], s[0:1]
	s_cbranch_execz .LBB296_831
.LBB296_830:                            ;   in Loop: Header=BB296_818 Depth=1
	v_bfe_u32 v4, v40, 16, 3
	v_ffbh_u32_e32 v24, v4
	v_min_u32_e32 v26, 32, v24
	v_subrev_u32_e32 v24, 28, v26
	v_bfe_u32 v10, v40, 19, 4
	v_lshlrev_b64 v[24:25], v24, v[28:29]
	v_sub_u32_e32 v25, 29, v26
	v_cmp_eq_u32_e32 vcc, 0, v10
	v_and_b32_e32 v24, 7, v24
	s_nop 0
	v_cndmask_b32_e32 v10, v10, v25, vcc
	v_cndmask_b32_e32 v4, v4, v24, vcc
	v_lshlrev_b32_e32 v24, 8, v28
	v_lshl_add_u32 v10, v10, 10, v19
	v_and_or_b32 v10, v24, s24, v10
	v_lshl_or_b32 v4, v4, 7, v10
	v_cvt_f32_f16_e32 v43, v4
.LBB296_831:                            ;   in Loop: Header=BB296_818 Depth=1
	s_or_b64 exec, exec, s[18:19]
	v_lshrrev_b32_e32 v28, 24, v40
	v_cmp_lt_i16_e32 vcc, s3, v28
	s_mov_b64 s[0:1], 0
                                        ; implicit-def: $sgpr22
	s_and_saveexec_b64 s[18:19], vcc
	s_xor_b64 s[18:19], exec, s[18:19]
	s_cbranch_execnz .LBB296_1239
; %bb.832:                              ;   in Loop: Header=BB296_818 Depth=1
	s_or_saveexec_b64 s[18:19], s[18:19]
	v_mov_b32_e32 v45, s22
	s_xor_b64 exec, exec, s[18:19]
	s_cbranch_execnz .LBB296_1242
.LBB296_833:                            ;   in Loop: Header=BB296_818 Depth=1
	s_or_b64 exec, exec, s[18:19]
	s_and_saveexec_b64 s[18:19], s[0:1]
	s_cbranch_execz .LBB296_835
.LBB296_834:                            ;   in Loop: Header=BB296_818 Depth=1
	v_bfe_u32 v4, v40, 24, 3
	v_ffbh_u32_e32 v24, v4
	v_min_u32_e32 v26, 32, v24
	v_subrev_u32_e32 v24, 28, v26
	v_bfe_u32 v10, v40, 27, 4
	v_lshlrev_b64 v[24:25], v24, v[28:29]
	v_sub_u32_e32 v25, 29, v26
	v_cmp_eq_u32_e32 vcc, 0, v10
	v_and_b32_e32 v24, 7, v24
	s_nop 0
	v_cndmask_b32_e32 v10, v10, v25, vcc
	v_cndmask_b32_e32 v4, v4, v24, vcc
	v_lshlrev_b32_e32 v24, 8, v28
	v_lshl_add_u32 v10, v10, 10, v19
	v_and_or_b32 v10, v24, s24, v10
	v_lshl_or_b32 v4, v4, 7, v10
	v_cvt_f32_f16_e32 v45, v4
.LBB296_835:                            ;   in Loop: Header=BB296_818 Depth=1
	s_or_b64 exec, exec, s[18:19]
	v_cmp_gt_i16_sdwa s[18:19], v41, s3 src0_sel:BYTE_0 src1_sel:DWORD
	s_mov_b64 s[0:1], 0
                                        ; implicit-def: $sgpr22
	s_and_saveexec_b64 s[20:21], s[18:19]
	s_xor_b64 s[18:19], exec, s[20:21]
	s_cbranch_execnz .LBB296_1243
; %bb.836:                              ;   in Loop: Header=BB296_818 Depth=1
	s_or_saveexec_b64 s[18:19], s[18:19]
	v_mov_b32_e32 v4, s22
	s_xor_b64 exec, exec, s[18:19]
	s_cbranch_execnz .LBB296_1246
.LBB296_837:                            ;   in Loop: Header=BB296_818 Depth=1
	s_or_b64 exec, exec, s[18:19]
	v_mov_b32_e32 v28, v41
	s_and_saveexec_b64 s[18:19], s[0:1]
	s_cbranch_execz .LBB296_839
.LBB296_838:                            ;   in Loop: Header=BB296_818 Depth=1
	v_and_b32_e32 v4, 7, v41
	v_ffbh_u32_e32 v4, v4
	v_bfe_u32 v10, v41, 3, 4
	v_min_u32_e32 v4, 32, v4
	v_subrev_u32_e32 v24, 28, v4
	v_sub_u32_e32 v4, 29, v4
	v_cmp_eq_u32_e32 vcc, 0, v10
	s_nop 1
	v_cndmask_b32_e32 v4, v10, v4, vcc
	v_cndmask_b32_e32 v10, 0, v24, vcc
	v_lshlrev_b64 v[24:25], v10, v[28:29]
	v_lshlrev_b32_e32 v10, 7, v24
	v_lshlrev_b32_e32 v24, 8, v41
	v_lshl_add_u32 v4, v4, 10, v19
	v_and_or_b32 v4, v24, s24, v4
	v_and_or_b32 v4, v10, s25, v4
	v_cvt_f32_f16_e32 v4, v4
.LBB296_839:                            ;   in Loop: Header=BB296_818 Depth=1
	s_or_b64 exec, exec, s[18:19]
	v_lshrrev_b16_e32 v28, 8, v28
	v_cmp_lt_i16_e32 vcc, s3, v28
	s_mov_b64 s[0:1], 0
                                        ; implicit-def: $sgpr22
	s_and_saveexec_b64 s[18:19], vcc
	s_xor_b64 s[18:19], exec, s[18:19]
	s_cbranch_execnz .LBB296_1247
; %bb.840:                              ;   in Loop: Header=BB296_818 Depth=1
	s_or_saveexec_b64 s[18:19], s[18:19]
	v_mov_b32_e32 v10, s22
	s_xor_b64 exec, exec, s[18:19]
	s_cbranch_execnz .LBB296_1250
.LBB296_841:                            ;   in Loop: Header=BB296_818 Depth=1
	s_or_b64 exec, exec, s[18:19]
	s_and_saveexec_b64 s[18:19], s[0:1]
	s_cbranch_execz .LBB296_843
.LBB296_842:                            ;   in Loop: Header=BB296_818 Depth=1
	v_and_b32_e32 v10, 7, v28
	v_ffbh_u32_e32 v24, v10
	v_min_u32_e32 v27, 32, v24
	v_subrev_u32_e32 v24, 28, v27
	v_bfe_u32 v26, v28, 3, 4
	v_lshlrev_b64 v[24:25], v24, v[28:29]
	v_sub_u32_e32 v25, 29, v27
	v_cmp_eq_u32_e32 vcc, 0, v26
	v_and_b32_e32 v24, 7, v24
	s_nop 0
	v_cndmask_b32_e32 v25, v26, v25, vcc
	v_cndmask_b32_e32 v10, v10, v24, vcc
	v_lshlrev_b32_e32 v24, 8, v28
	v_lshl_add_u32 v25, v25, 10, v19
	v_and_or_b32 v24, v24, s24, v25
	v_lshl_or_b32 v10, v10, 7, v24
	v_cvt_f32_f16_e32 v10, v10
.LBB296_843:                            ;   in Loop: Header=BB296_818 Depth=1
	s_or_b64 exec, exec, s[18:19]
	v_lshrrev_b32_e32 v28, 16, v41
	v_cmp_gt_i16_sdwa s[18:19], v28, s3 src0_sel:BYTE_0 src1_sel:DWORD
	s_mov_b64 s[0:1], 0
                                        ; implicit-def: $sgpr22
	s_and_saveexec_b64 s[20:21], s[18:19]
	s_xor_b64 s[18:19], exec, s[20:21]
	s_cbranch_execnz .LBB296_1251
; %bb.844:                              ;   in Loop: Header=BB296_818 Depth=1
	s_or_saveexec_b64 s[18:19], s[18:19]
	v_mov_b32_e32 v24, s22
	s_xor_b64 exec, exec, s[18:19]
	s_cbranch_execnz .LBB296_1254
.LBB296_845:                            ;   in Loop: Header=BB296_818 Depth=1
	s_or_b64 exec, exec, s[18:19]
	s_and_saveexec_b64 s[18:19], s[0:1]
	s_cbranch_execz .LBB296_847
.LBB296_846:                            ;   in Loop: Header=BB296_818 Depth=1
	v_bfe_u32 v26, v41, 16, 3
	v_ffbh_u32_e32 v24, v26
	v_min_u32_e32 v36, 32, v24
	v_subrev_u32_e32 v24, 28, v36
	v_bfe_u32 v27, v41, 19, 4
	v_lshlrev_b64 v[24:25], v24, v[28:29]
	v_sub_u32_e32 v25, 29, v36
	v_cmp_eq_u32_e32 vcc, 0, v27
	v_and_b32_e32 v24, 7, v24
	s_nop 0
	v_cndmask_b32_e32 v25, v27, v25, vcc
	v_cndmask_b32_e32 v24, v26, v24, vcc
	v_lshlrev_b32_e32 v26, 8, v28
	v_lshl_add_u32 v25, v25, 10, v19
	v_and_or_b32 v25, v26, s24, v25
	v_lshl_or_b32 v24, v24, 7, v25
	v_cvt_f32_f16_e32 v24, v24
.LBB296_847:                            ;   in Loop: Header=BB296_818 Depth=1
	s_or_b64 exec, exec, s[18:19]
	v_lshrrev_b32_e32 v28, 24, v41
	v_cmp_lt_i16_e32 vcc, s3, v28
	s_mov_b64 s[0:1], 0
                                        ; implicit-def: $sgpr22
	s_and_saveexec_b64 s[18:19], vcc
	s_xor_b64 s[18:19], exec, s[18:19]
	s_cbranch_execnz .LBB296_1255
; %bb.848:                              ;   in Loop: Header=BB296_818 Depth=1
	s_or_saveexec_b64 s[18:19], s[18:19]
	v_mov_b32_e32 v36, s22
	s_xor_b64 exec, exec, s[18:19]
	s_cbranch_execnz .LBB296_1258
.LBB296_849:                            ;   in Loop: Header=BB296_818 Depth=1
	s_or_b64 exec, exec, s[18:19]
	s_and_saveexec_b64 s[18:19], s[0:1]
	s_cbranch_execz .LBB296_851
.LBB296_850:                            ;   in Loop: Header=BB296_818 Depth=1
	v_bfe_u32 v25, v41, 24, 3
	v_ffbh_u32_e32 v26, v25
	v_min_u32_e32 v37, 32, v26
	v_subrev_u32_e32 v26, 28, v37
	v_bfe_u32 v36, v41, 27, 4
	v_lshlrev_b64 v[26:27], v26, v[28:29]
	v_sub_u32_e32 v27, 29, v37
	v_cmp_eq_u32_e32 vcc, 0, v36
	v_and_b32_e32 v26, 7, v26
	s_nop 0
	v_cndmask_b32_e32 v27, v36, v27, vcc
	v_cndmask_b32_e32 v25, v25, v26, vcc
	v_lshlrev_b32_e32 v26, 8, v28
	v_lshl_add_u32 v27, v27, 10, v19
	v_and_or_b32 v26, v26, s24, v27
	v_lshl_or_b32 v25, v25, 7, v26
	v_cvt_f32_f16_e32 v36, v25
.LBB296_851:                            ;   in Loop: Header=BB296_818 Depth=1
	s_or_b64 exec, exec, s[18:19]
	v_pk_mul_f32 v[26:27], v[54:55], v[44:45] op_sel_hi:[0,1]
	v_pk_mul_f32 v[38:39], v[54:55], v[42:43] op_sel_hi:[0,1]
	v_cvt_f16_f32_e32 v25, v27
	v_cvt_f16_f32_e32 v26, v26
	;; [unrolled: 1-line block ×4, first 2 shown]
	v_fma_mixlo_f16 v10, v54, v10, 0
	v_pack_b32_f16 v26, v26, v25
	v_lshlrev_b32_e32 v10, 16, v10
	v_pack_b32_f16 v27, v28, v27
	v_fma_mixlo_f16 v4, v54, v4, 0
	v_accvgpr_read_b32 v37, a13
	v_accvgpr_read_b32 v30, a21
	v_perm_b32 v25, v27, v26, s26
	v_perm_b32 v26, v27, v26, s27
	v_or_b32_sdwa v27, v10, v4 dst_sel:DWORD dst_unused:UNUSED_PAD src0_sel:DWORD src1_sel:WORD_0
	v_fma_mixlo_f16 v4, v54, v36, 0
	v_add_u32_e32 v62, v30, v37
	v_accvgpr_read_b32 v38, a12
	v_accvgpr_read_b32 v30, a24
	v_fma_mixlo_f16 v28, v54, v24, 0
	v_lshlrev_b32_e32 v4, 16, v4
	v_cmp_eq_u32_e32 vcc, v30, v38
	v_or_b32_sdwa v24, v4, v28 dst_sel:DWORD dst_unused:UNUSED_PAD src0_sel:DWORD src1_sel:WORD_0
	v_add_u32_e32 v10, 1, v62
	v_or_b32_e32 v57, 3, v62
	v_or_b32_e32 v60, 2, v62
	;; [unrolled: 1-line block ×6, first 2 shown]
	s_and_saveexec_b64 s[18:19], vcc
	s_cbranch_execz .LBB296_853
; %bb.852:                              ;   in Loop: Header=BB296_818 Depth=1
	v_lshrrev_b32_e32 v36, 16, v26
	v_cmp_lt_i32_e64 s[0:1], v10, v7
	v_accvgpr_read_b32 v38, a8
	v_lshrrev_b32_e32 v24, 16, v24
	v_cndmask_b32_e64 v36, 0, v36, s[0:1]
	v_cmp_lt_i32_e64 s[0:1], v62, v38
	s_nop 1
	v_cndmask_b32_e64 v26, 0, v26, s[0:1]
	v_perm_b32 v26, v36, v26, s28
	v_lshrrev_b32_e32 v36, 16, v25
	v_cmp_lt_i32_e64 s[0:1], v57, v7
	s_nop 1
	v_cndmask_b32_e64 v36, 0, v36, s[0:1]
	v_cmp_lt_i32_e64 s[0:1], v60, v38
	s_nop 1
	v_cndmask_b32_e64 v25, 0, v25, s[0:1]
	v_perm_b32 v25, v36, v25, s28
	v_lshrrev_b32_e32 v36, 16, v27
	v_cmp_lt_i32_e64 s[0:1], v59, v7
	s_nop 1
	v_cndmask_b32_e64 v36, 0, v36, s[0:1]
	v_cmp_lt_i32_e64 s[0:1], v61, v38
	s_nop 1
	v_cndmask_b32_e64 v27, 0, v27, s[0:1]
	v_cmp_lt_i32_e64 s[0:1], v58, v7
	v_perm_b32 v27, v36, v27, s28
	s_nop 0
	v_cndmask_b32_e64 v24, 0, v24, s[0:1]
	v_cmp_lt_i32_e64 s[0:1], v4, v38
	s_nop 1
	v_cndmask_b32_e64 v28, 0, v28, s[0:1]
	v_perm_b32 v24, v24, v28, s28
.LBB296_853:                            ;   in Loop: Header=BB296_818 Depth=1
	s_or_b64 exec, exec, s[18:19]
	v_and_b32_e32 v6, 0xffff, v6
	v_lshl_or_b32 v50, v11, 16, v6
	v_and_b32_e32 v6, 0xffff, v16
	v_lshl_or_b32 v56, v18, 16, v6
	;; [unrolled: 2-line block ×4, first 2 shown]
	;;#ASMSTART
	v_pk_mul_f16 v6, v50, v26;

	;;#ASMEND
	;;#ASMSTART
	v_pk_mul_f16 v11, v56, v25;

	;;#ASMEND
	;;#ASMSTART
	v_pk_mul_f16 v16, v47, v27;

	;;#ASMEND
	;;#ASMSTART
	v_pk_mul_f16 v18, v46, v24;

	;;#ASMEND
	v_accvgpr_read_b32 v21, a5
	;;#ASMSTART
	v_pk_add_f16 v6, v6, v11;

	;;#ASMEND
	v_accvgpr_read_b32 v20, a4
	;;#ASMSTART
	v_pk_add_f16 v6, v6, v16;

	;;#ASMEND
	s_mov_b64 s[0:1], 0
	;;#ASMSTART
	v_pk_add_f16 v6, v6, v18;

	;;#ASMEND
                                        ; implicit-def: $sgpr22
	s_nop 0
	v_lshrrev_b32_e32 v11, 16, v6
	v_and_b32_e32 v6, 0xffff, v6
	;;#ASMSTART
	v_cvt_f32_f16 v6, v6;
	;;#ASMEND
	s_nop 0
	v_accvgpr_write_b32 a16, v6
	;;#ASMSTART
	v_cvt_f32_f16 v6, v11;
	;;#ASMEND
	flat_load_dwordx2 v[40:41], v[52:53] offset:512
	flat_load_dword v54, v[20:21]
	v_accvgpr_write_b32 a17, v6
	s_waitcnt vmcnt(0) lgkmcnt(0)
	v_cmp_gt_i16_sdwa s[18:19], v40, s3 src0_sel:BYTE_0 src1_sel:DWORD
	s_and_saveexec_b64 s[20:21], s[18:19]
	s_xor_b64 s[18:19], exec, s[20:21]
	s_cbranch_execnz .LBB296_1259
; %bb.854:                              ;   in Loop: Header=BB296_818 Depth=1
	s_or_saveexec_b64 s[18:19], s[18:19]
	v_mov_b32_e32 v42, s22
	s_xor_b64 exec, exec, s[18:19]
	s_cbranch_execnz .LBB296_1262
.LBB296_855:                            ;   in Loop: Header=BB296_818 Depth=1
	s_or_b64 exec, exec, s[18:19]
	s_and_saveexec_b64 s[18:19], s[0:1]
	s_cbranch_execz .LBB296_857
.LBB296_856:                            ;   in Loop: Header=BB296_818 Depth=1
	v_and_b32_e32 v6, 7, v40
	v_ffbh_u32_e32 v6, v6
	v_bfe_u32 v11, v40, 3, 4
	v_min_u32_e32 v6, 32, v6
	v_subrev_u32_e32 v16, 28, v6
	v_sub_u32_e32 v6, 29, v6
	v_cmp_eq_u32_e64 s[0:1], 0, v11
	s_nop 1
	v_cndmask_b32_e64 v6, v11, v6, s[0:1]
	v_cndmask_b32_e64 v11, 0, v16, s[0:1]
	v_lshlrev_b64 v[20:21], v11, v[40:41]
	v_lshlrev_b32_e32 v16, 8, v40
	v_lshl_add_u32 v6, v6, 10, v19
	v_lshlrev_b32_e32 v11, 7, v20
	v_and_or_b32 v6, v16, s24, v6
	v_and_or_b32 v6, v11, s25, v6
	v_cvt_f32_f16_e32 v42, v6
.LBB296_857:                            ;   in Loop: Header=BB296_818 Depth=1
	s_or_b64 exec, exec, s[18:19]
	v_lshrrev_b16_e32 v28, 8, v40
	v_cmp_lt_i16_e64 s[0:1], s3, v28
	s_mov_b64 s[18:19], 0
                                        ; implicit-def: $sgpr29
	s_and_saveexec_b64 s[20:21], s[0:1]
	s_xor_b64 s[20:21], exec, s[20:21]
	s_cbranch_execnz .LBB296_1263
; %bb.858:                              ;   in Loop: Header=BB296_818 Depth=1
	s_or_saveexec_b64 s[20:21], s[20:21]
	v_mov_b32_e32 v44, s29
	s_xor_b64 exec, exec, s[20:21]
	s_cbranch_execnz .LBB296_1266
.LBB296_859:                            ;   in Loop: Header=BB296_818 Depth=1
	s_or_b64 exec, exec, s[20:21]
	s_and_saveexec_b64 s[20:21], s[18:19]
	s_cbranch_execz .LBB296_861
.LBB296_860:                            ;   in Loop: Header=BB296_818 Depth=1
	v_and_b32_e32 v6, 7, v28
	v_ffbh_u32_e32 v16, v6
	v_bfe_u32 v11, v28, 3, 4
	v_min_u32_e32 v16, 32, v16
	v_subrev_u32_e32 v18, 28, v16
	v_sub_u32_e32 v16, 29, v16
	v_cmp_eq_u32_e64 s[0:1], 0, v11
	v_lshlrev_b64 v[20:21], v18, v[28:29]
	v_and_b32_e32 v18, 7, v20
	v_cndmask_b32_e64 v11, v11, v16, s[0:1]
	v_lshlrev_b32_e32 v16, 8, v28
	v_lshl_add_u32 v11, v11, 10, v19
	v_cndmask_b32_e64 v6, v6, v18, s[0:1]
	v_and_or_b32 v11, v16, s24, v11
	v_lshl_or_b32 v6, v6, 7, v11
	v_cvt_f32_f16_e32 v44, v6
.LBB296_861:                            ;   in Loop: Header=BB296_818 Depth=1
	s_or_b64 exec, exec, s[20:21]
	v_lshrrev_b32_e32 v28, 16, v40
	v_cmp_gt_i16_sdwa s[18:19], v28, s3 src0_sel:BYTE_0 src1_sel:DWORD
	s_mov_b64 s[0:1], 0
                                        ; implicit-def: $sgpr22
	s_and_saveexec_b64 s[20:21], s[18:19]
	s_xor_b64 s[18:19], exec, s[20:21]
	s_cbranch_execnz .LBB296_1267
; %bb.862:                              ;   in Loop: Header=BB296_818 Depth=1
	s_or_saveexec_b64 s[18:19], s[18:19]
	v_mov_b32_e32 v43, s22
	s_xor_b64 exec, exec, s[18:19]
	s_cbranch_execnz .LBB296_1270
.LBB296_863:                            ;   in Loop: Header=BB296_818 Depth=1
	s_or_b64 exec, exec, s[18:19]
	s_and_saveexec_b64 s[18:19], s[0:1]
	s_cbranch_execz .LBB296_865
.LBB296_864:                            ;   in Loop: Header=BB296_818 Depth=1
	v_bfe_u32 v6, v40, 16, 3
	v_ffbh_u32_e32 v16, v6
	v_bfe_u32 v11, v40, 19, 4
	v_min_u32_e32 v16, 32, v16
	v_subrev_u32_e32 v18, 28, v16
	v_sub_u32_e32 v16, 29, v16
	v_cmp_eq_u32_e64 s[0:1], 0, v11
	v_lshlrev_b64 v[20:21], v18, v[28:29]
	v_and_b32_e32 v18, 7, v20
	v_cndmask_b32_e64 v11, v11, v16, s[0:1]
	v_lshlrev_b32_e32 v16, 8, v28
	v_lshl_add_u32 v11, v11, 10, v19
	v_cndmask_b32_e64 v6, v6, v18, s[0:1]
	v_and_or_b32 v11, v16, s24, v11
	v_lshl_or_b32 v6, v6, 7, v11
	v_cvt_f32_f16_e32 v43, v6
.LBB296_865:                            ;   in Loop: Header=BB296_818 Depth=1
	s_or_b64 exec, exec, s[18:19]
	v_lshrrev_b32_e32 v28, 24, v40
	v_cmp_lt_i16_e64 s[0:1], s3, v28
	s_mov_b64 s[18:19], 0
                                        ; implicit-def: $sgpr29
	s_and_saveexec_b64 s[20:21], s[0:1]
	s_xor_b64 s[20:21], exec, s[20:21]
	s_cbranch_execnz .LBB296_1271
; %bb.866:                              ;   in Loop: Header=BB296_818 Depth=1
	s_or_saveexec_b64 s[20:21], s[20:21]
	v_mov_b32_e32 v45, s29
	s_xor_b64 exec, exec, s[20:21]
	s_cbranch_execnz .LBB296_1274
.LBB296_867:                            ;   in Loop: Header=BB296_818 Depth=1
	s_or_b64 exec, exec, s[20:21]
	s_and_saveexec_b64 s[20:21], s[18:19]
	s_cbranch_execz .LBB296_869
.LBB296_868:                            ;   in Loop: Header=BB296_818 Depth=1
	v_bfe_u32 v6, v40, 24, 3
	v_ffbh_u32_e32 v16, v6
	v_bfe_u32 v11, v40, 27, 4
	v_min_u32_e32 v16, 32, v16
	v_subrev_u32_e32 v18, 28, v16
	v_sub_u32_e32 v16, 29, v16
	v_cmp_eq_u32_e64 s[0:1], 0, v11
	v_lshlrev_b64 v[20:21], v18, v[28:29]
	v_and_b32_e32 v18, 7, v20
	v_cndmask_b32_e64 v11, v11, v16, s[0:1]
	v_lshlrev_b32_e32 v16, 8, v28
	v_lshl_add_u32 v11, v11, 10, v19
	v_cndmask_b32_e64 v6, v6, v18, s[0:1]
	v_and_or_b32 v11, v16, s24, v11
	v_lshl_or_b32 v6, v6, 7, v11
	v_cvt_f32_f16_e32 v45, v6
.LBB296_869:                            ;   in Loop: Header=BB296_818 Depth=1
	s_or_b64 exec, exec, s[20:21]
	v_cmp_gt_i16_sdwa s[18:19], v41, s3 src0_sel:BYTE_0 src1_sel:DWORD
	s_mov_b64 s[0:1], 0
                                        ; implicit-def: $sgpr22
	s_and_saveexec_b64 s[20:21], s[18:19]
	s_xor_b64 s[18:19], exec, s[20:21]
	s_cbranch_execnz .LBB296_1275
; %bb.870:                              ;   in Loop: Header=BB296_818 Depth=1
	s_or_saveexec_b64 s[18:19], s[18:19]
	v_mov_b32_e32 v6, s22
	s_xor_b64 exec, exec, s[18:19]
	s_cbranch_execnz .LBB296_1278
.LBB296_871:                            ;   in Loop: Header=BB296_818 Depth=1
	s_or_b64 exec, exec, s[18:19]
	v_mov_b32_e32 v28, v41
	s_and_saveexec_b64 s[18:19], s[0:1]
	s_cbranch_execz .LBB296_873
.LBB296_872:                            ;   in Loop: Header=BB296_818 Depth=1
	v_and_b32_e32 v6, 7, v41
	v_ffbh_u32_e32 v6, v6
	v_bfe_u32 v11, v41, 3, 4
	v_min_u32_e32 v6, 32, v6
	v_subrev_u32_e32 v16, 28, v6
	v_sub_u32_e32 v6, 29, v6
	v_cmp_eq_u32_e64 s[0:1], 0, v11
	s_nop 1
	v_cndmask_b32_e64 v6, v11, v6, s[0:1]
	v_cndmask_b32_e64 v11, 0, v16, s[0:1]
	v_lshlrev_b64 v[20:21], v11, v[28:29]
	v_lshlrev_b32_e32 v16, 8, v41
	v_lshl_add_u32 v6, v6, 10, v19
	v_lshlrev_b32_e32 v11, 7, v20
	v_and_or_b32 v6, v16, s24, v6
	v_and_or_b32 v6, v11, s25, v6
	v_cvt_f32_f16_e32 v6, v6
.LBB296_873:                            ;   in Loop: Header=BB296_818 Depth=1
	s_or_b64 exec, exec, s[18:19]
	v_lshrrev_b16_e32 v28, 8, v28
	v_cmp_lt_i16_e64 s[0:1], s3, v28
	s_mov_b64 s[18:19], 0
                                        ; implicit-def: $sgpr29
	s_and_saveexec_b64 s[20:21], s[0:1]
	s_xor_b64 s[20:21], exec, s[20:21]
	s_cbranch_execnz .LBB296_1279
; %bb.874:                              ;   in Loop: Header=BB296_818 Depth=1
	s_or_saveexec_b64 s[20:21], s[20:21]
	v_mov_b32_e32 v11, s29
	s_xor_b64 exec, exec, s[20:21]
	s_cbranch_execnz .LBB296_1282
.LBB296_875:                            ;   in Loop: Header=BB296_818 Depth=1
	s_or_b64 exec, exec, s[20:21]
	s_and_saveexec_b64 s[20:21], s[18:19]
	s_cbranch_execz .LBB296_877
.LBB296_876:                            ;   in Loop: Header=BB296_818 Depth=1
	v_and_b32_e32 v11, 7, v28
	v_ffbh_u32_e32 v18, v11
	v_bfe_u32 v16, v28, 3, 4
	v_min_u32_e32 v18, 32, v18
	v_subrev_u32_e32 v20, 28, v18
	v_sub_u32_e32 v18, 29, v18
	v_cmp_eq_u32_e64 s[0:1], 0, v16
	v_lshlrev_b64 v[20:21], v20, v[28:29]
	v_and_b32_e32 v20, 7, v20
	v_cndmask_b32_e64 v16, v16, v18, s[0:1]
	v_lshlrev_b32_e32 v18, 8, v28
	v_lshl_add_u32 v16, v16, 10, v19
	v_cndmask_b32_e64 v11, v11, v20, s[0:1]
	v_and_or_b32 v16, v18, s24, v16
	v_lshl_or_b32 v11, v11, 7, v16
	v_cvt_f32_f16_e32 v11, v11
.LBB296_877:                            ;   in Loop: Header=BB296_818 Depth=1
	s_or_b64 exec, exec, s[20:21]
	v_lshrrev_b32_e32 v28, 16, v41
	v_cmp_gt_i16_sdwa s[18:19], v28, s3 src0_sel:BYTE_0 src1_sel:DWORD
	s_mov_b64 s[0:1], 0
                                        ; implicit-def: $sgpr22
	s_and_saveexec_b64 s[20:21], s[18:19]
	s_xor_b64 s[18:19], exec, s[20:21]
	s_cbranch_execnz .LBB296_1283
; %bb.878:                              ;   in Loop: Header=BB296_818 Depth=1
	s_or_saveexec_b64 s[18:19], s[18:19]
	v_mov_b32_e32 v16, s22
	s_xor_b64 exec, exec, s[18:19]
	s_cbranch_execnz .LBB296_1286
.LBB296_879:                            ;   in Loop: Header=BB296_818 Depth=1
	s_or_b64 exec, exec, s[18:19]
	s_and_saveexec_b64 s[18:19], s[0:1]
	s_cbranch_execz .LBB296_881
.LBB296_880:                            ;   in Loop: Header=BB296_818 Depth=1
	v_bfe_u32 v16, v41, 16, 3
	v_ffbh_u32_e32 v20, v16
	v_min_u32_e32 v22, 32, v20
	v_subrev_u32_e32 v20, 28, v22
	v_bfe_u32 v18, v41, 19, 4
	v_lshlrev_b64 v[20:21], v20, v[28:29]
	v_sub_u32_e32 v21, 29, v22
	v_cmp_eq_u32_e64 s[0:1], 0, v18
	v_and_b32_e32 v20, 7, v20
	s_nop 0
	v_cndmask_b32_e64 v18, v18, v21, s[0:1]
	v_cndmask_b32_e64 v16, v16, v20, s[0:1]
	v_lshlrev_b32_e32 v20, 8, v28
	v_lshl_add_u32 v18, v18, 10, v19
	v_and_or_b32 v18, v20, s24, v18
	v_lshl_or_b32 v16, v16, 7, v18
	v_cvt_f32_f16_e32 v16, v16
.LBB296_881:                            ;   in Loop: Header=BB296_818 Depth=1
	s_or_b64 exec, exec, s[18:19]
	v_lshrrev_b32_e32 v28, 24, v41
	v_cmp_lt_i16_e64 s[0:1], s3, v28
	s_mov_b64 s[18:19], 0
                                        ; implicit-def: $sgpr29
	s_and_saveexec_b64 s[20:21], s[0:1]
	s_xor_b64 s[20:21], exec, s[20:21]
	s_cbranch_execnz .LBB296_1287
; %bb.882:                              ;   in Loop: Header=BB296_818 Depth=1
	s_or_saveexec_b64 s[20:21], s[20:21]
	v_mov_b32_e32 v21, s29
	s_xor_b64 exec, exec, s[20:21]
	s_cbranch_execnz .LBB296_1290
.LBB296_883:                            ;   in Loop: Header=BB296_818 Depth=1
	s_or_b64 exec, exec, s[20:21]
	s_and_saveexec_b64 s[20:21], s[18:19]
	s_cbranch_execz .LBB296_885
.LBB296_884:                            ;   in Loop: Header=BB296_818 Depth=1
	v_bfe_u32 v18, v41, 24, 3
	v_ffbh_u32_e32 v20, v18
	v_min_u32_e32 v23, 32, v20
	v_subrev_u32_e32 v20, 28, v23
	v_bfe_u32 v22, v41, 27, 4
	v_lshlrev_b64 v[20:21], v20, v[28:29]
	v_sub_u32_e32 v21, 29, v23
	v_cmp_eq_u32_e64 s[0:1], 0, v22
	v_and_b32_e32 v20, 7, v20
	s_nop 0
	v_cndmask_b32_e64 v21, v22, v21, s[0:1]
	v_cndmask_b32_e64 v18, v18, v20, s[0:1]
	v_lshlrev_b32_e32 v20, 8, v28
	v_lshl_add_u32 v21, v21, 10, v19
	v_and_or_b32 v20, v20, s24, v21
	v_lshl_or_b32 v18, v18, 7, v20
	v_cvt_f32_f16_e32 v21, v18
.LBB296_885:                            ;   in Loop: Header=BB296_818 Depth=1
	s_or_b64 exec, exec, s[20:21]
	v_pk_mul_f32 v[22:23], v[54:55], v[44:45] op_sel_hi:[0,1]
	v_pk_mul_f32 v[24:25], v[54:55], v[42:43] op_sel_hi:[0,1]
	v_cvt_f16_f32_e32 v18, v23
	v_cvt_f16_f32_e32 v20, v22
	;; [unrolled: 1-line block ×4, first 2 shown]
	v_fma_mixlo_f16 v11, v54, v11, 0
	v_lshlrev_b32_e32 v11, 16, v11
	v_fma_mixlo_f16 v6, v54, v6, 0
	v_or_b32_sdwa v6, v11, v6 dst_sel:DWORD dst_unused:UNUSED_PAD src0_sel:DWORD src1_sel:WORD_0
	v_fma_mixlo_f16 v11, v54, v21, 0
	v_pack_b32_f16 v20, v20, v18
	v_pack_b32_f16 v22, v23, v22
	v_fma_mixlo_f16 v16, v54, v16, 0
	v_lshlrev_b32_e32 v11, 16, v11
	v_perm_b32 v18, v22, v20, s26
	v_perm_b32 v20, v22, v20, s27
	v_or_b32_sdwa v11, v11, v16 dst_sel:DWORD dst_unused:UNUSED_PAD src0_sel:DWORD src1_sel:WORD_0
	s_and_saveexec_b64 s[18:19], vcc
	s_cbranch_execz .LBB296_887
; %bb.886:                              ;   in Loop: Header=BB296_818 Depth=1
	v_lshrrev_b32_e32 v21, 16, v20
	v_cmp_lt_i32_e64 s[0:1], v10, v7
	v_accvgpr_read_b32 v22, a8
	v_lshrrev_b32_e32 v11, 16, v11
	v_cndmask_b32_e64 v21, 0, v21, s[0:1]
	v_cmp_lt_i32_e64 s[0:1], v62, v22
	s_nop 1
	v_cndmask_b32_e64 v20, 0, v20, s[0:1]
	v_perm_b32 v20, v21, v20, s28
	v_lshrrev_b32_e32 v21, 16, v18
	v_cmp_lt_i32_e64 s[0:1], v57, v7
	s_nop 1
	v_cndmask_b32_e64 v21, 0, v21, s[0:1]
	v_cmp_lt_i32_e64 s[0:1], v60, v22
	s_nop 1
	v_cndmask_b32_e64 v18, 0, v18, s[0:1]
	v_perm_b32 v18, v21, v18, s28
	v_lshrrev_b32_e32 v21, 16, v6
	v_cmp_lt_i32_e64 s[0:1], v59, v7
	s_nop 1
	v_cndmask_b32_e64 v21, 0, v21, s[0:1]
	v_cmp_lt_i32_e64 s[0:1], v61, v22
	s_nop 1
	v_cndmask_b32_e64 v6, 0, v6, s[0:1]
	v_cmp_lt_i32_e64 s[0:1], v58, v7
	v_perm_b32 v6, v21, v6, s28
	s_nop 0
	v_cndmask_b32_e64 v11, 0, v11, s[0:1]
	v_cmp_lt_i32_e64 s[0:1], v4, v22
	s_nop 1
	v_cndmask_b32_e64 v16, 0, v16, s[0:1]
	v_perm_b32 v11, v11, v16, s28
.LBB296_887:                            ;   in Loop: Header=BB296_818 Depth=1
	s_or_b64 exec, exec, s[18:19]
	;;#ASMSTART
	v_pk_mul_f16 v16, v50, v20;

	;;#ASMEND
	;;#ASMSTART
	v_pk_mul_f16 v18, v56, v18;

	;;#ASMEND
	;; [unrolled: 4-line block ×4, first 2 shown]
	v_accvgpr_read_b32 v21, a5
	;;#ASMSTART
	v_pk_add_f16 v16, v16, v18;

	;;#ASMEND
	v_accvgpr_read_b32 v20, a4
	;;#ASMSTART
	v_pk_add_f16 v6, v16, v6;

	;;#ASMEND
	s_mov_b64 s[0:1], 0
	;;#ASMSTART
	v_pk_add_f16 v6, v6, v11;

	;;#ASMEND
                                        ; implicit-def: $sgpr22
	s_nop 0
	v_lshrrev_b32_e32 v11, 16, v6
	v_and_b32_e32 v6, 0xffff, v6
	;;#ASMSTART
	v_cvt_f32_f16 v6, v6;
	;;#ASMEND
	s_nop 0
	v_accvgpr_write_b32 a25, v6
	;;#ASMSTART
	v_cvt_f32_f16 v6, v11;
	;;#ASMEND
	flat_load_dwordx2 v[40:41], v[52:53] offset:1024
	flat_load_dword v54, v[20:21]
	v_accvgpr_write_b32 a37, v6
	s_waitcnt vmcnt(0) lgkmcnt(0)
	v_cmp_gt_i16_sdwa s[18:19], v40, s3 src0_sel:BYTE_0 src1_sel:DWORD
	s_and_saveexec_b64 s[20:21], s[18:19]
	s_xor_b64 s[18:19], exec, s[20:21]
	s_cbranch_execnz .LBB296_1291
; %bb.888:                              ;   in Loop: Header=BB296_818 Depth=1
	s_or_saveexec_b64 s[18:19], s[18:19]
	v_mov_b32_e32 v42, s22
	s_xor_b64 exec, exec, s[18:19]
	s_cbranch_execnz .LBB296_1294
.LBB296_889:                            ;   in Loop: Header=BB296_818 Depth=1
	s_or_b64 exec, exec, s[18:19]
	s_and_saveexec_b64 s[18:19], s[0:1]
	s_cbranch_execz .LBB296_891
.LBB296_890:                            ;   in Loop: Header=BB296_818 Depth=1
	v_and_b32_e32 v6, 7, v40
	v_ffbh_u32_e32 v6, v6
	v_bfe_u32 v11, v40, 3, 4
	v_min_u32_e32 v6, 32, v6
	v_subrev_u32_e32 v16, 28, v6
	v_sub_u32_e32 v6, 29, v6
	v_cmp_eq_u32_e64 s[0:1], 0, v11
	s_nop 1
	v_cndmask_b32_e64 v6, v11, v6, s[0:1]
	v_cndmask_b32_e64 v11, 0, v16, s[0:1]
	v_lshlrev_b64 v[20:21], v11, v[40:41]
	v_lshlrev_b32_e32 v16, 8, v40
	v_lshl_add_u32 v6, v6, 10, v19
	v_lshlrev_b32_e32 v11, 7, v20
	v_and_or_b32 v6, v16, s24, v6
	v_and_or_b32 v6, v11, s25, v6
	v_cvt_f32_f16_e32 v42, v6
.LBB296_891:                            ;   in Loop: Header=BB296_818 Depth=1
	s_or_b64 exec, exec, s[18:19]
	v_lshrrev_b16_e32 v28, 8, v40
	v_cmp_lt_i16_e64 s[0:1], s3, v28
	s_mov_b64 s[18:19], 0
                                        ; implicit-def: $sgpr29
	s_and_saveexec_b64 s[20:21], s[0:1]
	s_xor_b64 s[20:21], exec, s[20:21]
	s_cbranch_execnz .LBB296_1295
; %bb.892:                              ;   in Loop: Header=BB296_818 Depth=1
	s_or_saveexec_b64 s[20:21], s[20:21]
	v_mov_b32_e32 v44, s29
	s_xor_b64 exec, exec, s[20:21]
	s_cbranch_execnz .LBB296_1298
.LBB296_893:                            ;   in Loop: Header=BB296_818 Depth=1
	s_or_b64 exec, exec, s[20:21]
	s_and_saveexec_b64 s[20:21], s[18:19]
	s_cbranch_execz .LBB296_895
.LBB296_894:                            ;   in Loop: Header=BB296_818 Depth=1
	v_and_b32_e32 v6, 7, v28
	v_ffbh_u32_e32 v16, v6
	v_bfe_u32 v11, v28, 3, 4
	v_min_u32_e32 v16, 32, v16
	v_subrev_u32_e32 v18, 28, v16
	v_sub_u32_e32 v16, 29, v16
	v_cmp_eq_u32_e64 s[0:1], 0, v11
	v_lshlrev_b64 v[20:21], v18, v[28:29]
	v_and_b32_e32 v18, 7, v20
	v_cndmask_b32_e64 v11, v11, v16, s[0:1]
	v_lshlrev_b32_e32 v16, 8, v28
	v_lshl_add_u32 v11, v11, 10, v19
	v_cndmask_b32_e64 v6, v6, v18, s[0:1]
	v_and_or_b32 v11, v16, s24, v11
	v_lshl_or_b32 v6, v6, 7, v11
	v_cvt_f32_f16_e32 v44, v6
.LBB296_895:                            ;   in Loop: Header=BB296_818 Depth=1
	s_or_b64 exec, exec, s[20:21]
	v_lshrrev_b32_e32 v28, 16, v40
	v_cmp_gt_i16_sdwa s[18:19], v28, s3 src0_sel:BYTE_0 src1_sel:DWORD
	s_mov_b64 s[0:1], 0
                                        ; implicit-def: $sgpr22
	s_and_saveexec_b64 s[20:21], s[18:19]
	s_xor_b64 s[18:19], exec, s[20:21]
	s_cbranch_execnz .LBB296_1299
; %bb.896:                              ;   in Loop: Header=BB296_818 Depth=1
	s_or_saveexec_b64 s[18:19], s[18:19]
	v_mov_b32_e32 v43, s22
	s_xor_b64 exec, exec, s[18:19]
	s_cbranch_execnz .LBB296_1302
.LBB296_897:                            ;   in Loop: Header=BB296_818 Depth=1
	s_or_b64 exec, exec, s[18:19]
	s_and_saveexec_b64 s[18:19], s[0:1]
	s_cbranch_execz .LBB296_899
.LBB296_898:                            ;   in Loop: Header=BB296_818 Depth=1
	v_bfe_u32 v6, v40, 16, 3
	v_ffbh_u32_e32 v16, v6
	v_bfe_u32 v11, v40, 19, 4
	v_min_u32_e32 v16, 32, v16
	v_subrev_u32_e32 v18, 28, v16
	v_sub_u32_e32 v16, 29, v16
	v_cmp_eq_u32_e64 s[0:1], 0, v11
	v_lshlrev_b64 v[20:21], v18, v[28:29]
	v_and_b32_e32 v18, 7, v20
	v_cndmask_b32_e64 v11, v11, v16, s[0:1]
	v_lshlrev_b32_e32 v16, 8, v28
	v_lshl_add_u32 v11, v11, 10, v19
	v_cndmask_b32_e64 v6, v6, v18, s[0:1]
	v_and_or_b32 v11, v16, s24, v11
	v_lshl_or_b32 v6, v6, 7, v11
	v_cvt_f32_f16_e32 v43, v6
.LBB296_899:                            ;   in Loop: Header=BB296_818 Depth=1
	s_or_b64 exec, exec, s[18:19]
	v_lshrrev_b32_e32 v28, 24, v40
	v_cmp_lt_i16_e64 s[0:1], s3, v28
	s_mov_b64 s[18:19], 0
                                        ; implicit-def: $sgpr29
	s_and_saveexec_b64 s[20:21], s[0:1]
	s_xor_b64 s[20:21], exec, s[20:21]
	s_cbranch_execnz .LBB296_1303
; %bb.900:                              ;   in Loop: Header=BB296_818 Depth=1
	s_or_saveexec_b64 s[20:21], s[20:21]
	v_mov_b32_e32 v45, s29
	s_xor_b64 exec, exec, s[20:21]
	s_cbranch_execnz .LBB296_1306
.LBB296_901:                            ;   in Loop: Header=BB296_818 Depth=1
	s_or_b64 exec, exec, s[20:21]
	s_and_saveexec_b64 s[20:21], s[18:19]
	s_cbranch_execz .LBB296_903
.LBB296_902:                            ;   in Loop: Header=BB296_818 Depth=1
	v_bfe_u32 v6, v40, 24, 3
	v_ffbh_u32_e32 v16, v6
	v_bfe_u32 v11, v40, 27, 4
	v_min_u32_e32 v16, 32, v16
	v_subrev_u32_e32 v18, 28, v16
	v_sub_u32_e32 v16, 29, v16
	v_cmp_eq_u32_e64 s[0:1], 0, v11
	v_lshlrev_b64 v[20:21], v18, v[28:29]
	v_and_b32_e32 v18, 7, v20
	v_cndmask_b32_e64 v11, v11, v16, s[0:1]
	v_lshlrev_b32_e32 v16, 8, v28
	v_lshl_add_u32 v11, v11, 10, v19
	v_cndmask_b32_e64 v6, v6, v18, s[0:1]
	v_and_or_b32 v11, v16, s24, v11
	v_lshl_or_b32 v6, v6, 7, v11
	v_cvt_f32_f16_e32 v45, v6
.LBB296_903:                            ;   in Loop: Header=BB296_818 Depth=1
	s_or_b64 exec, exec, s[20:21]
	v_cmp_gt_i16_sdwa s[18:19], v41, s3 src0_sel:BYTE_0 src1_sel:DWORD
	s_mov_b64 s[0:1], 0
                                        ; implicit-def: $sgpr22
	s_and_saveexec_b64 s[20:21], s[18:19]
	s_xor_b64 s[18:19], exec, s[20:21]
	s_cbranch_execnz .LBB296_1307
; %bb.904:                              ;   in Loop: Header=BB296_818 Depth=1
	s_or_saveexec_b64 s[18:19], s[18:19]
	v_mov_b32_e32 v6, s22
	s_xor_b64 exec, exec, s[18:19]
	s_cbranch_execnz .LBB296_1310
.LBB296_905:                            ;   in Loop: Header=BB296_818 Depth=1
	s_or_b64 exec, exec, s[18:19]
	v_mov_b32_e32 v28, v41
	s_and_saveexec_b64 s[18:19], s[0:1]
	s_cbranch_execz .LBB296_907
.LBB296_906:                            ;   in Loop: Header=BB296_818 Depth=1
	v_and_b32_e32 v6, 7, v41
	v_ffbh_u32_e32 v6, v6
	v_bfe_u32 v11, v41, 3, 4
	v_min_u32_e32 v6, 32, v6
	v_subrev_u32_e32 v16, 28, v6
	v_sub_u32_e32 v6, 29, v6
	v_cmp_eq_u32_e64 s[0:1], 0, v11
	s_nop 1
	v_cndmask_b32_e64 v6, v11, v6, s[0:1]
	v_cndmask_b32_e64 v11, 0, v16, s[0:1]
	v_lshlrev_b64 v[20:21], v11, v[28:29]
	v_lshlrev_b32_e32 v16, 8, v41
	v_lshl_add_u32 v6, v6, 10, v19
	v_lshlrev_b32_e32 v11, 7, v20
	v_and_or_b32 v6, v16, s24, v6
	v_and_or_b32 v6, v11, s25, v6
	v_cvt_f32_f16_e32 v6, v6
.LBB296_907:                            ;   in Loop: Header=BB296_818 Depth=1
	s_or_b64 exec, exec, s[18:19]
	v_lshrrev_b16_e32 v28, 8, v28
	v_cmp_lt_i16_e64 s[0:1], s3, v28
	s_mov_b64 s[18:19], 0
                                        ; implicit-def: $sgpr29
	s_and_saveexec_b64 s[20:21], s[0:1]
	s_xor_b64 s[20:21], exec, s[20:21]
	s_cbranch_execnz .LBB296_1311
; %bb.908:                              ;   in Loop: Header=BB296_818 Depth=1
	s_or_saveexec_b64 s[20:21], s[20:21]
	v_mov_b32_e32 v11, s29
	s_xor_b64 exec, exec, s[20:21]
	s_cbranch_execnz .LBB296_1314
.LBB296_909:                            ;   in Loop: Header=BB296_818 Depth=1
	s_or_b64 exec, exec, s[20:21]
	s_and_saveexec_b64 s[20:21], s[18:19]
	s_cbranch_execz .LBB296_911
.LBB296_910:                            ;   in Loop: Header=BB296_818 Depth=1
	v_and_b32_e32 v11, 7, v28
	v_ffbh_u32_e32 v18, v11
	v_bfe_u32 v16, v28, 3, 4
	v_min_u32_e32 v18, 32, v18
	v_subrev_u32_e32 v20, 28, v18
	v_sub_u32_e32 v18, 29, v18
	v_cmp_eq_u32_e64 s[0:1], 0, v16
	v_lshlrev_b64 v[20:21], v20, v[28:29]
	v_and_b32_e32 v20, 7, v20
	v_cndmask_b32_e64 v16, v16, v18, s[0:1]
	v_lshlrev_b32_e32 v18, 8, v28
	v_lshl_add_u32 v16, v16, 10, v19
	v_cndmask_b32_e64 v11, v11, v20, s[0:1]
	v_and_or_b32 v16, v18, s24, v16
	v_lshl_or_b32 v11, v11, 7, v16
	v_cvt_f32_f16_e32 v11, v11
.LBB296_911:                            ;   in Loop: Header=BB296_818 Depth=1
	s_or_b64 exec, exec, s[20:21]
	v_lshrrev_b32_e32 v28, 16, v41
	v_cmp_gt_i16_sdwa s[18:19], v28, s3 src0_sel:BYTE_0 src1_sel:DWORD
	s_mov_b64 s[0:1], 0
                                        ; implicit-def: $sgpr22
	s_and_saveexec_b64 s[20:21], s[18:19]
	s_xor_b64 s[18:19], exec, s[20:21]
	s_cbranch_execnz .LBB296_1315
; %bb.912:                              ;   in Loop: Header=BB296_818 Depth=1
	s_or_saveexec_b64 s[18:19], s[18:19]
	v_mov_b32_e32 v16, s22
	s_xor_b64 exec, exec, s[18:19]
	s_cbranch_execnz .LBB296_1318
.LBB296_913:                            ;   in Loop: Header=BB296_818 Depth=1
	s_or_b64 exec, exec, s[18:19]
	s_and_saveexec_b64 s[18:19], s[0:1]
	s_cbranch_execz .LBB296_915
.LBB296_914:                            ;   in Loop: Header=BB296_818 Depth=1
	v_bfe_u32 v16, v41, 16, 3
	v_ffbh_u32_e32 v20, v16
	v_min_u32_e32 v22, 32, v20
	v_subrev_u32_e32 v20, 28, v22
	v_bfe_u32 v18, v41, 19, 4
	v_lshlrev_b64 v[20:21], v20, v[28:29]
	v_sub_u32_e32 v21, 29, v22
	v_cmp_eq_u32_e64 s[0:1], 0, v18
	v_and_b32_e32 v20, 7, v20
	s_nop 0
	v_cndmask_b32_e64 v18, v18, v21, s[0:1]
	v_cndmask_b32_e64 v16, v16, v20, s[0:1]
	v_lshlrev_b32_e32 v20, 8, v28
	v_lshl_add_u32 v18, v18, 10, v19
	v_and_or_b32 v18, v20, s24, v18
	v_lshl_or_b32 v16, v16, 7, v18
	v_cvt_f32_f16_e32 v16, v16
.LBB296_915:                            ;   in Loop: Header=BB296_818 Depth=1
	s_or_b64 exec, exec, s[18:19]
	v_lshrrev_b32_e32 v28, 24, v41
	v_cmp_lt_i16_e64 s[0:1], s3, v28
	s_mov_b64 s[18:19], 0
                                        ; implicit-def: $sgpr29
	s_and_saveexec_b64 s[20:21], s[0:1]
	s_xor_b64 s[20:21], exec, s[20:21]
	s_cbranch_execnz .LBB296_1319
; %bb.916:                              ;   in Loop: Header=BB296_818 Depth=1
	s_or_saveexec_b64 s[20:21], s[20:21]
	v_mov_b32_e32 v22, s29
	s_xor_b64 exec, exec, s[20:21]
	s_cbranch_execnz .LBB296_1322
.LBB296_917:                            ;   in Loop: Header=BB296_818 Depth=1
	s_or_b64 exec, exec, s[20:21]
	s_and_saveexec_b64 s[20:21], s[18:19]
	s_cbranch_execz .LBB296_919
.LBB296_918:                            ;   in Loop: Header=BB296_818 Depth=1
	v_bfe_u32 v18, v41, 24, 3
	v_ffbh_u32_e32 v20, v18
	v_min_u32_e32 v23, 32, v20
	v_subrev_u32_e32 v20, 28, v23
	v_bfe_u32 v22, v41, 27, 4
	v_lshlrev_b64 v[20:21], v20, v[28:29]
	v_sub_u32_e32 v21, 29, v23
	v_cmp_eq_u32_e64 s[0:1], 0, v22
	v_and_b32_e32 v20, 7, v20
	s_nop 0
	v_cndmask_b32_e64 v21, v22, v21, s[0:1]
	v_cndmask_b32_e64 v18, v18, v20, s[0:1]
	v_lshlrev_b32_e32 v20, 8, v28
	v_lshl_add_u32 v21, v21, 10, v19
	v_and_or_b32 v20, v20, s24, v21
	v_lshl_or_b32 v18, v18, 7, v20
	v_cvt_f32_f16_e32 v22, v18
.LBB296_919:                            ;   in Loop: Header=BB296_818 Depth=1
	s_or_b64 exec, exec, s[20:21]
	v_pk_mul_f32 v[20:21], v[54:55], v[44:45] op_sel_hi:[0,1]
	v_pk_mul_f32 v[24:25], v[54:55], v[42:43] op_sel_hi:[0,1]
	v_cvt_f16_f32_e32 v18, v21
	v_cvt_f16_f32_e32 v20, v20
	;; [unrolled: 1-line block ×4, first 2 shown]
	v_fma_mixlo_f16 v11, v54, v11, 0
	v_lshlrev_b32_e32 v11, 16, v11
	v_fma_mixlo_f16 v6, v54, v6, 0
	v_or_b32_sdwa v6, v11, v6 dst_sel:DWORD dst_unused:UNUSED_PAD src0_sel:DWORD src1_sel:WORD_0
	v_fma_mixlo_f16 v11, v54, v22, 0
	v_pack_b32_f16 v18, v20, v18
	v_pack_b32_f16 v21, v23, v21
	v_fma_mixlo_f16 v16, v54, v16, 0
	v_lshlrev_b32_e32 v11, 16, v11
	v_perm_b32 v20, v21, v18, s26
	v_perm_b32 v21, v21, v18, s27
	v_or_b32_sdwa v11, v11, v16 dst_sel:DWORD dst_unused:UNUSED_PAD src0_sel:DWORD src1_sel:WORD_0
	s_and_saveexec_b64 s[18:19], vcc
	s_cbranch_execz .LBB296_921
; %bb.920:                              ;   in Loop: Header=BB296_818 Depth=1
	v_lshrrev_b32_e32 v18, 16, v21
	v_cmp_lt_i32_e64 s[0:1], v10, v7
	v_accvgpr_read_b32 v22, a8
	v_lshrrev_b32_e32 v11, 16, v11
	v_cndmask_b32_e64 v18, 0, v18, s[0:1]
	v_cmp_lt_i32_e64 s[0:1], v62, v22
	s_nop 1
	v_cndmask_b32_e64 v21, 0, v21, s[0:1]
	v_perm_b32 v21, v18, v21, s28
	v_lshrrev_b32_e32 v18, 16, v20
	v_cmp_lt_i32_e64 s[0:1], v57, v7
	s_nop 1
	v_cndmask_b32_e64 v18, 0, v18, s[0:1]
	v_cmp_lt_i32_e64 s[0:1], v60, v22
	s_nop 1
	v_cndmask_b32_e64 v20, 0, v20, s[0:1]
	v_perm_b32 v20, v18, v20, s28
	v_lshrrev_b32_e32 v18, 16, v6
	v_cmp_lt_i32_e64 s[0:1], v59, v7
	s_nop 1
	v_cndmask_b32_e64 v18, 0, v18, s[0:1]
	v_cmp_lt_i32_e64 s[0:1], v61, v22
	s_nop 1
	v_cndmask_b32_e64 v6, 0, v6, s[0:1]
	v_cmp_lt_i32_e64 s[0:1], v58, v7
	v_perm_b32 v6, v18, v6, s28
	s_nop 0
	v_cndmask_b32_e64 v11, 0, v11, s[0:1]
	v_cmp_lt_i32_e64 s[0:1], v4, v22
	s_nop 1
	v_cndmask_b32_e64 v16, 0, v16, s[0:1]
	v_perm_b32 v11, v11, v16, s28
.LBB296_921:                            ;   in Loop: Header=BB296_818 Depth=1
	s_or_b64 exec, exec, s[18:19]
	;;#ASMSTART
	v_pk_mul_f16 v16, v50, v21;

	;;#ASMEND
	;;#ASMSTART
	v_pk_mul_f16 v18, v56, v20;

	;;#ASMEND
	;; [unrolled: 4-line block ×4, first 2 shown]
	v_accvgpr_read_b32 v21, a5
	;;#ASMSTART
	v_pk_add_f16 v16, v16, v18;

	;;#ASMEND
	v_accvgpr_read_b32 v20, a4
	;;#ASMSTART
	v_pk_add_f16 v6, v16, v6;

	;;#ASMEND
	s_mov_b64 s[0:1], 0
	;;#ASMSTART
	v_pk_add_f16 v6, v6, v11;

	;;#ASMEND
                                        ; implicit-def: $sgpr22
	s_nop 0
	v_lshrrev_b32_e32 v11, 16, v6
	v_and_b32_e32 v6, 0xffff, v6
	;;#ASMSTART
	v_cvt_f32_f16 v16, v6;
	;;#ASMEND
	;;#ASMSTART
	v_cvt_f32_f16 v37, v11;
	;;#ASMEND
	flat_load_dwordx2 v[40:41], v[52:53] offset:1536
	flat_load_dword v54, v[20:21]
	s_waitcnt vmcnt(0) lgkmcnt(0)
	v_cmp_gt_i16_sdwa s[18:19], v40, s3 src0_sel:BYTE_0 src1_sel:DWORD
	s_and_saveexec_b64 s[20:21], s[18:19]
	s_xor_b64 s[18:19], exec, s[20:21]
	s_cbranch_execnz .LBB296_1323
; %bb.922:                              ;   in Loop: Header=BB296_818 Depth=1
	s_or_saveexec_b64 s[18:19], s[18:19]
	v_mov_b32_e32 v42, s22
	s_xor_b64 exec, exec, s[18:19]
	s_cbranch_execnz .LBB296_1326
.LBB296_923:                            ;   in Loop: Header=BB296_818 Depth=1
	s_or_b64 exec, exec, s[18:19]
	s_and_saveexec_b64 s[18:19], s[0:1]
	s_cbranch_execz .LBB296_925
.LBB296_924:                            ;   in Loop: Header=BB296_818 Depth=1
	v_and_b32_e32 v6, 7, v40
	v_ffbh_u32_e32 v6, v6
	v_bfe_u32 v11, v40, 3, 4
	v_min_u32_e32 v6, 32, v6
	v_subrev_u32_e32 v18, 28, v6
	v_sub_u32_e32 v6, 29, v6
	v_cmp_eq_u32_e64 s[0:1], 0, v11
	s_nop 1
	v_cndmask_b32_e64 v6, v11, v6, s[0:1]
	v_cndmask_b32_e64 v11, 0, v18, s[0:1]
	v_lshlrev_b64 v[20:21], v11, v[40:41]
	v_lshlrev_b32_e32 v18, 8, v40
	v_lshl_add_u32 v6, v6, 10, v19
	v_lshlrev_b32_e32 v11, 7, v20
	v_and_or_b32 v6, v18, s24, v6
	v_and_or_b32 v6, v11, s25, v6
	v_cvt_f32_f16_e32 v42, v6
.LBB296_925:                            ;   in Loop: Header=BB296_818 Depth=1
	s_or_b64 exec, exec, s[18:19]
	v_lshrrev_b16_e32 v28, 8, v40
	v_cmp_lt_i16_e64 s[0:1], s3, v28
	s_mov_b64 s[18:19], 0
                                        ; implicit-def: $sgpr29
	s_and_saveexec_b64 s[20:21], s[0:1]
	s_xor_b64 s[20:21], exec, s[20:21]
	s_cbranch_execnz .LBB296_1327
; %bb.926:                              ;   in Loop: Header=BB296_818 Depth=1
	s_or_saveexec_b64 s[20:21], s[20:21]
	v_mov_b32_e32 v44, s29
	s_xor_b64 exec, exec, s[20:21]
	s_cbranch_execnz .LBB296_1330
.LBB296_927:                            ;   in Loop: Header=BB296_818 Depth=1
	s_or_b64 exec, exec, s[20:21]
	s_and_saveexec_b64 s[20:21], s[18:19]
	s_cbranch_execz .LBB296_929
.LBB296_928:                            ;   in Loop: Header=BB296_818 Depth=1
	v_and_b32_e32 v6, 7, v28
	v_ffbh_u32_e32 v18, v6
	v_bfe_u32 v11, v28, 3, 4
	v_min_u32_e32 v18, 32, v18
	v_subrev_u32_e32 v20, 28, v18
	v_sub_u32_e32 v18, 29, v18
	v_cmp_eq_u32_e64 s[0:1], 0, v11
	v_lshlrev_b64 v[20:21], v20, v[28:29]
	v_and_b32_e32 v20, 7, v20
	v_cndmask_b32_e64 v11, v11, v18, s[0:1]
	v_lshlrev_b32_e32 v18, 8, v28
	v_lshl_add_u32 v11, v11, 10, v19
	v_cndmask_b32_e64 v6, v6, v20, s[0:1]
	v_and_or_b32 v11, v18, s24, v11
	v_lshl_or_b32 v6, v6, 7, v11
	v_cvt_f32_f16_e32 v44, v6
.LBB296_929:                            ;   in Loop: Header=BB296_818 Depth=1
	s_or_b64 exec, exec, s[20:21]
	v_lshrrev_b32_e32 v28, 16, v40
	v_cmp_gt_i16_sdwa s[18:19], v28, s3 src0_sel:BYTE_0 src1_sel:DWORD
	s_mov_b64 s[0:1], 0
                                        ; implicit-def: $sgpr22
	s_and_saveexec_b64 s[20:21], s[18:19]
	s_xor_b64 s[18:19], exec, s[20:21]
	s_cbranch_execnz .LBB296_1331
; %bb.930:                              ;   in Loop: Header=BB296_818 Depth=1
	s_or_saveexec_b64 s[18:19], s[18:19]
	v_mov_b32_e32 v43, s22
	s_xor_b64 exec, exec, s[18:19]
	s_cbranch_execnz .LBB296_1334
.LBB296_931:                            ;   in Loop: Header=BB296_818 Depth=1
	s_or_b64 exec, exec, s[18:19]
	s_and_saveexec_b64 s[18:19], s[0:1]
	s_cbranch_execz .LBB296_933
.LBB296_932:                            ;   in Loop: Header=BB296_818 Depth=1
	v_bfe_u32 v6, v40, 16, 3
	v_ffbh_u32_e32 v18, v6
	v_bfe_u32 v11, v40, 19, 4
	v_min_u32_e32 v18, 32, v18
	v_subrev_u32_e32 v20, 28, v18
	v_sub_u32_e32 v18, 29, v18
	v_cmp_eq_u32_e64 s[0:1], 0, v11
	v_lshlrev_b64 v[20:21], v20, v[28:29]
	v_and_b32_e32 v20, 7, v20
	v_cndmask_b32_e64 v11, v11, v18, s[0:1]
	v_lshlrev_b32_e32 v18, 8, v28
	v_lshl_add_u32 v11, v11, 10, v19
	v_cndmask_b32_e64 v6, v6, v20, s[0:1]
	v_and_or_b32 v11, v18, s24, v11
	v_lshl_or_b32 v6, v6, 7, v11
	v_cvt_f32_f16_e32 v43, v6
.LBB296_933:                            ;   in Loop: Header=BB296_818 Depth=1
	s_or_b64 exec, exec, s[18:19]
	v_lshrrev_b32_e32 v28, 24, v40
	v_cmp_lt_i16_e64 s[0:1], s3, v28
	s_mov_b64 s[18:19], 0
                                        ; implicit-def: $sgpr29
	s_and_saveexec_b64 s[20:21], s[0:1]
	s_xor_b64 s[20:21], exec, s[20:21]
	s_cbranch_execnz .LBB296_1335
; %bb.934:                              ;   in Loop: Header=BB296_818 Depth=1
	s_or_saveexec_b64 s[20:21], s[20:21]
	v_mov_b32_e32 v45, s29
	s_xor_b64 exec, exec, s[20:21]
	s_cbranch_execnz .LBB296_1338
.LBB296_935:                            ;   in Loop: Header=BB296_818 Depth=1
	s_or_b64 exec, exec, s[20:21]
	s_and_saveexec_b64 s[20:21], s[18:19]
	s_cbranch_execz .LBB296_937
.LBB296_936:                            ;   in Loop: Header=BB296_818 Depth=1
	v_bfe_u32 v6, v40, 24, 3
	v_ffbh_u32_e32 v18, v6
	v_bfe_u32 v11, v40, 27, 4
	v_min_u32_e32 v18, 32, v18
	v_subrev_u32_e32 v20, 28, v18
	v_sub_u32_e32 v18, 29, v18
	v_cmp_eq_u32_e64 s[0:1], 0, v11
	v_lshlrev_b64 v[20:21], v20, v[28:29]
	v_and_b32_e32 v20, 7, v20
	v_cndmask_b32_e64 v11, v11, v18, s[0:1]
	v_lshlrev_b32_e32 v18, 8, v28
	v_lshl_add_u32 v11, v11, 10, v19
	v_cndmask_b32_e64 v6, v6, v20, s[0:1]
	v_and_or_b32 v11, v18, s24, v11
	v_lshl_or_b32 v6, v6, 7, v11
	v_cvt_f32_f16_e32 v45, v6
.LBB296_937:                            ;   in Loop: Header=BB296_818 Depth=1
	s_or_b64 exec, exec, s[20:21]
	v_cmp_gt_i16_sdwa s[18:19], v41, s3 src0_sel:BYTE_0 src1_sel:DWORD
	s_mov_b64 s[0:1], 0
                                        ; implicit-def: $sgpr22
	s_and_saveexec_b64 s[20:21], s[18:19]
	s_xor_b64 s[18:19], exec, s[20:21]
	s_cbranch_execnz .LBB296_1339
; %bb.938:                              ;   in Loop: Header=BB296_818 Depth=1
	s_or_saveexec_b64 s[18:19], s[18:19]
	v_mov_b32_e32 v6, s22
	s_xor_b64 exec, exec, s[18:19]
	s_cbranch_execnz .LBB296_1342
.LBB296_939:                            ;   in Loop: Header=BB296_818 Depth=1
	s_or_b64 exec, exec, s[18:19]
	v_mov_b32_e32 v28, v41
	s_and_saveexec_b64 s[18:19], s[0:1]
	s_cbranch_execz .LBB296_941
.LBB296_940:                            ;   in Loop: Header=BB296_818 Depth=1
	v_and_b32_e32 v6, 7, v41
	v_ffbh_u32_e32 v6, v6
	v_bfe_u32 v11, v41, 3, 4
	v_min_u32_e32 v6, 32, v6
	v_subrev_u32_e32 v18, 28, v6
	v_sub_u32_e32 v6, 29, v6
	v_cmp_eq_u32_e64 s[0:1], 0, v11
	s_nop 1
	v_cndmask_b32_e64 v6, v11, v6, s[0:1]
	v_cndmask_b32_e64 v11, 0, v18, s[0:1]
	v_lshlrev_b64 v[20:21], v11, v[28:29]
	v_lshlrev_b32_e32 v18, 8, v41
	v_lshl_add_u32 v6, v6, 10, v19
	v_lshlrev_b32_e32 v11, 7, v20
	v_and_or_b32 v6, v18, s24, v6
	v_and_or_b32 v6, v11, s25, v6
	v_cvt_f32_f16_e32 v6, v6
.LBB296_941:                            ;   in Loop: Header=BB296_818 Depth=1
	s_or_b64 exec, exec, s[18:19]
	v_lshrrev_b16_e32 v28, 8, v28
	v_cmp_lt_i16_e64 s[0:1], s3, v28
	s_mov_b64 s[18:19], 0
                                        ; implicit-def: $sgpr29
	s_and_saveexec_b64 s[20:21], s[0:1]
	s_xor_b64 s[20:21], exec, s[20:21]
	s_cbranch_execnz .LBB296_1343
; %bb.942:                              ;   in Loop: Header=BB296_818 Depth=1
	s_or_saveexec_b64 s[20:21], s[20:21]
	v_mov_b32_e32 v11, s29
	s_xor_b64 exec, exec, s[20:21]
	s_cbranch_execnz .LBB296_1346
.LBB296_943:                            ;   in Loop: Header=BB296_818 Depth=1
	s_or_b64 exec, exec, s[20:21]
	s_and_saveexec_b64 s[20:21], s[18:19]
	s_cbranch_execz .LBB296_945
.LBB296_944:                            ;   in Loop: Header=BB296_818 Depth=1
	v_and_b32_e32 v11, 7, v28
	v_ffbh_u32_e32 v20, v11
	v_min_u32_e32 v22, 32, v20
	v_subrev_u32_e32 v20, 28, v22
	v_bfe_u32 v18, v28, 3, 4
	v_lshlrev_b64 v[20:21], v20, v[28:29]
	v_sub_u32_e32 v21, 29, v22
	v_cmp_eq_u32_e64 s[0:1], 0, v18
	v_and_b32_e32 v20, 7, v20
	s_nop 0
	v_cndmask_b32_e64 v18, v18, v21, s[0:1]
	v_cndmask_b32_e64 v11, v11, v20, s[0:1]
	v_lshlrev_b32_e32 v20, 8, v28
	v_lshl_add_u32 v18, v18, 10, v19
	v_and_or_b32 v18, v20, s24, v18
	v_lshl_or_b32 v11, v11, 7, v18
	v_cvt_f32_f16_e32 v11, v11
.LBB296_945:                            ;   in Loop: Header=BB296_818 Depth=1
	s_or_b64 exec, exec, s[20:21]
	v_lshrrev_b32_e32 v28, 16, v41
	v_cmp_gt_i16_sdwa s[18:19], v28, s3 src0_sel:BYTE_0 src1_sel:DWORD
	s_mov_b64 s[0:1], 0
                                        ; implicit-def: $sgpr22
	s_and_saveexec_b64 s[20:21], s[18:19]
	s_xor_b64 s[18:19], exec, s[20:21]
	s_cbranch_execnz .LBB296_1347
; %bb.946:                              ;   in Loop: Header=BB296_818 Depth=1
	s_or_saveexec_b64 s[18:19], s[18:19]
	v_mov_b32_e32 v20, s22
	s_xor_b64 exec, exec, s[18:19]
	s_cbranch_execnz .LBB296_1350
.LBB296_947:                            ;   in Loop: Header=BB296_818 Depth=1
	s_or_b64 exec, exec, s[18:19]
	s_and_saveexec_b64 s[18:19], s[0:1]
	s_cbranch_execz .LBB296_949
.LBB296_948:                            ;   in Loop: Header=BB296_818 Depth=1
	v_bfe_u32 v18, v41, 16, 3
	v_ffbh_u32_e32 v20, v18
	v_min_u32_e32 v23, 32, v20
	v_subrev_u32_e32 v20, 28, v23
	v_bfe_u32 v22, v41, 19, 4
	v_lshlrev_b64 v[20:21], v20, v[28:29]
	v_sub_u32_e32 v21, 29, v23
	v_cmp_eq_u32_e64 s[0:1], 0, v22
	v_and_b32_e32 v20, 7, v20
	s_nop 0
	v_cndmask_b32_e64 v21, v22, v21, s[0:1]
	v_cndmask_b32_e64 v18, v18, v20, s[0:1]
	v_lshlrev_b32_e32 v20, 8, v28
	v_lshl_add_u32 v21, v21, 10, v19
	v_and_or_b32 v20, v20, s24, v21
	v_lshl_or_b32 v18, v18, 7, v20
	v_cvt_f32_f16_e32 v20, v18
.LBB296_949:                            ;   in Loop: Header=BB296_818 Depth=1
	s_or_b64 exec, exec, s[18:19]
	v_lshrrev_b32_e32 v28, 24, v41
	v_cmp_lt_i16_e64 s[0:1], s3, v28
	s_mov_b64 s[18:19], 0
                                        ; implicit-def: $sgpr29
	s_and_saveexec_b64 s[20:21], s[0:1]
	s_xor_b64 s[20:21], exec, s[20:21]
	s_cbranch_execnz .LBB296_1351
; %bb.950:                              ;   in Loop: Header=BB296_818 Depth=1
	s_or_saveexec_b64 s[20:21], s[20:21]
	v_mov_b32_e32 v23, s29
	s_xor_b64 exec, exec, s[20:21]
	s_cbranch_execnz .LBB296_1354
.LBB296_951:                            ;   in Loop: Header=BB296_818 Depth=1
	s_or_b64 exec, exec, s[20:21]
	s_and_saveexec_b64 s[20:21], s[18:19]
	s_cbranch_execz .LBB296_953
.LBB296_952:                            ;   in Loop: Header=BB296_818 Depth=1
	v_bfe_u32 v18, v41, 24, 3
	v_ffbh_u32_e32 v22, v18
	v_min_u32_e32 v24, 32, v22
	v_subrev_u32_e32 v22, 28, v24
	v_bfe_u32 v21, v41, 27, 4
	v_lshlrev_b64 v[22:23], v22, v[28:29]
	v_sub_u32_e32 v23, 29, v24
	v_cmp_eq_u32_e64 s[0:1], 0, v21
	v_and_b32_e32 v22, 7, v22
	s_nop 0
	v_cndmask_b32_e64 v21, v21, v23, s[0:1]
	v_cndmask_b32_e64 v18, v18, v22, s[0:1]
	v_lshlrev_b32_e32 v22, 8, v28
	v_lshl_add_u32 v21, v21, 10, v19
	v_and_or_b32 v21, v22, s24, v21
	v_lshl_or_b32 v18, v18, 7, v21
	v_cvt_f32_f16_e32 v23, v18
.LBB296_953:                            ;   in Loop: Header=BB296_818 Depth=1
	s_or_b64 exec, exec, s[20:21]
	v_pk_mul_f32 v[24:25], v[54:55], v[44:45] op_sel_hi:[0,1]
	v_pk_mul_f32 v[26:27], v[54:55], v[42:43] op_sel_hi:[0,1]
	v_cvt_f16_f32_e32 v18, v25
	v_cvt_f16_f32_e32 v21, v24
	;; [unrolled: 1-line block ×4, first 2 shown]
	v_fma_mixlo_f16 v11, v54, v11, 0
	v_lshlrev_b32_e32 v11, 16, v11
	v_fma_mixlo_f16 v6, v54, v6, 0
	v_or_b32_sdwa v6, v11, v6 dst_sel:DWORD dst_unused:UNUSED_PAD src0_sel:DWORD src1_sel:WORD_0
	v_fma_mixlo_f16 v11, v54, v23, 0
	v_pack_b32_f16 v18, v21, v18
	v_pack_b32_f16 v22, v24, v22
	v_fma_mixlo_f16 v20, v54, v20, 0
	v_lshlrev_b32_e32 v11, 16, v11
	v_perm_b32 v21, v22, v18, s26
	v_perm_b32 v22, v22, v18, s27
	v_or_b32_sdwa v11, v11, v20 dst_sel:DWORD dst_unused:UNUSED_PAD src0_sel:DWORD src1_sel:WORD_0
	s_and_saveexec_b64 s[18:19], vcc
	s_cbranch_execz .LBB296_955
; %bb.954:                              ;   in Loop: Header=BB296_818 Depth=1
	v_lshrrev_b32_e32 v18, 16, v22
	v_cmp_lt_i32_e64 s[0:1], v10, v7
	v_accvgpr_read_b32 v24, a8
	v_lshrrev_b32_e32 v11, 16, v11
	v_cndmask_b32_e64 v18, 0, v18, s[0:1]
	v_cmp_lt_i32_e64 s[0:1], v62, v24
	s_nop 1
	v_cndmask_b32_e64 v22, 0, v22, s[0:1]
	v_perm_b32 v22, v18, v22, s28
	v_lshrrev_b32_e32 v18, 16, v21
	v_cmp_lt_i32_e64 s[0:1], v57, v7
	s_nop 1
	v_cndmask_b32_e64 v18, 0, v18, s[0:1]
	v_cmp_lt_i32_e64 s[0:1], v60, v24
	s_nop 1
	v_cndmask_b32_e64 v21, 0, v21, s[0:1]
	v_perm_b32 v21, v18, v21, s28
	v_lshrrev_b32_e32 v18, 16, v6
	v_cmp_lt_i32_e64 s[0:1], v59, v7
	s_nop 1
	v_cndmask_b32_e64 v18, 0, v18, s[0:1]
	v_cmp_lt_i32_e64 s[0:1], v61, v24
	s_nop 1
	v_cndmask_b32_e64 v6, 0, v6, s[0:1]
	v_cmp_lt_i32_e64 s[0:1], v58, v7
	v_perm_b32 v6, v18, v6, s28
	s_nop 0
	v_cndmask_b32_e64 v11, 0, v11, s[0:1]
	v_cmp_lt_i32_e64 s[0:1], v4, v24
	s_nop 1
	v_cndmask_b32_e64 v18, 0, v20, s[0:1]
	v_perm_b32 v11, v11, v18, s28
.LBB296_955:                            ;   in Loop: Header=BB296_818 Depth=1
	s_or_b64 exec, exec, s[18:19]
	;;#ASMSTART
	v_pk_mul_f16 v18, v50, v22;

	;;#ASMEND
	;;#ASMSTART
	v_pk_mul_f16 v20, v56, v21;

	;;#ASMEND
	;; [unrolled: 4-line block ×4, first 2 shown]
	s_mov_b64 s[0:1], 0
	;;#ASMSTART
	v_pk_add_f16 v18, v18, v20;

	;;#ASMEND
	v_accvgpr_read_b32 v21, a5
	;;#ASMSTART
	v_pk_add_f16 v6, v18, v6;

	;;#ASMEND
	v_accvgpr_read_b32 v20, a4
	;;#ASMSTART
	v_pk_add_f16 v6, v6, v11;

	;;#ASMEND
                                        ; implicit-def: $sgpr22
	s_nop 0
	v_lshrrev_b32_e32 v11, 16, v6
	v_and_b32_e32 v6, 0xffff, v6
	;;#ASMSTART
	v_cvt_f32_f16 v18, v6;
	;;#ASMEND
	;;#ASMSTART
	v_cvt_f32_f16 v30, v11;
	;;#ASMEND
	flat_load_dwordx2 v[40:41], v[52:53] offset:2048
	flat_load_dword v54, v[20:21]
	s_waitcnt vmcnt(0) lgkmcnt(0)
	v_cmp_gt_i16_sdwa s[18:19], v40, s3 src0_sel:BYTE_0 src1_sel:DWORD
	s_and_saveexec_b64 s[20:21], s[18:19]
	s_xor_b64 s[18:19], exec, s[20:21]
	s_cbranch_execnz .LBB296_1355
; %bb.956:                              ;   in Loop: Header=BB296_818 Depth=1
	s_or_saveexec_b64 s[18:19], s[18:19]
	v_mov_b32_e32 v42, s22
	s_xor_b64 exec, exec, s[18:19]
	s_cbranch_execnz .LBB296_1358
.LBB296_957:                            ;   in Loop: Header=BB296_818 Depth=1
	s_or_b64 exec, exec, s[18:19]
	s_and_saveexec_b64 s[18:19], s[0:1]
	s_cbranch_execz .LBB296_959
.LBB296_958:                            ;   in Loop: Header=BB296_818 Depth=1
	v_and_b32_e32 v6, 7, v40
	v_ffbh_u32_e32 v6, v6
	v_bfe_u32 v11, v40, 3, 4
	v_min_u32_e32 v6, 32, v6
	v_subrev_u32_e32 v20, 28, v6
	v_sub_u32_e32 v6, 29, v6
	v_cmp_eq_u32_e64 s[0:1], 0, v11
	s_nop 1
	v_cndmask_b32_e64 v6, v11, v6, s[0:1]
	v_cndmask_b32_e64 v11, 0, v20, s[0:1]
	v_lshlrev_b64 v[20:21], v11, v[40:41]
	v_lshlrev_b32_e32 v11, 7, v20
	v_lshlrev_b32_e32 v20, 8, v40
	v_lshl_add_u32 v6, v6, 10, v19
	v_and_or_b32 v6, v20, s24, v6
	v_and_or_b32 v6, v11, s25, v6
	v_cvt_f32_f16_e32 v42, v6
.LBB296_959:                            ;   in Loop: Header=BB296_818 Depth=1
	s_or_b64 exec, exec, s[18:19]
	v_lshrrev_b16_e32 v28, 8, v40
	v_cmp_lt_i16_e64 s[0:1], s3, v28
	s_mov_b64 s[18:19], 0
                                        ; implicit-def: $sgpr29
	s_and_saveexec_b64 s[20:21], s[0:1]
	s_xor_b64 s[20:21], exec, s[20:21]
	s_cbranch_execnz .LBB296_1359
; %bb.960:                              ;   in Loop: Header=BB296_818 Depth=1
	s_or_saveexec_b64 s[20:21], s[20:21]
	v_mov_b32_e32 v44, s29
	s_xor_b64 exec, exec, s[20:21]
	s_cbranch_execnz .LBB296_1362
.LBB296_961:                            ;   in Loop: Header=BB296_818 Depth=1
	s_or_b64 exec, exec, s[20:21]
	s_and_saveexec_b64 s[20:21], s[18:19]
	s_cbranch_execz .LBB296_963
.LBB296_962:                            ;   in Loop: Header=BB296_818 Depth=1
	v_and_b32_e32 v6, 7, v28
	v_ffbh_u32_e32 v20, v6
	v_min_u32_e32 v22, 32, v20
	v_subrev_u32_e32 v20, 28, v22
	v_bfe_u32 v11, v28, 3, 4
	v_lshlrev_b64 v[20:21], v20, v[28:29]
	v_sub_u32_e32 v21, 29, v22
	v_cmp_eq_u32_e64 s[0:1], 0, v11
	v_and_b32_e32 v20, 7, v20
	s_nop 0
	v_cndmask_b32_e64 v11, v11, v21, s[0:1]
	v_cndmask_b32_e64 v6, v6, v20, s[0:1]
	v_lshlrev_b32_e32 v20, 8, v28
	v_lshl_add_u32 v11, v11, 10, v19
	v_and_or_b32 v11, v20, s24, v11
	v_lshl_or_b32 v6, v6, 7, v11
	v_cvt_f32_f16_e32 v44, v6
.LBB296_963:                            ;   in Loop: Header=BB296_818 Depth=1
	s_or_b64 exec, exec, s[20:21]
	v_lshrrev_b32_e32 v28, 16, v40
	v_cmp_gt_i16_sdwa s[18:19], v28, s3 src0_sel:BYTE_0 src1_sel:DWORD
	s_mov_b64 s[0:1], 0
                                        ; implicit-def: $sgpr22
	s_and_saveexec_b64 s[20:21], s[18:19]
	s_xor_b64 s[18:19], exec, s[20:21]
	s_cbranch_execnz .LBB296_1363
; %bb.964:                              ;   in Loop: Header=BB296_818 Depth=1
	s_or_saveexec_b64 s[18:19], s[18:19]
	v_mov_b32_e32 v43, s22
	s_xor_b64 exec, exec, s[18:19]
	s_cbranch_execnz .LBB296_1366
.LBB296_965:                            ;   in Loop: Header=BB296_818 Depth=1
	s_or_b64 exec, exec, s[18:19]
	s_and_saveexec_b64 s[18:19], s[0:1]
	s_cbranch_execz .LBB296_967
.LBB296_966:                            ;   in Loop: Header=BB296_818 Depth=1
	v_bfe_u32 v6, v40, 16, 3
	v_ffbh_u32_e32 v20, v6
	v_min_u32_e32 v22, 32, v20
	v_subrev_u32_e32 v20, 28, v22
	v_bfe_u32 v11, v40, 19, 4
	v_lshlrev_b64 v[20:21], v20, v[28:29]
	v_sub_u32_e32 v21, 29, v22
	v_cmp_eq_u32_e64 s[0:1], 0, v11
	v_and_b32_e32 v20, 7, v20
	s_nop 0
	v_cndmask_b32_e64 v11, v11, v21, s[0:1]
	v_cndmask_b32_e64 v6, v6, v20, s[0:1]
	v_lshlrev_b32_e32 v20, 8, v28
	v_lshl_add_u32 v11, v11, 10, v19
	v_and_or_b32 v11, v20, s24, v11
	v_lshl_or_b32 v6, v6, 7, v11
	v_cvt_f32_f16_e32 v43, v6
.LBB296_967:                            ;   in Loop: Header=BB296_818 Depth=1
	s_or_b64 exec, exec, s[18:19]
	v_lshrrev_b32_e32 v28, 24, v40
	v_cmp_lt_i16_e64 s[0:1], s3, v28
	s_mov_b64 s[18:19], 0
                                        ; implicit-def: $sgpr29
	s_and_saveexec_b64 s[20:21], s[0:1]
	s_xor_b64 s[20:21], exec, s[20:21]
	s_cbranch_execnz .LBB296_1367
; %bb.968:                              ;   in Loop: Header=BB296_818 Depth=1
	s_or_saveexec_b64 s[20:21], s[20:21]
	v_mov_b32_e32 v45, s29
	s_xor_b64 exec, exec, s[20:21]
	s_cbranch_execnz .LBB296_1370
.LBB296_969:                            ;   in Loop: Header=BB296_818 Depth=1
	s_or_b64 exec, exec, s[20:21]
	s_and_saveexec_b64 s[20:21], s[18:19]
	s_cbranch_execz .LBB296_971
.LBB296_970:                            ;   in Loop: Header=BB296_818 Depth=1
	v_bfe_u32 v6, v40, 24, 3
	v_ffbh_u32_e32 v20, v6
	v_min_u32_e32 v22, 32, v20
	v_subrev_u32_e32 v20, 28, v22
	v_bfe_u32 v11, v40, 27, 4
	v_lshlrev_b64 v[20:21], v20, v[28:29]
	v_sub_u32_e32 v21, 29, v22
	v_cmp_eq_u32_e64 s[0:1], 0, v11
	v_and_b32_e32 v20, 7, v20
	s_nop 0
	v_cndmask_b32_e64 v11, v11, v21, s[0:1]
	v_cndmask_b32_e64 v6, v6, v20, s[0:1]
	v_lshlrev_b32_e32 v20, 8, v28
	v_lshl_add_u32 v11, v11, 10, v19
	v_and_or_b32 v11, v20, s24, v11
	v_lshl_or_b32 v6, v6, 7, v11
	v_cvt_f32_f16_e32 v45, v6
.LBB296_971:                            ;   in Loop: Header=BB296_818 Depth=1
	s_or_b64 exec, exec, s[20:21]
	v_cmp_gt_i16_sdwa s[18:19], v41, s3 src0_sel:BYTE_0 src1_sel:DWORD
	s_mov_b64 s[0:1], 0
                                        ; implicit-def: $sgpr22
	s_and_saveexec_b64 s[20:21], s[18:19]
	s_xor_b64 s[18:19], exec, s[20:21]
	s_cbranch_execnz .LBB296_1371
; %bb.972:                              ;   in Loop: Header=BB296_818 Depth=1
	s_or_saveexec_b64 s[18:19], s[18:19]
	v_mov_b32_e32 v6, s22
	s_xor_b64 exec, exec, s[18:19]
	s_cbranch_execnz .LBB296_1374
.LBB296_973:                            ;   in Loop: Header=BB296_818 Depth=1
	s_or_b64 exec, exec, s[18:19]
	v_mov_b32_e32 v28, v41
	s_and_saveexec_b64 s[18:19], s[0:1]
	s_cbranch_execz .LBB296_975
.LBB296_974:                            ;   in Loop: Header=BB296_818 Depth=1
	v_and_b32_e32 v6, 7, v41
	v_ffbh_u32_e32 v6, v6
	v_bfe_u32 v11, v41, 3, 4
	v_min_u32_e32 v6, 32, v6
	v_subrev_u32_e32 v20, 28, v6
	v_sub_u32_e32 v6, 29, v6
	v_cmp_eq_u32_e64 s[0:1], 0, v11
	s_nop 1
	v_cndmask_b32_e64 v6, v11, v6, s[0:1]
	v_cndmask_b32_e64 v11, 0, v20, s[0:1]
	v_lshlrev_b64 v[20:21], v11, v[28:29]
	v_lshlrev_b32_e32 v11, 7, v20
	v_lshlrev_b32_e32 v20, 8, v41
	v_lshl_add_u32 v6, v6, 10, v19
	v_and_or_b32 v6, v20, s24, v6
	v_and_or_b32 v6, v11, s25, v6
	v_cvt_f32_f16_e32 v6, v6
.LBB296_975:                            ;   in Loop: Header=BB296_818 Depth=1
	s_or_b64 exec, exec, s[18:19]
	v_lshrrev_b16_e32 v28, 8, v28
	v_cmp_lt_i16_e64 s[0:1], s3, v28
	s_mov_b64 s[18:19], 0
                                        ; implicit-def: $sgpr29
	s_and_saveexec_b64 s[20:21], s[0:1]
	s_xor_b64 s[20:21], exec, s[20:21]
	s_cbranch_execnz .LBB296_1375
; %bb.976:                              ;   in Loop: Header=BB296_818 Depth=1
	s_or_saveexec_b64 s[20:21], s[20:21]
	v_mov_b32_e32 v11, s29
	s_xor_b64 exec, exec, s[20:21]
	s_cbranch_execnz .LBB296_1378
.LBB296_977:                            ;   in Loop: Header=BB296_818 Depth=1
	s_or_b64 exec, exec, s[20:21]
	s_and_saveexec_b64 s[20:21], s[18:19]
	s_cbranch_execz .LBB296_979
.LBB296_978:                            ;   in Loop: Header=BB296_818 Depth=1
	v_and_b32_e32 v11, 7, v28
	v_ffbh_u32_e32 v20, v11
	v_min_u32_e32 v23, 32, v20
	v_subrev_u32_e32 v20, 28, v23
	v_bfe_u32 v22, v28, 3, 4
	v_lshlrev_b64 v[20:21], v20, v[28:29]
	v_sub_u32_e32 v21, 29, v23
	v_cmp_eq_u32_e64 s[0:1], 0, v22
	v_and_b32_e32 v20, 7, v20
	s_nop 0
	v_cndmask_b32_e64 v21, v22, v21, s[0:1]
	v_cndmask_b32_e64 v11, v11, v20, s[0:1]
	v_lshlrev_b32_e32 v20, 8, v28
	v_lshl_add_u32 v21, v21, 10, v19
	v_and_or_b32 v20, v20, s24, v21
	v_lshl_or_b32 v11, v11, 7, v20
	v_cvt_f32_f16_e32 v11, v11
.LBB296_979:                            ;   in Loop: Header=BB296_818 Depth=1
	s_or_b64 exec, exec, s[20:21]
	v_lshrrev_b32_e32 v28, 16, v41
	v_cmp_gt_i16_sdwa s[18:19], v28, s3 src0_sel:BYTE_0 src1_sel:DWORD
	s_mov_b64 s[0:1], 0
                                        ; implicit-def: $sgpr22
	s_and_saveexec_b64 s[20:21], s[18:19]
	s_xor_b64 s[18:19], exec, s[20:21]
	s_cbranch_execnz .LBB296_1379
; %bb.980:                              ;   in Loop: Header=BB296_818 Depth=1
	s_or_saveexec_b64 s[18:19], s[18:19]
	v_mov_b32_e32 v20, s22
	s_xor_b64 exec, exec, s[18:19]
	s_cbranch_execnz .LBB296_1382
.LBB296_981:                            ;   in Loop: Header=BB296_818 Depth=1
	s_or_b64 exec, exec, s[18:19]
	s_and_saveexec_b64 s[18:19], s[0:1]
	s_cbranch_execz .LBB296_983
.LBB296_982:                            ;   in Loop: Header=BB296_818 Depth=1
	v_bfe_u32 v22, v41, 16, 3
	v_ffbh_u32_e32 v20, v22
	v_min_u32_e32 v24, 32, v20
	v_subrev_u32_e32 v20, 28, v24
	v_bfe_u32 v23, v41, 19, 4
	v_lshlrev_b64 v[20:21], v20, v[28:29]
	v_sub_u32_e32 v21, 29, v24
	v_cmp_eq_u32_e64 s[0:1], 0, v23
	v_and_b32_e32 v20, 7, v20
	s_nop 0
	v_cndmask_b32_e64 v21, v23, v21, s[0:1]
	v_cndmask_b32_e64 v20, v22, v20, s[0:1]
	v_lshlrev_b32_e32 v22, 8, v28
	v_lshl_add_u32 v21, v21, 10, v19
	v_and_or_b32 v21, v22, s24, v21
	v_lshl_or_b32 v20, v20, 7, v21
	v_cvt_f32_f16_e32 v20, v20
.LBB296_983:                            ;   in Loop: Header=BB296_818 Depth=1
	s_or_b64 exec, exec, s[18:19]
	v_lshrrev_b32_e32 v28, 24, v41
	v_cmp_lt_i16_e64 s[0:1], s3, v28
	s_mov_b64 s[18:19], 0
                                        ; implicit-def: $sgpr29
	s_and_saveexec_b64 s[20:21], s[0:1]
	s_xor_b64 s[20:21], exec, s[20:21]
	s_cbranch_execnz .LBB296_1383
; %bb.984:                              ;   in Loop: Header=BB296_818 Depth=1
	s_or_saveexec_b64 s[20:21], s[20:21]
	v_mov_b32_e32 v23, s29
	s_xor_b64 exec, exec, s[20:21]
	s_cbranch_execnz .LBB296_1386
.LBB296_985:                            ;   in Loop: Header=BB296_818 Depth=1
	s_or_b64 exec, exec, s[20:21]
	s_and_saveexec_b64 s[20:21], s[18:19]
	s_cbranch_execz .LBB296_987
.LBB296_986:                            ;   in Loop: Header=BB296_818 Depth=1
	v_bfe_u32 v21, v41, 24, 3
	v_ffbh_u32_e32 v22, v21
	v_min_u32_e32 v25, 32, v22
	v_subrev_u32_e32 v22, 28, v25
	v_bfe_u32 v24, v41, 27, 4
	v_lshlrev_b64 v[22:23], v22, v[28:29]
	v_sub_u32_e32 v23, 29, v25
	v_cmp_eq_u32_e64 s[0:1], 0, v24
	v_and_b32_e32 v22, 7, v22
	s_nop 0
	v_cndmask_b32_e64 v23, v24, v23, s[0:1]
	v_cndmask_b32_e64 v21, v21, v22, s[0:1]
	v_lshlrev_b32_e32 v22, 8, v28
	v_lshl_add_u32 v23, v23, 10, v19
	v_and_or_b32 v22, v22, s24, v23
	v_lshl_or_b32 v21, v21, 7, v22
	v_cvt_f32_f16_e32 v23, v21
.LBB296_987:                            ;   in Loop: Header=BB296_818 Depth=1
	s_or_b64 exec, exec, s[20:21]
	v_pk_mul_f32 v[24:25], v[54:55], v[44:45] op_sel_hi:[0,1]
	v_pk_mul_f32 v[26:27], v[54:55], v[42:43] op_sel_hi:[0,1]
	v_cvt_f16_f32_e32 v21, v25
	v_cvt_f16_f32_e32 v22, v24
	v_cvt_f16_f32_e32 v24, v27
	v_cvt_f16_f32_e32 v25, v26
	v_fma_mixlo_f16 v11, v54, v11, 0
	v_lshlrev_b32_e32 v11, 16, v11
	v_fma_mixlo_f16 v6, v54, v6, 0
	v_or_b32_sdwa v6, v11, v6 dst_sel:DWORD dst_unused:UNUSED_PAD src0_sel:DWORD src1_sel:WORD_0
	v_fma_mixlo_f16 v11, v54, v23, 0
	v_pack_b32_f16 v22, v22, v21
	v_pack_b32_f16 v24, v25, v24
	v_fma_mixlo_f16 v20, v54, v20, 0
	v_lshlrev_b32_e32 v11, 16, v11
	v_perm_b32 v21, v24, v22, s26
	v_perm_b32 v22, v24, v22, s27
	v_or_b32_sdwa v11, v11, v20 dst_sel:DWORD dst_unused:UNUSED_PAD src0_sel:DWORD src1_sel:WORD_0
	s_and_saveexec_b64 s[18:19], vcc
	s_cbranch_execz .LBB296_989
; %bb.988:                              ;   in Loop: Header=BB296_818 Depth=1
	v_lshrrev_b32_e32 v23, 16, v22
	v_cmp_lt_i32_e64 s[0:1], v10, v7
	v_accvgpr_read_b32 v24, a8
	v_lshrrev_b32_e32 v11, 16, v11
	v_cndmask_b32_e64 v23, 0, v23, s[0:1]
	v_cmp_lt_i32_e64 s[0:1], v62, v24
	s_nop 1
	v_cndmask_b32_e64 v22, 0, v22, s[0:1]
	v_perm_b32 v22, v23, v22, s28
	v_lshrrev_b32_e32 v23, 16, v21
	v_cmp_lt_i32_e64 s[0:1], v57, v7
	s_nop 1
	v_cndmask_b32_e64 v23, 0, v23, s[0:1]
	v_cmp_lt_i32_e64 s[0:1], v60, v24
	s_nop 1
	v_cndmask_b32_e64 v21, 0, v21, s[0:1]
	v_perm_b32 v21, v23, v21, s28
	v_lshrrev_b32_e32 v23, 16, v6
	v_cmp_lt_i32_e64 s[0:1], v59, v7
	s_nop 1
	v_cndmask_b32_e64 v23, 0, v23, s[0:1]
	v_cmp_lt_i32_e64 s[0:1], v61, v24
	s_nop 1
	v_cndmask_b32_e64 v6, 0, v6, s[0:1]
	v_cmp_lt_i32_e64 s[0:1], v58, v7
	v_perm_b32 v6, v23, v6, s28
	s_nop 0
	v_cndmask_b32_e64 v11, 0, v11, s[0:1]
	v_cmp_lt_i32_e64 s[0:1], v4, v24
	s_nop 1
	v_cndmask_b32_e64 v20, 0, v20, s[0:1]
	v_perm_b32 v11, v11, v20, s28
.LBB296_989:                            ;   in Loop: Header=BB296_818 Depth=1
	s_or_b64 exec, exec, s[18:19]
	;;#ASMSTART
	v_pk_mul_f16 v20, v50, v22;

	;;#ASMEND
	;;#ASMSTART
	v_pk_mul_f16 v21, v56, v21;

	;;#ASMEND
	;; [unrolled: 4-line block ×4, first 2 shown]
	s_mov_b64 s[0:1], 0
	;;#ASMSTART
	v_pk_add_f16 v20, v20, v21;

	;;#ASMEND
                                        ; implicit-def: $sgpr22
	s_nop 0
	;;#ASMSTART
	v_pk_add_f16 v6, v20, v6;

	;;#ASMEND
	v_accvgpr_read_b32 v21, a5
	;;#ASMSTART
	v_pk_add_f16 v6, v6, v11;

	;;#ASMEND
	v_accvgpr_read_b32 v20, a4
	v_lshrrev_b32_e32 v11, 16, v6
	v_and_b32_e32 v6, 0xffff, v6
	;;#ASMSTART
	v_cvt_f32_f16 v22, v6;
	;;#ASMEND
	;;#ASMSTART
	v_cvt_f32_f16 v31, v11;
	;;#ASMEND
	flat_load_dwordx2 v[40:41], v[52:53] offset:2560
	flat_load_dword v54, v[20:21]
	s_waitcnt vmcnt(0) lgkmcnt(0)
	v_cmp_gt_i16_sdwa s[18:19], v40, s3 src0_sel:BYTE_0 src1_sel:DWORD
	s_and_saveexec_b64 s[20:21], s[18:19]
	s_xor_b64 s[18:19], exec, s[20:21]
	s_cbranch_execnz .LBB296_1387
; %bb.990:                              ;   in Loop: Header=BB296_818 Depth=1
	s_or_saveexec_b64 s[18:19], s[18:19]
	v_mov_b32_e32 v42, s22
	s_xor_b64 exec, exec, s[18:19]
	s_cbranch_execnz .LBB296_1390
.LBB296_991:                            ;   in Loop: Header=BB296_818 Depth=1
	s_or_b64 exec, exec, s[18:19]
	s_and_saveexec_b64 s[18:19], s[0:1]
	s_cbranch_execz .LBB296_993
.LBB296_992:                            ;   in Loop: Header=BB296_818 Depth=1
	v_and_b32_e32 v6, 7, v40
	v_ffbh_u32_e32 v6, v6
	v_bfe_u32 v11, v40, 3, 4
	v_min_u32_e32 v6, 32, v6
	v_subrev_u32_e32 v20, 28, v6
	v_sub_u32_e32 v6, 29, v6
	v_cmp_eq_u32_e64 s[0:1], 0, v11
	s_nop 1
	v_cndmask_b32_e64 v6, v11, v6, s[0:1]
	v_cndmask_b32_e64 v11, 0, v20, s[0:1]
	v_lshlrev_b64 v[20:21], v11, v[40:41]
	v_lshlrev_b32_e32 v11, 7, v20
	v_lshlrev_b32_e32 v20, 8, v40
	v_lshl_add_u32 v6, v6, 10, v19
	v_and_or_b32 v6, v20, s24, v6
	v_and_or_b32 v6, v11, s25, v6
	v_cvt_f32_f16_e32 v42, v6
.LBB296_993:                            ;   in Loop: Header=BB296_818 Depth=1
	s_or_b64 exec, exec, s[18:19]
	v_lshrrev_b16_e32 v28, 8, v40
	v_cmp_lt_i16_e64 s[0:1], s3, v28
	s_mov_b64 s[18:19], 0
                                        ; implicit-def: $sgpr29
	s_and_saveexec_b64 s[20:21], s[0:1]
	s_xor_b64 s[20:21], exec, s[20:21]
	s_cbranch_execnz .LBB296_1391
; %bb.994:                              ;   in Loop: Header=BB296_818 Depth=1
	s_or_saveexec_b64 s[20:21], s[20:21]
	v_mov_b32_e32 v44, s29
	s_xor_b64 exec, exec, s[20:21]
	s_cbranch_execnz .LBB296_1394
.LBB296_995:                            ;   in Loop: Header=BB296_818 Depth=1
	s_or_b64 exec, exec, s[20:21]
	s_and_saveexec_b64 s[20:21], s[18:19]
	s_cbranch_execz .LBB296_997
.LBB296_996:                            ;   in Loop: Header=BB296_818 Depth=1
	v_and_b32_e32 v6, 7, v28
	v_ffbh_u32_e32 v20, v6
	v_min_u32_e32 v23, 32, v20
	v_subrev_u32_e32 v20, 28, v23
	v_bfe_u32 v11, v28, 3, 4
	v_lshlrev_b64 v[20:21], v20, v[28:29]
	v_sub_u32_e32 v21, 29, v23
	v_cmp_eq_u32_e64 s[0:1], 0, v11
	v_and_b32_e32 v20, 7, v20
	s_nop 0
	v_cndmask_b32_e64 v11, v11, v21, s[0:1]
	v_cndmask_b32_e64 v6, v6, v20, s[0:1]
	v_lshlrev_b32_e32 v20, 8, v28
	v_lshl_add_u32 v11, v11, 10, v19
	v_and_or_b32 v11, v20, s24, v11
	v_lshl_or_b32 v6, v6, 7, v11
	v_cvt_f32_f16_e32 v44, v6
.LBB296_997:                            ;   in Loop: Header=BB296_818 Depth=1
	s_or_b64 exec, exec, s[20:21]
	v_lshrrev_b32_e32 v28, 16, v40
	v_cmp_gt_i16_sdwa s[18:19], v28, s3 src0_sel:BYTE_0 src1_sel:DWORD
	s_mov_b64 s[0:1], 0
                                        ; implicit-def: $sgpr22
	s_and_saveexec_b64 s[20:21], s[18:19]
	s_xor_b64 s[18:19], exec, s[20:21]
	s_cbranch_execnz .LBB296_1395
; %bb.998:                              ;   in Loop: Header=BB296_818 Depth=1
	s_or_saveexec_b64 s[18:19], s[18:19]
	v_mov_b32_e32 v43, s22
	s_xor_b64 exec, exec, s[18:19]
	s_cbranch_execnz .LBB296_1398
.LBB296_999:                            ;   in Loop: Header=BB296_818 Depth=1
	s_or_b64 exec, exec, s[18:19]
	s_and_saveexec_b64 s[18:19], s[0:1]
	s_cbranch_execz .LBB296_1001
.LBB296_1000:                           ;   in Loop: Header=BB296_818 Depth=1
	v_bfe_u32 v6, v40, 16, 3
	v_ffbh_u32_e32 v20, v6
	v_min_u32_e32 v23, 32, v20
	v_subrev_u32_e32 v20, 28, v23
	v_bfe_u32 v11, v40, 19, 4
	v_lshlrev_b64 v[20:21], v20, v[28:29]
	v_sub_u32_e32 v21, 29, v23
	v_cmp_eq_u32_e64 s[0:1], 0, v11
	v_and_b32_e32 v20, 7, v20
	s_nop 0
	v_cndmask_b32_e64 v11, v11, v21, s[0:1]
	v_cndmask_b32_e64 v6, v6, v20, s[0:1]
	v_lshlrev_b32_e32 v20, 8, v28
	v_lshl_add_u32 v11, v11, 10, v19
	v_and_or_b32 v11, v20, s24, v11
	v_lshl_or_b32 v6, v6, 7, v11
	v_cvt_f32_f16_e32 v43, v6
.LBB296_1001:                           ;   in Loop: Header=BB296_818 Depth=1
	s_or_b64 exec, exec, s[18:19]
	v_lshrrev_b32_e32 v28, 24, v40
	v_cmp_lt_i16_e64 s[0:1], s3, v28
	s_mov_b64 s[18:19], 0
                                        ; implicit-def: $sgpr29
	s_and_saveexec_b64 s[20:21], s[0:1]
	s_xor_b64 s[20:21], exec, s[20:21]
	s_cbranch_execnz .LBB296_1399
; %bb.1002:                             ;   in Loop: Header=BB296_818 Depth=1
	s_or_saveexec_b64 s[20:21], s[20:21]
	v_mov_b32_e32 v45, s29
	s_xor_b64 exec, exec, s[20:21]
	s_cbranch_execnz .LBB296_1402
.LBB296_1003:                           ;   in Loop: Header=BB296_818 Depth=1
	s_or_b64 exec, exec, s[20:21]
	s_and_saveexec_b64 s[20:21], s[18:19]
	s_cbranch_execz .LBB296_1005
.LBB296_1004:                           ;   in Loop: Header=BB296_818 Depth=1
	v_bfe_u32 v6, v40, 24, 3
	v_ffbh_u32_e32 v20, v6
	v_min_u32_e32 v23, 32, v20
	v_subrev_u32_e32 v20, 28, v23
	v_bfe_u32 v11, v40, 27, 4
	v_lshlrev_b64 v[20:21], v20, v[28:29]
	v_sub_u32_e32 v21, 29, v23
	v_cmp_eq_u32_e64 s[0:1], 0, v11
	v_and_b32_e32 v20, 7, v20
	s_nop 0
	v_cndmask_b32_e64 v11, v11, v21, s[0:1]
	v_cndmask_b32_e64 v6, v6, v20, s[0:1]
	v_lshlrev_b32_e32 v20, 8, v28
	v_lshl_add_u32 v11, v11, 10, v19
	v_and_or_b32 v11, v20, s24, v11
	v_lshl_or_b32 v6, v6, 7, v11
	v_cvt_f32_f16_e32 v45, v6
.LBB296_1005:                           ;   in Loop: Header=BB296_818 Depth=1
	s_or_b64 exec, exec, s[20:21]
	v_cmp_gt_i16_sdwa s[18:19], v41, s3 src0_sel:BYTE_0 src1_sel:DWORD
	s_mov_b64 s[0:1], 0
                                        ; implicit-def: $sgpr22
	s_and_saveexec_b64 s[20:21], s[18:19]
	s_xor_b64 s[18:19], exec, s[20:21]
	s_cbranch_execnz .LBB296_1403
; %bb.1006:                             ;   in Loop: Header=BB296_818 Depth=1
	s_or_saveexec_b64 s[18:19], s[18:19]
	v_mov_b32_e32 v6, s22
	s_xor_b64 exec, exec, s[18:19]
	s_cbranch_execnz .LBB296_1406
.LBB296_1007:                           ;   in Loop: Header=BB296_818 Depth=1
	s_or_b64 exec, exec, s[18:19]
	v_mov_b32_e32 v28, v41
	s_and_saveexec_b64 s[18:19], s[0:1]
	s_cbranch_execz .LBB296_1009
.LBB296_1008:                           ;   in Loop: Header=BB296_818 Depth=1
	v_and_b32_e32 v6, 7, v41
	v_ffbh_u32_e32 v6, v6
	v_bfe_u32 v11, v41, 3, 4
	v_min_u32_e32 v6, 32, v6
	v_subrev_u32_e32 v20, 28, v6
	v_sub_u32_e32 v6, 29, v6
	v_cmp_eq_u32_e64 s[0:1], 0, v11
	s_nop 1
	v_cndmask_b32_e64 v6, v11, v6, s[0:1]
	v_cndmask_b32_e64 v11, 0, v20, s[0:1]
	v_lshlrev_b64 v[20:21], v11, v[28:29]
	v_lshlrev_b32_e32 v11, 7, v20
	v_lshlrev_b32_e32 v20, 8, v41
	v_lshl_add_u32 v6, v6, 10, v19
	v_and_or_b32 v6, v20, s24, v6
	v_and_or_b32 v6, v11, s25, v6
	v_cvt_f32_f16_e32 v6, v6
.LBB296_1009:                           ;   in Loop: Header=BB296_818 Depth=1
	s_or_b64 exec, exec, s[18:19]
	v_lshrrev_b16_e32 v28, 8, v28
	v_cmp_lt_i16_e64 s[0:1], s3, v28
	s_mov_b64 s[18:19], 0
                                        ; implicit-def: $sgpr29
	s_and_saveexec_b64 s[20:21], s[0:1]
	s_xor_b64 s[20:21], exec, s[20:21]
	s_cbranch_execnz .LBB296_1407
; %bb.1010:                             ;   in Loop: Header=BB296_818 Depth=1
	s_or_saveexec_b64 s[20:21], s[20:21]
	v_mov_b32_e32 v11, s29
	s_xor_b64 exec, exec, s[20:21]
	s_cbranch_execnz .LBB296_1410
.LBB296_1011:                           ;   in Loop: Header=BB296_818 Depth=1
	s_or_b64 exec, exec, s[20:21]
	s_and_saveexec_b64 s[20:21], s[18:19]
	s_cbranch_execz .LBB296_1013
.LBB296_1012:                           ;   in Loop: Header=BB296_818 Depth=1
	v_and_b32_e32 v11, 7, v28
	v_ffbh_u32_e32 v20, v11
	v_min_u32_e32 v24, 32, v20
	v_subrev_u32_e32 v20, 28, v24
	v_bfe_u32 v23, v28, 3, 4
	v_lshlrev_b64 v[20:21], v20, v[28:29]
	v_sub_u32_e32 v21, 29, v24
	v_cmp_eq_u32_e64 s[0:1], 0, v23
	v_and_b32_e32 v20, 7, v20
	s_nop 0
	v_cndmask_b32_e64 v21, v23, v21, s[0:1]
	v_cndmask_b32_e64 v11, v11, v20, s[0:1]
	v_lshlrev_b32_e32 v20, 8, v28
	v_lshl_add_u32 v21, v21, 10, v19
	v_and_or_b32 v20, v20, s24, v21
	v_lshl_or_b32 v11, v11, 7, v20
	v_cvt_f32_f16_e32 v11, v11
.LBB296_1013:                           ;   in Loop: Header=BB296_818 Depth=1
	s_or_b64 exec, exec, s[20:21]
	v_lshrrev_b32_e32 v28, 16, v41
	v_cmp_gt_i16_sdwa s[18:19], v28, s3 src0_sel:BYTE_0 src1_sel:DWORD
	s_mov_b64 s[0:1], 0
                                        ; implicit-def: $sgpr22
	s_and_saveexec_b64 s[20:21], s[18:19]
	s_xor_b64 s[18:19], exec, s[20:21]
	s_cbranch_execnz .LBB296_1411
; %bb.1014:                             ;   in Loop: Header=BB296_818 Depth=1
	s_or_saveexec_b64 s[18:19], s[18:19]
	v_mov_b32_e32 v20, s22
	s_xor_b64 exec, exec, s[18:19]
	s_cbranch_execnz .LBB296_1414
.LBB296_1015:                           ;   in Loop: Header=BB296_818 Depth=1
	s_or_b64 exec, exec, s[18:19]
	s_and_saveexec_b64 s[18:19], s[0:1]
	s_cbranch_execz .LBB296_1017
.LBB296_1016:                           ;   in Loop: Header=BB296_818 Depth=1
	v_bfe_u32 v23, v41, 16, 3
	v_ffbh_u32_e32 v20, v23
	v_min_u32_e32 v25, 32, v20
	v_subrev_u32_e32 v20, 28, v25
	v_bfe_u32 v24, v41, 19, 4
	v_lshlrev_b64 v[20:21], v20, v[28:29]
	v_sub_u32_e32 v21, 29, v25
	v_cmp_eq_u32_e64 s[0:1], 0, v24
	v_and_b32_e32 v20, 7, v20
	s_nop 0
	v_cndmask_b32_e64 v21, v24, v21, s[0:1]
	v_cndmask_b32_e64 v20, v23, v20, s[0:1]
	v_lshlrev_b32_e32 v23, 8, v28
	v_lshl_add_u32 v21, v21, 10, v19
	v_and_or_b32 v21, v23, s24, v21
	v_lshl_or_b32 v20, v20, 7, v21
	v_cvt_f32_f16_e32 v20, v20
.LBB296_1017:                           ;   in Loop: Header=BB296_818 Depth=1
	s_or_b64 exec, exec, s[18:19]
	v_lshrrev_b32_e32 v28, 24, v41
	v_cmp_lt_i16_e64 s[0:1], s3, v28
	s_mov_b64 s[18:19], 0
                                        ; implicit-def: $sgpr29
	s_and_saveexec_b64 s[20:21], s[0:1]
	s_xor_b64 s[20:21], exec, s[20:21]
	s_cbranch_execnz .LBB296_1415
; %bb.1018:                             ;   in Loop: Header=BB296_818 Depth=1
	s_or_saveexec_b64 s[20:21], s[20:21]
	v_mov_b32_e32 v24, s29
	s_xor_b64 exec, exec, s[20:21]
	s_cbranch_execnz .LBB296_1418
.LBB296_1019:                           ;   in Loop: Header=BB296_818 Depth=1
	s_or_b64 exec, exec, s[20:21]
	s_and_saveexec_b64 s[20:21], s[18:19]
	s_cbranch_execz .LBB296_1021
.LBB296_1020:                           ;   in Loop: Header=BB296_818 Depth=1
	v_bfe_u32 v21, v41, 24, 3
	v_ffbh_u32_e32 v24, v21
	v_min_u32_e32 v26, 32, v24
	v_subrev_u32_e32 v24, 28, v26
	v_bfe_u32 v23, v41, 27, 4
	v_lshlrev_b64 v[24:25], v24, v[28:29]
	v_sub_u32_e32 v25, 29, v26
	v_cmp_eq_u32_e64 s[0:1], 0, v23
	v_and_b32_e32 v24, 7, v24
	s_nop 0
	v_cndmask_b32_e64 v23, v23, v25, s[0:1]
	v_cndmask_b32_e64 v21, v21, v24, s[0:1]
	v_lshlrev_b32_e32 v24, 8, v28
	v_lshl_add_u32 v23, v23, 10, v19
	v_and_or_b32 v23, v24, s24, v23
	v_lshl_or_b32 v21, v21, 7, v23
	v_cvt_f32_f16_e32 v24, v21
.LBB296_1021:                           ;   in Loop: Header=BB296_818 Depth=1
	s_or_b64 exec, exec, s[20:21]
	v_pk_mul_f32 v[26:27], v[54:55], v[44:45] op_sel_hi:[0,1]
	v_pk_mul_f32 v[40:41], v[54:55], v[42:43] op_sel_hi:[0,1]
	v_cvt_f16_f32_e32 v21, v27
	v_cvt_f16_f32_e32 v23, v26
	;; [unrolled: 1-line block ×4, first 2 shown]
	v_fma_mixlo_f16 v11, v54, v11, 0
	v_lshlrev_b32_e32 v11, 16, v11
	v_fma_mixlo_f16 v6, v54, v6, 0
	v_or_b32_sdwa v6, v11, v6 dst_sel:DWORD dst_unused:UNUSED_PAD src0_sel:DWORD src1_sel:WORD_0
	v_fma_mixlo_f16 v11, v54, v24, 0
	v_pack_b32_f16 v23, v23, v21
	v_pack_b32_f16 v25, v26, v25
	v_fma_mixlo_f16 v20, v54, v20, 0
	v_lshlrev_b32_e32 v11, 16, v11
	v_perm_b32 v21, v25, v23, s26
	v_perm_b32 v23, v25, v23, s27
	v_or_b32_sdwa v11, v11, v20 dst_sel:DWORD dst_unused:UNUSED_PAD src0_sel:DWORD src1_sel:WORD_0
	s_and_saveexec_b64 s[18:19], vcc
	s_cbranch_execz .LBB296_1023
; %bb.1022:                             ;   in Loop: Header=BB296_818 Depth=1
	v_lshrrev_b32_e32 v24, 16, v23
	v_cmp_lt_i32_e64 s[0:1], v10, v7
	v_accvgpr_read_b32 v26, a8
	v_lshrrev_b32_e32 v11, 16, v11
	v_cndmask_b32_e64 v24, 0, v24, s[0:1]
	v_cmp_lt_i32_e64 s[0:1], v62, v26
	s_nop 1
	v_cndmask_b32_e64 v23, 0, v23, s[0:1]
	v_perm_b32 v23, v24, v23, s28
	v_lshrrev_b32_e32 v24, 16, v21
	v_cmp_lt_i32_e64 s[0:1], v57, v7
	s_nop 1
	v_cndmask_b32_e64 v24, 0, v24, s[0:1]
	v_cmp_lt_i32_e64 s[0:1], v60, v26
	s_nop 1
	v_cndmask_b32_e64 v21, 0, v21, s[0:1]
	v_perm_b32 v21, v24, v21, s28
	v_lshrrev_b32_e32 v24, 16, v6
	v_cmp_lt_i32_e64 s[0:1], v59, v7
	s_nop 1
	v_cndmask_b32_e64 v24, 0, v24, s[0:1]
	v_cmp_lt_i32_e64 s[0:1], v61, v26
	s_nop 1
	v_cndmask_b32_e64 v6, 0, v6, s[0:1]
	v_cmp_lt_i32_e64 s[0:1], v58, v7
	v_perm_b32 v6, v24, v6, s28
	s_nop 0
	v_cndmask_b32_e64 v11, 0, v11, s[0:1]
	v_cmp_lt_i32_e64 s[0:1], v4, v26
	s_nop 1
	v_cndmask_b32_e64 v20, 0, v20, s[0:1]
	v_perm_b32 v11, v11, v20, s28
.LBB296_1023:                           ;   in Loop: Header=BB296_818 Depth=1
	s_or_b64 exec, exec, s[18:19]
	;;#ASMSTART
	v_pk_mul_f16 v20, v50, v23;

	;;#ASMEND
	;;#ASMSTART
	v_pk_mul_f16 v21, v56, v21;

	;;#ASMEND
	;; [unrolled: 4-line block ×4, first 2 shown]
	v_accvgpr_read_b32 v25, a5
	;;#ASMSTART
	v_pk_add_f16 v20, v20, v21;

	;;#ASMEND
	v_accvgpr_read_b32 v24, a4
	;;#ASMSTART
	v_pk_add_f16 v6, v20, v6;

	;;#ASMEND
	s_mov_b64 s[0:1], 0
	;;#ASMSTART
	v_pk_add_f16 v6, v6, v11;

	;;#ASMEND
                                        ; implicit-def: $sgpr22
	s_nop 0
	v_lshrrev_b32_e32 v11, 16, v6
	v_and_b32_e32 v6, 0xffff, v6
	;;#ASMSTART
	v_cvt_f32_f16 v6, v6;
	;;#ASMEND
	;;#ASMSTART
	v_cvt_f32_f16 v20, v11;
	;;#ASMEND
	flat_load_dwordx2 v[40:41], v[52:53] offset:3072
	flat_load_dword v54, v[24:25]
	s_waitcnt vmcnt(0) lgkmcnt(0)
	v_cmp_gt_i16_sdwa s[18:19], v40, s3 src0_sel:BYTE_0 src1_sel:DWORD
	s_and_saveexec_b64 s[20:21], s[18:19]
	s_xor_b64 s[18:19], exec, s[20:21]
	s_cbranch_execnz .LBB296_1419
; %bb.1024:                             ;   in Loop: Header=BB296_818 Depth=1
	s_or_saveexec_b64 s[18:19], s[18:19]
	v_mov_b32_e32 v42, s22
	s_xor_b64 exec, exec, s[18:19]
	s_cbranch_execnz .LBB296_1422
.LBB296_1025:                           ;   in Loop: Header=BB296_818 Depth=1
	s_or_b64 exec, exec, s[18:19]
	s_and_saveexec_b64 s[18:19], s[0:1]
	s_cbranch_execz .LBB296_1027
.LBB296_1026:                           ;   in Loop: Header=BB296_818 Depth=1
	v_and_b32_e32 v11, 7, v40
	v_ffbh_u32_e32 v11, v11
	v_bfe_u32 v21, v40, 3, 4
	v_min_u32_e32 v11, 32, v11
	v_subrev_u32_e32 v23, 28, v11
	v_sub_u32_e32 v11, 29, v11
	v_cmp_eq_u32_e64 s[0:1], 0, v21
	s_nop 1
	v_cndmask_b32_e64 v11, v21, v11, s[0:1]
	v_cndmask_b32_e64 v21, 0, v23, s[0:1]
	v_lshlrev_b64 v[24:25], v21, v[40:41]
	v_lshlrev_b32_e32 v23, 8, v40
	v_lshl_add_u32 v11, v11, 10, v19
	v_lshlrev_b32_e32 v21, 7, v24
	v_and_or_b32 v11, v23, s24, v11
	v_and_or_b32 v11, v21, s25, v11
	v_cvt_f32_f16_e32 v42, v11
.LBB296_1027:                           ;   in Loop: Header=BB296_818 Depth=1
	s_or_b64 exec, exec, s[18:19]
	v_lshrrev_b16_e32 v28, 8, v40
	v_cmp_lt_i16_e64 s[0:1], s3, v28
	s_mov_b64 s[18:19], 0
                                        ; implicit-def: $sgpr29
	s_and_saveexec_b64 s[20:21], s[0:1]
	s_xor_b64 s[20:21], exec, s[20:21]
	s_cbranch_execnz .LBB296_1423
; %bb.1028:                             ;   in Loop: Header=BB296_818 Depth=1
	s_or_saveexec_b64 s[20:21], s[20:21]
	v_mov_b32_e32 v44, s29
	s_xor_b64 exec, exec, s[20:21]
	s_cbranch_execnz .LBB296_1426
.LBB296_1029:                           ;   in Loop: Header=BB296_818 Depth=1
	s_or_b64 exec, exec, s[20:21]
	s_and_saveexec_b64 s[20:21], s[18:19]
	s_cbranch_execz .LBB296_1031
.LBB296_1030:                           ;   in Loop: Header=BB296_818 Depth=1
	v_and_b32_e32 v11, 7, v28
	v_ffbh_u32_e32 v23, v11
	v_bfe_u32 v21, v28, 3, 4
	v_min_u32_e32 v23, 32, v23
	v_subrev_u32_e32 v24, 28, v23
	v_sub_u32_e32 v23, 29, v23
	v_cmp_eq_u32_e64 s[0:1], 0, v21
	v_lshlrev_b64 v[24:25], v24, v[28:29]
	v_and_b32_e32 v24, 7, v24
	v_cndmask_b32_e64 v21, v21, v23, s[0:1]
	v_lshlrev_b32_e32 v23, 8, v28
	v_lshl_add_u32 v21, v21, 10, v19
	v_cndmask_b32_e64 v11, v11, v24, s[0:1]
	v_and_or_b32 v21, v23, s24, v21
	v_lshl_or_b32 v11, v11, 7, v21
	v_cvt_f32_f16_e32 v44, v11
.LBB296_1031:                           ;   in Loop: Header=BB296_818 Depth=1
	s_or_b64 exec, exec, s[20:21]
	v_lshrrev_b32_e32 v28, 16, v40
	v_cmp_gt_i16_sdwa s[18:19], v28, s3 src0_sel:BYTE_0 src1_sel:DWORD
	s_mov_b64 s[0:1], 0
                                        ; implicit-def: $sgpr22
	s_and_saveexec_b64 s[20:21], s[18:19]
	s_xor_b64 s[18:19], exec, s[20:21]
	s_cbranch_execnz .LBB296_1427
; %bb.1032:                             ;   in Loop: Header=BB296_818 Depth=1
	s_or_saveexec_b64 s[18:19], s[18:19]
	v_mov_b32_e32 v43, s22
	s_xor_b64 exec, exec, s[18:19]
	s_cbranch_execnz .LBB296_1430
.LBB296_1033:                           ;   in Loop: Header=BB296_818 Depth=1
	s_or_b64 exec, exec, s[18:19]
	s_and_saveexec_b64 s[18:19], s[0:1]
	s_cbranch_execz .LBB296_1035
.LBB296_1034:                           ;   in Loop: Header=BB296_818 Depth=1
	v_bfe_u32 v11, v40, 16, 3
	v_ffbh_u32_e32 v23, v11
	v_bfe_u32 v21, v40, 19, 4
	v_min_u32_e32 v23, 32, v23
	v_subrev_u32_e32 v24, 28, v23
	v_sub_u32_e32 v23, 29, v23
	v_cmp_eq_u32_e64 s[0:1], 0, v21
	v_lshlrev_b64 v[24:25], v24, v[28:29]
	v_and_b32_e32 v24, 7, v24
	v_cndmask_b32_e64 v21, v21, v23, s[0:1]
	v_lshlrev_b32_e32 v23, 8, v28
	v_lshl_add_u32 v21, v21, 10, v19
	v_cndmask_b32_e64 v11, v11, v24, s[0:1]
	v_and_or_b32 v21, v23, s24, v21
	v_lshl_or_b32 v11, v11, 7, v21
	v_cvt_f32_f16_e32 v43, v11
.LBB296_1035:                           ;   in Loop: Header=BB296_818 Depth=1
	s_or_b64 exec, exec, s[18:19]
	v_lshrrev_b32_e32 v28, 24, v40
	v_cmp_lt_i16_e64 s[0:1], s3, v28
	s_mov_b64 s[18:19], 0
                                        ; implicit-def: $sgpr29
	s_and_saveexec_b64 s[20:21], s[0:1]
	s_xor_b64 s[20:21], exec, s[20:21]
	s_cbranch_execnz .LBB296_1431
; %bb.1036:                             ;   in Loop: Header=BB296_818 Depth=1
	s_or_saveexec_b64 s[20:21], s[20:21]
	v_mov_b32_e32 v45, s29
	s_xor_b64 exec, exec, s[20:21]
	s_cbranch_execnz .LBB296_1434
.LBB296_1037:                           ;   in Loop: Header=BB296_818 Depth=1
	s_or_b64 exec, exec, s[20:21]
	s_and_saveexec_b64 s[20:21], s[18:19]
	s_cbranch_execz .LBB296_1039
.LBB296_1038:                           ;   in Loop: Header=BB296_818 Depth=1
	v_bfe_u32 v11, v40, 24, 3
	v_ffbh_u32_e32 v23, v11
	v_bfe_u32 v21, v40, 27, 4
	v_min_u32_e32 v23, 32, v23
	v_subrev_u32_e32 v24, 28, v23
	v_sub_u32_e32 v23, 29, v23
	v_cmp_eq_u32_e64 s[0:1], 0, v21
	v_lshlrev_b64 v[24:25], v24, v[28:29]
	v_and_b32_e32 v24, 7, v24
	v_cndmask_b32_e64 v21, v21, v23, s[0:1]
	v_lshlrev_b32_e32 v23, 8, v28
	v_lshl_add_u32 v21, v21, 10, v19
	v_cndmask_b32_e64 v11, v11, v24, s[0:1]
	v_and_or_b32 v21, v23, s24, v21
	v_lshl_or_b32 v11, v11, 7, v21
	v_cvt_f32_f16_e32 v45, v11
.LBB296_1039:                           ;   in Loop: Header=BB296_818 Depth=1
	s_or_b64 exec, exec, s[20:21]
	v_cmp_gt_i16_sdwa s[18:19], v41, s3 src0_sel:BYTE_0 src1_sel:DWORD
	s_mov_b64 s[0:1], 0
                                        ; implicit-def: $sgpr22
	s_and_saveexec_b64 s[20:21], s[18:19]
	s_xor_b64 s[18:19], exec, s[20:21]
	s_cbranch_execnz .LBB296_1435
; %bb.1040:                             ;   in Loop: Header=BB296_818 Depth=1
	s_or_saveexec_b64 s[18:19], s[18:19]
	v_mov_b32_e32 v11, s22
	s_xor_b64 exec, exec, s[18:19]
	s_cbranch_execnz .LBB296_1438
.LBB296_1041:                           ;   in Loop: Header=BB296_818 Depth=1
	s_or_b64 exec, exec, s[18:19]
	v_mov_b32_e32 v28, v41
	s_and_saveexec_b64 s[18:19], s[0:1]
	s_cbranch_execz .LBB296_1043
.LBB296_1042:                           ;   in Loop: Header=BB296_818 Depth=1
	v_and_b32_e32 v11, 7, v41
	v_ffbh_u32_e32 v11, v11
	v_bfe_u32 v21, v41, 3, 4
	v_min_u32_e32 v11, 32, v11
	v_subrev_u32_e32 v23, 28, v11
	v_sub_u32_e32 v11, 29, v11
	v_cmp_eq_u32_e64 s[0:1], 0, v21
	s_nop 1
	v_cndmask_b32_e64 v11, v21, v11, s[0:1]
	v_cndmask_b32_e64 v21, 0, v23, s[0:1]
	v_lshlrev_b64 v[24:25], v21, v[28:29]
	v_lshlrev_b32_e32 v23, 8, v41
	v_lshl_add_u32 v11, v11, 10, v19
	v_lshlrev_b32_e32 v21, 7, v24
	v_and_or_b32 v11, v23, s24, v11
	v_and_or_b32 v11, v21, s25, v11
	v_cvt_f32_f16_e32 v11, v11
.LBB296_1043:                           ;   in Loop: Header=BB296_818 Depth=1
	s_or_b64 exec, exec, s[18:19]
	v_lshrrev_b16_e32 v28, 8, v28
	v_cmp_lt_i16_e64 s[0:1], s3, v28
	s_mov_b64 s[18:19], 0
                                        ; implicit-def: $sgpr29
	s_and_saveexec_b64 s[20:21], s[0:1]
	s_xor_b64 s[20:21], exec, s[20:21]
	s_cbranch_execnz .LBB296_1439
; %bb.1044:                             ;   in Loop: Header=BB296_818 Depth=1
	s_or_saveexec_b64 s[20:21], s[20:21]
	v_mov_b32_e32 v21, s29
	s_xor_b64 exec, exec, s[20:21]
	s_cbranch_execnz .LBB296_1442
.LBB296_1045:                           ;   in Loop: Header=BB296_818 Depth=1
	s_or_b64 exec, exec, s[20:21]
	s_and_saveexec_b64 s[20:21], s[18:19]
	s_cbranch_execz .LBB296_1047
.LBB296_1046:                           ;   in Loop: Header=BB296_818 Depth=1
	v_and_b32_e32 v21, 7, v28
	v_ffbh_u32_e32 v24, v21
	v_min_u32_e32 v26, 32, v24
	v_subrev_u32_e32 v24, 28, v26
	v_bfe_u32 v23, v28, 3, 4
	v_lshlrev_b64 v[24:25], v24, v[28:29]
	v_sub_u32_e32 v25, 29, v26
	v_cmp_eq_u32_e64 s[0:1], 0, v23
	v_and_b32_e32 v24, 7, v24
	s_nop 0
	v_cndmask_b32_e64 v23, v23, v25, s[0:1]
	v_cndmask_b32_e64 v21, v21, v24, s[0:1]
	v_lshlrev_b32_e32 v24, 8, v28
	v_lshl_add_u32 v23, v23, 10, v19
	v_and_or_b32 v23, v24, s24, v23
	v_lshl_or_b32 v21, v21, 7, v23
	v_cvt_f32_f16_e32 v21, v21
.LBB296_1047:                           ;   in Loop: Header=BB296_818 Depth=1
	s_or_b64 exec, exec, s[20:21]
	v_lshrrev_b32_e32 v28, 16, v41
	v_cmp_gt_i16_sdwa s[18:19], v28, s3 src0_sel:BYTE_0 src1_sel:DWORD
	s_mov_b64 s[0:1], 0
                                        ; implicit-def: $sgpr22
	s_and_saveexec_b64 s[20:21], s[18:19]
	s_xor_b64 s[18:19], exec, s[20:21]
	s_cbranch_execnz .LBB296_1443
; %bb.1048:                             ;   in Loop: Header=BB296_818 Depth=1
	s_or_saveexec_b64 s[18:19], s[18:19]
	v_mov_b32_e32 v23, s22
	s_xor_b64 exec, exec, s[18:19]
	s_cbranch_execnz .LBB296_1446
.LBB296_1049:                           ;   in Loop: Header=BB296_818 Depth=1
	s_or_b64 exec, exec, s[18:19]
	s_and_saveexec_b64 s[18:19], s[0:1]
	s_cbranch_execz .LBB296_1051
.LBB296_1050:                           ;   in Loop: Header=BB296_818 Depth=1
	v_bfe_u32 v23, v41, 16, 3
	v_ffbh_u32_e32 v24, v23
	v_min_u32_e32 v27, 32, v24
	v_subrev_u32_e32 v24, 28, v27
	v_bfe_u32 v26, v41, 19, 4
	v_lshlrev_b64 v[24:25], v24, v[28:29]
	v_sub_u32_e32 v25, 29, v27
	v_cmp_eq_u32_e64 s[0:1], 0, v26
	v_and_b32_e32 v24, 7, v24
	s_nop 0
	v_cndmask_b32_e64 v25, v26, v25, s[0:1]
	v_cndmask_b32_e64 v23, v23, v24, s[0:1]
	v_lshlrev_b32_e32 v24, 8, v28
	v_lshl_add_u32 v25, v25, 10, v19
	v_and_or_b32 v24, v24, s24, v25
	v_lshl_or_b32 v23, v23, 7, v24
	v_cvt_f32_f16_e32 v23, v23
.LBB296_1051:                           ;   in Loop: Header=BB296_818 Depth=1
	s_or_b64 exec, exec, s[18:19]
	v_lshrrev_b32_e32 v28, 24, v41
	v_cmp_lt_i16_e64 s[0:1], s3, v28
	s_mov_b64 s[18:19], 0
                                        ; implicit-def: $sgpr29
	s_and_saveexec_b64 s[20:21], s[0:1]
	s_xor_b64 s[20:21], exec, s[20:21]
	s_cbranch_execnz .LBB296_1447
; %bb.1052:                             ;   in Loop: Header=BB296_818 Depth=1
	s_or_saveexec_b64 s[20:21], s[20:21]
	v_mov_b32_e32 v26, s29
	s_xor_b64 exec, exec, s[20:21]
	s_cbranch_execnz .LBB296_1450
.LBB296_1053:                           ;   in Loop: Header=BB296_818 Depth=1
	s_or_b64 exec, exec, s[20:21]
	s_and_saveexec_b64 s[20:21], s[18:19]
	s_cbranch_execz .LBB296_1055
.LBB296_1054:                           ;   in Loop: Header=BB296_818 Depth=1
	v_bfe_u32 v26, v41, 24, 3
	v_ffbh_u32_e32 v24, v26
	v_min_u32_e32 v36, 32, v24
	v_subrev_u32_e32 v24, 28, v36
	v_bfe_u32 v27, v41, 27, 4
	v_lshlrev_b64 v[24:25], v24, v[28:29]
	v_sub_u32_e32 v25, 29, v36
	v_cmp_eq_u32_e64 s[0:1], 0, v27
	v_and_b32_e32 v24, 7, v24
	s_nop 0
	v_cndmask_b32_e64 v25, v27, v25, s[0:1]
	v_cndmask_b32_e64 v24, v26, v24, s[0:1]
	v_lshlrev_b32_e32 v26, 8, v28
	v_lshl_add_u32 v25, v25, 10, v19
	v_and_or_b32 v25, v26, s24, v25
	v_lshl_or_b32 v24, v24, 7, v25
	v_cvt_f32_f16_e32 v26, v24
.LBB296_1055:                           ;   in Loop: Header=BB296_818 Depth=1
	s_or_b64 exec, exec, s[20:21]
	v_pk_mul_f32 v[24:25], v[54:55], v[44:45] op_sel_hi:[0,1]
	v_pk_mul_f32 v[40:41], v[54:55], v[42:43] op_sel_hi:[0,1]
	v_cvt_f16_f32_e32 v25, v25
	v_cvt_f16_f32_e32 v24, v24
	;; [unrolled: 1-line block ×4, first 2 shown]
	v_fma_mixlo_f16 v21, v54, v21, 0
	v_lshlrev_b32_e32 v21, 16, v21
	v_fma_mixlo_f16 v11, v54, v11, 0
	v_or_b32_sdwa v11, v21, v11 dst_sel:DWORD dst_unused:UNUSED_PAD src0_sel:DWORD src1_sel:WORD_0
	v_fma_mixlo_f16 v21, v54, v26, 0
	v_pack_b32_f16 v25, v24, v25
	v_pack_b32_f16 v27, v28, v27
	v_fma_mixlo_f16 v23, v54, v23, 0
	v_lshlrev_b32_e32 v21, 16, v21
	v_perm_b32 v24, v27, v25, s26
	v_perm_b32 v25, v27, v25, s27
	v_or_b32_sdwa v21, v21, v23 dst_sel:DWORD dst_unused:UNUSED_PAD src0_sel:DWORD src1_sel:WORD_0
	s_and_saveexec_b64 s[18:19], vcc
	s_cbranch_execz .LBB296_1057
; %bb.1056:                             ;   in Loop: Header=BB296_818 Depth=1
	v_lshrrev_b32_e32 v26, 16, v25
	v_cmp_lt_i32_e64 s[0:1], v10, v7
	v_accvgpr_read_b32 v28, a8
	v_lshrrev_b32_e32 v21, 16, v21
	v_cndmask_b32_e64 v26, 0, v26, s[0:1]
	v_cmp_lt_i32_e64 s[0:1], v62, v28
	s_nop 1
	v_cndmask_b32_e64 v25, 0, v25, s[0:1]
	v_perm_b32 v25, v26, v25, s28
	v_lshrrev_b32_e32 v26, 16, v24
	v_cmp_lt_i32_e64 s[0:1], v57, v7
	s_nop 1
	v_cndmask_b32_e64 v26, 0, v26, s[0:1]
	v_cmp_lt_i32_e64 s[0:1], v60, v28
	s_nop 1
	v_cndmask_b32_e64 v24, 0, v24, s[0:1]
	v_perm_b32 v24, v26, v24, s28
	v_lshrrev_b32_e32 v26, 16, v11
	v_cmp_lt_i32_e64 s[0:1], v59, v7
	s_nop 1
	v_cndmask_b32_e64 v26, 0, v26, s[0:1]
	v_cmp_lt_i32_e64 s[0:1], v61, v28
	s_nop 1
	v_cndmask_b32_e64 v11, 0, v11, s[0:1]
	v_cmp_lt_i32_e64 s[0:1], v58, v7
	v_perm_b32 v11, v26, v11, s28
	s_nop 0
	v_cndmask_b32_e64 v21, 0, v21, s[0:1]
	v_cmp_lt_i32_e64 s[0:1], v4, v28
	s_nop 1
	v_cndmask_b32_e64 v23, 0, v23, s[0:1]
	v_perm_b32 v21, v21, v23, s28
.LBB296_1057:                           ;   in Loop: Header=BB296_818 Depth=1
	s_or_b64 exec, exec, s[18:19]
	;;#ASMSTART
	v_pk_mul_f16 v23, v50, v25;

	;;#ASMEND
	;;#ASMSTART
	v_pk_mul_f16 v24, v56, v24;

	;;#ASMEND
	;;#ASMSTART
	v_pk_mul_f16 v11, v47, v11;

	;;#ASMEND
	;;#ASMSTART
	v_pk_mul_f16 v21, v46, v21;

	;;#ASMEND
	s_mov_b64 s[0:1], 0
	;;#ASMSTART
	v_pk_add_f16 v23, v23, v24;

	;;#ASMEND
	v_accvgpr_read_b32 v25, a5
	;;#ASMSTART
	v_pk_add_f16 v11, v23, v11;

	;;#ASMEND
	v_accvgpr_read_b32 v24, a4
	;;#ASMSTART
	v_pk_add_f16 v11, v11, v21;

	;;#ASMEND
                                        ; implicit-def: $sgpr22
	s_nop 0
	v_lshrrev_b32_e32 v23, 16, v11
	v_and_b32_e32 v11, 0xffff, v11
	;;#ASMSTART
	v_cvt_f32_f16 v21, v11;
	;;#ASMEND
	;;#ASMSTART
	v_cvt_f32_f16 v44, v23;
	;;#ASMEND
	flat_load_dwordx2 v[54:55], v[52:53] offset:3584
	s_waitcnt vmcnt(0) lgkmcnt(0)
	v_cmp_gt_i16_sdwa s[18:19], v54, s3 src0_sel:BYTE_0 src1_sel:DWORD
	flat_load_dword v52, v[24:25]
	s_and_saveexec_b64 s[20:21], s[18:19]
	s_xor_b64 s[18:19], exec, s[20:21]
	s_cbranch_execnz .LBB296_1451
; %bb.1058:                             ;   in Loop: Header=BB296_818 Depth=1
	s_or_saveexec_b64 s[18:19], s[18:19]
	v_mov_b32_e32 v40, s22
	s_xor_b64 exec, exec, s[18:19]
	s_cbranch_execnz .LBB296_1454
.LBB296_1059:                           ;   in Loop: Header=BB296_818 Depth=1
	s_or_b64 exec, exec, s[18:19]
	s_and_saveexec_b64 s[18:19], s[0:1]
	s_cbranch_execz .LBB296_1061
.LBB296_1060:                           ;   in Loop: Header=BB296_818 Depth=1
	v_and_b32_e32 v11, 7, v54
	v_ffbh_u32_e32 v11, v11
	v_bfe_u32 v23, v54, 3, 4
	v_min_u32_e32 v11, 32, v11
	v_subrev_u32_e32 v24, 28, v11
	v_sub_u32_e32 v11, 29, v11
	v_cmp_eq_u32_e64 s[0:1], 0, v23
	s_nop 1
	v_cndmask_b32_e64 v11, v23, v11, s[0:1]
	v_cndmask_b32_e64 v23, 0, v24, s[0:1]
	v_lshlrev_b64 v[24:25], v23, v[54:55]
	v_lshlrev_b32_e32 v23, 7, v24
	v_lshlrev_b32_e32 v24, 8, v54
	v_lshl_add_u32 v11, v11, 10, v19
	v_and_or_b32 v11, v24, s24, v11
	v_and_or_b32 v11, v23, s25, v11
	v_cvt_f32_f16_e32 v40, v11
.LBB296_1061:                           ;   in Loop: Header=BB296_818 Depth=1
	s_or_b64 exec, exec, s[18:19]
	v_lshrrev_b16_e32 v28, 8, v54
	v_cmp_lt_i16_e64 s[0:1], s3, v28
	s_mov_b64 s[18:19], 0
                                        ; implicit-def: $sgpr29
	s_and_saveexec_b64 s[20:21], s[0:1]
	s_xor_b64 s[20:21], exec, s[20:21]
	s_cbranch_execnz .LBB296_1455
; %bb.1062:                             ;   in Loop: Header=BB296_818 Depth=1
	s_or_saveexec_b64 s[20:21], s[20:21]
	v_mov_b32_e32 v42, s29
	s_xor_b64 exec, exec, s[20:21]
	s_cbranch_execnz .LBB296_1458
.LBB296_1063:                           ;   in Loop: Header=BB296_818 Depth=1
	s_or_b64 exec, exec, s[20:21]
	s_and_saveexec_b64 s[20:21], s[18:19]
	s_cbranch_execz .LBB296_1065
.LBB296_1064:                           ;   in Loop: Header=BB296_818 Depth=1
	v_and_b32_e32 v11, 7, v28
	v_ffbh_u32_e32 v24, v11
	v_min_u32_e32 v26, 32, v24
	v_subrev_u32_e32 v24, 28, v26
	v_bfe_u32 v23, v28, 3, 4
	v_lshlrev_b64 v[24:25], v24, v[28:29]
	v_sub_u32_e32 v25, 29, v26
	v_cmp_eq_u32_e64 s[0:1], 0, v23
	v_and_b32_e32 v24, 7, v24
	s_nop 0
	v_cndmask_b32_e64 v23, v23, v25, s[0:1]
	v_cndmask_b32_e64 v11, v11, v24, s[0:1]
	v_lshlrev_b32_e32 v24, 8, v28
	v_lshl_add_u32 v23, v23, 10, v19
	v_and_or_b32 v23, v24, s24, v23
	v_lshl_or_b32 v11, v11, 7, v23
	v_cvt_f32_f16_e32 v42, v11
.LBB296_1065:                           ;   in Loop: Header=BB296_818 Depth=1
	s_or_b64 exec, exec, s[20:21]
	v_lshrrev_b32_e32 v28, 16, v54
	v_cmp_gt_i16_sdwa s[18:19], v28, s3 src0_sel:BYTE_0 src1_sel:DWORD
	s_mov_b64 s[0:1], 0
                                        ; implicit-def: $sgpr22
	s_and_saveexec_b64 s[20:21], s[18:19]
	s_xor_b64 s[18:19], exec, s[20:21]
	s_cbranch_execnz .LBB296_1459
; %bb.1066:                             ;   in Loop: Header=BB296_818 Depth=1
	s_or_saveexec_b64 s[18:19], s[18:19]
	v_mov_b32_e32 v41, s22
	s_xor_b64 exec, exec, s[18:19]
	s_cbranch_execnz .LBB296_1462
.LBB296_1067:                           ;   in Loop: Header=BB296_818 Depth=1
	s_or_b64 exec, exec, s[18:19]
	s_and_saveexec_b64 s[18:19], s[0:1]
	s_cbranch_execz .LBB296_1069
.LBB296_1068:                           ;   in Loop: Header=BB296_818 Depth=1
	v_bfe_u32 v11, v54, 16, 3
	v_ffbh_u32_e32 v24, v11
	v_min_u32_e32 v26, 32, v24
	v_subrev_u32_e32 v24, 28, v26
	v_bfe_u32 v23, v54, 19, 4
	v_lshlrev_b64 v[24:25], v24, v[28:29]
	v_sub_u32_e32 v25, 29, v26
	v_cmp_eq_u32_e64 s[0:1], 0, v23
	v_and_b32_e32 v24, 7, v24
	s_nop 0
	v_cndmask_b32_e64 v23, v23, v25, s[0:1]
	v_cndmask_b32_e64 v11, v11, v24, s[0:1]
	v_lshlrev_b32_e32 v24, 8, v28
	v_lshl_add_u32 v23, v23, 10, v19
	v_and_or_b32 v23, v24, s24, v23
	v_lshl_or_b32 v11, v11, 7, v23
	v_cvt_f32_f16_e32 v41, v11
.LBB296_1069:                           ;   in Loop: Header=BB296_818 Depth=1
	s_or_b64 exec, exec, s[18:19]
	v_lshrrev_b32_e32 v28, 24, v54
	v_cmp_lt_i16_e64 s[0:1], s3, v28
	s_mov_b64 s[18:19], 0
                                        ; implicit-def: $sgpr29
	s_and_saveexec_b64 s[20:21], s[0:1]
	s_xor_b64 s[20:21], exec, s[20:21]
	s_cbranch_execnz .LBB296_1463
; %bb.1070:                             ;   in Loop: Header=BB296_818 Depth=1
	s_or_saveexec_b64 s[20:21], s[20:21]
	v_mov_b32_e32 v43, s29
	s_xor_b64 exec, exec, s[20:21]
	s_cbranch_execnz .LBB296_1466
.LBB296_1071:                           ;   in Loop: Header=BB296_818 Depth=1
	s_or_b64 exec, exec, s[20:21]
	s_and_saveexec_b64 s[20:21], s[18:19]
	s_cbranch_execz .LBB296_1073
.LBB296_1072:                           ;   in Loop: Header=BB296_818 Depth=1
	v_bfe_u32 v11, v54, 24, 3
	v_ffbh_u32_e32 v24, v11
	v_min_u32_e32 v26, 32, v24
	v_subrev_u32_e32 v24, 28, v26
	v_bfe_u32 v23, v54, 27, 4
	v_lshlrev_b64 v[24:25], v24, v[28:29]
	v_sub_u32_e32 v25, 29, v26
	v_cmp_eq_u32_e64 s[0:1], 0, v23
	v_and_b32_e32 v24, 7, v24
	s_nop 0
	v_cndmask_b32_e64 v23, v23, v25, s[0:1]
	v_cndmask_b32_e64 v11, v11, v24, s[0:1]
	v_lshlrev_b32_e32 v24, 8, v28
	v_lshl_add_u32 v23, v23, 10, v19
	v_and_or_b32 v23, v24, s24, v23
	v_lshl_or_b32 v11, v11, 7, v23
	v_cvt_f32_f16_e32 v43, v11
.LBB296_1073:                           ;   in Loop: Header=BB296_818 Depth=1
	s_or_b64 exec, exec, s[20:21]
	v_cmp_gt_i16_sdwa s[18:19], v55, s3 src0_sel:BYTE_0 src1_sel:DWORD
	s_mov_b64 s[0:1], 0
                                        ; implicit-def: $sgpr22
	s_and_saveexec_b64 s[20:21], s[18:19]
	s_xor_b64 s[18:19], exec, s[20:21]
	s_cbranch_execnz .LBB296_1467
; %bb.1074:                             ;   in Loop: Header=BB296_818 Depth=1
	s_or_saveexec_b64 s[18:19], s[18:19]
	v_mov_b32_e32 v11, s22
	s_xor_b64 exec, exec, s[18:19]
	s_cbranch_execnz .LBB296_1470
.LBB296_1075:                           ;   in Loop: Header=BB296_818 Depth=1
	s_or_b64 exec, exec, s[18:19]
	v_mov_b32_e32 v28, v55
	s_and_saveexec_b64 s[18:19], s[0:1]
	s_cbranch_execz .LBB296_1077
.LBB296_1076:                           ;   in Loop: Header=BB296_818 Depth=1
	v_and_b32_e32 v11, 7, v55
	v_ffbh_u32_e32 v11, v11
	v_bfe_u32 v23, v55, 3, 4
	v_min_u32_e32 v11, 32, v11
	v_subrev_u32_e32 v24, 28, v11
	v_sub_u32_e32 v11, 29, v11
	v_cmp_eq_u32_e64 s[0:1], 0, v23
	s_nop 1
	v_cndmask_b32_e64 v11, v23, v11, s[0:1]
	v_cndmask_b32_e64 v23, 0, v24, s[0:1]
	v_lshlrev_b64 v[24:25], v23, v[28:29]
	v_lshlrev_b32_e32 v23, 7, v24
	v_lshlrev_b32_e32 v24, 8, v55
	v_lshl_add_u32 v11, v11, 10, v19
	v_and_or_b32 v11, v24, s24, v11
	v_and_or_b32 v11, v23, s25, v11
	v_cvt_f32_f16_e32 v11, v11
.LBB296_1077:                           ;   in Loop: Header=BB296_818 Depth=1
	s_or_b64 exec, exec, s[18:19]
	v_lshrrev_b16_e32 v28, 8, v28
	v_cmp_lt_i16_e64 s[0:1], s3, v28
	s_mov_b64 s[18:19], 0
                                        ; implicit-def: $sgpr29
	s_and_saveexec_b64 s[20:21], s[0:1]
	s_xor_b64 s[20:21], exec, s[20:21]
	s_cbranch_execnz .LBB296_1471
; %bb.1078:                             ;   in Loop: Header=BB296_818 Depth=1
	s_or_saveexec_b64 s[20:21], s[20:21]
	v_mov_b32_e32 v23, s29
	s_xor_b64 exec, exec, s[20:21]
	s_cbranch_execnz .LBB296_1474
.LBB296_1079:                           ;   in Loop: Header=BB296_818 Depth=1
	s_or_b64 exec, exec, s[20:21]
	s_and_saveexec_b64 s[20:21], s[18:19]
	s_cbranch_execz .LBB296_1081
.LBB296_1080:                           ;   in Loop: Header=BB296_818 Depth=1
	v_and_b32_e32 v23, 7, v28
	v_ffbh_u32_e32 v24, v23
	v_min_u32_e32 v27, 32, v24
	v_subrev_u32_e32 v24, 28, v27
	v_bfe_u32 v26, v28, 3, 4
	v_lshlrev_b64 v[24:25], v24, v[28:29]
	v_sub_u32_e32 v25, 29, v27
	v_cmp_eq_u32_e64 s[0:1], 0, v26
	v_and_b32_e32 v24, 7, v24
	s_nop 0
	v_cndmask_b32_e64 v25, v26, v25, s[0:1]
	v_cndmask_b32_e64 v23, v23, v24, s[0:1]
	v_lshlrev_b32_e32 v24, 8, v28
	v_lshl_add_u32 v25, v25, 10, v19
	v_and_or_b32 v24, v24, s24, v25
	v_lshl_or_b32 v23, v23, 7, v24
	v_cvt_f32_f16_e32 v23, v23
.LBB296_1081:                           ;   in Loop: Header=BB296_818 Depth=1
	s_or_b64 exec, exec, s[20:21]
	v_lshrrev_b32_e32 v28, 16, v55
	v_cmp_gt_i16_sdwa s[18:19], v28, s3 src0_sel:BYTE_0 src1_sel:DWORD
	s_mov_b64 s[0:1], 0
                                        ; implicit-def: $sgpr22
	s_and_saveexec_b64 s[20:21], s[18:19]
	s_xor_b64 s[18:19], exec, s[20:21]
	s_cbranch_execnz .LBB296_1475
; %bb.1082:                             ;   in Loop: Header=BB296_818 Depth=1
	s_or_saveexec_b64 s[18:19], s[18:19]
	v_mov_b32_e32 v24, s22
	s_xor_b64 exec, exec, s[18:19]
	s_cbranch_execnz .LBB296_1478
.LBB296_1083:                           ;   in Loop: Header=BB296_818 Depth=1
	s_or_b64 exec, exec, s[18:19]
	s_and_saveexec_b64 s[18:19], s[0:1]
	s_cbranch_execz .LBB296_1085
.LBB296_1084:                           ;   in Loop: Header=BB296_818 Depth=1
	v_bfe_u32 v26, v55, 16, 3
	v_ffbh_u32_e32 v24, v26
	v_min_u32_e32 v36, 32, v24
	v_subrev_u32_e32 v24, 28, v36
	v_bfe_u32 v27, v55, 19, 4
	v_lshlrev_b64 v[24:25], v24, v[28:29]
	v_sub_u32_e32 v25, 29, v36
	v_cmp_eq_u32_e64 s[0:1], 0, v27
	v_and_b32_e32 v24, 7, v24
	s_nop 0
	v_cndmask_b32_e64 v25, v27, v25, s[0:1]
	v_cndmask_b32_e64 v24, v26, v24, s[0:1]
	v_lshlrev_b32_e32 v26, 8, v28
	v_lshl_add_u32 v25, v25, 10, v19
	v_and_or_b32 v25, v26, s24, v25
	v_lshl_or_b32 v24, v24, 7, v25
	v_cvt_f32_f16_e32 v24, v24
.LBB296_1085:                           ;   in Loop: Header=BB296_818 Depth=1
	s_or_b64 exec, exec, s[18:19]
	v_lshrrev_b32_e32 v28, 24, v55
	v_cmp_lt_i16_e64 s[0:1], s3, v28
	s_mov_b64 s[18:19], 0
                                        ; implicit-def: $sgpr29
	s_and_saveexec_b64 s[20:21], s[0:1]
	s_xor_b64 s[20:21], exec, s[20:21]
	s_cbranch_execnz .LBB296_1479
; %bb.1086:                             ;   in Loop: Header=BB296_818 Depth=1
	s_or_saveexec_b64 s[20:21], s[20:21]
	v_mov_b32_e32 v27, s29
	s_xor_b64 exec, exec, s[20:21]
	s_cbranch_execnz .LBB296_1482
.LBB296_1087:                           ;   in Loop: Header=BB296_818 Depth=1
	s_or_b64 exec, exec, s[20:21]
	s_and_saveexec_b64 s[20:21], s[18:19]
	s_cbranch_execz .LBB296_1089
.LBB296_1088:                           ;   in Loop: Header=BB296_818 Depth=1
	v_bfe_u32 v25, v55, 24, 3
	v_ffbh_u32_e32 v26, v25
	v_min_u32_e32 v38, 32, v26
	v_subrev_u32_e32 v26, 28, v38
	v_bfe_u32 v36, v55, 27, 4
	v_lshlrev_b64 v[26:27], v26, v[28:29]
	v_sub_u32_e32 v27, 29, v38
	v_cmp_eq_u32_e64 s[0:1], 0, v36
	v_and_b32_e32 v26, 7, v26
	s_nop 0
	v_cndmask_b32_e64 v27, v36, v27, s[0:1]
	v_cndmask_b32_e64 v25, v25, v26, s[0:1]
	v_lshlrev_b32_e32 v26, 8, v28
	v_lshl_add_u32 v27, v27, 10, v19
	v_and_or_b32 v26, v26, s24, v27
	v_lshl_or_b32 v25, v25, 7, v26
	v_cvt_f32_f16_e32 v27, v25
.LBB296_1089:                           ;   in Loop: Header=BB296_818 Depth=1
	s_or_b64 exec, exec, s[20:21]
	s_waitcnt vmcnt(0) lgkmcnt(0)
	v_pk_mul_f32 v[54:55], v[52:53], v[42:43] op_sel_hi:[0,1]
	v_pk_mul_f32 v[40:41], v[52:53], v[40:41] op_sel_hi:[0,1]
	v_cvt_f16_f32_e32 v25, v55
	v_cvt_f16_f32_e32 v26, v54
	;; [unrolled: 1-line block ×4, first 2 shown]
	v_fma_mixlo_f16 v23, v52, v23, 0
	v_lshlrev_b32_e32 v23, 16, v23
	v_fma_mixlo_f16 v11, v52, v11, 0
	v_or_b32_sdwa v11, v23, v11 dst_sel:DWORD dst_unused:UNUSED_PAD src0_sel:DWORD src1_sel:WORD_0
	v_fma_mixlo_f16 v23, v52, v27, 0
	v_pack_b32_f16 v26, v26, v25
	v_pack_b32_f16 v28, v36, v28
	v_fma_mixlo_f16 v24, v52, v24, 0
	v_lshlrev_b32_e32 v23, 16, v23
	v_perm_b32 v25, v28, v26, s26
	v_perm_b32 v26, v28, v26, s27
	v_or_b32_sdwa v23, v23, v24 dst_sel:DWORD dst_unused:UNUSED_PAD src0_sel:DWORD src1_sel:WORD_0
	s_and_saveexec_b64 s[18:19], vcc
	s_cbranch_execz .LBB296_1091
; %bb.1090:                             ;   in Loop: Header=BB296_818 Depth=1
	v_lshrrev_b32_e32 v27, 16, v26
	v_cmp_lt_i32_e64 s[0:1], v10, v7
	v_accvgpr_read_b32 v28, a8
	v_lshrrev_b32_e32 v23, 16, v23
	v_cndmask_b32_e64 v27, 0, v27, s[0:1]
	v_cmp_lt_i32_e64 s[0:1], v62, v28
	s_nop 1
	v_cndmask_b32_e64 v26, 0, v26, s[0:1]
	v_perm_b32 v26, v27, v26, s28
	v_lshrrev_b32_e32 v27, 16, v25
	v_cmp_lt_i32_e64 s[0:1], v57, v7
	s_nop 1
	v_cndmask_b32_e64 v27, 0, v27, s[0:1]
	v_cmp_lt_i32_e64 s[0:1], v60, v28
	s_nop 1
	v_cndmask_b32_e64 v25, 0, v25, s[0:1]
	v_perm_b32 v25, v27, v25, s28
	v_lshrrev_b32_e32 v27, 16, v11
	v_cmp_lt_i32_e64 s[0:1], v59, v7
	s_nop 1
	v_cndmask_b32_e64 v27, 0, v27, s[0:1]
	v_cmp_lt_i32_e64 s[0:1], v61, v28
	s_nop 1
	v_cndmask_b32_e64 v11, 0, v11, s[0:1]
	v_cmp_lt_i32_e64 s[0:1], v58, v7
	v_perm_b32 v11, v27, v11, s28
	s_nop 0
	v_cndmask_b32_e64 v23, 0, v23, s[0:1]
	v_cmp_lt_i32_e64 s[0:1], v4, v28
	s_nop 1
	v_cndmask_b32_e64 v24, 0, v24, s[0:1]
	v_perm_b32 v23, v23, v24, s28
.LBB296_1091:                           ;   in Loop: Header=BB296_818 Depth=1
	s_or_b64 exec, exec, s[18:19]
	;;#ASMSTART
	v_pk_mul_f16 v24, v50, v26;

	;;#ASMEND
	;;#ASMSTART
	v_pk_mul_f16 v25, v56, v25;

	;;#ASMEND
	;; [unrolled: 4-line block ×4, first 2 shown]
	s_mov_b64 s[0:1], 0
	;;#ASMSTART
	v_pk_add_f16 v24, v24, v25;

	;;#ASMEND
                                        ; implicit-def: $sgpr22
	s_nop 0
	;;#ASMSTART
	v_pk_add_f16 v11, v24, v11;

	;;#ASMEND
	v_accvgpr_read_b32 v24, a28
	v_accvgpr_read_b32 v25, a29
	;;#ASMSTART
	v_pk_add_f16 v11, v11, v23;

	;;#ASMEND
	v_lshl_add_u64 v[24:25], v[32:33], 0, v[24:25]
	v_lshrrev_b32_e32 v23, 16, v11
	v_and_b32_e32 v11, 0xffff, v11
	;;#ASMSTART
	v_cvt_f32_f16 v51, v11;
	;;#ASMEND
	;;#ASMSTART
	v_cvt_f32_f16 v45, v23;
	;;#ASMEND
	flat_load_dwordx2 v[54:55], v[24:25]
	v_accvgpr_read_b32 v25, a5
	v_accvgpr_read_b32 v24, a4
	flat_load_dword v52, v[24:25]
	s_waitcnt vmcnt(0) lgkmcnt(0)
	v_cmp_gt_i16_sdwa s[18:19], v54, s3 src0_sel:BYTE_0 src1_sel:DWORD
	s_and_saveexec_b64 s[20:21], s[18:19]
	s_xor_b64 s[18:19], exec, s[20:21]
	s_cbranch_execnz .LBB296_1483
; %bb.1092:                             ;   in Loop: Header=BB296_818 Depth=1
	s_or_saveexec_b64 s[18:19], s[18:19]
	v_mov_b32_e32 v40, s22
	s_xor_b64 exec, exec, s[18:19]
	s_cbranch_execnz .LBB296_1486
.LBB296_1093:                           ;   in Loop: Header=BB296_818 Depth=1
	s_or_b64 exec, exec, s[18:19]
	s_and_saveexec_b64 s[18:19], s[0:1]
	s_cbranch_execz .LBB296_1095
.LBB296_1094:                           ;   in Loop: Header=BB296_818 Depth=1
	v_and_b32_e32 v11, 7, v54
	v_ffbh_u32_e32 v11, v11
	v_bfe_u32 v23, v54, 3, 4
	v_min_u32_e32 v11, 32, v11
	v_subrev_u32_e32 v24, 28, v11
	v_sub_u32_e32 v11, 29, v11
	v_cmp_eq_u32_e64 s[0:1], 0, v23
	s_nop 1
	v_cndmask_b32_e64 v11, v23, v11, s[0:1]
	v_cndmask_b32_e64 v23, 0, v24, s[0:1]
	v_lshlrev_b64 v[24:25], v23, v[54:55]
	v_lshlrev_b32_e32 v23, 7, v24
	v_lshlrev_b32_e32 v24, 8, v54
	v_lshl_add_u32 v11, v11, 10, v19
	v_and_or_b32 v11, v24, s24, v11
	v_and_or_b32 v11, v23, s25, v11
	v_cvt_f32_f16_e32 v40, v11
.LBB296_1095:                           ;   in Loop: Header=BB296_818 Depth=1
	s_or_b64 exec, exec, s[18:19]
	v_lshrrev_b16_e32 v28, 8, v54
	v_cmp_lt_i16_e64 s[0:1], s3, v28
	s_mov_b64 s[18:19], 0
                                        ; implicit-def: $sgpr29
	s_and_saveexec_b64 s[20:21], s[0:1]
	s_xor_b64 s[20:21], exec, s[20:21]
	s_cbranch_execnz .LBB296_1487
; %bb.1096:                             ;   in Loop: Header=BB296_818 Depth=1
	s_or_saveexec_b64 s[20:21], s[20:21]
	v_mov_b32_e32 v42, s29
	s_xor_b64 exec, exec, s[20:21]
	s_cbranch_execnz .LBB296_1490
.LBB296_1097:                           ;   in Loop: Header=BB296_818 Depth=1
	s_or_b64 exec, exec, s[20:21]
	s_and_saveexec_b64 s[20:21], s[18:19]
	s_cbranch_execz .LBB296_1099
.LBB296_1098:                           ;   in Loop: Header=BB296_818 Depth=1
	v_and_b32_e32 v11, 7, v28
	v_ffbh_u32_e32 v24, v11
	v_min_u32_e32 v26, 32, v24
	v_subrev_u32_e32 v24, 28, v26
	v_bfe_u32 v23, v28, 3, 4
	v_lshlrev_b64 v[24:25], v24, v[28:29]
	v_sub_u32_e32 v25, 29, v26
	v_cmp_eq_u32_e64 s[0:1], 0, v23
	v_and_b32_e32 v24, 7, v24
	s_nop 0
	v_cndmask_b32_e64 v23, v23, v25, s[0:1]
	v_cndmask_b32_e64 v11, v11, v24, s[0:1]
	v_lshlrev_b32_e32 v24, 8, v28
	v_lshl_add_u32 v23, v23, 10, v19
	v_and_or_b32 v23, v24, s24, v23
	v_lshl_or_b32 v11, v11, 7, v23
	v_cvt_f32_f16_e32 v42, v11
.LBB296_1099:                           ;   in Loop: Header=BB296_818 Depth=1
	s_or_b64 exec, exec, s[20:21]
	v_lshrrev_b32_e32 v28, 16, v54
	v_cmp_gt_i16_sdwa s[18:19], v28, s3 src0_sel:BYTE_0 src1_sel:DWORD
	s_mov_b64 s[0:1], 0
                                        ; implicit-def: $sgpr22
	s_and_saveexec_b64 s[20:21], s[18:19]
	s_xor_b64 s[18:19], exec, s[20:21]
	s_cbranch_execnz .LBB296_1491
; %bb.1100:                             ;   in Loop: Header=BB296_818 Depth=1
	s_or_saveexec_b64 s[18:19], s[18:19]
	v_mov_b32_e32 v41, s22
	s_xor_b64 exec, exec, s[18:19]
	s_cbranch_execnz .LBB296_1494
.LBB296_1101:                           ;   in Loop: Header=BB296_818 Depth=1
	s_or_b64 exec, exec, s[18:19]
	s_and_saveexec_b64 s[18:19], s[0:1]
	s_cbranch_execz .LBB296_1103
.LBB296_1102:                           ;   in Loop: Header=BB296_818 Depth=1
	v_bfe_u32 v11, v54, 16, 3
	v_ffbh_u32_e32 v24, v11
	v_min_u32_e32 v26, 32, v24
	v_subrev_u32_e32 v24, 28, v26
	v_bfe_u32 v23, v54, 19, 4
	v_lshlrev_b64 v[24:25], v24, v[28:29]
	v_sub_u32_e32 v25, 29, v26
	v_cmp_eq_u32_e64 s[0:1], 0, v23
	v_and_b32_e32 v24, 7, v24
	s_nop 0
	v_cndmask_b32_e64 v23, v23, v25, s[0:1]
	v_cndmask_b32_e64 v11, v11, v24, s[0:1]
	v_lshlrev_b32_e32 v24, 8, v28
	v_lshl_add_u32 v23, v23, 10, v19
	v_and_or_b32 v23, v24, s24, v23
	v_lshl_or_b32 v11, v11, 7, v23
	v_cvt_f32_f16_e32 v41, v11
.LBB296_1103:                           ;   in Loop: Header=BB296_818 Depth=1
	s_or_b64 exec, exec, s[18:19]
	v_lshrrev_b32_e32 v28, 24, v54
	v_cmp_lt_i16_e64 s[0:1], s3, v28
	s_mov_b64 s[18:19], 0
                                        ; implicit-def: $sgpr29
	s_and_saveexec_b64 s[20:21], s[0:1]
	s_xor_b64 s[20:21], exec, s[20:21]
	s_cbranch_execnz .LBB296_1495
; %bb.1104:                             ;   in Loop: Header=BB296_818 Depth=1
	s_or_saveexec_b64 s[20:21], s[20:21]
	v_mov_b32_e32 v43, s29
	s_xor_b64 exec, exec, s[20:21]
	s_cbranch_execnz .LBB296_1498
.LBB296_1105:                           ;   in Loop: Header=BB296_818 Depth=1
	s_or_b64 exec, exec, s[20:21]
	s_and_saveexec_b64 s[20:21], s[18:19]
	s_cbranch_execz .LBB296_1107
.LBB296_1106:                           ;   in Loop: Header=BB296_818 Depth=1
	v_bfe_u32 v11, v54, 24, 3
	v_ffbh_u32_e32 v24, v11
	v_min_u32_e32 v26, 32, v24
	v_subrev_u32_e32 v24, 28, v26
	v_bfe_u32 v23, v54, 27, 4
	v_lshlrev_b64 v[24:25], v24, v[28:29]
	v_sub_u32_e32 v25, 29, v26
	v_cmp_eq_u32_e64 s[0:1], 0, v23
	v_and_b32_e32 v24, 7, v24
	s_nop 0
	v_cndmask_b32_e64 v23, v23, v25, s[0:1]
	v_cndmask_b32_e64 v11, v11, v24, s[0:1]
	v_lshlrev_b32_e32 v24, 8, v28
	v_lshl_add_u32 v23, v23, 10, v19
	v_and_or_b32 v23, v24, s24, v23
	v_lshl_or_b32 v11, v11, 7, v23
	v_cvt_f32_f16_e32 v43, v11
.LBB296_1107:                           ;   in Loop: Header=BB296_818 Depth=1
	s_or_b64 exec, exec, s[20:21]
	v_cmp_gt_i16_sdwa s[18:19], v55, s3 src0_sel:BYTE_0 src1_sel:DWORD
	s_mov_b64 s[0:1], 0
                                        ; implicit-def: $sgpr22
	s_and_saveexec_b64 s[20:21], s[18:19]
	s_xor_b64 s[18:19], exec, s[20:21]
	s_cbranch_execnz .LBB296_1499
; %bb.1108:                             ;   in Loop: Header=BB296_818 Depth=1
	s_or_saveexec_b64 s[18:19], s[18:19]
	v_mov_b32_e32 v11, s22
	s_xor_b64 exec, exec, s[18:19]
	s_cbranch_execnz .LBB296_1502
.LBB296_1109:                           ;   in Loop: Header=BB296_818 Depth=1
	s_or_b64 exec, exec, s[18:19]
	v_mov_b32_e32 v28, v55
	s_and_saveexec_b64 s[18:19], s[0:1]
	s_cbranch_execz .LBB296_1111
.LBB296_1110:                           ;   in Loop: Header=BB296_818 Depth=1
	v_and_b32_e32 v11, 7, v55
	v_ffbh_u32_e32 v11, v11
	v_bfe_u32 v23, v55, 3, 4
	v_min_u32_e32 v11, 32, v11
	v_subrev_u32_e32 v24, 28, v11
	v_sub_u32_e32 v11, 29, v11
	v_cmp_eq_u32_e64 s[0:1], 0, v23
	s_nop 1
	v_cndmask_b32_e64 v11, v23, v11, s[0:1]
	v_cndmask_b32_e64 v23, 0, v24, s[0:1]
	v_lshlrev_b64 v[24:25], v23, v[28:29]
	v_lshlrev_b32_e32 v23, 7, v24
	v_lshlrev_b32_e32 v24, 8, v55
	v_lshl_add_u32 v11, v11, 10, v19
	v_and_or_b32 v11, v24, s24, v11
	v_and_or_b32 v11, v23, s25, v11
	v_cvt_f32_f16_e32 v11, v11
.LBB296_1111:                           ;   in Loop: Header=BB296_818 Depth=1
	s_or_b64 exec, exec, s[18:19]
	v_lshrrev_b16_e32 v28, 8, v28
	v_cmp_lt_i16_e64 s[0:1], s3, v28
	s_mov_b64 s[18:19], 0
                                        ; implicit-def: $sgpr29
	s_and_saveexec_b64 s[20:21], s[0:1]
	s_xor_b64 s[20:21], exec, s[20:21]
	s_cbranch_execnz .LBB296_1503
; %bb.1112:                             ;   in Loop: Header=BB296_818 Depth=1
	s_or_saveexec_b64 s[20:21], s[20:21]
	v_mov_b32_e32 v23, s29
	s_xor_b64 exec, exec, s[20:21]
	s_cbranch_execnz .LBB296_1506
.LBB296_1113:                           ;   in Loop: Header=BB296_818 Depth=1
	s_or_b64 exec, exec, s[20:21]
	s_and_saveexec_b64 s[20:21], s[18:19]
	s_cbranch_execz .LBB296_1115
.LBB296_1114:                           ;   in Loop: Header=BB296_818 Depth=1
	v_and_b32_e32 v23, 7, v28
	v_ffbh_u32_e32 v24, v23
	v_min_u32_e32 v27, 32, v24
	v_subrev_u32_e32 v24, 28, v27
	v_bfe_u32 v26, v28, 3, 4
	v_lshlrev_b64 v[24:25], v24, v[28:29]
	v_sub_u32_e32 v25, 29, v27
	v_cmp_eq_u32_e64 s[0:1], 0, v26
	v_and_b32_e32 v24, 7, v24
	s_nop 0
	v_cndmask_b32_e64 v25, v26, v25, s[0:1]
	v_cndmask_b32_e64 v23, v23, v24, s[0:1]
	v_lshlrev_b32_e32 v24, 8, v28
	v_lshl_add_u32 v25, v25, 10, v19
	v_and_or_b32 v24, v24, s24, v25
	v_lshl_or_b32 v23, v23, 7, v24
	v_cvt_f32_f16_e32 v23, v23
.LBB296_1115:                           ;   in Loop: Header=BB296_818 Depth=1
	s_or_b64 exec, exec, s[20:21]
	v_lshrrev_b32_e32 v28, 16, v55
	v_cmp_gt_i16_sdwa s[18:19], v28, s3 src0_sel:BYTE_0 src1_sel:DWORD
	s_mov_b64 s[0:1], 0
                                        ; implicit-def: $sgpr22
	s_and_saveexec_b64 s[20:21], s[18:19]
	s_xor_b64 s[18:19], exec, s[20:21]
	s_cbranch_execnz .LBB296_1507
; %bb.1116:                             ;   in Loop: Header=BB296_818 Depth=1
	s_or_saveexec_b64 s[18:19], s[18:19]
	v_mov_b32_e32 v24, s22
	s_xor_b64 exec, exec, s[18:19]
	s_cbranch_execnz .LBB296_1510
.LBB296_1117:                           ;   in Loop: Header=BB296_818 Depth=1
	s_or_b64 exec, exec, s[18:19]
	s_and_saveexec_b64 s[18:19], s[0:1]
	s_cbranch_execz .LBB296_1119
.LBB296_1118:                           ;   in Loop: Header=BB296_818 Depth=1
	v_bfe_u32 v26, v55, 16, 3
	v_ffbh_u32_e32 v24, v26
	v_min_u32_e32 v36, 32, v24
	v_subrev_u32_e32 v24, 28, v36
	v_bfe_u32 v27, v55, 19, 4
	v_lshlrev_b64 v[24:25], v24, v[28:29]
	v_sub_u32_e32 v25, 29, v36
	v_cmp_eq_u32_e64 s[0:1], 0, v27
	v_and_b32_e32 v24, 7, v24
	s_nop 0
	v_cndmask_b32_e64 v25, v27, v25, s[0:1]
	v_cndmask_b32_e64 v24, v26, v24, s[0:1]
	v_lshlrev_b32_e32 v26, 8, v28
	v_lshl_add_u32 v25, v25, 10, v19
	v_and_or_b32 v25, v26, s24, v25
	v_lshl_or_b32 v24, v24, 7, v25
	v_cvt_f32_f16_e32 v24, v24
.LBB296_1119:                           ;   in Loop: Header=BB296_818 Depth=1
	s_or_b64 exec, exec, s[18:19]
	v_lshrrev_b32_e32 v28, 24, v55
	v_cmp_lt_i16_e64 s[0:1], s3, v28
	s_mov_b64 s[18:19], 0
                                        ; implicit-def: $sgpr29
	s_and_saveexec_b64 s[20:21], s[0:1]
	s_xor_b64 s[20:21], exec, s[20:21]
	s_cbranch_execnz .LBB296_1511
; %bb.1120:                             ;   in Loop: Header=BB296_818 Depth=1
	s_or_saveexec_b64 s[20:21], s[20:21]
	v_mov_b32_e32 v27, s29
	s_xor_b64 exec, exec, s[20:21]
	s_cbranch_execnz .LBB296_1514
.LBB296_1121:                           ;   in Loop: Header=BB296_818 Depth=1
	s_or_b64 exec, exec, s[20:21]
	s_and_saveexec_b64 s[20:21], s[18:19]
	s_cbranch_execz .LBB296_1123
.LBB296_1122:                           ;   in Loop: Header=BB296_818 Depth=1
	v_bfe_u32 v25, v55, 24, 3
	v_ffbh_u32_e32 v26, v25
	v_min_u32_e32 v38, 32, v26
	v_subrev_u32_e32 v26, 28, v38
	v_bfe_u32 v36, v55, 27, 4
	v_lshlrev_b64 v[26:27], v26, v[28:29]
	v_sub_u32_e32 v27, 29, v38
	v_cmp_eq_u32_e64 s[0:1], 0, v36
	v_and_b32_e32 v26, 7, v26
	s_nop 0
	v_cndmask_b32_e64 v27, v36, v27, s[0:1]
	v_cndmask_b32_e64 v25, v25, v26, s[0:1]
	v_lshlrev_b32_e32 v26, 8, v28
	v_lshl_add_u32 v27, v27, 10, v19
	v_and_or_b32 v26, v26, s24, v27
	v_lshl_or_b32 v25, v25, 7, v26
	v_cvt_f32_f16_e32 v27, v25
.LBB296_1123:                           ;   in Loop: Header=BB296_818 Depth=1
	s_or_b64 exec, exec, s[20:21]
	v_pk_mul_f32 v[54:55], v[52:53], v[42:43] op_sel_hi:[0,1]
	v_pk_mul_f32 v[40:41], v[52:53], v[40:41] op_sel_hi:[0,1]
	v_cvt_f16_f32_e32 v25, v55
	v_cvt_f16_f32_e32 v26, v54
	;; [unrolled: 1-line block ×4, first 2 shown]
	v_fma_mixlo_f16 v23, v52, v23, 0
	v_lshlrev_b32_e32 v23, 16, v23
	v_fma_mixlo_f16 v11, v52, v11, 0
	v_or_b32_sdwa v11, v23, v11 dst_sel:DWORD dst_unused:UNUSED_PAD src0_sel:DWORD src1_sel:WORD_0
	v_fma_mixlo_f16 v23, v52, v27, 0
	v_pack_b32_f16 v26, v26, v25
	v_pack_b32_f16 v28, v36, v28
	v_fma_mixlo_f16 v24, v52, v24, 0
	v_lshlrev_b32_e32 v23, 16, v23
	v_perm_b32 v25, v28, v26, s26
	v_perm_b32 v26, v28, v26, s27
	v_or_b32_sdwa v23, v23, v24 dst_sel:DWORD dst_unused:UNUSED_PAD src0_sel:DWORD src1_sel:WORD_0
	s_and_saveexec_b64 s[18:19], vcc
	s_cbranch_execz .LBB296_1125
; %bb.1124:                             ;   in Loop: Header=BB296_818 Depth=1
	v_lshrrev_b32_e32 v27, 16, v26
	v_cmp_lt_i32_e64 s[0:1], v10, v7
	v_accvgpr_read_b32 v28, a8
	v_lshrrev_b32_e32 v23, 16, v23
	v_cndmask_b32_e64 v27, 0, v27, s[0:1]
	v_cmp_lt_i32_e64 s[0:1], v62, v28
	s_nop 1
	v_cndmask_b32_e64 v26, 0, v26, s[0:1]
	v_perm_b32 v26, v27, v26, s28
	v_lshrrev_b32_e32 v27, 16, v25
	v_cmp_lt_i32_e64 s[0:1], v57, v7
	s_nop 1
	v_cndmask_b32_e64 v27, 0, v27, s[0:1]
	v_cmp_lt_i32_e64 s[0:1], v60, v28
	s_nop 1
	v_cndmask_b32_e64 v25, 0, v25, s[0:1]
	v_perm_b32 v25, v27, v25, s28
	v_lshrrev_b32_e32 v27, 16, v11
	v_cmp_lt_i32_e64 s[0:1], v59, v7
	s_nop 1
	v_cndmask_b32_e64 v27, 0, v27, s[0:1]
	v_cmp_lt_i32_e64 s[0:1], v61, v28
	s_nop 1
	v_cndmask_b32_e64 v11, 0, v11, s[0:1]
	v_cmp_lt_i32_e64 s[0:1], v58, v7
	v_perm_b32 v11, v27, v11, s28
	s_nop 0
	v_cndmask_b32_e64 v23, 0, v23, s[0:1]
	v_cmp_lt_i32_e64 s[0:1], v4, v28
	s_nop 1
	v_cndmask_b32_e64 v24, 0, v24, s[0:1]
	v_perm_b32 v23, v23, v24, s28
.LBB296_1125:                           ;   in Loop: Header=BB296_818 Depth=1
	s_or_b64 exec, exec, s[18:19]
	;;#ASMSTART
	v_pk_mul_f16 v24, v50, v26;

	;;#ASMEND
	;;#ASMSTART
	v_pk_mul_f16 v25, v56, v25;

	;;#ASMEND
	;; [unrolled: 4-line block ×4, first 2 shown]
	s_mov_b64 s[0:1], 0
	;;#ASMSTART
	v_pk_add_f16 v24, v24, v25;

	;;#ASMEND
                                        ; implicit-def: $sgpr22
	s_nop 0
	;;#ASMSTART
	v_pk_add_f16 v11, v24, v11;

	;;#ASMEND
	v_accvgpr_read_b32 v24, a30
	;;#ASMSTART
	v_pk_add_f16 v11, v11, v23;

	;;#ASMEND
	v_accvgpr_read_b32 v25, a31
	v_lshrrev_b32_e32 v23, 16, v11
	v_and_b32_e32 v11, 0xffff, v11
	v_lshl_add_u64 v[24:25], v[32:33], 0, v[24:25]
	;;#ASMSTART
	v_cvt_f32_f16 v11, v11;
	;;#ASMEND
	;;#ASMSTART
	v_cvt_f32_f16 v36, v23;
	;;#ASMEND
	flat_load_dwordx2 v[54:55], v[24:25]
	v_accvgpr_read_b32 v25, a5
	v_accvgpr_read_b32 v24, a4
	flat_load_dword v52, v[24:25]
	s_waitcnt vmcnt(0) lgkmcnt(0)
	v_cmp_gt_i16_sdwa s[18:19], v54, s3 src0_sel:BYTE_0 src1_sel:DWORD
	s_and_saveexec_b64 s[20:21], s[18:19]
	s_xor_b64 s[18:19], exec, s[20:21]
	s_cbranch_execnz .LBB296_1515
; %bb.1126:                             ;   in Loop: Header=BB296_818 Depth=1
	s_or_saveexec_b64 s[18:19], s[18:19]
	v_mov_b32_e32 v40, s22
	s_xor_b64 exec, exec, s[18:19]
	s_cbranch_execnz .LBB296_1518
.LBB296_1127:                           ;   in Loop: Header=BB296_818 Depth=1
	s_or_b64 exec, exec, s[18:19]
	s_and_saveexec_b64 s[18:19], s[0:1]
	s_cbranch_execz .LBB296_1129
.LBB296_1128:                           ;   in Loop: Header=BB296_818 Depth=1
	v_and_b32_e32 v23, 7, v54
	v_ffbh_u32_e32 v23, v23
	v_bfe_u32 v24, v54, 3, 4
	v_min_u32_e32 v23, 32, v23
	v_subrev_u32_e32 v25, 28, v23
	v_sub_u32_e32 v23, 29, v23
	v_cmp_eq_u32_e64 s[0:1], 0, v24
	s_nop 1
	v_cndmask_b32_e64 v23, v24, v23, s[0:1]
	v_cndmask_b32_e64 v24, 0, v25, s[0:1]
	v_lshlrev_b64 v[24:25], v24, v[54:55]
	v_lshlrev_b32_e32 v25, 8, v54
	v_lshl_add_u32 v23, v23, 10, v19
	v_lshlrev_b32_e32 v24, 7, v24
	v_and_or_b32 v23, v25, s24, v23
	v_and_or_b32 v23, v24, s25, v23
	v_cvt_f32_f16_e32 v40, v23
.LBB296_1129:                           ;   in Loop: Header=BB296_818 Depth=1
	s_or_b64 exec, exec, s[18:19]
	v_lshrrev_b16_e32 v28, 8, v54
	v_cmp_lt_i16_e64 s[0:1], s3, v28
	s_mov_b64 s[18:19], 0
                                        ; implicit-def: $sgpr29
	s_and_saveexec_b64 s[20:21], s[0:1]
	s_xor_b64 s[20:21], exec, s[20:21]
	s_cbranch_execnz .LBB296_1519
; %bb.1130:                             ;   in Loop: Header=BB296_818 Depth=1
	s_or_saveexec_b64 s[20:21], s[20:21]
	v_mov_b32_e32 v42, s29
	s_xor_b64 exec, exec, s[20:21]
	s_cbranch_execnz .LBB296_1522
.LBB296_1131:                           ;   in Loop: Header=BB296_818 Depth=1
	s_or_b64 exec, exec, s[20:21]
	s_and_saveexec_b64 s[20:21], s[18:19]
	s_cbranch_execz .LBB296_1133
.LBB296_1132:                           ;   in Loop: Header=BB296_818 Depth=1
	v_and_b32_e32 v23, 7, v28
	v_ffbh_u32_e32 v24, v23
	v_min_u32_e32 v27, 32, v24
	v_subrev_u32_e32 v24, 28, v27
	v_bfe_u32 v26, v28, 3, 4
	v_lshlrev_b64 v[24:25], v24, v[28:29]
	v_sub_u32_e32 v25, 29, v27
	v_cmp_eq_u32_e64 s[0:1], 0, v26
	v_and_b32_e32 v24, 7, v24
	s_nop 0
	v_cndmask_b32_e64 v25, v26, v25, s[0:1]
	v_cndmask_b32_e64 v23, v23, v24, s[0:1]
	v_lshlrev_b32_e32 v24, 8, v28
	v_lshl_add_u32 v25, v25, 10, v19
	v_and_or_b32 v24, v24, s24, v25
	v_lshl_or_b32 v23, v23, 7, v24
	v_cvt_f32_f16_e32 v42, v23
.LBB296_1133:                           ;   in Loop: Header=BB296_818 Depth=1
	s_or_b64 exec, exec, s[20:21]
	v_lshrrev_b32_e32 v28, 16, v54
	v_cmp_gt_i16_sdwa s[18:19], v28, s3 src0_sel:BYTE_0 src1_sel:DWORD
	s_mov_b64 s[0:1], 0
                                        ; implicit-def: $sgpr22
	s_and_saveexec_b64 s[20:21], s[18:19]
	s_xor_b64 s[18:19], exec, s[20:21]
	s_cbranch_execnz .LBB296_1523
; %bb.1134:                             ;   in Loop: Header=BB296_818 Depth=1
	s_or_saveexec_b64 s[18:19], s[18:19]
	v_mov_b32_e32 v41, s22
	s_xor_b64 exec, exec, s[18:19]
	s_cbranch_execnz .LBB296_1526
.LBB296_1135:                           ;   in Loop: Header=BB296_818 Depth=1
	s_or_b64 exec, exec, s[18:19]
	s_and_saveexec_b64 s[18:19], s[0:1]
	s_cbranch_execz .LBB296_1137
.LBB296_1136:                           ;   in Loop: Header=BB296_818 Depth=1
	v_bfe_u32 v23, v54, 16, 3
	v_ffbh_u32_e32 v24, v23
	v_min_u32_e32 v27, 32, v24
	v_subrev_u32_e32 v24, 28, v27
	v_bfe_u32 v26, v54, 19, 4
	v_lshlrev_b64 v[24:25], v24, v[28:29]
	v_sub_u32_e32 v25, 29, v27
	v_cmp_eq_u32_e64 s[0:1], 0, v26
	v_and_b32_e32 v24, 7, v24
	s_nop 0
	v_cndmask_b32_e64 v25, v26, v25, s[0:1]
	v_cndmask_b32_e64 v23, v23, v24, s[0:1]
	v_lshlrev_b32_e32 v24, 8, v28
	v_lshl_add_u32 v25, v25, 10, v19
	v_and_or_b32 v24, v24, s24, v25
	v_lshl_or_b32 v23, v23, 7, v24
	v_cvt_f32_f16_e32 v41, v23
.LBB296_1137:                           ;   in Loop: Header=BB296_818 Depth=1
	s_or_b64 exec, exec, s[18:19]
	v_lshrrev_b32_e32 v28, 24, v54
	v_cmp_lt_i16_e64 s[0:1], s3, v28
	s_mov_b64 s[18:19], 0
                                        ; implicit-def: $sgpr29
	s_and_saveexec_b64 s[20:21], s[0:1]
	s_xor_b64 s[20:21], exec, s[20:21]
	s_cbranch_execnz .LBB296_1527
; %bb.1138:                             ;   in Loop: Header=BB296_818 Depth=1
	s_or_saveexec_b64 s[20:21], s[20:21]
	v_mov_b32_e32 v43, s29
	s_xor_b64 exec, exec, s[20:21]
	s_cbranch_execnz .LBB296_1530
.LBB296_1139:                           ;   in Loop: Header=BB296_818 Depth=1
	s_or_b64 exec, exec, s[20:21]
	s_and_saveexec_b64 s[20:21], s[18:19]
	s_cbranch_execz .LBB296_1141
.LBB296_1140:                           ;   in Loop: Header=BB296_818 Depth=1
	v_bfe_u32 v23, v54, 24, 3
	v_ffbh_u32_e32 v24, v23
	v_min_u32_e32 v27, 32, v24
	v_subrev_u32_e32 v24, 28, v27
	v_bfe_u32 v26, v54, 27, 4
	v_lshlrev_b64 v[24:25], v24, v[28:29]
	v_sub_u32_e32 v25, 29, v27
	v_cmp_eq_u32_e64 s[0:1], 0, v26
	v_and_b32_e32 v24, 7, v24
	s_nop 0
	v_cndmask_b32_e64 v25, v26, v25, s[0:1]
	v_cndmask_b32_e64 v23, v23, v24, s[0:1]
	v_lshlrev_b32_e32 v24, 8, v28
	v_lshl_add_u32 v25, v25, 10, v19
	v_and_or_b32 v24, v24, s24, v25
	v_lshl_or_b32 v23, v23, 7, v24
	v_cvt_f32_f16_e32 v43, v23
.LBB296_1141:                           ;   in Loop: Header=BB296_818 Depth=1
	s_or_b64 exec, exec, s[20:21]
	v_cmp_gt_i16_sdwa s[18:19], v55, s3 src0_sel:BYTE_0 src1_sel:DWORD
	s_mov_b64 s[0:1], 0
                                        ; implicit-def: $sgpr22
	s_and_saveexec_b64 s[20:21], s[18:19]
	s_xor_b64 s[18:19], exec, s[20:21]
	s_cbranch_execnz .LBB296_1531
; %bb.1142:                             ;   in Loop: Header=BB296_818 Depth=1
	s_or_saveexec_b64 s[18:19], s[18:19]
	v_mov_b32_e32 v23, s22
	s_xor_b64 exec, exec, s[18:19]
	s_cbranch_execnz .LBB296_1534
.LBB296_1143:                           ;   in Loop: Header=BB296_818 Depth=1
	s_or_b64 exec, exec, s[18:19]
	v_mov_b32_e32 v28, v55
	s_and_saveexec_b64 s[18:19], s[0:1]
	s_cbranch_execz .LBB296_1145
.LBB296_1144:                           ;   in Loop: Header=BB296_818 Depth=1
	v_and_b32_e32 v23, 7, v55
	v_ffbh_u32_e32 v23, v23
	v_bfe_u32 v24, v55, 3, 4
	v_min_u32_e32 v23, 32, v23
	v_subrev_u32_e32 v25, 28, v23
	v_sub_u32_e32 v23, 29, v23
	v_cmp_eq_u32_e64 s[0:1], 0, v24
	s_nop 1
	v_cndmask_b32_e64 v23, v24, v23, s[0:1]
	v_cndmask_b32_e64 v24, 0, v25, s[0:1]
	v_lshlrev_b64 v[24:25], v24, v[28:29]
	v_lshlrev_b32_e32 v25, 8, v55
	v_lshl_add_u32 v23, v23, 10, v19
	v_lshlrev_b32_e32 v24, 7, v24
	v_and_or_b32 v23, v25, s24, v23
	v_and_or_b32 v23, v24, s25, v23
	v_cvt_f32_f16_e32 v23, v23
.LBB296_1145:                           ;   in Loop: Header=BB296_818 Depth=1
	s_or_b64 exec, exec, s[18:19]
	v_lshrrev_b16_e32 v28, 8, v28
	v_cmp_lt_i16_e64 s[0:1], s3, v28
	s_mov_b64 s[18:19], 0
                                        ; implicit-def: $sgpr29
	s_and_saveexec_b64 s[20:21], s[0:1]
	s_xor_b64 s[20:21], exec, s[20:21]
	s_cbranch_execnz .LBB296_1535
; %bb.1146:                             ;   in Loop: Header=BB296_818 Depth=1
	s_or_saveexec_b64 s[20:21], s[20:21]
	v_mov_b32_e32 v24, s29
	s_xor_b64 exec, exec, s[20:21]
	s_cbranch_execnz .LBB296_1538
.LBB296_1147:                           ;   in Loop: Header=BB296_818 Depth=1
	s_or_b64 exec, exec, s[20:21]
	s_and_saveexec_b64 s[20:21], s[18:19]
	s_cbranch_execz .LBB296_1149
.LBB296_1148:                           ;   in Loop: Header=BB296_818 Depth=1
	v_and_b32_e32 v26, 7, v28
	v_ffbh_u32_e32 v24, v26
	v_min_u32_e32 v38, 32, v24
	v_subrev_u32_e32 v24, 28, v38
	v_bfe_u32 v27, v28, 3, 4
	v_lshlrev_b64 v[24:25], v24, v[28:29]
	v_sub_u32_e32 v25, 29, v38
	v_cmp_eq_u32_e64 s[0:1], 0, v27
	v_and_b32_e32 v24, 7, v24
	s_nop 0
	v_cndmask_b32_e64 v25, v27, v25, s[0:1]
	v_cndmask_b32_e64 v24, v26, v24, s[0:1]
	v_lshlrev_b32_e32 v26, 8, v28
	v_lshl_add_u32 v25, v25, 10, v19
	v_and_or_b32 v25, v26, s24, v25
	v_lshl_or_b32 v24, v24, 7, v25
	v_cvt_f32_f16_e32 v24, v24
.LBB296_1149:                           ;   in Loop: Header=BB296_818 Depth=1
	s_or_b64 exec, exec, s[20:21]
	v_lshrrev_b32_e32 v28, 16, v55
	v_cmp_gt_i16_sdwa s[18:19], v28, s3 src0_sel:BYTE_0 src1_sel:DWORD
	s_mov_b64 s[0:1], 0
                                        ; implicit-def: $sgpr22
	s_and_saveexec_b64 s[20:21], s[18:19]
	s_xor_b64 s[18:19], exec, s[20:21]
	s_cbranch_execnz .LBB296_1539
; %bb.1150:                             ;   in Loop: Header=BB296_818 Depth=1
	s_or_saveexec_b64 s[18:19], s[18:19]
	v_mov_b32_e32 v25, s22
	s_xor_b64 exec, exec, s[18:19]
	s_cbranch_execnz .LBB296_1542
.LBB296_1151:                           ;   in Loop: Header=BB296_818 Depth=1
	s_or_b64 exec, exec, s[18:19]
	s_and_saveexec_b64 s[18:19], s[0:1]
	s_cbranch_execz .LBB296_1153
.LBB296_1152:                           ;   in Loop: Header=BB296_818 Depth=1
	v_bfe_u32 v25, v55, 16, 3
	v_ffbh_u32_e32 v26, v25
	v_min_u32_e32 v39, 32, v26
	v_subrev_u32_e32 v26, 28, v39
	v_bfe_u32 v38, v55, 19, 4
	v_lshlrev_b64 v[26:27], v26, v[28:29]
	v_sub_u32_e32 v27, 29, v39
	v_cmp_eq_u32_e64 s[0:1], 0, v38
	v_and_b32_e32 v26, 7, v26
	s_nop 0
	v_cndmask_b32_e64 v27, v38, v27, s[0:1]
	v_cndmask_b32_e64 v25, v25, v26, s[0:1]
	v_lshlrev_b32_e32 v26, 8, v28
	v_lshl_add_u32 v27, v27, 10, v19
	v_and_or_b32 v26, v26, s24, v27
	v_lshl_or_b32 v25, v25, 7, v26
	v_cvt_f32_f16_e32 v25, v25
.LBB296_1153:                           ;   in Loop: Header=BB296_818 Depth=1
	s_or_b64 exec, exec, s[18:19]
	v_lshrrev_b32_e32 v28, 24, v55
	v_cmp_lt_i16_e64 s[0:1], s3, v28
	s_mov_b64 s[18:19], 0
                                        ; implicit-def: $sgpr29
	s_and_saveexec_b64 s[20:21], s[0:1]
	s_xor_b64 s[20:21], exec, s[20:21]
	s_cbranch_execnz .LBB296_1543
; %bb.1154:                             ;   in Loop: Header=BB296_818 Depth=1
	s_or_saveexec_b64 s[20:21], s[20:21]
	v_mov_b32_e32 v53, s29
	s_xor_b64 exec, exec, s[20:21]
	s_cbranch_execnz .LBB296_1546
.LBB296_1155:                           ;   in Loop: Header=BB296_818 Depth=1
	s_or_b64 exec, exec, s[20:21]
	s_and_saveexec_b64 s[20:21], s[18:19]
	s_cbranch_execz .LBB296_1157
.LBB296_1156:                           ;   in Loop: Header=BB296_818 Depth=1
	v_bfe_u32 v38, v55, 24, 3
	v_ffbh_u32_e32 v26, v38
	v_min_u32_e32 v53, 32, v26
	v_subrev_u32_e32 v26, 28, v53
	v_bfe_u32 v39, v55, 27, 4
	v_lshlrev_b64 v[26:27], v26, v[28:29]
	v_sub_u32_e32 v27, 29, v53
	v_cmp_eq_u32_e64 s[0:1], 0, v39
	v_and_b32_e32 v26, 7, v26
	v_lshlrev_b32_e32 v28, 8, v28
	v_cndmask_b32_e64 v27, v39, v27, s[0:1]
	v_lshl_add_u32 v27, v27, 10, v19
	v_cndmask_b32_e64 v26, v38, v26, s[0:1]
	v_and_or_b32 v27, v28, s24, v27
	v_lshl_or_b32 v26, v26, 7, v27
	v_cvt_f32_f16_e32 v53, v26
.LBB296_1157:                           ;   in Loop: Header=BB296_818 Depth=1
	s_or_b64 exec, exec, s[20:21]
	v_pk_mul_f32 v[26:27], v[52:53], v[42:43] op_sel_hi:[0,1]
	v_pk_mul_f32 v[54:55], v[52:53], v[40:41] op_sel_hi:[0,1]
	v_cvt_f16_f32_e32 v27, v27
	v_cvt_f16_f32_e32 v26, v26
	;; [unrolled: 1-line block ×4, first 2 shown]
	v_fma_mixlo_f16 v24, v52, v24, 0
	v_lshlrev_b32_e32 v24, 16, v24
	v_fma_mixlo_f16 v23, v52, v23, 0
	v_or_b32_sdwa v23, v24, v23 dst_sel:DWORD dst_unused:UNUSED_PAD src0_sel:DWORD src1_sel:WORD_0
	v_fma_mixlo_f16 v24, v52, v53, 0
	v_pack_b32_f16 v27, v26, v27
	v_pack_b32_f16 v28, v38, v28
	v_fma_mixlo_f16 v25, v52, v25, 0
	v_lshlrev_b32_e32 v24, 16, v24
	v_perm_b32 v26, v28, v27, s26
	v_perm_b32 v27, v28, v27, s27
	v_or_b32_sdwa v24, v24, v25 dst_sel:DWORD dst_unused:UNUSED_PAD src0_sel:DWORD src1_sel:WORD_0
	s_and_saveexec_b64 s[18:19], vcc
	s_cbranch_execz .LBB296_1159
; %bb.1158:                             ;   in Loop: Header=BB296_818 Depth=1
	v_lshrrev_b32_e32 v28, 16, v27
	v_cmp_lt_i32_e64 s[0:1], v10, v7
	v_accvgpr_read_b32 v38, a8
	v_lshrrev_b32_e32 v24, 16, v24
	v_cndmask_b32_e64 v28, 0, v28, s[0:1]
	v_cmp_lt_i32_e64 s[0:1], v62, v38
	s_nop 1
	v_cndmask_b32_e64 v27, 0, v27, s[0:1]
	v_perm_b32 v27, v28, v27, s28
	v_lshrrev_b32_e32 v28, 16, v26
	v_cmp_lt_i32_e64 s[0:1], v57, v7
	s_nop 1
	v_cndmask_b32_e64 v28, 0, v28, s[0:1]
	v_cmp_lt_i32_e64 s[0:1], v60, v38
	s_nop 1
	v_cndmask_b32_e64 v26, 0, v26, s[0:1]
	v_perm_b32 v26, v28, v26, s28
	v_lshrrev_b32_e32 v28, 16, v23
	v_cmp_lt_i32_e64 s[0:1], v59, v7
	s_nop 1
	v_cndmask_b32_e64 v28, 0, v28, s[0:1]
	v_cmp_lt_i32_e64 s[0:1], v61, v38
	s_nop 1
	v_cndmask_b32_e64 v23, 0, v23, s[0:1]
	v_cmp_lt_i32_e64 s[0:1], v58, v7
	v_perm_b32 v23, v28, v23, s28
	s_nop 0
	v_cndmask_b32_e64 v24, 0, v24, s[0:1]
	v_cmp_lt_i32_e64 s[0:1], v4, v38
	s_nop 1
	v_cndmask_b32_e64 v25, 0, v25, s[0:1]
	v_perm_b32 v24, v24, v25, s28
.LBB296_1159:                           ;   in Loop: Header=BB296_818 Depth=1
	s_or_b64 exec, exec, s[18:19]
	;;#ASMSTART
	v_pk_mul_f16 v25, v50, v27;

	;;#ASMEND
	;;#ASMSTART
	v_pk_mul_f16 v26, v56, v26;

	;;#ASMEND
	;; [unrolled: 4-line block ×4, first 2 shown]
	s_mov_b64 s[0:1], 0
	;;#ASMSTART
	v_pk_add_f16 v25, v25, v26;

	;;#ASMEND
                                        ; implicit-def: $sgpr22
	s_nop 0
	;;#ASMSTART
	v_pk_add_f16 v23, v25, v23;

	;;#ASMEND
	s_nop 0
	;;#ASMSTART
	v_pk_add_f16 v23, v23, v24;

	;;#ASMEND
	s_nop 0
	v_lshrrev_b32_e32 v24, 16, v23
	v_and_b32_e32 v23, 0xffff, v23
	;;#ASMSTART
	v_cvt_f32_f16 v26, v23;
	;;#ASMEND
	;;#ASMSTART
	v_cvt_f32_f16 v27, v24;
	;;#ASMEND
	v_accvgpr_read_b32 v24, a32
	v_accvgpr_read_b32 v25, a33
	v_lshl_add_u64 v[24:25], v[32:33], 0, v[24:25]
	flat_load_dwordx2 v[54:55], v[24:25]
	v_accvgpr_read_b32 v25, a5
	v_accvgpr_read_b32 v24, a4
	flat_load_dword v52, v[24:25]
	s_waitcnt vmcnt(0) lgkmcnt(0)
	v_cmp_gt_i16_sdwa s[18:19], v54, s3 src0_sel:BYTE_0 src1_sel:DWORD
	s_and_saveexec_b64 s[20:21], s[18:19]
	s_xor_b64 s[18:19], exec, s[20:21]
	s_cbranch_execnz .LBB296_1547
; %bb.1160:                             ;   in Loop: Header=BB296_818 Depth=1
	s_or_saveexec_b64 s[18:19], s[18:19]
	v_mov_b32_e32 v40, s22
	s_xor_b64 exec, exec, s[18:19]
	s_cbranch_execnz .LBB296_1550
.LBB296_1161:                           ;   in Loop: Header=BB296_818 Depth=1
	s_or_b64 exec, exec, s[18:19]
	s_and_saveexec_b64 s[18:19], s[0:1]
	s_cbranch_execz .LBB296_1163
.LBB296_1162:                           ;   in Loop: Header=BB296_818 Depth=1
	v_and_b32_e32 v23, 7, v54
	v_ffbh_u32_e32 v23, v23
	v_bfe_u32 v24, v54, 3, 4
	v_min_u32_e32 v23, 32, v23
	v_subrev_u32_e32 v25, 28, v23
	v_sub_u32_e32 v23, 29, v23
	v_cmp_eq_u32_e64 s[0:1], 0, v24
	s_nop 1
	v_cndmask_b32_e64 v23, v24, v23, s[0:1]
	v_cndmask_b32_e64 v24, 0, v25, s[0:1]
	v_lshlrev_b64 v[24:25], v24, v[54:55]
	v_lshlrev_b32_e32 v25, 8, v54
	v_lshl_add_u32 v23, v23, 10, v19
	v_lshlrev_b32_e32 v24, 7, v24
	v_and_or_b32 v23, v25, s24, v23
	v_and_or_b32 v23, v24, s25, v23
	v_cvt_f32_f16_e32 v40, v23
.LBB296_1163:                           ;   in Loop: Header=BB296_818 Depth=1
	s_or_b64 exec, exec, s[18:19]
	v_lshrrev_b16_e32 v28, 8, v54
	v_cmp_lt_i16_e64 s[0:1], s3, v28
	s_mov_b64 s[18:19], 0
                                        ; implicit-def: $sgpr29
	s_and_saveexec_b64 s[20:21], s[0:1]
	s_xor_b64 s[20:21], exec, s[20:21]
	s_cbranch_execnz .LBB296_1551
; %bb.1164:                             ;   in Loop: Header=BB296_818 Depth=1
	s_or_saveexec_b64 s[20:21], s[20:21]
	v_mov_b32_e32 v42, s29
	s_xor_b64 exec, exec, s[20:21]
	s_cbranch_execnz .LBB296_1554
.LBB296_1165:                           ;   in Loop: Header=BB296_818 Depth=1
	s_or_b64 exec, exec, s[20:21]
	s_and_saveexec_b64 s[20:21], s[18:19]
	s_cbranch_execz .LBB296_1167
.LBB296_1166:                           ;   in Loop: Header=BB296_818 Depth=1
	v_and_b32_e32 v23, 7, v28
	v_ffbh_u32_e32 v24, v23
	v_min_u32_e32 v39, 32, v24
	v_subrev_u32_e32 v24, 28, v39
	v_bfe_u32 v38, v28, 3, 4
	v_lshlrev_b64 v[24:25], v24, v[28:29]
	v_sub_u32_e32 v25, 29, v39
	v_cmp_eq_u32_e64 s[0:1], 0, v38
	v_and_b32_e32 v24, 7, v24
	s_nop 0
	v_cndmask_b32_e64 v25, v38, v25, s[0:1]
	v_cndmask_b32_e64 v23, v23, v24, s[0:1]
	v_lshlrev_b32_e32 v24, 8, v28
	v_lshl_add_u32 v25, v25, 10, v19
	v_and_or_b32 v24, v24, s24, v25
	v_lshl_or_b32 v23, v23, 7, v24
	v_cvt_f32_f16_e32 v42, v23
.LBB296_1167:                           ;   in Loop: Header=BB296_818 Depth=1
	s_or_b64 exec, exec, s[20:21]
	v_lshrrev_b32_e32 v28, 16, v54
	v_cmp_gt_i16_sdwa s[18:19], v28, s3 src0_sel:BYTE_0 src1_sel:DWORD
	s_mov_b64 s[0:1], 0
                                        ; implicit-def: $sgpr22
	s_and_saveexec_b64 s[20:21], s[18:19]
	s_xor_b64 s[18:19], exec, s[20:21]
	s_cbranch_execnz .LBB296_1555
; %bb.1168:                             ;   in Loop: Header=BB296_818 Depth=1
	s_or_saveexec_b64 s[18:19], s[18:19]
	v_mov_b32_e32 v41, s22
	s_xor_b64 exec, exec, s[18:19]
	s_cbranch_execnz .LBB296_1558
.LBB296_1169:                           ;   in Loop: Header=BB296_818 Depth=1
	s_or_b64 exec, exec, s[18:19]
	s_and_saveexec_b64 s[18:19], s[0:1]
	s_cbranch_execz .LBB296_1171
.LBB296_1170:                           ;   in Loop: Header=BB296_818 Depth=1
	v_bfe_u32 v23, v54, 16, 3
	v_ffbh_u32_e32 v24, v23
	v_min_u32_e32 v39, 32, v24
	v_subrev_u32_e32 v24, 28, v39
	v_bfe_u32 v38, v54, 19, 4
	v_lshlrev_b64 v[24:25], v24, v[28:29]
	v_sub_u32_e32 v25, 29, v39
	v_cmp_eq_u32_e64 s[0:1], 0, v38
	v_and_b32_e32 v24, 7, v24
	s_nop 0
	v_cndmask_b32_e64 v25, v38, v25, s[0:1]
	v_cndmask_b32_e64 v23, v23, v24, s[0:1]
	v_lshlrev_b32_e32 v24, 8, v28
	v_lshl_add_u32 v25, v25, 10, v19
	v_and_or_b32 v24, v24, s24, v25
	v_lshl_or_b32 v23, v23, 7, v24
	v_cvt_f32_f16_e32 v41, v23
.LBB296_1171:                           ;   in Loop: Header=BB296_818 Depth=1
	s_or_b64 exec, exec, s[18:19]
	v_lshrrev_b32_e32 v28, 24, v54
	v_cmp_lt_i16_e64 s[0:1], s3, v28
	s_mov_b64 s[18:19], 0
                                        ; implicit-def: $sgpr29
	s_and_saveexec_b64 s[20:21], s[0:1]
	s_xor_b64 s[20:21], exec, s[20:21]
	s_cbranch_execnz .LBB296_1559
; %bb.1172:                             ;   in Loop: Header=BB296_818 Depth=1
	s_or_saveexec_b64 s[20:21], s[20:21]
	v_mov_b32_e32 v43, s29
	s_xor_b64 exec, exec, s[20:21]
	s_cbranch_execnz .LBB296_1562
.LBB296_1173:                           ;   in Loop: Header=BB296_818 Depth=1
	s_or_b64 exec, exec, s[20:21]
	s_and_saveexec_b64 s[20:21], s[18:19]
	s_cbranch_execz .LBB296_1175
.LBB296_1174:                           ;   in Loop: Header=BB296_818 Depth=1
	v_bfe_u32 v23, v54, 24, 3
	v_ffbh_u32_e32 v24, v23
	v_min_u32_e32 v39, 32, v24
	v_subrev_u32_e32 v24, 28, v39
	v_bfe_u32 v38, v54, 27, 4
	v_lshlrev_b64 v[24:25], v24, v[28:29]
	v_sub_u32_e32 v25, 29, v39
	v_cmp_eq_u32_e64 s[0:1], 0, v38
	v_and_b32_e32 v24, 7, v24
	s_nop 0
	v_cndmask_b32_e64 v25, v38, v25, s[0:1]
	v_cndmask_b32_e64 v23, v23, v24, s[0:1]
	v_lshlrev_b32_e32 v24, 8, v28
	v_lshl_add_u32 v25, v25, 10, v19
	v_and_or_b32 v24, v24, s24, v25
	v_lshl_or_b32 v23, v23, 7, v24
	v_cvt_f32_f16_e32 v43, v23
.LBB296_1175:                           ;   in Loop: Header=BB296_818 Depth=1
	s_or_b64 exec, exec, s[20:21]
	v_cmp_gt_i16_sdwa s[18:19], v55, s3 src0_sel:BYTE_0 src1_sel:DWORD
	s_mov_b64 s[0:1], 0
                                        ; implicit-def: $sgpr22
	s_and_saveexec_b64 s[20:21], s[18:19]
	s_xor_b64 s[18:19], exec, s[20:21]
	s_cbranch_execnz .LBB296_1563
; %bb.1176:                             ;   in Loop: Header=BB296_818 Depth=1
	s_or_saveexec_b64 s[18:19], s[18:19]
	v_mov_b32_e32 v23, s22
	s_xor_b64 exec, exec, s[18:19]
	s_cbranch_execnz .LBB296_1566
.LBB296_1177:                           ;   in Loop: Header=BB296_818 Depth=1
	s_or_b64 exec, exec, s[18:19]
	v_mov_b32_e32 v28, v55
	s_and_saveexec_b64 s[18:19], s[0:1]
	s_cbranch_execz .LBB296_1179
.LBB296_1178:                           ;   in Loop: Header=BB296_818 Depth=1
	v_and_b32_e32 v23, 7, v55
	v_ffbh_u32_e32 v23, v23
	v_bfe_u32 v24, v55, 3, 4
	v_min_u32_e32 v23, 32, v23
	v_subrev_u32_e32 v25, 28, v23
	v_sub_u32_e32 v23, 29, v23
	v_cmp_eq_u32_e64 s[0:1], 0, v24
	s_nop 1
	v_cndmask_b32_e64 v23, v24, v23, s[0:1]
	v_cndmask_b32_e64 v24, 0, v25, s[0:1]
	v_lshlrev_b64 v[24:25], v24, v[28:29]
	v_lshlrev_b32_e32 v25, 8, v55
	v_lshl_add_u32 v23, v23, 10, v19
	v_lshlrev_b32_e32 v24, 7, v24
	v_and_or_b32 v23, v25, s24, v23
	v_and_or_b32 v23, v24, s25, v23
	v_cvt_f32_f16_e32 v23, v23
.LBB296_1179:                           ;   in Loop: Header=BB296_818 Depth=1
	s_or_b64 exec, exec, s[18:19]
	v_lshrrev_b16_e32 v28, 8, v28
	v_cmp_lt_i16_e64 s[0:1], s3, v28
	s_mov_b64 s[18:19], 0
                                        ; implicit-def: $sgpr29
	s_and_saveexec_b64 s[20:21], s[0:1]
	s_xor_b64 s[20:21], exec, s[20:21]
	s_cbranch_execnz .LBB296_1567
; %bb.1180:                             ;   in Loop: Header=BB296_818 Depth=1
	s_or_saveexec_b64 s[20:21], s[20:21]
	v_mov_b32_e32 v24, s29
	s_xor_b64 exec, exec, s[20:21]
	s_cbranch_execnz .LBB296_1570
.LBB296_1181:                           ;   in Loop: Header=BB296_818 Depth=1
	s_or_b64 exec, exec, s[20:21]
	s_and_saveexec_b64 s[20:21], s[18:19]
	s_cbranch_execz .LBB296_1183
.LBB296_1182:                           ;   in Loop: Header=BB296_818 Depth=1
	v_and_b32_e32 v38, 7, v28
	v_ffbh_u32_e32 v24, v38
	v_min_u32_e32 v53, 32, v24
	v_subrev_u32_e32 v24, 28, v53
	v_bfe_u32 v39, v28, 3, 4
	v_lshlrev_b64 v[24:25], v24, v[28:29]
	v_sub_u32_e32 v25, 29, v53
	v_cmp_eq_u32_e64 s[0:1], 0, v39
	v_and_b32_e32 v24, 7, v24
	v_lshlrev_b32_e32 v28, 8, v28
	v_cndmask_b32_e64 v25, v39, v25, s[0:1]
	v_lshl_add_u32 v25, v25, 10, v19
	v_cndmask_b32_e64 v24, v38, v24, s[0:1]
	v_and_or_b32 v25, v28, s24, v25
	v_lshl_or_b32 v24, v24, 7, v25
	v_cvt_f32_f16_e32 v24, v24
.LBB296_1183:                           ;   in Loop: Header=BB296_818 Depth=1
	s_or_b64 exec, exec, s[20:21]
	v_lshrrev_b32_e32 v28, 16, v55
	v_cmp_gt_i16_sdwa s[18:19], v28, s3 src0_sel:BYTE_0 src1_sel:DWORD
	s_mov_b64 s[0:1], 0
                                        ; implicit-def: $sgpr22
	s_and_saveexec_b64 s[20:21], s[18:19]
	s_xor_b64 s[18:19], exec, s[20:21]
	s_cbranch_execnz .LBB296_1571
; %bb.1184:                             ;   in Loop: Header=BB296_818 Depth=1
	s_or_saveexec_b64 s[18:19], s[18:19]
	v_mov_b32_e32 v25, s22
	s_xor_b64 exec, exec, s[18:19]
	s_cbranch_execnz .LBB296_1574
.LBB296_1185:                           ;   in Loop: Header=BB296_818 Depth=1
	s_or_b64 exec, exec, s[18:19]
	s_and_saveexec_b64 s[18:19], s[0:1]
	s_cbranch_execz .LBB296_1187
.LBB296_1186:                           ;   in Loop: Header=BB296_818 Depth=1
	v_bfe_u32 v25, v55, 16, 3
	v_ffbh_u32_e32 v38, v25
	v_min_u32_e32 v54, 32, v38
	v_subrev_u32_e32 v38, 28, v54
	v_bfe_u32 v53, v55, 19, 4
	v_lshlrev_b64 v[38:39], v38, v[28:29]
	v_sub_u32_e32 v39, 29, v54
	v_cmp_eq_u32_e64 s[0:1], 0, v53
	v_and_b32_e32 v38, 7, v38
	v_lshlrev_b32_e32 v28, 8, v28
	v_cndmask_b32_e64 v39, v53, v39, s[0:1]
	v_cndmask_b32_e64 v25, v25, v38, s[0:1]
	v_lshl_add_u32 v38, v39, 10, v19
	v_and_or_b32 v28, v28, s24, v38
	v_lshl_or_b32 v25, v25, 7, v28
	v_cvt_f32_f16_e32 v25, v25
.LBB296_1187:                           ;   in Loop: Header=BB296_818 Depth=1
	s_or_b64 exec, exec, s[18:19]
	v_lshrrev_b32_e32 v28, 24, v55
	v_cmp_lt_i16_e64 s[0:1], s3, v28
	s_mov_b64 s[18:19], 0
                                        ; implicit-def: $sgpr29
	s_and_saveexec_b64 s[20:21], s[0:1]
	s_xor_b64 s[20:21], exec, s[20:21]
	s_cbranch_execnz .LBB296_1575
; %bb.1188:                             ;   in Loop: Header=BB296_818 Depth=1
	s_or_saveexec_b64 s[20:21], s[20:21]
	v_mov_b32_e32 v54, s29
	s_xor_b64 exec, exec, s[20:21]
	s_cbranch_execnz .LBB296_1578
.LBB296_1189:                           ;   in Loop: Header=BB296_818 Depth=1
	s_or_b64 exec, exec, s[20:21]
	s_and_saveexec_b64 s[20:21], s[18:19]
	s_cbranch_execz .LBB296_1191
.LBB296_1190:                           ;   in Loop: Header=BB296_818 Depth=1
	v_bfe_u32 v53, v55, 24, 3
	v_ffbh_u32_e32 v38, v53
	v_bfe_u32 v54, v55, 27, 4
	v_min_u32_e32 v55, 32, v38
	v_subrev_u32_e32 v38, 28, v55
	v_lshlrev_b64 v[38:39], v38, v[28:29]
	v_sub_u32_e32 v39, 29, v55
	v_cmp_eq_u32_e64 s[0:1], 0, v54
	v_and_b32_e32 v38, 7, v38
	v_lshlrev_b32_e32 v28, 8, v28
	v_cndmask_b32_e64 v39, v54, v39, s[0:1]
	v_lshl_add_u32 v39, v39, 10, v19
	v_cndmask_b32_e64 v38, v53, v38, s[0:1]
	v_and_or_b32 v28, v28, s24, v39
	v_lshl_or_b32 v28, v38, 7, v28
	v_cvt_f32_f16_e32 v54, v28
.LBB296_1191:                           ;   in Loop: Header=BB296_818 Depth=1
	s_or_b64 exec, exec, s[20:21]
	v_pk_mul_f32 v[38:39], v[52:53], v[42:43] op_sel_hi:[0,1]
	v_pk_mul_f32 v[40:41], v[52:53], v[40:41] op_sel_hi:[0,1]
	v_cvt_f16_f32_e32 v28, v39
	v_cvt_f16_f32_e32 v38, v38
	;; [unrolled: 1-line block ×4, first 2 shown]
	v_fma_mixlo_f16 v24, v52, v24, 0
	v_lshlrev_b32_e32 v24, 16, v24
	v_fma_mixlo_f16 v23, v52, v23, 0
	v_or_b32_sdwa v23, v24, v23 dst_sel:DWORD dst_unused:UNUSED_PAD src0_sel:DWORD src1_sel:WORD_0
	v_fma_mixlo_f16 v24, v52, v54, 0
	v_pack_b32_f16 v38, v38, v28
	v_pack_b32_f16 v39, v53, v39
	v_fma_mixlo_f16 v25, v52, v25, 0
	v_lshlrev_b32_e32 v24, 16, v24
	v_perm_b32 v28, v39, v38, s26
	v_perm_b32 v53, v39, v38, s27
	v_or_b32_sdwa v24, v24, v25 dst_sel:DWORD dst_unused:UNUSED_PAD src0_sel:DWORD src1_sel:WORD_0
	s_and_saveexec_b64 s[18:19], vcc
	s_cbranch_execz .LBB296_1193
; %bb.1192:                             ;   in Loop: Header=BB296_818 Depth=1
	v_lshrrev_b32_e32 v38, 16, v53
	v_cmp_lt_i32_e64 s[0:1], v10, v7
	v_accvgpr_read_b32 v52, a8
	v_lshrrev_b32_e32 v24, 16, v24
	v_cndmask_b32_e64 v38, 0, v38, s[0:1]
	v_cmp_lt_i32_e64 s[0:1], v62, v52
	s_nop 1
	v_cndmask_b32_e64 v39, 0, v53, s[0:1]
	v_perm_b32 v53, v38, v39, s28
	v_lshrrev_b32_e32 v38, 16, v28
	v_cmp_lt_i32_e64 s[0:1], v57, v7
	s_nop 1
	v_cndmask_b32_e64 v38, 0, v38, s[0:1]
	v_cmp_lt_i32_e64 s[0:1], v60, v52
	s_nop 1
	v_cndmask_b32_e64 v28, 0, v28, s[0:1]
	v_perm_b32 v28, v38, v28, s28
	v_lshrrev_b32_e32 v38, 16, v23
	v_cmp_lt_i32_e64 s[0:1], v59, v7
	s_nop 1
	v_cndmask_b32_e64 v38, 0, v38, s[0:1]
	v_cmp_lt_i32_e64 s[0:1], v61, v52
	s_nop 1
	v_cndmask_b32_e64 v23, 0, v23, s[0:1]
	v_cmp_lt_i32_e64 s[0:1], v58, v7
	v_perm_b32 v23, v38, v23, s28
	s_nop 0
	v_cndmask_b32_e64 v24, 0, v24, s[0:1]
	v_cmp_lt_i32_e64 s[0:1], v4, v52
	s_nop 1
	v_cndmask_b32_e64 v25, 0, v25, s[0:1]
	v_perm_b32 v24, v24, v25, s28
.LBB296_1193:                           ;   in Loop: Header=BB296_818 Depth=1
	s_or_b64 exec, exec, s[18:19]
	;;#ASMSTART
	v_pk_mul_f16 v25, v50, v53;

	;;#ASMEND
	;;#ASMSTART
	v_pk_mul_f16 v28, v56, v28;

	;;#ASMEND
	;; [unrolled: 4-line block ×4, first 2 shown]
	v_accvgpr_read_b32 v39, a35
	;;#ASMSTART
	v_pk_add_f16 v25, v25, v28;

	;;#ASMEND
	v_accvgpr_read_b32 v38, a34
	;;#ASMSTART
	v_pk_add_f16 v23, v25, v23;

	;;#ASMEND
	v_lshl_add_u64 v[32:33], v[32:33], 0, v[38:39]
	;;#ASMSTART
	v_pk_add_f16 v23, v23, v24;

	;;#ASMEND
	s_mov_b64 s[0:1], 0
	v_lshrrev_b32_e32 v24, 16, v23
	v_and_b32_e32 v23, 0xffff, v23
	;;#ASMSTART
	v_cvt_f32_f16 v23, v23;
	;;#ASMEND
	;;#ASMSTART
	v_cvt_f32_f16 v24, v24;
	;;#ASMEND
	flat_load_dwordx2 v[52:53], v[32:33]
	v_accvgpr_read_b32 v33, a5
	v_accvgpr_read_b32 v32, a4
	flat_load_dword v32, v[32:33]
                                        ; implicit-def: $sgpr22
	s_waitcnt vmcnt(0) lgkmcnt(0)
	v_cmp_gt_i16_sdwa s[18:19], v52, s3 src0_sel:BYTE_0 src1_sel:DWORD
	s_and_saveexec_b64 s[20:21], s[18:19]
	s_xor_b64 s[18:19], exec, s[20:21]
	s_cbranch_execnz .LBB296_1579
; %bb.1194:                             ;   in Loop: Header=BB296_818 Depth=1
	s_or_saveexec_b64 s[18:19], s[18:19]
	v_mov_b32_e32 v54, s22
	s_xor_b64 exec, exec, s[18:19]
	s_cbranch_execnz .LBB296_1582
.LBB296_1195:                           ;   in Loop: Header=BB296_818 Depth=1
	s_or_b64 exec, exec, s[18:19]
	s_and_saveexec_b64 s[18:19], s[0:1]
	s_cbranch_execz .LBB296_1197
.LBB296_1196:                           ;   in Loop: Header=BB296_818 Depth=1
	v_and_b32_e32 v25, 7, v52
	v_ffbh_u32_e32 v25, v25
	v_bfe_u32 v28, v52, 3, 4
	v_min_u32_e32 v25, 32, v25
	v_subrev_u32_e32 v33, 28, v25
	v_sub_u32_e32 v25, 29, v25
	v_cmp_eq_u32_e64 s[0:1], 0, v28
	s_nop 1
	v_cndmask_b32_e64 v25, v28, v25, s[0:1]
	v_cndmask_b32_e64 v28, 0, v33, s[0:1]
	v_lshlrev_b64 v[38:39], v28, v[52:53]
	v_lshlrev_b32_e32 v33, 8, v52
	v_lshl_add_u32 v25, v25, 10, v19
	v_lshlrev_b32_e32 v28, 7, v38
	v_and_or_b32 v25, v33, s24, v25
	v_and_or_b32 v25, v28, s25, v25
	v_cvt_f32_f16_e32 v54, v25
.LBB296_1197:                           ;   in Loop: Header=BB296_818 Depth=1
	s_or_b64 exec, exec, s[18:19]
	v_lshrrev_b16_e32 v28, 8, v52
	v_cmp_lt_i16_e64 s[0:1], s3, v28
	s_mov_b64 s[18:19], 0
                                        ; implicit-def: $sgpr29
	s_and_saveexec_b64 s[20:21], s[0:1]
	s_xor_b64 s[20:21], exec, s[20:21]
	s_cbranch_execnz .LBB296_1583
; %bb.1198:                             ;   in Loop: Header=BB296_818 Depth=1
	s_or_saveexec_b64 s[20:21], s[20:21]
	v_mov_b32_e32 v40, s29
	s_xor_b64 exec, exec, s[20:21]
	s_cbranch_execnz .LBB296_1586
.LBB296_1199:                           ;   in Loop: Header=BB296_818 Depth=1
	s_or_b64 exec, exec, s[20:21]
	s_and_saveexec_b64 s[20:21], s[18:19]
	s_cbranch_execz .LBB296_1201
.LBB296_1200:                           ;   in Loop: Header=BB296_818 Depth=1
	v_and_b32_e32 v25, 7, v28
	v_ffbh_u32_e32 v38, v25
	v_min_u32_e32 v55, 32, v38
	v_subrev_u32_e32 v38, 28, v55
	v_bfe_u32 v33, v28, 3, 4
	v_lshlrev_b64 v[38:39], v38, v[28:29]
	v_sub_u32_e32 v39, 29, v55
	v_cmp_eq_u32_e64 s[0:1], 0, v33
	v_and_b32_e32 v38, 7, v38
	v_lshlrev_b32_e32 v28, 8, v28
	v_cndmask_b32_e64 v33, v33, v39, s[0:1]
	v_lshl_add_u32 v33, v33, 10, v19
	v_cndmask_b32_e64 v25, v25, v38, s[0:1]
	v_and_or_b32 v28, v28, s24, v33
	v_lshl_or_b32 v25, v25, 7, v28
	v_cvt_f32_f16_e32 v40, v25
.LBB296_1201:                           ;   in Loop: Header=BB296_818 Depth=1
	s_or_b64 exec, exec, s[20:21]
	v_lshrrev_b32_e32 v28, 16, v52
	v_cmp_gt_i16_sdwa s[18:19], v28, s3 src0_sel:BYTE_0 src1_sel:DWORD
	s_mov_b64 s[0:1], 0
                                        ; implicit-def: $sgpr22
	s_and_saveexec_b64 s[20:21], s[18:19]
	s_xor_b64 s[18:19], exec, s[20:21]
	s_cbranch_execnz .LBB296_1587
; %bb.1202:                             ;   in Loop: Header=BB296_818 Depth=1
	s_or_saveexec_b64 s[18:19], s[18:19]
	v_mov_b32_e32 v55, s22
	s_xor_b64 exec, exec, s[18:19]
	s_cbranch_execnz .LBB296_1590
.LBB296_1203:                           ;   in Loop: Header=BB296_818 Depth=1
	s_or_b64 exec, exec, s[18:19]
	s_and_saveexec_b64 s[18:19], s[0:1]
	s_cbranch_execz .LBB296_1205
.LBB296_1204:                           ;   in Loop: Header=BB296_818 Depth=1
	v_bfe_u32 v25, v52, 16, 3
	v_ffbh_u32_e32 v38, v25
	v_min_u32_e32 v55, 32, v38
	v_subrev_u32_e32 v38, 28, v55
	v_bfe_u32 v33, v52, 19, 4
	v_lshlrev_b64 v[38:39], v38, v[28:29]
	v_sub_u32_e32 v39, 29, v55
	v_cmp_eq_u32_e64 s[0:1], 0, v33
	v_and_b32_e32 v38, 7, v38
	v_lshlrev_b32_e32 v28, 8, v28
	v_cndmask_b32_e64 v33, v33, v39, s[0:1]
	v_lshl_add_u32 v33, v33, 10, v19
	v_cndmask_b32_e64 v25, v25, v38, s[0:1]
	v_and_or_b32 v28, v28, s24, v33
	v_lshl_or_b32 v25, v25, 7, v28
	v_cvt_f32_f16_e32 v55, v25
.LBB296_1205:                           ;   in Loop: Header=BB296_818 Depth=1
	s_or_b64 exec, exec, s[18:19]
	v_lshrrev_b32_e32 v28, 24, v52
	v_cmp_lt_i16_e64 s[0:1], s3, v28
	s_mov_b64 s[18:19], 0
                                        ; implicit-def: $sgpr29
	s_and_saveexec_b64 s[20:21], s[0:1]
	s_xor_b64 s[20:21], exec, s[20:21]
	s_cbranch_execnz .LBB296_1591
; %bb.1206:                             ;   in Loop: Header=BB296_818 Depth=1
	s_or_saveexec_b64 s[20:21], s[20:21]
	v_mov_b32_e32 v41, s29
	s_xor_b64 exec, exec, s[20:21]
	s_cbranch_execnz .LBB296_1594
.LBB296_1207:                           ;   in Loop: Header=BB296_818 Depth=1
	s_or_b64 exec, exec, s[20:21]
	s_and_saveexec_b64 s[20:21], s[18:19]
	s_cbranch_execz .LBB296_1209
.LBB296_1208:                           ;   in Loop: Header=BB296_818 Depth=1
	v_bfe_u32 v25, v52, 24, 3
	v_ffbh_u32_e32 v38, v25
	v_bfe_u32 v33, v52, 27, 4
	v_min_u32_e32 v52, 32, v38
	v_subrev_u32_e32 v38, 28, v52
	v_lshlrev_b64 v[38:39], v38, v[28:29]
	v_sub_u32_e32 v39, 29, v52
	v_cmp_eq_u32_e64 s[0:1], 0, v33
	v_and_b32_e32 v38, 7, v38
	v_lshlrev_b32_e32 v28, 8, v28
	v_cndmask_b32_e64 v33, v33, v39, s[0:1]
	v_lshl_add_u32 v33, v33, 10, v19
	v_cndmask_b32_e64 v25, v25, v38, s[0:1]
	v_and_or_b32 v28, v28, s24, v33
	v_lshl_or_b32 v25, v25, 7, v28
	v_cvt_f32_f16_e32 v41, v25
.LBB296_1209:                           ;   in Loop: Header=BB296_818 Depth=1
	s_or_b64 exec, exec, s[20:21]
	v_cmp_gt_i16_sdwa s[18:19], v53, s3 src0_sel:BYTE_0 src1_sel:DWORD
	s_mov_b64 s[0:1], 0
                                        ; implicit-def: $sgpr22
	s_and_saveexec_b64 s[20:21], s[18:19]
	s_xor_b64 s[18:19], exec, s[20:21]
	s_cbranch_execnz .LBB296_1595
; %bb.1210:                             ;   in Loop: Header=BB296_818 Depth=1
	s_or_saveexec_b64 s[18:19], s[18:19]
	v_mov_b32_e32 v25, s22
	s_xor_b64 exec, exec, s[18:19]
	s_cbranch_execnz .LBB296_1598
.LBB296_1211:                           ;   in Loop: Header=BB296_818 Depth=1
	s_or_b64 exec, exec, s[18:19]
	v_mov_b32_e32 v28, v53
	s_and_saveexec_b64 s[18:19], s[0:1]
	s_cbranch_execz .LBB296_1213
.LBB296_1212:                           ;   in Loop: Header=BB296_818 Depth=1
	v_and_b32_e32 v25, 7, v53
	v_ffbh_u32_e32 v25, v25
	v_bfe_u32 v33, v53, 3, 4
	v_min_u32_e32 v25, 32, v25
	v_subrev_u32_e32 v38, 28, v25
	v_sub_u32_e32 v25, 29, v25
	v_cmp_eq_u32_e64 s[0:1], 0, v33
	s_nop 1
	v_cndmask_b32_e64 v25, v33, v25, s[0:1]
	v_cndmask_b32_e64 v33, 0, v38, s[0:1]
	v_lshlrev_b64 v[38:39], v33, v[28:29]
	v_lshlrev_b32_e32 v33, 7, v38
	v_lshlrev_b32_e32 v38, 8, v53
	v_lshl_add_u32 v25, v25, 10, v19
	v_and_or_b32 v25, v38, s24, v25
	v_and_or_b32 v25, v33, s25, v25
	v_cvt_f32_f16_e32 v25, v25
.LBB296_1213:                           ;   in Loop: Header=BB296_818 Depth=1
	s_or_b64 exec, exec, s[18:19]
	v_lshrrev_b16_e32 v28, 8, v28
	v_cmp_lt_i16_e64 s[0:1], s3, v28
	s_mov_b64 s[18:19], 0
                                        ; implicit-def: $sgpr29
	s_and_saveexec_b64 s[20:21], s[0:1]
	s_xor_b64 s[20:21], exec, s[20:21]
	s_cbranch_execnz .LBB296_1599
; %bb.1214:                             ;   in Loop: Header=BB296_818 Depth=1
	s_or_saveexec_b64 s[20:21], s[20:21]
	v_mov_b32_e32 v33, s29
	s_xor_b64 exec, exec, s[20:21]
	s_cbranch_execnz .LBB296_1602
.LBB296_1215:                           ;   in Loop: Header=BB296_818 Depth=1
	s_or_b64 exec, exec, s[20:21]
	s_and_saveexec_b64 s[20:21], s[18:19]
	s_cbranch_execz .LBB296_1217
.LBB296_1216:                           ;   in Loop: Header=BB296_818 Depth=1
	v_and_b32_e32 v33, 7, v28
	v_ffbh_u32_e32 v38, v33
	v_min_u32_e32 v42, 32, v38
	v_subrev_u32_e32 v38, 28, v42
	v_bfe_u32 v52, v28, 3, 4
	v_lshlrev_b64 v[38:39], v38, v[28:29]
	v_sub_u32_e32 v39, 29, v42
	v_cmp_eq_u32_e64 s[0:1], 0, v52
	v_and_b32_e32 v38, 7, v38
	v_lshlrev_b32_e32 v28, 8, v28
	v_cndmask_b32_e64 v39, v52, v39, s[0:1]
	v_cndmask_b32_e64 v33, v33, v38, s[0:1]
	v_lshl_add_u32 v38, v39, 10, v19
	v_and_or_b32 v28, v28, s24, v38
	v_lshl_or_b32 v28, v33, 7, v28
	v_cvt_f32_f16_e32 v33, v28
.LBB296_1217:                           ;   in Loop: Header=BB296_818 Depth=1
	s_or_b64 exec, exec, s[20:21]
	v_lshrrev_b32_e32 v28, 16, v53
	v_cmp_gt_i16_sdwa s[18:19], v28, s3 src0_sel:BYTE_0 src1_sel:DWORD
	s_mov_b64 s[0:1], 0
                                        ; implicit-def: $sgpr22
	s_and_saveexec_b64 s[20:21], s[18:19]
	s_xor_b64 s[18:19], exec, s[20:21]
	s_cbranch_execnz .LBB296_1603
; %bb.1218:                             ;   in Loop: Header=BB296_818 Depth=1
	s_or_saveexec_b64 s[18:19], s[18:19]
	v_mov_b32_e32 v52, s22
	s_xor_b64 exec, exec, s[18:19]
	s_cbranch_execnz .LBB296_1606
.LBB296_1219:                           ;   in Loop: Header=BB296_818 Depth=1
	s_or_b64 exec, exec, s[18:19]
	s_and_saveexec_b64 s[18:19], s[0:1]
	s_cbranch_execz .LBB296_1221
.LBB296_1220:                           ;   in Loop: Header=BB296_818 Depth=1
	v_bfe_u32 v52, v53, 16, 3
	v_ffbh_u32_e32 v38, v52
	v_min_u32_e32 v43, 32, v38
	v_subrev_u32_e32 v38, 28, v43
	v_bfe_u32 v42, v53, 19, 4
	v_lshlrev_b64 v[38:39], v38, v[28:29]
	v_sub_u32_e32 v39, 29, v43
	v_cmp_eq_u32_e64 s[0:1], 0, v42
	v_and_b32_e32 v38, 7, v38
	v_lshlrev_b32_e32 v28, 8, v28
	v_cndmask_b32_e64 v39, v42, v39, s[0:1]
	v_lshl_add_u32 v39, v39, 10, v19
	v_cndmask_b32_e64 v38, v52, v38, s[0:1]
	v_and_or_b32 v28, v28, s24, v39
	v_lshl_or_b32 v28, v38, 7, v28
	v_cvt_f32_f16_e32 v52, v28
.LBB296_1221:                           ;   in Loop: Header=BB296_818 Depth=1
	s_or_b64 exec, exec, s[18:19]
	v_lshrrev_b32_e32 v28, 24, v53
	v_cmp_lt_i16_e64 s[0:1], s3, v28
	s_mov_b64 s[18:19], 0
                                        ; implicit-def: $sgpr29
	s_and_saveexec_b64 s[20:21], s[0:1]
	s_xor_b64 s[20:21], exec, s[20:21]
	s_cbranch_execnz .LBB296_1607
; %bb.1222:                             ;   in Loop: Header=BB296_818 Depth=1
	s_or_saveexec_b64 s[20:21], s[20:21]
	v_mov_b32_e32 v42, s29
	s_xor_b64 exec, exec, s[20:21]
	s_cbranch_execnz .LBB296_1610
.LBB296_1223:                           ;   in Loop: Header=BB296_818 Depth=1
	s_or_b64 exec, exec, s[20:21]
	s_and_saveexec_b64 s[20:21], s[18:19]
	s_cbranch_execz .LBB296_1225
.LBB296_1224:                           ;   in Loop: Header=BB296_818 Depth=1
	v_bfe_u32 v42, v53, 24, 3
	v_ffbh_u32_e32 v38, v42
	v_min_u32_e32 v43, 32, v38
	v_subrev_u32_e32 v38, 28, v43
	v_bfe_u32 v53, v53, 27, 4
	v_lshlrev_b64 v[38:39], v38, v[28:29]
	v_sub_u32_e32 v39, 29, v43
	v_cmp_eq_u32_e64 s[0:1], 0, v53
	v_and_b32_e32 v38, 7, v38
	v_lshlrev_b32_e32 v28, 8, v28
	v_cndmask_b32_e64 v39, v53, v39, s[0:1]
	v_lshl_add_u32 v39, v39, 10, v19
	v_cndmask_b32_e64 v38, v42, v38, s[0:1]
	v_and_or_b32 v28, v28, s24, v39
	v_lshl_or_b32 v28, v38, 7, v28
	v_cvt_f32_f16_e32 v42, v28
.LBB296_1225:                           ;   in Loop: Header=BB296_818 Depth=1
	s_or_b64 exec, exec, s[20:21]
	v_pk_mul_f32 v[38:39], v[32:33], v[40:41] op_sel_hi:[0,1]
	v_pk_mul_f32 v[54:55], v[32:33], v[54:55] op_sel_hi:[0,1]
	v_cvt_f16_f32_e32 v28, v39
	v_cvt_f16_f32_e32 v38, v38
	v_cvt_f16_f32_e32 v39, v55
	v_cvt_f16_f32_e32 v53, v54
	v_fma_mixlo_f16 v33, v32, v33, 0
	v_lshlrev_b32_e32 v33, 16, v33
	v_fma_mixlo_f16 v25, v32, v25, 0
	v_or_b32_sdwa v25, v33, v25 dst_sel:DWORD dst_unused:UNUSED_PAD src0_sel:DWORD src1_sel:WORD_0
	v_fma_mixlo_f16 v33, v32, v52, 0
	v_fma_mixlo_f16 v32, v32, v42, 0
	v_pack_b32_f16 v38, v38, v28
	v_pack_b32_f16 v39, v53, v39
	v_lshlrev_b32_e32 v32, 16, v32
	v_perm_b32 v28, v39, v38, s26
	v_perm_b32 v53, v39, v38, s27
	v_or_b32_sdwa v32, v32, v33 dst_sel:DWORD dst_unused:UNUSED_PAD src0_sel:DWORD src1_sel:WORD_0
	s_and_saveexec_b64 s[0:1], vcc
	s_cbranch_execz .LBB296_816
; %bb.1226:                             ;   in Loop: Header=BB296_818 Depth=1
	v_lshrrev_b32_e32 v38, 16, v53
	v_cmp_lt_i32_e32 vcc, v10, v7
	v_accvgpr_read_b32 v52, a8
	s_nop 0
	v_cndmask_b32_e32 v10, 0, v38, vcc
	v_cmp_lt_i32_e32 vcc, v62, v52
	s_nop 1
	v_cndmask_b32_e32 v38, 0, v53, vcc
	v_perm_b32 v53, v10, v38, s28
	v_lshrrev_b32_e32 v10, 16, v28
	v_cmp_lt_i32_e32 vcc, v57, v7
	s_nop 1
	v_cndmask_b32_e32 v10, 0, v10, vcc
	v_cmp_lt_i32_e32 vcc, v60, v52
	s_nop 1
	v_cndmask_b32_e32 v28, 0, v28, vcc
	v_perm_b32 v28, v10, v28, s28
	v_lshrrev_b32_e32 v10, 16, v25
	v_cmp_lt_i32_e32 vcc, v59, v7
	;; [unrolled: 8-line block ×3, first 2 shown]
	s_nop 1
	v_cndmask_b32_e32 v10, 0, v10, vcc
	v_cmp_lt_i32_e32 vcc, v4, v52
	s_nop 1
	v_cndmask_b32_e32 v4, 0, v33, vcc
	v_perm_b32 v32, v10, v4, s28
	s_branch .LBB296_816
.LBB296_1227:                           ;   in Loop: Header=BB296_818 Depth=1
	v_cmp_eq_u16_sdwa vcc, v40, s15 src0_sel:BYTE_0 src1_sel:DWORD
	s_mov_b64 s[0:1], -1
                                        ; implicit-def: $sgpr22
	s_and_saveexec_b64 s[20:21], vcc
; %bb.1228:                             ;   in Loop: Header=BB296_818 Depth=1
	s_mov_b32 s22, 0x7fc02000
	s_xor_b64 s[0:1], exec, -1
; %bb.1229:                             ;   in Loop: Header=BB296_818 Depth=1
	s_or_b64 exec, exec, s[20:21]
	s_and_b64 s[0:1], s[0:1], exec
	s_or_saveexec_b64 s[18:19], s[18:19]
	v_mov_b32_e32 v42, s22
	s_xor_b64 exec, exec, s[18:19]
	s_cbranch_execz .LBB296_821
.LBB296_1230:                           ;   in Loop: Header=BB296_818 Depth=1
	v_cmp_ne_u16_sdwa s[20:21], v40, v29 src0_sel:BYTE_0 src1_sel:DWORD
	s_andn2_b64 s[0:1], s[0:1], exec
	s_and_b64 s[20:21], s[20:21], exec
	v_mov_b32_e32 v42, 0
	s_or_b64 s[0:1], s[0:1], s[20:21]
	s_or_b64 exec, exec, s[18:19]
	s_and_saveexec_b64 s[18:19], s[0:1]
	s_cbranch_execnz .LBB296_822
	s_branch .LBB296_823
.LBB296_1231:                           ;   in Loop: Header=BB296_818 Depth=1
	v_cmp_eq_u16_e32 vcc, s15, v28
	s_mov_b64 s[0:1], -1
                                        ; implicit-def: $sgpr22
	s_and_saveexec_b64 s[20:21], vcc
; %bb.1232:                             ;   in Loop: Header=BB296_818 Depth=1
	s_mov_b32 s22, 0x7fc02000
	s_xor_b64 s[0:1], exec, -1
; %bb.1233:                             ;   in Loop: Header=BB296_818 Depth=1
	s_or_b64 exec, exec, s[20:21]
	s_and_b64 s[0:1], s[0:1], exec
	s_or_saveexec_b64 s[18:19], s[18:19]
	v_mov_b32_e32 v44, s22
	s_xor_b64 exec, exec, s[18:19]
	s_cbranch_execz .LBB296_825
.LBB296_1234:                           ;   in Loop: Header=BB296_818 Depth=1
	v_cmp_ne_u16_e32 vcc, 0, v28
	s_andn2_b64 s[0:1], s[0:1], exec
	s_and_b64 s[20:21], vcc, exec
	v_mov_b32_e32 v44, 0
	s_or_b64 s[0:1], s[0:1], s[20:21]
	s_or_b64 exec, exec, s[18:19]
	s_and_saveexec_b64 s[18:19], s[0:1]
	s_cbranch_execnz .LBB296_826
	s_branch .LBB296_827
.LBB296_1235:                           ;   in Loop: Header=BB296_818 Depth=1
	v_cmp_eq_u16_sdwa vcc, v28, s15 src0_sel:BYTE_0 src1_sel:DWORD
	s_mov_b64 s[0:1], -1
                                        ; implicit-def: $sgpr22
	s_and_saveexec_b64 s[20:21], vcc
; %bb.1236:                             ;   in Loop: Header=BB296_818 Depth=1
	s_mov_b32 s22, 0x7fc02000
	s_xor_b64 s[0:1], exec, -1
; %bb.1237:                             ;   in Loop: Header=BB296_818 Depth=1
	s_or_b64 exec, exec, s[20:21]
	s_and_b64 s[0:1], s[0:1], exec
	s_or_saveexec_b64 s[18:19], s[18:19]
	v_mov_b32_e32 v43, s22
	s_xor_b64 exec, exec, s[18:19]
	s_cbranch_execz .LBB296_829
.LBB296_1238:                           ;   in Loop: Header=BB296_818 Depth=1
	v_cmp_ne_u16_sdwa s[20:21], v28, v29 src0_sel:BYTE_0 src1_sel:DWORD
	s_andn2_b64 s[0:1], s[0:1], exec
	s_and_b64 s[20:21], s[20:21], exec
	v_mov_b32_e32 v43, 0
	s_or_b64 s[0:1], s[0:1], s[20:21]
	s_or_b64 exec, exec, s[18:19]
	s_and_saveexec_b64 s[18:19], s[0:1]
	s_cbranch_execnz .LBB296_830
	s_branch .LBB296_831
.LBB296_1239:                           ;   in Loop: Header=BB296_818 Depth=1
	v_cmp_eq_u16_e32 vcc, s15, v28
	s_mov_b64 s[0:1], -1
                                        ; implicit-def: $sgpr22
	s_and_saveexec_b64 s[20:21], vcc
; %bb.1240:                             ;   in Loop: Header=BB296_818 Depth=1
	s_mov_b32 s22, 0x7fc02000
	s_xor_b64 s[0:1], exec, -1
; %bb.1241:                             ;   in Loop: Header=BB296_818 Depth=1
	s_or_b64 exec, exec, s[20:21]
	s_and_b64 s[0:1], s[0:1], exec
	s_or_saveexec_b64 s[18:19], s[18:19]
	v_mov_b32_e32 v45, s22
	s_xor_b64 exec, exec, s[18:19]
	s_cbranch_execz .LBB296_833
.LBB296_1242:                           ;   in Loop: Header=BB296_818 Depth=1
	v_cmp_ne_u16_e32 vcc, 0, v28
	s_andn2_b64 s[0:1], s[0:1], exec
	s_and_b64 s[20:21], vcc, exec
	v_mov_b32_e32 v45, 0
	s_or_b64 s[0:1], s[0:1], s[20:21]
	s_or_b64 exec, exec, s[18:19]
	s_and_saveexec_b64 s[18:19], s[0:1]
	s_cbranch_execnz .LBB296_834
	s_branch .LBB296_835
.LBB296_1243:                           ;   in Loop: Header=BB296_818 Depth=1
	v_cmp_eq_u16_sdwa vcc, v41, s15 src0_sel:BYTE_0 src1_sel:DWORD
	s_mov_b64 s[0:1], -1
                                        ; implicit-def: $sgpr22
	s_and_saveexec_b64 s[20:21], vcc
; %bb.1244:                             ;   in Loop: Header=BB296_818 Depth=1
	s_mov_b32 s22, 0x7fc02000
	s_xor_b64 s[0:1], exec, -1
; %bb.1245:                             ;   in Loop: Header=BB296_818 Depth=1
	s_or_b64 exec, exec, s[20:21]
	s_and_b64 s[0:1], s[0:1], exec
	s_or_saveexec_b64 s[18:19], s[18:19]
	v_mov_b32_e32 v4, s22
	s_xor_b64 exec, exec, s[18:19]
	s_cbranch_execz .LBB296_837
.LBB296_1246:                           ;   in Loop: Header=BB296_818 Depth=1
	v_cmp_ne_u16_sdwa s[20:21], v41, v29 src0_sel:BYTE_0 src1_sel:DWORD
	s_andn2_b64 s[0:1], s[0:1], exec
	s_and_b64 s[20:21], s[20:21], exec
	v_mov_b32_e32 v4, 0
	s_or_b64 s[0:1], s[0:1], s[20:21]
	s_or_b64 exec, exec, s[18:19]
	v_mov_b32_e32 v28, v41
	s_and_saveexec_b64 s[18:19], s[0:1]
	s_cbranch_execnz .LBB296_838
	s_branch .LBB296_839
.LBB296_1247:                           ;   in Loop: Header=BB296_818 Depth=1
	v_cmp_eq_u16_e32 vcc, s15, v28
	s_mov_b64 s[0:1], -1
                                        ; implicit-def: $sgpr22
	s_and_saveexec_b64 s[20:21], vcc
; %bb.1248:                             ;   in Loop: Header=BB296_818 Depth=1
	s_mov_b32 s22, 0x7fc02000
	s_xor_b64 s[0:1], exec, -1
; %bb.1249:                             ;   in Loop: Header=BB296_818 Depth=1
	s_or_b64 exec, exec, s[20:21]
	s_and_b64 s[0:1], s[0:1], exec
	s_or_saveexec_b64 s[18:19], s[18:19]
	v_mov_b32_e32 v10, s22
	s_xor_b64 exec, exec, s[18:19]
	s_cbranch_execz .LBB296_841
.LBB296_1250:                           ;   in Loop: Header=BB296_818 Depth=1
	v_cmp_ne_u16_e32 vcc, 0, v28
	s_andn2_b64 s[0:1], s[0:1], exec
	s_and_b64 s[20:21], vcc, exec
	v_mov_b32_e32 v10, 0
	s_or_b64 s[0:1], s[0:1], s[20:21]
	s_or_b64 exec, exec, s[18:19]
	s_and_saveexec_b64 s[18:19], s[0:1]
	s_cbranch_execnz .LBB296_842
	s_branch .LBB296_843
.LBB296_1251:                           ;   in Loop: Header=BB296_818 Depth=1
	v_cmp_eq_u16_sdwa vcc, v28, s15 src0_sel:BYTE_0 src1_sel:DWORD
	s_mov_b64 s[0:1], -1
                                        ; implicit-def: $sgpr22
	s_and_saveexec_b64 s[20:21], vcc
; %bb.1252:                             ;   in Loop: Header=BB296_818 Depth=1
	s_mov_b32 s22, 0x7fc02000
	s_xor_b64 s[0:1], exec, -1
; %bb.1253:                             ;   in Loop: Header=BB296_818 Depth=1
	s_or_b64 exec, exec, s[20:21]
	s_and_b64 s[0:1], s[0:1], exec
	s_or_saveexec_b64 s[18:19], s[18:19]
	v_mov_b32_e32 v24, s22
	s_xor_b64 exec, exec, s[18:19]
	s_cbranch_execz .LBB296_845
.LBB296_1254:                           ;   in Loop: Header=BB296_818 Depth=1
	v_cmp_ne_u16_sdwa s[20:21], v28, v29 src0_sel:BYTE_0 src1_sel:DWORD
	s_andn2_b64 s[0:1], s[0:1], exec
	s_and_b64 s[20:21], s[20:21], exec
	v_mov_b32_e32 v24, 0
	s_or_b64 s[0:1], s[0:1], s[20:21]
	s_or_b64 exec, exec, s[18:19]
	s_and_saveexec_b64 s[18:19], s[0:1]
	s_cbranch_execnz .LBB296_846
	s_branch .LBB296_847
.LBB296_1255:                           ;   in Loop: Header=BB296_818 Depth=1
	v_cmp_eq_u16_e32 vcc, s15, v28
	s_mov_b64 s[0:1], -1
                                        ; implicit-def: $sgpr22
	s_and_saveexec_b64 s[20:21], vcc
; %bb.1256:                             ;   in Loop: Header=BB296_818 Depth=1
	s_mov_b32 s22, 0x7fc02000
	s_xor_b64 s[0:1], exec, -1
; %bb.1257:                             ;   in Loop: Header=BB296_818 Depth=1
	s_or_b64 exec, exec, s[20:21]
	s_and_b64 s[0:1], s[0:1], exec
	s_or_saveexec_b64 s[18:19], s[18:19]
	v_mov_b32_e32 v36, s22
	s_xor_b64 exec, exec, s[18:19]
	s_cbranch_execz .LBB296_849
.LBB296_1258:                           ;   in Loop: Header=BB296_818 Depth=1
	v_cmp_ne_u16_e32 vcc, 0, v28
	s_andn2_b64 s[0:1], s[0:1], exec
	s_and_b64 s[20:21], vcc, exec
	v_mov_b32_e32 v36, 0
	s_or_b64 s[0:1], s[0:1], s[20:21]
	s_or_b64 exec, exec, s[18:19]
	s_and_saveexec_b64 s[18:19], s[0:1]
	s_cbranch_execnz .LBB296_850
	s_branch .LBB296_851
.LBB296_1259:                           ;   in Loop: Header=BB296_818 Depth=1
	v_cmp_eq_u16_sdwa s[30:31], v40, s15 src0_sel:BYTE_0 src1_sel:DWORD
	s_mov_b64 s[0:1], -1
                                        ; implicit-def: $sgpr22
	s_and_saveexec_b64 s[20:21], s[30:31]
; %bb.1260:                             ;   in Loop: Header=BB296_818 Depth=1
	s_mov_b32 s22, 0x7fc02000
	s_xor_b64 s[0:1], exec, -1
; %bb.1261:                             ;   in Loop: Header=BB296_818 Depth=1
	s_or_b64 exec, exec, s[20:21]
	s_and_b64 s[0:1], s[0:1], exec
	s_or_saveexec_b64 s[18:19], s[18:19]
	v_mov_b32_e32 v42, s22
	s_xor_b64 exec, exec, s[18:19]
	s_cbranch_execz .LBB296_855
.LBB296_1262:                           ;   in Loop: Header=BB296_818 Depth=1
	v_cmp_ne_u16_sdwa s[20:21], v40, v29 src0_sel:BYTE_0 src1_sel:DWORD
	s_andn2_b64 s[0:1], s[0:1], exec
	s_and_b64 s[20:21], s[20:21], exec
	v_mov_b32_e32 v42, 0
	s_or_b64 s[0:1], s[0:1], s[20:21]
	s_or_b64 exec, exec, s[18:19]
	s_and_saveexec_b64 s[18:19], s[0:1]
	s_cbranch_execnz .LBB296_856
	s_branch .LBB296_857
.LBB296_1263:                           ;   in Loop: Header=BB296_818 Depth=1
	v_cmp_eq_u16_e64 s[0:1], s15, v28
	s_mov_b64 s[18:19], -1
                                        ; implicit-def: $sgpr29
	s_and_saveexec_b64 s[22:23], s[0:1]
; %bb.1264:                             ;   in Loop: Header=BB296_818 Depth=1
	s_mov_b32 s29, 0x7fc02000
	s_xor_b64 s[18:19], exec, -1
; %bb.1265:                             ;   in Loop: Header=BB296_818 Depth=1
	s_or_b64 exec, exec, s[22:23]
	s_and_b64 s[18:19], s[18:19], exec
	s_or_saveexec_b64 s[20:21], s[20:21]
	v_mov_b32_e32 v44, s29
	s_xor_b64 exec, exec, s[20:21]
	s_cbranch_execz .LBB296_859
.LBB296_1266:                           ;   in Loop: Header=BB296_818 Depth=1
	v_cmp_ne_u16_e64 s[0:1], 0, v28
	s_andn2_b64 s[18:19], s[18:19], exec
	s_and_b64 s[0:1], s[0:1], exec
	v_mov_b32_e32 v44, 0
	s_or_b64 s[18:19], s[18:19], s[0:1]
	s_or_b64 exec, exec, s[20:21]
	s_and_saveexec_b64 s[20:21], s[18:19]
	s_cbranch_execnz .LBB296_860
	s_branch .LBB296_861
.LBB296_1267:                           ;   in Loop: Header=BB296_818 Depth=1
	v_cmp_eq_u16_sdwa s[30:31], v28, s15 src0_sel:BYTE_0 src1_sel:DWORD
	s_mov_b64 s[0:1], -1
                                        ; implicit-def: $sgpr22
	s_and_saveexec_b64 s[20:21], s[30:31]
; %bb.1268:                             ;   in Loop: Header=BB296_818 Depth=1
	s_mov_b32 s22, 0x7fc02000
	s_xor_b64 s[0:1], exec, -1
; %bb.1269:                             ;   in Loop: Header=BB296_818 Depth=1
	s_or_b64 exec, exec, s[20:21]
	s_and_b64 s[0:1], s[0:1], exec
	s_or_saveexec_b64 s[18:19], s[18:19]
	v_mov_b32_e32 v43, s22
	s_xor_b64 exec, exec, s[18:19]
	s_cbranch_execz .LBB296_863
.LBB296_1270:                           ;   in Loop: Header=BB296_818 Depth=1
	v_cmp_ne_u16_sdwa s[20:21], v28, v29 src0_sel:BYTE_0 src1_sel:DWORD
	s_andn2_b64 s[0:1], s[0:1], exec
	s_and_b64 s[20:21], s[20:21], exec
	v_mov_b32_e32 v43, 0
	s_or_b64 s[0:1], s[0:1], s[20:21]
	s_or_b64 exec, exec, s[18:19]
	s_and_saveexec_b64 s[18:19], s[0:1]
	s_cbranch_execnz .LBB296_864
	s_branch .LBB296_865
.LBB296_1271:                           ;   in Loop: Header=BB296_818 Depth=1
	v_cmp_eq_u16_e64 s[0:1], s15, v28
	s_mov_b64 s[18:19], -1
                                        ; implicit-def: $sgpr29
	s_and_saveexec_b64 s[22:23], s[0:1]
; %bb.1272:                             ;   in Loop: Header=BB296_818 Depth=1
	s_mov_b32 s29, 0x7fc02000
	s_xor_b64 s[18:19], exec, -1
; %bb.1273:                             ;   in Loop: Header=BB296_818 Depth=1
	s_or_b64 exec, exec, s[22:23]
	s_and_b64 s[18:19], s[18:19], exec
	s_or_saveexec_b64 s[20:21], s[20:21]
	v_mov_b32_e32 v45, s29
	s_xor_b64 exec, exec, s[20:21]
	s_cbranch_execz .LBB296_867
.LBB296_1274:                           ;   in Loop: Header=BB296_818 Depth=1
	v_cmp_ne_u16_e64 s[0:1], 0, v28
	s_andn2_b64 s[18:19], s[18:19], exec
	s_and_b64 s[0:1], s[0:1], exec
	v_mov_b32_e32 v45, 0
	s_or_b64 s[18:19], s[18:19], s[0:1]
	s_or_b64 exec, exec, s[20:21]
	s_and_saveexec_b64 s[20:21], s[18:19]
	s_cbranch_execnz .LBB296_868
	s_branch .LBB296_869
.LBB296_1275:                           ;   in Loop: Header=BB296_818 Depth=1
	v_cmp_eq_u16_sdwa s[30:31], v41, s15 src0_sel:BYTE_0 src1_sel:DWORD
	s_mov_b64 s[0:1], -1
                                        ; implicit-def: $sgpr22
	s_and_saveexec_b64 s[20:21], s[30:31]
; %bb.1276:                             ;   in Loop: Header=BB296_818 Depth=1
	s_mov_b32 s22, 0x7fc02000
	s_xor_b64 s[0:1], exec, -1
; %bb.1277:                             ;   in Loop: Header=BB296_818 Depth=1
	s_or_b64 exec, exec, s[20:21]
	s_and_b64 s[0:1], s[0:1], exec
	s_or_saveexec_b64 s[18:19], s[18:19]
	v_mov_b32_e32 v6, s22
	s_xor_b64 exec, exec, s[18:19]
	s_cbranch_execz .LBB296_871
.LBB296_1278:                           ;   in Loop: Header=BB296_818 Depth=1
	v_cmp_ne_u16_sdwa s[20:21], v41, v29 src0_sel:BYTE_0 src1_sel:DWORD
	s_andn2_b64 s[0:1], s[0:1], exec
	s_and_b64 s[20:21], s[20:21], exec
	v_mov_b32_e32 v6, 0
	s_or_b64 s[0:1], s[0:1], s[20:21]
	s_or_b64 exec, exec, s[18:19]
	v_mov_b32_e32 v28, v41
	s_and_saveexec_b64 s[18:19], s[0:1]
	s_cbranch_execnz .LBB296_872
	s_branch .LBB296_873
.LBB296_1279:                           ;   in Loop: Header=BB296_818 Depth=1
	v_cmp_eq_u16_e64 s[0:1], s15, v28
	s_mov_b64 s[18:19], -1
                                        ; implicit-def: $sgpr29
	s_and_saveexec_b64 s[22:23], s[0:1]
; %bb.1280:                             ;   in Loop: Header=BB296_818 Depth=1
	s_mov_b32 s29, 0x7fc02000
	s_xor_b64 s[18:19], exec, -1
; %bb.1281:                             ;   in Loop: Header=BB296_818 Depth=1
	s_or_b64 exec, exec, s[22:23]
	s_and_b64 s[18:19], s[18:19], exec
	s_or_saveexec_b64 s[20:21], s[20:21]
	v_mov_b32_e32 v11, s29
	s_xor_b64 exec, exec, s[20:21]
	s_cbranch_execz .LBB296_875
.LBB296_1282:                           ;   in Loop: Header=BB296_818 Depth=1
	v_cmp_ne_u16_e64 s[0:1], 0, v28
	s_andn2_b64 s[18:19], s[18:19], exec
	s_and_b64 s[0:1], s[0:1], exec
	v_mov_b32_e32 v11, 0
	s_or_b64 s[18:19], s[18:19], s[0:1]
	s_or_b64 exec, exec, s[20:21]
	s_and_saveexec_b64 s[20:21], s[18:19]
	s_cbranch_execnz .LBB296_876
	s_branch .LBB296_877
.LBB296_1283:                           ;   in Loop: Header=BB296_818 Depth=1
	v_cmp_eq_u16_sdwa s[30:31], v28, s15 src0_sel:BYTE_0 src1_sel:DWORD
	s_mov_b64 s[0:1], -1
                                        ; implicit-def: $sgpr22
	s_and_saveexec_b64 s[20:21], s[30:31]
; %bb.1284:                             ;   in Loop: Header=BB296_818 Depth=1
	s_mov_b32 s22, 0x7fc02000
	s_xor_b64 s[0:1], exec, -1
; %bb.1285:                             ;   in Loop: Header=BB296_818 Depth=1
	s_or_b64 exec, exec, s[20:21]
	s_and_b64 s[0:1], s[0:1], exec
	s_or_saveexec_b64 s[18:19], s[18:19]
	v_mov_b32_e32 v16, s22
	s_xor_b64 exec, exec, s[18:19]
	s_cbranch_execz .LBB296_879
.LBB296_1286:                           ;   in Loop: Header=BB296_818 Depth=1
	v_cmp_ne_u16_sdwa s[20:21], v28, v29 src0_sel:BYTE_0 src1_sel:DWORD
	s_andn2_b64 s[0:1], s[0:1], exec
	s_and_b64 s[20:21], s[20:21], exec
	v_mov_b32_e32 v16, 0
	s_or_b64 s[0:1], s[0:1], s[20:21]
	s_or_b64 exec, exec, s[18:19]
	s_and_saveexec_b64 s[18:19], s[0:1]
	s_cbranch_execnz .LBB296_880
	s_branch .LBB296_881
.LBB296_1287:                           ;   in Loop: Header=BB296_818 Depth=1
	v_cmp_eq_u16_e64 s[0:1], s15, v28
	s_mov_b64 s[18:19], -1
                                        ; implicit-def: $sgpr29
	s_and_saveexec_b64 s[22:23], s[0:1]
; %bb.1288:                             ;   in Loop: Header=BB296_818 Depth=1
	s_mov_b32 s29, 0x7fc02000
	s_xor_b64 s[18:19], exec, -1
; %bb.1289:                             ;   in Loop: Header=BB296_818 Depth=1
	s_or_b64 exec, exec, s[22:23]
	s_and_b64 s[18:19], s[18:19], exec
	s_or_saveexec_b64 s[20:21], s[20:21]
	v_mov_b32_e32 v21, s29
	s_xor_b64 exec, exec, s[20:21]
	s_cbranch_execz .LBB296_883
.LBB296_1290:                           ;   in Loop: Header=BB296_818 Depth=1
	v_cmp_ne_u16_e64 s[0:1], 0, v28
	s_andn2_b64 s[18:19], s[18:19], exec
	s_and_b64 s[0:1], s[0:1], exec
	v_mov_b32_e32 v21, 0
	s_or_b64 s[18:19], s[18:19], s[0:1]
	s_or_b64 exec, exec, s[20:21]
	s_and_saveexec_b64 s[20:21], s[18:19]
	s_cbranch_execnz .LBB296_884
	s_branch .LBB296_885
.LBB296_1291:                           ;   in Loop: Header=BB296_818 Depth=1
	v_cmp_eq_u16_sdwa s[30:31], v40, s15 src0_sel:BYTE_0 src1_sel:DWORD
	s_mov_b64 s[0:1], -1
                                        ; implicit-def: $sgpr22
	s_and_saveexec_b64 s[20:21], s[30:31]
; %bb.1292:                             ;   in Loop: Header=BB296_818 Depth=1
	s_mov_b32 s22, 0x7fc02000
	s_xor_b64 s[0:1], exec, -1
; %bb.1293:                             ;   in Loop: Header=BB296_818 Depth=1
	s_or_b64 exec, exec, s[20:21]
	s_and_b64 s[0:1], s[0:1], exec
	s_or_saveexec_b64 s[18:19], s[18:19]
	v_mov_b32_e32 v42, s22
	s_xor_b64 exec, exec, s[18:19]
	s_cbranch_execz .LBB296_889
.LBB296_1294:                           ;   in Loop: Header=BB296_818 Depth=1
	v_cmp_ne_u16_sdwa s[20:21], v40, v29 src0_sel:BYTE_0 src1_sel:DWORD
	s_andn2_b64 s[0:1], s[0:1], exec
	s_and_b64 s[20:21], s[20:21], exec
	v_mov_b32_e32 v42, 0
	s_or_b64 s[0:1], s[0:1], s[20:21]
	s_or_b64 exec, exec, s[18:19]
	s_and_saveexec_b64 s[18:19], s[0:1]
	s_cbranch_execnz .LBB296_890
	s_branch .LBB296_891
.LBB296_1295:                           ;   in Loop: Header=BB296_818 Depth=1
	v_cmp_eq_u16_e64 s[0:1], s15, v28
	s_mov_b64 s[18:19], -1
                                        ; implicit-def: $sgpr29
	s_and_saveexec_b64 s[22:23], s[0:1]
; %bb.1296:                             ;   in Loop: Header=BB296_818 Depth=1
	s_mov_b32 s29, 0x7fc02000
	s_xor_b64 s[18:19], exec, -1
; %bb.1297:                             ;   in Loop: Header=BB296_818 Depth=1
	s_or_b64 exec, exec, s[22:23]
	s_and_b64 s[18:19], s[18:19], exec
	s_or_saveexec_b64 s[20:21], s[20:21]
	v_mov_b32_e32 v44, s29
	s_xor_b64 exec, exec, s[20:21]
	s_cbranch_execz .LBB296_893
.LBB296_1298:                           ;   in Loop: Header=BB296_818 Depth=1
	v_cmp_ne_u16_e64 s[0:1], 0, v28
	s_andn2_b64 s[18:19], s[18:19], exec
	s_and_b64 s[0:1], s[0:1], exec
	v_mov_b32_e32 v44, 0
	s_or_b64 s[18:19], s[18:19], s[0:1]
	s_or_b64 exec, exec, s[20:21]
	s_and_saveexec_b64 s[20:21], s[18:19]
	s_cbranch_execnz .LBB296_894
	s_branch .LBB296_895
.LBB296_1299:                           ;   in Loop: Header=BB296_818 Depth=1
	v_cmp_eq_u16_sdwa s[30:31], v28, s15 src0_sel:BYTE_0 src1_sel:DWORD
	s_mov_b64 s[0:1], -1
                                        ; implicit-def: $sgpr22
	s_and_saveexec_b64 s[20:21], s[30:31]
; %bb.1300:                             ;   in Loop: Header=BB296_818 Depth=1
	s_mov_b32 s22, 0x7fc02000
	s_xor_b64 s[0:1], exec, -1
; %bb.1301:                             ;   in Loop: Header=BB296_818 Depth=1
	s_or_b64 exec, exec, s[20:21]
	s_and_b64 s[0:1], s[0:1], exec
	s_or_saveexec_b64 s[18:19], s[18:19]
	v_mov_b32_e32 v43, s22
	s_xor_b64 exec, exec, s[18:19]
	s_cbranch_execz .LBB296_897
.LBB296_1302:                           ;   in Loop: Header=BB296_818 Depth=1
	v_cmp_ne_u16_sdwa s[20:21], v28, v29 src0_sel:BYTE_0 src1_sel:DWORD
	s_andn2_b64 s[0:1], s[0:1], exec
	s_and_b64 s[20:21], s[20:21], exec
	v_mov_b32_e32 v43, 0
	s_or_b64 s[0:1], s[0:1], s[20:21]
	s_or_b64 exec, exec, s[18:19]
	s_and_saveexec_b64 s[18:19], s[0:1]
	s_cbranch_execnz .LBB296_898
	s_branch .LBB296_899
.LBB296_1303:                           ;   in Loop: Header=BB296_818 Depth=1
	v_cmp_eq_u16_e64 s[0:1], s15, v28
	s_mov_b64 s[18:19], -1
                                        ; implicit-def: $sgpr29
	s_and_saveexec_b64 s[22:23], s[0:1]
; %bb.1304:                             ;   in Loop: Header=BB296_818 Depth=1
	s_mov_b32 s29, 0x7fc02000
	s_xor_b64 s[18:19], exec, -1
; %bb.1305:                             ;   in Loop: Header=BB296_818 Depth=1
	s_or_b64 exec, exec, s[22:23]
	s_and_b64 s[18:19], s[18:19], exec
	s_or_saveexec_b64 s[20:21], s[20:21]
	v_mov_b32_e32 v45, s29
	s_xor_b64 exec, exec, s[20:21]
	s_cbranch_execz .LBB296_901
.LBB296_1306:                           ;   in Loop: Header=BB296_818 Depth=1
	v_cmp_ne_u16_e64 s[0:1], 0, v28
	s_andn2_b64 s[18:19], s[18:19], exec
	s_and_b64 s[0:1], s[0:1], exec
	v_mov_b32_e32 v45, 0
	s_or_b64 s[18:19], s[18:19], s[0:1]
	s_or_b64 exec, exec, s[20:21]
	s_and_saveexec_b64 s[20:21], s[18:19]
	s_cbranch_execnz .LBB296_902
	s_branch .LBB296_903
.LBB296_1307:                           ;   in Loop: Header=BB296_818 Depth=1
	v_cmp_eq_u16_sdwa s[30:31], v41, s15 src0_sel:BYTE_0 src1_sel:DWORD
	s_mov_b64 s[0:1], -1
                                        ; implicit-def: $sgpr22
	s_and_saveexec_b64 s[20:21], s[30:31]
; %bb.1308:                             ;   in Loop: Header=BB296_818 Depth=1
	s_mov_b32 s22, 0x7fc02000
	s_xor_b64 s[0:1], exec, -1
; %bb.1309:                             ;   in Loop: Header=BB296_818 Depth=1
	s_or_b64 exec, exec, s[20:21]
	s_and_b64 s[0:1], s[0:1], exec
	s_or_saveexec_b64 s[18:19], s[18:19]
	v_mov_b32_e32 v6, s22
	s_xor_b64 exec, exec, s[18:19]
	s_cbranch_execz .LBB296_905
.LBB296_1310:                           ;   in Loop: Header=BB296_818 Depth=1
	v_cmp_ne_u16_sdwa s[20:21], v41, v29 src0_sel:BYTE_0 src1_sel:DWORD
	s_andn2_b64 s[0:1], s[0:1], exec
	s_and_b64 s[20:21], s[20:21], exec
	v_mov_b32_e32 v6, 0
	s_or_b64 s[0:1], s[0:1], s[20:21]
	s_or_b64 exec, exec, s[18:19]
	v_mov_b32_e32 v28, v41
	s_and_saveexec_b64 s[18:19], s[0:1]
	s_cbranch_execnz .LBB296_906
	s_branch .LBB296_907
.LBB296_1311:                           ;   in Loop: Header=BB296_818 Depth=1
	v_cmp_eq_u16_e64 s[0:1], s15, v28
	s_mov_b64 s[18:19], -1
                                        ; implicit-def: $sgpr29
	s_and_saveexec_b64 s[22:23], s[0:1]
; %bb.1312:                             ;   in Loop: Header=BB296_818 Depth=1
	s_mov_b32 s29, 0x7fc02000
	s_xor_b64 s[18:19], exec, -1
; %bb.1313:                             ;   in Loop: Header=BB296_818 Depth=1
	s_or_b64 exec, exec, s[22:23]
	s_and_b64 s[18:19], s[18:19], exec
	s_or_saveexec_b64 s[20:21], s[20:21]
	v_mov_b32_e32 v11, s29
	s_xor_b64 exec, exec, s[20:21]
	s_cbranch_execz .LBB296_909
.LBB296_1314:                           ;   in Loop: Header=BB296_818 Depth=1
	v_cmp_ne_u16_e64 s[0:1], 0, v28
	s_andn2_b64 s[18:19], s[18:19], exec
	s_and_b64 s[0:1], s[0:1], exec
	v_mov_b32_e32 v11, 0
	s_or_b64 s[18:19], s[18:19], s[0:1]
	s_or_b64 exec, exec, s[20:21]
	s_and_saveexec_b64 s[20:21], s[18:19]
	s_cbranch_execnz .LBB296_910
	s_branch .LBB296_911
.LBB296_1315:                           ;   in Loop: Header=BB296_818 Depth=1
	v_cmp_eq_u16_sdwa s[30:31], v28, s15 src0_sel:BYTE_0 src1_sel:DWORD
	s_mov_b64 s[0:1], -1
                                        ; implicit-def: $sgpr22
	s_and_saveexec_b64 s[20:21], s[30:31]
; %bb.1316:                             ;   in Loop: Header=BB296_818 Depth=1
	s_mov_b32 s22, 0x7fc02000
	s_xor_b64 s[0:1], exec, -1
; %bb.1317:                             ;   in Loop: Header=BB296_818 Depth=1
	s_or_b64 exec, exec, s[20:21]
	s_and_b64 s[0:1], s[0:1], exec
	s_or_saveexec_b64 s[18:19], s[18:19]
	v_mov_b32_e32 v16, s22
	s_xor_b64 exec, exec, s[18:19]
	s_cbranch_execz .LBB296_913
.LBB296_1318:                           ;   in Loop: Header=BB296_818 Depth=1
	v_cmp_ne_u16_sdwa s[20:21], v28, v29 src0_sel:BYTE_0 src1_sel:DWORD
	s_andn2_b64 s[0:1], s[0:1], exec
	s_and_b64 s[20:21], s[20:21], exec
	v_mov_b32_e32 v16, 0
	s_or_b64 s[0:1], s[0:1], s[20:21]
	s_or_b64 exec, exec, s[18:19]
	s_and_saveexec_b64 s[18:19], s[0:1]
	s_cbranch_execnz .LBB296_914
	s_branch .LBB296_915
.LBB296_1319:                           ;   in Loop: Header=BB296_818 Depth=1
	v_cmp_eq_u16_e64 s[0:1], s15, v28
	s_mov_b64 s[18:19], -1
                                        ; implicit-def: $sgpr29
	s_and_saveexec_b64 s[22:23], s[0:1]
; %bb.1320:                             ;   in Loop: Header=BB296_818 Depth=1
	s_mov_b32 s29, 0x7fc02000
	s_xor_b64 s[18:19], exec, -1
; %bb.1321:                             ;   in Loop: Header=BB296_818 Depth=1
	s_or_b64 exec, exec, s[22:23]
	s_and_b64 s[18:19], s[18:19], exec
	s_or_saveexec_b64 s[20:21], s[20:21]
	v_mov_b32_e32 v22, s29
	s_xor_b64 exec, exec, s[20:21]
	s_cbranch_execz .LBB296_917
.LBB296_1322:                           ;   in Loop: Header=BB296_818 Depth=1
	v_cmp_ne_u16_e64 s[0:1], 0, v28
	s_andn2_b64 s[18:19], s[18:19], exec
	s_and_b64 s[0:1], s[0:1], exec
	v_mov_b32_e32 v22, 0
	s_or_b64 s[18:19], s[18:19], s[0:1]
	s_or_b64 exec, exec, s[20:21]
	s_and_saveexec_b64 s[20:21], s[18:19]
	s_cbranch_execnz .LBB296_918
	s_branch .LBB296_919
.LBB296_1323:                           ;   in Loop: Header=BB296_818 Depth=1
	v_cmp_eq_u16_sdwa s[30:31], v40, s15 src0_sel:BYTE_0 src1_sel:DWORD
	s_mov_b64 s[0:1], -1
                                        ; implicit-def: $sgpr22
	s_and_saveexec_b64 s[20:21], s[30:31]
; %bb.1324:                             ;   in Loop: Header=BB296_818 Depth=1
	s_mov_b32 s22, 0x7fc02000
	s_xor_b64 s[0:1], exec, -1
; %bb.1325:                             ;   in Loop: Header=BB296_818 Depth=1
	s_or_b64 exec, exec, s[20:21]
	s_and_b64 s[0:1], s[0:1], exec
	s_or_saveexec_b64 s[18:19], s[18:19]
	v_mov_b32_e32 v42, s22
	s_xor_b64 exec, exec, s[18:19]
	s_cbranch_execz .LBB296_923
.LBB296_1326:                           ;   in Loop: Header=BB296_818 Depth=1
	v_cmp_ne_u16_sdwa s[20:21], v40, v29 src0_sel:BYTE_0 src1_sel:DWORD
	s_andn2_b64 s[0:1], s[0:1], exec
	s_and_b64 s[20:21], s[20:21], exec
	v_mov_b32_e32 v42, 0
	s_or_b64 s[0:1], s[0:1], s[20:21]
	s_or_b64 exec, exec, s[18:19]
	s_and_saveexec_b64 s[18:19], s[0:1]
	s_cbranch_execnz .LBB296_924
	s_branch .LBB296_925
.LBB296_1327:                           ;   in Loop: Header=BB296_818 Depth=1
	v_cmp_eq_u16_e64 s[0:1], s15, v28
	s_mov_b64 s[18:19], -1
                                        ; implicit-def: $sgpr29
	s_and_saveexec_b64 s[22:23], s[0:1]
; %bb.1328:                             ;   in Loop: Header=BB296_818 Depth=1
	s_mov_b32 s29, 0x7fc02000
	s_xor_b64 s[18:19], exec, -1
; %bb.1329:                             ;   in Loop: Header=BB296_818 Depth=1
	s_or_b64 exec, exec, s[22:23]
	s_and_b64 s[18:19], s[18:19], exec
	s_or_saveexec_b64 s[20:21], s[20:21]
	v_mov_b32_e32 v44, s29
	s_xor_b64 exec, exec, s[20:21]
	s_cbranch_execz .LBB296_927
.LBB296_1330:                           ;   in Loop: Header=BB296_818 Depth=1
	v_cmp_ne_u16_e64 s[0:1], 0, v28
	s_andn2_b64 s[18:19], s[18:19], exec
	s_and_b64 s[0:1], s[0:1], exec
	v_mov_b32_e32 v44, 0
	s_or_b64 s[18:19], s[18:19], s[0:1]
	s_or_b64 exec, exec, s[20:21]
	s_and_saveexec_b64 s[20:21], s[18:19]
	s_cbranch_execnz .LBB296_928
	s_branch .LBB296_929
.LBB296_1331:                           ;   in Loop: Header=BB296_818 Depth=1
	v_cmp_eq_u16_sdwa s[30:31], v28, s15 src0_sel:BYTE_0 src1_sel:DWORD
	s_mov_b64 s[0:1], -1
                                        ; implicit-def: $sgpr22
	s_and_saveexec_b64 s[20:21], s[30:31]
; %bb.1332:                             ;   in Loop: Header=BB296_818 Depth=1
	s_mov_b32 s22, 0x7fc02000
	s_xor_b64 s[0:1], exec, -1
; %bb.1333:                             ;   in Loop: Header=BB296_818 Depth=1
	s_or_b64 exec, exec, s[20:21]
	s_and_b64 s[0:1], s[0:1], exec
	s_or_saveexec_b64 s[18:19], s[18:19]
	v_mov_b32_e32 v43, s22
	s_xor_b64 exec, exec, s[18:19]
	s_cbranch_execz .LBB296_931
.LBB296_1334:                           ;   in Loop: Header=BB296_818 Depth=1
	v_cmp_ne_u16_sdwa s[20:21], v28, v29 src0_sel:BYTE_0 src1_sel:DWORD
	s_andn2_b64 s[0:1], s[0:1], exec
	s_and_b64 s[20:21], s[20:21], exec
	v_mov_b32_e32 v43, 0
	s_or_b64 s[0:1], s[0:1], s[20:21]
	s_or_b64 exec, exec, s[18:19]
	s_and_saveexec_b64 s[18:19], s[0:1]
	s_cbranch_execnz .LBB296_932
	s_branch .LBB296_933
.LBB296_1335:                           ;   in Loop: Header=BB296_818 Depth=1
	v_cmp_eq_u16_e64 s[0:1], s15, v28
	s_mov_b64 s[18:19], -1
                                        ; implicit-def: $sgpr29
	s_and_saveexec_b64 s[22:23], s[0:1]
; %bb.1336:                             ;   in Loop: Header=BB296_818 Depth=1
	s_mov_b32 s29, 0x7fc02000
	s_xor_b64 s[18:19], exec, -1
; %bb.1337:                             ;   in Loop: Header=BB296_818 Depth=1
	s_or_b64 exec, exec, s[22:23]
	s_and_b64 s[18:19], s[18:19], exec
	s_or_saveexec_b64 s[20:21], s[20:21]
	v_mov_b32_e32 v45, s29
	s_xor_b64 exec, exec, s[20:21]
	s_cbranch_execz .LBB296_935
.LBB296_1338:                           ;   in Loop: Header=BB296_818 Depth=1
	v_cmp_ne_u16_e64 s[0:1], 0, v28
	s_andn2_b64 s[18:19], s[18:19], exec
	s_and_b64 s[0:1], s[0:1], exec
	v_mov_b32_e32 v45, 0
	s_or_b64 s[18:19], s[18:19], s[0:1]
	s_or_b64 exec, exec, s[20:21]
	s_and_saveexec_b64 s[20:21], s[18:19]
	s_cbranch_execnz .LBB296_936
	s_branch .LBB296_937
.LBB296_1339:                           ;   in Loop: Header=BB296_818 Depth=1
	v_cmp_eq_u16_sdwa s[30:31], v41, s15 src0_sel:BYTE_0 src1_sel:DWORD
	s_mov_b64 s[0:1], -1
                                        ; implicit-def: $sgpr22
	s_and_saveexec_b64 s[20:21], s[30:31]
; %bb.1340:                             ;   in Loop: Header=BB296_818 Depth=1
	s_mov_b32 s22, 0x7fc02000
	s_xor_b64 s[0:1], exec, -1
; %bb.1341:                             ;   in Loop: Header=BB296_818 Depth=1
	s_or_b64 exec, exec, s[20:21]
	s_and_b64 s[0:1], s[0:1], exec
	s_or_saveexec_b64 s[18:19], s[18:19]
	v_mov_b32_e32 v6, s22
	s_xor_b64 exec, exec, s[18:19]
	s_cbranch_execz .LBB296_939
.LBB296_1342:                           ;   in Loop: Header=BB296_818 Depth=1
	v_cmp_ne_u16_sdwa s[20:21], v41, v29 src0_sel:BYTE_0 src1_sel:DWORD
	s_andn2_b64 s[0:1], s[0:1], exec
	s_and_b64 s[20:21], s[20:21], exec
	v_mov_b32_e32 v6, 0
	s_or_b64 s[0:1], s[0:1], s[20:21]
	s_or_b64 exec, exec, s[18:19]
	v_mov_b32_e32 v28, v41
	s_and_saveexec_b64 s[18:19], s[0:1]
	s_cbranch_execnz .LBB296_940
	s_branch .LBB296_941
.LBB296_1343:                           ;   in Loop: Header=BB296_818 Depth=1
	v_cmp_eq_u16_e64 s[0:1], s15, v28
	s_mov_b64 s[18:19], -1
                                        ; implicit-def: $sgpr29
	s_and_saveexec_b64 s[22:23], s[0:1]
; %bb.1344:                             ;   in Loop: Header=BB296_818 Depth=1
	s_mov_b32 s29, 0x7fc02000
	s_xor_b64 s[18:19], exec, -1
; %bb.1345:                             ;   in Loop: Header=BB296_818 Depth=1
	s_or_b64 exec, exec, s[22:23]
	s_and_b64 s[18:19], s[18:19], exec
	s_or_saveexec_b64 s[20:21], s[20:21]
	v_mov_b32_e32 v11, s29
	s_xor_b64 exec, exec, s[20:21]
	s_cbranch_execz .LBB296_943
.LBB296_1346:                           ;   in Loop: Header=BB296_818 Depth=1
	v_cmp_ne_u16_e64 s[0:1], 0, v28
	s_andn2_b64 s[18:19], s[18:19], exec
	s_and_b64 s[0:1], s[0:1], exec
	v_mov_b32_e32 v11, 0
	s_or_b64 s[18:19], s[18:19], s[0:1]
	s_or_b64 exec, exec, s[20:21]
	s_and_saveexec_b64 s[20:21], s[18:19]
	s_cbranch_execnz .LBB296_944
	s_branch .LBB296_945
.LBB296_1347:                           ;   in Loop: Header=BB296_818 Depth=1
	v_cmp_eq_u16_sdwa s[30:31], v28, s15 src0_sel:BYTE_0 src1_sel:DWORD
	s_mov_b64 s[0:1], -1
                                        ; implicit-def: $sgpr22
	s_and_saveexec_b64 s[20:21], s[30:31]
; %bb.1348:                             ;   in Loop: Header=BB296_818 Depth=1
	s_mov_b32 s22, 0x7fc02000
	s_xor_b64 s[0:1], exec, -1
; %bb.1349:                             ;   in Loop: Header=BB296_818 Depth=1
	s_or_b64 exec, exec, s[20:21]
	s_and_b64 s[0:1], s[0:1], exec
	s_or_saveexec_b64 s[18:19], s[18:19]
	v_mov_b32_e32 v20, s22
	s_xor_b64 exec, exec, s[18:19]
	s_cbranch_execz .LBB296_947
.LBB296_1350:                           ;   in Loop: Header=BB296_818 Depth=1
	v_cmp_ne_u16_sdwa s[20:21], v28, v29 src0_sel:BYTE_0 src1_sel:DWORD
	s_andn2_b64 s[0:1], s[0:1], exec
	s_and_b64 s[20:21], s[20:21], exec
	v_mov_b32_e32 v20, 0
	s_or_b64 s[0:1], s[0:1], s[20:21]
	s_or_b64 exec, exec, s[18:19]
	s_and_saveexec_b64 s[18:19], s[0:1]
	s_cbranch_execnz .LBB296_948
	s_branch .LBB296_949
.LBB296_1351:                           ;   in Loop: Header=BB296_818 Depth=1
	v_cmp_eq_u16_e64 s[0:1], s15, v28
	s_mov_b64 s[18:19], -1
                                        ; implicit-def: $sgpr29
	s_and_saveexec_b64 s[22:23], s[0:1]
; %bb.1352:                             ;   in Loop: Header=BB296_818 Depth=1
	s_mov_b32 s29, 0x7fc02000
	s_xor_b64 s[18:19], exec, -1
; %bb.1353:                             ;   in Loop: Header=BB296_818 Depth=1
	s_or_b64 exec, exec, s[22:23]
	s_and_b64 s[18:19], s[18:19], exec
	s_or_saveexec_b64 s[20:21], s[20:21]
	v_mov_b32_e32 v23, s29
	s_xor_b64 exec, exec, s[20:21]
	s_cbranch_execz .LBB296_951
.LBB296_1354:                           ;   in Loop: Header=BB296_818 Depth=1
	v_cmp_ne_u16_e64 s[0:1], 0, v28
	s_andn2_b64 s[18:19], s[18:19], exec
	s_and_b64 s[0:1], s[0:1], exec
	v_mov_b32_e32 v23, 0
	s_or_b64 s[18:19], s[18:19], s[0:1]
	s_or_b64 exec, exec, s[20:21]
	s_and_saveexec_b64 s[20:21], s[18:19]
	s_cbranch_execnz .LBB296_952
	s_branch .LBB296_953
.LBB296_1355:                           ;   in Loop: Header=BB296_818 Depth=1
	v_cmp_eq_u16_sdwa s[30:31], v40, s15 src0_sel:BYTE_0 src1_sel:DWORD
	s_mov_b64 s[0:1], -1
                                        ; implicit-def: $sgpr22
	s_and_saveexec_b64 s[20:21], s[30:31]
; %bb.1356:                             ;   in Loop: Header=BB296_818 Depth=1
	s_mov_b32 s22, 0x7fc02000
	s_xor_b64 s[0:1], exec, -1
; %bb.1357:                             ;   in Loop: Header=BB296_818 Depth=1
	s_or_b64 exec, exec, s[20:21]
	s_and_b64 s[0:1], s[0:1], exec
	s_or_saveexec_b64 s[18:19], s[18:19]
	v_mov_b32_e32 v42, s22
	s_xor_b64 exec, exec, s[18:19]
	s_cbranch_execz .LBB296_957
.LBB296_1358:                           ;   in Loop: Header=BB296_818 Depth=1
	v_cmp_ne_u16_sdwa s[20:21], v40, v29 src0_sel:BYTE_0 src1_sel:DWORD
	s_andn2_b64 s[0:1], s[0:1], exec
	s_and_b64 s[20:21], s[20:21], exec
	v_mov_b32_e32 v42, 0
	s_or_b64 s[0:1], s[0:1], s[20:21]
	s_or_b64 exec, exec, s[18:19]
	s_and_saveexec_b64 s[18:19], s[0:1]
	s_cbranch_execnz .LBB296_958
	s_branch .LBB296_959
.LBB296_1359:                           ;   in Loop: Header=BB296_818 Depth=1
	v_cmp_eq_u16_e64 s[0:1], s15, v28
	s_mov_b64 s[18:19], -1
                                        ; implicit-def: $sgpr29
	s_and_saveexec_b64 s[22:23], s[0:1]
; %bb.1360:                             ;   in Loop: Header=BB296_818 Depth=1
	s_mov_b32 s29, 0x7fc02000
	s_xor_b64 s[18:19], exec, -1
; %bb.1361:                             ;   in Loop: Header=BB296_818 Depth=1
	s_or_b64 exec, exec, s[22:23]
	s_and_b64 s[18:19], s[18:19], exec
	s_or_saveexec_b64 s[20:21], s[20:21]
	v_mov_b32_e32 v44, s29
	s_xor_b64 exec, exec, s[20:21]
	s_cbranch_execz .LBB296_961
.LBB296_1362:                           ;   in Loop: Header=BB296_818 Depth=1
	v_cmp_ne_u16_e64 s[0:1], 0, v28
	s_andn2_b64 s[18:19], s[18:19], exec
	s_and_b64 s[0:1], s[0:1], exec
	v_mov_b32_e32 v44, 0
	s_or_b64 s[18:19], s[18:19], s[0:1]
	s_or_b64 exec, exec, s[20:21]
	s_and_saveexec_b64 s[20:21], s[18:19]
	s_cbranch_execnz .LBB296_962
	s_branch .LBB296_963
.LBB296_1363:                           ;   in Loop: Header=BB296_818 Depth=1
	v_cmp_eq_u16_sdwa s[30:31], v28, s15 src0_sel:BYTE_0 src1_sel:DWORD
	s_mov_b64 s[0:1], -1
                                        ; implicit-def: $sgpr22
	s_and_saveexec_b64 s[20:21], s[30:31]
; %bb.1364:                             ;   in Loop: Header=BB296_818 Depth=1
	s_mov_b32 s22, 0x7fc02000
	s_xor_b64 s[0:1], exec, -1
; %bb.1365:                             ;   in Loop: Header=BB296_818 Depth=1
	s_or_b64 exec, exec, s[20:21]
	s_and_b64 s[0:1], s[0:1], exec
	s_or_saveexec_b64 s[18:19], s[18:19]
	v_mov_b32_e32 v43, s22
	s_xor_b64 exec, exec, s[18:19]
	s_cbranch_execz .LBB296_965
.LBB296_1366:                           ;   in Loop: Header=BB296_818 Depth=1
	v_cmp_ne_u16_sdwa s[20:21], v28, v29 src0_sel:BYTE_0 src1_sel:DWORD
	s_andn2_b64 s[0:1], s[0:1], exec
	s_and_b64 s[20:21], s[20:21], exec
	v_mov_b32_e32 v43, 0
	s_or_b64 s[0:1], s[0:1], s[20:21]
	s_or_b64 exec, exec, s[18:19]
	s_and_saveexec_b64 s[18:19], s[0:1]
	s_cbranch_execnz .LBB296_966
	s_branch .LBB296_967
.LBB296_1367:                           ;   in Loop: Header=BB296_818 Depth=1
	v_cmp_eq_u16_e64 s[0:1], s15, v28
	s_mov_b64 s[18:19], -1
                                        ; implicit-def: $sgpr29
	s_and_saveexec_b64 s[22:23], s[0:1]
; %bb.1368:                             ;   in Loop: Header=BB296_818 Depth=1
	s_mov_b32 s29, 0x7fc02000
	s_xor_b64 s[18:19], exec, -1
; %bb.1369:                             ;   in Loop: Header=BB296_818 Depth=1
	s_or_b64 exec, exec, s[22:23]
	s_and_b64 s[18:19], s[18:19], exec
	s_or_saveexec_b64 s[20:21], s[20:21]
	v_mov_b32_e32 v45, s29
	s_xor_b64 exec, exec, s[20:21]
	s_cbranch_execz .LBB296_969
.LBB296_1370:                           ;   in Loop: Header=BB296_818 Depth=1
	v_cmp_ne_u16_e64 s[0:1], 0, v28
	s_andn2_b64 s[18:19], s[18:19], exec
	s_and_b64 s[0:1], s[0:1], exec
	v_mov_b32_e32 v45, 0
	s_or_b64 s[18:19], s[18:19], s[0:1]
	s_or_b64 exec, exec, s[20:21]
	s_and_saveexec_b64 s[20:21], s[18:19]
	s_cbranch_execnz .LBB296_970
	s_branch .LBB296_971
.LBB296_1371:                           ;   in Loop: Header=BB296_818 Depth=1
	v_cmp_eq_u16_sdwa s[30:31], v41, s15 src0_sel:BYTE_0 src1_sel:DWORD
	s_mov_b64 s[0:1], -1
                                        ; implicit-def: $sgpr22
	s_and_saveexec_b64 s[20:21], s[30:31]
; %bb.1372:                             ;   in Loop: Header=BB296_818 Depth=1
	s_mov_b32 s22, 0x7fc02000
	s_xor_b64 s[0:1], exec, -1
; %bb.1373:                             ;   in Loop: Header=BB296_818 Depth=1
	s_or_b64 exec, exec, s[20:21]
	s_and_b64 s[0:1], s[0:1], exec
	s_or_saveexec_b64 s[18:19], s[18:19]
	v_mov_b32_e32 v6, s22
	s_xor_b64 exec, exec, s[18:19]
	s_cbranch_execz .LBB296_973
.LBB296_1374:                           ;   in Loop: Header=BB296_818 Depth=1
	v_cmp_ne_u16_sdwa s[20:21], v41, v29 src0_sel:BYTE_0 src1_sel:DWORD
	s_andn2_b64 s[0:1], s[0:1], exec
	s_and_b64 s[20:21], s[20:21], exec
	v_mov_b32_e32 v6, 0
	s_or_b64 s[0:1], s[0:1], s[20:21]
	s_or_b64 exec, exec, s[18:19]
	v_mov_b32_e32 v28, v41
	s_and_saveexec_b64 s[18:19], s[0:1]
	s_cbranch_execnz .LBB296_974
	s_branch .LBB296_975
.LBB296_1375:                           ;   in Loop: Header=BB296_818 Depth=1
	v_cmp_eq_u16_e64 s[0:1], s15, v28
	s_mov_b64 s[18:19], -1
                                        ; implicit-def: $sgpr29
	s_and_saveexec_b64 s[22:23], s[0:1]
; %bb.1376:                             ;   in Loop: Header=BB296_818 Depth=1
	s_mov_b32 s29, 0x7fc02000
	s_xor_b64 s[18:19], exec, -1
; %bb.1377:                             ;   in Loop: Header=BB296_818 Depth=1
	s_or_b64 exec, exec, s[22:23]
	s_and_b64 s[18:19], s[18:19], exec
	s_or_saveexec_b64 s[20:21], s[20:21]
	v_mov_b32_e32 v11, s29
	s_xor_b64 exec, exec, s[20:21]
	s_cbranch_execz .LBB296_977
.LBB296_1378:                           ;   in Loop: Header=BB296_818 Depth=1
	v_cmp_ne_u16_e64 s[0:1], 0, v28
	s_andn2_b64 s[18:19], s[18:19], exec
	s_and_b64 s[0:1], s[0:1], exec
	v_mov_b32_e32 v11, 0
	s_or_b64 s[18:19], s[18:19], s[0:1]
	s_or_b64 exec, exec, s[20:21]
	s_and_saveexec_b64 s[20:21], s[18:19]
	s_cbranch_execnz .LBB296_978
	s_branch .LBB296_979
.LBB296_1379:                           ;   in Loop: Header=BB296_818 Depth=1
	v_cmp_eq_u16_sdwa s[30:31], v28, s15 src0_sel:BYTE_0 src1_sel:DWORD
	s_mov_b64 s[0:1], -1
                                        ; implicit-def: $sgpr22
	s_and_saveexec_b64 s[20:21], s[30:31]
; %bb.1380:                             ;   in Loop: Header=BB296_818 Depth=1
	s_mov_b32 s22, 0x7fc02000
	s_xor_b64 s[0:1], exec, -1
; %bb.1381:                             ;   in Loop: Header=BB296_818 Depth=1
	s_or_b64 exec, exec, s[20:21]
	s_and_b64 s[0:1], s[0:1], exec
	s_or_saveexec_b64 s[18:19], s[18:19]
	v_mov_b32_e32 v20, s22
	s_xor_b64 exec, exec, s[18:19]
	s_cbranch_execz .LBB296_981
.LBB296_1382:                           ;   in Loop: Header=BB296_818 Depth=1
	v_cmp_ne_u16_sdwa s[20:21], v28, v29 src0_sel:BYTE_0 src1_sel:DWORD
	s_andn2_b64 s[0:1], s[0:1], exec
	s_and_b64 s[20:21], s[20:21], exec
	v_mov_b32_e32 v20, 0
	s_or_b64 s[0:1], s[0:1], s[20:21]
	s_or_b64 exec, exec, s[18:19]
	s_and_saveexec_b64 s[18:19], s[0:1]
	s_cbranch_execnz .LBB296_982
	s_branch .LBB296_983
.LBB296_1383:                           ;   in Loop: Header=BB296_818 Depth=1
	v_cmp_eq_u16_e64 s[0:1], s15, v28
	s_mov_b64 s[18:19], -1
                                        ; implicit-def: $sgpr29
	s_and_saveexec_b64 s[22:23], s[0:1]
; %bb.1384:                             ;   in Loop: Header=BB296_818 Depth=1
	s_mov_b32 s29, 0x7fc02000
	s_xor_b64 s[18:19], exec, -1
; %bb.1385:                             ;   in Loop: Header=BB296_818 Depth=1
	s_or_b64 exec, exec, s[22:23]
	s_and_b64 s[18:19], s[18:19], exec
	s_or_saveexec_b64 s[20:21], s[20:21]
	v_mov_b32_e32 v23, s29
	s_xor_b64 exec, exec, s[20:21]
	s_cbranch_execz .LBB296_985
.LBB296_1386:                           ;   in Loop: Header=BB296_818 Depth=1
	v_cmp_ne_u16_e64 s[0:1], 0, v28
	s_andn2_b64 s[18:19], s[18:19], exec
	s_and_b64 s[0:1], s[0:1], exec
	v_mov_b32_e32 v23, 0
	s_or_b64 s[18:19], s[18:19], s[0:1]
	s_or_b64 exec, exec, s[20:21]
	s_and_saveexec_b64 s[20:21], s[18:19]
	s_cbranch_execnz .LBB296_986
	s_branch .LBB296_987
.LBB296_1387:                           ;   in Loop: Header=BB296_818 Depth=1
	v_cmp_eq_u16_sdwa s[30:31], v40, s15 src0_sel:BYTE_0 src1_sel:DWORD
	s_mov_b64 s[0:1], -1
                                        ; implicit-def: $sgpr22
	s_and_saveexec_b64 s[20:21], s[30:31]
; %bb.1388:                             ;   in Loop: Header=BB296_818 Depth=1
	s_mov_b32 s22, 0x7fc02000
	s_xor_b64 s[0:1], exec, -1
; %bb.1389:                             ;   in Loop: Header=BB296_818 Depth=1
	s_or_b64 exec, exec, s[20:21]
	s_and_b64 s[0:1], s[0:1], exec
	s_or_saveexec_b64 s[18:19], s[18:19]
	v_mov_b32_e32 v42, s22
	s_xor_b64 exec, exec, s[18:19]
	s_cbranch_execz .LBB296_991
.LBB296_1390:                           ;   in Loop: Header=BB296_818 Depth=1
	v_cmp_ne_u16_sdwa s[20:21], v40, v29 src0_sel:BYTE_0 src1_sel:DWORD
	s_andn2_b64 s[0:1], s[0:1], exec
	s_and_b64 s[20:21], s[20:21], exec
	v_mov_b32_e32 v42, 0
	s_or_b64 s[0:1], s[0:1], s[20:21]
	s_or_b64 exec, exec, s[18:19]
	s_and_saveexec_b64 s[18:19], s[0:1]
	s_cbranch_execnz .LBB296_992
	s_branch .LBB296_993
.LBB296_1391:                           ;   in Loop: Header=BB296_818 Depth=1
	v_cmp_eq_u16_e64 s[0:1], s15, v28
	s_mov_b64 s[18:19], -1
                                        ; implicit-def: $sgpr29
	s_and_saveexec_b64 s[22:23], s[0:1]
; %bb.1392:                             ;   in Loop: Header=BB296_818 Depth=1
	s_mov_b32 s29, 0x7fc02000
	s_xor_b64 s[18:19], exec, -1
; %bb.1393:                             ;   in Loop: Header=BB296_818 Depth=1
	s_or_b64 exec, exec, s[22:23]
	s_and_b64 s[18:19], s[18:19], exec
	s_or_saveexec_b64 s[20:21], s[20:21]
	v_mov_b32_e32 v44, s29
	s_xor_b64 exec, exec, s[20:21]
	s_cbranch_execz .LBB296_995
.LBB296_1394:                           ;   in Loop: Header=BB296_818 Depth=1
	v_cmp_ne_u16_e64 s[0:1], 0, v28
	s_andn2_b64 s[18:19], s[18:19], exec
	s_and_b64 s[0:1], s[0:1], exec
	v_mov_b32_e32 v44, 0
	s_or_b64 s[18:19], s[18:19], s[0:1]
	s_or_b64 exec, exec, s[20:21]
	s_and_saveexec_b64 s[20:21], s[18:19]
	s_cbranch_execnz .LBB296_996
	s_branch .LBB296_997
.LBB296_1395:                           ;   in Loop: Header=BB296_818 Depth=1
	v_cmp_eq_u16_sdwa s[30:31], v28, s15 src0_sel:BYTE_0 src1_sel:DWORD
	s_mov_b64 s[0:1], -1
                                        ; implicit-def: $sgpr22
	s_and_saveexec_b64 s[20:21], s[30:31]
; %bb.1396:                             ;   in Loop: Header=BB296_818 Depth=1
	s_mov_b32 s22, 0x7fc02000
	s_xor_b64 s[0:1], exec, -1
; %bb.1397:                             ;   in Loop: Header=BB296_818 Depth=1
	s_or_b64 exec, exec, s[20:21]
	s_and_b64 s[0:1], s[0:1], exec
	s_or_saveexec_b64 s[18:19], s[18:19]
	v_mov_b32_e32 v43, s22
	s_xor_b64 exec, exec, s[18:19]
	s_cbranch_execz .LBB296_999
.LBB296_1398:                           ;   in Loop: Header=BB296_818 Depth=1
	v_cmp_ne_u16_sdwa s[20:21], v28, v29 src0_sel:BYTE_0 src1_sel:DWORD
	s_andn2_b64 s[0:1], s[0:1], exec
	s_and_b64 s[20:21], s[20:21], exec
	v_mov_b32_e32 v43, 0
	s_or_b64 s[0:1], s[0:1], s[20:21]
	s_or_b64 exec, exec, s[18:19]
	s_and_saveexec_b64 s[18:19], s[0:1]
	s_cbranch_execnz .LBB296_1000
	s_branch .LBB296_1001
.LBB296_1399:                           ;   in Loop: Header=BB296_818 Depth=1
	v_cmp_eq_u16_e64 s[0:1], s15, v28
	s_mov_b64 s[18:19], -1
                                        ; implicit-def: $sgpr29
	s_and_saveexec_b64 s[22:23], s[0:1]
; %bb.1400:                             ;   in Loop: Header=BB296_818 Depth=1
	s_mov_b32 s29, 0x7fc02000
	s_xor_b64 s[18:19], exec, -1
; %bb.1401:                             ;   in Loop: Header=BB296_818 Depth=1
	s_or_b64 exec, exec, s[22:23]
	s_and_b64 s[18:19], s[18:19], exec
	s_or_saveexec_b64 s[20:21], s[20:21]
	v_mov_b32_e32 v45, s29
	s_xor_b64 exec, exec, s[20:21]
	s_cbranch_execz .LBB296_1003
.LBB296_1402:                           ;   in Loop: Header=BB296_818 Depth=1
	v_cmp_ne_u16_e64 s[0:1], 0, v28
	s_andn2_b64 s[18:19], s[18:19], exec
	s_and_b64 s[0:1], s[0:1], exec
	v_mov_b32_e32 v45, 0
	s_or_b64 s[18:19], s[18:19], s[0:1]
	s_or_b64 exec, exec, s[20:21]
	s_and_saveexec_b64 s[20:21], s[18:19]
	s_cbranch_execnz .LBB296_1004
	s_branch .LBB296_1005
.LBB296_1403:                           ;   in Loop: Header=BB296_818 Depth=1
	v_cmp_eq_u16_sdwa s[30:31], v41, s15 src0_sel:BYTE_0 src1_sel:DWORD
	s_mov_b64 s[0:1], -1
                                        ; implicit-def: $sgpr22
	s_and_saveexec_b64 s[20:21], s[30:31]
; %bb.1404:                             ;   in Loop: Header=BB296_818 Depth=1
	s_mov_b32 s22, 0x7fc02000
	s_xor_b64 s[0:1], exec, -1
; %bb.1405:                             ;   in Loop: Header=BB296_818 Depth=1
	s_or_b64 exec, exec, s[20:21]
	s_and_b64 s[0:1], s[0:1], exec
	s_or_saveexec_b64 s[18:19], s[18:19]
	v_mov_b32_e32 v6, s22
	s_xor_b64 exec, exec, s[18:19]
	s_cbranch_execz .LBB296_1007
.LBB296_1406:                           ;   in Loop: Header=BB296_818 Depth=1
	v_cmp_ne_u16_sdwa s[20:21], v41, v29 src0_sel:BYTE_0 src1_sel:DWORD
	s_andn2_b64 s[0:1], s[0:1], exec
	s_and_b64 s[20:21], s[20:21], exec
	v_mov_b32_e32 v6, 0
	s_or_b64 s[0:1], s[0:1], s[20:21]
	s_or_b64 exec, exec, s[18:19]
	v_mov_b32_e32 v28, v41
	s_and_saveexec_b64 s[18:19], s[0:1]
	s_cbranch_execnz .LBB296_1008
	s_branch .LBB296_1009
.LBB296_1407:                           ;   in Loop: Header=BB296_818 Depth=1
	v_cmp_eq_u16_e64 s[0:1], s15, v28
	s_mov_b64 s[18:19], -1
                                        ; implicit-def: $sgpr29
	s_and_saveexec_b64 s[22:23], s[0:1]
; %bb.1408:                             ;   in Loop: Header=BB296_818 Depth=1
	s_mov_b32 s29, 0x7fc02000
	s_xor_b64 s[18:19], exec, -1
; %bb.1409:                             ;   in Loop: Header=BB296_818 Depth=1
	s_or_b64 exec, exec, s[22:23]
	s_and_b64 s[18:19], s[18:19], exec
	s_or_saveexec_b64 s[20:21], s[20:21]
	v_mov_b32_e32 v11, s29
	s_xor_b64 exec, exec, s[20:21]
	s_cbranch_execz .LBB296_1011
.LBB296_1410:                           ;   in Loop: Header=BB296_818 Depth=1
	v_cmp_ne_u16_e64 s[0:1], 0, v28
	s_andn2_b64 s[18:19], s[18:19], exec
	s_and_b64 s[0:1], s[0:1], exec
	v_mov_b32_e32 v11, 0
	s_or_b64 s[18:19], s[18:19], s[0:1]
	s_or_b64 exec, exec, s[20:21]
	s_and_saveexec_b64 s[20:21], s[18:19]
	s_cbranch_execnz .LBB296_1012
	s_branch .LBB296_1013
.LBB296_1411:                           ;   in Loop: Header=BB296_818 Depth=1
	v_cmp_eq_u16_sdwa s[30:31], v28, s15 src0_sel:BYTE_0 src1_sel:DWORD
	s_mov_b64 s[0:1], -1
                                        ; implicit-def: $sgpr22
	s_and_saveexec_b64 s[20:21], s[30:31]
; %bb.1412:                             ;   in Loop: Header=BB296_818 Depth=1
	s_mov_b32 s22, 0x7fc02000
	s_xor_b64 s[0:1], exec, -1
; %bb.1413:                             ;   in Loop: Header=BB296_818 Depth=1
	s_or_b64 exec, exec, s[20:21]
	s_and_b64 s[0:1], s[0:1], exec
	s_or_saveexec_b64 s[18:19], s[18:19]
	v_mov_b32_e32 v20, s22
	s_xor_b64 exec, exec, s[18:19]
	s_cbranch_execz .LBB296_1015
.LBB296_1414:                           ;   in Loop: Header=BB296_818 Depth=1
	v_cmp_ne_u16_sdwa s[20:21], v28, v29 src0_sel:BYTE_0 src1_sel:DWORD
	s_andn2_b64 s[0:1], s[0:1], exec
	s_and_b64 s[20:21], s[20:21], exec
	v_mov_b32_e32 v20, 0
	s_or_b64 s[0:1], s[0:1], s[20:21]
	s_or_b64 exec, exec, s[18:19]
	s_and_saveexec_b64 s[18:19], s[0:1]
	s_cbranch_execnz .LBB296_1016
	s_branch .LBB296_1017
.LBB296_1415:                           ;   in Loop: Header=BB296_818 Depth=1
	v_cmp_eq_u16_e64 s[0:1], s15, v28
	s_mov_b64 s[18:19], -1
                                        ; implicit-def: $sgpr29
	s_and_saveexec_b64 s[22:23], s[0:1]
; %bb.1416:                             ;   in Loop: Header=BB296_818 Depth=1
	s_mov_b32 s29, 0x7fc02000
	s_xor_b64 s[18:19], exec, -1
; %bb.1417:                             ;   in Loop: Header=BB296_818 Depth=1
	s_or_b64 exec, exec, s[22:23]
	s_and_b64 s[18:19], s[18:19], exec
	s_or_saveexec_b64 s[20:21], s[20:21]
	v_mov_b32_e32 v24, s29
	s_xor_b64 exec, exec, s[20:21]
	s_cbranch_execz .LBB296_1019
.LBB296_1418:                           ;   in Loop: Header=BB296_818 Depth=1
	v_cmp_ne_u16_e64 s[0:1], 0, v28
	s_andn2_b64 s[18:19], s[18:19], exec
	s_and_b64 s[0:1], s[0:1], exec
	v_mov_b32_e32 v24, 0
	s_or_b64 s[18:19], s[18:19], s[0:1]
	s_or_b64 exec, exec, s[20:21]
	s_and_saveexec_b64 s[20:21], s[18:19]
	s_cbranch_execnz .LBB296_1020
	s_branch .LBB296_1021
.LBB296_1419:                           ;   in Loop: Header=BB296_818 Depth=1
	v_cmp_eq_u16_sdwa s[30:31], v40, s15 src0_sel:BYTE_0 src1_sel:DWORD
	s_mov_b64 s[0:1], -1
                                        ; implicit-def: $sgpr22
	s_and_saveexec_b64 s[20:21], s[30:31]
; %bb.1420:                             ;   in Loop: Header=BB296_818 Depth=1
	s_mov_b32 s22, 0x7fc02000
	s_xor_b64 s[0:1], exec, -1
; %bb.1421:                             ;   in Loop: Header=BB296_818 Depth=1
	s_or_b64 exec, exec, s[20:21]
	s_and_b64 s[0:1], s[0:1], exec
	s_or_saveexec_b64 s[18:19], s[18:19]
	v_mov_b32_e32 v42, s22
	s_xor_b64 exec, exec, s[18:19]
	s_cbranch_execz .LBB296_1025
.LBB296_1422:                           ;   in Loop: Header=BB296_818 Depth=1
	v_cmp_ne_u16_sdwa s[20:21], v40, v29 src0_sel:BYTE_0 src1_sel:DWORD
	s_andn2_b64 s[0:1], s[0:1], exec
	s_and_b64 s[20:21], s[20:21], exec
	v_mov_b32_e32 v42, 0
	s_or_b64 s[0:1], s[0:1], s[20:21]
	s_or_b64 exec, exec, s[18:19]
	s_and_saveexec_b64 s[18:19], s[0:1]
	s_cbranch_execnz .LBB296_1026
	s_branch .LBB296_1027
.LBB296_1423:                           ;   in Loop: Header=BB296_818 Depth=1
	v_cmp_eq_u16_e64 s[0:1], s15, v28
	s_mov_b64 s[18:19], -1
                                        ; implicit-def: $sgpr29
	s_and_saveexec_b64 s[22:23], s[0:1]
; %bb.1424:                             ;   in Loop: Header=BB296_818 Depth=1
	s_mov_b32 s29, 0x7fc02000
	s_xor_b64 s[18:19], exec, -1
; %bb.1425:                             ;   in Loop: Header=BB296_818 Depth=1
	s_or_b64 exec, exec, s[22:23]
	s_and_b64 s[18:19], s[18:19], exec
	s_or_saveexec_b64 s[20:21], s[20:21]
	v_mov_b32_e32 v44, s29
	s_xor_b64 exec, exec, s[20:21]
	s_cbranch_execz .LBB296_1029
.LBB296_1426:                           ;   in Loop: Header=BB296_818 Depth=1
	v_cmp_ne_u16_e64 s[0:1], 0, v28
	s_andn2_b64 s[18:19], s[18:19], exec
	s_and_b64 s[0:1], s[0:1], exec
	v_mov_b32_e32 v44, 0
	s_or_b64 s[18:19], s[18:19], s[0:1]
	s_or_b64 exec, exec, s[20:21]
	s_and_saveexec_b64 s[20:21], s[18:19]
	s_cbranch_execnz .LBB296_1030
	s_branch .LBB296_1031
.LBB296_1427:                           ;   in Loop: Header=BB296_818 Depth=1
	v_cmp_eq_u16_sdwa s[30:31], v28, s15 src0_sel:BYTE_0 src1_sel:DWORD
	s_mov_b64 s[0:1], -1
                                        ; implicit-def: $sgpr22
	s_and_saveexec_b64 s[20:21], s[30:31]
; %bb.1428:                             ;   in Loop: Header=BB296_818 Depth=1
	s_mov_b32 s22, 0x7fc02000
	s_xor_b64 s[0:1], exec, -1
; %bb.1429:                             ;   in Loop: Header=BB296_818 Depth=1
	s_or_b64 exec, exec, s[20:21]
	s_and_b64 s[0:1], s[0:1], exec
	s_or_saveexec_b64 s[18:19], s[18:19]
	v_mov_b32_e32 v43, s22
	s_xor_b64 exec, exec, s[18:19]
	s_cbranch_execz .LBB296_1033
.LBB296_1430:                           ;   in Loop: Header=BB296_818 Depth=1
	v_cmp_ne_u16_sdwa s[20:21], v28, v29 src0_sel:BYTE_0 src1_sel:DWORD
	s_andn2_b64 s[0:1], s[0:1], exec
	s_and_b64 s[20:21], s[20:21], exec
	v_mov_b32_e32 v43, 0
	s_or_b64 s[0:1], s[0:1], s[20:21]
	s_or_b64 exec, exec, s[18:19]
	s_and_saveexec_b64 s[18:19], s[0:1]
	s_cbranch_execnz .LBB296_1034
	s_branch .LBB296_1035
.LBB296_1431:                           ;   in Loop: Header=BB296_818 Depth=1
	v_cmp_eq_u16_e64 s[0:1], s15, v28
	s_mov_b64 s[18:19], -1
                                        ; implicit-def: $sgpr29
	s_and_saveexec_b64 s[22:23], s[0:1]
; %bb.1432:                             ;   in Loop: Header=BB296_818 Depth=1
	s_mov_b32 s29, 0x7fc02000
	s_xor_b64 s[18:19], exec, -1
; %bb.1433:                             ;   in Loop: Header=BB296_818 Depth=1
	s_or_b64 exec, exec, s[22:23]
	s_and_b64 s[18:19], s[18:19], exec
	s_or_saveexec_b64 s[20:21], s[20:21]
	v_mov_b32_e32 v45, s29
	s_xor_b64 exec, exec, s[20:21]
	s_cbranch_execz .LBB296_1037
.LBB296_1434:                           ;   in Loop: Header=BB296_818 Depth=1
	v_cmp_ne_u16_e64 s[0:1], 0, v28
	s_andn2_b64 s[18:19], s[18:19], exec
	s_and_b64 s[0:1], s[0:1], exec
	v_mov_b32_e32 v45, 0
	s_or_b64 s[18:19], s[18:19], s[0:1]
	s_or_b64 exec, exec, s[20:21]
	s_and_saveexec_b64 s[20:21], s[18:19]
	s_cbranch_execnz .LBB296_1038
	s_branch .LBB296_1039
.LBB296_1435:                           ;   in Loop: Header=BB296_818 Depth=1
	v_cmp_eq_u16_sdwa s[30:31], v41, s15 src0_sel:BYTE_0 src1_sel:DWORD
	s_mov_b64 s[0:1], -1
                                        ; implicit-def: $sgpr22
	s_and_saveexec_b64 s[20:21], s[30:31]
; %bb.1436:                             ;   in Loop: Header=BB296_818 Depth=1
	s_mov_b32 s22, 0x7fc02000
	s_xor_b64 s[0:1], exec, -1
; %bb.1437:                             ;   in Loop: Header=BB296_818 Depth=1
	s_or_b64 exec, exec, s[20:21]
	s_and_b64 s[0:1], s[0:1], exec
	s_or_saveexec_b64 s[18:19], s[18:19]
	v_mov_b32_e32 v11, s22
	s_xor_b64 exec, exec, s[18:19]
	s_cbranch_execz .LBB296_1041
.LBB296_1438:                           ;   in Loop: Header=BB296_818 Depth=1
	v_cmp_ne_u16_sdwa s[20:21], v41, v29 src0_sel:BYTE_0 src1_sel:DWORD
	s_andn2_b64 s[0:1], s[0:1], exec
	s_and_b64 s[20:21], s[20:21], exec
	v_mov_b32_e32 v11, 0
	s_or_b64 s[0:1], s[0:1], s[20:21]
	s_or_b64 exec, exec, s[18:19]
	v_mov_b32_e32 v28, v41
	s_and_saveexec_b64 s[18:19], s[0:1]
	s_cbranch_execnz .LBB296_1042
	s_branch .LBB296_1043
.LBB296_1439:                           ;   in Loop: Header=BB296_818 Depth=1
	v_cmp_eq_u16_e64 s[0:1], s15, v28
	s_mov_b64 s[18:19], -1
                                        ; implicit-def: $sgpr29
	s_and_saveexec_b64 s[22:23], s[0:1]
; %bb.1440:                             ;   in Loop: Header=BB296_818 Depth=1
	s_mov_b32 s29, 0x7fc02000
	s_xor_b64 s[18:19], exec, -1
; %bb.1441:                             ;   in Loop: Header=BB296_818 Depth=1
	s_or_b64 exec, exec, s[22:23]
	s_and_b64 s[18:19], s[18:19], exec
	s_or_saveexec_b64 s[20:21], s[20:21]
	v_mov_b32_e32 v21, s29
	s_xor_b64 exec, exec, s[20:21]
	s_cbranch_execz .LBB296_1045
.LBB296_1442:                           ;   in Loop: Header=BB296_818 Depth=1
	v_cmp_ne_u16_e64 s[0:1], 0, v28
	s_andn2_b64 s[18:19], s[18:19], exec
	s_and_b64 s[0:1], s[0:1], exec
	v_mov_b32_e32 v21, 0
	s_or_b64 s[18:19], s[18:19], s[0:1]
	s_or_b64 exec, exec, s[20:21]
	s_and_saveexec_b64 s[20:21], s[18:19]
	s_cbranch_execnz .LBB296_1046
	s_branch .LBB296_1047
.LBB296_1443:                           ;   in Loop: Header=BB296_818 Depth=1
	v_cmp_eq_u16_sdwa s[30:31], v28, s15 src0_sel:BYTE_0 src1_sel:DWORD
	s_mov_b64 s[0:1], -1
                                        ; implicit-def: $sgpr22
	s_and_saveexec_b64 s[20:21], s[30:31]
; %bb.1444:                             ;   in Loop: Header=BB296_818 Depth=1
	s_mov_b32 s22, 0x7fc02000
	s_xor_b64 s[0:1], exec, -1
; %bb.1445:                             ;   in Loop: Header=BB296_818 Depth=1
	s_or_b64 exec, exec, s[20:21]
	s_and_b64 s[0:1], s[0:1], exec
	s_or_saveexec_b64 s[18:19], s[18:19]
	v_mov_b32_e32 v23, s22
	s_xor_b64 exec, exec, s[18:19]
	s_cbranch_execz .LBB296_1049
.LBB296_1446:                           ;   in Loop: Header=BB296_818 Depth=1
	v_cmp_ne_u16_sdwa s[20:21], v28, v29 src0_sel:BYTE_0 src1_sel:DWORD
	s_andn2_b64 s[0:1], s[0:1], exec
	s_and_b64 s[20:21], s[20:21], exec
	v_mov_b32_e32 v23, 0
	s_or_b64 s[0:1], s[0:1], s[20:21]
	s_or_b64 exec, exec, s[18:19]
	s_and_saveexec_b64 s[18:19], s[0:1]
	s_cbranch_execnz .LBB296_1050
	s_branch .LBB296_1051
.LBB296_1447:                           ;   in Loop: Header=BB296_818 Depth=1
	v_cmp_eq_u16_e64 s[0:1], s15, v28
	s_mov_b64 s[18:19], -1
                                        ; implicit-def: $sgpr29
	s_and_saveexec_b64 s[22:23], s[0:1]
; %bb.1448:                             ;   in Loop: Header=BB296_818 Depth=1
	s_mov_b32 s29, 0x7fc02000
	s_xor_b64 s[18:19], exec, -1
; %bb.1449:                             ;   in Loop: Header=BB296_818 Depth=1
	s_or_b64 exec, exec, s[22:23]
	s_and_b64 s[18:19], s[18:19], exec
	s_or_saveexec_b64 s[20:21], s[20:21]
	v_mov_b32_e32 v26, s29
	s_xor_b64 exec, exec, s[20:21]
	s_cbranch_execz .LBB296_1053
.LBB296_1450:                           ;   in Loop: Header=BB296_818 Depth=1
	v_cmp_ne_u16_e64 s[0:1], 0, v28
	s_andn2_b64 s[18:19], s[18:19], exec
	s_and_b64 s[0:1], s[0:1], exec
	v_mov_b32_e32 v26, 0
	s_or_b64 s[18:19], s[18:19], s[0:1]
	s_or_b64 exec, exec, s[20:21]
	s_and_saveexec_b64 s[20:21], s[18:19]
	s_cbranch_execnz .LBB296_1054
	s_branch .LBB296_1055
.LBB296_1451:                           ;   in Loop: Header=BB296_818 Depth=1
	v_cmp_eq_u16_sdwa s[30:31], v54, s15 src0_sel:BYTE_0 src1_sel:DWORD
	s_mov_b64 s[0:1], -1
                                        ; implicit-def: $sgpr22
	s_and_saveexec_b64 s[20:21], s[30:31]
; %bb.1452:                             ;   in Loop: Header=BB296_818 Depth=1
	s_mov_b32 s22, 0x7fc02000
	s_xor_b64 s[0:1], exec, -1
; %bb.1453:                             ;   in Loop: Header=BB296_818 Depth=1
	s_or_b64 exec, exec, s[20:21]
	s_and_b64 s[0:1], s[0:1], exec
	s_or_saveexec_b64 s[18:19], s[18:19]
	v_mov_b32_e32 v40, s22
	s_xor_b64 exec, exec, s[18:19]
	s_cbranch_execz .LBB296_1059
.LBB296_1454:                           ;   in Loop: Header=BB296_818 Depth=1
	v_cmp_ne_u16_sdwa s[20:21], v54, v29 src0_sel:BYTE_0 src1_sel:DWORD
	s_andn2_b64 s[0:1], s[0:1], exec
	s_and_b64 s[20:21], s[20:21], exec
	v_mov_b32_e32 v40, 0
	s_or_b64 s[0:1], s[0:1], s[20:21]
	s_or_b64 exec, exec, s[18:19]
	s_and_saveexec_b64 s[18:19], s[0:1]
	s_cbranch_execnz .LBB296_1060
	s_branch .LBB296_1061
.LBB296_1455:                           ;   in Loop: Header=BB296_818 Depth=1
	v_cmp_eq_u16_e64 s[0:1], s15, v28
	s_mov_b64 s[18:19], -1
                                        ; implicit-def: $sgpr29
	s_and_saveexec_b64 s[22:23], s[0:1]
; %bb.1456:                             ;   in Loop: Header=BB296_818 Depth=1
	s_mov_b32 s29, 0x7fc02000
	s_xor_b64 s[18:19], exec, -1
; %bb.1457:                             ;   in Loop: Header=BB296_818 Depth=1
	s_or_b64 exec, exec, s[22:23]
	s_and_b64 s[18:19], s[18:19], exec
	s_or_saveexec_b64 s[20:21], s[20:21]
	v_mov_b32_e32 v42, s29
	s_xor_b64 exec, exec, s[20:21]
	s_cbranch_execz .LBB296_1063
.LBB296_1458:                           ;   in Loop: Header=BB296_818 Depth=1
	v_cmp_ne_u16_e64 s[0:1], 0, v28
	s_andn2_b64 s[18:19], s[18:19], exec
	s_and_b64 s[0:1], s[0:1], exec
	v_mov_b32_e32 v42, 0
	s_or_b64 s[18:19], s[18:19], s[0:1]
	s_or_b64 exec, exec, s[20:21]
	s_and_saveexec_b64 s[20:21], s[18:19]
	s_cbranch_execnz .LBB296_1064
	s_branch .LBB296_1065
.LBB296_1459:                           ;   in Loop: Header=BB296_818 Depth=1
	v_cmp_eq_u16_sdwa s[30:31], v28, s15 src0_sel:BYTE_0 src1_sel:DWORD
	s_mov_b64 s[0:1], -1
                                        ; implicit-def: $sgpr22
	s_and_saveexec_b64 s[20:21], s[30:31]
; %bb.1460:                             ;   in Loop: Header=BB296_818 Depth=1
	s_mov_b32 s22, 0x7fc02000
	s_xor_b64 s[0:1], exec, -1
; %bb.1461:                             ;   in Loop: Header=BB296_818 Depth=1
	s_or_b64 exec, exec, s[20:21]
	s_and_b64 s[0:1], s[0:1], exec
	s_or_saveexec_b64 s[18:19], s[18:19]
	v_mov_b32_e32 v41, s22
	s_xor_b64 exec, exec, s[18:19]
	s_cbranch_execz .LBB296_1067
.LBB296_1462:                           ;   in Loop: Header=BB296_818 Depth=1
	v_cmp_ne_u16_sdwa s[20:21], v28, v29 src0_sel:BYTE_0 src1_sel:DWORD
	s_andn2_b64 s[0:1], s[0:1], exec
	s_and_b64 s[20:21], s[20:21], exec
	v_mov_b32_e32 v41, 0
	s_or_b64 s[0:1], s[0:1], s[20:21]
	s_or_b64 exec, exec, s[18:19]
	s_and_saveexec_b64 s[18:19], s[0:1]
	s_cbranch_execnz .LBB296_1068
	s_branch .LBB296_1069
.LBB296_1463:                           ;   in Loop: Header=BB296_818 Depth=1
	v_cmp_eq_u16_e64 s[0:1], s15, v28
	s_mov_b64 s[18:19], -1
                                        ; implicit-def: $sgpr29
	s_and_saveexec_b64 s[22:23], s[0:1]
; %bb.1464:                             ;   in Loop: Header=BB296_818 Depth=1
	s_mov_b32 s29, 0x7fc02000
	s_xor_b64 s[18:19], exec, -1
; %bb.1465:                             ;   in Loop: Header=BB296_818 Depth=1
	s_or_b64 exec, exec, s[22:23]
	s_and_b64 s[18:19], s[18:19], exec
	s_or_saveexec_b64 s[20:21], s[20:21]
	v_mov_b32_e32 v43, s29
	s_xor_b64 exec, exec, s[20:21]
	s_cbranch_execz .LBB296_1071
.LBB296_1466:                           ;   in Loop: Header=BB296_818 Depth=1
	v_cmp_ne_u16_e64 s[0:1], 0, v28
	s_andn2_b64 s[18:19], s[18:19], exec
	s_and_b64 s[0:1], s[0:1], exec
	v_mov_b32_e32 v43, 0
	s_or_b64 s[18:19], s[18:19], s[0:1]
	s_or_b64 exec, exec, s[20:21]
	s_and_saveexec_b64 s[20:21], s[18:19]
	s_cbranch_execnz .LBB296_1072
	s_branch .LBB296_1073
.LBB296_1467:                           ;   in Loop: Header=BB296_818 Depth=1
	v_cmp_eq_u16_sdwa s[30:31], v55, s15 src0_sel:BYTE_0 src1_sel:DWORD
	s_mov_b64 s[0:1], -1
                                        ; implicit-def: $sgpr22
	s_and_saveexec_b64 s[20:21], s[30:31]
; %bb.1468:                             ;   in Loop: Header=BB296_818 Depth=1
	s_mov_b32 s22, 0x7fc02000
	s_xor_b64 s[0:1], exec, -1
; %bb.1469:                             ;   in Loop: Header=BB296_818 Depth=1
	s_or_b64 exec, exec, s[20:21]
	s_and_b64 s[0:1], s[0:1], exec
	s_or_saveexec_b64 s[18:19], s[18:19]
	v_mov_b32_e32 v11, s22
	s_xor_b64 exec, exec, s[18:19]
	s_cbranch_execz .LBB296_1075
.LBB296_1470:                           ;   in Loop: Header=BB296_818 Depth=1
	v_cmp_ne_u16_sdwa s[20:21], v55, v29 src0_sel:BYTE_0 src1_sel:DWORD
	s_andn2_b64 s[0:1], s[0:1], exec
	s_and_b64 s[20:21], s[20:21], exec
	v_mov_b32_e32 v11, 0
	s_or_b64 s[0:1], s[0:1], s[20:21]
	s_or_b64 exec, exec, s[18:19]
	v_mov_b32_e32 v28, v55
	s_and_saveexec_b64 s[18:19], s[0:1]
	s_cbranch_execnz .LBB296_1076
	s_branch .LBB296_1077
.LBB296_1471:                           ;   in Loop: Header=BB296_818 Depth=1
	v_cmp_eq_u16_e64 s[0:1], s15, v28
	s_mov_b64 s[18:19], -1
                                        ; implicit-def: $sgpr29
	s_and_saveexec_b64 s[22:23], s[0:1]
; %bb.1472:                             ;   in Loop: Header=BB296_818 Depth=1
	s_mov_b32 s29, 0x7fc02000
	s_xor_b64 s[18:19], exec, -1
; %bb.1473:                             ;   in Loop: Header=BB296_818 Depth=1
	s_or_b64 exec, exec, s[22:23]
	s_and_b64 s[18:19], s[18:19], exec
	s_or_saveexec_b64 s[20:21], s[20:21]
	v_mov_b32_e32 v23, s29
	s_xor_b64 exec, exec, s[20:21]
	s_cbranch_execz .LBB296_1079
.LBB296_1474:                           ;   in Loop: Header=BB296_818 Depth=1
	v_cmp_ne_u16_e64 s[0:1], 0, v28
	s_andn2_b64 s[18:19], s[18:19], exec
	s_and_b64 s[0:1], s[0:1], exec
	v_mov_b32_e32 v23, 0
	s_or_b64 s[18:19], s[18:19], s[0:1]
	s_or_b64 exec, exec, s[20:21]
	s_and_saveexec_b64 s[20:21], s[18:19]
	s_cbranch_execnz .LBB296_1080
	s_branch .LBB296_1081
.LBB296_1475:                           ;   in Loop: Header=BB296_818 Depth=1
	v_cmp_eq_u16_sdwa s[30:31], v28, s15 src0_sel:BYTE_0 src1_sel:DWORD
	s_mov_b64 s[0:1], -1
                                        ; implicit-def: $sgpr22
	s_and_saveexec_b64 s[20:21], s[30:31]
; %bb.1476:                             ;   in Loop: Header=BB296_818 Depth=1
	s_mov_b32 s22, 0x7fc02000
	s_xor_b64 s[0:1], exec, -1
; %bb.1477:                             ;   in Loop: Header=BB296_818 Depth=1
	s_or_b64 exec, exec, s[20:21]
	s_and_b64 s[0:1], s[0:1], exec
	s_or_saveexec_b64 s[18:19], s[18:19]
	v_mov_b32_e32 v24, s22
	s_xor_b64 exec, exec, s[18:19]
	s_cbranch_execz .LBB296_1083
.LBB296_1478:                           ;   in Loop: Header=BB296_818 Depth=1
	v_cmp_ne_u16_sdwa s[20:21], v28, v29 src0_sel:BYTE_0 src1_sel:DWORD
	s_andn2_b64 s[0:1], s[0:1], exec
	s_and_b64 s[20:21], s[20:21], exec
	v_mov_b32_e32 v24, 0
	s_or_b64 s[0:1], s[0:1], s[20:21]
	s_or_b64 exec, exec, s[18:19]
	s_and_saveexec_b64 s[18:19], s[0:1]
	s_cbranch_execnz .LBB296_1084
	s_branch .LBB296_1085
.LBB296_1479:                           ;   in Loop: Header=BB296_818 Depth=1
	v_cmp_eq_u16_e64 s[0:1], s15, v28
	s_mov_b64 s[18:19], -1
                                        ; implicit-def: $sgpr29
	s_and_saveexec_b64 s[22:23], s[0:1]
; %bb.1480:                             ;   in Loop: Header=BB296_818 Depth=1
	s_mov_b32 s29, 0x7fc02000
	s_xor_b64 s[18:19], exec, -1
; %bb.1481:                             ;   in Loop: Header=BB296_818 Depth=1
	s_or_b64 exec, exec, s[22:23]
	s_and_b64 s[18:19], s[18:19], exec
	s_or_saveexec_b64 s[20:21], s[20:21]
	v_mov_b32_e32 v27, s29
	s_xor_b64 exec, exec, s[20:21]
	s_cbranch_execz .LBB296_1087
.LBB296_1482:                           ;   in Loop: Header=BB296_818 Depth=1
	v_cmp_ne_u16_e64 s[0:1], 0, v28
	s_andn2_b64 s[18:19], s[18:19], exec
	s_and_b64 s[0:1], s[0:1], exec
	v_mov_b32_e32 v27, 0
	s_or_b64 s[18:19], s[18:19], s[0:1]
	s_or_b64 exec, exec, s[20:21]
	s_and_saveexec_b64 s[20:21], s[18:19]
	s_cbranch_execnz .LBB296_1088
	s_branch .LBB296_1089
.LBB296_1483:                           ;   in Loop: Header=BB296_818 Depth=1
	v_cmp_eq_u16_sdwa s[30:31], v54, s15 src0_sel:BYTE_0 src1_sel:DWORD
	s_mov_b64 s[0:1], -1
                                        ; implicit-def: $sgpr22
	s_and_saveexec_b64 s[20:21], s[30:31]
; %bb.1484:                             ;   in Loop: Header=BB296_818 Depth=1
	s_mov_b32 s22, 0x7fc02000
	s_xor_b64 s[0:1], exec, -1
; %bb.1485:                             ;   in Loop: Header=BB296_818 Depth=1
	s_or_b64 exec, exec, s[20:21]
	s_and_b64 s[0:1], s[0:1], exec
	s_or_saveexec_b64 s[18:19], s[18:19]
	v_mov_b32_e32 v40, s22
	s_xor_b64 exec, exec, s[18:19]
	s_cbranch_execz .LBB296_1093
.LBB296_1486:                           ;   in Loop: Header=BB296_818 Depth=1
	v_cmp_ne_u16_sdwa s[20:21], v54, v29 src0_sel:BYTE_0 src1_sel:DWORD
	s_andn2_b64 s[0:1], s[0:1], exec
	s_and_b64 s[20:21], s[20:21], exec
	v_mov_b32_e32 v40, 0
	s_or_b64 s[0:1], s[0:1], s[20:21]
	s_or_b64 exec, exec, s[18:19]
	s_and_saveexec_b64 s[18:19], s[0:1]
	s_cbranch_execnz .LBB296_1094
	s_branch .LBB296_1095
.LBB296_1487:                           ;   in Loop: Header=BB296_818 Depth=1
	v_cmp_eq_u16_e64 s[0:1], s15, v28
	s_mov_b64 s[18:19], -1
                                        ; implicit-def: $sgpr29
	s_and_saveexec_b64 s[22:23], s[0:1]
; %bb.1488:                             ;   in Loop: Header=BB296_818 Depth=1
	s_mov_b32 s29, 0x7fc02000
	s_xor_b64 s[18:19], exec, -1
; %bb.1489:                             ;   in Loop: Header=BB296_818 Depth=1
	s_or_b64 exec, exec, s[22:23]
	s_and_b64 s[18:19], s[18:19], exec
	s_or_saveexec_b64 s[20:21], s[20:21]
	v_mov_b32_e32 v42, s29
	s_xor_b64 exec, exec, s[20:21]
	s_cbranch_execz .LBB296_1097
.LBB296_1490:                           ;   in Loop: Header=BB296_818 Depth=1
	v_cmp_ne_u16_e64 s[0:1], 0, v28
	s_andn2_b64 s[18:19], s[18:19], exec
	s_and_b64 s[0:1], s[0:1], exec
	v_mov_b32_e32 v42, 0
	s_or_b64 s[18:19], s[18:19], s[0:1]
	s_or_b64 exec, exec, s[20:21]
	s_and_saveexec_b64 s[20:21], s[18:19]
	s_cbranch_execnz .LBB296_1098
	s_branch .LBB296_1099
.LBB296_1491:                           ;   in Loop: Header=BB296_818 Depth=1
	v_cmp_eq_u16_sdwa s[30:31], v28, s15 src0_sel:BYTE_0 src1_sel:DWORD
	s_mov_b64 s[0:1], -1
                                        ; implicit-def: $sgpr22
	s_and_saveexec_b64 s[20:21], s[30:31]
; %bb.1492:                             ;   in Loop: Header=BB296_818 Depth=1
	s_mov_b32 s22, 0x7fc02000
	s_xor_b64 s[0:1], exec, -1
; %bb.1493:                             ;   in Loop: Header=BB296_818 Depth=1
	s_or_b64 exec, exec, s[20:21]
	s_and_b64 s[0:1], s[0:1], exec
	s_or_saveexec_b64 s[18:19], s[18:19]
	v_mov_b32_e32 v41, s22
	s_xor_b64 exec, exec, s[18:19]
	s_cbranch_execz .LBB296_1101
.LBB296_1494:                           ;   in Loop: Header=BB296_818 Depth=1
	v_cmp_ne_u16_sdwa s[20:21], v28, v29 src0_sel:BYTE_0 src1_sel:DWORD
	s_andn2_b64 s[0:1], s[0:1], exec
	s_and_b64 s[20:21], s[20:21], exec
	v_mov_b32_e32 v41, 0
	s_or_b64 s[0:1], s[0:1], s[20:21]
	s_or_b64 exec, exec, s[18:19]
	s_and_saveexec_b64 s[18:19], s[0:1]
	s_cbranch_execnz .LBB296_1102
	s_branch .LBB296_1103
.LBB296_1495:                           ;   in Loop: Header=BB296_818 Depth=1
	v_cmp_eq_u16_e64 s[0:1], s15, v28
	s_mov_b64 s[18:19], -1
                                        ; implicit-def: $sgpr29
	s_and_saveexec_b64 s[22:23], s[0:1]
; %bb.1496:                             ;   in Loop: Header=BB296_818 Depth=1
	s_mov_b32 s29, 0x7fc02000
	s_xor_b64 s[18:19], exec, -1
; %bb.1497:                             ;   in Loop: Header=BB296_818 Depth=1
	s_or_b64 exec, exec, s[22:23]
	s_and_b64 s[18:19], s[18:19], exec
	s_or_saveexec_b64 s[20:21], s[20:21]
	v_mov_b32_e32 v43, s29
	s_xor_b64 exec, exec, s[20:21]
	s_cbranch_execz .LBB296_1105
.LBB296_1498:                           ;   in Loop: Header=BB296_818 Depth=1
	v_cmp_ne_u16_e64 s[0:1], 0, v28
	s_andn2_b64 s[18:19], s[18:19], exec
	s_and_b64 s[0:1], s[0:1], exec
	v_mov_b32_e32 v43, 0
	s_or_b64 s[18:19], s[18:19], s[0:1]
	s_or_b64 exec, exec, s[20:21]
	s_and_saveexec_b64 s[20:21], s[18:19]
	s_cbranch_execnz .LBB296_1106
	s_branch .LBB296_1107
.LBB296_1499:                           ;   in Loop: Header=BB296_818 Depth=1
	v_cmp_eq_u16_sdwa s[30:31], v55, s15 src0_sel:BYTE_0 src1_sel:DWORD
	s_mov_b64 s[0:1], -1
                                        ; implicit-def: $sgpr22
	s_and_saveexec_b64 s[20:21], s[30:31]
; %bb.1500:                             ;   in Loop: Header=BB296_818 Depth=1
	s_mov_b32 s22, 0x7fc02000
	s_xor_b64 s[0:1], exec, -1
; %bb.1501:                             ;   in Loop: Header=BB296_818 Depth=1
	s_or_b64 exec, exec, s[20:21]
	s_and_b64 s[0:1], s[0:1], exec
	s_or_saveexec_b64 s[18:19], s[18:19]
	v_mov_b32_e32 v11, s22
	s_xor_b64 exec, exec, s[18:19]
	s_cbranch_execz .LBB296_1109
.LBB296_1502:                           ;   in Loop: Header=BB296_818 Depth=1
	v_cmp_ne_u16_sdwa s[20:21], v55, v29 src0_sel:BYTE_0 src1_sel:DWORD
	s_andn2_b64 s[0:1], s[0:1], exec
	s_and_b64 s[20:21], s[20:21], exec
	v_mov_b32_e32 v11, 0
	s_or_b64 s[0:1], s[0:1], s[20:21]
	s_or_b64 exec, exec, s[18:19]
	v_mov_b32_e32 v28, v55
	s_and_saveexec_b64 s[18:19], s[0:1]
	s_cbranch_execnz .LBB296_1110
	s_branch .LBB296_1111
.LBB296_1503:                           ;   in Loop: Header=BB296_818 Depth=1
	v_cmp_eq_u16_e64 s[0:1], s15, v28
	s_mov_b64 s[18:19], -1
                                        ; implicit-def: $sgpr29
	s_and_saveexec_b64 s[22:23], s[0:1]
; %bb.1504:                             ;   in Loop: Header=BB296_818 Depth=1
	s_mov_b32 s29, 0x7fc02000
	s_xor_b64 s[18:19], exec, -1
; %bb.1505:                             ;   in Loop: Header=BB296_818 Depth=1
	s_or_b64 exec, exec, s[22:23]
	s_and_b64 s[18:19], s[18:19], exec
	s_or_saveexec_b64 s[20:21], s[20:21]
	v_mov_b32_e32 v23, s29
	s_xor_b64 exec, exec, s[20:21]
	s_cbranch_execz .LBB296_1113
.LBB296_1506:                           ;   in Loop: Header=BB296_818 Depth=1
	v_cmp_ne_u16_e64 s[0:1], 0, v28
	s_andn2_b64 s[18:19], s[18:19], exec
	s_and_b64 s[0:1], s[0:1], exec
	v_mov_b32_e32 v23, 0
	s_or_b64 s[18:19], s[18:19], s[0:1]
	s_or_b64 exec, exec, s[20:21]
	s_and_saveexec_b64 s[20:21], s[18:19]
	s_cbranch_execnz .LBB296_1114
	s_branch .LBB296_1115
.LBB296_1507:                           ;   in Loop: Header=BB296_818 Depth=1
	v_cmp_eq_u16_sdwa s[30:31], v28, s15 src0_sel:BYTE_0 src1_sel:DWORD
	s_mov_b64 s[0:1], -1
                                        ; implicit-def: $sgpr22
	s_and_saveexec_b64 s[20:21], s[30:31]
; %bb.1508:                             ;   in Loop: Header=BB296_818 Depth=1
	s_mov_b32 s22, 0x7fc02000
	s_xor_b64 s[0:1], exec, -1
; %bb.1509:                             ;   in Loop: Header=BB296_818 Depth=1
	s_or_b64 exec, exec, s[20:21]
	s_and_b64 s[0:1], s[0:1], exec
	s_or_saveexec_b64 s[18:19], s[18:19]
	v_mov_b32_e32 v24, s22
	s_xor_b64 exec, exec, s[18:19]
	s_cbranch_execz .LBB296_1117
.LBB296_1510:                           ;   in Loop: Header=BB296_818 Depth=1
	v_cmp_ne_u16_sdwa s[20:21], v28, v29 src0_sel:BYTE_0 src1_sel:DWORD
	s_andn2_b64 s[0:1], s[0:1], exec
	s_and_b64 s[20:21], s[20:21], exec
	v_mov_b32_e32 v24, 0
	s_or_b64 s[0:1], s[0:1], s[20:21]
	s_or_b64 exec, exec, s[18:19]
	s_and_saveexec_b64 s[18:19], s[0:1]
	s_cbranch_execnz .LBB296_1118
	s_branch .LBB296_1119
.LBB296_1511:                           ;   in Loop: Header=BB296_818 Depth=1
	v_cmp_eq_u16_e64 s[0:1], s15, v28
	s_mov_b64 s[18:19], -1
                                        ; implicit-def: $sgpr29
	s_and_saveexec_b64 s[22:23], s[0:1]
; %bb.1512:                             ;   in Loop: Header=BB296_818 Depth=1
	s_mov_b32 s29, 0x7fc02000
	s_xor_b64 s[18:19], exec, -1
; %bb.1513:                             ;   in Loop: Header=BB296_818 Depth=1
	s_or_b64 exec, exec, s[22:23]
	s_and_b64 s[18:19], s[18:19], exec
	s_or_saveexec_b64 s[20:21], s[20:21]
	v_mov_b32_e32 v27, s29
	s_xor_b64 exec, exec, s[20:21]
	s_cbranch_execz .LBB296_1121
.LBB296_1514:                           ;   in Loop: Header=BB296_818 Depth=1
	v_cmp_ne_u16_e64 s[0:1], 0, v28
	s_andn2_b64 s[18:19], s[18:19], exec
	s_and_b64 s[0:1], s[0:1], exec
	v_mov_b32_e32 v27, 0
	s_or_b64 s[18:19], s[18:19], s[0:1]
	s_or_b64 exec, exec, s[20:21]
	s_and_saveexec_b64 s[20:21], s[18:19]
	s_cbranch_execnz .LBB296_1122
	s_branch .LBB296_1123
.LBB296_1515:                           ;   in Loop: Header=BB296_818 Depth=1
	v_cmp_eq_u16_sdwa s[30:31], v54, s15 src0_sel:BYTE_0 src1_sel:DWORD
	s_mov_b64 s[0:1], -1
                                        ; implicit-def: $sgpr22
	s_and_saveexec_b64 s[20:21], s[30:31]
; %bb.1516:                             ;   in Loop: Header=BB296_818 Depth=1
	s_mov_b32 s22, 0x7fc02000
	s_xor_b64 s[0:1], exec, -1
; %bb.1517:                             ;   in Loop: Header=BB296_818 Depth=1
	s_or_b64 exec, exec, s[20:21]
	s_and_b64 s[0:1], s[0:1], exec
	s_or_saveexec_b64 s[18:19], s[18:19]
	v_mov_b32_e32 v40, s22
	s_xor_b64 exec, exec, s[18:19]
	s_cbranch_execz .LBB296_1127
.LBB296_1518:                           ;   in Loop: Header=BB296_818 Depth=1
	v_cmp_ne_u16_sdwa s[20:21], v54, v29 src0_sel:BYTE_0 src1_sel:DWORD
	s_andn2_b64 s[0:1], s[0:1], exec
	s_and_b64 s[20:21], s[20:21], exec
	v_mov_b32_e32 v40, 0
	s_or_b64 s[0:1], s[0:1], s[20:21]
	s_or_b64 exec, exec, s[18:19]
	s_and_saveexec_b64 s[18:19], s[0:1]
	s_cbranch_execnz .LBB296_1128
	s_branch .LBB296_1129
.LBB296_1519:                           ;   in Loop: Header=BB296_818 Depth=1
	v_cmp_eq_u16_e64 s[0:1], s15, v28
	s_mov_b64 s[18:19], -1
                                        ; implicit-def: $sgpr29
	s_and_saveexec_b64 s[22:23], s[0:1]
; %bb.1520:                             ;   in Loop: Header=BB296_818 Depth=1
	s_mov_b32 s29, 0x7fc02000
	s_xor_b64 s[18:19], exec, -1
; %bb.1521:                             ;   in Loop: Header=BB296_818 Depth=1
	s_or_b64 exec, exec, s[22:23]
	s_and_b64 s[18:19], s[18:19], exec
	s_or_saveexec_b64 s[20:21], s[20:21]
	v_mov_b32_e32 v42, s29
	s_xor_b64 exec, exec, s[20:21]
	s_cbranch_execz .LBB296_1131
.LBB296_1522:                           ;   in Loop: Header=BB296_818 Depth=1
	v_cmp_ne_u16_e64 s[0:1], 0, v28
	s_andn2_b64 s[18:19], s[18:19], exec
	s_and_b64 s[0:1], s[0:1], exec
	v_mov_b32_e32 v42, 0
	s_or_b64 s[18:19], s[18:19], s[0:1]
	s_or_b64 exec, exec, s[20:21]
	s_and_saveexec_b64 s[20:21], s[18:19]
	s_cbranch_execnz .LBB296_1132
	s_branch .LBB296_1133
.LBB296_1523:                           ;   in Loop: Header=BB296_818 Depth=1
	v_cmp_eq_u16_sdwa s[30:31], v28, s15 src0_sel:BYTE_0 src1_sel:DWORD
	s_mov_b64 s[0:1], -1
                                        ; implicit-def: $sgpr22
	s_and_saveexec_b64 s[20:21], s[30:31]
; %bb.1524:                             ;   in Loop: Header=BB296_818 Depth=1
	s_mov_b32 s22, 0x7fc02000
	s_xor_b64 s[0:1], exec, -1
; %bb.1525:                             ;   in Loop: Header=BB296_818 Depth=1
	s_or_b64 exec, exec, s[20:21]
	s_and_b64 s[0:1], s[0:1], exec
	s_or_saveexec_b64 s[18:19], s[18:19]
	v_mov_b32_e32 v41, s22
	s_xor_b64 exec, exec, s[18:19]
	s_cbranch_execz .LBB296_1135
.LBB296_1526:                           ;   in Loop: Header=BB296_818 Depth=1
	v_cmp_ne_u16_sdwa s[20:21], v28, v29 src0_sel:BYTE_0 src1_sel:DWORD
	s_andn2_b64 s[0:1], s[0:1], exec
	s_and_b64 s[20:21], s[20:21], exec
	v_mov_b32_e32 v41, 0
	s_or_b64 s[0:1], s[0:1], s[20:21]
	s_or_b64 exec, exec, s[18:19]
	s_and_saveexec_b64 s[18:19], s[0:1]
	s_cbranch_execnz .LBB296_1136
	s_branch .LBB296_1137
.LBB296_1527:                           ;   in Loop: Header=BB296_818 Depth=1
	v_cmp_eq_u16_e64 s[0:1], s15, v28
	s_mov_b64 s[18:19], -1
                                        ; implicit-def: $sgpr29
	s_and_saveexec_b64 s[22:23], s[0:1]
; %bb.1528:                             ;   in Loop: Header=BB296_818 Depth=1
	s_mov_b32 s29, 0x7fc02000
	s_xor_b64 s[18:19], exec, -1
; %bb.1529:                             ;   in Loop: Header=BB296_818 Depth=1
	s_or_b64 exec, exec, s[22:23]
	s_and_b64 s[18:19], s[18:19], exec
	s_or_saveexec_b64 s[20:21], s[20:21]
	v_mov_b32_e32 v43, s29
	s_xor_b64 exec, exec, s[20:21]
	s_cbranch_execz .LBB296_1139
.LBB296_1530:                           ;   in Loop: Header=BB296_818 Depth=1
	v_cmp_ne_u16_e64 s[0:1], 0, v28
	s_andn2_b64 s[18:19], s[18:19], exec
	s_and_b64 s[0:1], s[0:1], exec
	v_mov_b32_e32 v43, 0
	s_or_b64 s[18:19], s[18:19], s[0:1]
	s_or_b64 exec, exec, s[20:21]
	s_and_saveexec_b64 s[20:21], s[18:19]
	s_cbranch_execnz .LBB296_1140
	s_branch .LBB296_1141
.LBB296_1531:                           ;   in Loop: Header=BB296_818 Depth=1
	v_cmp_eq_u16_sdwa s[30:31], v55, s15 src0_sel:BYTE_0 src1_sel:DWORD
	s_mov_b64 s[0:1], -1
                                        ; implicit-def: $sgpr22
	s_and_saveexec_b64 s[20:21], s[30:31]
; %bb.1532:                             ;   in Loop: Header=BB296_818 Depth=1
	s_mov_b32 s22, 0x7fc02000
	s_xor_b64 s[0:1], exec, -1
; %bb.1533:                             ;   in Loop: Header=BB296_818 Depth=1
	s_or_b64 exec, exec, s[20:21]
	s_and_b64 s[0:1], s[0:1], exec
	s_or_saveexec_b64 s[18:19], s[18:19]
	v_mov_b32_e32 v23, s22
	s_xor_b64 exec, exec, s[18:19]
	s_cbranch_execz .LBB296_1143
.LBB296_1534:                           ;   in Loop: Header=BB296_818 Depth=1
	v_cmp_ne_u16_sdwa s[20:21], v55, v29 src0_sel:BYTE_0 src1_sel:DWORD
	s_andn2_b64 s[0:1], s[0:1], exec
	s_and_b64 s[20:21], s[20:21], exec
	v_mov_b32_e32 v23, 0
	s_or_b64 s[0:1], s[0:1], s[20:21]
	s_or_b64 exec, exec, s[18:19]
	v_mov_b32_e32 v28, v55
	s_and_saveexec_b64 s[18:19], s[0:1]
	s_cbranch_execnz .LBB296_1144
	s_branch .LBB296_1145
.LBB296_1535:                           ;   in Loop: Header=BB296_818 Depth=1
	v_cmp_eq_u16_e64 s[0:1], s15, v28
	s_mov_b64 s[18:19], -1
                                        ; implicit-def: $sgpr29
	s_and_saveexec_b64 s[22:23], s[0:1]
; %bb.1536:                             ;   in Loop: Header=BB296_818 Depth=1
	s_mov_b32 s29, 0x7fc02000
	s_xor_b64 s[18:19], exec, -1
; %bb.1537:                             ;   in Loop: Header=BB296_818 Depth=1
	s_or_b64 exec, exec, s[22:23]
	s_and_b64 s[18:19], s[18:19], exec
	s_or_saveexec_b64 s[20:21], s[20:21]
	v_mov_b32_e32 v24, s29
	s_xor_b64 exec, exec, s[20:21]
	s_cbranch_execz .LBB296_1147
.LBB296_1538:                           ;   in Loop: Header=BB296_818 Depth=1
	v_cmp_ne_u16_e64 s[0:1], 0, v28
	s_andn2_b64 s[18:19], s[18:19], exec
	s_and_b64 s[0:1], s[0:1], exec
	v_mov_b32_e32 v24, 0
	s_or_b64 s[18:19], s[18:19], s[0:1]
	s_or_b64 exec, exec, s[20:21]
	s_and_saveexec_b64 s[20:21], s[18:19]
	s_cbranch_execnz .LBB296_1148
	s_branch .LBB296_1149
.LBB296_1539:                           ;   in Loop: Header=BB296_818 Depth=1
	v_cmp_eq_u16_sdwa s[30:31], v28, s15 src0_sel:BYTE_0 src1_sel:DWORD
	s_mov_b64 s[0:1], -1
                                        ; implicit-def: $sgpr22
	s_and_saveexec_b64 s[20:21], s[30:31]
; %bb.1540:                             ;   in Loop: Header=BB296_818 Depth=1
	s_mov_b32 s22, 0x7fc02000
	s_xor_b64 s[0:1], exec, -1
; %bb.1541:                             ;   in Loop: Header=BB296_818 Depth=1
	s_or_b64 exec, exec, s[20:21]
	s_and_b64 s[0:1], s[0:1], exec
	s_or_saveexec_b64 s[18:19], s[18:19]
	v_mov_b32_e32 v25, s22
	s_xor_b64 exec, exec, s[18:19]
	s_cbranch_execz .LBB296_1151
.LBB296_1542:                           ;   in Loop: Header=BB296_818 Depth=1
	v_cmp_ne_u16_sdwa s[20:21], v28, v29 src0_sel:BYTE_0 src1_sel:DWORD
	s_andn2_b64 s[0:1], s[0:1], exec
	s_and_b64 s[20:21], s[20:21], exec
	v_mov_b32_e32 v25, 0
	s_or_b64 s[0:1], s[0:1], s[20:21]
	s_or_b64 exec, exec, s[18:19]
	s_and_saveexec_b64 s[18:19], s[0:1]
	s_cbranch_execnz .LBB296_1152
	s_branch .LBB296_1153
.LBB296_1543:                           ;   in Loop: Header=BB296_818 Depth=1
	v_cmp_eq_u16_e64 s[0:1], s15, v28
	s_mov_b64 s[18:19], -1
                                        ; implicit-def: $sgpr29
	s_and_saveexec_b64 s[22:23], s[0:1]
; %bb.1544:                             ;   in Loop: Header=BB296_818 Depth=1
	s_mov_b32 s29, 0x7fc02000
	s_xor_b64 s[18:19], exec, -1
; %bb.1545:                             ;   in Loop: Header=BB296_818 Depth=1
	s_or_b64 exec, exec, s[22:23]
	s_and_b64 s[18:19], s[18:19], exec
	s_or_saveexec_b64 s[20:21], s[20:21]
	v_mov_b32_e32 v53, s29
	s_xor_b64 exec, exec, s[20:21]
	s_cbranch_execz .LBB296_1155
.LBB296_1546:                           ;   in Loop: Header=BB296_818 Depth=1
	v_cmp_ne_u16_e64 s[0:1], 0, v28
	s_andn2_b64 s[18:19], s[18:19], exec
	s_and_b64 s[0:1], s[0:1], exec
	v_mov_b32_e32 v53, 0
	s_or_b64 s[18:19], s[18:19], s[0:1]
	s_or_b64 exec, exec, s[20:21]
	s_and_saveexec_b64 s[20:21], s[18:19]
	s_cbranch_execnz .LBB296_1156
	s_branch .LBB296_1157
.LBB296_1547:                           ;   in Loop: Header=BB296_818 Depth=1
	v_cmp_eq_u16_sdwa s[30:31], v54, s15 src0_sel:BYTE_0 src1_sel:DWORD
	s_mov_b64 s[0:1], -1
                                        ; implicit-def: $sgpr22
	s_and_saveexec_b64 s[20:21], s[30:31]
; %bb.1548:                             ;   in Loop: Header=BB296_818 Depth=1
	s_mov_b32 s22, 0x7fc02000
	s_xor_b64 s[0:1], exec, -1
; %bb.1549:                             ;   in Loop: Header=BB296_818 Depth=1
	s_or_b64 exec, exec, s[20:21]
	s_and_b64 s[0:1], s[0:1], exec
	s_or_saveexec_b64 s[18:19], s[18:19]
	v_mov_b32_e32 v40, s22
	s_xor_b64 exec, exec, s[18:19]
	s_cbranch_execz .LBB296_1161
.LBB296_1550:                           ;   in Loop: Header=BB296_818 Depth=1
	v_cmp_ne_u16_sdwa s[20:21], v54, v29 src0_sel:BYTE_0 src1_sel:DWORD
	s_andn2_b64 s[0:1], s[0:1], exec
	s_and_b64 s[20:21], s[20:21], exec
	v_mov_b32_e32 v40, 0
	s_or_b64 s[0:1], s[0:1], s[20:21]
	s_or_b64 exec, exec, s[18:19]
	s_and_saveexec_b64 s[18:19], s[0:1]
	s_cbranch_execnz .LBB296_1162
	s_branch .LBB296_1163
.LBB296_1551:                           ;   in Loop: Header=BB296_818 Depth=1
	v_cmp_eq_u16_e64 s[0:1], s15, v28
	s_mov_b64 s[18:19], -1
                                        ; implicit-def: $sgpr29
	s_and_saveexec_b64 s[22:23], s[0:1]
; %bb.1552:                             ;   in Loop: Header=BB296_818 Depth=1
	s_mov_b32 s29, 0x7fc02000
	s_xor_b64 s[18:19], exec, -1
; %bb.1553:                             ;   in Loop: Header=BB296_818 Depth=1
	s_or_b64 exec, exec, s[22:23]
	s_and_b64 s[18:19], s[18:19], exec
	s_or_saveexec_b64 s[20:21], s[20:21]
	v_mov_b32_e32 v42, s29
	s_xor_b64 exec, exec, s[20:21]
	s_cbranch_execz .LBB296_1165
.LBB296_1554:                           ;   in Loop: Header=BB296_818 Depth=1
	v_cmp_ne_u16_e64 s[0:1], 0, v28
	s_andn2_b64 s[18:19], s[18:19], exec
	s_and_b64 s[0:1], s[0:1], exec
	v_mov_b32_e32 v42, 0
	s_or_b64 s[18:19], s[18:19], s[0:1]
	s_or_b64 exec, exec, s[20:21]
	s_and_saveexec_b64 s[20:21], s[18:19]
	s_cbranch_execnz .LBB296_1166
	s_branch .LBB296_1167
.LBB296_1555:                           ;   in Loop: Header=BB296_818 Depth=1
	v_cmp_eq_u16_sdwa s[30:31], v28, s15 src0_sel:BYTE_0 src1_sel:DWORD
	s_mov_b64 s[0:1], -1
                                        ; implicit-def: $sgpr22
	s_and_saveexec_b64 s[20:21], s[30:31]
; %bb.1556:                             ;   in Loop: Header=BB296_818 Depth=1
	s_mov_b32 s22, 0x7fc02000
	s_xor_b64 s[0:1], exec, -1
; %bb.1557:                             ;   in Loop: Header=BB296_818 Depth=1
	s_or_b64 exec, exec, s[20:21]
	s_and_b64 s[0:1], s[0:1], exec
	s_or_saveexec_b64 s[18:19], s[18:19]
	v_mov_b32_e32 v41, s22
	s_xor_b64 exec, exec, s[18:19]
	s_cbranch_execz .LBB296_1169
.LBB296_1558:                           ;   in Loop: Header=BB296_818 Depth=1
	v_cmp_ne_u16_sdwa s[20:21], v28, v29 src0_sel:BYTE_0 src1_sel:DWORD
	s_andn2_b64 s[0:1], s[0:1], exec
	s_and_b64 s[20:21], s[20:21], exec
	v_mov_b32_e32 v41, 0
	s_or_b64 s[0:1], s[0:1], s[20:21]
	s_or_b64 exec, exec, s[18:19]
	s_and_saveexec_b64 s[18:19], s[0:1]
	s_cbranch_execnz .LBB296_1170
	s_branch .LBB296_1171
.LBB296_1559:                           ;   in Loop: Header=BB296_818 Depth=1
	v_cmp_eq_u16_e64 s[0:1], s15, v28
	s_mov_b64 s[18:19], -1
                                        ; implicit-def: $sgpr29
	s_and_saveexec_b64 s[22:23], s[0:1]
; %bb.1560:                             ;   in Loop: Header=BB296_818 Depth=1
	s_mov_b32 s29, 0x7fc02000
	s_xor_b64 s[18:19], exec, -1
; %bb.1561:                             ;   in Loop: Header=BB296_818 Depth=1
	s_or_b64 exec, exec, s[22:23]
	s_and_b64 s[18:19], s[18:19], exec
	s_or_saveexec_b64 s[20:21], s[20:21]
	v_mov_b32_e32 v43, s29
	s_xor_b64 exec, exec, s[20:21]
	s_cbranch_execz .LBB296_1173
.LBB296_1562:                           ;   in Loop: Header=BB296_818 Depth=1
	v_cmp_ne_u16_e64 s[0:1], 0, v28
	s_andn2_b64 s[18:19], s[18:19], exec
	s_and_b64 s[0:1], s[0:1], exec
	v_mov_b32_e32 v43, 0
	s_or_b64 s[18:19], s[18:19], s[0:1]
	s_or_b64 exec, exec, s[20:21]
	s_and_saveexec_b64 s[20:21], s[18:19]
	s_cbranch_execnz .LBB296_1174
	s_branch .LBB296_1175
.LBB296_1563:                           ;   in Loop: Header=BB296_818 Depth=1
	v_cmp_eq_u16_sdwa s[30:31], v55, s15 src0_sel:BYTE_0 src1_sel:DWORD
	s_mov_b64 s[0:1], -1
                                        ; implicit-def: $sgpr22
	s_and_saveexec_b64 s[20:21], s[30:31]
; %bb.1564:                             ;   in Loop: Header=BB296_818 Depth=1
	s_mov_b32 s22, 0x7fc02000
	s_xor_b64 s[0:1], exec, -1
; %bb.1565:                             ;   in Loop: Header=BB296_818 Depth=1
	s_or_b64 exec, exec, s[20:21]
	s_and_b64 s[0:1], s[0:1], exec
	s_or_saveexec_b64 s[18:19], s[18:19]
	v_mov_b32_e32 v23, s22
	s_xor_b64 exec, exec, s[18:19]
	s_cbranch_execz .LBB296_1177
.LBB296_1566:                           ;   in Loop: Header=BB296_818 Depth=1
	v_cmp_ne_u16_sdwa s[20:21], v55, v29 src0_sel:BYTE_0 src1_sel:DWORD
	s_andn2_b64 s[0:1], s[0:1], exec
	s_and_b64 s[20:21], s[20:21], exec
	v_mov_b32_e32 v23, 0
	s_or_b64 s[0:1], s[0:1], s[20:21]
	s_or_b64 exec, exec, s[18:19]
	v_mov_b32_e32 v28, v55
	s_and_saveexec_b64 s[18:19], s[0:1]
	s_cbranch_execnz .LBB296_1178
	s_branch .LBB296_1179
.LBB296_1567:                           ;   in Loop: Header=BB296_818 Depth=1
	v_cmp_eq_u16_e64 s[0:1], s15, v28
	s_mov_b64 s[18:19], -1
                                        ; implicit-def: $sgpr29
	s_and_saveexec_b64 s[22:23], s[0:1]
; %bb.1568:                             ;   in Loop: Header=BB296_818 Depth=1
	s_mov_b32 s29, 0x7fc02000
	s_xor_b64 s[18:19], exec, -1
; %bb.1569:                             ;   in Loop: Header=BB296_818 Depth=1
	s_or_b64 exec, exec, s[22:23]
	s_and_b64 s[18:19], s[18:19], exec
	s_or_saveexec_b64 s[20:21], s[20:21]
	v_mov_b32_e32 v24, s29
	s_xor_b64 exec, exec, s[20:21]
	s_cbranch_execz .LBB296_1181
.LBB296_1570:                           ;   in Loop: Header=BB296_818 Depth=1
	v_cmp_ne_u16_e64 s[0:1], 0, v28
	s_andn2_b64 s[18:19], s[18:19], exec
	s_and_b64 s[0:1], s[0:1], exec
	v_mov_b32_e32 v24, 0
	s_or_b64 s[18:19], s[18:19], s[0:1]
	s_or_b64 exec, exec, s[20:21]
	s_and_saveexec_b64 s[20:21], s[18:19]
	s_cbranch_execnz .LBB296_1182
	s_branch .LBB296_1183
.LBB296_1571:                           ;   in Loop: Header=BB296_818 Depth=1
	v_cmp_eq_u16_sdwa s[30:31], v28, s15 src0_sel:BYTE_0 src1_sel:DWORD
	s_mov_b64 s[0:1], -1
                                        ; implicit-def: $sgpr22
	s_and_saveexec_b64 s[20:21], s[30:31]
; %bb.1572:                             ;   in Loop: Header=BB296_818 Depth=1
	s_mov_b32 s22, 0x7fc02000
	s_xor_b64 s[0:1], exec, -1
; %bb.1573:                             ;   in Loop: Header=BB296_818 Depth=1
	s_or_b64 exec, exec, s[20:21]
	s_and_b64 s[0:1], s[0:1], exec
	s_or_saveexec_b64 s[18:19], s[18:19]
	v_mov_b32_e32 v25, s22
	s_xor_b64 exec, exec, s[18:19]
	s_cbranch_execz .LBB296_1185
.LBB296_1574:                           ;   in Loop: Header=BB296_818 Depth=1
	v_cmp_ne_u16_sdwa s[20:21], v28, v29 src0_sel:BYTE_0 src1_sel:DWORD
	s_andn2_b64 s[0:1], s[0:1], exec
	s_and_b64 s[20:21], s[20:21], exec
	v_mov_b32_e32 v25, 0
	s_or_b64 s[0:1], s[0:1], s[20:21]
	s_or_b64 exec, exec, s[18:19]
	s_and_saveexec_b64 s[18:19], s[0:1]
	s_cbranch_execnz .LBB296_1186
	s_branch .LBB296_1187
.LBB296_1575:                           ;   in Loop: Header=BB296_818 Depth=1
	v_cmp_eq_u16_e64 s[0:1], s15, v28
	s_mov_b64 s[18:19], -1
                                        ; implicit-def: $sgpr29
	s_and_saveexec_b64 s[22:23], s[0:1]
; %bb.1576:                             ;   in Loop: Header=BB296_818 Depth=1
	s_mov_b32 s29, 0x7fc02000
	s_xor_b64 s[18:19], exec, -1
; %bb.1577:                             ;   in Loop: Header=BB296_818 Depth=1
	s_or_b64 exec, exec, s[22:23]
	s_and_b64 s[18:19], s[18:19], exec
	s_or_saveexec_b64 s[20:21], s[20:21]
	v_mov_b32_e32 v54, s29
	s_xor_b64 exec, exec, s[20:21]
	s_cbranch_execz .LBB296_1189
.LBB296_1578:                           ;   in Loop: Header=BB296_818 Depth=1
	v_cmp_ne_u16_e64 s[0:1], 0, v28
	s_andn2_b64 s[18:19], s[18:19], exec
	s_and_b64 s[0:1], s[0:1], exec
	v_mov_b32_e32 v54, 0
	s_or_b64 s[18:19], s[18:19], s[0:1]
	s_or_b64 exec, exec, s[20:21]
	s_and_saveexec_b64 s[20:21], s[18:19]
	s_cbranch_execnz .LBB296_1190
	s_branch .LBB296_1191
.LBB296_1579:                           ;   in Loop: Header=BB296_818 Depth=1
	v_cmp_eq_u16_sdwa s[30:31], v52, s15 src0_sel:BYTE_0 src1_sel:DWORD
	s_mov_b64 s[0:1], -1
                                        ; implicit-def: $sgpr22
	s_and_saveexec_b64 s[20:21], s[30:31]
; %bb.1580:                             ;   in Loop: Header=BB296_818 Depth=1
	s_mov_b32 s22, 0x7fc02000
	s_xor_b64 s[0:1], exec, -1
; %bb.1581:                             ;   in Loop: Header=BB296_818 Depth=1
	s_or_b64 exec, exec, s[20:21]
	s_and_b64 s[0:1], s[0:1], exec
	s_or_saveexec_b64 s[18:19], s[18:19]
	v_mov_b32_e32 v54, s22
	s_xor_b64 exec, exec, s[18:19]
	s_cbranch_execz .LBB296_1195
.LBB296_1582:                           ;   in Loop: Header=BB296_818 Depth=1
	v_cmp_ne_u16_sdwa s[20:21], v52, v29 src0_sel:BYTE_0 src1_sel:DWORD
	s_andn2_b64 s[0:1], s[0:1], exec
	s_and_b64 s[20:21], s[20:21], exec
	v_mov_b32_e32 v54, 0
	s_or_b64 s[0:1], s[0:1], s[20:21]
	s_or_b64 exec, exec, s[18:19]
	s_and_saveexec_b64 s[18:19], s[0:1]
	s_cbranch_execnz .LBB296_1196
	s_branch .LBB296_1197
.LBB296_1583:                           ;   in Loop: Header=BB296_818 Depth=1
	v_cmp_eq_u16_e64 s[0:1], s15, v28
	s_mov_b64 s[18:19], -1
                                        ; implicit-def: $sgpr29
	s_and_saveexec_b64 s[22:23], s[0:1]
; %bb.1584:                             ;   in Loop: Header=BB296_818 Depth=1
	s_mov_b32 s29, 0x7fc02000
	s_xor_b64 s[18:19], exec, -1
; %bb.1585:                             ;   in Loop: Header=BB296_818 Depth=1
	s_or_b64 exec, exec, s[22:23]
	s_and_b64 s[18:19], s[18:19], exec
	s_or_saveexec_b64 s[20:21], s[20:21]
	v_mov_b32_e32 v40, s29
	s_xor_b64 exec, exec, s[20:21]
	s_cbranch_execz .LBB296_1199
.LBB296_1586:                           ;   in Loop: Header=BB296_818 Depth=1
	v_cmp_ne_u16_e64 s[0:1], 0, v28
	s_andn2_b64 s[18:19], s[18:19], exec
	s_and_b64 s[0:1], s[0:1], exec
	v_mov_b32_e32 v40, 0
	s_or_b64 s[18:19], s[18:19], s[0:1]
	s_or_b64 exec, exec, s[20:21]
	s_and_saveexec_b64 s[20:21], s[18:19]
	s_cbranch_execnz .LBB296_1200
	s_branch .LBB296_1201
.LBB296_1587:                           ;   in Loop: Header=BB296_818 Depth=1
	v_cmp_eq_u16_sdwa s[30:31], v28, s15 src0_sel:BYTE_0 src1_sel:DWORD
	s_mov_b64 s[0:1], -1
                                        ; implicit-def: $sgpr22
	s_and_saveexec_b64 s[20:21], s[30:31]
; %bb.1588:                             ;   in Loop: Header=BB296_818 Depth=1
	s_mov_b32 s22, 0x7fc02000
	s_xor_b64 s[0:1], exec, -1
; %bb.1589:                             ;   in Loop: Header=BB296_818 Depth=1
	s_or_b64 exec, exec, s[20:21]
	s_and_b64 s[0:1], s[0:1], exec
	s_or_saveexec_b64 s[18:19], s[18:19]
	v_mov_b32_e32 v55, s22
	s_xor_b64 exec, exec, s[18:19]
	s_cbranch_execz .LBB296_1203
.LBB296_1590:                           ;   in Loop: Header=BB296_818 Depth=1
	v_cmp_ne_u16_sdwa s[20:21], v28, v29 src0_sel:BYTE_0 src1_sel:DWORD
	s_andn2_b64 s[0:1], s[0:1], exec
	s_and_b64 s[20:21], s[20:21], exec
	v_mov_b32_e32 v55, 0
	s_or_b64 s[0:1], s[0:1], s[20:21]
	s_or_b64 exec, exec, s[18:19]
	s_and_saveexec_b64 s[18:19], s[0:1]
	s_cbranch_execnz .LBB296_1204
	s_branch .LBB296_1205
.LBB296_1591:                           ;   in Loop: Header=BB296_818 Depth=1
	v_cmp_eq_u16_e64 s[0:1], s15, v28
	s_mov_b64 s[18:19], -1
                                        ; implicit-def: $sgpr29
	s_and_saveexec_b64 s[22:23], s[0:1]
; %bb.1592:                             ;   in Loop: Header=BB296_818 Depth=1
	s_mov_b32 s29, 0x7fc02000
	s_xor_b64 s[18:19], exec, -1
; %bb.1593:                             ;   in Loop: Header=BB296_818 Depth=1
	s_or_b64 exec, exec, s[22:23]
	s_and_b64 s[18:19], s[18:19], exec
	s_or_saveexec_b64 s[20:21], s[20:21]
	v_mov_b32_e32 v41, s29
	s_xor_b64 exec, exec, s[20:21]
	s_cbranch_execz .LBB296_1207
.LBB296_1594:                           ;   in Loop: Header=BB296_818 Depth=1
	v_cmp_ne_u16_e64 s[0:1], 0, v28
	s_andn2_b64 s[18:19], s[18:19], exec
	s_and_b64 s[0:1], s[0:1], exec
	v_mov_b32_e32 v41, 0
	s_or_b64 s[18:19], s[18:19], s[0:1]
	s_or_b64 exec, exec, s[20:21]
	s_and_saveexec_b64 s[20:21], s[18:19]
	s_cbranch_execnz .LBB296_1208
	s_branch .LBB296_1209
.LBB296_1595:                           ;   in Loop: Header=BB296_818 Depth=1
	v_cmp_eq_u16_sdwa s[30:31], v53, s15 src0_sel:BYTE_0 src1_sel:DWORD
	s_mov_b64 s[0:1], -1
                                        ; implicit-def: $sgpr22
	s_and_saveexec_b64 s[20:21], s[30:31]
; %bb.1596:                             ;   in Loop: Header=BB296_818 Depth=1
	s_mov_b32 s22, 0x7fc02000
	s_xor_b64 s[0:1], exec, -1
; %bb.1597:                             ;   in Loop: Header=BB296_818 Depth=1
	s_or_b64 exec, exec, s[20:21]
	s_and_b64 s[0:1], s[0:1], exec
	s_or_saveexec_b64 s[18:19], s[18:19]
	v_mov_b32_e32 v25, s22
	s_xor_b64 exec, exec, s[18:19]
	s_cbranch_execz .LBB296_1211
.LBB296_1598:                           ;   in Loop: Header=BB296_818 Depth=1
	v_cmp_ne_u16_sdwa s[20:21], v53, v29 src0_sel:BYTE_0 src1_sel:DWORD
	s_andn2_b64 s[0:1], s[0:1], exec
	s_and_b64 s[20:21], s[20:21], exec
	v_mov_b32_e32 v25, 0
	s_or_b64 s[0:1], s[0:1], s[20:21]
	s_or_b64 exec, exec, s[18:19]
	v_mov_b32_e32 v28, v53
	s_and_saveexec_b64 s[18:19], s[0:1]
	s_cbranch_execnz .LBB296_1212
	s_branch .LBB296_1213
.LBB296_1599:                           ;   in Loop: Header=BB296_818 Depth=1
	v_cmp_eq_u16_e64 s[0:1], s15, v28
	s_mov_b64 s[18:19], -1
                                        ; implicit-def: $sgpr29
	s_and_saveexec_b64 s[22:23], s[0:1]
; %bb.1600:                             ;   in Loop: Header=BB296_818 Depth=1
	s_mov_b32 s29, 0x7fc02000
	s_xor_b64 s[18:19], exec, -1
; %bb.1601:                             ;   in Loop: Header=BB296_818 Depth=1
	s_or_b64 exec, exec, s[22:23]
	s_and_b64 s[18:19], s[18:19], exec
	s_or_saveexec_b64 s[20:21], s[20:21]
	v_mov_b32_e32 v33, s29
	s_xor_b64 exec, exec, s[20:21]
	s_cbranch_execz .LBB296_1215
.LBB296_1602:                           ;   in Loop: Header=BB296_818 Depth=1
	v_cmp_ne_u16_e64 s[0:1], 0, v28
	s_andn2_b64 s[18:19], s[18:19], exec
	s_and_b64 s[0:1], s[0:1], exec
	v_mov_b32_e32 v33, 0
	s_or_b64 s[18:19], s[18:19], s[0:1]
	s_or_b64 exec, exec, s[20:21]
	s_and_saveexec_b64 s[20:21], s[18:19]
	s_cbranch_execnz .LBB296_1216
	s_branch .LBB296_1217
.LBB296_1603:                           ;   in Loop: Header=BB296_818 Depth=1
	v_cmp_eq_u16_sdwa s[30:31], v28, s15 src0_sel:BYTE_0 src1_sel:DWORD
	s_mov_b64 s[0:1], -1
                                        ; implicit-def: $sgpr22
	s_and_saveexec_b64 s[20:21], s[30:31]
; %bb.1604:                             ;   in Loop: Header=BB296_818 Depth=1
	s_mov_b32 s22, 0x7fc02000
	s_xor_b64 s[0:1], exec, -1
; %bb.1605:                             ;   in Loop: Header=BB296_818 Depth=1
	s_or_b64 exec, exec, s[20:21]
	s_and_b64 s[0:1], s[0:1], exec
	s_or_saveexec_b64 s[18:19], s[18:19]
	v_mov_b32_e32 v52, s22
	s_xor_b64 exec, exec, s[18:19]
	s_cbranch_execz .LBB296_1219
.LBB296_1606:                           ;   in Loop: Header=BB296_818 Depth=1
	v_cmp_ne_u16_sdwa s[20:21], v28, v29 src0_sel:BYTE_0 src1_sel:DWORD
	s_andn2_b64 s[0:1], s[0:1], exec
	s_and_b64 s[20:21], s[20:21], exec
	v_mov_b32_e32 v52, 0
	s_or_b64 s[0:1], s[0:1], s[20:21]
	s_or_b64 exec, exec, s[18:19]
	s_and_saveexec_b64 s[18:19], s[0:1]
	s_cbranch_execnz .LBB296_1220
	s_branch .LBB296_1221
.LBB296_1607:                           ;   in Loop: Header=BB296_818 Depth=1
	v_cmp_eq_u16_e64 s[0:1], s15, v28
	s_mov_b64 s[18:19], -1
                                        ; implicit-def: $sgpr29
	s_and_saveexec_b64 s[22:23], s[0:1]
; %bb.1608:                             ;   in Loop: Header=BB296_818 Depth=1
	s_mov_b32 s29, 0x7fc02000
	s_xor_b64 s[18:19], exec, -1
; %bb.1609:                             ;   in Loop: Header=BB296_818 Depth=1
	s_or_b64 exec, exec, s[22:23]
	s_and_b64 s[18:19], s[18:19], exec
	s_or_saveexec_b64 s[20:21], s[20:21]
	v_mov_b32_e32 v42, s29
	s_xor_b64 exec, exec, s[20:21]
	s_cbranch_execz .LBB296_1223
.LBB296_1610:                           ;   in Loop: Header=BB296_818 Depth=1
	v_cmp_ne_u16_e64 s[0:1], 0, v28
	s_andn2_b64 s[18:19], s[18:19], exec
	s_and_b64 s[0:1], s[0:1], exec
	v_mov_b32_e32 v42, 0
	s_or_b64 s[18:19], s[18:19], s[0:1]
	s_or_b64 exec, exec, s[20:21]
	s_and_saveexec_b64 s[20:21], s[18:19]
	s_cbranch_execnz .LBB296_1224
	s_branch .LBB296_1225
.LBB296_1611:
	s_or_b64 exec, exec, s[8:9]
	v_accvgpr_read_b32 v30, a15
	v_accvgpr_read_b32 v14, a18
	;; [unrolled: 1-line block ×3, first 2 shown]
.LBB296_1612:
	s_or_b64 exec, exec, s[6:7]
	ds_bpermute_b32 v4, v14, v34
	ds_bpermute_b32 v5, v14, v35
	v_mov_b32_e32 v25, v14
	ds_bpermute_b32 v6, v14, v2
	ds_bpermute_b32 v7, v14, v3
	;; [unrolled: 1-line block ×3, first 2 shown]
	s_waitcnt lgkmcnt(0)
	v_pk_add_f32 v[4:5], v[34:35], v[4:5]
	ds_bpermute_b32 v10, v15, v4
	ds_bpermute_b32 v11, v15, v5
	v_mov_b32_e32 v26, v15
	ds_bpermute_b32 v15, v25, v13
	v_pk_add_f32 v[2:3], v[2:3], v[6:7]
	s_waitcnt lgkmcnt(0)
	v_pk_add_f32 v[6:7], v[4:5], v[10:11]
	ds_bpermute_b32 v10, v25, v8
	v_pk_add_f32 v[4:5], v[12:13], v[14:15]
	ds_bpermute_b32 v11, v25, v9
	ds_bpermute_b32 v14, v26, v4
	;; [unrolled: 1-line block ×3, first 2 shown]
	s_barrier
	s_waitcnt lgkmcnt(0)
	v_pk_add_f32 v[8:9], v[8:9], v[10:11]
	ds_bpermute_b32 v12, v25, v48
	v_pk_add_f32 v[10:11], v[4:5], v[14:15]
	scratch_load_dword v4, off, s32 offset:372 ; 4-byte Folded Reload
	ds_bpermute_b32 v13, v25, v49
	ds_bpermute_b32 v24, v25, v0
	;; [unrolled: 1-line block ×5, first 2 shown]
	s_waitcnt lgkmcnt(4)
	v_pk_add_f32 v[20:21], v[48:49], v[12:13]
	ds_bpermute_b32 v18, v26, v8
	ds_bpermute_b32 v19, v26, v9
	;; [unrolled: 1-line block ×4, first 2 shown]
	s_waitcnt lgkmcnt(6)
	v_pk_add_f32 v[0:1], v[0:1], v[24:25]
	ds_bpermute_b32 v14, v26, v0
	ds_bpermute_b32 v15, v26, v1
	s_waitcnt lgkmcnt(6)
	v_pk_add_f32 v[12:13], v[2:3], v[16:17]
	s_waitcnt lgkmcnt(4)
	v_pk_add_f32 v[8:9], v[8:9], v[18:19]
	s_waitcnt lgkmcnt(2)
	v_pk_add_f32 v[2:3], v[20:21], v[22:23]
	s_waitcnt vmcnt(0)
	v_and_b32_e32 v4, 0x3c3, v4
	v_cmp_ne_u32_e32 vcc, 64, v4
	s_and_saveexec_b64 s[0:1], vcc
	s_xor_b64 s[0:1], exec, s[0:1]
; %bb.1613:
                                        ; implicit-def: $vgpr30
; %bb.1614:
	s_or_saveexec_b64 s[0:1], s[0:1]
	scratch_load_dwordx2 v[16:17], off, s32 offset:440 ; 8-byte Folded Reload
	s_waitcnt lgkmcnt(0)
	v_pk_add_f32 v[0:1], v[0:1], v[14:15]
	s_xor_b64 exec, exec, s[0:1]
	s_cbranch_execz .LBB296_1616
; %bb.1615:
	s_load_dword s3, s[4:5], 0x0
	s_waitcnt lgkmcnt(0)
	v_add_u32_e32 v5, s3, v30
	ds_write2_b32 v5, v6, v7 offset1:16
	ds_write2_b32 v5, v12, v13 offset0:32 offset1:48
	ds_write2_b32 v5, v10, v11 offset0:64 offset1:80
	;; [unrolled: 1-line block ×5, first 2 shown]
.LBB296_1616:
	s_or_b64 exec, exec, s[0:1]
	s_waitcnt lgkmcnt(0)
	s_barrier
	scratch_load_dword v5, off, s32 offset:372 ; 4-byte Folded Reload
	s_waitcnt vmcnt(0)
	v_cmp_gt_u32_e32 vcc, 64, v5
	s_and_saveexec_b64 s[0:1], vcc
	s_cbranch_execz .LBB296_1631
; %bb.1617:
	v_accvgpr_read_b32 v5, a20
	v_cmp_eq_u32_e32 vcc, 0, v5
	scratch_load_dword v5, off, s32 offset:372 ; 4-byte Folded Reload
	s_waitcnt vmcnt(0)
	v_lshrrev_b32_e32 v5, 2, v5
	s_and_saveexec_b64 s[6:7], vcc
	s_cbranch_execnz .LBB296_1634
; %bb.1618:
	s_or_b64 exec, exec, s[6:7]
	s_and_saveexec_b64 s[6:7], vcc
	s_cbranch_execnz .LBB296_1635
.LBB296_1619:
	s_or_b64 exec, exec, s[6:7]
	s_and_saveexec_b64 s[6:7], vcc
	s_cbranch_execnz .LBB296_1636
.LBB296_1620:
	s_or_b64 exec, exec, s[6:7]
	s_and_saveexec_b64 s[6:7], vcc
	s_cbranch_execnz .LBB296_1637
.LBB296_1621:
	s_or_b64 exec, exec, s[6:7]
	s_and_saveexec_b64 s[6:7], vcc
	s_cbranch_execnz .LBB296_1638
.LBB296_1622:
	s_or_b64 exec, exec, s[6:7]
	s_and_saveexec_b64 s[6:7], vcc
	s_cbranch_execnz .LBB296_1639
.LBB296_1623:
	s_or_b64 exec, exec, s[6:7]
	s_and_saveexec_b64 s[6:7], vcc
	s_cbranch_execnz .LBB296_1640
.LBB296_1624:
	s_or_b64 exec, exec, s[6:7]
	s_and_saveexec_b64 s[6:7], vcc
	s_cbranch_execnz .LBB296_1641
.LBB296_1625:
	s_or_b64 exec, exec, s[6:7]
	s_and_saveexec_b64 s[6:7], vcc
	s_cbranch_execnz .LBB296_1642
.LBB296_1626:
	s_or_b64 exec, exec, s[6:7]
	s_and_saveexec_b64 s[6:7], vcc
	s_cbranch_execnz .LBB296_1643
.LBB296_1627:
	s_or_b64 exec, exec, s[6:7]
	s_and_saveexec_b64 s[6:7], vcc
	s_cbranch_execnz .LBB296_1644
.LBB296_1628:
	s_or_b64 exec, exec, s[6:7]
	s_and_saveexec_b64 s[6:7], vcc
	s_cbranch_execz .LBB296_1630
.LBB296_1629:
	s_load_dword s3, s[4:5], 0x0
	s_waitcnt lgkmcnt(0)
	v_lshl_add_u32 v5, v5, 2, s3
	ds_read_b32 v5, v5 offset:704
	s_waitcnt lgkmcnt(0)
	v_add_f32_e32 v1, v5, v1
.LBB296_1630:
	s_or_b64 exec, exec, s[6:7]
.LBB296_1631:
	s_or_b64 exec, exec, s[0:1]
	v_cmp_eq_u32_e32 vcc, 0, v4
	s_barrier
	s_and_b64 exec, exec, vcc
	s_cbranch_execz .LBB296_1633
; %bb.1632:
	scratch_load_dword v14, off, s32 offset:372 ; 4-byte Folded Reload
	s_mul_i32 s0, s2, 0xc0
	s_mul_i32 s2, s16, s17
	;; [unrolled: 1-line block ×3, first 2 shown]
	s_ashr_i32 s1, s0, 31
	s_ashr_i32 s3, s2, 31
	;; [unrolled: 1-line block ×3, first 2 shown]
	s_lshl_b64 s[0:1], s[0:1], 1
	s_lshl_b64 s[2:3], s[2:3], 1
	;; [unrolled: 1-line block ×3, first 2 shown]
	s_add_u32 s2, s4, s2
	s_addc_u32 s3, s5, s3
	s_add_u32 s0, s2, s0
	s_addc_u32 s1, s3, s1
	v_lshl_add_u64 v[4:5], s[0:1], 0, v[16:17]
	v_mov_b32_e32 v15, 0
	;;#ASMSTART
	v_cvt_f16_f32 v6, v6;

	;;#ASMEND
	s_waitcnt vmcnt(0)
	v_lshrrev_b32_e32 v14, 1, v14
	v_lshl_add_u64 v[4:5], v[4:5], 0, v[14:15]
	flat_store_short v[4:5], v6
	;;#ASMSTART
	v_cvt_f16_f32 v6, v7;

	;;#ASMEND
	flat_store_short v[4:5], v6 offset:32
	;;#ASMSTART
	v_cvt_f16_f32 v6, v12;

	;;#ASMEND
	flat_store_short v[4:5], v6 offset:64
	;; [unrolled: 5-line block ×11, first 2 shown]
.LBB296_1633:
	s_or_b64 exec, exec, s[10:11]
	scratch_load_dword a63, off, s32 offset:8 ; 4-byte Folded Reload
	scratch_load_dword a62, off, s32 offset:12 ; 4-byte Folded Reload
	scratch_load_dword a61, off, s32 offset:16 ; 4-byte Folded Reload
	scratch_load_dword a60, off, s32 offset:20 ; 4-byte Folded Reload
	scratch_load_dword a59, off, s32 offset:24 ; 4-byte Folded Reload
	scratch_load_dword a58, off, s32 offset:28 ; 4-byte Folded Reload
	scratch_load_dword a57, off, s32 offset:32 ; 4-byte Folded Reload
	scratch_load_dword a56, off, s32 offset:36 ; 4-byte Folded Reload
	scratch_load_dword a55, off, s32 offset:40 ; 4-byte Folded Reload
	scratch_load_dword a54, off, s32 offset:44 ; 4-byte Folded Reload
	scratch_load_dword a53, off, s32 offset:48 ; 4-byte Folded Reload
	scratch_load_dword a52, off, s32 offset:52 ; 4-byte Folded Reload
	scratch_load_dword a51, off, s32 offset:56 ; 4-byte Folded Reload
	scratch_load_dword a50, off, s32 offset:60 ; 4-byte Folded Reload
	scratch_load_dword a49, off, s32 offset:64 ; 4-byte Folded Reload
	scratch_load_dword a48, off, s32 offset:68 ; 4-byte Folded Reload
	scratch_load_dword a47, off, s32 offset:72 ; 4-byte Folded Reload
	scratch_load_dword a46, off, s32 offset:76 ; 4-byte Folded Reload
	scratch_load_dword a45, off, s32 offset:80 ; 4-byte Folded Reload
	scratch_load_dword a44, off, s32 offset:84 ; 4-byte Folded Reload
	scratch_load_dword a43, off, s32 offset:88 ; 4-byte Folded Reload
	scratch_load_dword a42, off, s32 offset:92 ; 4-byte Folded Reload
	scratch_load_dword a41, off, s32 offset:96 ; 4-byte Folded Reload
	scratch_load_dword a40, off, s32 offset:100 ; 4-byte Folded Reload
	scratch_load_dword a39, off, s32 offset:104 ; 4-byte Folded Reload
	scratch_load_dword a38, off, s32 offset:108 ; 4-byte Folded Reload
	scratch_load_dword a37, off, s32 offset:112 ; 4-byte Folded Reload
	scratch_load_dword a36, off, s32 offset:116 ; 4-byte Folded Reload
	scratch_load_dword a35, off, s32 offset:120 ; 4-byte Folded Reload
	scratch_load_dword a34, off, s32 offset:124 ; 4-byte Folded Reload
	scratch_load_dword a33, off, s32 offset:128 ; 4-byte Folded Reload
	scratch_load_dword a32, off, s32 offset:132 ; 4-byte Folded Reload
	scratch_load_dword v62, off, s32 offset:136 ; 4-byte Folded Reload
	scratch_load_dword v61, off, s32 offset:140 ; 4-byte Folded Reload
	scratch_load_dword v60, off, s32 offset:144 ; 4-byte Folded Reload
	scratch_load_dword v59, off, s32 offset:148 ; 4-byte Folded Reload
	scratch_load_dword v58, off, s32 offset:152 ; 4-byte Folded Reload
	scratch_load_dword v57, off, s32 offset:156 ; 4-byte Folded Reload
	scratch_load_dword v56, off, s32 offset:160 ; 4-byte Folded Reload
	scratch_load_dword v47, off, s32 offset:164 ; 4-byte Folded Reload
	scratch_load_dword v46, off, s32 offset:168 ; 4-byte Folded Reload
	scratch_load_dword v45, off, s32 offset:172 ; 4-byte Folded Reload
	scratch_load_dword v44, off, s32 offset:176 ; 4-byte Folded Reload
	scratch_load_dword v43, off, s32 offset:180 ; 4-byte Folded Reload
	scratch_load_dword v42, off, s32 offset:184 ; 4-byte Folded Reload
	scratch_load_dword v41, off, s32 offset:188 ; 4-byte Folded Reload
	scratch_load_dword v40, off, s32 offset:192 ; 4-byte Folded Reload
	v_readlane_b32 s30, v63, 14
	v_readlane_b32 s31, v63, 15
	;; [unrolled: 1-line block ×16, first 2 shown]
	s_or_saveexec_b64 s[0:1], -1
	scratch_load_dword v63, off, s32 offset:512 ; 4-byte Folded Reload
	s_mov_b64 exec, s[0:1]
	s_waitcnt vmcnt(0) lgkmcnt(0)
	s_setpc_b64 s[30:31]
.LBB296_1634:
	s_load_dword s3, s[4:5], 0x0
	s_waitcnt lgkmcnt(0)
	v_lshl_add_u32 v14, v5, 2, s3
	ds_read_b32 v14, v14
	s_waitcnt lgkmcnt(0)
	v_add_f32_e32 v6, v14, v6
	s_or_b64 exec, exec, s[6:7]
	s_and_saveexec_b64 s[6:7], vcc
	s_cbranch_execz .LBB296_1619
.LBB296_1635:
	s_load_dword s3, s[4:5], 0x0
	s_waitcnt lgkmcnt(0)
	v_lshl_add_u32 v14, v5, 2, s3
	ds_read_b32 v14, v14 offset:64
	s_waitcnt lgkmcnt(0)
	v_add_f32_e32 v7, v14, v7
	s_or_b64 exec, exec, s[6:7]
	s_and_saveexec_b64 s[6:7], vcc
	s_cbranch_execz .LBB296_1620
.LBB296_1636:
	s_load_dword s3, s[4:5], 0x0
	s_waitcnt lgkmcnt(0)
	v_lshl_add_u32 v14, v5, 2, s3
	ds_read_b32 v14, v14 offset:128
	s_waitcnt lgkmcnt(0)
	v_add_f32_e32 v12, v14, v12
	s_or_b64 exec, exec, s[6:7]
	s_and_saveexec_b64 s[6:7], vcc
	s_cbranch_execz .LBB296_1621
.LBB296_1637:
	s_load_dword s3, s[4:5], 0x0
	s_waitcnt lgkmcnt(0)
	v_lshl_add_u32 v14, v5, 2, s3
	ds_read_b32 v14, v14 offset:192
	s_waitcnt lgkmcnt(0)
	v_add_f32_e32 v13, v14, v13
	s_or_b64 exec, exec, s[6:7]
	s_and_saveexec_b64 s[6:7], vcc
	s_cbranch_execz .LBB296_1622
.LBB296_1638:
	s_load_dword s3, s[4:5], 0x0
	s_waitcnt lgkmcnt(0)
	v_lshl_add_u32 v14, v5, 2, s3
	ds_read_b32 v14, v14 offset:256
	s_waitcnt lgkmcnt(0)
	v_add_f32_e32 v10, v14, v10
	s_or_b64 exec, exec, s[6:7]
	s_and_saveexec_b64 s[6:7], vcc
	s_cbranch_execz .LBB296_1623
.LBB296_1639:
	s_load_dword s3, s[4:5], 0x0
	s_waitcnt lgkmcnt(0)
	v_lshl_add_u32 v14, v5, 2, s3
	ds_read_b32 v14, v14 offset:320
	s_waitcnt lgkmcnt(0)
	v_add_f32_e32 v11, v14, v11
	s_or_b64 exec, exec, s[6:7]
	s_and_saveexec_b64 s[6:7], vcc
	s_cbranch_execz .LBB296_1624
.LBB296_1640:
	s_load_dword s3, s[4:5], 0x0
	s_waitcnt lgkmcnt(0)
	v_lshl_add_u32 v14, v5, 2, s3
	ds_read_b32 v14, v14 offset:384
	s_waitcnt lgkmcnt(0)
	v_add_f32_e32 v8, v14, v8
	s_or_b64 exec, exec, s[6:7]
	s_and_saveexec_b64 s[6:7], vcc
	s_cbranch_execz .LBB296_1625
.LBB296_1641:
	s_load_dword s3, s[4:5], 0x0
	s_waitcnt lgkmcnt(0)
	v_lshl_add_u32 v14, v5, 2, s3
	ds_read_b32 v14, v14 offset:448
	s_waitcnt lgkmcnt(0)
	v_add_f32_e32 v9, v14, v9
	s_or_b64 exec, exec, s[6:7]
	s_and_saveexec_b64 s[6:7], vcc
	s_cbranch_execz .LBB296_1626
.LBB296_1642:
	s_load_dword s3, s[4:5], 0x0
	s_waitcnt lgkmcnt(0)
	v_lshl_add_u32 v14, v5, 2, s3
	ds_read_b32 v14, v14 offset:512
	s_waitcnt lgkmcnt(0)
	v_add_f32_e32 v2, v14, v2
	s_or_b64 exec, exec, s[6:7]
	s_and_saveexec_b64 s[6:7], vcc
	s_cbranch_execz .LBB296_1627
.LBB296_1643:
	s_load_dword s3, s[4:5], 0x0
	s_waitcnt lgkmcnt(0)
	v_lshl_add_u32 v14, v5, 2, s3
	ds_read_b32 v14, v14 offset:576
	s_waitcnt lgkmcnt(0)
	v_add_f32_e32 v3, v14, v3
	s_or_b64 exec, exec, s[6:7]
	s_and_saveexec_b64 s[6:7], vcc
	s_cbranch_execz .LBB296_1628
.LBB296_1644:
	s_load_dword s3, s[4:5], 0x0
	s_waitcnt lgkmcnt(0)
	v_lshl_add_u32 v14, v5, 2, s3
	ds_read_b32 v14, v14 offset:640
	s_waitcnt lgkmcnt(0)
	v_add_f32_e32 v0, v14, v0
	s_or_b64 exec, exec, s[6:7]
	s_and_saveexec_b64 s[6:7], vcc
	s_cbranch_execnz .LBB296_1629
	s_branch .LBB296_1630
.Lfunc_end296:
	.size	_ZN4vllm22paged_attention_kernelIthLi192ELi32ELi128ELNS_18Fp8KVCacheDataTypeE1ELb1ELi512EEEvPfS2_PT_PKS3_PKT0_S9_ifPKiSB_iPKfiiiSD_SD_iiiii, .Lfunc_end296-_ZN4vllm22paged_attention_kernelIthLi192ELi32ELi128ELNS_18Fp8KVCacheDataTypeE1ELb1ELi512EEEvPfS2_PT_PKS3_PKT0_S9_ifPKiSB_iPKfiiiSD_SD_iiiii
                                        ; -- End function
	.section	.AMDGPU.csdata,"",@progbits
; Function info:
; codeLenInByte = 66648
; NumSgprs: 54
; NumVgprs: 64
; NumAgprs: 64
; TotalNumVgprs: 128
; ScratchSize: 520
; MemoryBound: 0
	.section	.text._ZN4vllm25paged_attention_v2_kernelIthLi192ELi32ELi128ELNS_18Fp8KVCacheDataTypeE1ELb1ELi512EEEvPfS2_PT_PKS3_PKT0_S9_ifPKiSB_iPKfiiiSD_SD_iiiii,"axG",@progbits,_ZN4vllm25paged_attention_v2_kernelIthLi192ELi32ELi128ELNS_18Fp8KVCacheDataTypeE1ELb1ELi512EEEvPfS2_PT_PKS3_PKT0_S9_ifPKiSB_iPKfiiiSD_SD_iiiii,comdat
	.protected	_ZN4vllm25paged_attention_v2_kernelIthLi192ELi32ELi128ELNS_18Fp8KVCacheDataTypeE1ELb1ELi512EEEvPfS2_PT_PKS3_PKT0_S9_ifPKiSB_iPKfiiiSD_SD_iiiii ; -- Begin function _ZN4vllm25paged_attention_v2_kernelIthLi192ELi32ELi128ELNS_18Fp8KVCacheDataTypeE1ELb1ELi512EEEvPfS2_PT_PKS3_PKT0_S9_ifPKiSB_iPKfiiiSD_SD_iiiii
	.globl	_ZN4vllm25paged_attention_v2_kernelIthLi192ELi32ELi128ELNS_18Fp8KVCacheDataTypeE1ELb1ELi512EEEvPfS2_PT_PKS3_PKT0_S9_ifPKiSB_iPKfiiiSD_SD_iiiii
	.p2align	8
	.type	_ZN4vllm25paged_attention_v2_kernelIthLi192ELi32ELi128ELNS_18Fp8KVCacheDataTypeE1ELb1ELi512EEEvPfS2_PT_PKS3_PKT0_S9_ifPKiSB_iPKfiiiSD_SD_iiiii,@function
_ZN4vllm25paged_attention_v2_kernelIthLi192ELi32ELi128ELNS_18Fp8KVCacheDataTypeE1ELb1ELi512EEEvPfS2_PT_PKS3_PKT0_S9_ifPKiSB_iPKfiiiSD_SD_iiiii: ; @_ZN4vllm25paged_attention_v2_kernelIthLi192ELi32ELi128ELNS_18Fp8KVCacheDataTypeE1ELb1ELi512EEEvPfS2_PT_PKS3_PKT0_S9_ifPKiSB_iPKfiiiSD_SD_iiiii
; %bb.0:
	s_load_dwordx8 s[24:31], s[0:1], 0x0
	s_load_dwordx8 s[16:23], s[0:1], 0x20
	s_load_dwordx2 s[6:7], s[0:1], 0x40
	s_load_dwordx4 s[44:47], s[0:1], 0x78
	s_load_dword s5, s[0:1], 0x88
	s_load_dwordx2 s[10:11], s[0:1], 0x50
	s_load_dword s33, s[0:1], 0x48
	s_load_dwordx8 s[36:43], s[0:1], 0x58
	s_mov_b32 s32, 0
	s_waitcnt lgkmcnt(0)
	v_mov_b32_e32 v2, s47
	v_mov_b32_e32 v3, s5
	s_add_u32 s8, s0, 0x90
	scratch_store_dwordx2 off, v[2:3], s32
	s_addc_u32 s9, s1, 0
	s_mov_b32 s12, s2
	s_mov_b32 s13, s3
	;; [unrolled: 1-line block ×4, first 2 shown]
	v_mov_b32_e32 v31, v0
	v_mov_b32_e32 v0, s24
	;; [unrolled: 1-line block ×32, first 2 shown]
	s_getpc_b64 s[0:1]
	s_add_u32 s0, s0, _ZN4vllm22paged_attention_kernelIthLi192ELi32ELi128ELNS_18Fp8KVCacheDataTypeE1ELb1ELi512EEEvPfS2_PT_PKS3_PKT0_S9_ifPKiSB_iPKfiiiSD_SD_iiiii@rel32@lo+4
	s_addc_u32 s1, s1, _ZN4vllm22paged_attention_kernelIthLi192ELi32ELi128ELNS_18Fp8KVCacheDataTypeE1ELb1ELi512EEEvPfS2_PT_PKS3_PKT0_S9_ifPKiSB_iPKfiiiSD_SD_iiiii@rel32@hi+12
	s_swappc_b64 s[30:31], s[0:1]
	s_endpgm
	.section	.rodata,"a",@progbits
	.p2align	6, 0x0
	.amdhsa_kernel _ZN4vllm25paged_attention_v2_kernelIthLi192ELi32ELi128ELNS_18Fp8KVCacheDataTypeE1ELb1ELi512EEEvPfS2_PT_PKS3_PKT0_S9_ifPKiSB_iPKfiiiSD_SD_iiiii
		.amdhsa_group_segment_fixed_size 400
		.amdhsa_private_segment_fixed_size 520
		.amdhsa_kernarg_size 400
		.amdhsa_user_sgpr_count 2
		.amdhsa_user_sgpr_dispatch_ptr 0
		.amdhsa_user_sgpr_queue_ptr 0
		.amdhsa_user_sgpr_kernarg_segment_ptr 1
		.amdhsa_user_sgpr_dispatch_id 0
		.amdhsa_user_sgpr_kernarg_preload_length 0
		.amdhsa_user_sgpr_kernarg_preload_offset 0
		.amdhsa_user_sgpr_private_segment_size 0
		.amdhsa_uses_dynamic_stack 0
		.amdhsa_enable_private_segment 1
		.amdhsa_system_sgpr_workgroup_id_x 1
		.amdhsa_system_sgpr_workgroup_id_y 1
		.amdhsa_system_sgpr_workgroup_id_z 1
		.amdhsa_system_sgpr_workgroup_info 0
		.amdhsa_system_vgpr_workitem_id 0
		.amdhsa_next_free_vgpr 128
		.amdhsa_next_free_sgpr 48
		.amdhsa_accum_offset 64
		.amdhsa_reserve_vcc 1
		.amdhsa_float_round_mode_32 0
		.amdhsa_float_round_mode_16_64 0
		.amdhsa_float_denorm_mode_32 3
		.amdhsa_float_denorm_mode_16_64 3
		.amdhsa_dx10_clamp 1
		.amdhsa_ieee_mode 1
		.amdhsa_fp16_overflow 0
		.amdhsa_tg_split 0
		.amdhsa_exception_fp_ieee_invalid_op 0
		.amdhsa_exception_fp_denorm_src 0
		.amdhsa_exception_fp_ieee_div_zero 0
		.amdhsa_exception_fp_ieee_overflow 0
		.amdhsa_exception_fp_ieee_underflow 0
		.amdhsa_exception_fp_ieee_inexact 0
		.amdhsa_exception_int_div_zero 0
	.end_amdhsa_kernel
	.section	.text._ZN4vllm25paged_attention_v2_kernelIthLi192ELi32ELi128ELNS_18Fp8KVCacheDataTypeE1ELb1ELi512EEEvPfS2_PT_PKS3_PKT0_S9_ifPKiSB_iPKfiiiSD_SD_iiiii,"axG",@progbits,_ZN4vllm25paged_attention_v2_kernelIthLi192ELi32ELi128ELNS_18Fp8KVCacheDataTypeE1ELb1ELi512EEEvPfS2_PT_PKS3_PKT0_S9_ifPKiSB_iPKfiiiSD_SD_iiiii,comdat
.Lfunc_end297:
	.size	_ZN4vllm25paged_attention_v2_kernelIthLi192ELi32ELi128ELNS_18Fp8KVCacheDataTypeE1ELb1ELi512EEEvPfS2_PT_PKS3_PKT0_S9_ifPKiSB_iPKfiiiSD_SD_iiiii, .Lfunc_end297-_ZN4vllm25paged_attention_v2_kernelIthLi192ELi32ELi128ELNS_18Fp8KVCacheDataTypeE1ELb1ELi512EEEvPfS2_PT_PKS3_PKT0_S9_ifPKiSB_iPKfiiiSD_SD_iiiii
                                        ; -- End function
	.section	.AMDGPU.csdata,"",@progbits
; Kernel info:
; codeLenInByte = 272
; NumSgprs: 54
; NumVgprs: 64
; NumAgprs: 64
; TotalNumVgprs: 128
; ScratchSize: 520
; MemoryBound: 0
; FloatMode: 240
; IeeeMode: 1
; LDSByteSize: 400 bytes/workgroup (compile time only)
; SGPRBlocks: 6
; VGPRBlocks: 15
; NumSGPRsForWavesPerEU: 54
; NumVGPRsForWavesPerEU: 128
; AccumOffset: 64
; Occupancy: 4
; WaveLimiterHint : 1
; COMPUTE_PGM_RSRC2:SCRATCH_EN: 1
; COMPUTE_PGM_RSRC2:USER_SGPR: 2
; COMPUTE_PGM_RSRC2:TRAP_HANDLER: 0
; COMPUTE_PGM_RSRC2:TGID_X_EN: 1
; COMPUTE_PGM_RSRC2:TGID_Y_EN: 1
; COMPUTE_PGM_RSRC2:TGID_Z_EN: 1
; COMPUTE_PGM_RSRC2:TIDIG_COMP_CNT: 0
; COMPUTE_PGM_RSRC3_GFX90A:ACCUM_OFFSET: 15
; COMPUTE_PGM_RSRC3_GFX90A:TG_SPLIT: 0
	.text
	.p2align	2                               ; -- Begin function _ZN4vllm22paged_attention_kernelIthLi256ELi32ELi128ELNS_18Fp8KVCacheDataTypeE1ELb1ELi512EEEvPfS2_PT_PKS3_PKT0_S9_ifPKiSB_iPKfiiiSD_SD_iiiii
	.type	_ZN4vllm22paged_attention_kernelIthLi256ELi32ELi128ELNS_18Fp8KVCacheDataTypeE1ELb1ELi512EEEvPfS2_PT_PKS3_PKT0_S9_ifPKiSB_iPKfiiiSD_SD_iiiii,@function
_ZN4vllm22paged_attention_kernelIthLi256ELi32ELi128ELNS_18Fp8KVCacheDataTypeE1ELb1ELi512EEEvPfS2_PT_PKS3_PKT0_S9_ifPKiSB_iPKfiiiSD_SD_iiiii: ; @_ZN4vllm22paged_attention_kernelIthLi256ELi32ELi128ELNS_18Fp8KVCacheDataTypeE1ELb1ELi512EEEvPfS2_PT_PKS3_PKT0_S9_ifPKiSB_iPKfiiiSD_SD_iiiii
; %bb.0:
	s_waitcnt vmcnt(0) expcnt(0) lgkmcnt(0)
	s_or_saveexec_b64 s[0:1], -1
	scratch_store_dword off, v63, s32 offset:736 ; 4-byte Folded Spill
	s_mov_b64 exec, s[0:1]
	scratch_store_dword off, v40, s32 offset:192 ; 4-byte Folded Spill
	scratch_store_dword off, v41, s32 offset:188 ; 4-byte Folded Spill
	;; [unrolled: 1-line block ×47, first 2 shown]
	v_writelane_b32 v63, s34, 0
	v_writelane_b32 v63, s35, 1
	;; [unrolled: 1-line block ×25, first 2 shown]
	s_nop 1
	v_writelane_b32 v63, s31, 25
	s_mov_b32 s20, s13
	s_ashr_i32 s21, s13, 31
	scratch_store_dword off, v30, s32 offset:652 ; 4-byte Folded Spill
	scratch_store_dwordx2 off, v[26:27], s32 offset:196 ; 8-byte Folded Spill
	scratch_store_dwordx2 off, v[24:25], s32 offset:604 ; 8-byte Folded Spill
	;; [unrolled: 1-line block ×4, first 2 shown]
	scratch_store_dword off, v13, s32 offset:640 ; 4-byte Folded Spill
	scratch_store_dwordx2 off, v[10:11], s32 offset:672 ; 8-byte Folded Spill
	scratch_store_dwordx2 off, v[4:5], s32 offset:664 ; 8-byte Folded Spill
	v_lshl_add_u64 v[4:5], s[20:21], 2, v[16:17]
	scratch_load_dword v13, off, s32 offset:4
	s_nop 0
	flat_load_dword v4, v[4:5]
	s_nop 0
	scratch_load_dword v14, off, s32
	s_lshl_b32 s21, s14, 9
	v_mov_b32_e32 v33, v20
	v_mov_b32_e32 v32, v19
	s_waitcnt vmcnt(0) lgkmcnt(0)
	v_mov_b32_e32 v10, v4
	v_cmp_lt_i32_e32 vcc, s21, v4
	scratch_store_dwordx2 off, v[10:11], s32 offset:204 ; 8-byte Folded Spill
	s_and_saveexec_b64 s[10:11], vcc
	s_cbranch_execz .LBB298_2157
; %bb.1:
	scratch_store_dwordx2 off, v[2:3], s32 offset:688 ; 8-byte Folded Spill
	scratch_store_dwordx2 off, v[0:1], s32 offset:712 ; 8-byte Folded Spill
	v_sub_u32_e32 v2, 0, v12
	v_max_i32_e32 v2, v12, v2
	v_cvt_f32_u32_e32 v3, v2
	s_load_dword s0, s[8:9], 0x10
	s_load_dword s2, s[8:9], 0x0
	v_sub_u32_e32 v5, 0, v2
	s_mov_b32 s18, s15
	v_rcp_iflag_f32_e32 v3, v3
	s_waitcnt lgkmcnt(0)
	s_lshr_b32 s0, s0, 16
	s_cmp_lg_u32 s0, 0
	s_cselect_b64 s[0:1], -1, 0
	v_mul_f32_e32 v3, 0x4f7ffffe, v3
	v_cvt_u32_f32_e32 v3, v3
	s_cmp_lg_u64 s[0:1], 0
	s_addc_u32 s15, s2, 0
	s_abs_i32 s0, s15
	v_mul_lo_u32 v5, v5, v3
	v_mul_hi_u32 v5, v3, v5
	v_add_u32_e32 v3, v3, v5
	v_mul_hi_u32 v3, s0, v3
	v_mul_lo_u32 v5, v3, v2
	v_sub_u32_e32 v5, s0, v5
	v_add_u32_e32 v10, 1, v3
	v_cmp_ge_u32_e32 vcc, v5, v2
	v_xor_b32_e32 v4, s15, v12
	v_ashrrev_i32_e32 v4, 31, v4
	v_cndmask_b32_e32 v3, v3, v10, vcc
	v_sub_u32_e32 v10, v5, v2
	v_cndmask_b32_e32 v5, v5, v10, vcc
	v_add_u32_e32 v10, 1, v3
	v_cmp_ge_u32_e32 vcc, v5, v2
	s_abs_i32 s4, s12
	v_mov_b32_e32 v0, 0
	v_cndmask_b32_e32 v2, v3, v10, vcc
	v_xor_b32_e32 v2, v2, v4
	v_sub_u32_e32 v2, v2, v4
	v_sub_u32_e32 v3, 0, v2
	v_max_i32_e32 v3, v2, v3
	v_cvt_f32_u32_e32 v4, v3
	v_sub_u32_e32 v5, 0, v3
	v_cmp_ne_u64_e32 vcc, 0, v[32:33]
	scratch_store_dword off, v0, s32 offset:636 ; 4-byte Folded Spill
	v_rcp_iflag_f32_e32 v4, v4
	s_nop 0
	v_mul_f32_e32 v4, 0x4f7ffffe, v4
	v_cvt_u32_f32_e32 v4, v4
	v_mul_lo_u32 v5, v5, v4
	v_mul_hi_u32 v5, v4, v5
	v_add_u32_e32 v4, v4, v5
	v_mad_u64_u32 v[4:5], s[0:1], s4, v4, 0
	s_and_saveexec_b64 s[0:1], vcc
	s_cbranch_execz .LBB298_3
; %bb.2:
	s_ashr_i32 s13, s12, 31
	v_lshl_add_u64 v[10:11], s[12:13], 2, v[32:33]
	flat_load_dword v0, v[10:11]
	s_waitcnt vmcnt(0) lgkmcnt(0)
	scratch_store_dword off, v0, s32 offset:636 ; 4-byte Folded Spill
.LBB298_3:
	s_or_b64 exec, exec, s[0:1]
	v_and_b32_e32 v10, 0x3ff, v31
	s_ashr_i32 s5, s12, 31
	v_ashrrev_i32_e32 v4, 31, v2
	v_and_b32_e32 v2, 1, v10
	s_lshl_b32 s16, s12, 8
	v_cmp_gt_u32_e64 s[0:1], 64, v10
	v_lshlrev_b32_e32 v0, 3, v10
	scratch_store_dword off, v10, s32 offset:600 ; 4-byte Folded Spill
	scratch_store_dwordx2 off, v[0:1], s32 offset:680 ; 8-byte Folded Spill
	s_and_saveexec_b64 s[2:3], s[0:1]
	s_cbranch_execz .LBB298_5
; %bb.4:
	scratch_load_dwordx2 v[0:1], off, s32 offset:680 ; 8-byte Folded Reload
	v_mul_lo_u32 v10, s20, v21
	v_ashrrev_i32_e32 v11, 31, v10
	v_lshl_add_u64 v[6:7], v[10:11], 1, v[6:7]
	s_ashr_i32 s17, s16, 31
	v_lshl_add_u64 v[6:7], s[16:17], 1, v[6:7]
	s_waitcnt vmcnt(0)
	v_mov_b32_e32 v1, 0
	v_mov_b32_e32 v10, v0
	scratch_store_dwordx2 off, v[10:11], s32 offset:680 ; 8-byte Folded Spill
	v_lshl_add_u64 v[6:7], v[6:7], 0, v[0:1]
	flat_load_dwordx2 v[6:7], v[6:7]
	s_nop 0
	scratch_load_dword v0, off, s32 offset:600 ; 4-byte Folded Reload
	s_waitcnt vmcnt(0)
	v_lshlrev_b32_e32 v10, 2, v0
	v_and_b32_e32 v10, 0xff8, v10
	v_lshl_add_u32 v10, v2, 8, v10
	s_waitcnt lgkmcnt(0)
	ds_write_b64 v10, v[6:7]
.LBB298_5:
	s_or_b64 exec, exec, s[2:3]
	s_waitcnt lgkmcnt(0)
	s_barrier
	scratch_load_dwordx2 v[0:1], off, s32 offset:204 ; 8-byte Folded Reload
	v_mul_lo_u32 v6, v5, v3
	v_sub_u32_e32 v6, s4, v6
	v_add_u32_e32 v7, 1, v5
	v_cmp_ge_u32_e32 vcc, v6, v3
	v_xor_b32_e32 v4, s5, v4
	s_nop 0
	v_cndmask_b32_e32 v5, v5, v7, vcc
	v_sub_u32_e32 v7, v6, v3
	v_cndmask_b32_e32 v6, v6, v7, vcc
	v_add_u32_e32 v7, 1, v5
	v_cmp_ge_u32_e32 vcc, v6, v3
	s_nop 1
	v_cndmask_b32_e32 v3, v5, v7, vcc
	v_sub_u32_e32 v5, 0, v14
	v_max_i32_e32 v7, v14, v5
	v_cvt_f32_u32_e32 v5, v7
	v_xor_b32_e32 v3, v3, v4
	v_sub_u32_e32 v4, v3, v4
	scratch_store_dword off, v7, s32 offset:236 ; 4-byte Folded Spill
	v_rcp_iflag_f32_e32 v3, v5
	v_sub_u32_e32 v7, 0, v7
	v_cmp_gt_i32_e32 vcc, 0, v13
	v_mul_f32_e32 v3, 0x4f7ffffe, v3
	v_cvt_u32_f32_e32 v6, v3
	v_mul_lo_u32 v7, v7, v6
	v_mul_hi_u32 v7, v6, v7
	v_add_u32_e32 v6, v6, v7
	scratch_store_dword off, v6, s32 offset:256 ; 4-byte Folded Spill
	s_waitcnt vmcnt(2)
	v_add_u32_e32 v5, -1, v0
	v_sub_u32_e32 v3, 0, v5
	v_max_i32_e32 v3, v5, v3
	v_mad_u64_u32 v[34:35], s[2:3], v3, v6, 0
                                        ; implicit-def: $vgpr0
	scratch_store_dwordx2 off, v[0:1], s32 offset:248 ; 8-byte Folded Spill
	s_and_saveexec_b64 s[2:3], vcc
	s_xor_b64 s[2:3], exec, s[2:3]
	s_cbranch_execz .LBB298_7
; %bb.6:
	v_mad_u64_u32 v[6:7], s[4:5], v28, v12, v[4:5]
	v_mul_lo_u32 v0, v6, v13
	v_sub_u32_e32 v0, 1, v0
	scratch_store_dwordx2 off, v[0:1], s32 offset:248 ; 8-byte Folded Spill
                                        ; implicit-def: $vgpr28
                                        ; implicit-def: $vgpr13
.LBB298_7:
	s_or_saveexec_b64 s[2:3], s[2:3]
	v_ashrrev_i32_e32 v5, 31, v5
	v_ashrrev_i32_e32 v0, 31, v14
	scratch_store_dword off, v0, s32 offset:240 ; 4-byte Folded Spill
	s_xor_b64 exec, exec, s[2:3]
	s_cbranch_execz .LBB298_9
; %bb.8:
	v_mul_lo_u32 v1, s15, v28
	v_add_u32_e32 v1, s12, v1
	v_mad_u64_u32 v[0:1], s[4:5], v1, v13, 1
	scratch_store_dwordx2 off, v[0:1], s32 offset:248 ; 8-byte Folded Spill
.LBB298_9:
	s_or_b64 exec, exec, s[2:3]
	v_mul_lo_u32 v0, s20, v18
	v_ashrrev_i32_e32 v1, 31, v0
	s_load_dword s52, s[8:9], 0x14
	s_load_dword s13, s[8:9], 0x8
	scratch_store_dwordx2 off, v[0:1], s32 offset:696 ; 8-byte Folded Spill
	scratch_load_dword v0, off, s32 offset:240 ; 4-byte Folded Reload
	s_lshl_b32 s17, s14, 4
	scratch_load_dword v6, off, s32 offset:236 ; 4-byte Folded Reload
	s_add_i32 s2, s17, 16
	v_mul_lo_u32 v20, v4, v23
	v_ashrrev_i32_e32 v21, 31, v20
	s_waitcnt vmcnt(1)
	v_xor_b32_e32 v0, v5, v0
	s_waitcnt vmcnt(0)
	v_mul_lo_u32 v1, v35, v6
	v_sub_u32_e32 v1, v3, v1
	v_cmp_ge_u32_e32 vcc, v1, v6
	v_sub_u32_e32 v5, v1, v6
	v_add_u32_e32 v3, 1, v35
	v_cndmask_b32_e32 v1, v1, v5, vcc
	v_cndmask_b32_e32 v3, v35, v3, vcc
	v_cmp_ge_u32_e32 vcc, v1, v6
	scratch_load_dwordx2 v[6:7], off, s32 offset:204 ; 8-byte Folded Reload
	v_add_u32_e32 v5, 1, v3
	v_cndmask_b32_e32 v1, v3, v5, vcc
	v_xor_b32_e32 v1, v1, v0
	v_sub_u32_e32 v0, v1, v0
	v_sub_u32_e32 v0, v0, v29
	scratch_store_dword off, v0, s32 offset:260 ; 4-byte Folded Spill
	scratch_load_dword v0, off, s32 offset:652 ; 4-byte Folded Reload
	s_waitcnt vmcnt(2)
	v_add_u32_e32 v1, 31, v6
	v_ashrrev_i32_e32 v3, 31, v1
	v_lshrrev_b32_e32 v3, 27, v3
	v_add_u32_e32 v1, v1, v3
	v_ashrrev_i32_e32 v1, 5, v1
	scratch_store_dword off, v1, s32 offset:708 ; 4-byte Folded Spill
	v_min_i32_e32 v3, s2, v1
	scratch_load_dword v1, off, s32 offset:600 ; 4-byte Folded Reload
	s_waitcnt vmcnt(2)
	v_sub_u32_e32 v19, 0, v0
	scratch_store_dword off, v3, s32 offset:244 ; 4-byte Folded Spill
	s_waitcnt vmcnt(1)
	v_lshrrev_b32_e32 v18, 6, v1
	v_or_b32_e32 v6, s17, v18
	v_cmp_lt_i32_e64 s[2:3], v6, v3
	v_mov_b32_e32 v1, 0xff7fffff
	v_ashrrev_i32_e32 v7, 31, v6
	v_lshl_add_u32 v0, v18, 5, s21
	scratch_store_dword off, v1, s32 offset:596 ; 4-byte Folded Spill
	scratch_store_dwordx2 off, v[6:7], s32 offset:216 ; 8-byte Folded Spill
	scratch_store_dword off, v0, s32 offset:704 ; 4-byte Folded Spill
	s_and_saveexec_b64 s[22:23], s[2:3]
	s_cbranch_execz .LBB298_1043
; %bb.10:
	scratch_load_dword v0, off, s32 offset:600 ; 4-byte Folded Reload
	s_ashr_i32 s19, s18, 31
	scratch_store_dwordx2 off, v[20:21], s32 offset:720 ; 8-byte Folded Spill
	s_lshl_b64 s[8:9], s[18:19], 2
	s_getpc_b64 s[24:25]
	s_add_u32 s24, s24, llvm.amdgcn.dynlds.offset.table@rel32@lo+4
	s_addc_u32 s25, s25, llvm.amdgcn.dynlds.offset.table@rel32@hi+12
	s_add_u32 s24, s8, s24
	v_lshlrev_b32_e32 v4, 2, v2
	s_addc_u32 s25, s9, s25
	v_cmp_eq_u32_e64 s[4:5], 0, v2
	s_mov_b64 s[26:27], 0
	s_movk_i32 s53, 0x7f
	s_movk_i32 s54, 0x80
	s_mov_b32 s55, 0x8000
	s_mov_b64 s[28:29], 0x1000
	s_mov_b64 s[30:31], 0x1200
	;; [unrolled: 1-line block ×8, first 2 shown]
	v_mov_b32_e32 v23, 0x1c00
	s_waitcnt vmcnt(1)
	v_bfe_u32 v6, v0, 1, 5
	v_lshl_add_u64 v[0:1], v[8:9], 0, v[20:21]
	v_lshlrev_b32_e32 v8, 4, v6
	v_mov_b32_e32 v9, 0
	v_lshl_add_u64 v[0:1], v[0:1], 0, v[8:9]
	scratch_store_dwordx2 off, v[0:1], s32 offset:620 ; 8-byte Folded Spill
	v_lshlrev_b32_e32 v0, 8, v2
	scratch_store_dword off, v0, s32 offset:612 ; 4-byte Folded Spill
	scratch_store_dword off, v19, s32 offset:728 ; 4-byte Folded Spill
	scratch_load_dword v0, off, s32 offset:652 ; 4-byte Folded Reload
	v_mov_b32_e32 v5, v9
	scratch_load_dword v1, off, s32 offset:636 ; 4-byte Folded Reload
	s_load_dword s19, s[24:25], 0x0
	s_waitcnt vmcnt(1)
	v_max_i32_e32 v2, v0, v19
	scratch_store_dwordx2 off, v[4:5], s32 offset:628 ; 8-byte Folded Spill
	scratch_store_dword off, v2, s32 offset:500 ; 4-byte Folded Spill
	v_cvt_f32_u32_e32 v0, v2
	s_waitcnt vmcnt(2)
	v_cmp_neq_f32_e64 s[6:7], 0, v1
	v_sub_u32_e32 v1, 0, v2
	scratch_load_dwordx2 v[2:3], off, s32 offset:216 ; 8-byte Folded Reload
	scratch_load_dwordx2 v[4:5], off, s32 offset:696 ; 8-byte Folded Reload
	v_rcp_iflag_f32_e32 v0, v0
	scratch_store_dword off, v18, s32 offset:732 ; 4-byte Folded Spill
	v_mul_f32_e32 v0, 0x4f7ffffe, v0
	v_cvt_u32_f32_e32 v0, v0
	v_mul_lo_u32 v1, v1, v0
	v_mul_hi_u32 v1, v0, v1
	v_add_u32_e32 v0, v0, v1
	scratch_store_dwordx2 off, v[0:1], s32 offset:504 ; 8-byte Folded Spill
	s_waitcnt vmcnt(3)
	v_lshlrev_b64 v[0:1], 2, v[2:3]
	s_waitcnt vmcnt(2)
	v_lshl_add_u64 v[0:1], v[4:5], 2, v[0:1]
	scratch_load_dwordx2 v[4:5], off, s32 offset:656 ; 8-byte Folded Reload
	s_waitcnt vmcnt(0)
	v_lshl_add_u64 v[0:1], v[4:5], 0, v[0:1]
	scratch_store_dwordx2 off, v[0:1], s32 offset:224 ; 8-byte Folded Spill
	v_lshlrev_b32_e32 v0, 2, v6
	v_lshl_or_b32 v0, v18, 7, v0
	scratch_store_dword off, v0, s32 offset:212 ; 4-byte Folded Spill
	scratch_store_dword off, v6, s32 offset:644 ; 4-byte Folded Spill
	scratch_load_dwordx2 v[4:5], off, s32 offset:204 ; 8-byte Folded Reload
	v_lshl_add_u32 v1, v18, 5, s21
	s_waitcnt vmcnt(0)
	v_sub_u32_e32 v0, v6, v4
	v_add_u32_e32 v0, 1, v0
	scratch_store_dword off, v0, s32 offset:648 ; 4-byte Folded Spill
	v_mbcnt_lo_u32_b32 v0, -1, 0
	v_mbcnt_hi_u32_b32 v0, -1, v0
	scratch_store_dword off, v0, s32 offset:616 ; 4-byte Folded Spill
	v_mov_b32_e32 v0, 0xff7fffff
	scratch_store_dword off, v0, s32 offset:596 ; 4-byte Folded Spill
	s_branch .LBB298_13
.LBB298_11:                             ;   in Loop: Header=BB298_13 Depth=1
	s_or_b64 exec, exec, s[46:47]
.LBB298_12:                             ;   in Loop: Header=BB298_13 Depth=1
	s_or_b64 exec, exec, s[8:9]
	scratch_load_dword v2, off, s32 offset:264 ; 4-byte Folded Reload
	s_waitcnt lgkmcnt(0)
	scratch_load_dwordx2 v[0:1], off, s32 offset:224 ; 8-byte Folded Reload
	s_waitcnt vmcnt(1)
	v_add_u32_e32 v2, 2, v2
	s_waitcnt vmcnt(0)
	v_lshl_add_u64 v[0:1], v[0:1], 0, 8
	scratch_store_dwordx2 off, v[0:1], s32 offset:224 ; 8-byte Folded Spill
	scratch_load_dword v1, off, s32 offset:232 ; 4-byte Folded Reload
	s_nop 0
	scratch_load_dword v0, off, s32 offset:244 ; 4-byte Folded Reload
	s_waitcnt vmcnt(0)
	v_cmp_ge_i32_e32 vcc, v2, v0
	scratch_load_dword v0, off, s32 offset:212 ; 4-byte Folded Reload
	v_add_u32_e32 v1, 64, v1
	s_or_b64 s[26:27], vcc, s[26:27]
	s_waitcnt vmcnt(0)
	v_add_u32_e32 v0, 0x100, v0
	scratch_store_dword off, v0, s32 offset:212 ; 4-byte Folded Spill
	s_andn2_b64 exec, exec, s[26:27]
	s_cbranch_execz .LBB298_1042
.LBB298_13:                             ; =>This Inner Loop Header: Depth=1
	scratch_store_dword off, v2, s32 offset:264 ; 4-byte Folded Spill
	v_ashrrev_i32_e32 v0, 31, v1
	v_mov_b32_e32 v2, v1
	scratch_load_dword v1, off, s32 offset:240 ; 4-byte Folded Reload
	scratch_load_dword v4, off, s32 offset:236 ; 4-byte Folded Reload
	s_waitcnt vmcnt(1)
	v_xor_b32_e32 v0, v0, v1
	v_sub_u32_e32 v1, 0, v2
	scratch_store_dword off, v2, s32 offset:232 ; 4-byte Folded Spill
	v_max_i32_e32 v1, v2, v1
	scratch_load_dword v2, off, s32 offset:256 ; 4-byte Folded Reload
	s_waitcnt vmcnt(0)
	v_mul_hi_u32 v2, v1, v2
	v_mul_lo_u32 v3, v2, v4
	v_sub_u32_e32 v1, v1, v3
	v_add_u32_e32 v3, 1, v2
	v_cmp_ge_u32_e32 vcc, v1, v4
	s_nop 1
	v_cndmask_b32_e32 v2, v2, v3, vcc
	v_sub_u32_e32 v3, v1, v4
	v_cndmask_b32_e32 v1, v1, v3, vcc
	v_add_u32_e32 v3, 1, v2
	v_cmp_ge_u32_e32 vcc, v1, v4
	scratch_load_dwordx2 v[4:5], off, s32 offset:504 ; 8-byte Folded Reload
	s_nop 0
	v_cndmask_b32_e32 v1, v2, v3, vcc
	scratch_load_dwordx2 v[2:3], off, s32 offset:248 ; 8-byte Folded Reload
	v_xor_b32_e32 v1, v1, v0
	v_sub_u32_e32 v0, v1, v0
	s_waitcnt vmcnt(0)
	v_add_u32_e32 v1, v0, v2
	v_sub_u32_e32 v3, 0, v1
	v_ashrrev_i32_e32 v2, 31, v1
	v_max_i32_e32 v1, v1, v3
	v_mul_hi_u32 v3, v1, v4
	scratch_load_dword v4, off, s32 offset:500 ; 4-byte Folded Reload
	s_waitcnt vmcnt(0)
	v_mul_lo_u32 v3, v3, v4
	v_sub_u32_e32 v1, v1, v3
	v_sub_u32_e32 v3, v1, v4
	v_cmp_ge_u32_e32 vcc, v1, v4
	s_nop 1
	v_cndmask_b32_e32 v1, v1, v3, vcc
	v_sub_u32_e32 v3, v1, v4
	v_cmp_ge_u32_e32 vcc, v1, v4
	s_nop 1
	v_cndmask_b32_e32 v1, v1, v3, vcc
	v_xor_b32_e32 v1, v1, v2
	v_sub_u32_e32 v1, v1, v2
	v_cmp_ne_u32_e32 vcc, 0, v1
	scratch_load_dword v1, off, s32 offset:260 ; 4-byte Folded Reload
	s_waitcnt vmcnt(0)
	v_cmp_le_i32_e64 s[8:9], v0, v1
	s_and_b64 s[8:9], vcc, s[8:9]
	s_and_b64 s[46:47], s[4:5], s[8:9]
	s_and_saveexec_b64 vcc, s[46:47]
	s_cbranch_execz .LBB298_15
; %bb.14:                               ;   in Loop: Header=BB298_13 Depth=1
	scratch_load_dword v0, off, s32 offset:212 ; 4-byte Folded Reload
	v_mov_b32_e32 v1, 0xff7fffff
	s_waitcnt vmcnt(0) lgkmcnt(0)
	v_add_u32_e32 v0, s19, v0
	ds_write_b32 v0, v1
.LBB298_15:                             ;   in Loop: Header=BB298_13 Depth=1
	s_or_b64 exec, exec, vcc
	s_xor_b64 vcc, s[8:9], -1
	s_and_saveexec_b64 s[8:9], vcc
	s_cbranch_execz .LBB298_12
; %bb.16:                               ;   in Loop: Header=BB298_13 Depth=1
	scratch_load_dwordx2 v[0:1], off, s32 offset:224 ; 8-byte Folded Reload
                                        ; implicit-def: $sgpr50
	s_waitcnt vmcnt(0)
	flat_load_dword v0, v[0:1]
	s_nop 0
	scratch_load_dwordx2 v[4:5], off, s32 offset:620 ; 8-byte Folded Reload
	scratch_load_dwordx2 v[2:3], off, s32 offset:492 ; 8-byte Folded Reload
	s_waitcnt vmcnt(0) lgkmcnt(0)
	v_mad_i64_i32 v[0:1], vcc, v0, v2, v[4:5]
	scratch_load_dwordx2 v[2:3], off, s32 offset:628 ; 8-byte Folded Reload
	s_mov_b64 vcc, 0
	s_waitcnt vmcnt(0)
	v_lshl_add_u64 v[48:49], v[0:1], 0, v[2:3]
	flat_load_dword v4, v[48:49]
	scratch_load_dwordx2 v[0:1], off, s32 offset:604 ; 8-byte Folded Reload
	s_waitcnt vmcnt(0) lgkmcnt(0)
	v_cmp_gt_i16_sdwa s[46:47], v4, s53 src0_sel:BYTE_0 src1_sel:DWORD
	flat_load_dword v5, v[0:1]
	s_and_saveexec_b64 s[48:49], s[46:47]
	s_xor_b64 s[46:47], exec, s[48:49]
	s_cbranch_execnz .LBB298_754
; %bb.17:                               ;   in Loop: Header=BB298_13 Depth=1
	s_or_saveexec_b64 s[46:47], s[46:47]
	v_mov_b32_e32 v0, s50
	s_xor_b64 exec, exec, s[46:47]
	s_cbranch_execnz .LBB298_757
.LBB298_18:                             ;   in Loop: Header=BB298_13 Depth=1
	s_or_b64 exec, exec, s[46:47]
	s_and_saveexec_b64 s[46:47], vcc
	s_cbranch_execz .LBB298_20
.LBB298_19:                             ;   in Loop: Header=BB298_13 Depth=1
	v_and_b32_e32 v2, 7, v4
	v_ffbh_u32_e32 v0, v2
	v_min_u32_e32 v6, 32, v0
	v_subrev_u32_e32 v0, 28, v6
	v_bfe_u32 v3, v4, 3, 4
	s_waitcnt vmcnt(0) lgkmcnt(0)
	v_lshlrev_b64 v[0:1], v0, v[4:5]
	v_sub_u32_e32 v1, 29, v6
	v_cmp_eq_u32_e32 vcc, 0, v3
	v_and_b32_e32 v0, 7, v0
	s_nop 0
	v_cndmask_b32_e32 v1, v3, v1, vcc
	v_cndmask_b32_e32 v0, v2, v0, vcc
	v_lshlrev_b32_e32 v2, 8, v4
	v_lshl_add_u32 v1, v1, 10, v23
	v_and_or_b32 v1, v2, s55, v1
	v_lshl_or_b32 v0, v0, 7, v1
	v_cvt_f32_f16_e32 v0, v0
.LBB298_20:                             ;   in Loop: Header=BB298_13 Depth=1
	s_or_b64 exec, exec, s[46:47]
	v_lshrrev_b16_e32 v8, 8, v4
	v_cmp_lt_i16_e32 vcc, s53, v8
	s_mov_b64 s[46:47], 0
	scratch_store_dword off, v0, s32 offset:512 ; 4-byte Folded Spill
                                        ; implicit-def: $sgpr56
	s_and_saveexec_b64 s[48:49], vcc
	s_xor_b64 s[48:49], exec, s[48:49]
	s_cbranch_execz .LBB298_24
; %bb.21:                               ;   in Loop: Header=BB298_13 Depth=1
	v_cmp_eq_u16_e32 vcc, s54, v8
	s_mov_b64 s[46:47], -1
                                        ; implicit-def: $sgpr56
	s_and_saveexec_b64 s[50:51], vcc
; %bb.22:                               ;   in Loop: Header=BB298_13 Depth=1
	s_mov_b32 s56, 0x7fc02000
	s_xor_b64 s[46:47], exec, -1
; %bb.23:                               ;   in Loop: Header=BB298_13 Depth=1
	s_or_b64 exec, exec, s[50:51]
	s_and_b64 s[46:47], s[46:47], exec
.LBB298_24:                             ;   in Loop: Header=BB298_13 Depth=1
	s_or_saveexec_b64 s[48:49], s[48:49]
	v_mov_b32_e32 v0, s56
	scratch_store_dword off, v0, s32 offset:272 ; 4-byte Folded Spill
	s_xor_b64 exec, exec, s[48:49]
	s_cbranch_execz .LBB298_26
; %bb.25:                               ;   in Loop: Header=BB298_13 Depth=1
	v_cmp_ne_u16_e32 vcc, 0, v8
	s_andn2_b64 s[46:47], s[46:47], exec
	s_and_b64 vcc, vcc, exec
	v_mov_b32_e32 v0, 0
	s_or_b64 s[46:47], s[46:47], vcc
	scratch_store_dword off, v0, s32 offset:272 ; 4-byte Folded Spill
.LBB298_26:                             ;   in Loop: Header=BB298_13 Depth=1
	s_or_b64 exec, exec, s[48:49]
	s_and_saveexec_b64 s[48:49], s[46:47]
	s_cbranch_execz .LBB298_28
; %bb.27:                               ;   in Loop: Header=BB298_13 Depth=1
	v_and_b32_e32 v2, 7, v8
	v_ffbh_u32_e32 v0, v2
	v_min_u32_e32 v6, 32, v0
	v_subrev_u32_e32 v0, 28, v6
	v_bfe_u32 v3, v8, 3, 4
	v_lshlrev_b64 v[0:1], v0, v[8:9]
	v_sub_u32_e32 v1, 29, v6
	v_cmp_eq_u32_e32 vcc, 0, v3
	v_and_b32_e32 v0, 7, v0
	s_nop 0
	v_cndmask_b32_e32 v1, v3, v1, vcc
	v_cndmask_b32_e32 v0, v2, v0, vcc
	v_lshlrev_b32_e32 v2, 8, v8
	v_lshl_add_u32 v1, v1, 10, v23
	v_and_or_b32 v1, v2, s55, v1
	v_lshl_or_b32 v0, v0, 7, v1
	v_cvt_f32_f16_e32 v0, v0
	scratch_store_dword off, v0, s32 offset:272 ; 4-byte Folded Spill
.LBB298_28:                             ;   in Loop: Header=BB298_13 Depth=1
	s_or_b64 exec, exec, s[48:49]
	v_lshrrev_b32_e32 v8, 16, v4
	v_cmp_gt_i16_sdwa s[46:47], v8, s53 src0_sel:BYTE_0 src1_sel:DWORD
	s_mov_b64 vcc, 0
                                        ; implicit-def: $sgpr50
	s_and_saveexec_b64 s[48:49], s[46:47]
	s_xor_b64 s[46:47], exec, s[48:49]
	s_cbranch_execz .LBB298_32
; %bb.29:                               ;   in Loop: Header=BB298_13 Depth=1
	v_cmp_eq_u16_sdwa s[56:57], v8, s54 src0_sel:BYTE_0 src1_sel:DWORD
	s_mov_b64 vcc, -1
                                        ; implicit-def: $sgpr50
	s_and_saveexec_b64 s[48:49], s[56:57]
; %bb.30:                               ;   in Loop: Header=BB298_13 Depth=1
	s_mov_b32 s50, 0x7fc02000
	s_xor_b64 vcc, exec, -1
; %bb.31:                               ;   in Loop: Header=BB298_13 Depth=1
	s_or_b64 exec, exec, s[48:49]
	s_and_b64 vcc, vcc, exec
.LBB298_32:                             ;   in Loop: Header=BB298_13 Depth=1
	s_or_saveexec_b64 s[46:47], s[46:47]
	v_mov_b32_e32 v0, s50
	scratch_store_dword off, v0, s32 offset:268 ; 4-byte Folded Spill
	s_xor_b64 exec, exec, s[46:47]
	s_cbranch_execz .LBB298_34
; %bb.33:                               ;   in Loop: Header=BB298_13 Depth=1
	v_cmp_ne_u16_sdwa s[48:49], v8, v9 src0_sel:BYTE_0 src1_sel:DWORD
	s_andn2_b64 vcc, vcc, exec
	s_and_b64 s[48:49], s[48:49], exec
	v_mov_b32_e32 v0, 0
	s_or_b64 vcc, vcc, s[48:49]
	scratch_store_dword off, v0, s32 offset:268 ; 4-byte Folded Spill
.LBB298_34:                             ;   in Loop: Header=BB298_13 Depth=1
	s_or_b64 exec, exec, s[46:47]
	s_and_saveexec_b64 s[46:47], vcc
	s_cbranch_execz .LBB298_36
; %bb.35:                               ;   in Loop: Header=BB298_13 Depth=1
	v_bfe_u32 v2, v4, 16, 3
	v_ffbh_u32_e32 v0, v2
	v_min_u32_e32 v6, 32, v0
	v_subrev_u32_e32 v0, 28, v6
	v_bfe_u32 v3, v4, 19, 4
	v_lshlrev_b64 v[0:1], v0, v[8:9]
	v_sub_u32_e32 v1, 29, v6
	v_cmp_eq_u32_e32 vcc, 0, v3
	v_and_b32_e32 v0, 7, v0
	s_nop 0
	v_cndmask_b32_e32 v1, v3, v1, vcc
	v_cndmask_b32_e32 v0, v2, v0, vcc
	v_lshlrev_b32_e32 v2, 8, v8
	v_lshl_add_u32 v1, v1, 10, v23
	v_and_or_b32 v1, v2, s55, v1
	v_lshl_or_b32 v0, v0, 7, v1
	v_cvt_f32_f16_e32 v0, v0
	scratch_store_dword off, v0, s32 offset:268 ; 4-byte Folded Spill
.LBB298_36:                             ;   in Loop: Header=BB298_13 Depth=1
	s_or_b64 exec, exec, s[46:47]
	v_lshrrev_b32_e32 v8, 24, v4
	v_cmp_lt_i16_e32 vcc, s53, v8
	s_mov_b64 s[46:47], 0
                                        ; implicit-def: $sgpr56
	s_and_saveexec_b64 s[48:49], vcc
	s_xor_b64 s[48:49], exec, s[48:49]
	s_cbranch_execnz .LBB298_758
; %bb.37:                               ;   in Loop: Header=BB298_13 Depth=1
	s_or_saveexec_b64 s[48:49], s[48:49]
	v_mov_b32_e32 v59, s56
	s_xor_b64 exec, exec, s[48:49]
	s_cbranch_execnz .LBB298_761
.LBB298_38:                             ;   in Loop: Header=BB298_13 Depth=1
	s_or_b64 exec, exec, s[48:49]
	s_and_saveexec_b64 s[48:49], s[46:47]
	s_cbranch_execz .LBB298_40
.LBB298_39:                             ;   in Loop: Header=BB298_13 Depth=1
	v_bfe_u32 v2, v4, 24, 3
	v_ffbh_u32_e32 v0, v2
	v_bfe_u32 v3, v4, 27, 4
	v_min_u32_e32 v4, 32, v0
	v_subrev_u32_e32 v0, 28, v4
	v_lshlrev_b64 v[0:1], v0, v[8:9]
	v_sub_u32_e32 v1, 29, v4
	v_cmp_eq_u32_e32 vcc, 0, v3
	v_and_b32_e32 v0, 7, v0
	s_nop 0
	v_cndmask_b32_e32 v1, v3, v1, vcc
	v_cndmask_b32_e32 v0, v2, v0, vcc
	v_lshlrev_b32_e32 v2, 8, v8
	v_lshl_add_u32 v1, v1, 10, v23
	v_and_or_b32 v1, v2, s55, v1
	v_lshl_or_b32 v0, v0, 7, v1
	v_cvt_f32_f16_e32 v59, v0
.LBB298_40:                             ;   in Loop: Header=BB298_13 Depth=1
	s_or_b64 exec, exec, s[48:49]
	flat_load_dword v4, v[48:49] offset:8
	s_mov_b64 vcc, 0
                                        ; implicit-def: $sgpr50
	s_waitcnt vmcnt(0) lgkmcnt(0)
	v_cmp_gt_i16_sdwa s[46:47], v4, s53 src0_sel:BYTE_0 src1_sel:DWORD
	s_and_saveexec_b64 s[48:49], s[46:47]
	s_xor_b64 s[46:47], exec, s[48:49]
	s_cbranch_execnz .LBB298_762
; %bb.41:                               ;   in Loop: Header=BB298_13 Depth=1
	s_or_saveexec_b64 s[46:47], s[46:47]
	v_mov_b32_e32 v0, s50
	s_xor_b64 exec, exec, s[46:47]
	s_cbranch_execnz .LBB298_765
.LBB298_42:                             ;   in Loop: Header=BB298_13 Depth=1
	s_or_b64 exec, exec, s[46:47]
	s_and_saveexec_b64 s[46:47], vcc
	s_cbranch_execz .LBB298_44
.LBB298_43:                             ;   in Loop: Header=BB298_13 Depth=1
	v_and_b32_e32 v2, 7, v4
	v_ffbh_u32_e32 v0, v2
	v_min_u32_e32 v6, 32, v0
	v_subrev_u32_e32 v0, 28, v6
	v_bfe_u32 v3, v4, 3, 4
	v_lshlrev_b64 v[0:1], v0, v[4:5]
	v_sub_u32_e32 v1, 29, v6
	v_cmp_eq_u32_e32 vcc, 0, v3
	v_and_b32_e32 v0, 7, v0
	s_nop 0
	v_cndmask_b32_e32 v1, v3, v1, vcc
	v_cndmask_b32_e32 v0, v2, v0, vcc
	v_lshlrev_b32_e32 v2, 8, v4
	v_lshl_add_u32 v1, v1, 10, v23
	v_and_or_b32 v1, v2, s55, v1
	v_lshl_or_b32 v0, v0, 7, v1
	v_cvt_f32_f16_e32 v0, v0
.LBB298_44:                             ;   in Loop: Header=BB298_13 Depth=1
	s_or_b64 exec, exec, s[46:47]
	v_lshrrev_b16_e32 v8, 8, v4
	v_cmp_lt_i16_e32 vcc, s53, v8
	s_mov_b64 s[46:47], 0
	scratch_store_dword off, v0, s32 offset:516 ; 4-byte Folded Spill
                                        ; implicit-def: $sgpr56
	s_and_saveexec_b64 s[48:49], vcc
	s_xor_b64 s[48:49], exec, s[48:49]
	s_cbranch_execnz .LBB298_766
; %bb.45:                               ;   in Loop: Header=BB298_13 Depth=1
	s_or_saveexec_b64 s[48:49], s[48:49]
	v_mov_b32_e32 v60, s56
	s_xor_b64 exec, exec, s[48:49]
	s_cbranch_execnz .LBB298_769
.LBB298_46:                             ;   in Loop: Header=BB298_13 Depth=1
	s_or_b64 exec, exec, s[48:49]
	s_and_saveexec_b64 s[48:49], s[46:47]
	s_cbranch_execz .LBB298_48
.LBB298_47:                             ;   in Loop: Header=BB298_13 Depth=1
	v_and_b32_e32 v2, 7, v8
	v_ffbh_u32_e32 v0, v2
	v_min_u32_e32 v6, 32, v0
	v_subrev_u32_e32 v0, 28, v6
	v_bfe_u32 v3, v8, 3, 4
	v_lshlrev_b64 v[0:1], v0, v[8:9]
	v_sub_u32_e32 v1, 29, v6
	v_cmp_eq_u32_e32 vcc, 0, v3
	v_and_b32_e32 v0, 7, v0
	s_nop 0
	v_cndmask_b32_e32 v1, v3, v1, vcc
	v_cndmask_b32_e32 v0, v2, v0, vcc
	v_lshlrev_b32_e32 v2, 8, v8
	v_lshl_add_u32 v1, v1, 10, v23
	v_and_or_b32 v1, v2, s55, v1
	v_lshl_or_b32 v0, v0, 7, v1
	v_cvt_f32_f16_e32 v60, v0
.LBB298_48:                             ;   in Loop: Header=BB298_13 Depth=1
	s_or_b64 exec, exec, s[48:49]
	v_lshrrev_b32_e32 v8, 16, v4
	v_cmp_gt_i16_sdwa s[46:47], v8, s53 src0_sel:BYTE_0 src1_sel:DWORD
	s_mov_b64 vcc, 0
                                        ; implicit-def: $sgpr50
	s_and_saveexec_b64 s[48:49], s[46:47]
	s_xor_b64 s[46:47], exec, s[48:49]
	s_cbranch_execnz .LBB298_770
; %bb.49:                               ;   in Loop: Header=BB298_13 Depth=1
	s_or_saveexec_b64 s[46:47], s[46:47]
	v_mov_b32_e32 v30, s50
	s_xor_b64 exec, exec, s[46:47]
	s_cbranch_execnz .LBB298_773
.LBB298_50:                             ;   in Loop: Header=BB298_13 Depth=1
	s_or_b64 exec, exec, s[46:47]
	s_and_saveexec_b64 s[46:47], vcc
	s_cbranch_execz .LBB298_52
.LBB298_51:                             ;   in Loop: Header=BB298_13 Depth=1
	v_bfe_u32 v2, v4, 16, 3
	v_ffbh_u32_e32 v0, v2
	v_min_u32_e32 v6, 32, v0
	v_subrev_u32_e32 v0, 28, v6
	v_bfe_u32 v3, v4, 19, 4
	v_lshlrev_b64 v[0:1], v0, v[8:9]
	v_sub_u32_e32 v1, 29, v6
	v_cmp_eq_u32_e32 vcc, 0, v3
	v_and_b32_e32 v0, 7, v0
	s_nop 0
	v_cndmask_b32_e32 v1, v3, v1, vcc
	v_cndmask_b32_e32 v0, v2, v0, vcc
	v_lshlrev_b32_e32 v2, 8, v8
	v_lshl_add_u32 v1, v1, 10, v23
	v_and_or_b32 v1, v2, s55, v1
	v_lshl_or_b32 v0, v0, 7, v1
	v_cvt_f32_f16_e32 v30, v0
.LBB298_52:                             ;   in Loop: Header=BB298_13 Depth=1
	s_or_b64 exec, exec, s[46:47]
	v_lshrrev_b32_e32 v8, 24, v4
	v_cmp_lt_i16_e32 vcc, s53, v8
	s_mov_b64 s[46:47], 0
                                        ; implicit-def: $sgpr56
	s_and_saveexec_b64 s[48:49], vcc
	s_xor_b64 s[48:49], exec, s[48:49]
	s_cbranch_execnz .LBB298_774
; %bb.53:                               ;   in Loop: Header=BB298_13 Depth=1
	s_or_saveexec_b64 s[48:49], s[48:49]
	v_mov_b32_e32 v62, s56
	s_xor_b64 exec, exec, s[48:49]
	s_cbranch_execnz .LBB298_777
.LBB298_54:                             ;   in Loop: Header=BB298_13 Depth=1
	s_or_b64 exec, exec, s[48:49]
	s_and_saveexec_b64 s[48:49], s[46:47]
	s_cbranch_execz .LBB298_56
.LBB298_55:                             ;   in Loop: Header=BB298_13 Depth=1
	v_bfe_u32 v2, v4, 24, 3
	v_ffbh_u32_e32 v0, v2
	v_bfe_u32 v3, v4, 27, 4
	v_min_u32_e32 v4, 32, v0
	v_subrev_u32_e32 v0, 28, v4
	v_lshlrev_b64 v[0:1], v0, v[8:9]
	v_sub_u32_e32 v1, 29, v4
	v_cmp_eq_u32_e32 vcc, 0, v3
	v_and_b32_e32 v0, 7, v0
	s_nop 0
	v_cndmask_b32_e32 v1, v3, v1, vcc
	v_cndmask_b32_e32 v0, v2, v0, vcc
	v_lshlrev_b32_e32 v2, 8, v8
	v_lshl_add_u32 v1, v1, 10, v23
	v_and_or_b32 v1, v2, s55, v1
	v_lshl_or_b32 v0, v0, 7, v1
	v_cvt_f32_f16_e32 v62, v0
.LBB298_56:                             ;   in Loop: Header=BB298_13 Depth=1
	s_or_b64 exec, exec, s[48:49]
	flat_load_dword v4, v[48:49] offset:512
	s_mov_b64 vcc, 0
                                        ; implicit-def: $sgpr50
	s_waitcnt vmcnt(0) lgkmcnt(0)
	v_cmp_gt_i16_sdwa s[46:47], v4, s53 src0_sel:BYTE_0 src1_sel:DWORD
	s_and_saveexec_b64 s[48:49], s[46:47]
	s_xor_b64 s[46:47], exec, s[48:49]
	s_cbranch_execnz .LBB298_778
; %bb.57:                               ;   in Loop: Header=BB298_13 Depth=1
	s_or_saveexec_b64 s[46:47], s[46:47]
	v_mov_b32_e32 v0, s50
	s_xor_b64 exec, exec, s[46:47]
	s_cbranch_execnz .LBB298_781
.LBB298_58:                             ;   in Loop: Header=BB298_13 Depth=1
	s_or_b64 exec, exec, s[46:47]
	s_and_saveexec_b64 s[46:47], vcc
	s_cbranch_execz .LBB298_60
.LBB298_59:                             ;   in Loop: Header=BB298_13 Depth=1
	v_and_b32_e32 v2, 7, v4
	v_ffbh_u32_e32 v0, v2
	v_min_u32_e32 v6, 32, v0
	v_subrev_u32_e32 v0, 28, v6
	v_bfe_u32 v3, v4, 3, 4
	v_lshlrev_b64 v[0:1], v0, v[4:5]
	v_sub_u32_e32 v1, 29, v6
	v_cmp_eq_u32_e32 vcc, 0, v3
	v_and_b32_e32 v0, 7, v0
	s_nop 0
	v_cndmask_b32_e32 v1, v3, v1, vcc
	v_cndmask_b32_e32 v0, v2, v0, vcc
	v_lshlrev_b32_e32 v2, 8, v4
	v_lshl_add_u32 v1, v1, 10, v23
	v_and_or_b32 v1, v2, s55, v1
	v_lshl_or_b32 v0, v0, 7, v1
	v_cvt_f32_f16_e32 v0, v0
.LBB298_60:                             ;   in Loop: Header=BB298_13 Depth=1
	s_or_b64 exec, exec, s[46:47]
	v_lshrrev_b16_e32 v8, 8, v4
	v_cmp_lt_i16_e32 vcc, s53, v8
	s_mov_b64 s[46:47], 0
	scratch_store_dword off, v0, s32 offset:520 ; 4-byte Folded Spill
                                        ; implicit-def: $sgpr56
	s_and_saveexec_b64 s[48:49], vcc
	s_xor_b64 s[48:49], exec, s[48:49]
	s_cbranch_execnz .LBB298_782
; %bb.61:                               ;   in Loop: Header=BB298_13 Depth=1
	s_or_saveexec_b64 s[48:49], s[48:49]
	v_mov_b32_e32 v18, s56
	s_xor_b64 exec, exec, s[48:49]
	s_cbranch_execnz .LBB298_785
.LBB298_62:                             ;   in Loop: Header=BB298_13 Depth=1
	s_or_b64 exec, exec, s[48:49]
	s_and_saveexec_b64 s[48:49], s[46:47]
	s_cbranch_execz .LBB298_64
.LBB298_63:                             ;   in Loop: Header=BB298_13 Depth=1
	v_and_b32_e32 v2, 7, v8
	v_ffbh_u32_e32 v0, v2
	v_min_u32_e32 v6, 32, v0
	v_subrev_u32_e32 v0, 28, v6
	v_bfe_u32 v3, v8, 3, 4
	v_lshlrev_b64 v[0:1], v0, v[8:9]
	v_sub_u32_e32 v1, 29, v6
	v_cmp_eq_u32_e32 vcc, 0, v3
	v_and_b32_e32 v0, 7, v0
	s_nop 0
	v_cndmask_b32_e32 v1, v3, v1, vcc
	v_cndmask_b32_e32 v0, v2, v0, vcc
	v_lshlrev_b32_e32 v2, 8, v8
	v_lshl_add_u32 v1, v1, 10, v23
	v_and_or_b32 v1, v2, s55, v1
	v_lshl_or_b32 v0, v0, 7, v1
	v_cvt_f32_f16_e32 v18, v0
.LBB298_64:                             ;   in Loop: Header=BB298_13 Depth=1
	s_or_b64 exec, exec, s[48:49]
	v_lshrrev_b32_e32 v8, 16, v4
	v_cmp_gt_i16_sdwa s[46:47], v8, s53 src0_sel:BYTE_0 src1_sel:DWORD
	s_mov_b64 vcc, 0
                                        ; implicit-def: $sgpr50
	s_and_saveexec_b64 s[48:49], s[46:47]
	s_xor_b64 s[46:47], exec, s[48:49]
	s_cbranch_execnz .LBB298_786
; %bb.65:                               ;   in Loop: Header=BB298_13 Depth=1
	s_or_saveexec_b64 s[46:47], s[46:47]
	v_mov_b32_e32 v55, s50
	s_xor_b64 exec, exec, s[46:47]
	s_cbranch_execnz .LBB298_789
.LBB298_66:                             ;   in Loop: Header=BB298_13 Depth=1
	s_or_b64 exec, exec, s[46:47]
	s_and_saveexec_b64 s[46:47], vcc
	s_cbranch_execz .LBB298_68
.LBB298_67:                             ;   in Loop: Header=BB298_13 Depth=1
	v_bfe_u32 v2, v4, 16, 3
	v_ffbh_u32_e32 v0, v2
	v_min_u32_e32 v6, 32, v0
	v_subrev_u32_e32 v0, 28, v6
	v_bfe_u32 v3, v4, 19, 4
	v_lshlrev_b64 v[0:1], v0, v[8:9]
	v_sub_u32_e32 v1, 29, v6
	v_cmp_eq_u32_e32 vcc, 0, v3
	v_and_b32_e32 v0, 7, v0
	s_nop 0
	v_cndmask_b32_e32 v1, v3, v1, vcc
	v_cndmask_b32_e32 v0, v2, v0, vcc
	v_lshlrev_b32_e32 v2, 8, v8
	v_lshl_add_u32 v1, v1, 10, v23
	v_and_or_b32 v1, v2, s55, v1
	v_lshl_or_b32 v0, v0, 7, v1
	v_cvt_f32_f16_e32 v55, v0
.LBB298_68:                             ;   in Loop: Header=BB298_13 Depth=1
	s_or_b64 exec, exec, s[46:47]
	v_lshrrev_b32_e32 v8, 24, v4
	v_cmp_lt_i16_e32 vcc, s53, v8
	s_mov_b64 s[46:47], 0
                                        ; implicit-def: $sgpr56
	s_and_saveexec_b64 s[48:49], vcc
	s_xor_b64 s[48:49], exec, s[48:49]
	s_cbranch_execnz .LBB298_790
; %bb.69:                               ;   in Loop: Header=BB298_13 Depth=1
	s_or_saveexec_b64 s[48:49], s[48:49]
	v_mov_b32_e32 v57, s56
	s_xor_b64 exec, exec, s[48:49]
	s_cbranch_execnz .LBB298_793
.LBB298_70:                             ;   in Loop: Header=BB298_13 Depth=1
	s_or_b64 exec, exec, s[48:49]
	s_and_saveexec_b64 s[48:49], s[46:47]
	s_cbranch_execz .LBB298_72
.LBB298_71:                             ;   in Loop: Header=BB298_13 Depth=1
	v_bfe_u32 v2, v4, 24, 3
	v_ffbh_u32_e32 v0, v2
	v_bfe_u32 v3, v4, 27, 4
	v_min_u32_e32 v4, 32, v0
	v_subrev_u32_e32 v0, 28, v4
	v_lshlrev_b64 v[0:1], v0, v[8:9]
	v_sub_u32_e32 v1, 29, v4
	v_cmp_eq_u32_e32 vcc, 0, v3
	v_and_b32_e32 v0, 7, v0
	s_nop 0
	v_cndmask_b32_e32 v1, v3, v1, vcc
	v_cndmask_b32_e32 v0, v2, v0, vcc
	v_lshlrev_b32_e32 v2, 8, v8
	v_lshl_add_u32 v1, v1, 10, v23
	v_and_or_b32 v1, v2, s55, v1
	v_lshl_or_b32 v0, v0, 7, v1
	v_cvt_f32_f16_e32 v57, v0
.LBB298_72:                             ;   in Loop: Header=BB298_13 Depth=1
	s_or_b64 exec, exec, s[48:49]
	flat_load_dword v4, v[48:49] offset:520
	s_mov_b64 vcc, 0
                                        ; implicit-def: $sgpr50
	s_waitcnt vmcnt(0) lgkmcnt(0)
	v_cmp_gt_i16_sdwa s[46:47], v4, s53 src0_sel:BYTE_0 src1_sel:DWORD
	s_and_saveexec_b64 s[48:49], s[46:47]
	s_xor_b64 s[46:47], exec, s[48:49]
	s_cbranch_execnz .LBB298_794
; %bb.73:                               ;   in Loop: Header=BB298_13 Depth=1
	s_or_saveexec_b64 s[46:47], s[46:47]
	v_mov_b32_e32 v0, s50
	s_xor_b64 exec, exec, s[46:47]
	s_cbranch_execnz .LBB298_797
.LBB298_74:                             ;   in Loop: Header=BB298_13 Depth=1
	s_or_b64 exec, exec, s[46:47]
	s_and_saveexec_b64 s[46:47], vcc
	s_cbranch_execz .LBB298_76
.LBB298_75:                             ;   in Loop: Header=BB298_13 Depth=1
	v_and_b32_e32 v2, 7, v4
	v_ffbh_u32_e32 v0, v2
	v_min_u32_e32 v6, 32, v0
	v_subrev_u32_e32 v0, 28, v6
	v_bfe_u32 v3, v4, 3, 4
	v_lshlrev_b64 v[0:1], v0, v[4:5]
	v_sub_u32_e32 v1, 29, v6
	v_cmp_eq_u32_e32 vcc, 0, v3
	v_and_b32_e32 v0, 7, v0
	s_nop 0
	v_cndmask_b32_e32 v1, v3, v1, vcc
	v_cndmask_b32_e32 v0, v2, v0, vcc
	v_lshlrev_b32_e32 v2, 8, v4
	v_lshl_add_u32 v1, v1, 10, v23
	v_and_or_b32 v1, v2, s55, v1
	v_lshl_or_b32 v0, v0, 7, v1
	v_cvt_f32_f16_e32 v0, v0
.LBB298_76:                             ;   in Loop: Header=BB298_13 Depth=1
	s_or_b64 exec, exec, s[46:47]
	v_lshrrev_b16_e32 v8, 8, v4
	v_cmp_lt_i16_e32 vcc, s53, v8
	s_mov_b64 s[46:47], 0
	scratch_store_dword off, v0, s32 offset:524 ; 4-byte Folded Spill
                                        ; implicit-def: $sgpr56
	s_and_saveexec_b64 s[48:49], vcc
	s_xor_b64 s[48:49], exec, s[48:49]
	s_cbranch_execz .LBB298_80
; %bb.77:                               ;   in Loop: Header=BB298_13 Depth=1
	v_cmp_eq_u16_e32 vcc, s54, v8
	s_mov_b64 s[46:47], -1
                                        ; implicit-def: $sgpr56
	s_and_saveexec_b64 s[50:51], vcc
; %bb.78:                               ;   in Loop: Header=BB298_13 Depth=1
	s_mov_b32 s56, 0x7fc02000
	s_xor_b64 s[46:47], exec, -1
; %bb.79:                               ;   in Loop: Header=BB298_13 Depth=1
	s_or_b64 exec, exec, s[50:51]
	s_and_b64 s[46:47], s[46:47], exec
.LBB298_80:                             ;   in Loop: Header=BB298_13 Depth=1
	s_or_saveexec_b64 s[48:49], s[48:49]
	v_mov_b32_e32 v0, s56
	scratch_store_dword off, v0, s32 offset:276 ; 4-byte Folded Spill
	s_xor_b64 exec, exec, s[48:49]
	s_cbranch_execz .LBB298_82
; %bb.81:                               ;   in Loop: Header=BB298_13 Depth=1
	v_cmp_ne_u16_e32 vcc, 0, v8
	s_andn2_b64 s[46:47], s[46:47], exec
	s_and_b64 vcc, vcc, exec
	v_mov_b32_e32 v0, 0
	s_or_b64 s[46:47], s[46:47], vcc
	scratch_store_dword off, v0, s32 offset:276 ; 4-byte Folded Spill
.LBB298_82:                             ;   in Loop: Header=BB298_13 Depth=1
	s_or_b64 exec, exec, s[48:49]
	s_and_saveexec_b64 s[48:49], s[46:47]
	s_cbranch_execz .LBB298_84
; %bb.83:                               ;   in Loop: Header=BB298_13 Depth=1
	v_and_b32_e32 v2, 7, v8
	v_ffbh_u32_e32 v0, v2
	v_min_u32_e32 v6, 32, v0
	v_subrev_u32_e32 v0, 28, v6
	v_bfe_u32 v3, v8, 3, 4
	v_lshlrev_b64 v[0:1], v0, v[8:9]
	v_sub_u32_e32 v1, 29, v6
	v_cmp_eq_u32_e32 vcc, 0, v3
	v_and_b32_e32 v0, 7, v0
	s_nop 0
	v_cndmask_b32_e32 v1, v3, v1, vcc
	v_cndmask_b32_e32 v0, v2, v0, vcc
	v_lshlrev_b32_e32 v2, 8, v8
	v_lshl_add_u32 v1, v1, 10, v23
	v_and_or_b32 v1, v2, s55, v1
	v_lshl_or_b32 v0, v0, 7, v1
	v_cvt_f32_f16_e32 v0, v0
	scratch_store_dword off, v0, s32 offset:276 ; 4-byte Folded Spill
.LBB298_84:                             ;   in Loop: Header=BB298_13 Depth=1
	s_or_b64 exec, exec, s[48:49]
	v_lshrrev_b32_e32 v8, 16, v4
	v_cmp_gt_i16_sdwa s[46:47], v8, s53 src0_sel:BYTE_0 src1_sel:DWORD
	s_mov_b64 vcc, 0
                                        ; implicit-def: $sgpr50
	s_and_saveexec_b64 s[48:49], s[46:47]
	s_xor_b64 s[46:47], exec, s[48:49]
	s_cbranch_execz .LBB298_88
; %bb.85:                               ;   in Loop: Header=BB298_13 Depth=1
	v_cmp_eq_u16_sdwa s[56:57], v8, s54 src0_sel:BYTE_0 src1_sel:DWORD
	s_mov_b64 vcc, -1
                                        ; implicit-def: $sgpr50
	s_and_saveexec_b64 s[48:49], s[56:57]
; %bb.86:                               ;   in Loop: Header=BB298_13 Depth=1
	s_mov_b32 s50, 0x7fc02000
	s_xor_b64 vcc, exec, -1
; %bb.87:                               ;   in Loop: Header=BB298_13 Depth=1
	s_or_b64 exec, exec, s[48:49]
	s_and_b64 vcc, vcc, exec
.LBB298_88:                             ;   in Loop: Header=BB298_13 Depth=1
	s_or_saveexec_b64 s[46:47], s[46:47]
	v_mov_b32_e32 v0, s50
	scratch_store_dword off, v0, s32 offset:280 ; 4-byte Folded Spill
	s_xor_b64 exec, exec, s[46:47]
	s_cbranch_execz .LBB298_90
; %bb.89:                               ;   in Loop: Header=BB298_13 Depth=1
	v_cmp_ne_u16_sdwa s[48:49], v8, v9 src0_sel:BYTE_0 src1_sel:DWORD
	s_andn2_b64 vcc, vcc, exec
	s_and_b64 s[48:49], s[48:49], exec
	v_mov_b32_e32 v0, 0
	s_or_b64 vcc, vcc, s[48:49]
	scratch_store_dword off, v0, s32 offset:280 ; 4-byte Folded Spill
.LBB298_90:                             ;   in Loop: Header=BB298_13 Depth=1
	s_or_b64 exec, exec, s[46:47]
	s_and_saveexec_b64 s[46:47], vcc
	s_cbranch_execz .LBB298_92
; %bb.91:                               ;   in Loop: Header=BB298_13 Depth=1
	v_bfe_u32 v2, v4, 16, 3
	v_ffbh_u32_e32 v0, v2
	v_min_u32_e32 v6, 32, v0
	v_subrev_u32_e32 v0, 28, v6
	v_bfe_u32 v3, v4, 19, 4
	v_lshlrev_b64 v[0:1], v0, v[8:9]
	v_sub_u32_e32 v1, 29, v6
	v_cmp_eq_u32_e32 vcc, 0, v3
	v_and_b32_e32 v0, 7, v0
	s_nop 0
	v_cndmask_b32_e32 v1, v3, v1, vcc
	v_cndmask_b32_e32 v0, v2, v0, vcc
	v_lshlrev_b32_e32 v2, 8, v8
	v_lshl_add_u32 v1, v1, 10, v23
	v_and_or_b32 v1, v2, s55, v1
	v_lshl_or_b32 v0, v0, 7, v1
	v_cvt_f32_f16_e32 v0, v0
	scratch_store_dword off, v0, s32 offset:280 ; 4-byte Folded Spill
.LBB298_92:                             ;   in Loop: Header=BB298_13 Depth=1
	s_or_b64 exec, exec, s[46:47]
	v_lshrrev_b32_e32 v8, 24, v4
	v_cmp_lt_i16_e32 vcc, s53, v8
	s_mov_b64 s[46:47], 0
                                        ; implicit-def: $sgpr56
	s_and_saveexec_b64 s[48:49], vcc
	s_xor_b64 s[48:49], exec, s[48:49]
	s_cbranch_execz .LBB298_96
; %bb.93:                               ;   in Loop: Header=BB298_13 Depth=1
	v_cmp_eq_u16_e32 vcc, s54, v8
	s_mov_b64 s[46:47], -1
                                        ; implicit-def: $sgpr56
	s_and_saveexec_b64 s[50:51], vcc
; %bb.94:                               ;   in Loop: Header=BB298_13 Depth=1
	s_mov_b32 s56, 0x7fc02000
	s_xor_b64 s[46:47], exec, -1
; %bb.95:                               ;   in Loop: Header=BB298_13 Depth=1
	s_or_b64 exec, exec, s[50:51]
	s_and_b64 s[46:47], s[46:47], exec
.LBB298_96:                             ;   in Loop: Header=BB298_13 Depth=1
	s_or_saveexec_b64 s[48:49], s[48:49]
	v_mov_b32_e32 v0, s56
	scratch_store_dword off, v0, s32 offset:284 ; 4-byte Folded Spill
	s_xor_b64 exec, exec, s[48:49]
	s_cbranch_execz .LBB298_98
; %bb.97:                               ;   in Loop: Header=BB298_13 Depth=1
	v_cmp_ne_u16_e32 vcc, 0, v8
	s_andn2_b64 s[46:47], s[46:47], exec
	s_and_b64 vcc, vcc, exec
	v_mov_b32_e32 v0, 0
	s_or_b64 s[46:47], s[46:47], vcc
	scratch_store_dword off, v0, s32 offset:284 ; 4-byte Folded Spill
.LBB298_98:                             ;   in Loop: Header=BB298_13 Depth=1
	s_or_b64 exec, exec, s[48:49]
	s_and_saveexec_b64 s[48:49], s[46:47]
	s_cbranch_execz .LBB298_100
; %bb.99:                               ;   in Loop: Header=BB298_13 Depth=1
	v_bfe_u32 v2, v4, 24, 3
	v_ffbh_u32_e32 v0, v2
	v_bfe_u32 v3, v4, 27, 4
	v_min_u32_e32 v4, 32, v0
	v_subrev_u32_e32 v0, 28, v4
	v_lshlrev_b64 v[0:1], v0, v[8:9]
	v_sub_u32_e32 v1, 29, v4
	v_cmp_eq_u32_e32 vcc, 0, v3
	v_and_b32_e32 v0, 7, v0
	s_nop 0
	v_cndmask_b32_e32 v1, v3, v1, vcc
	v_cndmask_b32_e32 v0, v2, v0, vcc
	v_lshlrev_b32_e32 v2, 8, v8
	v_lshl_add_u32 v1, v1, 10, v23
	v_and_or_b32 v1, v2, s55, v1
	v_lshl_or_b32 v0, v0, 7, v1
	v_cvt_f32_f16_e32 v0, v0
	scratch_store_dword off, v0, s32 offset:284 ; 4-byte Folded Spill
.LBB298_100:                            ;   in Loop: Header=BB298_13 Depth=1
	s_or_b64 exec, exec, s[48:49]
	flat_load_dword v4, v[48:49] offset:1024
	s_mov_b64 vcc, 0
                                        ; implicit-def: $sgpr50
	s_waitcnt vmcnt(0) lgkmcnt(0)
	v_cmp_gt_i16_sdwa s[46:47], v4, s53 src0_sel:BYTE_0 src1_sel:DWORD
	s_and_saveexec_b64 s[48:49], s[46:47]
	s_xor_b64 s[46:47], exec, s[48:49]
	s_cbranch_execnz .LBB298_798
; %bb.101:                              ;   in Loop: Header=BB298_13 Depth=1
	s_or_saveexec_b64 s[46:47], s[46:47]
	v_mov_b32_e32 v0, s50
	s_xor_b64 exec, exec, s[46:47]
	s_cbranch_execnz .LBB298_801
.LBB298_102:                            ;   in Loop: Header=BB298_13 Depth=1
	s_or_b64 exec, exec, s[46:47]
	s_and_saveexec_b64 s[46:47], vcc
	s_cbranch_execz .LBB298_104
.LBB298_103:                            ;   in Loop: Header=BB298_13 Depth=1
	v_and_b32_e32 v2, 7, v4
	v_ffbh_u32_e32 v0, v2
	v_min_u32_e32 v6, 32, v0
	v_subrev_u32_e32 v0, 28, v6
	v_bfe_u32 v3, v4, 3, 4
	v_lshlrev_b64 v[0:1], v0, v[4:5]
	v_sub_u32_e32 v1, 29, v6
	v_cmp_eq_u32_e32 vcc, 0, v3
	v_and_b32_e32 v0, 7, v0
	s_nop 0
	v_cndmask_b32_e32 v1, v3, v1, vcc
	v_cndmask_b32_e32 v0, v2, v0, vcc
	v_lshlrev_b32_e32 v2, 8, v4
	v_lshl_add_u32 v1, v1, 10, v23
	v_and_or_b32 v1, v2, s55, v1
	v_lshl_or_b32 v0, v0, 7, v1
	v_cvt_f32_f16_e32 v0, v0
.LBB298_104:                            ;   in Loop: Header=BB298_13 Depth=1
	s_or_b64 exec, exec, s[46:47]
	v_lshrrev_b16_e32 v8, 8, v4
	v_cmp_lt_i16_e32 vcc, s53, v8
	s_mov_b64 s[46:47], 0
	scratch_store_dword off, v0, s32 offset:528 ; 4-byte Folded Spill
                                        ; implicit-def: $sgpr56
	s_and_saveexec_b64 s[48:49], vcc
	s_xor_b64 s[48:49], exec, s[48:49]
	s_cbranch_execz .LBB298_108
; %bb.105:                              ;   in Loop: Header=BB298_13 Depth=1
	v_cmp_eq_u16_e32 vcc, s54, v8
	s_mov_b64 s[46:47], -1
                                        ; implicit-def: $sgpr56
	s_and_saveexec_b64 s[50:51], vcc
; %bb.106:                              ;   in Loop: Header=BB298_13 Depth=1
	s_mov_b32 s56, 0x7fc02000
	s_xor_b64 s[46:47], exec, -1
; %bb.107:                              ;   in Loop: Header=BB298_13 Depth=1
	s_or_b64 exec, exec, s[50:51]
	s_and_b64 s[46:47], s[46:47], exec
.LBB298_108:                            ;   in Loop: Header=BB298_13 Depth=1
	s_or_saveexec_b64 s[48:49], s[48:49]
	v_mov_b32_e32 v0, s56
	scratch_store_dword off, v0, s32 offset:288 ; 4-byte Folded Spill
	s_xor_b64 exec, exec, s[48:49]
	s_cbranch_execz .LBB298_110
; %bb.109:                              ;   in Loop: Header=BB298_13 Depth=1
	v_cmp_ne_u16_e32 vcc, 0, v8
	s_andn2_b64 s[46:47], s[46:47], exec
	s_and_b64 vcc, vcc, exec
	v_mov_b32_e32 v0, 0
	s_or_b64 s[46:47], s[46:47], vcc
	scratch_store_dword off, v0, s32 offset:288 ; 4-byte Folded Spill
.LBB298_110:                            ;   in Loop: Header=BB298_13 Depth=1
	s_or_b64 exec, exec, s[48:49]
	s_and_saveexec_b64 s[48:49], s[46:47]
	s_cbranch_execz .LBB298_112
; %bb.111:                              ;   in Loop: Header=BB298_13 Depth=1
	v_and_b32_e32 v2, 7, v8
	v_ffbh_u32_e32 v0, v2
	v_min_u32_e32 v6, 32, v0
	v_subrev_u32_e32 v0, 28, v6
	v_bfe_u32 v3, v8, 3, 4
	v_lshlrev_b64 v[0:1], v0, v[8:9]
	v_sub_u32_e32 v1, 29, v6
	v_cmp_eq_u32_e32 vcc, 0, v3
	v_and_b32_e32 v0, 7, v0
	s_nop 0
	v_cndmask_b32_e32 v1, v3, v1, vcc
	v_cndmask_b32_e32 v0, v2, v0, vcc
	v_lshlrev_b32_e32 v2, 8, v8
	v_lshl_add_u32 v1, v1, 10, v23
	v_and_or_b32 v1, v2, s55, v1
	v_lshl_or_b32 v0, v0, 7, v1
	v_cvt_f32_f16_e32 v0, v0
	scratch_store_dword off, v0, s32 offset:288 ; 4-byte Folded Spill
.LBB298_112:                            ;   in Loop: Header=BB298_13 Depth=1
	s_or_b64 exec, exec, s[48:49]
	v_lshrrev_b32_e32 v8, 16, v4
	v_cmp_gt_i16_sdwa s[46:47], v8, s53 src0_sel:BYTE_0 src1_sel:DWORD
	s_mov_b64 vcc, 0
                                        ; implicit-def: $sgpr50
	s_and_saveexec_b64 s[48:49], s[46:47]
	s_xor_b64 s[46:47], exec, s[48:49]
	s_cbranch_execz .LBB298_116
; %bb.113:                              ;   in Loop: Header=BB298_13 Depth=1
	v_cmp_eq_u16_sdwa s[56:57], v8, s54 src0_sel:BYTE_0 src1_sel:DWORD
	s_mov_b64 vcc, -1
                                        ; implicit-def: $sgpr50
	s_and_saveexec_b64 s[48:49], s[56:57]
; %bb.114:                              ;   in Loop: Header=BB298_13 Depth=1
	s_mov_b32 s50, 0x7fc02000
	s_xor_b64 vcc, exec, -1
; %bb.115:                              ;   in Loop: Header=BB298_13 Depth=1
	s_or_b64 exec, exec, s[48:49]
	s_and_b64 vcc, vcc, exec
.LBB298_116:                            ;   in Loop: Header=BB298_13 Depth=1
	s_or_saveexec_b64 s[46:47], s[46:47]
	v_mov_b32_e32 v0, s50
	scratch_store_dword off, v0, s32 offset:292 ; 4-byte Folded Spill
	s_xor_b64 exec, exec, s[46:47]
	s_cbranch_execz .LBB298_118
; %bb.117:                              ;   in Loop: Header=BB298_13 Depth=1
	v_cmp_ne_u16_sdwa s[48:49], v8, v9 src0_sel:BYTE_0 src1_sel:DWORD
	s_andn2_b64 vcc, vcc, exec
	s_and_b64 s[48:49], s[48:49], exec
	v_mov_b32_e32 v0, 0
	s_or_b64 vcc, vcc, s[48:49]
	scratch_store_dword off, v0, s32 offset:292 ; 4-byte Folded Spill
.LBB298_118:                            ;   in Loop: Header=BB298_13 Depth=1
	s_or_b64 exec, exec, s[46:47]
	s_and_saveexec_b64 s[46:47], vcc
	s_cbranch_execz .LBB298_120
; %bb.119:                              ;   in Loop: Header=BB298_13 Depth=1
	v_bfe_u32 v2, v4, 16, 3
	v_ffbh_u32_e32 v0, v2
	v_min_u32_e32 v6, 32, v0
	v_subrev_u32_e32 v0, 28, v6
	v_bfe_u32 v3, v4, 19, 4
	v_lshlrev_b64 v[0:1], v0, v[8:9]
	v_sub_u32_e32 v1, 29, v6
	v_cmp_eq_u32_e32 vcc, 0, v3
	v_and_b32_e32 v0, 7, v0
	s_nop 0
	v_cndmask_b32_e32 v1, v3, v1, vcc
	v_cndmask_b32_e32 v0, v2, v0, vcc
	v_lshlrev_b32_e32 v2, 8, v8
	v_lshl_add_u32 v1, v1, 10, v23
	v_and_or_b32 v1, v2, s55, v1
	v_lshl_or_b32 v0, v0, 7, v1
	v_cvt_f32_f16_e32 v0, v0
	scratch_store_dword off, v0, s32 offset:292 ; 4-byte Folded Spill
.LBB298_120:                            ;   in Loop: Header=BB298_13 Depth=1
	s_or_b64 exec, exec, s[46:47]
	v_lshrrev_b32_e32 v8, 24, v4
	v_cmp_lt_i16_e32 vcc, s53, v8
	s_mov_b64 s[46:47], 0
                                        ; implicit-def: $sgpr56
	s_and_saveexec_b64 s[48:49], vcc
	s_xor_b64 s[48:49], exec, s[48:49]
	s_cbranch_execz .LBB298_124
; %bb.121:                              ;   in Loop: Header=BB298_13 Depth=1
	v_cmp_eq_u16_e32 vcc, s54, v8
	s_mov_b64 s[46:47], -1
                                        ; implicit-def: $sgpr56
	s_and_saveexec_b64 s[50:51], vcc
; %bb.122:                              ;   in Loop: Header=BB298_13 Depth=1
	s_mov_b32 s56, 0x7fc02000
	s_xor_b64 s[46:47], exec, -1
; %bb.123:                              ;   in Loop: Header=BB298_13 Depth=1
	s_or_b64 exec, exec, s[50:51]
	s_and_b64 s[46:47], s[46:47], exec
.LBB298_124:                            ;   in Loop: Header=BB298_13 Depth=1
	s_or_saveexec_b64 s[48:49], s[48:49]
	v_mov_b32_e32 v0, s56
	scratch_store_dword off, v0, s32 offset:296 ; 4-byte Folded Spill
	s_xor_b64 exec, exec, s[48:49]
	s_cbranch_execz .LBB298_126
; %bb.125:                              ;   in Loop: Header=BB298_13 Depth=1
	v_cmp_ne_u16_e32 vcc, 0, v8
	s_andn2_b64 s[46:47], s[46:47], exec
	s_and_b64 vcc, vcc, exec
	v_mov_b32_e32 v0, 0
	s_or_b64 s[46:47], s[46:47], vcc
	scratch_store_dword off, v0, s32 offset:296 ; 4-byte Folded Spill
.LBB298_126:                            ;   in Loop: Header=BB298_13 Depth=1
	s_or_b64 exec, exec, s[48:49]
	s_and_saveexec_b64 s[48:49], s[46:47]
	s_cbranch_execz .LBB298_128
; %bb.127:                              ;   in Loop: Header=BB298_13 Depth=1
	v_bfe_u32 v2, v4, 24, 3
	v_ffbh_u32_e32 v0, v2
	v_bfe_u32 v3, v4, 27, 4
	v_min_u32_e32 v4, 32, v0
	v_subrev_u32_e32 v0, 28, v4
	v_lshlrev_b64 v[0:1], v0, v[8:9]
	v_sub_u32_e32 v1, 29, v4
	v_cmp_eq_u32_e32 vcc, 0, v3
	v_and_b32_e32 v0, 7, v0
	s_nop 0
	v_cndmask_b32_e32 v1, v3, v1, vcc
	v_cndmask_b32_e32 v0, v2, v0, vcc
	v_lshlrev_b32_e32 v2, 8, v8
	v_lshl_add_u32 v1, v1, 10, v23
	v_and_or_b32 v1, v2, s55, v1
	v_lshl_or_b32 v0, v0, 7, v1
	v_cvt_f32_f16_e32 v0, v0
	scratch_store_dword off, v0, s32 offset:296 ; 4-byte Folded Spill
.LBB298_128:                            ;   in Loop: Header=BB298_13 Depth=1
	s_or_b64 exec, exec, s[48:49]
	flat_load_dword v4, v[48:49] offset:1032
	s_mov_b64 vcc, 0
                                        ; implicit-def: $sgpr50
	s_waitcnt vmcnt(0) lgkmcnt(0)
	v_cmp_gt_i16_sdwa s[46:47], v4, s53 src0_sel:BYTE_0 src1_sel:DWORD
	s_and_saveexec_b64 s[48:49], s[46:47]
	s_xor_b64 s[46:47], exec, s[48:49]
	s_cbranch_execnz .LBB298_802
; %bb.129:                              ;   in Loop: Header=BB298_13 Depth=1
	s_or_saveexec_b64 s[46:47], s[46:47]
	v_mov_b32_e32 v0, s50
	s_xor_b64 exec, exec, s[46:47]
	s_cbranch_execnz .LBB298_805
.LBB298_130:                            ;   in Loop: Header=BB298_13 Depth=1
	s_or_b64 exec, exec, s[46:47]
	s_and_saveexec_b64 s[46:47], vcc
	s_cbranch_execz .LBB298_132
.LBB298_131:                            ;   in Loop: Header=BB298_13 Depth=1
	v_and_b32_e32 v2, 7, v4
	v_ffbh_u32_e32 v0, v2
	v_min_u32_e32 v6, 32, v0
	v_subrev_u32_e32 v0, 28, v6
	v_bfe_u32 v3, v4, 3, 4
	v_lshlrev_b64 v[0:1], v0, v[4:5]
	v_sub_u32_e32 v1, 29, v6
	v_cmp_eq_u32_e32 vcc, 0, v3
	v_and_b32_e32 v0, 7, v0
	s_nop 0
	v_cndmask_b32_e32 v1, v3, v1, vcc
	v_cndmask_b32_e32 v0, v2, v0, vcc
	v_lshlrev_b32_e32 v2, 8, v4
	v_lshl_add_u32 v1, v1, 10, v23
	v_and_or_b32 v1, v2, s55, v1
	v_lshl_or_b32 v0, v0, 7, v1
	v_cvt_f32_f16_e32 v0, v0
.LBB298_132:                            ;   in Loop: Header=BB298_13 Depth=1
	s_or_b64 exec, exec, s[46:47]
	v_lshrrev_b16_e32 v8, 8, v4
	v_cmp_lt_i16_e32 vcc, s53, v8
	s_mov_b64 s[46:47], 0
	scratch_store_dword off, v0, s32 offset:532 ; 4-byte Folded Spill
                                        ; implicit-def: $sgpr56
	s_and_saveexec_b64 s[48:49], vcc
	s_xor_b64 s[48:49], exec, s[48:49]
	s_cbranch_execz .LBB298_136
; %bb.133:                              ;   in Loop: Header=BB298_13 Depth=1
	v_cmp_eq_u16_e32 vcc, s54, v8
	s_mov_b64 s[46:47], -1
                                        ; implicit-def: $sgpr56
	s_and_saveexec_b64 s[50:51], vcc
; %bb.134:                              ;   in Loop: Header=BB298_13 Depth=1
	s_mov_b32 s56, 0x7fc02000
	s_xor_b64 s[46:47], exec, -1
; %bb.135:                              ;   in Loop: Header=BB298_13 Depth=1
	s_or_b64 exec, exec, s[50:51]
	s_and_b64 s[46:47], s[46:47], exec
.LBB298_136:                            ;   in Loop: Header=BB298_13 Depth=1
	s_or_saveexec_b64 s[48:49], s[48:49]
	v_mov_b32_e32 v0, s56
	scratch_store_dword off, v0, s32 offset:300 ; 4-byte Folded Spill
	s_xor_b64 exec, exec, s[48:49]
	s_cbranch_execz .LBB298_138
; %bb.137:                              ;   in Loop: Header=BB298_13 Depth=1
	v_cmp_ne_u16_e32 vcc, 0, v8
	s_andn2_b64 s[46:47], s[46:47], exec
	s_and_b64 vcc, vcc, exec
	v_mov_b32_e32 v0, 0
	s_or_b64 s[46:47], s[46:47], vcc
	scratch_store_dword off, v0, s32 offset:300 ; 4-byte Folded Spill
.LBB298_138:                            ;   in Loop: Header=BB298_13 Depth=1
	s_or_b64 exec, exec, s[48:49]
	s_and_saveexec_b64 s[48:49], s[46:47]
	s_cbranch_execz .LBB298_140
; %bb.139:                              ;   in Loop: Header=BB298_13 Depth=1
	v_and_b32_e32 v2, 7, v8
	v_ffbh_u32_e32 v0, v2
	v_min_u32_e32 v6, 32, v0
	v_subrev_u32_e32 v0, 28, v6
	v_bfe_u32 v3, v8, 3, 4
	v_lshlrev_b64 v[0:1], v0, v[8:9]
	v_sub_u32_e32 v1, 29, v6
	v_cmp_eq_u32_e32 vcc, 0, v3
	v_and_b32_e32 v0, 7, v0
	s_nop 0
	v_cndmask_b32_e32 v1, v3, v1, vcc
	v_cndmask_b32_e32 v0, v2, v0, vcc
	v_lshlrev_b32_e32 v2, 8, v8
	v_lshl_add_u32 v1, v1, 10, v23
	v_and_or_b32 v1, v2, s55, v1
	v_lshl_or_b32 v0, v0, 7, v1
	v_cvt_f32_f16_e32 v0, v0
	scratch_store_dword off, v0, s32 offset:300 ; 4-byte Folded Spill
.LBB298_140:                            ;   in Loop: Header=BB298_13 Depth=1
	s_or_b64 exec, exec, s[48:49]
	v_lshrrev_b32_e32 v8, 16, v4
	v_cmp_gt_i16_sdwa s[46:47], v8, s53 src0_sel:BYTE_0 src1_sel:DWORD
	s_mov_b64 vcc, 0
                                        ; implicit-def: $sgpr50
	s_and_saveexec_b64 s[48:49], s[46:47]
	s_xor_b64 s[46:47], exec, s[48:49]
	s_cbranch_execz .LBB298_144
; %bb.141:                              ;   in Loop: Header=BB298_13 Depth=1
	v_cmp_eq_u16_sdwa s[56:57], v8, s54 src0_sel:BYTE_0 src1_sel:DWORD
	s_mov_b64 vcc, -1
                                        ; implicit-def: $sgpr50
	s_and_saveexec_b64 s[48:49], s[56:57]
; %bb.142:                              ;   in Loop: Header=BB298_13 Depth=1
	s_mov_b32 s50, 0x7fc02000
	s_xor_b64 vcc, exec, -1
; %bb.143:                              ;   in Loop: Header=BB298_13 Depth=1
	s_or_b64 exec, exec, s[48:49]
	s_and_b64 vcc, vcc, exec
.LBB298_144:                            ;   in Loop: Header=BB298_13 Depth=1
	s_or_saveexec_b64 s[46:47], s[46:47]
	v_mov_b32_e32 v0, s50
	scratch_store_dword off, v0, s32 offset:304 ; 4-byte Folded Spill
	s_xor_b64 exec, exec, s[46:47]
	s_cbranch_execz .LBB298_146
; %bb.145:                              ;   in Loop: Header=BB298_13 Depth=1
	v_cmp_ne_u16_sdwa s[48:49], v8, v9 src0_sel:BYTE_0 src1_sel:DWORD
	s_andn2_b64 vcc, vcc, exec
	s_and_b64 s[48:49], s[48:49], exec
	v_mov_b32_e32 v0, 0
	s_or_b64 vcc, vcc, s[48:49]
	scratch_store_dword off, v0, s32 offset:304 ; 4-byte Folded Spill
.LBB298_146:                            ;   in Loop: Header=BB298_13 Depth=1
	s_or_b64 exec, exec, s[46:47]
	s_and_saveexec_b64 s[46:47], vcc
	s_cbranch_execz .LBB298_148
; %bb.147:                              ;   in Loop: Header=BB298_13 Depth=1
	v_bfe_u32 v2, v4, 16, 3
	v_ffbh_u32_e32 v0, v2
	v_min_u32_e32 v6, 32, v0
	v_subrev_u32_e32 v0, 28, v6
	v_bfe_u32 v3, v4, 19, 4
	v_lshlrev_b64 v[0:1], v0, v[8:9]
	v_sub_u32_e32 v1, 29, v6
	v_cmp_eq_u32_e32 vcc, 0, v3
	v_and_b32_e32 v0, 7, v0
	s_nop 0
	v_cndmask_b32_e32 v1, v3, v1, vcc
	v_cndmask_b32_e32 v0, v2, v0, vcc
	v_lshlrev_b32_e32 v2, 8, v8
	v_lshl_add_u32 v1, v1, 10, v23
	v_and_or_b32 v1, v2, s55, v1
	v_lshl_or_b32 v0, v0, 7, v1
	v_cvt_f32_f16_e32 v0, v0
	scratch_store_dword off, v0, s32 offset:304 ; 4-byte Folded Spill
.LBB298_148:                            ;   in Loop: Header=BB298_13 Depth=1
	s_or_b64 exec, exec, s[46:47]
	v_lshrrev_b32_e32 v8, 24, v4
	v_cmp_lt_i16_e32 vcc, s53, v8
	s_mov_b64 s[46:47], 0
                                        ; implicit-def: $sgpr56
	s_and_saveexec_b64 s[48:49], vcc
	s_xor_b64 s[48:49], exec, s[48:49]
	s_cbranch_execz .LBB298_152
; %bb.149:                              ;   in Loop: Header=BB298_13 Depth=1
	v_cmp_eq_u16_e32 vcc, s54, v8
	s_mov_b64 s[46:47], -1
                                        ; implicit-def: $sgpr56
	s_and_saveexec_b64 s[50:51], vcc
; %bb.150:                              ;   in Loop: Header=BB298_13 Depth=1
	s_mov_b32 s56, 0x7fc02000
	s_xor_b64 s[46:47], exec, -1
; %bb.151:                              ;   in Loop: Header=BB298_13 Depth=1
	s_or_b64 exec, exec, s[50:51]
	s_and_b64 s[46:47], s[46:47], exec
.LBB298_152:                            ;   in Loop: Header=BB298_13 Depth=1
	s_or_saveexec_b64 s[48:49], s[48:49]
	v_mov_b32_e32 v0, s56
	scratch_store_dword off, v0, s32 offset:308 ; 4-byte Folded Spill
	s_xor_b64 exec, exec, s[48:49]
	s_cbranch_execz .LBB298_154
; %bb.153:                              ;   in Loop: Header=BB298_13 Depth=1
	v_cmp_ne_u16_e32 vcc, 0, v8
	s_andn2_b64 s[46:47], s[46:47], exec
	s_and_b64 vcc, vcc, exec
	v_mov_b32_e32 v0, 0
	s_or_b64 s[46:47], s[46:47], vcc
	scratch_store_dword off, v0, s32 offset:308 ; 4-byte Folded Spill
.LBB298_154:                            ;   in Loop: Header=BB298_13 Depth=1
	s_or_b64 exec, exec, s[48:49]
	s_and_saveexec_b64 s[48:49], s[46:47]
	s_cbranch_execz .LBB298_156
; %bb.155:                              ;   in Loop: Header=BB298_13 Depth=1
	v_bfe_u32 v2, v4, 24, 3
	v_ffbh_u32_e32 v0, v2
	v_bfe_u32 v3, v4, 27, 4
	v_min_u32_e32 v4, 32, v0
	v_subrev_u32_e32 v0, 28, v4
	v_lshlrev_b64 v[0:1], v0, v[8:9]
	v_sub_u32_e32 v1, 29, v4
	v_cmp_eq_u32_e32 vcc, 0, v3
	v_and_b32_e32 v0, 7, v0
	s_nop 0
	v_cndmask_b32_e32 v1, v3, v1, vcc
	v_cndmask_b32_e32 v0, v2, v0, vcc
	v_lshlrev_b32_e32 v2, 8, v8
	v_lshl_add_u32 v1, v1, 10, v23
	v_and_or_b32 v1, v2, s55, v1
	v_lshl_or_b32 v0, v0, 7, v1
	v_cvt_f32_f16_e32 v0, v0
	scratch_store_dword off, v0, s32 offset:308 ; 4-byte Folded Spill
.LBB298_156:                            ;   in Loop: Header=BB298_13 Depth=1
	s_or_b64 exec, exec, s[48:49]
	flat_load_dword v4, v[48:49] offset:1536
	s_mov_b64 vcc, 0
                                        ; implicit-def: $sgpr50
	s_waitcnt vmcnt(0) lgkmcnt(0)
	v_cmp_gt_i16_sdwa s[46:47], v4, s53 src0_sel:BYTE_0 src1_sel:DWORD
	s_and_saveexec_b64 s[48:49], s[46:47]
	s_xor_b64 s[46:47], exec, s[48:49]
	s_cbranch_execnz .LBB298_806
; %bb.157:                              ;   in Loop: Header=BB298_13 Depth=1
	s_or_saveexec_b64 s[46:47], s[46:47]
	v_mov_b32_e32 v0, s50
	s_xor_b64 exec, exec, s[46:47]
	s_cbranch_execnz .LBB298_809
.LBB298_158:                            ;   in Loop: Header=BB298_13 Depth=1
	s_or_b64 exec, exec, s[46:47]
	s_and_saveexec_b64 s[46:47], vcc
	s_cbranch_execz .LBB298_160
.LBB298_159:                            ;   in Loop: Header=BB298_13 Depth=1
	v_and_b32_e32 v2, 7, v4
	v_ffbh_u32_e32 v0, v2
	v_min_u32_e32 v6, 32, v0
	v_subrev_u32_e32 v0, 28, v6
	v_bfe_u32 v3, v4, 3, 4
	v_lshlrev_b64 v[0:1], v0, v[4:5]
	v_sub_u32_e32 v1, 29, v6
	v_cmp_eq_u32_e32 vcc, 0, v3
	v_and_b32_e32 v0, 7, v0
	s_nop 0
	v_cndmask_b32_e32 v1, v3, v1, vcc
	v_cndmask_b32_e32 v0, v2, v0, vcc
	v_lshlrev_b32_e32 v2, 8, v4
	v_lshl_add_u32 v1, v1, 10, v23
	v_and_or_b32 v1, v2, s55, v1
	v_lshl_or_b32 v0, v0, 7, v1
	v_cvt_f32_f16_e32 v0, v0
.LBB298_160:                            ;   in Loop: Header=BB298_13 Depth=1
	s_or_b64 exec, exec, s[46:47]
	v_lshrrev_b16_e32 v8, 8, v4
	v_cmp_lt_i16_e32 vcc, s53, v8
	s_mov_b64 s[46:47], 0
	scratch_store_dword off, v0, s32 offset:536 ; 4-byte Folded Spill
                                        ; implicit-def: $sgpr56
	s_and_saveexec_b64 s[48:49], vcc
	s_xor_b64 s[48:49], exec, s[48:49]
	s_cbranch_execz .LBB298_164
; %bb.161:                              ;   in Loop: Header=BB298_13 Depth=1
	v_cmp_eq_u16_e32 vcc, s54, v8
	s_mov_b64 s[46:47], -1
                                        ; implicit-def: $sgpr56
	s_and_saveexec_b64 s[50:51], vcc
; %bb.162:                              ;   in Loop: Header=BB298_13 Depth=1
	s_mov_b32 s56, 0x7fc02000
	s_xor_b64 s[46:47], exec, -1
; %bb.163:                              ;   in Loop: Header=BB298_13 Depth=1
	s_or_b64 exec, exec, s[50:51]
	s_and_b64 s[46:47], s[46:47], exec
.LBB298_164:                            ;   in Loop: Header=BB298_13 Depth=1
	s_or_saveexec_b64 s[48:49], s[48:49]
	v_mov_b32_e32 v0, s56
	scratch_store_dword off, v0, s32 offset:312 ; 4-byte Folded Spill
	s_xor_b64 exec, exec, s[48:49]
	s_cbranch_execz .LBB298_166
; %bb.165:                              ;   in Loop: Header=BB298_13 Depth=1
	v_cmp_ne_u16_e32 vcc, 0, v8
	s_andn2_b64 s[46:47], s[46:47], exec
	s_and_b64 vcc, vcc, exec
	v_mov_b32_e32 v0, 0
	s_or_b64 s[46:47], s[46:47], vcc
	scratch_store_dword off, v0, s32 offset:312 ; 4-byte Folded Spill
.LBB298_166:                            ;   in Loop: Header=BB298_13 Depth=1
	s_or_b64 exec, exec, s[48:49]
	s_and_saveexec_b64 s[48:49], s[46:47]
	s_cbranch_execz .LBB298_168
; %bb.167:                              ;   in Loop: Header=BB298_13 Depth=1
	v_and_b32_e32 v2, 7, v8
	v_ffbh_u32_e32 v0, v2
	v_min_u32_e32 v6, 32, v0
	v_subrev_u32_e32 v0, 28, v6
	v_bfe_u32 v3, v8, 3, 4
	v_lshlrev_b64 v[0:1], v0, v[8:9]
	v_sub_u32_e32 v1, 29, v6
	v_cmp_eq_u32_e32 vcc, 0, v3
	v_and_b32_e32 v0, 7, v0
	s_nop 0
	v_cndmask_b32_e32 v1, v3, v1, vcc
	v_cndmask_b32_e32 v0, v2, v0, vcc
	v_lshlrev_b32_e32 v2, 8, v8
	v_lshl_add_u32 v1, v1, 10, v23
	v_and_or_b32 v1, v2, s55, v1
	v_lshl_or_b32 v0, v0, 7, v1
	v_cvt_f32_f16_e32 v0, v0
	scratch_store_dword off, v0, s32 offset:312 ; 4-byte Folded Spill
.LBB298_168:                            ;   in Loop: Header=BB298_13 Depth=1
	s_or_b64 exec, exec, s[48:49]
	v_lshrrev_b32_e32 v8, 16, v4
	v_cmp_gt_i16_sdwa s[46:47], v8, s53 src0_sel:BYTE_0 src1_sel:DWORD
	s_mov_b64 vcc, 0
                                        ; implicit-def: $sgpr50
	s_and_saveexec_b64 s[48:49], s[46:47]
	s_xor_b64 s[46:47], exec, s[48:49]
	s_cbranch_execz .LBB298_172
; %bb.169:                              ;   in Loop: Header=BB298_13 Depth=1
	v_cmp_eq_u16_sdwa s[56:57], v8, s54 src0_sel:BYTE_0 src1_sel:DWORD
	s_mov_b64 vcc, -1
                                        ; implicit-def: $sgpr50
	s_and_saveexec_b64 s[48:49], s[56:57]
; %bb.170:                              ;   in Loop: Header=BB298_13 Depth=1
	s_mov_b32 s50, 0x7fc02000
	s_xor_b64 vcc, exec, -1
; %bb.171:                              ;   in Loop: Header=BB298_13 Depth=1
	s_or_b64 exec, exec, s[48:49]
	s_and_b64 vcc, vcc, exec
.LBB298_172:                            ;   in Loop: Header=BB298_13 Depth=1
	s_or_saveexec_b64 s[46:47], s[46:47]
	v_mov_b32_e32 v0, s50
	scratch_store_dword off, v0, s32 offset:316 ; 4-byte Folded Spill
	s_xor_b64 exec, exec, s[46:47]
	s_cbranch_execz .LBB298_174
; %bb.173:                              ;   in Loop: Header=BB298_13 Depth=1
	v_cmp_ne_u16_sdwa s[48:49], v8, v9 src0_sel:BYTE_0 src1_sel:DWORD
	s_andn2_b64 vcc, vcc, exec
	s_and_b64 s[48:49], s[48:49], exec
	v_mov_b32_e32 v0, 0
	s_or_b64 vcc, vcc, s[48:49]
	scratch_store_dword off, v0, s32 offset:316 ; 4-byte Folded Spill
.LBB298_174:                            ;   in Loop: Header=BB298_13 Depth=1
	s_or_b64 exec, exec, s[46:47]
	s_and_saveexec_b64 s[46:47], vcc
	s_cbranch_execz .LBB298_176
; %bb.175:                              ;   in Loop: Header=BB298_13 Depth=1
	v_bfe_u32 v2, v4, 16, 3
	v_ffbh_u32_e32 v0, v2
	v_min_u32_e32 v6, 32, v0
	v_subrev_u32_e32 v0, 28, v6
	v_bfe_u32 v3, v4, 19, 4
	v_lshlrev_b64 v[0:1], v0, v[8:9]
	v_sub_u32_e32 v1, 29, v6
	v_cmp_eq_u32_e32 vcc, 0, v3
	v_and_b32_e32 v0, 7, v0
	s_nop 0
	v_cndmask_b32_e32 v1, v3, v1, vcc
	v_cndmask_b32_e32 v0, v2, v0, vcc
	v_lshlrev_b32_e32 v2, 8, v8
	v_lshl_add_u32 v1, v1, 10, v23
	v_and_or_b32 v1, v2, s55, v1
	v_lshl_or_b32 v0, v0, 7, v1
	v_cvt_f32_f16_e32 v0, v0
	scratch_store_dword off, v0, s32 offset:316 ; 4-byte Folded Spill
.LBB298_176:                            ;   in Loop: Header=BB298_13 Depth=1
	s_or_b64 exec, exec, s[46:47]
	v_lshrrev_b32_e32 v8, 24, v4
	v_cmp_lt_i16_e32 vcc, s53, v8
	s_mov_b64 s[46:47], 0
                                        ; implicit-def: $sgpr56
	s_and_saveexec_b64 s[48:49], vcc
	s_xor_b64 s[48:49], exec, s[48:49]
	s_cbranch_execz .LBB298_180
; %bb.177:                              ;   in Loop: Header=BB298_13 Depth=1
	v_cmp_eq_u16_e32 vcc, s54, v8
	s_mov_b64 s[46:47], -1
                                        ; implicit-def: $sgpr56
	s_and_saveexec_b64 s[50:51], vcc
; %bb.178:                              ;   in Loop: Header=BB298_13 Depth=1
	s_mov_b32 s56, 0x7fc02000
	s_xor_b64 s[46:47], exec, -1
; %bb.179:                              ;   in Loop: Header=BB298_13 Depth=1
	s_or_b64 exec, exec, s[50:51]
	s_and_b64 s[46:47], s[46:47], exec
.LBB298_180:                            ;   in Loop: Header=BB298_13 Depth=1
	s_or_saveexec_b64 s[48:49], s[48:49]
	v_mov_b32_e32 v0, s56
	scratch_store_dword off, v0, s32 offset:320 ; 4-byte Folded Spill
	s_xor_b64 exec, exec, s[48:49]
	s_cbranch_execz .LBB298_182
; %bb.181:                              ;   in Loop: Header=BB298_13 Depth=1
	v_cmp_ne_u16_e32 vcc, 0, v8
	s_andn2_b64 s[46:47], s[46:47], exec
	s_and_b64 vcc, vcc, exec
	v_mov_b32_e32 v0, 0
	s_or_b64 s[46:47], s[46:47], vcc
	scratch_store_dword off, v0, s32 offset:320 ; 4-byte Folded Spill
.LBB298_182:                            ;   in Loop: Header=BB298_13 Depth=1
	s_or_b64 exec, exec, s[48:49]
	s_and_saveexec_b64 s[48:49], s[46:47]
	s_cbranch_execz .LBB298_184
; %bb.183:                              ;   in Loop: Header=BB298_13 Depth=1
	v_bfe_u32 v2, v4, 24, 3
	v_ffbh_u32_e32 v0, v2
	v_bfe_u32 v3, v4, 27, 4
	v_min_u32_e32 v4, 32, v0
	v_subrev_u32_e32 v0, 28, v4
	v_lshlrev_b64 v[0:1], v0, v[8:9]
	v_sub_u32_e32 v1, 29, v4
	v_cmp_eq_u32_e32 vcc, 0, v3
	v_and_b32_e32 v0, 7, v0
	s_nop 0
	v_cndmask_b32_e32 v1, v3, v1, vcc
	v_cndmask_b32_e32 v0, v2, v0, vcc
	v_lshlrev_b32_e32 v2, 8, v8
	v_lshl_add_u32 v1, v1, 10, v23
	v_and_or_b32 v1, v2, s55, v1
	v_lshl_or_b32 v0, v0, 7, v1
	v_cvt_f32_f16_e32 v0, v0
	scratch_store_dword off, v0, s32 offset:320 ; 4-byte Folded Spill
.LBB298_184:                            ;   in Loop: Header=BB298_13 Depth=1
	s_or_b64 exec, exec, s[48:49]
	flat_load_dword v4, v[48:49] offset:1544
	s_mov_b64 vcc, 0
                                        ; implicit-def: $sgpr50
	s_waitcnt vmcnt(0) lgkmcnt(0)
	v_cmp_gt_i16_sdwa s[46:47], v4, s53 src0_sel:BYTE_0 src1_sel:DWORD
	s_and_saveexec_b64 s[48:49], s[46:47]
	s_xor_b64 s[46:47], exec, s[48:49]
	s_cbranch_execnz .LBB298_810
; %bb.185:                              ;   in Loop: Header=BB298_13 Depth=1
	s_or_saveexec_b64 s[46:47], s[46:47]
	v_mov_b32_e32 v0, s50
	s_xor_b64 exec, exec, s[46:47]
	s_cbranch_execnz .LBB298_813
.LBB298_186:                            ;   in Loop: Header=BB298_13 Depth=1
	s_or_b64 exec, exec, s[46:47]
	s_and_saveexec_b64 s[46:47], vcc
	s_cbranch_execz .LBB298_188
.LBB298_187:                            ;   in Loop: Header=BB298_13 Depth=1
	v_and_b32_e32 v2, 7, v4
	v_ffbh_u32_e32 v0, v2
	v_min_u32_e32 v6, 32, v0
	v_subrev_u32_e32 v0, 28, v6
	v_bfe_u32 v3, v4, 3, 4
	v_lshlrev_b64 v[0:1], v0, v[4:5]
	v_sub_u32_e32 v1, 29, v6
	v_cmp_eq_u32_e32 vcc, 0, v3
	v_and_b32_e32 v0, 7, v0
	s_nop 0
	v_cndmask_b32_e32 v1, v3, v1, vcc
	v_cndmask_b32_e32 v0, v2, v0, vcc
	v_lshlrev_b32_e32 v2, 8, v4
	v_lshl_add_u32 v1, v1, 10, v23
	v_and_or_b32 v1, v2, s55, v1
	v_lshl_or_b32 v0, v0, 7, v1
	v_cvt_f32_f16_e32 v0, v0
.LBB298_188:                            ;   in Loop: Header=BB298_13 Depth=1
	s_or_b64 exec, exec, s[46:47]
	v_lshrrev_b16_e32 v8, 8, v4
	v_cmp_lt_i16_e32 vcc, s53, v8
	s_mov_b64 s[46:47], 0
	scratch_store_dword off, v0, s32 offset:540 ; 4-byte Folded Spill
                                        ; implicit-def: $sgpr56
	s_and_saveexec_b64 s[48:49], vcc
	s_xor_b64 s[48:49], exec, s[48:49]
	s_cbranch_execz .LBB298_192
; %bb.189:                              ;   in Loop: Header=BB298_13 Depth=1
	v_cmp_eq_u16_e32 vcc, s54, v8
	s_mov_b64 s[46:47], -1
                                        ; implicit-def: $sgpr56
	s_and_saveexec_b64 s[50:51], vcc
; %bb.190:                              ;   in Loop: Header=BB298_13 Depth=1
	s_mov_b32 s56, 0x7fc02000
	s_xor_b64 s[46:47], exec, -1
; %bb.191:                              ;   in Loop: Header=BB298_13 Depth=1
	s_or_b64 exec, exec, s[50:51]
	s_and_b64 s[46:47], s[46:47], exec
.LBB298_192:                            ;   in Loop: Header=BB298_13 Depth=1
	s_or_saveexec_b64 s[48:49], s[48:49]
	v_mov_b32_e32 v0, s56
	scratch_store_dword off, v0, s32 offset:324 ; 4-byte Folded Spill
	s_xor_b64 exec, exec, s[48:49]
	s_cbranch_execz .LBB298_194
; %bb.193:                              ;   in Loop: Header=BB298_13 Depth=1
	v_cmp_ne_u16_e32 vcc, 0, v8
	s_andn2_b64 s[46:47], s[46:47], exec
	s_and_b64 vcc, vcc, exec
	v_mov_b32_e32 v0, 0
	s_or_b64 s[46:47], s[46:47], vcc
	scratch_store_dword off, v0, s32 offset:324 ; 4-byte Folded Spill
.LBB298_194:                            ;   in Loop: Header=BB298_13 Depth=1
	s_or_b64 exec, exec, s[48:49]
	s_and_saveexec_b64 s[48:49], s[46:47]
	s_cbranch_execz .LBB298_196
; %bb.195:                              ;   in Loop: Header=BB298_13 Depth=1
	v_and_b32_e32 v2, 7, v8
	v_ffbh_u32_e32 v0, v2
	v_min_u32_e32 v6, 32, v0
	v_subrev_u32_e32 v0, 28, v6
	v_bfe_u32 v3, v8, 3, 4
	v_lshlrev_b64 v[0:1], v0, v[8:9]
	v_sub_u32_e32 v1, 29, v6
	v_cmp_eq_u32_e32 vcc, 0, v3
	v_and_b32_e32 v0, 7, v0
	s_nop 0
	v_cndmask_b32_e32 v1, v3, v1, vcc
	v_cndmask_b32_e32 v0, v2, v0, vcc
	v_lshlrev_b32_e32 v2, 8, v8
	v_lshl_add_u32 v1, v1, 10, v23
	v_and_or_b32 v1, v2, s55, v1
	v_lshl_or_b32 v0, v0, 7, v1
	v_cvt_f32_f16_e32 v0, v0
	scratch_store_dword off, v0, s32 offset:324 ; 4-byte Folded Spill
.LBB298_196:                            ;   in Loop: Header=BB298_13 Depth=1
	s_or_b64 exec, exec, s[48:49]
	v_lshrrev_b32_e32 v8, 16, v4
	v_cmp_gt_i16_sdwa s[46:47], v8, s53 src0_sel:BYTE_0 src1_sel:DWORD
	s_mov_b64 vcc, 0
                                        ; implicit-def: $sgpr50
	s_and_saveexec_b64 s[48:49], s[46:47]
	s_xor_b64 s[46:47], exec, s[48:49]
	s_cbranch_execz .LBB298_200
; %bb.197:                              ;   in Loop: Header=BB298_13 Depth=1
	v_cmp_eq_u16_sdwa s[56:57], v8, s54 src0_sel:BYTE_0 src1_sel:DWORD
	s_mov_b64 vcc, -1
                                        ; implicit-def: $sgpr50
	s_and_saveexec_b64 s[48:49], s[56:57]
; %bb.198:                              ;   in Loop: Header=BB298_13 Depth=1
	s_mov_b32 s50, 0x7fc02000
	s_xor_b64 vcc, exec, -1
; %bb.199:                              ;   in Loop: Header=BB298_13 Depth=1
	s_or_b64 exec, exec, s[48:49]
	s_and_b64 vcc, vcc, exec
.LBB298_200:                            ;   in Loop: Header=BB298_13 Depth=1
	s_or_saveexec_b64 s[46:47], s[46:47]
	v_mov_b32_e32 v0, s50
	scratch_store_dword off, v0, s32 offset:328 ; 4-byte Folded Spill
	s_xor_b64 exec, exec, s[46:47]
	s_cbranch_execz .LBB298_202
; %bb.201:                              ;   in Loop: Header=BB298_13 Depth=1
	v_cmp_ne_u16_sdwa s[48:49], v8, v9 src0_sel:BYTE_0 src1_sel:DWORD
	s_andn2_b64 vcc, vcc, exec
	s_and_b64 s[48:49], s[48:49], exec
	v_mov_b32_e32 v0, 0
	s_or_b64 vcc, vcc, s[48:49]
	scratch_store_dword off, v0, s32 offset:328 ; 4-byte Folded Spill
.LBB298_202:                            ;   in Loop: Header=BB298_13 Depth=1
	s_or_b64 exec, exec, s[46:47]
	s_and_saveexec_b64 s[46:47], vcc
	s_cbranch_execz .LBB298_204
; %bb.203:                              ;   in Loop: Header=BB298_13 Depth=1
	v_bfe_u32 v2, v4, 16, 3
	v_ffbh_u32_e32 v0, v2
	v_min_u32_e32 v6, 32, v0
	v_subrev_u32_e32 v0, 28, v6
	v_bfe_u32 v3, v4, 19, 4
	v_lshlrev_b64 v[0:1], v0, v[8:9]
	v_sub_u32_e32 v1, 29, v6
	v_cmp_eq_u32_e32 vcc, 0, v3
	v_and_b32_e32 v0, 7, v0
	s_nop 0
	v_cndmask_b32_e32 v1, v3, v1, vcc
	v_cndmask_b32_e32 v0, v2, v0, vcc
	v_lshlrev_b32_e32 v2, 8, v8
	v_lshl_add_u32 v1, v1, 10, v23
	v_and_or_b32 v1, v2, s55, v1
	v_lshl_or_b32 v0, v0, 7, v1
	v_cvt_f32_f16_e32 v0, v0
	scratch_store_dword off, v0, s32 offset:328 ; 4-byte Folded Spill
.LBB298_204:                            ;   in Loop: Header=BB298_13 Depth=1
	s_or_b64 exec, exec, s[46:47]
	v_lshrrev_b32_e32 v8, 24, v4
	v_cmp_lt_i16_e32 vcc, s53, v8
	s_mov_b64 s[46:47], 0
                                        ; implicit-def: $sgpr56
	s_and_saveexec_b64 s[48:49], vcc
	s_xor_b64 s[48:49], exec, s[48:49]
	s_cbranch_execz .LBB298_208
; %bb.205:                              ;   in Loop: Header=BB298_13 Depth=1
	v_cmp_eq_u16_e32 vcc, s54, v8
	s_mov_b64 s[46:47], -1
                                        ; implicit-def: $sgpr56
	s_and_saveexec_b64 s[50:51], vcc
; %bb.206:                              ;   in Loop: Header=BB298_13 Depth=1
	s_mov_b32 s56, 0x7fc02000
	s_xor_b64 s[46:47], exec, -1
; %bb.207:                              ;   in Loop: Header=BB298_13 Depth=1
	s_or_b64 exec, exec, s[50:51]
	s_and_b64 s[46:47], s[46:47], exec
.LBB298_208:                            ;   in Loop: Header=BB298_13 Depth=1
	s_or_saveexec_b64 s[48:49], s[48:49]
	v_mov_b32_e32 v0, s56
	scratch_store_dword off, v0, s32 offset:332 ; 4-byte Folded Spill
	s_xor_b64 exec, exec, s[48:49]
	s_cbranch_execz .LBB298_210
; %bb.209:                              ;   in Loop: Header=BB298_13 Depth=1
	v_cmp_ne_u16_e32 vcc, 0, v8
	s_andn2_b64 s[46:47], s[46:47], exec
	s_and_b64 vcc, vcc, exec
	v_mov_b32_e32 v0, 0
	s_or_b64 s[46:47], s[46:47], vcc
	scratch_store_dword off, v0, s32 offset:332 ; 4-byte Folded Spill
.LBB298_210:                            ;   in Loop: Header=BB298_13 Depth=1
	s_or_b64 exec, exec, s[48:49]
	s_and_saveexec_b64 s[48:49], s[46:47]
	s_cbranch_execz .LBB298_212
; %bb.211:                              ;   in Loop: Header=BB298_13 Depth=1
	v_bfe_u32 v2, v4, 24, 3
	v_ffbh_u32_e32 v0, v2
	v_bfe_u32 v3, v4, 27, 4
	v_min_u32_e32 v4, 32, v0
	v_subrev_u32_e32 v0, 28, v4
	v_lshlrev_b64 v[0:1], v0, v[8:9]
	v_sub_u32_e32 v1, 29, v4
	v_cmp_eq_u32_e32 vcc, 0, v3
	v_and_b32_e32 v0, 7, v0
	s_nop 0
	v_cndmask_b32_e32 v1, v3, v1, vcc
	v_cndmask_b32_e32 v0, v2, v0, vcc
	v_lshlrev_b32_e32 v2, 8, v8
	v_lshl_add_u32 v1, v1, 10, v23
	v_and_or_b32 v1, v2, s55, v1
	v_lshl_or_b32 v0, v0, 7, v1
	v_cvt_f32_f16_e32 v0, v0
	scratch_store_dword off, v0, s32 offset:332 ; 4-byte Folded Spill
.LBB298_212:                            ;   in Loop: Header=BB298_13 Depth=1
	s_or_b64 exec, exec, s[48:49]
	flat_load_dword v4, v[48:49] offset:2048
	s_mov_b64 vcc, 0
                                        ; implicit-def: $sgpr50
	s_waitcnt vmcnt(0) lgkmcnt(0)
	v_cmp_gt_i16_sdwa s[46:47], v4, s53 src0_sel:BYTE_0 src1_sel:DWORD
	s_and_saveexec_b64 s[48:49], s[46:47]
	s_xor_b64 s[46:47], exec, s[48:49]
	s_cbranch_execnz .LBB298_814
; %bb.213:                              ;   in Loop: Header=BB298_13 Depth=1
	s_or_saveexec_b64 s[46:47], s[46:47]
	v_mov_b32_e32 v0, s50
	s_xor_b64 exec, exec, s[46:47]
	s_cbranch_execnz .LBB298_817
.LBB298_214:                            ;   in Loop: Header=BB298_13 Depth=1
	s_or_b64 exec, exec, s[46:47]
	s_and_saveexec_b64 s[46:47], vcc
	s_cbranch_execz .LBB298_216
.LBB298_215:                            ;   in Loop: Header=BB298_13 Depth=1
	v_and_b32_e32 v2, 7, v4
	v_ffbh_u32_e32 v0, v2
	v_min_u32_e32 v6, 32, v0
	v_subrev_u32_e32 v0, 28, v6
	v_bfe_u32 v3, v4, 3, 4
	v_lshlrev_b64 v[0:1], v0, v[4:5]
	v_sub_u32_e32 v1, 29, v6
	v_cmp_eq_u32_e32 vcc, 0, v3
	v_and_b32_e32 v0, 7, v0
	s_nop 0
	v_cndmask_b32_e32 v1, v3, v1, vcc
	v_cndmask_b32_e32 v0, v2, v0, vcc
	v_lshlrev_b32_e32 v2, 8, v4
	v_lshl_add_u32 v1, v1, 10, v23
	v_and_or_b32 v1, v2, s55, v1
	v_lshl_or_b32 v0, v0, 7, v1
	v_cvt_f32_f16_e32 v0, v0
.LBB298_216:                            ;   in Loop: Header=BB298_13 Depth=1
	s_or_b64 exec, exec, s[46:47]
	v_lshrrev_b16_e32 v8, 8, v4
	v_cmp_lt_i16_e32 vcc, s53, v8
	s_mov_b64 s[46:47], 0
	scratch_store_dword off, v0, s32 offset:544 ; 4-byte Folded Spill
                                        ; implicit-def: $sgpr56
	s_and_saveexec_b64 s[48:49], vcc
	s_xor_b64 s[48:49], exec, s[48:49]
	s_cbranch_execz .LBB298_220
; %bb.217:                              ;   in Loop: Header=BB298_13 Depth=1
	v_cmp_eq_u16_e32 vcc, s54, v8
	s_mov_b64 s[46:47], -1
                                        ; implicit-def: $sgpr56
	s_and_saveexec_b64 s[50:51], vcc
; %bb.218:                              ;   in Loop: Header=BB298_13 Depth=1
	s_mov_b32 s56, 0x7fc02000
	s_xor_b64 s[46:47], exec, -1
; %bb.219:                              ;   in Loop: Header=BB298_13 Depth=1
	s_or_b64 exec, exec, s[50:51]
	s_and_b64 s[46:47], s[46:47], exec
.LBB298_220:                            ;   in Loop: Header=BB298_13 Depth=1
	s_or_saveexec_b64 s[48:49], s[48:49]
	v_mov_b32_e32 v0, s56
	scratch_store_dword off, v0, s32 offset:336 ; 4-byte Folded Spill
	s_xor_b64 exec, exec, s[48:49]
	s_cbranch_execz .LBB298_222
; %bb.221:                              ;   in Loop: Header=BB298_13 Depth=1
	v_cmp_ne_u16_e32 vcc, 0, v8
	s_andn2_b64 s[46:47], s[46:47], exec
	s_and_b64 vcc, vcc, exec
	v_mov_b32_e32 v0, 0
	s_or_b64 s[46:47], s[46:47], vcc
	scratch_store_dword off, v0, s32 offset:336 ; 4-byte Folded Spill
.LBB298_222:                            ;   in Loop: Header=BB298_13 Depth=1
	s_or_b64 exec, exec, s[48:49]
	s_and_saveexec_b64 s[48:49], s[46:47]
	s_cbranch_execz .LBB298_224
; %bb.223:                              ;   in Loop: Header=BB298_13 Depth=1
	v_and_b32_e32 v2, 7, v8
	v_ffbh_u32_e32 v0, v2
	v_min_u32_e32 v6, 32, v0
	v_subrev_u32_e32 v0, 28, v6
	v_bfe_u32 v3, v8, 3, 4
	v_lshlrev_b64 v[0:1], v0, v[8:9]
	v_sub_u32_e32 v1, 29, v6
	v_cmp_eq_u32_e32 vcc, 0, v3
	v_and_b32_e32 v0, 7, v0
	s_nop 0
	v_cndmask_b32_e32 v1, v3, v1, vcc
	v_cndmask_b32_e32 v0, v2, v0, vcc
	v_lshlrev_b32_e32 v2, 8, v8
	v_lshl_add_u32 v1, v1, 10, v23
	v_and_or_b32 v1, v2, s55, v1
	v_lshl_or_b32 v0, v0, 7, v1
	v_cvt_f32_f16_e32 v0, v0
	scratch_store_dword off, v0, s32 offset:336 ; 4-byte Folded Spill
.LBB298_224:                            ;   in Loop: Header=BB298_13 Depth=1
	s_or_b64 exec, exec, s[48:49]
	v_lshrrev_b32_e32 v8, 16, v4
	v_cmp_gt_i16_sdwa s[46:47], v8, s53 src0_sel:BYTE_0 src1_sel:DWORD
	s_mov_b64 vcc, 0
                                        ; implicit-def: $sgpr50
	s_and_saveexec_b64 s[48:49], s[46:47]
	s_xor_b64 s[46:47], exec, s[48:49]
	s_cbranch_execz .LBB298_228
; %bb.225:                              ;   in Loop: Header=BB298_13 Depth=1
	v_cmp_eq_u16_sdwa s[56:57], v8, s54 src0_sel:BYTE_0 src1_sel:DWORD
	s_mov_b64 vcc, -1
                                        ; implicit-def: $sgpr50
	s_and_saveexec_b64 s[48:49], s[56:57]
; %bb.226:                              ;   in Loop: Header=BB298_13 Depth=1
	s_mov_b32 s50, 0x7fc02000
	s_xor_b64 vcc, exec, -1
; %bb.227:                              ;   in Loop: Header=BB298_13 Depth=1
	s_or_b64 exec, exec, s[48:49]
	s_and_b64 vcc, vcc, exec
.LBB298_228:                            ;   in Loop: Header=BB298_13 Depth=1
	s_or_saveexec_b64 s[46:47], s[46:47]
	v_mov_b32_e32 v0, s50
	scratch_store_dword off, v0, s32 offset:340 ; 4-byte Folded Spill
	s_xor_b64 exec, exec, s[46:47]
	s_cbranch_execz .LBB298_230
; %bb.229:                              ;   in Loop: Header=BB298_13 Depth=1
	v_cmp_ne_u16_sdwa s[48:49], v8, v9 src0_sel:BYTE_0 src1_sel:DWORD
	s_andn2_b64 vcc, vcc, exec
	s_and_b64 s[48:49], s[48:49], exec
	v_mov_b32_e32 v0, 0
	s_or_b64 vcc, vcc, s[48:49]
	scratch_store_dword off, v0, s32 offset:340 ; 4-byte Folded Spill
.LBB298_230:                            ;   in Loop: Header=BB298_13 Depth=1
	s_or_b64 exec, exec, s[46:47]
	s_and_saveexec_b64 s[46:47], vcc
	s_cbranch_execz .LBB298_232
; %bb.231:                              ;   in Loop: Header=BB298_13 Depth=1
	v_bfe_u32 v2, v4, 16, 3
	v_ffbh_u32_e32 v0, v2
	v_min_u32_e32 v6, 32, v0
	v_subrev_u32_e32 v0, 28, v6
	v_bfe_u32 v3, v4, 19, 4
	v_lshlrev_b64 v[0:1], v0, v[8:9]
	v_sub_u32_e32 v1, 29, v6
	v_cmp_eq_u32_e32 vcc, 0, v3
	v_and_b32_e32 v0, 7, v0
	s_nop 0
	v_cndmask_b32_e32 v1, v3, v1, vcc
	v_cndmask_b32_e32 v0, v2, v0, vcc
	v_lshlrev_b32_e32 v2, 8, v8
	v_lshl_add_u32 v1, v1, 10, v23
	v_and_or_b32 v1, v2, s55, v1
	v_lshl_or_b32 v0, v0, 7, v1
	v_cvt_f32_f16_e32 v0, v0
	scratch_store_dword off, v0, s32 offset:340 ; 4-byte Folded Spill
.LBB298_232:                            ;   in Loop: Header=BB298_13 Depth=1
	s_or_b64 exec, exec, s[46:47]
	v_lshrrev_b32_e32 v8, 24, v4
	v_cmp_lt_i16_e32 vcc, s53, v8
	s_mov_b64 s[46:47], 0
                                        ; implicit-def: $sgpr56
	s_and_saveexec_b64 s[48:49], vcc
	s_xor_b64 s[48:49], exec, s[48:49]
	s_cbranch_execz .LBB298_236
; %bb.233:                              ;   in Loop: Header=BB298_13 Depth=1
	v_cmp_eq_u16_e32 vcc, s54, v8
	s_mov_b64 s[46:47], -1
                                        ; implicit-def: $sgpr56
	s_and_saveexec_b64 s[50:51], vcc
; %bb.234:                              ;   in Loop: Header=BB298_13 Depth=1
	s_mov_b32 s56, 0x7fc02000
	s_xor_b64 s[46:47], exec, -1
; %bb.235:                              ;   in Loop: Header=BB298_13 Depth=1
	s_or_b64 exec, exec, s[50:51]
	s_and_b64 s[46:47], s[46:47], exec
.LBB298_236:                            ;   in Loop: Header=BB298_13 Depth=1
	s_or_saveexec_b64 s[48:49], s[48:49]
	v_mov_b32_e32 v0, s56
	scratch_store_dword off, v0, s32 offset:344 ; 4-byte Folded Spill
	s_xor_b64 exec, exec, s[48:49]
	s_cbranch_execz .LBB298_238
; %bb.237:                              ;   in Loop: Header=BB298_13 Depth=1
	v_cmp_ne_u16_e32 vcc, 0, v8
	s_andn2_b64 s[46:47], s[46:47], exec
	s_and_b64 vcc, vcc, exec
	v_mov_b32_e32 v0, 0
	s_or_b64 s[46:47], s[46:47], vcc
	scratch_store_dword off, v0, s32 offset:344 ; 4-byte Folded Spill
.LBB298_238:                            ;   in Loop: Header=BB298_13 Depth=1
	s_or_b64 exec, exec, s[48:49]
	s_and_saveexec_b64 s[48:49], s[46:47]
	s_cbranch_execz .LBB298_240
; %bb.239:                              ;   in Loop: Header=BB298_13 Depth=1
	v_bfe_u32 v2, v4, 24, 3
	v_ffbh_u32_e32 v0, v2
	v_bfe_u32 v3, v4, 27, 4
	v_min_u32_e32 v4, 32, v0
	v_subrev_u32_e32 v0, 28, v4
	v_lshlrev_b64 v[0:1], v0, v[8:9]
	v_sub_u32_e32 v1, 29, v4
	v_cmp_eq_u32_e32 vcc, 0, v3
	v_and_b32_e32 v0, 7, v0
	s_nop 0
	v_cndmask_b32_e32 v1, v3, v1, vcc
	v_cndmask_b32_e32 v0, v2, v0, vcc
	v_lshlrev_b32_e32 v2, 8, v8
	v_lshl_add_u32 v1, v1, 10, v23
	v_and_or_b32 v1, v2, s55, v1
	v_lshl_or_b32 v0, v0, 7, v1
	v_cvt_f32_f16_e32 v0, v0
	scratch_store_dword off, v0, s32 offset:344 ; 4-byte Folded Spill
.LBB298_240:                            ;   in Loop: Header=BB298_13 Depth=1
	s_or_b64 exec, exec, s[48:49]
	flat_load_dword v4, v[48:49] offset:2056
	s_mov_b64 vcc, 0
                                        ; implicit-def: $sgpr50
	s_waitcnt vmcnt(0) lgkmcnt(0)
	v_cmp_gt_i16_sdwa s[46:47], v4, s53 src0_sel:BYTE_0 src1_sel:DWORD
	s_and_saveexec_b64 s[48:49], s[46:47]
	s_xor_b64 s[46:47], exec, s[48:49]
	s_cbranch_execnz .LBB298_818
; %bb.241:                              ;   in Loop: Header=BB298_13 Depth=1
	s_or_saveexec_b64 s[46:47], s[46:47]
	v_mov_b32_e32 v0, s50
	s_xor_b64 exec, exec, s[46:47]
	s_cbranch_execnz .LBB298_821
.LBB298_242:                            ;   in Loop: Header=BB298_13 Depth=1
	s_or_b64 exec, exec, s[46:47]
	s_and_saveexec_b64 s[46:47], vcc
	s_cbranch_execz .LBB298_244
.LBB298_243:                            ;   in Loop: Header=BB298_13 Depth=1
	v_and_b32_e32 v2, 7, v4
	v_ffbh_u32_e32 v0, v2
	v_min_u32_e32 v6, 32, v0
	v_subrev_u32_e32 v0, 28, v6
	v_bfe_u32 v3, v4, 3, 4
	v_lshlrev_b64 v[0:1], v0, v[4:5]
	v_sub_u32_e32 v1, 29, v6
	v_cmp_eq_u32_e32 vcc, 0, v3
	v_and_b32_e32 v0, 7, v0
	s_nop 0
	v_cndmask_b32_e32 v1, v3, v1, vcc
	v_cndmask_b32_e32 v0, v2, v0, vcc
	v_lshlrev_b32_e32 v2, 8, v4
	v_lshl_add_u32 v1, v1, 10, v23
	v_and_or_b32 v1, v2, s55, v1
	v_lshl_or_b32 v0, v0, 7, v1
	v_cvt_f32_f16_e32 v0, v0
.LBB298_244:                            ;   in Loop: Header=BB298_13 Depth=1
	s_or_b64 exec, exec, s[46:47]
	v_lshrrev_b16_e32 v8, 8, v4
	v_cmp_lt_i16_e32 vcc, s53, v8
	s_mov_b64 s[46:47], 0
	scratch_store_dword off, v0, s32 offset:548 ; 4-byte Folded Spill
                                        ; implicit-def: $sgpr56
	s_and_saveexec_b64 s[48:49], vcc
	s_xor_b64 s[48:49], exec, s[48:49]
	s_cbranch_execz .LBB298_248
; %bb.245:                              ;   in Loop: Header=BB298_13 Depth=1
	v_cmp_eq_u16_e32 vcc, s54, v8
	s_mov_b64 s[46:47], -1
                                        ; implicit-def: $sgpr56
	s_and_saveexec_b64 s[50:51], vcc
; %bb.246:                              ;   in Loop: Header=BB298_13 Depth=1
	s_mov_b32 s56, 0x7fc02000
	s_xor_b64 s[46:47], exec, -1
; %bb.247:                              ;   in Loop: Header=BB298_13 Depth=1
	s_or_b64 exec, exec, s[50:51]
	s_and_b64 s[46:47], s[46:47], exec
.LBB298_248:                            ;   in Loop: Header=BB298_13 Depth=1
	s_or_saveexec_b64 s[48:49], s[48:49]
	v_mov_b32_e32 v0, s56
	scratch_store_dword off, v0, s32 offset:348 ; 4-byte Folded Spill
	s_xor_b64 exec, exec, s[48:49]
	s_cbranch_execz .LBB298_250
; %bb.249:                              ;   in Loop: Header=BB298_13 Depth=1
	v_cmp_ne_u16_e32 vcc, 0, v8
	s_andn2_b64 s[46:47], s[46:47], exec
	s_and_b64 vcc, vcc, exec
	v_mov_b32_e32 v0, 0
	s_or_b64 s[46:47], s[46:47], vcc
	scratch_store_dword off, v0, s32 offset:348 ; 4-byte Folded Spill
.LBB298_250:                            ;   in Loop: Header=BB298_13 Depth=1
	s_or_b64 exec, exec, s[48:49]
	s_and_saveexec_b64 s[48:49], s[46:47]
	s_cbranch_execz .LBB298_252
; %bb.251:                              ;   in Loop: Header=BB298_13 Depth=1
	v_and_b32_e32 v2, 7, v8
	v_ffbh_u32_e32 v0, v2
	v_min_u32_e32 v6, 32, v0
	v_subrev_u32_e32 v0, 28, v6
	v_bfe_u32 v3, v8, 3, 4
	v_lshlrev_b64 v[0:1], v0, v[8:9]
	v_sub_u32_e32 v1, 29, v6
	v_cmp_eq_u32_e32 vcc, 0, v3
	v_and_b32_e32 v0, 7, v0
	s_nop 0
	v_cndmask_b32_e32 v1, v3, v1, vcc
	v_cndmask_b32_e32 v0, v2, v0, vcc
	v_lshlrev_b32_e32 v2, 8, v8
	v_lshl_add_u32 v1, v1, 10, v23
	v_and_or_b32 v1, v2, s55, v1
	v_lshl_or_b32 v0, v0, 7, v1
	v_cvt_f32_f16_e32 v0, v0
	scratch_store_dword off, v0, s32 offset:348 ; 4-byte Folded Spill
.LBB298_252:                            ;   in Loop: Header=BB298_13 Depth=1
	s_or_b64 exec, exec, s[48:49]
	v_lshrrev_b32_e32 v8, 16, v4
	v_cmp_gt_i16_sdwa s[46:47], v8, s53 src0_sel:BYTE_0 src1_sel:DWORD
	s_mov_b64 vcc, 0
                                        ; implicit-def: $sgpr50
	s_and_saveexec_b64 s[48:49], s[46:47]
	s_xor_b64 s[46:47], exec, s[48:49]
	s_cbranch_execz .LBB298_256
; %bb.253:                              ;   in Loop: Header=BB298_13 Depth=1
	v_cmp_eq_u16_sdwa s[56:57], v8, s54 src0_sel:BYTE_0 src1_sel:DWORD
	s_mov_b64 vcc, -1
                                        ; implicit-def: $sgpr50
	s_and_saveexec_b64 s[48:49], s[56:57]
; %bb.254:                              ;   in Loop: Header=BB298_13 Depth=1
	s_mov_b32 s50, 0x7fc02000
	s_xor_b64 vcc, exec, -1
; %bb.255:                              ;   in Loop: Header=BB298_13 Depth=1
	s_or_b64 exec, exec, s[48:49]
	s_and_b64 vcc, vcc, exec
.LBB298_256:                            ;   in Loop: Header=BB298_13 Depth=1
	s_or_saveexec_b64 s[46:47], s[46:47]
	v_mov_b32_e32 v0, s50
	scratch_store_dword off, v0, s32 offset:352 ; 4-byte Folded Spill
	s_xor_b64 exec, exec, s[46:47]
	s_cbranch_execz .LBB298_258
; %bb.257:                              ;   in Loop: Header=BB298_13 Depth=1
	v_cmp_ne_u16_sdwa s[48:49], v8, v9 src0_sel:BYTE_0 src1_sel:DWORD
	s_andn2_b64 vcc, vcc, exec
	s_and_b64 s[48:49], s[48:49], exec
	v_mov_b32_e32 v0, 0
	s_or_b64 vcc, vcc, s[48:49]
	scratch_store_dword off, v0, s32 offset:352 ; 4-byte Folded Spill
.LBB298_258:                            ;   in Loop: Header=BB298_13 Depth=1
	s_or_b64 exec, exec, s[46:47]
	s_and_saveexec_b64 s[46:47], vcc
	s_cbranch_execz .LBB298_260
; %bb.259:                              ;   in Loop: Header=BB298_13 Depth=1
	v_bfe_u32 v2, v4, 16, 3
	v_ffbh_u32_e32 v0, v2
	v_min_u32_e32 v6, 32, v0
	v_subrev_u32_e32 v0, 28, v6
	v_bfe_u32 v3, v4, 19, 4
	v_lshlrev_b64 v[0:1], v0, v[8:9]
	v_sub_u32_e32 v1, 29, v6
	v_cmp_eq_u32_e32 vcc, 0, v3
	v_and_b32_e32 v0, 7, v0
	s_nop 0
	v_cndmask_b32_e32 v1, v3, v1, vcc
	v_cndmask_b32_e32 v0, v2, v0, vcc
	v_lshlrev_b32_e32 v2, 8, v8
	v_lshl_add_u32 v1, v1, 10, v23
	v_and_or_b32 v1, v2, s55, v1
	v_lshl_or_b32 v0, v0, 7, v1
	v_cvt_f32_f16_e32 v0, v0
	scratch_store_dword off, v0, s32 offset:352 ; 4-byte Folded Spill
.LBB298_260:                            ;   in Loop: Header=BB298_13 Depth=1
	s_or_b64 exec, exec, s[46:47]
	v_lshrrev_b32_e32 v8, 24, v4
	v_cmp_lt_i16_e32 vcc, s53, v8
	s_mov_b64 s[46:47], 0
                                        ; implicit-def: $sgpr56
	s_and_saveexec_b64 s[48:49], vcc
	s_xor_b64 s[48:49], exec, s[48:49]
	s_cbranch_execz .LBB298_264
; %bb.261:                              ;   in Loop: Header=BB298_13 Depth=1
	v_cmp_eq_u16_e32 vcc, s54, v8
	s_mov_b64 s[46:47], -1
                                        ; implicit-def: $sgpr56
	s_and_saveexec_b64 s[50:51], vcc
; %bb.262:                              ;   in Loop: Header=BB298_13 Depth=1
	s_mov_b32 s56, 0x7fc02000
	s_xor_b64 s[46:47], exec, -1
; %bb.263:                              ;   in Loop: Header=BB298_13 Depth=1
	s_or_b64 exec, exec, s[50:51]
	s_and_b64 s[46:47], s[46:47], exec
.LBB298_264:                            ;   in Loop: Header=BB298_13 Depth=1
	s_or_saveexec_b64 s[48:49], s[48:49]
	v_mov_b32_e32 v0, s56
	scratch_store_dword off, v0, s32 offset:356 ; 4-byte Folded Spill
	s_xor_b64 exec, exec, s[48:49]
	s_cbranch_execz .LBB298_266
; %bb.265:                              ;   in Loop: Header=BB298_13 Depth=1
	v_cmp_ne_u16_e32 vcc, 0, v8
	s_andn2_b64 s[46:47], s[46:47], exec
	s_and_b64 vcc, vcc, exec
	v_mov_b32_e32 v0, 0
	s_or_b64 s[46:47], s[46:47], vcc
	scratch_store_dword off, v0, s32 offset:356 ; 4-byte Folded Spill
.LBB298_266:                            ;   in Loop: Header=BB298_13 Depth=1
	s_or_b64 exec, exec, s[48:49]
	s_and_saveexec_b64 s[48:49], s[46:47]
	s_cbranch_execz .LBB298_268
; %bb.267:                              ;   in Loop: Header=BB298_13 Depth=1
	v_bfe_u32 v2, v4, 24, 3
	v_ffbh_u32_e32 v0, v2
	v_bfe_u32 v3, v4, 27, 4
	v_min_u32_e32 v4, 32, v0
	v_subrev_u32_e32 v0, 28, v4
	v_lshlrev_b64 v[0:1], v0, v[8:9]
	v_sub_u32_e32 v1, 29, v4
	v_cmp_eq_u32_e32 vcc, 0, v3
	v_and_b32_e32 v0, 7, v0
	s_nop 0
	v_cndmask_b32_e32 v1, v3, v1, vcc
	v_cndmask_b32_e32 v0, v2, v0, vcc
	v_lshlrev_b32_e32 v2, 8, v8
	v_lshl_add_u32 v1, v1, 10, v23
	v_and_or_b32 v1, v2, s55, v1
	v_lshl_or_b32 v0, v0, 7, v1
	v_cvt_f32_f16_e32 v0, v0
	scratch_store_dword off, v0, s32 offset:356 ; 4-byte Folded Spill
.LBB298_268:                            ;   in Loop: Header=BB298_13 Depth=1
	s_or_b64 exec, exec, s[48:49]
	flat_load_dword v4, v[48:49] offset:2560
	s_mov_b64 vcc, 0
                                        ; implicit-def: $sgpr50
	s_waitcnt vmcnt(0) lgkmcnt(0)
	v_cmp_gt_i16_sdwa s[46:47], v4, s53 src0_sel:BYTE_0 src1_sel:DWORD
	s_and_saveexec_b64 s[48:49], s[46:47]
	s_xor_b64 s[46:47], exec, s[48:49]
	s_cbranch_execnz .LBB298_822
; %bb.269:                              ;   in Loop: Header=BB298_13 Depth=1
	s_or_saveexec_b64 s[46:47], s[46:47]
	v_mov_b32_e32 v0, s50
	s_xor_b64 exec, exec, s[46:47]
	s_cbranch_execnz .LBB298_825
.LBB298_270:                            ;   in Loop: Header=BB298_13 Depth=1
	s_or_b64 exec, exec, s[46:47]
	s_and_saveexec_b64 s[46:47], vcc
	s_cbranch_execz .LBB298_272
.LBB298_271:                            ;   in Loop: Header=BB298_13 Depth=1
	v_and_b32_e32 v2, 7, v4
	v_ffbh_u32_e32 v0, v2
	v_min_u32_e32 v6, 32, v0
	v_subrev_u32_e32 v0, 28, v6
	v_bfe_u32 v3, v4, 3, 4
	v_lshlrev_b64 v[0:1], v0, v[4:5]
	v_sub_u32_e32 v1, 29, v6
	v_cmp_eq_u32_e32 vcc, 0, v3
	v_and_b32_e32 v0, 7, v0
	s_nop 0
	v_cndmask_b32_e32 v1, v3, v1, vcc
	v_cndmask_b32_e32 v0, v2, v0, vcc
	v_lshlrev_b32_e32 v2, 8, v4
	v_lshl_add_u32 v1, v1, 10, v23
	v_and_or_b32 v1, v2, s55, v1
	v_lshl_or_b32 v0, v0, 7, v1
	v_cvt_f32_f16_e32 v0, v0
.LBB298_272:                            ;   in Loop: Header=BB298_13 Depth=1
	s_or_b64 exec, exec, s[46:47]
	v_lshrrev_b16_e32 v8, 8, v4
	v_cmp_lt_i16_e32 vcc, s53, v8
	s_mov_b64 s[46:47], 0
	scratch_store_dword off, v0, s32 offset:552 ; 4-byte Folded Spill
                                        ; implicit-def: $sgpr56
	s_and_saveexec_b64 s[48:49], vcc
	s_xor_b64 s[48:49], exec, s[48:49]
	s_cbranch_execz .LBB298_276
; %bb.273:                              ;   in Loop: Header=BB298_13 Depth=1
	v_cmp_eq_u16_e32 vcc, s54, v8
	s_mov_b64 s[46:47], -1
                                        ; implicit-def: $sgpr56
	s_and_saveexec_b64 s[50:51], vcc
; %bb.274:                              ;   in Loop: Header=BB298_13 Depth=1
	s_mov_b32 s56, 0x7fc02000
	s_xor_b64 s[46:47], exec, -1
; %bb.275:                              ;   in Loop: Header=BB298_13 Depth=1
	s_or_b64 exec, exec, s[50:51]
	s_and_b64 s[46:47], s[46:47], exec
.LBB298_276:                            ;   in Loop: Header=BB298_13 Depth=1
	s_or_saveexec_b64 s[48:49], s[48:49]
	v_mov_b32_e32 v0, s56
	scratch_store_dword off, v0, s32 offset:360 ; 4-byte Folded Spill
	s_xor_b64 exec, exec, s[48:49]
	s_cbranch_execz .LBB298_278
; %bb.277:                              ;   in Loop: Header=BB298_13 Depth=1
	v_cmp_ne_u16_e32 vcc, 0, v8
	s_andn2_b64 s[46:47], s[46:47], exec
	s_and_b64 vcc, vcc, exec
	v_mov_b32_e32 v0, 0
	s_or_b64 s[46:47], s[46:47], vcc
	scratch_store_dword off, v0, s32 offset:360 ; 4-byte Folded Spill
.LBB298_278:                            ;   in Loop: Header=BB298_13 Depth=1
	s_or_b64 exec, exec, s[48:49]
	s_and_saveexec_b64 s[48:49], s[46:47]
	s_cbranch_execz .LBB298_280
; %bb.279:                              ;   in Loop: Header=BB298_13 Depth=1
	v_and_b32_e32 v2, 7, v8
	v_ffbh_u32_e32 v0, v2
	v_min_u32_e32 v6, 32, v0
	v_subrev_u32_e32 v0, 28, v6
	v_bfe_u32 v3, v8, 3, 4
	v_lshlrev_b64 v[0:1], v0, v[8:9]
	v_sub_u32_e32 v1, 29, v6
	v_cmp_eq_u32_e32 vcc, 0, v3
	v_and_b32_e32 v0, 7, v0
	s_nop 0
	v_cndmask_b32_e32 v1, v3, v1, vcc
	v_cndmask_b32_e32 v0, v2, v0, vcc
	v_lshlrev_b32_e32 v2, 8, v8
	v_lshl_add_u32 v1, v1, 10, v23
	v_and_or_b32 v1, v2, s55, v1
	v_lshl_or_b32 v0, v0, 7, v1
	v_cvt_f32_f16_e32 v0, v0
	scratch_store_dword off, v0, s32 offset:360 ; 4-byte Folded Spill
.LBB298_280:                            ;   in Loop: Header=BB298_13 Depth=1
	s_or_b64 exec, exec, s[48:49]
	v_lshrrev_b32_e32 v8, 16, v4
	v_cmp_gt_i16_sdwa s[46:47], v8, s53 src0_sel:BYTE_0 src1_sel:DWORD
	s_mov_b64 vcc, 0
                                        ; implicit-def: $sgpr50
	s_and_saveexec_b64 s[48:49], s[46:47]
	s_xor_b64 s[46:47], exec, s[48:49]
	s_cbranch_execz .LBB298_284
; %bb.281:                              ;   in Loop: Header=BB298_13 Depth=1
	v_cmp_eq_u16_sdwa s[56:57], v8, s54 src0_sel:BYTE_0 src1_sel:DWORD
	s_mov_b64 vcc, -1
                                        ; implicit-def: $sgpr50
	s_and_saveexec_b64 s[48:49], s[56:57]
; %bb.282:                              ;   in Loop: Header=BB298_13 Depth=1
	s_mov_b32 s50, 0x7fc02000
	s_xor_b64 vcc, exec, -1
; %bb.283:                              ;   in Loop: Header=BB298_13 Depth=1
	s_or_b64 exec, exec, s[48:49]
	s_and_b64 vcc, vcc, exec
.LBB298_284:                            ;   in Loop: Header=BB298_13 Depth=1
	s_or_saveexec_b64 s[46:47], s[46:47]
	v_mov_b32_e32 v0, s50
	scratch_store_dword off, v0, s32 offset:364 ; 4-byte Folded Spill
	s_xor_b64 exec, exec, s[46:47]
	s_cbranch_execz .LBB298_286
; %bb.285:                              ;   in Loop: Header=BB298_13 Depth=1
	v_cmp_ne_u16_sdwa s[48:49], v8, v9 src0_sel:BYTE_0 src1_sel:DWORD
	s_andn2_b64 vcc, vcc, exec
	s_and_b64 s[48:49], s[48:49], exec
	v_mov_b32_e32 v0, 0
	s_or_b64 vcc, vcc, s[48:49]
	scratch_store_dword off, v0, s32 offset:364 ; 4-byte Folded Spill
.LBB298_286:                            ;   in Loop: Header=BB298_13 Depth=1
	s_or_b64 exec, exec, s[46:47]
	s_and_saveexec_b64 s[46:47], vcc
	s_cbranch_execz .LBB298_288
; %bb.287:                              ;   in Loop: Header=BB298_13 Depth=1
	v_bfe_u32 v2, v4, 16, 3
	v_ffbh_u32_e32 v0, v2
	v_min_u32_e32 v6, 32, v0
	v_subrev_u32_e32 v0, 28, v6
	v_bfe_u32 v3, v4, 19, 4
	v_lshlrev_b64 v[0:1], v0, v[8:9]
	v_sub_u32_e32 v1, 29, v6
	v_cmp_eq_u32_e32 vcc, 0, v3
	v_and_b32_e32 v0, 7, v0
	s_nop 0
	v_cndmask_b32_e32 v1, v3, v1, vcc
	v_cndmask_b32_e32 v0, v2, v0, vcc
	v_lshlrev_b32_e32 v2, 8, v8
	v_lshl_add_u32 v1, v1, 10, v23
	v_and_or_b32 v1, v2, s55, v1
	v_lshl_or_b32 v0, v0, 7, v1
	v_cvt_f32_f16_e32 v0, v0
	scratch_store_dword off, v0, s32 offset:364 ; 4-byte Folded Spill
.LBB298_288:                            ;   in Loop: Header=BB298_13 Depth=1
	s_or_b64 exec, exec, s[46:47]
	v_lshrrev_b32_e32 v8, 24, v4
	v_cmp_lt_i16_e32 vcc, s53, v8
	s_mov_b64 s[46:47], 0
                                        ; implicit-def: $sgpr56
	s_and_saveexec_b64 s[48:49], vcc
	s_xor_b64 s[48:49], exec, s[48:49]
	s_cbranch_execz .LBB298_292
; %bb.289:                              ;   in Loop: Header=BB298_13 Depth=1
	v_cmp_eq_u16_e32 vcc, s54, v8
	s_mov_b64 s[46:47], -1
                                        ; implicit-def: $sgpr56
	s_and_saveexec_b64 s[50:51], vcc
; %bb.290:                              ;   in Loop: Header=BB298_13 Depth=1
	s_mov_b32 s56, 0x7fc02000
	s_xor_b64 s[46:47], exec, -1
; %bb.291:                              ;   in Loop: Header=BB298_13 Depth=1
	s_or_b64 exec, exec, s[50:51]
	s_and_b64 s[46:47], s[46:47], exec
.LBB298_292:                            ;   in Loop: Header=BB298_13 Depth=1
	s_or_saveexec_b64 s[48:49], s[48:49]
	v_mov_b32_e32 v0, s56
	scratch_store_dword off, v0, s32 offset:368 ; 4-byte Folded Spill
	s_xor_b64 exec, exec, s[48:49]
	s_cbranch_execz .LBB298_294
; %bb.293:                              ;   in Loop: Header=BB298_13 Depth=1
	v_cmp_ne_u16_e32 vcc, 0, v8
	s_andn2_b64 s[46:47], s[46:47], exec
	s_and_b64 vcc, vcc, exec
	v_mov_b32_e32 v0, 0
	s_or_b64 s[46:47], s[46:47], vcc
	scratch_store_dword off, v0, s32 offset:368 ; 4-byte Folded Spill
.LBB298_294:                            ;   in Loop: Header=BB298_13 Depth=1
	s_or_b64 exec, exec, s[48:49]
	s_and_saveexec_b64 s[48:49], s[46:47]
	s_cbranch_execz .LBB298_296
; %bb.295:                              ;   in Loop: Header=BB298_13 Depth=1
	v_bfe_u32 v2, v4, 24, 3
	v_ffbh_u32_e32 v0, v2
	v_bfe_u32 v3, v4, 27, 4
	v_min_u32_e32 v4, 32, v0
	v_subrev_u32_e32 v0, 28, v4
	v_lshlrev_b64 v[0:1], v0, v[8:9]
	v_sub_u32_e32 v1, 29, v4
	v_cmp_eq_u32_e32 vcc, 0, v3
	v_and_b32_e32 v0, 7, v0
	s_nop 0
	v_cndmask_b32_e32 v1, v3, v1, vcc
	v_cndmask_b32_e32 v0, v2, v0, vcc
	v_lshlrev_b32_e32 v2, 8, v8
	v_lshl_add_u32 v1, v1, 10, v23
	v_and_or_b32 v1, v2, s55, v1
	v_lshl_or_b32 v0, v0, 7, v1
	v_cvt_f32_f16_e32 v0, v0
	scratch_store_dword off, v0, s32 offset:368 ; 4-byte Folded Spill
.LBB298_296:                            ;   in Loop: Header=BB298_13 Depth=1
	s_or_b64 exec, exec, s[48:49]
	flat_load_dword v4, v[48:49] offset:2568
	s_mov_b64 vcc, 0
                                        ; implicit-def: $sgpr50
	s_waitcnt vmcnt(0) lgkmcnt(0)
	v_cmp_gt_i16_sdwa s[46:47], v4, s53 src0_sel:BYTE_0 src1_sel:DWORD
	s_and_saveexec_b64 s[48:49], s[46:47]
	s_xor_b64 s[46:47], exec, s[48:49]
	s_cbranch_execz .LBB298_300
; %bb.297:                              ;   in Loop: Header=BB298_13 Depth=1
	v_cmp_eq_u16_sdwa s[56:57], v4, s54 src0_sel:BYTE_0 src1_sel:DWORD
	s_mov_b64 vcc, -1
                                        ; implicit-def: $sgpr50
	s_and_saveexec_b64 s[48:49], s[56:57]
; %bb.298:                              ;   in Loop: Header=BB298_13 Depth=1
	s_mov_b32 s50, 0x7fc02000
	s_xor_b64 vcc, exec, -1
; %bb.299:                              ;   in Loop: Header=BB298_13 Depth=1
	s_or_b64 exec, exec, s[48:49]
	s_and_b64 vcc, vcc, exec
.LBB298_300:                            ;   in Loop: Header=BB298_13 Depth=1
	s_or_saveexec_b64 s[46:47], s[46:47]
	v_mov_b32_e32 v0, s50
	scratch_store_dword off, v0, s32 offset:372 ; 4-byte Folded Spill
	s_xor_b64 exec, exec, s[46:47]
	s_cbranch_execz .LBB298_302
; %bb.301:                              ;   in Loop: Header=BB298_13 Depth=1
	v_cmp_ne_u16_sdwa s[48:49], v4, v9 src0_sel:BYTE_0 src1_sel:DWORD
	s_andn2_b64 vcc, vcc, exec
	s_and_b64 s[48:49], s[48:49], exec
	v_mov_b32_e32 v0, 0
	s_or_b64 vcc, vcc, s[48:49]
	scratch_store_dword off, v0, s32 offset:372 ; 4-byte Folded Spill
.LBB298_302:                            ;   in Loop: Header=BB298_13 Depth=1
	s_or_b64 exec, exec, s[46:47]
	s_and_saveexec_b64 s[46:47], vcc
	s_cbranch_execz .LBB298_304
; %bb.303:                              ;   in Loop: Header=BB298_13 Depth=1
	v_and_b32_e32 v2, 7, v4
	v_ffbh_u32_e32 v0, v2
	v_min_u32_e32 v6, 32, v0
	v_subrev_u32_e32 v0, 28, v6
	v_bfe_u32 v3, v4, 3, 4
	v_lshlrev_b64 v[0:1], v0, v[4:5]
	v_sub_u32_e32 v1, 29, v6
	v_cmp_eq_u32_e32 vcc, 0, v3
	v_and_b32_e32 v0, 7, v0
	s_nop 0
	v_cndmask_b32_e32 v1, v3, v1, vcc
	v_cndmask_b32_e32 v0, v2, v0, vcc
	v_lshlrev_b32_e32 v2, 8, v4
	v_lshl_add_u32 v1, v1, 10, v23
	v_and_or_b32 v1, v2, s55, v1
	v_lshl_or_b32 v0, v0, 7, v1
	v_cvt_f32_f16_e32 v0, v0
	scratch_store_dword off, v0, s32 offset:372 ; 4-byte Folded Spill
.LBB298_304:                            ;   in Loop: Header=BB298_13 Depth=1
	s_or_b64 exec, exec, s[46:47]
	v_lshrrev_b16_e32 v8, 8, v4
	v_cmp_lt_i16_e32 vcc, s53, v8
	s_mov_b64 s[46:47], 0
                                        ; implicit-def: $sgpr56
	s_and_saveexec_b64 s[48:49], vcc
	s_xor_b64 s[48:49], exec, s[48:49]
	s_cbranch_execz .LBB298_308
; %bb.305:                              ;   in Loop: Header=BB298_13 Depth=1
	v_cmp_eq_u16_e32 vcc, s54, v8
	s_mov_b64 s[46:47], -1
                                        ; implicit-def: $sgpr56
	s_and_saveexec_b64 s[50:51], vcc
; %bb.306:                              ;   in Loop: Header=BB298_13 Depth=1
	s_mov_b32 s56, 0x7fc02000
	s_xor_b64 s[46:47], exec, -1
; %bb.307:                              ;   in Loop: Header=BB298_13 Depth=1
	s_or_b64 exec, exec, s[50:51]
	s_and_b64 s[46:47], s[46:47], exec
.LBB298_308:                            ;   in Loop: Header=BB298_13 Depth=1
	s_or_saveexec_b64 s[48:49], s[48:49]
	v_mov_b32_e32 v0, s56
	scratch_store_dword off, v0, s32 offset:376 ; 4-byte Folded Spill
	s_xor_b64 exec, exec, s[48:49]
	s_cbranch_execz .LBB298_310
; %bb.309:                              ;   in Loop: Header=BB298_13 Depth=1
	v_cmp_ne_u16_e32 vcc, 0, v8
	s_andn2_b64 s[46:47], s[46:47], exec
	s_and_b64 vcc, vcc, exec
	v_mov_b32_e32 v0, 0
	s_or_b64 s[46:47], s[46:47], vcc
	scratch_store_dword off, v0, s32 offset:376 ; 4-byte Folded Spill
.LBB298_310:                            ;   in Loop: Header=BB298_13 Depth=1
	s_or_b64 exec, exec, s[48:49]
	s_and_saveexec_b64 s[48:49], s[46:47]
	s_cbranch_execz .LBB298_312
; %bb.311:                              ;   in Loop: Header=BB298_13 Depth=1
	v_and_b32_e32 v2, 7, v8
	v_ffbh_u32_e32 v0, v2
	v_min_u32_e32 v6, 32, v0
	v_subrev_u32_e32 v0, 28, v6
	v_bfe_u32 v3, v8, 3, 4
	v_lshlrev_b64 v[0:1], v0, v[8:9]
	v_sub_u32_e32 v1, 29, v6
	v_cmp_eq_u32_e32 vcc, 0, v3
	v_and_b32_e32 v0, 7, v0
	s_nop 0
	v_cndmask_b32_e32 v1, v3, v1, vcc
	v_cndmask_b32_e32 v0, v2, v0, vcc
	v_lshlrev_b32_e32 v2, 8, v8
	v_lshl_add_u32 v1, v1, 10, v23
	v_and_or_b32 v1, v2, s55, v1
	v_lshl_or_b32 v0, v0, 7, v1
	v_cvt_f32_f16_e32 v0, v0
	scratch_store_dword off, v0, s32 offset:376 ; 4-byte Folded Spill
.LBB298_312:                            ;   in Loop: Header=BB298_13 Depth=1
	s_or_b64 exec, exec, s[48:49]
	v_lshrrev_b32_e32 v8, 16, v4
	v_cmp_gt_i16_sdwa s[46:47], v8, s53 src0_sel:BYTE_0 src1_sel:DWORD
	s_mov_b64 vcc, 0
                                        ; implicit-def: $sgpr50
	s_and_saveexec_b64 s[48:49], s[46:47]
	s_xor_b64 s[46:47], exec, s[48:49]
	s_cbranch_execz .LBB298_316
; %bb.313:                              ;   in Loop: Header=BB298_13 Depth=1
	v_cmp_eq_u16_sdwa s[56:57], v8, s54 src0_sel:BYTE_0 src1_sel:DWORD
	s_mov_b64 vcc, -1
                                        ; implicit-def: $sgpr50
	s_and_saveexec_b64 s[48:49], s[56:57]
; %bb.314:                              ;   in Loop: Header=BB298_13 Depth=1
	s_mov_b32 s50, 0x7fc02000
	s_xor_b64 vcc, exec, -1
; %bb.315:                              ;   in Loop: Header=BB298_13 Depth=1
	s_or_b64 exec, exec, s[48:49]
	s_and_b64 vcc, vcc, exec
.LBB298_316:                            ;   in Loop: Header=BB298_13 Depth=1
	s_or_saveexec_b64 s[46:47], s[46:47]
	v_mov_b32_e32 v0, s50
	scratch_store_dword off, v0, s32 offset:380 ; 4-byte Folded Spill
	s_xor_b64 exec, exec, s[46:47]
	s_cbranch_execz .LBB298_318
; %bb.317:                              ;   in Loop: Header=BB298_13 Depth=1
	v_cmp_ne_u16_sdwa s[48:49], v8, v9 src0_sel:BYTE_0 src1_sel:DWORD
	s_andn2_b64 vcc, vcc, exec
	s_and_b64 s[48:49], s[48:49], exec
	v_mov_b32_e32 v0, 0
	s_or_b64 vcc, vcc, s[48:49]
	scratch_store_dword off, v0, s32 offset:380 ; 4-byte Folded Spill
.LBB298_318:                            ;   in Loop: Header=BB298_13 Depth=1
	s_or_b64 exec, exec, s[46:47]
	s_and_saveexec_b64 s[46:47], vcc
	s_cbranch_execz .LBB298_320
; %bb.319:                              ;   in Loop: Header=BB298_13 Depth=1
	v_bfe_u32 v2, v4, 16, 3
	v_ffbh_u32_e32 v0, v2
	v_min_u32_e32 v6, 32, v0
	v_subrev_u32_e32 v0, 28, v6
	v_bfe_u32 v3, v4, 19, 4
	v_lshlrev_b64 v[0:1], v0, v[8:9]
	v_sub_u32_e32 v1, 29, v6
	v_cmp_eq_u32_e32 vcc, 0, v3
	v_and_b32_e32 v0, 7, v0
	s_nop 0
	v_cndmask_b32_e32 v1, v3, v1, vcc
	v_cndmask_b32_e32 v0, v2, v0, vcc
	v_lshlrev_b32_e32 v2, 8, v8
	v_lshl_add_u32 v1, v1, 10, v23
	v_and_or_b32 v1, v2, s55, v1
	v_lshl_or_b32 v0, v0, 7, v1
	v_cvt_f32_f16_e32 v0, v0
	scratch_store_dword off, v0, s32 offset:380 ; 4-byte Folded Spill
.LBB298_320:                            ;   in Loop: Header=BB298_13 Depth=1
	s_or_b64 exec, exec, s[46:47]
	v_lshrrev_b32_e32 v8, 24, v4
	v_cmp_lt_i16_e32 vcc, s53, v8
	s_mov_b64 s[46:47], 0
                                        ; implicit-def: $sgpr56
	s_and_saveexec_b64 s[48:49], vcc
	s_xor_b64 s[48:49], exec, s[48:49]
	s_cbranch_execz .LBB298_324
; %bb.321:                              ;   in Loop: Header=BB298_13 Depth=1
	v_cmp_eq_u16_e32 vcc, s54, v8
	s_mov_b64 s[46:47], -1
                                        ; implicit-def: $sgpr56
	s_and_saveexec_b64 s[50:51], vcc
; %bb.322:                              ;   in Loop: Header=BB298_13 Depth=1
	s_mov_b32 s56, 0x7fc02000
	s_xor_b64 s[46:47], exec, -1
; %bb.323:                              ;   in Loop: Header=BB298_13 Depth=1
	s_or_b64 exec, exec, s[50:51]
	s_and_b64 s[46:47], s[46:47], exec
.LBB298_324:                            ;   in Loop: Header=BB298_13 Depth=1
	s_or_saveexec_b64 s[48:49], s[48:49]
	v_mov_b32_e32 v0, s56
	scratch_store_dword off, v0, s32 offset:384 ; 4-byte Folded Spill
	s_xor_b64 exec, exec, s[48:49]
	s_cbranch_execz .LBB298_326
; %bb.325:                              ;   in Loop: Header=BB298_13 Depth=1
	v_cmp_ne_u16_e32 vcc, 0, v8
	s_andn2_b64 s[46:47], s[46:47], exec
	s_and_b64 vcc, vcc, exec
	v_mov_b32_e32 v0, 0
	s_or_b64 s[46:47], s[46:47], vcc
	scratch_store_dword off, v0, s32 offset:384 ; 4-byte Folded Spill
.LBB298_326:                            ;   in Loop: Header=BB298_13 Depth=1
	s_or_b64 exec, exec, s[48:49]
	s_and_saveexec_b64 s[48:49], s[46:47]
	s_cbranch_execz .LBB298_328
; %bb.327:                              ;   in Loop: Header=BB298_13 Depth=1
	v_bfe_u32 v2, v4, 24, 3
	v_ffbh_u32_e32 v0, v2
	v_bfe_u32 v3, v4, 27, 4
	v_min_u32_e32 v4, 32, v0
	v_subrev_u32_e32 v0, 28, v4
	v_lshlrev_b64 v[0:1], v0, v[8:9]
	v_sub_u32_e32 v1, 29, v4
	v_cmp_eq_u32_e32 vcc, 0, v3
	v_and_b32_e32 v0, 7, v0
	s_nop 0
	v_cndmask_b32_e32 v1, v3, v1, vcc
	v_cndmask_b32_e32 v0, v2, v0, vcc
	v_lshlrev_b32_e32 v2, 8, v8
	v_lshl_add_u32 v1, v1, 10, v23
	v_and_or_b32 v1, v2, s55, v1
	v_lshl_or_b32 v0, v0, 7, v1
	v_cvt_f32_f16_e32 v0, v0
	scratch_store_dword off, v0, s32 offset:384 ; 4-byte Folded Spill
.LBB298_328:                            ;   in Loop: Header=BB298_13 Depth=1
	s_or_b64 exec, exec, s[48:49]
	flat_load_dword v4, v[48:49] offset:3072
	s_mov_b64 vcc, 0
                                        ; implicit-def: $sgpr50
	s_waitcnt vmcnt(0) lgkmcnt(0)
	v_cmp_gt_i16_sdwa s[46:47], v4, s53 src0_sel:BYTE_0 src1_sel:DWORD
	s_and_saveexec_b64 s[48:49], s[46:47]
	s_xor_b64 s[46:47], exec, s[48:49]
	s_cbranch_execz .LBB298_332
; %bb.329:                              ;   in Loop: Header=BB298_13 Depth=1
	v_cmp_eq_u16_sdwa s[56:57], v4, s54 src0_sel:BYTE_0 src1_sel:DWORD
	s_mov_b64 vcc, -1
                                        ; implicit-def: $sgpr50
	s_and_saveexec_b64 s[48:49], s[56:57]
; %bb.330:                              ;   in Loop: Header=BB298_13 Depth=1
	s_mov_b32 s50, 0x7fc02000
	s_xor_b64 vcc, exec, -1
; %bb.331:                              ;   in Loop: Header=BB298_13 Depth=1
	s_or_b64 exec, exec, s[48:49]
	s_and_b64 vcc, vcc, exec
.LBB298_332:                            ;   in Loop: Header=BB298_13 Depth=1
	s_or_saveexec_b64 s[46:47], s[46:47]
	v_mov_b32_e32 v0, s50
	scratch_store_dword off, v0, s32 offset:388 ; 4-byte Folded Spill
	s_xor_b64 exec, exec, s[46:47]
	s_cbranch_execz .LBB298_334
; %bb.333:                              ;   in Loop: Header=BB298_13 Depth=1
	v_cmp_ne_u16_sdwa s[48:49], v4, v9 src0_sel:BYTE_0 src1_sel:DWORD
	s_andn2_b64 vcc, vcc, exec
	s_and_b64 s[48:49], s[48:49], exec
	v_mov_b32_e32 v0, 0
	s_or_b64 vcc, vcc, s[48:49]
	scratch_store_dword off, v0, s32 offset:388 ; 4-byte Folded Spill
.LBB298_334:                            ;   in Loop: Header=BB298_13 Depth=1
	s_or_b64 exec, exec, s[46:47]
	s_and_saveexec_b64 s[46:47], vcc
	s_cbranch_execz .LBB298_336
; %bb.335:                              ;   in Loop: Header=BB298_13 Depth=1
	v_and_b32_e32 v2, 7, v4
	v_ffbh_u32_e32 v0, v2
	v_min_u32_e32 v6, 32, v0
	v_subrev_u32_e32 v0, 28, v6
	v_bfe_u32 v3, v4, 3, 4
	v_lshlrev_b64 v[0:1], v0, v[4:5]
	v_sub_u32_e32 v1, 29, v6
	v_cmp_eq_u32_e32 vcc, 0, v3
	v_and_b32_e32 v0, 7, v0
	s_nop 0
	v_cndmask_b32_e32 v1, v3, v1, vcc
	v_cndmask_b32_e32 v0, v2, v0, vcc
	v_lshlrev_b32_e32 v2, 8, v4
	v_lshl_add_u32 v1, v1, 10, v23
	v_and_or_b32 v1, v2, s55, v1
	v_lshl_or_b32 v0, v0, 7, v1
	v_cvt_f32_f16_e32 v0, v0
	scratch_store_dword off, v0, s32 offset:388 ; 4-byte Folded Spill
.LBB298_336:                            ;   in Loop: Header=BB298_13 Depth=1
	s_or_b64 exec, exec, s[46:47]
	v_lshrrev_b16_e32 v8, 8, v4
	v_cmp_lt_i16_e32 vcc, s53, v8
	s_mov_b64 s[46:47], 0
                                        ; implicit-def: $sgpr56
	s_and_saveexec_b64 s[48:49], vcc
	s_xor_b64 s[48:49], exec, s[48:49]
	s_cbranch_execz .LBB298_340
; %bb.337:                              ;   in Loop: Header=BB298_13 Depth=1
	v_cmp_eq_u16_e32 vcc, s54, v8
	s_mov_b64 s[46:47], -1
                                        ; implicit-def: $sgpr56
	s_and_saveexec_b64 s[50:51], vcc
; %bb.338:                              ;   in Loop: Header=BB298_13 Depth=1
	s_mov_b32 s56, 0x7fc02000
	s_xor_b64 s[46:47], exec, -1
; %bb.339:                              ;   in Loop: Header=BB298_13 Depth=1
	s_or_b64 exec, exec, s[50:51]
	s_and_b64 s[46:47], s[46:47], exec
.LBB298_340:                            ;   in Loop: Header=BB298_13 Depth=1
	s_or_saveexec_b64 s[48:49], s[48:49]
	v_mov_b32_e32 v0, s56
	scratch_store_dword off, v0, s32 offset:392 ; 4-byte Folded Spill
	s_xor_b64 exec, exec, s[48:49]
	s_cbranch_execz .LBB298_342
; %bb.341:                              ;   in Loop: Header=BB298_13 Depth=1
	v_cmp_ne_u16_e32 vcc, 0, v8
	s_andn2_b64 s[46:47], s[46:47], exec
	s_and_b64 vcc, vcc, exec
	v_mov_b32_e32 v0, 0
	s_or_b64 s[46:47], s[46:47], vcc
	scratch_store_dword off, v0, s32 offset:392 ; 4-byte Folded Spill
.LBB298_342:                            ;   in Loop: Header=BB298_13 Depth=1
	s_or_b64 exec, exec, s[48:49]
	s_and_saveexec_b64 s[48:49], s[46:47]
	s_cbranch_execz .LBB298_344
; %bb.343:                              ;   in Loop: Header=BB298_13 Depth=1
	v_and_b32_e32 v2, 7, v8
	v_ffbh_u32_e32 v0, v2
	v_min_u32_e32 v6, 32, v0
	v_subrev_u32_e32 v0, 28, v6
	v_bfe_u32 v3, v8, 3, 4
	v_lshlrev_b64 v[0:1], v0, v[8:9]
	v_sub_u32_e32 v1, 29, v6
	v_cmp_eq_u32_e32 vcc, 0, v3
	v_and_b32_e32 v0, 7, v0
	s_nop 0
	v_cndmask_b32_e32 v1, v3, v1, vcc
	v_cndmask_b32_e32 v0, v2, v0, vcc
	v_lshlrev_b32_e32 v2, 8, v8
	v_lshl_add_u32 v1, v1, 10, v23
	v_and_or_b32 v1, v2, s55, v1
	v_lshl_or_b32 v0, v0, 7, v1
	v_cvt_f32_f16_e32 v0, v0
	scratch_store_dword off, v0, s32 offset:392 ; 4-byte Folded Spill
.LBB298_344:                            ;   in Loop: Header=BB298_13 Depth=1
	s_or_b64 exec, exec, s[48:49]
	v_lshrrev_b32_e32 v8, 16, v4
	v_cmp_gt_i16_sdwa s[46:47], v8, s53 src0_sel:BYTE_0 src1_sel:DWORD
	s_mov_b64 vcc, 0
                                        ; implicit-def: $sgpr50
	s_and_saveexec_b64 s[48:49], s[46:47]
	s_xor_b64 s[46:47], exec, s[48:49]
	s_cbranch_execz .LBB298_348
; %bb.345:                              ;   in Loop: Header=BB298_13 Depth=1
	v_cmp_eq_u16_sdwa s[56:57], v8, s54 src0_sel:BYTE_0 src1_sel:DWORD
	s_mov_b64 vcc, -1
                                        ; implicit-def: $sgpr50
	s_and_saveexec_b64 s[48:49], s[56:57]
; %bb.346:                              ;   in Loop: Header=BB298_13 Depth=1
	s_mov_b32 s50, 0x7fc02000
	s_xor_b64 vcc, exec, -1
; %bb.347:                              ;   in Loop: Header=BB298_13 Depth=1
	s_or_b64 exec, exec, s[48:49]
	s_and_b64 vcc, vcc, exec
.LBB298_348:                            ;   in Loop: Header=BB298_13 Depth=1
	s_or_saveexec_b64 s[46:47], s[46:47]
	v_mov_b32_e32 v0, s50
	scratch_store_dword off, v0, s32 offset:396 ; 4-byte Folded Spill
	s_xor_b64 exec, exec, s[46:47]
	s_cbranch_execz .LBB298_350
; %bb.349:                              ;   in Loop: Header=BB298_13 Depth=1
	v_cmp_ne_u16_sdwa s[48:49], v8, v9 src0_sel:BYTE_0 src1_sel:DWORD
	s_andn2_b64 vcc, vcc, exec
	s_and_b64 s[48:49], s[48:49], exec
	v_mov_b32_e32 v0, 0
	s_or_b64 vcc, vcc, s[48:49]
	scratch_store_dword off, v0, s32 offset:396 ; 4-byte Folded Spill
.LBB298_350:                            ;   in Loop: Header=BB298_13 Depth=1
	s_or_b64 exec, exec, s[46:47]
	s_and_saveexec_b64 s[46:47], vcc
	s_cbranch_execz .LBB298_352
; %bb.351:                              ;   in Loop: Header=BB298_13 Depth=1
	v_bfe_u32 v2, v4, 16, 3
	v_ffbh_u32_e32 v0, v2
	v_min_u32_e32 v6, 32, v0
	v_subrev_u32_e32 v0, 28, v6
	v_bfe_u32 v3, v4, 19, 4
	v_lshlrev_b64 v[0:1], v0, v[8:9]
	v_sub_u32_e32 v1, 29, v6
	v_cmp_eq_u32_e32 vcc, 0, v3
	v_and_b32_e32 v0, 7, v0
	s_nop 0
	v_cndmask_b32_e32 v1, v3, v1, vcc
	v_cndmask_b32_e32 v0, v2, v0, vcc
	v_lshlrev_b32_e32 v2, 8, v8
	v_lshl_add_u32 v1, v1, 10, v23
	v_and_or_b32 v1, v2, s55, v1
	v_lshl_or_b32 v0, v0, 7, v1
	v_cvt_f32_f16_e32 v0, v0
	scratch_store_dword off, v0, s32 offset:396 ; 4-byte Folded Spill
.LBB298_352:                            ;   in Loop: Header=BB298_13 Depth=1
	s_or_b64 exec, exec, s[46:47]
	v_lshrrev_b32_e32 v8, 24, v4
	v_cmp_lt_i16_e32 vcc, s53, v8
	s_mov_b64 s[46:47], 0
                                        ; implicit-def: $sgpr56
	s_and_saveexec_b64 s[48:49], vcc
	s_xor_b64 s[48:49], exec, s[48:49]
	s_cbranch_execz .LBB298_356
; %bb.353:                              ;   in Loop: Header=BB298_13 Depth=1
	v_cmp_eq_u16_e32 vcc, s54, v8
	s_mov_b64 s[46:47], -1
                                        ; implicit-def: $sgpr56
	s_and_saveexec_b64 s[50:51], vcc
; %bb.354:                              ;   in Loop: Header=BB298_13 Depth=1
	s_mov_b32 s56, 0x7fc02000
	s_xor_b64 s[46:47], exec, -1
; %bb.355:                              ;   in Loop: Header=BB298_13 Depth=1
	s_or_b64 exec, exec, s[50:51]
	s_and_b64 s[46:47], s[46:47], exec
.LBB298_356:                            ;   in Loop: Header=BB298_13 Depth=1
	s_or_saveexec_b64 s[48:49], s[48:49]
	v_mov_b32_e32 v0, s56
	scratch_store_dword off, v0, s32 offset:400 ; 4-byte Folded Spill
	s_xor_b64 exec, exec, s[48:49]
	s_cbranch_execz .LBB298_358
; %bb.357:                              ;   in Loop: Header=BB298_13 Depth=1
	v_cmp_ne_u16_e32 vcc, 0, v8
	s_andn2_b64 s[46:47], s[46:47], exec
	s_and_b64 vcc, vcc, exec
	v_mov_b32_e32 v0, 0
	s_or_b64 s[46:47], s[46:47], vcc
	scratch_store_dword off, v0, s32 offset:400 ; 4-byte Folded Spill
.LBB298_358:                            ;   in Loop: Header=BB298_13 Depth=1
	s_or_b64 exec, exec, s[48:49]
	s_and_saveexec_b64 s[48:49], s[46:47]
	s_cbranch_execz .LBB298_360
; %bb.359:                              ;   in Loop: Header=BB298_13 Depth=1
	v_bfe_u32 v2, v4, 24, 3
	v_ffbh_u32_e32 v0, v2
	v_bfe_u32 v3, v4, 27, 4
	v_min_u32_e32 v4, 32, v0
	v_subrev_u32_e32 v0, 28, v4
	v_lshlrev_b64 v[0:1], v0, v[8:9]
	v_sub_u32_e32 v1, 29, v4
	v_cmp_eq_u32_e32 vcc, 0, v3
	v_and_b32_e32 v0, 7, v0
	s_nop 0
	v_cndmask_b32_e32 v1, v3, v1, vcc
	v_cndmask_b32_e32 v0, v2, v0, vcc
	v_lshlrev_b32_e32 v2, 8, v8
	v_lshl_add_u32 v1, v1, 10, v23
	v_and_or_b32 v1, v2, s55, v1
	v_lshl_or_b32 v0, v0, 7, v1
	v_cvt_f32_f16_e32 v0, v0
	scratch_store_dword off, v0, s32 offset:400 ; 4-byte Folded Spill
.LBB298_360:                            ;   in Loop: Header=BB298_13 Depth=1
	s_or_b64 exec, exec, s[48:49]
	flat_load_dword v4, v[48:49] offset:3080
	s_mov_b64 vcc, 0
                                        ; implicit-def: $sgpr50
	s_waitcnt vmcnt(0) lgkmcnt(0)
	v_cmp_gt_i16_sdwa s[46:47], v4, s53 src0_sel:BYTE_0 src1_sel:DWORD
	s_and_saveexec_b64 s[48:49], s[46:47]
	s_xor_b64 s[46:47], exec, s[48:49]
	s_cbranch_execz .LBB298_364
; %bb.361:                              ;   in Loop: Header=BB298_13 Depth=1
	v_cmp_eq_u16_sdwa s[56:57], v4, s54 src0_sel:BYTE_0 src1_sel:DWORD
	s_mov_b64 vcc, -1
                                        ; implicit-def: $sgpr50
	s_and_saveexec_b64 s[48:49], s[56:57]
; %bb.362:                              ;   in Loop: Header=BB298_13 Depth=1
	s_mov_b32 s50, 0x7fc02000
	s_xor_b64 vcc, exec, -1
; %bb.363:                              ;   in Loop: Header=BB298_13 Depth=1
	s_or_b64 exec, exec, s[48:49]
	s_and_b64 vcc, vcc, exec
.LBB298_364:                            ;   in Loop: Header=BB298_13 Depth=1
	s_or_saveexec_b64 s[46:47], s[46:47]
	v_mov_b32_e32 v0, s50
	scratch_store_dword off, v0, s32 offset:404 ; 4-byte Folded Spill
	s_xor_b64 exec, exec, s[46:47]
	s_cbranch_execz .LBB298_366
; %bb.365:                              ;   in Loop: Header=BB298_13 Depth=1
	v_cmp_ne_u16_sdwa s[48:49], v4, v9 src0_sel:BYTE_0 src1_sel:DWORD
	s_andn2_b64 vcc, vcc, exec
	s_and_b64 s[48:49], s[48:49], exec
	v_mov_b32_e32 v0, 0
	s_or_b64 vcc, vcc, s[48:49]
	scratch_store_dword off, v0, s32 offset:404 ; 4-byte Folded Spill
.LBB298_366:                            ;   in Loop: Header=BB298_13 Depth=1
	s_or_b64 exec, exec, s[46:47]
	s_and_saveexec_b64 s[46:47], vcc
	s_cbranch_execz .LBB298_368
; %bb.367:                              ;   in Loop: Header=BB298_13 Depth=1
	v_and_b32_e32 v2, 7, v4
	v_ffbh_u32_e32 v0, v2
	v_min_u32_e32 v6, 32, v0
	v_subrev_u32_e32 v0, 28, v6
	v_bfe_u32 v3, v4, 3, 4
	v_lshlrev_b64 v[0:1], v0, v[4:5]
	v_sub_u32_e32 v1, 29, v6
	v_cmp_eq_u32_e32 vcc, 0, v3
	v_and_b32_e32 v0, 7, v0
	s_nop 0
	v_cndmask_b32_e32 v1, v3, v1, vcc
	v_cndmask_b32_e32 v0, v2, v0, vcc
	v_lshlrev_b32_e32 v2, 8, v4
	v_lshl_add_u32 v1, v1, 10, v23
	v_and_or_b32 v1, v2, s55, v1
	v_lshl_or_b32 v0, v0, 7, v1
	v_cvt_f32_f16_e32 v0, v0
	scratch_store_dword off, v0, s32 offset:404 ; 4-byte Folded Spill
.LBB298_368:                            ;   in Loop: Header=BB298_13 Depth=1
	s_or_b64 exec, exec, s[46:47]
	v_lshrrev_b16_e32 v8, 8, v4
	v_cmp_lt_i16_e32 vcc, s53, v8
	s_mov_b64 s[46:47], 0
                                        ; implicit-def: $sgpr56
	s_and_saveexec_b64 s[48:49], vcc
	s_xor_b64 s[48:49], exec, s[48:49]
	s_cbranch_execz .LBB298_372
; %bb.369:                              ;   in Loop: Header=BB298_13 Depth=1
	v_cmp_eq_u16_e32 vcc, s54, v8
	s_mov_b64 s[46:47], -1
                                        ; implicit-def: $sgpr56
	s_and_saveexec_b64 s[50:51], vcc
; %bb.370:                              ;   in Loop: Header=BB298_13 Depth=1
	s_mov_b32 s56, 0x7fc02000
	s_xor_b64 s[46:47], exec, -1
; %bb.371:                              ;   in Loop: Header=BB298_13 Depth=1
	s_or_b64 exec, exec, s[50:51]
	s_and_b64 s[46:47], s[46:47], exec
.LBB298_372:                            ;   in Loop: Header=BB298_13 Depth=1
	s_or_saveexec_b64 s[48:49], s[48:49]
	v_mov_b32_e32 v0, s56
	scratch_store_dword off, v0, s32 offset:408 ; 4-byte Folded Spill
	s_xor_b64 exec, exec, s[48:49]
	s_cbranch_execz .LBB298_374
; %bb.373:                              ;   in Loop: Header=BB298_13 Depth=1
	v_cmp_ne_u16_e32 vcc, 0, v8
	s_andn2_b64 s[46:47], s[46:47], exec
	s_and_b64 vcc, vcc, exec
	v_mov_b32_e32 v0, 0
	s_or_b64 s[46:47], s[46:47], vcc
	scratch_store_dword off, v0, s32 offset:408 ; 4-byte Folded Spill
.LBB298_374:                            ;   in Loop: Header=BB298_13 Depth=1
	s_or_b64 exec, exec, s[48:49]
	s_and_saveexec_b64 s[48:49], s[46:47]
	s_cbranch_execz .LBB298_376
; %bb.375:                              ;   in Loop: Header=BB298_13 Depth=1
	v_and_b32_e32 v2, 7, v8
	v_ffbh_u32_e32 v0, v2
	v_min_u32_e32 v6, 32, v0
	v_subrev_u32_e32 v0, 28, v6
	v_bfe_u32 v3, v8, 3, 4
	v_lshlrev_b64 v[0:1], v0, v[8:9]
	v_sub_u32_e32 v1, 29, v6
	v_cmp_eq_u32_e32 vcc, 0, v3
	v_and_b32_e32 v0, 7, v0
	s_nop 0
	v_cndmask_b32_e32 v1, v3, v1, vcc
	v_cndmask_b32_e32 v0, v2, v0, vcc
	v_lshlrev_b32_e32 v2, 8, v8
	v_lshl_add_u32 v1, v1, 10, v23
	v_and_or_b32 v1, v2, s55, v1
	v_lshl_or_b32 v0, v0, 7, v1
	v_cvt_f32_f16_e32 v0, v0
	scratch_store_dword off, v0, s32 offset:408 ; 4-byte Folded Spill
.LBB298_376:                            ;   in Loop: Header=BB298_13 Depth=1
	s_or_b64 exec, exec, s[48:49]
	v_lshrrev_b32_e32 v8, 16, v4
	v_cmp_gt_i16_sdwa s[46:47], v8, s53 src0_sel:BYTE_0 src1_sel:DWORD
	s_mov_b64 vcc, 0
                                        ; implicit-def: $sgpr50
	s_and_saveexec_b64 s[48:49], s[46:47]
	s_xor_b64 s[46:47], exec, s[48:49]
	s_cbranch_execz .LBB298_380
; %bb.377:                              ;   in Loop: Header=BB298_13 Depth=1
	v_cmp_eq_u16_sdwa s[56:57], v8, s54 src0_sel:BYTE_0 src1_sel:DWORD
	s_mov_b64 vcc, -1
                                        ; implicit-def: $sgpr50
	s_and_saveexec_b64 s[48:49], s[56:57]
; %bb.378:                              ;   in Loop: Header=BB298_13 Depth=1
	s_mov_b32 s50, 0x7fc02000
	s_xor_b64 vcc, exec, -1
; %bb.379:                              ;   in Loop: Header=BB298_13 Depth=1
	s_or_b64 exec, exec, s[48:49]
	s_and_b64 vcc, vcc, exec
.LBB298_380:                            ;   in Loop: Header=BB298_13 Depth=1
	s_or_saveexec_b64 s[46:47], s[46:47]
	v_mov_b32_e32 v0, s50
	scratch_store_dword off, v0, s32 offset:412 ; 4-byte Folded Spill
	s_xor_b64 exec, exec, s[46:47]
	s_cbranch_execz .LBB298_382
; %bb.381:                              ;   in Loop: Header=BB298_13 Depth=1
	v_cmp_ne_u16_sdwa s[48:49], v8, v9 src0_sel:BYTE_0 src1_sel:DWORD
	s_andn2_b64 vcc, vcc, exec
	s_and_b64 s[48:49], s[48:49], exec
	v_mov_b32_e32 v0, 0
	s_or_b64 vcc, vcc, s[48:49]
	scratch_store_dword off, v0, s32 offset:412 ; 4-byte Folded Spill
.LBB298_382:                            ;   in Loop: Header=BB298_13 Depth=1
	s_or_b64 exec, exec, s[46:47]
	s_and_saveexec_b64 s[46:47], vcc
	s_cbranch_execz .LBB298_384
; %bb.383:                              ;   in Loop: Header=BB298_13 Depth=1
	v_bfe_u32 v2, v4, 16, 3
	v_ffbh_u32_e32 v0, v2
	v_min_u32_e32 v6, 32, v0
	v_subrev_u32_e32 v0, 28, v6
	v_bfe_u32 v3, v4, 19, 4
	v_lshlrev_b64 v[0:1], v0, v[8:9]
	v_sub_u32_e32 v1, 29, v6
	v_cmp_eq_u32_e32 vcc, 0, v3
	v_and_b32_e32 v0, 7, v0
	s_nop 0
	v_cndmask_b32_e32 v1, v3, v1, vcc
	v_cndmask_b32_e32 v0, v2, v0, vcc
	v_lshlrev_b32_e32 v2, 8, v8
	v_lshl_add_u32 v1, v1, 10, v23
	v_and_or_b32 v1, v2, s55, v1
	v_lshl_or_b32 v0, v0, 7, v1
	v_cvt_f32_f16_e32 v0, v0
	scratch_store_dword off, v0, s32 offset:412 ; 4-byte Folded Spill
.LBB298_384:                            ;   in Loop: Header=BB298_13 Depth=1
	s_or_b64 exec, exec, s[46:47]
	v_lshrrev_b32_e32 v8, 24, v4
	v_cmp_lt_i16_e32 vcc, s53, v8
	s_mov_b64 s[46:47], 0
                                        ; implicit-def: $sgpr56
	s_and_saveexec_b64 s[48:49], vcc
	s_xor_b64 s[48:49], exec, s[48:49]
	s_cbranch_execz .LBB298_388
; %bb.385:                              ;   in Loop: Header=BB298_13 Depth=1
	v_cmp_eq_u16_e32 vcc, s54, v8
	s_mov_b64 s[46:47], -1
                                        ; implicit-def: $sgpr56
	s_and_saveexec_b64 s[50:51], vcc
; %bb.386:                              ;   in Loop: Header=BB298_13 Depth=1
	s_mov_b32 s56, 0x7fc02000
	s_xor_b64 s[46:47], exec, -1
; %bb.387:                              ;   in Loop: Header=BB298_13 Depth=1
	s_or_b64 exec, exec, s[50:51]
	s_and_b64 s[46:47], s[46:47], exec
.LBB298_388:                            ;   in Loop: Header=BB298_13 Depth=1
	s_or_saveexec_b64 s[48:49], s[48:49]
	v_mov_b32_e32 v0, s56
	scratch_store_dword off, v0, s32 offset:416 ; 4-byte Folded Spill
	s_xor_b64 exec, exec, s[48:49]
	s_cbranch_execz .LBB298_390
; %bb.389:                              ;   in Loop: Header=BB298_13 Depth=1
	v_cmp_ne_u16_e32 vcc, 0, v8
	s_andn2_b64 s[46:47], s[46:47], exec
	s_and_b64 vcc, vcc, exec
	v_mov_b32_e32 v0, 0
	s_or_b64 s[46:47], s[46:47], vcc
	scratch_store_dword off, v0, s32 offset:416 ; 4-byte Folded Spill
.LBB298_390:                            ;   in Loop: Header=BB298_13 Depth=1
	s_or_b64 exec, exec, s[48:49]
	s_and_saveexec_b64 s[48:49], s[46:47]
	s_cbranch_execz .LBB298_392
; %bb.391:                              ;   in Loop: Header=BB298_13 Depth=1
	v_bfe_u32 v2, v4, 24, 3
	v_ffbh_u32_e32 v0, v2
	v_bfe_u32 v3, v4, 27, 4
	v_min_u32_e32 v4, 32, v0
	v_subrev_u32_e32 v0, 28, v4
	v_lshlrev_b64 v[0:1], v0, v[8:9]
	v_sub_u32_e32 v1, 29, v4
	v_cmp_eq_u32_e32 vcc, 0, v3
	v_and_b32_e32 v0, 7, v0
	s_nop 0
	v_cndmask_b32_e32 v1, v3, v1, vcc
	v_cndmask_b32_e32 v0, v2, v0, vcc
	v_lshlrev_b32_e32 v2, 8, v8
	v_lshl_add_u32 v1, v1, 10, v23
	v_and_or_b32 v1, v2, s55, v1
	v_lshl_or_b32 v0, v0, 7, v1
	v_cvt_f32_f16_e32 v0, v0
	scratch_store_dword off, v0, s32 offset:416 ; 4-byte Folded Spill
.LBB298_392:                            ;   in Loop: Header=BB298_13 Depth=1
	s_or_b64 exec, exec, s[48:49]
	flat_load_dword v4, v[48:49] offset:3584
	s_mov_b64 vcc, 0
                                        ; implicit-def: $sgpr50
	s_waitcnt vmcnt(0) lgkmcnt(0)
	v_cmp_gt_i16_sdwa s[46:47], v4, s53 src0_sel:BYTE_0 src1_sel:DWORD
	s_and_saveexec_b64 s[48:49], s[46:47]
	s_xor_b64 s[46:47], exec, s[48:49]
	s_cbranch_execz .LBB298_396
; %bb.393:                              ;   in Loop: Header=BB298_13 Depth=1
	v_cmp_eq_u16_sdwa s[56:57], v4, s54 src0_sel:BYTE_0 src1_sel:DWORD
	s_mov_b64 vcc, -1
                                        ; implicit-def: $sgpr50
	s_and_saveexec_b64 s[48:49], s[56:57]
; %bb.394:                              ;   in Loop: Header=BB298_13 Depth=1
	s_mov_b32 s50, 0x7fc02000
	s_xor_b64 vcc, exec, -1
; %bb.395:                              ;   in Loop: Header=BB298_13 Depth=1
	s_or_b64 exec, exec, s[48:49]
	s_and_b64 vcc, vcc, exec
.LBB298_396:                            ;   in Loop: Header=BB298_13 Depth=1
	s_or_saveexec_b64 s[46:47], s[46:47]
	v_mov_b32_e32 v0, s50
	scratch_store_dword off, v0, s32 offset:420 ; 4-byte Folded Spill
	s_xor_b64 exec, exec, s[46:47]
	s_cbranch_execz .LBB298_398
; %bb.397:                              ;   in Loop: Header=BB298_13 Depth=1
	v_cmp_ne_u16_sdwa s[48:49], v4, v9 src0_sel:BYTE_0 src1_sel:DWORD
	s_andn2_b64 vcc, vcc, exec
	s_and_b64 s[48:49], s[48:49], exec
	v_mov_b32_e32 v0, 0
	s_or_b64 vcc, vcc, s[48:49]
	scratch_store_dword off, v0, s32 offset:420 ; 4-byte Folded Spill
.LBB298_398:                            ;   in Loop: Header=BB298_13 Depth=1
	s_or_b64 exec, exec, s[46:47]
	s_and_saveexec_b64 s[46:47], vcc
	s_cbranch_execz .LBB298_400
; %bb.399:                              ;   in Loop: Header=BB298_13 Depth=1
	v_and_b32_e32 v2, 7, v4
	v_ffbh_u32_e32 v0, v2
	v_min_u32_e32 v6, 32, v0
	v_subrev_u32_e32 v0, 28, v6
	v_bfe_u32 v3, v4, 3, 4
	v_lshlrev_b64 v[0:1], v0, v[4:5]
	v_sub_u32_e32 v1, 29, v6
	v_cmp_eq_u32_e32 vcc, 0, v3
	v_and_b32_e32 v0, 7, v0
	s_nop 0
	v_cndmask_b32_e32 v1, v3, v1, vcc
	v_cndmask_b32_e32 v0, v2, v0, vcc
	v_lshlrev_b32_e32 v2, 8, v4
	v_lshl_add_u32 v1, v1, 10, v23
	v_and_or_b32 v1, v2, s55, v1
	v_lshl_or_b32 v0, v0, 7, v1
	v_cvt_f32_f16_e32 v0, v0
	scratch_store_dword off, v0, s32 offset:420 ; 4-byte Folded Spill
.LBB298_400:                            ;   in Loop: Header=BB298_13 Depth=1
	s_or_b64 exec, exec, s[46:47]
	v_lshrrev_b16_e32 v8, 8, v4
	v_cmp_lt_i16_e32 vcc, s53, v8
	s_mov_b64 s[46:47], 0
                                        ; implicit-def: $sgpr56
	s_and_saveexec_b64 s[48:49], vcc
	s_xor_b64 s[48:49], exec, s[48:49]
	s_cbranch_execz .LBB298_404
; %bb.401:                              ;   in Loop: Header=BB298_13 Depth=1
	v_cmp_eq_u16_e32 vcc, s54, v8
	s_mov_b64 s[46:47], -1
                                        ; implicit-def: $sgpr56
	s_and_saveexec_b64 s[50:51], vcc
; %bb.402:                              ;   in Loop: Header=BB298_13 Depth=1
	s_mov_b32 s56, 0x7fc02000
	s_xor_b64 s[46:47], exec, -1
; %bb.403:                              ;   in Loop: Header=BB298_13 Depth=1
	s_or_b64 exec, exec, s[50:51]
	s_and_b64 s[46:47], s[46:47], exec
.LBB298_404:                            ;   in Loop: Header=BB298_13 Depth=1
	s_or_saveexec_b64 s[48:49], s[48:49]
	v_mov_b32_e32 v0, s56
	scratch_store_dword off, v0, s32 offset:424 ; 4-byte Folded Spill
	s_xor_b64 exec, exec, s[48:49]
	s_cbranch_execz .LBB298_406
; %bb.405:                              ;   in Loop: Header=BB298_13 Depth=1
	v_cmp_ne_u16_e32 vcc, 0, v8
	s_andn2_b64 s[46:47], s[46:47], exec
	s_and_b64 vcc, vcc, exec
	v_mov_b32_e32 v0, 0
	s_or_b64 s[46:47], s[46:47], vcc
	scratch_store_dword off, v0, s32 offset:424 ; 4-byte Folded Spill
.LBB298_406:                            ;   in Loop: Header=BB298_13 Depth=1
	s_or_b64 exec, exec, s[48:49]
	s_and_saveexec_b64 s[48:49], s[46:47]
	s_cbranch_execz .LBB298_408
; %bb.407:                              ;   in Loop: Header=BB298_13 Depth=1
	v_and_b32_e32 v2, 7, v8
	v_ffbh_u32_e32 v0, v2
	v_min_u32_e32 v6, 32, v0
	v_subrev_u32_e32 v0, 28, v6
	v_bfe_u32 v3, v8, 3, 4
	v_lshlrev_b64 v[0:1], v0, v[8:9]
	v_sub_u32_e32 v1, 29, v6
	v_cmp_eq_u32_e32 vcc, 0, v3
	v_and_b32_e32 v0, 7, v0
	s_nop 0
	v_cndmask_b32_e32 v1, v3, v1, vcc
	v_cndmask_b32_e32 v0, v2, v0, vcc
	v_lshlrev_b32_e32 v2, 8, v8
	v_lshl_add_u32 v1, v1, 10, v23
	v_and_or_b32 v1, v2, s55, v1
	v_lshl_or_b32 v0, v0, 7, v1
	v_cvt_f32_f16_e32 v0, v0
	scratch_store_dword off, v0, s32 offset:424 ; 4-byte Folded Spill
.LBB298_408:                            ;   in Loop: Header=BB298_13 Depth=1
	s_or_b64 exec, exec, s[48:49]
	v_lshrrev_b32_e32 v8, 16, v4
	v_cmp_gt_i16_sdwa s[46:47], v8, s53 src0_sel:BYTE_0 src1_sel:DWORD
	s_mov_b64 vcc, 0
                                        ; implicit-def: $sgpr50
	s_and_saveexec_b64 s[48:49], s[46:47]
	s_xor_b64 s[46:47], exec, s[48:49]
	s_cbranch_execz .LBB298_412
; %bb.409:                              ;   in Loop: Header=BB298_13 Depth=1
	v_cmp_eq_u16_sdwa s[56:57], v8, s54 src0_sel:BYTE_0 src1_sel:DWORD
	s_mov_b64 vcc, -1
                                        ; implicit-def: $sgpr50
	s_and_saveexec_b64 s[48:49], s[56:57]
; %bb.410:                              ;   in Loop: Header=BB298_13 Depth=1
	s_mov_b32 s50, 0x7fc02000
	s_xor_b64 vcc, exec, -1
; %bb.411:                              ;   in Loop: Header=BB298_13 Depth=1
	s_or_b64 exec, exec, s[48:49]
	s_and_b64 vcc, vcc, exec
.LBB298_412:                            ;   in Loop: Header=BB298_13 Depth=1
	s_or_saveexec_b64 s[46:47], s[46:47]
	v_mov_b32_e32 v0, s50
	scratch_store_dword off, v0, s32 offset:428 ; 4-byte Folded Spill
	s_xor_b64 exec, exec, s[46:47]
	s_cbranch_execz .LBB298_414
; %bb.413:                              ;   in Loop: Header=BB298_13 Depth=1
	v_cmp_ne_u16_sdwa s[48:49], v8, v9 src0_sel:BYTE_0 src1_sel:DWORD
	s_andn2_b64 vcc, vcc, exec
	s_and_b64 s[48:49], s[48:49], exec
	v_mov_b32_e32 v0, 0
	s_or_b64 vcc, vcc, s[48:49]
	scratch_store_dword off, v0, s32 offset:428 ; 4-byte Folded Spill
.LBB298_414:                            ;   in Loop: Header=BB298_13 Depth=1
	s_or_b64 exec, exec, s[46:47]
	s_and_saveexec_b64 s[46:47], vcc
	s_cbranch_execz .LBB298_416
; %bb.415:                              ;   in Loop: Header=BB298_13 Depth=1
	v_bfe_u32 v2, v4, 16, 3
	v_ffbh_u32_e32 v0, v2
	v_min_u32_e32 v6, 32, v0
	v_subrev_u32_e32 v0, 28, v6
	v_bfe_u32 v3, v4, 19, 4
	v_lshlrev_b64 v[0:1], v0, v[8:9]
	v_sub_u32_e32 v1, 29, v6
	v_cmp_eq_u32_e32 vcc, 0, v3
	v_and_b32_e32 v0, 7, v0
	s_nop 0
	v_cndmask_b32_e32 v1, v3, v1, vcc
	v_cndmask_b32_e32 v0, v2, v0, vcc
	v_lshlrev_b32_e32 v2, 8, v8
	v_lshl_add_u32 v1, v1, 10, v23
	v_and_or_b32 v1, v2, s55, v1
	v_lshl_or_b32 v0, v0, 7, v1
	v_cvt_f32_f16_e32 v0, v0
	scratch_store_dword off, v0, s32 offset:428 ; 4-byte Folded Spill
.LBB298_416:                            ;   in Loop: Header=BB298_13 Depth=1
	s_or_b64 exec, exec, s[46:47]
	v_lshrrev_b32_e32 v8, 24, v4
	v_cmp_lt_i16_e32 vcc, s53, v8
	s_mov_b64 s[46:47], 0
                                        ; implicit-def: $sgpr56
	s_and_saveexec_b64 s[48:49], vcc
	s_xor_b64 s[48:49], exec, s[48:49]
	s_cbranch_execz .LBB298_420
; %bb.417:                              ;   in Loop: Header=BB298_13 Depth=1
	v_cmp_eq_u16_e32 vcc, s54, v8
	s_mov_b64 s[46:47], -1
                                        ; implicit-def: $sgpr56
	s_and_saveexec_b64 s[50:51], vcc
; %bb.418:                              ;   in Loop: Header=BB298_13 Depth=1
	s_mov_b32 s56, 0x7fc02000
	s_xor_b64 s[46:47], exec, -1
; %bb.419:                              ;   in Loop: Header=BB298_13 Depth=1
	s_or_b64 exec, exec, s[50:51]
	s_and_b64 s[46:47], s[46:47], exec
.LBB298_420:                            ;   in Loop: Header=BB298_13 Depth=1
	s_or_saveexec_b64 s[48:49], s[48:49]
	v_mov_b32_e32 v0, s56
	scratch_store_dword off, v0, s32 offset:432 ; 4-byte Folded Spill
	s_xor_b64 exec, exec, s[48:49]
	s_cbranch_execz .LBB298_422
; %bb.421:                              ;   in Loop: Header=BB298_13 Depth=1
	v_cmp_ne_u16_e32 vcc, 0, v8
	s_andn2_b64 s[46:47], s[46:47], exec
	s_and_b64 vcc, vcc, exec
	v_mov_b32_e32 v0, 0
	s_or_b64 s[46:47], s[46:47], vcc
	scratch_store_dword off, v0, s32 offset:432 ; 4-byte Folded Spill
.LBB298_422:                            ;   in Loop: Header=BB298_13 Depth=1
	s_or_b64 exec, exec, s[48:49]
	s_and_saveexec_b64 s[48:49], s[46:47]
	s_cbranch_execz .LBB298_424
; %bb.423:                              ;   in Loop: Header=BB298_13 Depth=1
	v_bfe_u32 v2, v4, 24, 3
	v_ffbh_u32_e32 v0, v2
	v_bfe_u32 v3, v4, 27, 4
	v_min_u32_e32 v4, 32, v0
	v_subrev_u32_e32 v0, 28, v4
	v_lshlrev_b64 v[0:1], v0, v[8:9]
	v_sub_u32_e32 v1, 29, v4
	v_cmp_eq_u32_e32 vcc, 0, v3
	v_and_b32_e32 v0, 7, v0
	s_nop 0
	v_cndmask_b32_e32 v1, v3, v1, vcc
	v_cndmask_b32_e32 v0, v2, v0, vcc
	v_lshlrev_b32_e32 v2, 8, v8
	v_lshl_add_u32 v1, v1, 10, v23
	v_and_or_b32 v1, v2, s55, v1
	v_lshl_or_b32 v0, v0, 7, v1
	v_cvt_f32_f16_e32 v0, v0
	scratch_store_dword off, v0, s32 offset:432 ; 4-byte Folded Spill
.LBB298_424:                            ;   in Loop: Header=BB298_13 Depth=1
	s_or_b64 exec, exec, s[48:49]
	flat_load_dword v4, v[48:49] offset:3592
	s_mov_b64 vcc, 0
                                        ; implicit-def: $sgpr50
	s_waitcnt vmcnt(0) lgkmcnt(0)
	v_cmp_gt_i16_sdwa s[46:47], v4, s53 src0_sel:BYTE_0 src1_sel:DWORD
	s_and_saveexec_b64 s[48:49], s[46:47]
	s_xor_b64 s[46:47], exec, s[48:49]
	s_cbranch_execz .LBB298_428
; %bb.425:                              ;   in Loop: Header=BB298_13 Depth=1
	v_cmp_eq_u16_sdwa s[56:57], v4, s54 src0_sel:BYTE_0 src1_sel:DWORD
	s_mov_b64 vcc, -1
                                        ; implicit-def: $sgpr50
	s_and_saveexec_b64 s[48:49], s[56:57]
; %bb.426:                              ;   in Loop: Header=BB298_13 Depth=1
	s_mov_b32 s50, 0x7fc02000
	s_xor_b64 vcc, exec, -1
; %bb.427:                              ;   in Loop: Header=BB298_13 Depth=1
	s_or_b64 exec, exec, s[48:49]
	s_and_b64 vcc, vcc, exec
.LBB298_428:                            ;   in Loop: Header=BB298_13 Depth=1
	s_or_saveexec_b64 s[46:47], s[46:47]
	v_mov_b32_e32 v0, s50
	scratch_store_dword off, v0, s32 offset:436 ; 4-byte Folded Spill
	s_xor_b64 exec, exec, s[46:47]
	s_cbranch_execz .LBB298_430
; %bb.429:                              ;   in Loop: Header=BB298_13 Depth=1
	v_cmp_ne_u16_sdwa s[48:49], v4, v9 src0_sel:BYTE_0 src1_sel:DWORD
	s_andn2_b64 vcc, vcc, exec
	s_and_b64 s[48:49], s[48:49], exec
	v_mov_b32_e32 v0, 0
	s_or_b64 vcc, vcc, s[48:49]
	scratch_store_dword off, v0, s32 offset:436 ; 4-byte Folded Spill
.LBB298_430:                            ;   in Loop: Header=BB298_13 Depth=1
	s_or_b64 exec, exec, s[46:47]
	s_and_saveexec_b64 s[46:47], vcc
	s_cbranch_execz .LBB298_432
; %bb.431:                              ;   in Loop: Header=BB298_13 Depth=1
	v_and_b32_e32 v2, 7, v4
	v_ffbh_u32_e32 v0, v2
	v_min_u32_e32 v6, 32, v0
	v_subrev_u32_e32 v0, 28, v6
	v_bfe_u32 v3, v4, 3, 4
	v_lshlrev_b64 v[0:1], v0, v[4:5]
	v_sub_u32_e32 v1, 29, v6
	v_cmp_eq_u32_e32 vcc, 0, v3
	v_and_b32_e32 v0, 7, v0
	s_nop 0
	v_cndmask_b32_e32 v1, v3, v1, vcc
	v_cndmask_b32_e32 v0, v2, v0, vcc
	v_lshlrev_b32_e32 v2, 8, v4
	v_lshl_add_u32 v1, v1, 10, v23
	v_and_or_b32 v1, v2, s55, v1
	v_lshl_or_b32 v0, v0, 7, v1
	v_cvt_f32_f16_e32 v0, v0
	scratch_store_dword off, v0, s32 offset:436 ; 4-byte Folded Spill
.LBB298_432:                            ;   in Loop: Header=BB298_13 Depth=1
	s_or_b64 exec, exec, s[46:47]
	v_lshrrev_b16_e32 v8, 8, v4
	v_cmp_lt_i16_e32 vcc, s53, v8
	s_mov_b64 s[46:47], 0
                                        ; implicit-def: $sgpr56
	s_and_saveexec_b64 s[48:49], vcc
	s_xor_b64 s[48:49], exec, s[48:49]
	s_cbranch_execz .LBB298_436
; %bb.433:                              ;   in Loop: Header=BB298_13 Depth=1
	v_cmp_eq_u16_e32 vcc, s54, v8
	s_mov_b64 s[46:47], -1
                                        ; implicit-def: $sgpr56
	s_and_saveexec_b64 s[50:51], vcc
; %bb.434:                              ;   in Loop: Header=BB298_13 Depth=1
	s_mov_b32 s56, 0x7fc02000
	s_xor_b64 s[46:47], exec, -1
; %bb.435:                              ;   in Loop: Header=BB298_13 Depth=1
	s_or_b64 exec, exec, s[50:51]
	s_and_b64 s[46:47], s[46:47], exec
.LBB298_436:                            ;   in Loop: Header=BB298_13 Depth=1
	s_or_saveexec_b64 s[48:49], s[48:49]
	v_mov_b32_e32 v0, s56
	scratch_store_dword off, v0, s32 offset:440 ; 4-byte Folded Spill
	s_xor_b64 exec, exec, s[48:49]
	s_cbranch_execz .LBB298_438
; %bb.437:                              ;   in Loop: Header=BB298_13 Depth=1
	v_cmp_ne_u16_e32 vcc, 0, v8
	s_andn2_b64 s[46:47], s[46:47], exec
	s_and_b64 vcc, vcc, exec
	v_mov_b32_e32 v0, 0
	s_or_b64 s[46:47], s[46:47], vcc
	scratch_store_dword off, v0, s32 offset:440 ; 4-byte Folded Spill
.LBB298_438:                            ;   in Loop: Header=BB298_13 Depth=1
	s_or_b64 exec, exec, s[48:49]
	s_and_saveexec_b64 s[48:49], s[46:47]
	s_cbranch_execz .LBB298_440
; %bb.439:                              ;   in Loop: Header=BB298_13 Depth=1
	v_and_b32_e32 v2, 7, v8
	v_ffbh_u32_e32 v0, v2
	v_min_u32_e32 v6, 32, v0
	v_subrev_u32_e32 v0, 28, v6
	v_bfe_u32 v3, v8, 3, 4
	v_lshlrev_b64 v[0:1], v0, v[8:9]
	v_sub_u32_e32 v1, 29, v6
	v_cmp_eq_u32_e32 vcc, 0, v3
	v_and_b32_e32 v0, 7, v0
	s_nop 0
	v_cndmask_b32_e32 v1, v3, v1, vcc
	v_cndmask_b32_e32 v0, v2, v0, vcc
	v_lshlrev_b32_e32 v2, 8, v8
	v_lshl_add_u32 v1, v1, 10, v23
	v_and_or_b32 v1, v2, s55, v1
	v_lshl_or_b32 v0, v0, 7, v1
	v_cvt_f32_f16_e32 v0, v0
	scratch_store_dword off, v0, s32 offset:440 ; 4-byte Folded Spill
.LBB298_440:                            ;   in Loop: Header=BB298_13 Depth=1
	s_or_b64 exec, exec, s[48:49]
	v_lshrrev_b32_e32 v8, 16, v4
	v_cmp_gt_i16_sdwa s[46:47], v8, s53 src0_sel:BYTE_0 src1_sel:DWORD
	s_mov_b64 vcc, 0
                                        ; implicit-def: $sgpr50
	s_and_saveexec_b64 s[48:49], s[46:47]
	s_xor_b64 s[46:47], exec, s[48:49]
	s_cbranch_execnz .LBB298_826
; %bb.441:                              ;   in Loop: Header=BB298_13 Depth=1
	s_or_saveexec_b64 s[46:47], s[46:47]
	v_mov_b32_e32 v0, s50
	s_xor_b64 exec, exec, s[46:47]
	s_cbranch_execnz .LBB298_829
.LBB298_442:                            ;   in Loop: Header=BB298_13 Depth=1
	s_or_b64 exec, exec, s[46:47]
	s_and_saveexec_b64 s[46:47], vcc
	s_cbranch_execz .LBB298_444
.LBB298_443:                            ;   in Loop: Header=BB298_13 Depth=1
	v_bfe_u32 v2, v4, 16, 3
	v_ffbh_u32_e32 v0, v2
	v_min_u32_e32 v6, 32, v0
	v_subrev_u32_e32 v0, 28, v6
	v_bfe_u32 v3, v4, 19, 4
	v_lshlrev_b64 v[0:1], v0, v[8:9]
	v_sub_u32_e32 v1, 29, v6
	v_cmp_eq_u32_e32 vcc, 0, v3
	v_and_b32_e32 v0, 7, v0
	s_nop 0
	v_cndmask_b32_e32 v1, v3, v1, vcc
	v_cndmask_b32_e32 v0, v2, v0, vcc
	v_lshlrev_b32_e32 v2, 8, v8
	v_lshl_add_u32 v1, v1, 10, v23
	v_and_or_b32 v1, v2, s55, v1
	v_lshl_or_b32 v0, v0, 7, v1
	v_cvt_f32_f16_e32 v0, v0
.LBB298_444:                            ;   in Loop: Header=BB298_13 Depth=1
	s_or_b64 exec, exec, s[46:47]
	v_lshrrev_b32_e32 v8, 24, v4
	v_cmp_lt_i16_e32 vcc, s53, v8
	s_mov_b64 s[46:47], 0
                                        ; implicit-def: $sgpr56
	s_and_saveexec_b64 s[48:49], vcc
	s_xor_b64 s[48:49], exec, s[48:49]
	s_cbranch_execnz .LBB298_830
; %bb.445:                              ;   in Loop: Header=BB298_13 Depth=1
	s_or_saveexec_b64 s[48:49], s[48:49]
	v_mov_b32_e32 v1, s56
	s_xor_b64 exec, exec, s[48:49]
	s_cbranch_execnz .LBB298_833
.LBB298_446:                            ;   in Loop: Header=BB298_13 Depth=1
	s_or_b64 exec, exec, s[48:49]
	scratch_store_dword off, v0, s32 offset:556 ; 4-byte Folded Spill
	s_and_saveexec_b64 s[48:49], s[46:47]
	s_cbranch_execz .LBB298_448
.LBB298_447:                            ;   in Loop: Header=BB298_13 Depth=1
	v_bfe_u32 v2, v4, 24, 3
	v_ffbh_u32_e32 v0, v2
	v_bfe_u32 v3, v4, 27, 4
	v_min_u32_e32 v4, 32, v0
	v_subrev_u32_e32 v0, 28, v4
	v_lshlrev_b64 v[0:1], v0, v[8:9]
	v_sub_u32_e32 v1, 29, v4
	v_cmp_eq_u32_e32 vcc, 0, v3
	v_and_b32_e32 v0, 7, v0
	s_nop 0
	v_cndmask_b32_e32 v1, v3, v1, vcc
	v_cndmask_b32_e32 v0, v2, v0, vcc
	v_lshlrev_b32_e32 v2, 8, v8
	v_lshl_add_u32 v1, v1, 10, v23
	v_and_or_b32 v1, v2, s55, v1
	v_lshl_or_b32 v0, v0, 7, v1
	v_cvt_f32_f16_e32 v1, v0
.LBB298_448:                            ;   in Loop: Header=BB298_13 Depth=1
	s_or_b64 exec, exec, s[48:49]
	v_add_co_u32_e32 v0, vcc, 0x1000, v48
	scratch_store_dword off, v1, s32 offset:560 ; 4-byte Folded Spill
	s_nop 0
	v_addc_co_u32_e32 v1, vcc, 0, v49, vcc
	flat_load_dword v4, v[0:1]
	s_mov_b64 vcc, 0
                                        ; implicit-def: $sgpr50
	s_waitcnt vmcnt(0) lgkmcnt(0)
	v_cmp_gt_i16_sdwa s[46:47], v4, s53 src0_sel:BYTE_0 src1_sel:DWORD
	s_and_saveexec_b64 s[48:49], s[46:47]
	s_xor_b64 s[46:47], exec, s[48:49]
	s_cbranch_execz .LBB298_452
; %bb.449:                              ;   in Loop: Header=BB298_13 Depth=1
	v_cmp_eq_u16_sdwa s[56:57], v4, s54 src0_sel:BYTE_0 src1_sel:DWORD
	s_mov_b64 vcc, -1
                                        ; implicit-def: $sgpr50
	s_and_saveexec_b64 s[48:49], s[56:57]
; %bb.450:                              ;   in Loop: Header=BB298_13 Depth=1
	s_mov_b32 s50, 0x7fc02000
	s_xor_b64 vcc, exec, -1
; %bb.451:                              ;   in Loop: Header=BB298_13 Depth=1
	s_or_b64 exec, exec, s[48:49]
	s_and_b64 vcc, vcc, exec
.LBB298_452:                            ;   in Loop: Header=BB298_13 Depth=1
	s_or_saveexec_b64 s[46:47], s[46:47]
	v_mov_b32_e32 v0, s50
	scratch_store_dword off, v0, s32 offset:444 ; 4-byte Folded Spill
	s_xor_b64 exec, exec, s[46:47]
	s_cbranch_execz .LBB298_454
; %bb.453:                              ;   in Loop: Header=BB298_13 Depth=1
	v_cmp_ne_u16_sdwa s[48:49], v4, v9 src0_sel:BYTE_0 src1_sel:DWORD
	s_andn2_b64 vcc, vcc, exec
	s_and_b64 s[48:49], s[48:49], exec
	v_mov_b32_e32 v0, 0
	s_or_b64 vcc, vcc, s[48:49]
	scratch_store_dword off, v0, s32 offset:444 ; 4-byte Folded Spill
.LBB298_454:                            ;   in Loop: Header=BB298_13 Depth=1
	s_or_b64 exec, exec, s[46:47]
	s_and_saveexec_b64 s[46:47], vcc
	s_cbranch_execz .LBB298_456
; %bb.455:                              ;   in Loop: Header=BB298_13 Depth=1
	v_and_b32_e32 v2, 7, v4
	v_ffbh_u32_e32 v0, v2
	v_min_u32_e32 v6, 32, v0
	v_subrev_u32_e32 v0, 28, v6
	v_bfe_u32 v3, v4, 3, 4
	v_lshlrev_b64 v[0:1], v0, v[4:5]
	v_sub_u32_e32 v1, 29, v6
	v_cmp_eq_u32_e32 vcc, 0, v3
	v_and_b32_e32 v0, 7, v0
	s_nop 0
	v_cndmask_b32_e32 v1, v3, v1, vcc
	v_cndmask_b32_e32 v0, v2, v0, vcc
	v_lshlrev_b32_e32 v2, 8, v4
	v_lshl_add_u32 v1, v1, 10, v23
	v_and_or_b32 v1, v2, s55, v1
	v_lshl_or_b32 v0, v0, 7, v1
	v_cvt_f32_f16_e32 v0, v0
	scratch_store_dword off, v0, s32 offset:444 ; 4-byte Folded Spill
.LBB298_456:                            ;   in Loop: Header=BB298_13 Depth=1
	s_or_b64 exec, exec, s[46:47]
	v_lshrrev_b16_e32 v8, 8, v4
	v_lshl_add_u64 v[50:51], v[48:49], 0, s[28:29]
	v_cmp_lt_i16_e32 vcc, s53, v8
	s_mov_b64 s[46:47], 0
                                        ; implicit-def: $sgpr56
	s_and_saveexec_b64 s[48:49], vcc
	s_xor_b64 s[48:49], exec, s[48:49]
	s_cbranch_execz .LBB298_460
; %bb.457:                              ;   in Loop: Header=BB298_13 Depth=1
	v_cmp_eq_u16_e32 vcc, s54, v8
	s_mov_b64 s[46:47], -1
                                        ; implicit-def: $sgpr56
	s_and_saveexec_b64 s[50:51], vcc
; %bb.458:                              ;   in Loop: Header=BB298_13 Depth=1
	s_mov_b32 s56, 0x7fc02000
	s_xor_b64 s[46:47], exec, -1
; %bb.459:                              ;   in Loop: Header=BB298_13 Depth=1
	s_or_b64 exec, exec, s[50:51]
	s_and_b64 s[46:47], s[46:47], exec
.LBB298_460:                            ;   in Loop: Header=BB298_13 Depth=1
	s_or_saveexec_b64 s[48:49], s[48:49]
	v_mov_b32_e32 v0, s56
	scratch_store_dword off, v0, s32 offset:448 ; 4-byte Folded Spill
	s_xor_b64 exec, exec, s[48:49]
	s_cbranch_execz .LBB298_462
; %bb.461:                              ;   in Loop: Header=BB298_13 Depth=1
	v_cmp_ne_u16_e32 vcc, 0, v8
	s_andn2_b64 s[46:47], s[46:47], exec
	s_and_b64 vcc, vcc, exec
	v_mov_b32_e32 v0, 0
	s_or_b64 s[46:47], s[46:47], vcc
	scratch_store_dword off, v0, s32 offset:448 ; 4-byte Folded Spill
.LBB298_462:                            ;   in Loop: Header=BB298_13 Depth=1
	s_or_b64 exec, exec, s[48:49]
	s_and_saveexec_b64 s[48:49], s[46:47]
	s_cbranch_execz .LBB298_464
; %bb.463:                              ;   in Loop: Header=BB298_13 Depth=1
	v_and_b32_e32 v2, 7, v8
	v_ffbh_u32_e32 v0, v2
	v_min_u32_e32 v6, 32, v0
	v_subrev_u32_e32 v0, 28, v6
	v_bfe_u32 v3, v8, 3, 4
	v_lshlrev_b64 v[0:1], v0, v[8:9]
	v_sub_u32_e32 v1, 29, v6
	v_cmp_eq_u32_e32 vcc, 0, v3
	v_and_b32_e32 v0, 7, v0
	s_nop 0
	v_cndmask_b32_e32 v1, v3, v1, vcc
	v_cndmask_b32_e32 v0, v2, v0, vcc
	v_lshlrev_b32_e32 v2, 8, v8
	v_lshl_add_u32 v1, v1, 10, v23
	v_and_or_b32 v1, v2, s55, v1
	v_lshl_or_b32 v0, v0, 7, v1
	v_cvt_f32_f16_e32 v0, v0
	scratch_store_dword off, v0, s32 offset:448 ; 4-byte Folded Spill
.LBB298_464:                            ;   in Loop: Header=BB298_13 Depth=1
	s_or_b64 exec, exec, s[48:49]
	v_lshrrev_b32_e32 v8, 16, v4
	v_cmp_gt_i16_sdwa s[46:47], v8, s53 src0_sel:BYTE_0 src1_sel:DWORD
	s_mov_b64 vcc, 0
                                        ; implicit-def: $sgpr50
	s_and_saveexec_b64 s[48:49], s[46:47]
	s_xor_b64 s[46:47], exec, s[48:49]
	s_cbranch_execz .LBB298_468
; %bb.465:                              ;   in Loop: Header=BB298_13 Depth=1
	v_cmp_eq_u16_sdwa s[56:57], v8, s54 src0_sel:BYTE_0 src1_sel:DWORD
	s_mov_b64 vcc, -1
                                        ; implicit-def: $sgpr50
	s_and_saveexec_b64 s[48:49], s[56:57]
; %bb.466:                              ;   in Loop: Header=BB298_13 Depth=1
	s_mov_b32 s50, 0x7fc02000
	s_xor_b64 vcc, exec, -1
; %bb.467:                              ;   in Loop: Header=BB298_13 Depth=1
	s_or_b64 exec, exec, s[48:49]
	s_and_b64 vcc, vcc, exec
.LBB298_468:                            ;   in Loop: Header=BB298_13 Depth=1
	s_or_saveexec_b64 s[46:47], s[46:47]
	v_mov_b32_e32 v0, s50
	scratch_store_dword off, v0, s32 offset:452 ; 4-byte Folded Spill
	s_xor_b64 exec, exec, s[46:47]
	s_cbranch_execz .LBB298_470
; %bb.469:                              ;   in Loop: Header=BB298_13 Depth=1
	v_cmp_ne_u16_sdwa s[48:49], v8, v9 src0_sel:BYTE_0 src1_sel:DWORD
	s_andn2_b64 vcc, vcc, exec
	s_and_b64 s[48:49], s[48:49], exec
	v_mov_b32_e32 v0, 0
	s_or_b64 vcc, vcc, s[48:49]
	scratch_store_dword off, v0, s32 offset:452 ; 4-byte Folded Spill
.LBB298_470:                            ;   in Loop: Header=BB298_13 Depth=1
	s_or_b64 exec, exec, s[46:47]
	s_and_saveexec_b64 s[46:47], vcc
	s_cbranch_execz .LBB298_472
; %bb.471:                              ;   in Loop: Header=BB298_13 Depth=1
	v_bfe_u32 v2, v4, 16, 3
	v_ffbh_u32_e32 v0, v2
	v_min_u32_e32 v6, 32, v0
	v_subrev_u32_e32 v0, 28, v6
	v_bfe_u32 v3, v4, 19, 4
	v_lshlrev_b64 v[0:1], v0, v[8:9]
	v_sub_u32_e32 v1, 29, v6
	v_cmp_eq_u32_e32 vcc, 0, v3
	v_and_b32_e32 v0, 7, v0
	s_nop 0
	v_cndmask_b32_e32 v1, v3, v1, vcc
	v_cndmask_b32_e32 v0, v2, v0, vcc
	v_lshlrev_b32_e32 v2, 8, v8
	v_lshl_add_u32 v1, v1, 10, v23
	v_and_or_b32 v1, v2, s55, v1
	v_lshl_or_b32 v0, v0, 7, v1
	v_cvt_f32_f16_e32 v0, v0
	scratch_store_dword off, v0, s32 offset:452 ; 4-byte Folded Spill
.LBB298_472:                            ;   in Loop: Header=BB298_13 Depth=1
	s_or_b64 exec, exec, s[46:47]
	v_lshrrev_b32_e32 v8, 24, v4
	v_cmp_lt_i16_e32 vcc, s53, v8
	s_mov_b64 s[46:47], 0
                                        ; implicit-def: $sgpr56
	s_and_saveexec_b64 s[48:49], vcc
	s_xor_b64 s[48:49], exec, s[48:49]
	s_cbranch_execz .LBB298_476
; %bb.473:                              ;   in Loop: Header=BB298_13 Depth=1
	v_cmp_eq_u16_e32 vcc, s54, v8
	s_mov_b64 s[46:47], -1
                                        ; implicit-def: $sgpr56
	s_and_saveexec_b64 s[50:51], vcc
; %bb.474:                              ;   in Loop: Header=BB298_13 Depth=1
	s_mov_b32 s56, 0x7fc02000
	s_xor_b64 s[46:47], exec, -1
; %bb.475:                              ;   in Loop: Header=BB298_13 Depth=1
	s_or_b64 exec, exec, s[50:51]
	s_and_b64 s[46:47], s[46:47], exec
.LBB298_476:                            ;   in Loop: Header=BB298_13 Depth=1
	s_or_saveexec_b64 s[48:49], s[48:49]
	v_mov_b32_e32 v0, s56
	scratch_store_dword off, v0, s32 offset:456 ; 4-byte Folded Spill
	s_xor_b64 exec, exec, s[48:49]
	s_cbranch_execz .LBB298_478
; %bb.477:                              ;   in Loop: Header=BB298_13 Depth=1
	v_cmp_ne_u16_e32 vcc, 0, v8
	s_andn2_b64 s[46:47], s[46:47], exec
	s_and_b64 vcc, vcc, exec
	v_mov_b32_e32 v0, 0
	s_or_b64 s[46:47], s[46:47], vcc
	scratch_store_dword off, v0, s32 offset:456 ; 4-byte Folded Spill
.LBB298_478:                            ;   in Loop: Header=BB298_13 Depth=1
	s_or_b64 exec, exec, s[48:49]
	s_and_saveexec_b64 s[48:49], s[46:47]
	s_cbranch_execz .LBB298_480
; %bb.479:                              ;   in Loop: Header=BB298_13 Depth=1
	v_bfe_u32 v2, v4, 24, 3
	v_ffbh_u32_e32 v0, v2
	v_bfe_u32 v3, v4, 27, 4
	v_min_u32_e32 v4, 32, v0
	v_subrev_u32_e32 v0, 28, v4
	v_lshlrev_b64 v[0:1], v0, v[8:9]
	v_sub_u32_e32 v1, 29, v4
	v_cmp_eq_u32_e32 vcc, 0, v3
	v_and_b32_e32 v0, 7, v0
	s_nop 0
	v_cndmask_b32_e32 v1, v3, v1, vcc
	v_cndmask_b32_e32 v0, v2, v0, vcc
	v_lshlrev_b32_e32 v2, 8, v8
	v_lshl_add_u32 v1, v1, 10, v23
	v_and_or_b32 v1, v2, s55, v1
	v_lshl_or_b32 v0, v0, 7, v1
	v_cvt_f32_f16_e32 v0, v0
	scratch_store_dword off, v0, s32 offset:456 ; 4-byte Folded Spill
.LBB298_480:                            ;   in Loop: Header=BB298_13 Depth=1
	s_or_b64 exec, exec, s[48:49]
	flat_load_dword v4, v[50:51] offset:8
	s_mov_b64 vcc, 0
                                        ; implicit-def: $sgpr50
	s_waitcnt vmcnt(0) lgkmcnt(0)
	v_cmp_gt_i16_sdwa s[46:47], v4, s53 src0_sel:BYTE_0 src1_sel:DWORD
	s_and_saveexec_b64 s[48:49], s[46:47]
	s_xor_b64 s[46:47], exec, s[48:49]
	s_cbranch_execz .LBB298_484
; %bb.481:                              ;   in Loop: Header=BB298_13 Depth=1
	v_cmp_eq_u16_sdwa s[56:57], v4, s54 src0_sel:BYTE_0 src1_sel:DWORD
	s_mov_b64 vcc, -1
                                        ; implicit-def: $sgpr50
	s_and_saveexec_b64 s[48:49], s[56:57]
; %bb.482:                              ;   in Loop: Header=BB298_13 Depth=1
	s_mov_b32 s50, 0x7fc02000
	s_xor_b64 vcc, exec, -1
; %bb.483:                              ;   in Loop: Header=BB298_13 Depth=1
	s_or_b64 exec, exec, s[48:49]
	s_and_b64 vcc, vcc, exec
.LBB298_484:                            ;   in Loop: Header=BB298_13 Depth=1
	s_or_saveexec_b64 s[46:47], s[46:47]
	v_mov_b32_e32 v0, s50
	scratch_store_dword off, v0, s32 offset:460 ; 4-byte Folded Spill
	s_xor_b64 exec, exec, s[46:47]
	s_cbranch_execz .LBB298_486
; %bb.485:                              ;   in Loop: Header=BB298_13 Depth=1
	v_cmp_ne_u16_sdwa s[48:49], v4, v9 src0_sel:BYTE_0 src1_sel:DWORD
	s_andn2_b64 vcc, vcc, exec
	s_and_b64 s[48:49], s[48:49], exec
	v_mov_b32_e32 v0, 0
	s_or_b64 vcc, vcc, s[48:49]
	scratch_store_dword off, v0, s32 offset:460 ; 4-byte Folded Spill
.LBB298_486:                            ;   in Loop: Header=BB298_13 Depth=1
	s_or_b64 exec, exec, s[46:47]
	s_and_saveexec_b64 s[46:47], vcc
	s_cbranch_execz .LBB298_488
; %bb.487:                              ;   in Loop: Header=BB298_13 Depth=1
	v_and_b32_e32 v2, 7, v4
	v_ffbh_u32_e32 v0, v2
	v_min_u32_e32 v6, 32, v0
	v_subrev_u32_e32 v0, 28, v6
	v_bfe_u32 v3, v4, 3, 4
	v_lshlrev_b64 v[0:1], v0, v[4:5]
	v_sub_u32_e32 v1, 29, v6
	v_cmp_eq_u32_e32 vcc, 0, v3
	v_and_b32_e32 v0, 7, v0
	s_nop 0
	v_cndmask_b32_e32 v1, v3, v1, vcc
	v_cndmask_b32_e32 v0, v2, v0, vcc
	v_lshlrev_b32_e32 v2, 8, v4
	v_lshl_add_u32 v1, v1, 10, v23
	v_and_or_b32 v1, v2, s55, v1
	v_lshl_or_b32 v0, v0, 7, v1
	v_cvt_f32_f16_e32 v0, v0
	scratch_store_dword off, v0, s32 offset:460 ; 4-byte Folded Spill
.LBB298_488:                            ;   in Loop: Header=BB298_13 Depth=1
	s_or_b64 exec, exec, s[46:47]
	v_lshrrev_b16_e32 v8, 8, v4
	v_cmp_lt_i16_e32 vcc, s53, v8
	s_mov_b64 s[46:47], 0
                                        ; implicit-def: $sgpr56
	s_and_saveexec_b64 s[48:49], vcc
	s_xor_b64 s[48:49], exec, s[48:49]
	s_cbranch_execz .LBB298_492
; %bb.489:                              ;   in Loop: Header=BB298_13 Depth=1
	v_cmp_eq_u16_e32 vcc, s54, v8
	s_mov_b64 s[46:47], -1
                                        ; implicit-def: $sgpr56
	s_and_saveexec_b64 s[50:51], vcc
; %bb.490:                              ;   in Loop: Header=BB298_13 Depth=1
	s_mov_b32 s56, 0x7fc02000
	s_xor_b64 s[46:47], exec, -1
; %bb.491:                              ;   in Loop: Header=BB298_13 Depth=1
	s_or_b64 exec, exec, s[50:51]
	s_and_b64 s[46:47], s[46:47], exec
.LBB298_492:                            ;   in Loop: Header=BB298_13 Depth=1
	s_or_saveexec_b64 s[48:49], s[48:49]
	v_mov_b32_e32 v0, s56
	scratch_store_dword off, v0, s32 offset:464 ; 4-byte Folded Spill
	s_xor_b64 exec, exec, s[48:49]
	s_cbranch_execz .LBB298_494
; %bb.493:                              ;   in Loop: Header=BB298_13 Depth=1
	v_cmp_ne_u16_e32 vcc, 0, v8
	s_andn2_b64 s[46:47], s[46:47], exec
	s_and_b64 vcc, vcc, exec
	v_mov_b32_e32 v0, 0
	s_or_b64 s[46:47], s[46:47], vcc
	scratch_store_dword off, v0, s32 offset:464 ; 4-byte Folded Spill
.LBB298_494:                            ;   in Loop: Header=BB298_13 Depth=1
	s_or_b64 exec, exec, s[48:49]
	s_and_saveexec_b64 s[48:49], s[46:47]
	s_cbranch_execz .LBB298_496
; %bb.495:                              ;   in Loop: Header=BB298_13 Depth=1
	v_and_b32_e32 v2, 7, v8
	v_ffbh_u32_e32 v0, v2
	v_min_u32_e32 v6, 32, v0
	v_subrev_u32_e32 v0, 28, v6
	v_bfe_u32 v3, v8, 3, 4
	v_lshlrev_b64 v[0:1], v0, v[8:9]
	v_sub_u32_e32 v1, 29, v6
	v_cmp_eq_u32_e32 vcc, 0, v3
	v_and_b32_e32 v0, 7, v0
	s_nop 0
	v_cndmask_b32_e32 v1, v3, v1, vcc
	v_cndmask_b32_e32 v0, v2, v0, vcc
	v_lshlrev_b32_e32 v2, 8, v8
	v_lshl_add_u32 v1, v1, 10, v23
	v_and_or_b32 v1, v2, s55, v1
	v_lshl_or_b32 v0, v0, 7, v1
	v_cvt_f32_f16_e32 v0, v0
	scratch_store_dword off, v0, s32 offset:464 ; 4-byte Folded Spill
.LBB298_496:                            ;   in Loop: Header=BB298_13 Depth=1
	s_or_b64 exec, exec, s[48:49]
	v_lshrrev_b32_e32 v8, 16, v4
	v_cmp_gt_i16_sdwa s[46:47], v8, s53 src0_sel:BYTE_0 src1_sel:DWORD
	s_mov_b64 vcc, 0
                                        ; implicit-def: $sgpr50
	s_and_saveexec_b64 s[48:49], s[46:47]
	s_xor_b64 s[46:47], exec, s[48:49]
	s_cbranch_execnz .LBB298_834
; %bb.497:                              ;   in Loop: Header=BB298_13 Depth=1
	s_or_saveexec_b64 s[46:47], s[46:47]
	v_mov_b32_e32 v0, s50
	s_xor_b64 exec, exec, s[46:47]
	s_cbranch_execnz .LBB298_837
.LBB298_498:                            ;   in Loop: Header=BB298_13 Depth=1
	s_or_b64 exec, exec, s[46:47]
	s_and_saveexec_b64 s[46:47], vcc
	s_cbranch_execz .LBB298_500
.LBB298_499:                            ;   in Loop: Header=BB298_13 Depth=1
	v_bfe_u32 v2, v4, 16, 3
	v_ffbh_u32_e32 v0, v2
	v_min_u32_e32 v6, 32, v0
	v_subrev_u32_e32 v0, 28, v6
	v_bfe_u32 v3, v4, 19, 4
	v_lshlrev_b64 v[0:1], v0, v[8:9]
	v_sub_u32_e32 v1, 29, v6
	v_cmp_eq_u32_e32 vcc, 0, v3
	v_and_b32_e32 v0, 7, v0
	s_nop 0
	v_cndmask_b32_e32 v1, v3, v1, vcc
	v_cndmask_b32_e32 v0, v2, v0, vcc
	v_lshlrev_b32_e32 v2, 8, v8
	v_lshl_add_u32 v1, v1, 10, v23
	v_and_or_b32 v1, v2, s55, v1
	v_lshl_or_b32 v0, v0, 7, v1
	v_cvt_f32_f16_e32 v0, v0
.LBB298_500:                            ;   in Loop: Header=BB298_13 Depth=1
	s_or_b64 exec, exec, s[46:47]
	v_lshrrev_b32_e32 v8, 24, v4
	v_cmp_lt_i16_e32 vcc, s53, v8
	s_mov_b64 s[46:47], 0
                                        ; implicit-def: $sgpr56
	s_and_saveexec_b64 s[48:49], vcc
	s_xor_b64 s[48:49], exec, s[48:49]
	s_cbranch_execnz .LBB298_838
; %bb.501:                              ;   in Loop: Header=BB298_13 Depth=1
	s_or_saveexec_b64 s[48:49], s[48:49]
	v_mov_b32_e32 v1, s56
	s_xor_b64 exec, exec, s[48:49]
	s_cbranch_execnz .LBB298_841
.LBB298_502:                            ;   in Loop: Header=BB298_13 Depth=1
	s_or_b64 exec, exec, s[48:49]
	v_accvgpr_write_b32 a45, v0
	s_and_saveexec_b64 s[48:49], s[46:47]
	s_cbranch_execz .LBB298_504
.LBB298_503:                            ;   in Loop: Header=BB298_13 Depth=1
	v_bfe_u32 v2, v4, 24, 3
	v_ffbh_u32_e32 v0, v2
	v_bfe_u32 v3, v4, 27, 4
	v_min_u32_e32 v4, 32, v0
	v_subrev_u32_e32 v0, 28, v4
	v_lshlrev_b64 v[0:1], v0, v[8:9]
	v_sub_u32_e32 v1, 29, v4
	v_cmp_eq_u32_e32 vcc, 0, v3
	v_and_b32_e32 v0, 7, v0
	s_nop 0
	v_cndmask_b32_e32 v1, v3, v1, vcc
	v_cndmask_b32_e32 v0, v2, v0, vcc
	v_lshlrev_b32_e32 v2, 8, v8
	v_lshl_add_u32 v1, v1, 10, v23
	v_and_or_b32 v1, v2, s55, v1
	v_lshl_or_b32 v0, v0, 7, v1
	v_cvt_f32_f16_e32 v1, v0
.LBB298_504:                            ;   in Loop: Header=BB298_13 Depth=1
	s_or_b64 exec, exec, s[48:49]
	v_add_co_u32_e32 v0, vcc, 0x1000, v48
	v_accvgpr_write_b32 a47, v1
	s_nop 0
	v_addc_co_u32_e32 v1, vcc, 0, v49, vcc
	flat_load_dword v4, v[0:1] offset:512
	s_mov_b64 vcc, 0
                                        ; implicit-def: $sgpr50
	s_waitcnt vmcnt(0) lgkmcnt(0)
	v_cmp_gt_i16_sdwa s[46:47], v4, s53 src0_sel:BYTE_0 src1_sel:DWORD
	s_and_saveexec_b64 s[48:49], s[46:47]
	s_xor_b64 s[46:47], exec, s[48:49]
	s_cbranch_execz .LBB298_508
; %bb.505:                              ;   in Loop: Header=BB298_13 Depth=1
	v_cmp_eq_u16_sdwa s[56:57], v4, s54 src0_sel:BYTE_0 src1_sel:DWORD
	s_mov_b64 vcc, -1
                                        ; implicit-def: $sgpr50
	s_and_saveexec_b64 s[48:49], s[56:57]
; %bb.506:                              ;   in Loop: Header=BB298_13 Depth=1
	s_mov_b32 s50, 0x7fc02000
	s_xor_b64 vcc, exec, -1
; %bb.507:                              ;   in Loop: Header=BB298_13 Depth=1
	s_or_b64 exec, exec, s[48:49]
	s_and_b64 vcc, vcc, exec
.LBB298_508:                            ;   in Loop: Header=BB298_13 Depth=1
	s_or_saveexec_b64 s[46:47], s[46:47]
	v_mov_b32_e32 v0, s50
	scratch_store_dword off, v0, s32 offset:468 ; 4-byte Folded Spill
	s_xor_b64 exec, exec, s[46:47]
	s_cbranch_execz .LBB298_510
; %bb.509:                              ;   in Loop: Header=BB298_13 Depth=1
	v_cmp_ne_u16_sdwa s[48:49], v4, v9 src0_sel:BYTE_0 src1_sel:DWORD
	s_andn2_b64 vcc, vcc, exec
	s_and_b64 s[48:49], s[48:49], exec
	v_mov_b32_e32 v0, 0
	s_or_b64 vcc, vcc, s[48:49]
	scratch_store_dword off, v0, s32 offset:468 ; 4-byte Folded Spill
.LBB298_510:                            ;   in Loop: Header=BB298_13 Depth=1
	s_or_b64 exec, exec, s[46:47]
	s_and_saveexec_b64 s[46:47], vcc
	s_cbranch_execz .LBB298_512
; %bb.511:                              ;   in Loop: Header=BB298_13 Depth=1
	v_and_b32_e32 v2, 7, v4
	v_ffbh_u32_e32 v0, v2
	v_min_u32_e32 v6, 32, v0
	v_subrev_u32_e32 v0, 28, v6
	v_bfe_u32 v3, v4, 3, 4
	v_lshlrev_b64 v[0:1], v0, v[4:5]
	v_sub_u32_e32 v1, 29, v6
	v_cmp_eq_u32_e32 vcc, 0, v3
	v_and_b32_e32 v0, 7, v0
	s_nop 0
	v_cndmask_b32_e32 v1, v3, v1, vcc
	v_cndmask_b32_e32 v0, v2, v0, vcc
	v_lshlrev_b32_e32 v2, 8, v4
	v_lshl_add_u32 v1, v1, 10, v23
	v_and_or_b32 v1, v2, s55, v1
	v_lshl_or_b32 v0, v0, 7, v1
	v_cvt_f32_f16_e32 v0, v0
	scratch_store_dword off, v0, s32 offset:468 ; 4-byte Folded Spill
.LBB298_512:                            ;   in Loop: Header=BB298_13 Depth=1
	s_or_b64 exec, exec, s[46:47]
	v_lshrrev_b16_e32 v8, 8, v4
	v_lshl_add_u64 v[50:51], v[48:49], 0, s[30:31]
	v_cmp_lt_i16_e32 vcc, s53, v8
	s_mov_b64 s[46:47], 0
                                        ; implicit-def: $sgpr56
	s_and_saveexec_b64 s[48:49], vcc
	s_xor_b64 s[48:49], exec, s[48:49]
	s_cbranch_execz .LBB298_516
; %bb.513:                              ;   in Loop: Header=BB298_13 Depth=1
	v_cmp_eq_u16_e32 vcc, s54, v8
	s_mov_b64 s[46:47], -1
                                        ; implicit-def: $sgpr56
	s_and_saveexec_b64 s[50:51], vcc
; %bb.514:                              ;   in Loop: Header=BB298_13 Depth=1
	s_mov_b32 s56, 0x7fc02000
	s_xor_b64 s[46:47], exec, -1
; %bb.515:                              ;   in Loop: Header=BB298_13 Depth=1
	s_or_b64 exec, exec, s[50:51]
	s_and_b64 s[46:47], s[46:47], exec
.LBB298_516:                            ;   in Loop: Header=BB298_13 Depth=1
	s_or_saveexec_b64 s[48:49], s[48:49]
	v_mov_b32_e32 v0, s56
	scratch_store_dword off, v0, s32 offset:472 ; 4-byte Folded Spill
	s_xor_b64 exec, exec, s[48:49]
	s_cbranch_execz .LBB298_518
; %bb.517:                              ;   in Loop: Header=BB298_13 Depth=1
	v_cmp_ne_u16_e32 vcc, 0, v8
	s_andn2_b64 s[46:47], s[46:47], exec
	s_and_b64 vcc, vcc, exec
	v_mov_b32_e32 v0, 0
	s_or_b64 s[46:47], s[46:47], vcc
	scratch_store_dword off, v0, s32 offset:472 ; 4-byte Folded Spill
.LBB298_518:                            ;   in Loop: Header=BB298_13 Depth=1
	s_or_b64 exec, exec, s[48:49]
	s_and_saveexec_b64 s[48:49], s[46:47]
	s_cbranch_execz .LBB298_520
; %bb.519:                              ;   in Loop: Header=BB298_13 Depth=1
	v_and_b32_e32 v2, 7, v8
	v_ffbh_u32_e32 v0, v2
	v_min_u32_e32 v6, 32, v0
	v_subrev_u32_e32 v0, 28, v6
	v_bfe_u32 v3, v8, 3, 4
	v_lshlrev_b64 v[0:1], v0, v[8:9]
	v_sub_u32_e32 v1, 29, v6
	v_cmp_eq_u32_e32 vcc, 0, v3
	v_and_b32_e32 v0, 7, v0
	s_nop 0
	v_cndmask_b32_e32 v1, v3, v1, vcc
	v_cndmask_b32_e32 v0, v2, v0, vcc
	v_lshlrev_b32_e32 v2, 8, v8
	v_lshl_add_u32 v1, v1, 10, v23
	v_and_or_b32 v1, v2, s55, v1
	v_lshl_or_b32 v0, v0, 7, v1
	v_cvt_f32_f16_e32 v0, v0
	scratch_store_dword off, v0, s32 offset:472 ; 4-byte Folded Spill
.LBB298_520:                            ;   in Loop: Header=BB298_13 Depth=1
	s_or_b64 exec, exec, s[48:49]
	v_lshrrev_b32_e32 v8, 16, v4
	v_cmp_gt_i16_sdwa s[46:47], v8, s53 src0_sel:BYTE_0 src1_sel:DWORD
	s_mov_b64 vcc, 0
                                        ; implicit-def: $sgpr50
	s_and_saveexec_b64 s[48:49], s[46:47]
	s_xor_b64 s[46:47], exec, s[48:49]
	s_cbranch_execz .LBB298_524
; %bb.521:                              ;   in Loop: Header=BB298_13 Depth=1
	v_cmp_eq_u16_sdwa s[56:57], v8, s54 src0_sel:BYTE_0 src1_sel:DWORD
	s_mov_b64 vcc, -1
                                        ; implicit-def: $sgpr50
	s_and_saveexec_b64 s[48:49], s[56:57]
; %bb.522:                              ;   in Loop: Header=BB298_13 Depth=1
	s_mov_b32 s50, 0x7fc02000
	s_xor_b64 vcc, exec, -1
; %bb.523:                              ;   in Loop: Header=BB298_13 Depth=1
	s_or_b64 exec, exec, s[48:49]
	s_and_b64 vcc, vcc, exec
.LBB298_524:                            ;   in Loop: Header=BB298_13 Depth=1
	s_or_saveexec_b64 s[46:47], s[46:47]
	v_mov_b32_e32 v0, s50
	scratch_store_dword off, v0, s32 offset:476 ; 4-byte Folded Spill
	s_xor_b64 exec, exec, s[46:47]
	s_cbranch_execz .LBB298_526
; %bb.525:                              ;   in Loop: Header=BB298_13 Depth=1
	v_cmp_ne_u16_sdwa s[48:49], v8, v9 src0_sel:BYTE_0 src1_sel:DWORD
	s_andn2_b64 vcc, vcc, exec
	s_and_b64 s[48:49], s[48:49], exec
	v_mov_b32_e32 v0, 0
	s_or_b64 vcc, vcc, s[48:49]
	scratch_store_dword off, v0, s32 offset:476 ; 4-byte Folded Spill
.LBB298_526:                            ;   in Loop: Header=BB298_13 Depth=1
	s_or_b64 exec, exec, s[46:47]
	s_and_saveexec_b64 s[46:47], vcc
	s_cbranch_execz .LBB298_528
; %bb.527:                              ;   in Loop: Header=BB298_13 Depth=1
	v_bfe_u32 v2, v4, 16, 3
	v_ffbh_u32_e32 v0, v2
	v_min_u32_e32 v6, 32, v0
	v_subrev_u32_e32 v0, 28, v6
	v_bfe_u32 v3, v4, 19, 4
	v_lshlrev_b64 v[0:1], v0, v[8:9]
	v_sub_u32_e32 v1, 29, v6
	v_cmp_eq_u32_e32 vcc, 0, v3
	v_and_b32_e32 v0, 7, v0
	s_nop 0
	v_cndmask_b32_e32 v1, v3, v1, vcc
	v_cndmask_b32_e32 v0, v2, v0, vcc
	v_lshlrev_b32_e32 v2, 8, v8
	v_lshl_add_u32 v1, v1, 10, v23
	v_and_or_b32 v1, v2, s55, v1
	v_lshl_or_b32 v0, v0, 7, v1
	v_cvt_f32_f16_e32 v0, v0
	scratch_store_dword off, v0, s32 offset:476 ; 4-byte Folded Spill
.LBB298_528:                            ;   in Loop: Header=BB298_13 Depth=1
	s_or_b64 exec, exec, s[46:47]
	v_lshrrev_b32_e32 v8, 24, v4
	v_cmp_lt_i16_e32 vcc, s53, v8
	s_mov_b64 s[46:47], 0
                                        ; implicit-def: $sgpr56
	s_and_saveexec_b64 s[48:49], vcc
	s_xor_b64 s[48:49], exec, s[48:49]
	s_cbranch_execz .LBB298_532
; %bb.529:                              ;   in Loop: Header=BB298_13 Depth=1
	v_cmp_eq_u16_e32 vcc, s54, v8
	s_mov_b64 s[46:47], -1
                                        ; implicit-def: $sgpr56
	s_and_saveexec_b64 s[50:51], vcc
; %bb.530:                              ;   in Loop: Header=BB298_13 Depth=1
	s_mov_b32 s56, 0x7fc02000
	s_xor_b64 s[46:47], exec, -1
; %bb.531:                              ;   in Loop: Header=BB298_13 Depth=1
	s_or_b64 exec, exec, s[50:51]
	s_and_b64 s[46:47], s[46:47], exec
.LBB298_532:                            ;   in Loop: Header=BB298_13 Depth=1
	s_or_saveexec_b64 s[48:49], s[48:49]
	v_mov_b32_e32 v0, s56
	scratch_store_dword off, v0, s32 offset:480 ; 4-byte Folded Spill
	s_xor_b64 exec, exec, s[48:49]
	s_cbranch_execz .LBB298_534
; %bb.533:                              ;   in Loop: Header=BB298_13 Depth=1
	v_cmp_ne_u16_e32 vcc, 0, v8
	s_andn2_b64 s[46:47], s[46:47], exec
	s_and_b64 vcc, vcc, exec
	v_mov_b32_e32 v0, 0
	s_or_b64 s[46:47], s[46:47], vcc
	scratch_store_dword off, v0, s32 offset:480 ; 4-byte Folded Spill
.LBB298_534:                            ;   in Loop: Header=BB298_13 Depth=1
	s_or_b64 exec, exec, s[48:49]
	s_and_saveexec_b64 s[48:49], s[46:47]
	s_cbranch_execz .LBB298_536
; %bb.535:                              ;   in Loop: Header=BB298_13 Depth=1
	v_bfe_u32 v2, v4, 24, 3
	v_ffbh_u32_e32 v0, v2
	v_bfe_u32 v3, v4, 27, 4
	v_min_u32_e32 v4, 32, v0
	v_subrev_u32_e32 v0, 28, v4
	v_lshlrev_b64 v[0:1], v0, v[8:9]
	v_sub_u32_e32 v1, 29, v4
	v_cmp_eq_u32_e32 vcc, 0, v3
	v_and_b32_e32 v0, 7, v0
	s_nop 0
	v_cndmask_b32_e32 v1, v3, v1, vcc
	v_cndmask_b32_e32 v0, v2, v0, vcc
	v_lshlrev_b32_e32 v2, 8, v8
	v_lshl_add_u32 v1, v1, 10, v23
	v_and_or_b32 v1, v2, s55, v1
	v_lshl_or_b32 v0, v0, 7, v1
	v_cvt_f32_f16_e32 v0, v0
	scratch_store_dword off, v0, s32 offset:480 ; 4-byte Folded Spill
.LBB298_536:                            ;   in Loop: Header=BB298_13 Depth=1
	s_or_b64 exec, exec, s[48:49]
	flat_load_dword v4, v[50:51] offset:8
	s_mov_b64 vcc, 0
                                        ; implicit-def: $sgpr50
	s_waitcnt vmcnt(0) lgkmcnt(0)
	v_cmp_gt_i16_sdwa s[46:47], v4, s53 src0_sel:BYTE_0 src1_sel:DWORD
	s_and_saveexec_b64 s[48:49], s[46:47]
	s_xor_b64 s[46:47], exec, s[48:49]
	s_cbranch_execz .LBB298_540
; %bb.537:                              ;   in Loop: Header=BB298_13 Depth=1
	v_cmp_eq_u16_sdwa s[56:57], v4, s54 src0_sel:BYTE_0 src1_sel:DWORD
	s_mov_b64 vcc, -1
                                        ; implicit-def: $sgpr50
	s_and_saveexec_b64 s[48:49], s[56:57]
; %bb.538:                              ;   in Loop: Header=BB298_13 Depth=1
	s_mov_b32 s50, 0x7fc02000
	s_xor_b64 vcc, exec, -1
; %bb.539:                              ;   in Loop: Header=BB298_13 Depth=1
	s_or_b64 exec, exec, s[48:49]
	s_and_b64 vcc, vcc, exec
.LBB298_540:                            ;   in Loop: Header=BB298_13 Depth=1
	s_or_saveexec_b64 s[46:47], s[46:47]
	v_mov_b32_e32 v0, s50
	scratch_store_dword off, v0, s32 offset:484 ; 4-byte Folded Spill
	s_xor_b64 exec, exec, s[46:47]
	s_cbranch_execz .LBB298_542
; %bb.541:                              ;   in Loop: Header=BB298_13 Depth=1
	v_cmp_ne_u16_sdwa s[48:49], v4, v9 src0_sel:BYTE_0 src1_sel:DWORD
	s_andn2_b64 vcc, vcc, exec
	s_and_b64 s[48:49], s[48:49], exec
	v_mov_b32_e32 v0, 0
	s_or_b64 vcc, vcc, s[48:49]
	scratch_store_dword off, v0, s32 offset:484 ; 4-byte Folded Spill
.LBB298_542:                            ;   in Loop: Header=BB298_13 Depth=1
	s_or_b64 exec, exec, s[46:47]
	s_and_saveexec_b64 s[46:47], vcc
	s_cbranch_execz .LBB298_544
; %bb.543:                              ;   in Loop: Header=BB298_13 Depth=1
	v_and_b32_e32 v2, 7, v4
	v_ffbh_u32_e32 v0, v2
	v_min_u32_e32 v6, 32, v0
	v_subrev_u32_e32 v0, 28, v6
	v_bfe_u32 v3, v4, 3, 4
	v_lshlrev_b64 v[0:1], v0, v[4:5]
	v_sub_u32_e32 v1, 29, v6
	v_cmp_eq_u32_e32 vcc, 0, v3
	v_and_b32_e32 v0, 7, v0
	s_nop 0
	v_cndmask_b32_e32 v1, v3, v1, vcc
	v_cndmask_b32_e32 v0, v2, v0, vcc
	v_lshlrev_b32_e32 v2, 8, v4
	v_lshl_add_u32 v1, v1, 10, v23
	v_and_or_b32 v1, v2, s55, v1
	v_lshl_or_b32 v0, v0, 7, v1
	v_cvt_f32_f16_e32 v0, v0
	scratch_store_dword off, v0, s32 offset:484 ; 4-byte Folded Spill
.LBB298_544:                            ;   in Loop: Header=BB298_13 Depth=1
	s_or_b64 exec, exec, s[46:47]
	v_lshrrev_b16_e32 v8, 8, v4
	v_cmp_lt_i16_e32 vcc, s53, v8
	s_mov_b64 s[46:47], 0
                                        ; implicit-def: $sgpr56
	s_and_saveexec_b64 s[48:49], vcc
	s_xor_b64 s[48:49], exec, s[48:49]
	s_cbranch_execz .LBB298_548
; %bb.545:                              ;   in Loop: Header=BB298_13 Depth=1
	v_cmp_eq_u16_e32 vcc, s54, v8
	s_mov_b64 s[46:47], -1
                                        ; implicit-def: $sgpr56
	s_and_saveexec_b64 s[50:51], vcc
; %bb.546:                              ;   in Loop: Header=BB298_13 Depth=1
	s_mov_b32 s56, 0x7fc02000
	s_xor_b64 s[46:47], exec, -1
; %bb.547:                              ;   in Loop: Header=BB298_13 Depth=1
	s_or_b64 exec, exec, s[50:51]
	s_and_b64 s[46:47], s[46:47], exec
.LBB298_548:                            ;   in Loop: Header=BB298_13 Depth=1
	s_or_saveexec_b64 s[48:49], s[48:49]
	v_mov_b32_e32 v0, s56
	scratch_store_dword off, v0, s32 offset:488 ; 4-byte Folded Spill
	s_xor_b64 exec, exec, s[48:49]
	s_cbranch_execz .LBB298_550
; %bb.549:                              ;   in Loop: Header=BB298_13 Depth=1
	v_cmp_ne_u16_e32 vcc, 0, v8
	s_andn2_b64 s[46:47], s[46:47], exec
	s_and_b64 vcc, vcc, exec
	v_mov_b32_e32 v0, 0
	s_or_b64 s[46:47], s[46:47], vcc
	scratch_store_dword off, v0, s32 offset:488 ; 4-byte Folded Spill
.LBB298_550:                            ;   in Loop: Header=BB298_13 Depth=1
	s_or_b64 exec, exec, s[48:49]
	s_and_saveexec_b64 s[48:49], s[46:47]
	s_cbranch_execz .LBB298_552
; %bb.551:                              ;   in Loop: Header=BB298_13 Depth=1
	v_and_b32_e32 v2, 7, v8
	v_ffbh_u32_e32 v0, v2
	v_min_u32_e32 v6, 32, v0
	v_subrev_u32_e32 v0, 28, v6
	v_bfe_u32 v3, v8, 3, 4
	v_lshlrev_b64 v[0:1], v0, v[8:9]
	v_sub_u32_e32 v1, 29, v6
	v_cmp_eq_u32_e32 vcc, 0, v3
	v_and_b32_e32 v0, 7, v0
	s_nop 0
	v_cndmask_b32_e32 v1, v3, v1, vcc
	v_cndmask_b32_e32 v0, v2, v0, vcc
	v_lshlrev_b32_e32 v2, 8, v8
	v_lshl_add_u32 v1, v1, 10, v23
	v_and_or_b32 v1, v2, s55, v1
	v_lshl_or_b32 v0, v0, 7, v1
	v_cvt_f32_f16_e32 v0, v0
	scratch_store_dword off, v0, s32 offset:488 ; 4-byte Folded Spill
.LBB298_552:                            ;   in Loop: Header=BB298_13 Depth=1
	s_or_b64 exec, exec, s[48:49]
	v_lshrrev_b32_e32 v8, 16, v4
	v_cmp_gt_i16_sdwa s[46:47], v8, s53 src0_sel:BYTE_0 src1_sel:DWORD
	s_mov_b64 vcc, 0
                                        ; implicit-def: $sgpr50
	s_and_saveexec_b64 s[48:49], s[46:47]
	s_xor_b64 s[46:47], exec, s[48:49]
	s_cbranch_execnz .LBB298_842
; %bb.553:                              ;   in Loop: Header=BB298_13 Depth=1
	s_or_saveexec_b64 s[46:47], s[46:47]
	v_mov_b32_e32 v0, s50
	s_xor_b64 exec, exec, s[46:47]
	s_cbranch_execnz .LBB298_845
.LBB298_554:                            ;   in Loop: Header=BB298_13 Depth=1
	s_or_b64 exec, exec, s[46:47]
	s_and_saveexec_b64 s[46:47], vcc
	s_cbranch_execz .LBB298_556
.LBB298_555:                            ;   in Loop: Header=BB298_13 Depth=1
	v_bfe_u32 v2, v4, 16, 3
	v_ffbh_u32_e32 v0, v2
	v_min_u32_e32 v6, 32, v0
	v_subrev_u32_e32 v0, 28, v6
	v_bfe_u32 v3, v4, 19, 4
	v_lshlrev_b64 v[0:1], v0, v[8:9]
	v_sub_u32_e32 v1, 29, v6
	v_cmp_eq_u32_e32 vcc, 0, v3
	v_and_b32_e32 v0, 7, v0
	s_nop 0
	v_cndmask_b32_e32 v1, v3, v1, vcc
	v_cndmask_b32_e32 v0, v2, v0, vcc
	v_lshlrev_b32_e32 v2, 8, v8
	v_lshl_add_u32 v1, v1, 10, v23
	v_and_or_b32 v1, v2, s55, v1
	v_lshl_or_b32 v0, v0, 7, v1
	v_cvt_f32_f16_e32 v0, v0
.LBB298_556:                            ;   in Loop: Header=BB298_13 Depth=1
	s_or_b64 exec, exec, s[46:47]
	v_lshrrev_b32_e32 v8, 24, v4
	v_cmp_lt_i16_e32 vcc, s53, v8
	s_mov_b64 s[46:47], 0
                                        ; implicit-def: $sgpr56
	s_and_saveexec_b64 s[48:49], vcc
	s_xor_b64 s[48:49], exec, s[48:49]
	s_cbranch_execnz .LBB298_846
; %bb.557:                              ;   in Loop: Header=BB298_13 Depth=1
	s_or_saveexec_b64 s[48:49], s[48:49]
	v_mov_b32_e32 v29, s56
	s_xor_b64 exec, exec, s[48:49]
	s_cbranch_execnz .LBB298_849
.LBB298_558:                            ;   in Loop: Header=BB298_13 Depth=1
	s_or_b64 exec, exec, s[48:49]
	v_accvgpr_write_b32 a0, v0
	s_and_saveexec_b64 s[48:49], s[46:47]
	s_cbranch_execz .LBB298_560
.LBB298_559:                            ;   in Loop: Header=BB298_13 Depth=1
	v_bfe_u32 v2, v4, 24, 3
	v_ffbh_u32_e32 v0, v2
	v_bfe_u32 v3, v4, 27, 4
	v_min_u32_e32 v4, 32, v0
	v_subrev_u32_e32 v0, 28, v4
	v_lshlrev_b64 v[0:1], v0, v[8:9]
	v_sub_u32_e32 v1, 29, v4
	v_cmp_eq_u32_e32 vcc, 0, v3
	v_and_b32_e32 v0, 7, v0
	s_nop 0
	v_cndmask_b32_e32 v1, v3, v1, vcc
	v_cndmask_b32_e32 v0, v2, v0, vcc
	v_lshlrev_b32_e32 v2, 8, v8
	v_lshl_add_u32 v1, v1, 10, v23
	v_and_or_b32 v1, v2, s55, v1
	v_lshl_or_b32 v0, v0, 7, v1
	v_cvt_f32_f16_e32 v29, v0
.LBB298_560:                            ;   in Loop: Header=BB298_13 Depth=1
	s_or_b64 exec, exec, s[48:49]
	v_add_co_u32_e32 v0, vcc, 0x1000, v48
                                        ; implicit-def: $sgpr50
	s_nop 1
	v_addc_co_u32_e32 v1, vcc, 0, v49, vcc
	flat_load_dword v4, v[0:1] offset:1024
	s_mov_b64 vcc, 0
	s_waitcnt vmcnt(0) lgkmcnt(0)
	v_cmp_gt_i16_sdwa s[46:47], v4, s53 src0_sel:BYTE_0 src1_sel:DWORD
	s_and_saveexec_b64 s[48:49], s[46:47]
	s_xor_b64 s[46:47], exec, s[48:49]
	s_cbranch_execnz .LBB298_850
; %bb.561:                              ;   in Loop: Header=BB298_13 Depth=1
	s_or_saveexec_b64 s[46:47], s[46:47]
	v_mov_b32_e32 v61, s50
	s_xor_b64 exec, exec, s[46:47]
	s_cbranch_execnz .LBB298_853
.LBB298_562:                            ;   in Loop: Header=BB298_13 Depth=1
	s_or_b64 exec, exec, s[46:47]
	s_and_saveexec_b64 s[46:47], vcc
	s_cbranch_execz .LBB298_564
.LBB298_563:                            ;   in Loop: Header=BB298_13 Depth=1
	v_and_b32_e32 v2, 7, v4
	v_ffbh_u32_e32 v0, v2
	v_min_u32_e32 v6, 32, v0
	v_subrev_u32_e32 v0, 28, v6
	v_bfe_u32 v3, v4, 3, 4
	v_lshlrev_b64 v[0:1], v0, v[4:5]
	v_sub_u32_e32 v1, 29, v6
	v_cmp_eq_u32_e32 vcc, 0, v3
	v_and_b32_e32 v0, 7, v0
	s_nop 0
	v_cndmask_b32_e32 v1, v3, v1, vcc
	v_cndmask_b32_e32 v0, v2, v0, vcc
	v_lshlrev_b32_e32 v2, 8, v4
	v_lshl_add_u32 v1, v1, 10, v23
	v_and_or_b32 v1, v2, s55, v1
	v_lshl_or_b32 v0, v0, 7, v1
	v_cvt_f32_f16_e32 v61, v0
.LBB298_564:                            ;   in Loop: Header=BB298_13 Depth=1
	s_or_b64 exec, exec, s[46:47]
	v_lshrrev_b16_e32 v8, 8, v4
	v_lshl_add_u64 v[50:51], v[48:49], 0, s[34:35]
	v_cmp_lt_i16_e32 vcc, s53, v8
	s_mov_b64 s[46:47], 0
                                        ; implicit-def: $sgpr56
	s_and_saveexec_b64 s[48:49], vcc
	s_xor_b64 s[48:49], exec, s[48:49]
	s_cbranch_execnz .LBB298_854
; %bb.565:                              ;   in Loop: Header=BB298_13 Depth=1
	s_or_saveexec_b64 s[48:49], s[48:49]
	v_mov_b32_e32 v24, s56
	s_xor_b64 exec, exec, s[48:49]
	s_cbranch_execnz .LBB298_857
.LBB298_566:                            ;   in Loop: Header=BB298_13 Depth=1
	s_or_b64 exec, exec, s[48:49]
	s_and_saveexec_b64 s[48:49], s[46:47]
	s_cbranch_execz .LBB298_568
.LBB298_567:                            ;   in Loop: Header=BB298_13 Depth=1
	v_and_b32_e32 v2, 7, v8
	v_ffbh_u32_e32 v0, v2
	v_min_u32_e32 v6, 32, v0
	v_subrev_u32_e32 v0, 28, v6
	v_bfe_u32 v3, v8, 3, 4
	v_lshlrev_b64 v[0:1], v0, v[8:9]
	v_sub_u32_e32 v1, 29, v6
	v_cmp_eq_u32_e32 vcc, 0, v3
	v_and_b32_e32 v0, 7, v0
	s_nop 0
	v_cndmask_b32_e32 v1, v3, v1, vcc
	v_cndmask_b32_e32 v0, v2, v0, vcc
	v_lshlrev_b32_e32 v2, 8, v8
	v_lshl_add_u32 v1, v1, 10, v23
	v_and_or_b32 v1, v2, s55, v1
	v_lshl_or_b32 v0, v0, 7, v1
	v_cvt_f32_f16_e32 v24, v0
.LBB298_568:                            ;   in Loop: Header=BB298_13 Depth=1
	s_or_b64 exec, exec, s[48:49]
	v_lshrrev_b32_e32 v8, 16, v4
	v_cmp_gt_i16_sdwa s[46:47], v8, s53 src0_sel:BYTE_0 src1_sel:DWORD
	s_mov_b64 vcc, 0
                                        ; implicit-def: $sgpr50
	s_and_saveexec_b64 s[48:49], s[46:47]
	s_xor_b64 s[46:47], exec, s[48:49]
	s_cbranch_execnz .LBB298_858
; %bb.569:                              ;   in Loop: Header=BB298_13 Depth=1
	s_or_saveexec_b64 s[46:47], s[46:47]
	v_mov_b32_e32 v22, s50
	s_xor_b64 exec, exec, s[46:47]
	s_cbranch_execnz .LBB298_861
.LBB298_570:                            ;   in Loop: Header=BB298_13 Depth=1
	s_or_b64 exec, exec, s[46:47]
	s_and_saveexec_b64 s[46:47], vcc
	s_cbranch_execz .LBB298_572
.LBB298_571:                            ;   in Loop: Header=BB298_13 Depth=1
	v_bfe_u32 v2, v4, 16, 3
	v_ffbh_u32_e32 v0, v2
	v_min_u32_e32 v6, 32, v0
	v_subrev_u32_e32 v0, 28, v6
	v_bfe_u32 v3, v4, 19, 4
	v_lshlrev_b64 v[0:1], v0, v[8:9]
	v_sub_u32_e32 v1, 29, v6
	v_cmp_eq_u32_e32 vcc, 0, v3
	v_and_b32_e32 v0, 7, v0
	s_nop 0
	v_cndmask_b32_e32 v1, v3, v1, vcc
	v_cndmask_b32_e32 v0, v2, v0, vcc
	v_lshlrev_b32_e32 v2, 8, v8
	v_lshl_add_u32 v1, v1, 10, v23
	v_and_or_b32 v1, v2, s55, v1
	v_lshl_or_b32 v0, v0, 7, v1
	v_cvt_f32_f16_e32 v22, v0
.LBB298_572:                            ;   in Loop: Header=BB298_13 Depth=1
	s_or_b64 exec, exec, s[46:47]
	v_lshrrev_b32_e32 v8, 24, v4
	v_cmp_lt_i16_e32 vcc, s53, v8
	s_mov_b64 s[46:47], 0
                                        ; implicit-def: $sgpr56
	s_and_saveexec_b64 s[48:49], vcc
	s_xor_b64 s[48:49], exec, s[48:49]
	s_cbranch_execnz .LBB298_862
; %bb.573:                              ;   in Loop: Header=BB298_13 Depth=1
	s_or_saveexec_b64 s[48:49], s[48:49]
	v_mov_b32_e32 v56, s56
	s_xor_b64 exec, exec, s[48:49]
	s_cbranch_execnz .LBB298_865
.LBB298_574:                            ;   in Loop: Header=BB298_13 Depth=1
	s_or_b64 exec, exec, s[48:49]
	s_and_saveexec_b64 s[48:49], s[46:47]
	s_cbranch_execz .LBB298_576
.LBB298_575:                            ;   in Loop: Header=BB298_13 Depth=1
	v_bfe_u32 v2, v4, 24, 3
	v_ffbh_u32_e32 v0, v2
	v_bfe_u32 v3, v4, 27, 4
	v_min_u32_e32 v4, 32, v0
	v_subrev_u32_e32 v0, 28, v4
	v_lshlrev_b64 v[0:1], v0, v[8:9]
	v_sub_u32_e32 v1, 29, v4
	v_cmp_eq_u32_e32 vcc, 0, v3
	v_and_b32_e32 v0, 7, v0
	s_nop 0
	v_cndmask_b32_e32 v1, v3, v1, vcc
	v_cndmask_b32_e32 v0, v2, v0, vcc
	v_lshlrev_b32_e32 v2, 8, v8
	v_lshl_add_u32 v1, v1, 10, v23
	v_and_or_b32 v1, v2, s55, v1
	v_lshl_or_b32 v0, v0, 7, v1
	v_cvt_f32_f16_e32 v56, v0
.LBB298_576:                            ;   in Loop: Header=BB298_13 Depth=1
	s_or_b64 exec, exec, s[48:49]
	flat_load_dword v4, v[50:51] offset:8
	s_mov_b64 vcc, 0
                                        ; implicit-def: $sgpr50
	s_waitcnt vmcnt(0) lgkmcnt(0)
	v_cmp_gt_i16_sdwa s[46:47], v4, s53 src0_sel:BYTE_0 src1_sel:DWORD
	s_and_saveexec_b64 s[48:49], s[46:47]
	s_xor_b64 s[46:47], exec, s[48:49]
	s_cbranch_execnz .LBB298_866
; %bb.577:                              ;   in Loop: Header=BB298_13 Depth=1
	s_or_saveexec_b64 s[46:47], s[46:47]
	v_mov_b32_e32 v31, s50
	s_xor_b64 exec, exec, s[46:47]
	s_cbranch_execnz .LBB298_869
.LBB298_578:                            ;   in Loop: Header=BB298_13 Depth=1
	s_or_b64 exec, exec, s[46:47]
	s_and_saveexec_b64 s[46:47], vcc
	s_cbranch_execz .LBB298_580
.LBB298_579:                            ;   in Loop: Header=BB298_13 Depth=1
	v_and_b32_e32 v2, 7, v4
	v_ffbh_u32_e32 v0, v2
	v_min_u32_e32 v6, 32, v0
	v_subrev_u32_e32 v0, 28, v6
	v_bfe_u32 v3, v4, 3, 4
	v_lshlrev_b64 v[0:1], v0, v[4:5]
	v_sub_u32_e32 v1, 29, v6
	v_cmp_eq_u32_e32 vcc, 0, v3
	v_and_b32_e32 v0, 7, v0
	s_nop 0
	v_cndmask_b32_e32 v1, v3, v1, vcc
	v_cndmask_b32_e32 v0, v2, v0, vcc
	v_lshlrev_b32_e32 v2, 8, v4
	v_lshl_add_u32 v1, v1, 10, v23
	v_and_or_b32 v1, v2, s55, v1
	v_lshl_or_b32 v0, v0, 7, v1
	v_cvt_f32_f16_e32 v31, v0
.LBB298_580:                            ;   in Loop: Header=BB298_13 Depth=1
	s_or_b64 exec, exec, s[46:47]
	v_lshrrev_b16_e32 v8, 8, v4
	v_cmp_lt_i16_e32 vcc, s53, v8
	s_mov_b64 s[46:47], 0
                                        ; implicit-def: $sgpr56
	s_and_saveexec_b64 s[48:49], vcc
	s_xor_b64 s[48:49], exec, s[48:49]
	s_cbranch_execnz .LBB298_870
; %bb.581:                              ;   in Loop: Header=BB298_13 Depth=1
	s_or_saveexec_b64 s[48:49], s[48:49]
	v_mov_b32_e32 v6, s56
	s_xor_b64 exec, exec, s[48:49]
	s_cbranch_execnz .LBB298_873
.LBB298_582:                            ;   in Loop: Header=BB298_13 Depth=1
	s_or_b64 exec, exec, s[48:49]
	s_and_saveexec_b64 s[48:49], s[46:47]
	s_cbranch_execz .LBB298_584
.LBB298_583:                            ;   in Loop: Header=BB298_13 Depth=1
	v_and_b32_e32 v2, 7, v8
	v_ffbh_u32_e32 v0, v2
	v_min_u32_e32 v6, 32, v0
	v_subrev_u32_e32 v0, 28, v6
	v_bfe_u32 v3, v8, 3, 4
	v_lshlrev_b64 v[0:1], v0, v[8:9]
	v_sub_u32_e32 v1, 29, v6
	v_cmp_eq_u32_e32 vcc, 0, v3
	v_and_b32_e32 v0, 7, v0
	s_nop 0
	v_cndmask_b32_e32 v1, v3, v1, vcc
	v_cndmask_b32_e32 v0, v2, v0, vcc
	v_lshlrev_b32_e32 v2, 8, v8
	v_lshl_add_u32 v1, v1, 10, v23
	v_and_or_b32 v1, v2, s55, v1
	v_lshl_or_b32 v0, v0, 7, v1
	v_cvt_f32_f16_e32 v6, v0
.LBB298_584:                            ;   in Loop: Header=BB298_13 Depth=1
	s_or_b64 exec, exec, s[48:49]
	v_lshrrev_b32_e32 v8, 16, v4
	v_cmp_gt_i16_sdwa s[46:47], v8, s53 src0_sel:BYTE_0 src1_sel:DWORD
	s_mov_b64 vcc, 0
                                        ; implicit-def: $sgpr50
	s_and_saveexec_b64 s[48:49], s[46:47]
	s_xor_b64 s[46:47], exec, s[48:49]
	s_cbranch_execnz .LBB298_874
; %bb.585:                              ;   in Loop: Header=BB298_13 Depth=1
	s_or_saveexec_b64 s[46:47], s[46:47]
	v_mov_b32_e32 v45, s50
	s_xor_b64 exec, exec, s[46:47]
	s_cbranch_execnz .LBB298_877
.LBB298_586:                            ;   in Loop: Header=BB298_13 Depth=1
	s_or_b64 exec, exec, s[46:47]
	s_and_saveexec_b64 s[46:47], vcc
	s_cbranch_execz .LBB298_588
.LBB298_587:                            ;   in Loop: Header=BB298_13 Depth=1
	v_bfe_u32 v2, v4, 16, 3
	v_ffbh_u32_e32 v0, v2
	v_min_u32_e32 v7, 32, v0
	v_subrev_u32_e32 v0, 28, v7
	v_bfe_u32 v3, v4, 19, 4
	v_lshlrev_b64 v[0:1], v0, v[8:9]
	v_sub_u32_e32 v1, 29, v7
	v_cmp_eq_u32_e32 vcc, 0, v3
	v_and_b32_e32 v0, 7, v0
	s_nop 0
	v_cndmask_b32_e32 v1, v3, v1, vcc
	v_cndmask_b32_e32 v0, v2, v0, vcc
	v_lshlrev_b32_e32 v2, 8, v8
	v_lshl_add_u32 v1, v1, 10, v23
	v_and_or_b32 v1, v2, s55, v1
	v_lshl_or_b32 v0, v0, 7, v1
	v_cvt_f32_f16_e32 v45, v0
.LBB298_588:                            ;   in Loop: Header=BB298_13 Depth=1
	s_or_b64 exec, exec, s[46:47]
	v_lshrrev_b32_e32 v8, 24, v4
	v_cmp_lt_i16_e32 vcc, s53, v8
	s_mov_b64 s[46:47], 0
                                        ; implicit-def: $sgpr56
	s_and_saveexec_b64 s[48:49], vcc
	s_xor_b64 s[48:49], exec, s[48:49]
	s_cbranch_execnz .LBB298_878
; %bb.589:                              ;   in Loop: Header=BB298_13 Depth=1
	s_or_saveexec_b64 s[48:49], s[48:49]
	v_mov_b32_e32 v35, s56
	s_xor_b64 exec, exec, s[48:49]
	s_cbranch_execnz .LBB298_881
.LBB298_590:                            ;   in Loop: Header=BB298_13 Depth=1
	s_or_b64 exec, exec, s[48:49]
	s_and_saveexec_b64 s[48:49], s[46:47]
	s_cbranch_execz .LBB298_592
.LBB298_591:                            ;   in Loop: Header=BB298_13 Depth=1
	v_bfe_u32 v2, v4, 24, 3
	v_ffbh_u32_e32 v0, v2
	v_bfe_u32 v3, v4, 27, 4
	v_min_u32_e32 v4, 32, v0
	v_subrev_u32_e32 v0, 28, v4
	v_lshlrev_b64 v[0:1], v0, v[8:9]
	v_sub_u32_e32 v1, 29, v4
	v_cmp_eq_u32_e32 vcc, 0, v3
	v_and_b32_e32 v0, 7, v0
	s_nop 0
	v_cndmask_b32_e32 v1, v3, v1, vcc
	v_cndmask_b32_e32 v0, v2, v0, vcc
	v_lshlrev_b32_e32 v2, 8, v8
	v_lshl_add_u32 v1, v1, 10, v23
	v_and_or_b32 v1, v2, s55, v1
	v_lshl_or_b32 v0, v0, 7, v1
	v_cvt_f32_f16_e32 v35, v0
.LBB298_592:                            ;   in Loop: Header=BB298_13 Depth=1
	s_or_b64 exec, exec, s[48:49]
	v_add_co_u32_e32 v0, vcc, 0x1000, v48
                                        ; implicit-def: $sgpr50
	s_nop 1
	v_addc_co_u32_e32 v1, vcc, 0, v49, vcc
	flat_load_dword v4, v[0:1] offset:1536
	s_mov_b64 vcc, 0
	s_waitcnt vmcnt(0) lgkmcnt(0)
	v_cmp_gt_i16_sdwa s[46:47], v4, s53 src0_sel:BYTE_0 src1_sel:DWORD
	s_and_saveexec_b64 s[48:49], s[46:47]
	s_xor_b64 s[46:47], exec, s[48:49]
	s_cbranch_execnz .LBB298_882
; %bb.593:                              ;   in Loop: Header=BB298_13 Depth=1
	s_or_saveexec_b64 s[46:47], s[46:47]
	v_mov_b32_e32 v13, s50
	s_xor_b64 exec, exec, s[46:47]
	s_cbranch_execnz .LBB298_885
.LBB298_594:                            ;   in Loop: Header=BB298_13 Depth=1
	s_or_b64 exec, exec, s[46:47]
	s_and_saveexec_b64 s[46:47], vcc
	s_cbranch_execz .LBB298_596
.LBB298_595:                            ;   in Loop: Header=BB298_13 Depth=1
	v_and_b32_e32 v2, 7, v4
	v_ffbh_u32_e32 v0, v2
	v_min_u32_e32 v7, 32, v0
	v_subrev_u32_e32 v0, 28, v7
	v_bfe_u32 v3, v4, 3, 4
	v_lshlrev_b64 v[0:1], v0, v[4:5]
	v_sub_u32_e32 v1, 29, v7
	v_cmp_eq_u32_e32 vcc, 0, v3
	v_and_b32_e32 v0, 7, v0
	s_nop 0
	v_cndmask_b32_e32 v1, v3, v1, vcc
	v_cndmask_b32_e32 v0, v2, v0, vcc
	v_lshlrev_b32_e32 v2, 8, v4
	v_lshl_add_u32 v1, v1, 10, v23
	v_and_or_b32 v1, v2, s55, v1
	v_lshl_or_b32 v0, v0, 7, v1
	v_cvt_f32_f16_e32 v13, v0
.LBB298_596:                            ;   in Loop: Header=BB298_13 Depth=1
	s_or_b64 exec, exec, s[46:47]
	v_lshrrev_b16_e32 v8, 8, v4
	v_lshl_add_u64 v[50:51], v[48:49], 0, s[36:37]
	v_cmp_lt_i16_e32 vcc, s53, v8
	s_mov_b64 s[46:47], 0
                                        ; implicit-def: $sgpr56
	s_and_saveexec_b64 s[48:49], vcc
	s_xor_b64 s[48:49], exec, s[48:49]
	s_cbranch_execnz .LBB298_886
; %bb.597:                              ;   in Loop: Header=BB298_13 Depth=1
	s_or_saveexec_b64 s[48:49], s[48:49]
	v_mov_b32_e32 v28, s56
	s_xor_b64 exec, exec, s[48:49]
	s_cbranch_execnz .LBB298_889
.LBB298_598:                            ;   in Loop: Header=BB298_13 Depth=1
	s_or_b64 exec, exec, s[48:49]
	s_and_saveexec_b64 s[48:49], s[46:47]
	s_cbranch_execz .LBB298_600
.LBB298_599:                            ;   in Loop: Header=BB298_13 Depth=1
	v_and_b32_e32 v2, 7, v8
	v_ffbh_u32_e32 v0, v2
	v_min_u32_e32 v7, 32, v0
	v_subrev_u32_e32 v0, 28, v7
	v_bfe_u32 v3, v8, 3, 4
	v_lshlrev_b64 v[0:1], v0, v[8:9]
	v_sub_u32_e32 v1, 29, v7
	v_cmp_eq_u32_e32 vcc, 0, v3
	v_and_b32_e32 v0, 7, v0
	s_nop 0
	v_cndmask_b32_e32 v1, v3, v1, vcc
	v_cndmask_b32_e32 v0, v2, v0, vcc
	v_lshlrev_b32_e32 v2, 8, v8
	v_lshl_add_u32 v1, v1, 10, v23
	v_and_or_b32 v1, v2, s55, v1
	v_lshl_or_b32 v0, v0, 7, v1
	v_cvt_f32_f16_e32 v28, v0
.LBB298_600:                            ;   in Loop: Header=BB298_13 Depth=1
	s_or_b64 exec, exec, s[48:49]
	v_lshrrev_b32_e32 v8, 16, v4
	v_cmp_gt_i16_sdwa s[46:47], v8, s53 src0_sel:BYTE_0 src1_sel:DWORD
	s_mov_b64 vcc, 0
                                        ; implicit-def: $sgpr50
	s_and_saveexec_b64 s[48:49], s[46:47]
	s_xor_b64 s[46:47], exec, s[48:49]
	s_cbranch_execnz .LBB298_890
; %bb.601:                              ;   in Loop: Header=BB298_13 Depth=1
	s_or_saveexec_b64 s[46:47], s[46:47]
	v_mov_b32_e32 v10, s50
	s_xor_b64 exec, exec, s[46:47]
	s_cbranch_execnz .LBB298_893
.LBB298_602:                            ;   in Loop: Header=BB298_13 Depth=1
	s_or_b64 exec, exec, s[46:47]
	s_and_saveexec_b64 s[46:47], vcc
	s_cbranch_execz .LBB298_604
.LBB298_603:                            ;   in Loop: Header=BB298_13 Depth=1
	v_bfe_u32 v2, v4, 16, 3
	v_ffbh_u32_e32 v0, v2
	v_min_u32_e32 v7, 32, v0
	v_subrev_u32_e32 v0, 28, v7
	v_bfe_u32 v3, v4, 19, 4
	v_lshlrev_b64 v[0:1], v0, v[8:9]
	v_sub_u32_e32 v1, 29, v7
	v_cmp_eq_u32_e32 vcc, 0, v3
	v_and_b32_e32 v0, 7, v0
	s_nop 0
	v_cndmask_b32_e32 v1, v3, v1, vcc
	v_cndmask_b32_e32 v0, v2, v0, vcc
	v_lshlrev_b32_e32 v2, 8, v8
	v_lshl_add_u32 v1, v1, 10, v23
	v_and_or_b32 v1, v2, s55, v1
	v_lshl_or_b32 v0, v0, 7, v1
	v_cvt_f32_f16_e32 v10, v0
.LBB298_604:                            ;   in Loop: Header=BB298_13 Depth=1
	s_or_b64 exec, exec, s[46:47]
	v_lshrrev_b32_e32 v8, 24, v4
	v_cmp_lt_i16_e32 vcc, s53, v8
	s_mov_b64 s[46:47], 0
                                        ; implicit-def: $sgpr56
	s_and_saveexec_b64 s[48:49], vcc
	s_xor_b64 s[48:49], exec, s[48:49]
	s_cbranch_execnz .LBB298_894
; %bb.605:                              ;   in Loop: Header=BB298_13 Depth=1
	s_or_saveexec_b64 s[48:49], s[48:49]
	v_mov_b32_e32 v27, s56
	s_xor_b64 exec, exec, s[48:49]
	s_cbranch_execnz .LBB298_897
.LBB298_606:                            ;   in Loop: Header=BB298_13 Depth=1
	s_or_b64 exec, exec, s[48:49]
	s_and_saveexec_b64 s[48:49], s[46:47]
	s_cbranch_execz .LBB298_608
.LBB298_607:                            ;   in Loop: Header=BB298_13 Depth=1
	v_bfe_u32 v2, v4, 24, 3
	v_ffbh_u32_e32 v0, v2
	v_bfe_u32 v3, v4, 27, 4
	v_min_u32_e32 v4, 32, v0
	v_subrev_u32_e32 v0, 28, v4
	v_lshlrev_b64 v[0:1], v0, v[8:9]
	v_sub_u32_e32 v1, 29, v4
	v_cmp_eq_u32_e32 vcc, 0, v3
	v_and_b32_e32 v0, 7, v0
	s_nop 0
	v_cndmask_b32_e32 v1, v3, v1, vcc
	v_cndmask_b32_e32 v0, v2, v0, vcc
	v_lshlrev_b32_e32 v2, 8, v8
	v_lshl_add_u32 v1, v1, 10, v23
	v_and_or_b32 v1, v2, s55, v1
	v_lshl_or_b32 v0, v0, 7, v1
	v_cvt_f32_f16_e32 v27, v0
.LBB298_608:                            ;   in Loop: Header=BB298_13 Depth=1
	s_or_b64 exec, exec, s[48:49]
	flat_load_dword v4, v[50:51] offset:8
	s_mov_b64 vcc, 0
                                        ; implicit-def: $sgpr50
	s_waitcnt vmcnt(0) lgkmcnt(0)
	v_cmp_gt_i16_sdwa s[46:47], v4, s53 src0_sel:BYTE_0 src1_sel:DWORD
	s_and_saveexec_b64 s[48:49], s[46:47]
	s_xor_b64 s[46:47], exec, s[48:49]
	s_cbranch_execnz .LBB298_898
; %bb.609:                              ;   in Loop: Header=BB298_13 Depth=1
	s_or_saveexec_b64 s[46:47], s[46:47]
	v_mov_b32_e32 v52, s50
	s_xor_b64 exec, exec, s[46:47]
	s_cbranch_execnz .LBB298_901
.LBB298_610:                            ;   in Loop: Header=BB298_13 Depth=1
	s_or_b64 exec, exec, s[46:47]
	s_and_saveexec_b64 s[46:47], vcc
	s_cbranch_execz .LBB298_612
.LBB298_611:                            ;   in Loop: Header=BB298_13 Depth=1
	v_and_b32_e32 v2, 7, v4
	v_ffbh_u32_e32 v0, v2
	v_min_u32_e32 v7, 32, v0
	v_subrev_u32_e32 v0, 28, v7
	v_bfe_u32 v3, v4, 3, 4
	v_lshlrev_b64 v[0:1], v0, v[4:5]
	v_sub_u32_e32 v1, 29, v7
	v_cmp_eq_u32_e32 vcc, 0, v3
	v_and_b32_e32 v0, 7, v0
	s_nop 0
	v_cndmask_b32_e32 v1, v3, v1, vcc
	v_cndmask_b32_e32 v0, v2, v0, vcc
	v_lshlrev_b32_e32 v2, 8, v4
	v_lshl_add_u32 v1, v1, 10, v23
	v_and_or_b32 v1, v2, s55, v1
	v_lshl_or_b32 v0, v0, 7, v1
	v_cvt_f32_f16_e32 v52, v0
.LBB298_612:                            ;   in Loop: Header=BB298_13 Depth=1
	s_or_b64 exec, exec, s[46:47]
	v_lshrrev_b16_e32 v8, 8, v4
	v_cmp_lt_i16_e32 vcc, s53, v8
	s_mov_b64 s[46:47], 0
                                        ; implicit-def: $sgpr56
	s_and_saveexec_b64 s[48:49], vcc
	s_xor_b64 s[48:49], exec, s[48:49]
	s_cbranch_execnz .LBB298_902
; %bb.613:                              ;   in Loop: Header=BB298_13 Depth=1
	s_or_saveexec_b64 s[48:49], s[48:49]
	v_mov_b32_e32 v2, s56
	s_xor_b64 exec, exec, s[48:49]
	s_cbranch_execnz .LBB298_905
.LBB298_614:                            ;   in Loop: Header=BB298_13 Depth=1
	s_or_b64 exec, exec, s[48:49]
	s_and_saveexec_b64 s[48:49], s[46:47]
	s_cbranch_execz .LBB298_616
.LBB298_615:                            ;   in Loop: Header=BB298_13 Depth=1
	v_and_b32_e32 v2, 7, v8
	v_ffbh_u32_e32 v0, v2
	v_min_u32_e32 v7, 32, v0
	v_subrev_u32_e32 v0, 28, v7
	v_bfe_u32 v3, v8, 3, 4
	v_lshlrev_b64 v[0:1], v0, v[8:9]
	v_sub_u32_e32 v1, 29, v7
	v_cmp_eq_u32_e32 vcc, 0, v3
	v_and_b32_e32 v0, 7, v0
	s_nop 0
	v_cndmask_b32_e32 v1, v3, v1, vcc
	v_cndmask_b32_e32 v0, v2, v0, vcc
	v_lshlrev_b32_e32 v2, 8, v8
	v_lshl_add_u32 v1, v1, 10, v23
	v_and_or_b32 v1, v2, s55, v1
	v_lshl_or_b32 v0, v0, 7, v1
	v_cvt_f32_f16_e32 v2, v0
.LBB298_616:                            ;   in Loop: Header=BB298_13 Depth=1
	s_or_b64 exec, exec, s[48:49]
	v_lshrrev_b32_e32 v8, 16, v4
	v_cmp_gt_i16_sdwa s[46:47], v8, s53 src0_sel:BYTE_0 src1_sel:DWORD
	s_mov_b64 vcc, 0
                                        ; implicit-def: $sgpr50
	s_and_saveexec_b64 s[48:49], s[46:47]
	s_xor_b64 s[46:47], exec, s[48:49]
	s_cbranch_execnz .LBB298_906
; %bb.617:                              ;   in Loop: Header=BB298_13 Depth=1
	s_or_saveexec_b64 s[46:47], s[46:47]
	v_mov_b32_e32 v33, s50
	s_xor_b64 exec, exec, s[46:47]
	s_cbranch_execnz .LBB298_909
.LBB298_618:                            ;   in Loop: Header=BB298_13 Depth=1
	s_or_b64 exec, exec, s[46:47]
	s_and_saveexec_b64 s[46:47], vcc
	s_cbranch_execz .LBB298_620
.LBB298_619:                            ;   in Loop: Header=BB298_13 Depth=1
	v_bfe_u32 v3, v4, 16, 3
	v_ffbh_u32_e32 v0, v3
	v_min_u32_e32 v11, 32, v0
	v_subrev_u32_e32 v0, 28, v11
	v_bfe_u32 v7, v4, 19, 4
	v_lshlrev_b64 v[0:1], v0, v[8:9]
	v_sub_u32_e32 v1, 29, v11
	v_cmp_eq_u32_e32 vcc, 0, v7
	v_and_b32_e32 v0, 7, v0
	s_nop 0
	v_cndmask_b32_e32 v1, v7, v1, vcc
	v_cndmask_b32_e32 v0, v3, v0, vcc
	v_lshlrev_b32_e32 v3, 8, v8
	v_lshl_add_u32 v1, v1, 10, v23
	v_and_or_b32 v1, v3, s55, v1
	v_lshl_or_b32 v0, v0, 7, v1
	v_cvt_f32_f16_e32 v33, v0
.LBB298_620:                            ;   in Loop: Header=BB298_13 Depth=1
	s_or_b64 exec, exec, s[46:47]
	v_lshrrev_b32_e32 v8, 24, v4
	v_cmp_lt_i16_e32 vcc, s53, v8
	s_mov_b64 s[46:47], 0
                                        ; implicit-def: $sgpr56
	s_and_saveexec_b64 s[48:49], vcc
	s_xor_b64 s[48:49], exec, s[48:49]
	s_cbranch_execnz .LBB298_910
; %bb.621:                              ;   in Loop: Header=BB298_13 Depth=1
	s_or_saveexec_b64 s[48:49], s[48:49]
	v_mov_b32_e32 v26, s56
	s_xor_b64 exec, exec, s[48:49]
	s_cbranch_execnz .LBB298_913
.LBB298_622:                            ;   in Loop: Header=BB298_13 Depth=1
	s_or_b64 exec, exec, s[48:49]
	s_and_saveexec_b64 s[48:49], s[46:47]
	s_cbranch_execz .LBB298_624
.LBB298_623:                            ;   in Loop: Header=BB298_13 Depth=1
	v_bfe_u32 v3, v4, 24, 3
	v_ffbh_u32_e32 v0, v3
	v_min_u32_e32 v7, 32, v0
	v_subrev_u32_e32 v0, 28, v7
	v_bfe_u32 v4, v4, 27, 4
	v_lshlrev_b64 v[0:1], v0, v[8:9]
	v_sub_u32_e32 v1, 29, v7
	v_cmp_eq_u32_e32 vcc, 0, v4
	v_and_b32_e32 v0, 7, v0
	s_nop 0
	v_cndmask_b32_e32 v1, v4, v1, vcc
	v_cndmask_b32_e32 v0, v3, v0, vcc
	v_lshlrev_b32_e32 v3, 8, v8
	v_lshl_add_u32 v1, v1, 10, v23
	v_and_or_b32 v1, v3, s55, v1
	v_lshl_or_b32 v0, v0, 7, v1
	v_cvt_f32_f16_e32 v26, v0
.LBB298_624:                            ;   in Loop: Header=BB298_13 Depth=1
	s_or_b64 exec, exec, s[48:49]
	v_add_co_u32_e32 v0, vcc, 0x1000, v48
                                        ; implicit-def: $sgpr50
	s_nop 1
	v_addc_co_u32_e32 v1, vcc, 0, v49, vcc
	flat_load_dword v4, v[0:1] offset:2048
	s_mov_b64 vcc, 0
	s_waitcnt vmcnt(0) lgkmcnt(0)
	v_cmp_gt_i16_sdwa s[46:47], v4, s53 src0_sel:BYTE_0 src1_sel:DWORD
	s_and_saveexec_b64 s[48:49], s[46:47]
	s_xor_b64 s[46:47], exec, s[48:49]
	s_cbranch_execnz .LBB298_914
; %bb.625:                              ;   in Loop: Header=BB298_13 Depth=1
	s_or_saveexec_b64 s[46:47], s[46:47]
	v_mov_b32_e32 v32, s50
	s_xor_b64 exec, exec, s[46:47]
	s_cbranch_execnz .LBB298_917
.LBB298_626:                            ;   in Loop: Header=BB298_13 Depth=1
	s_or_b64 exec, exec, s[46:47]
	s_and_saveexec_b64 s[46:47], vcc
	s_cbranch_execz .LBB298_628
.LBB298_627:                            ;   in Loop: Header=BB298_13 Depth=1
	v_and_b32_e32 v3, 7, v4
	v_ffbh_u32_e32 v0, v3
	v_min_u32_e32 v8, 32, v0
	v_subrev_u32_e32 v0, 28, v8
	v_bfe_u32 v7, v4, 3, 4
	v_lshlrev_b64 v[0:1], v0, v[4:5]
	v_sub_u32_e32 v1, 29, v8
	v_cmp_eq_u32_e32 vcc, 0, v7
	v_and_b32_e32 v0, 7, v0
	s_nop 0
	v_cndmask_b32_e32 v1, v7, v1, vcc
	v_cndmask_b32_e32 v0, v3, v0, vcc
	v_lshlrev_b32_e32 v3, 8, v4
	v_lshl_add_u32 v1, v1, 10, v23
	v_and_or_b32 v1, v3, s55, v1
	v_lshl_or_b32 v0, v0, 7, v1
	v_cvt_f32_f16_e32 v32, v0
.LBB298_628:                            ;   in Loop: Header=BB298_13 Depth=1
	s_or_b64 exec, exec, s[46:47]
	v_lshrrev_b16_e32 v8, 8, v4
	v_lshl_add_u64 v[50:51], v[48:49], 0, s[38:39]
	v_cmp_lt_i16_e32 vcc, s53, v8
	s_mov_b64 s[46:47], 0
                                        ; implicit-def: $sgpr56
	s_and_saveexec_b64 s[48:49], vcc
	s_xor_b64 s[48:49], exec, s[48:49]
	s_cbranch_execnz .LBB298_918
; %bb.629:                              ;   in Loop: Header=BB298_13 Depth=1
	s_or_saveexec_b64 s[48:49], s[48:49]
	v_mov_b32_e32 v36, s56
	s_xor_b64 exec, exec, s[48:49]
	s_cbranch_execnz .LBB298_921
.LBB298_630:                            ;   in Loop: Header=BB298_13 Depth=1
	s_or_b64 exec, exec, s[48:49]
	s_and_saveexec_b64 s[48:49], s[46:47]
	s_cbranch_execz .LBB298_632
.LBB298_631:                            ;   in Loop: Header=BB298_13 Depth=1
	v_and_b32_e32 v3, 7, v8
	v_ffbh_u32_e32 v0, v3
	v_min_u32_e32 v11, 32, v0
	v_subrev_u32_e32 v0, 28, v11
	v_bfe_u32 v7, v8, 3, 4
	v_lshlrev_b64 v[0:1], v0, v[8:9]
	v_sub_u32_e32 v1, 29, v11
	v_cmp_eq_u32_e32 vcc, 0, v7
	v_and_b32_e32 v0, 7, v0
	s_nop 0
	v_cndmask_b32_e32 v1, v7, v1, vcc
	v_cndmask_b32_e32 v0, v3, v0, vcc
	v_lshlrev_b32_e32 v3, 8, v8
	v_lshl_add_u32 v1, v1, 10, v23
	v_and_or_b32 v1, v3, s55, v1
	v_lshl_or_b32 v0, v0, 7, v1
	v_cvt_f32_f16_e32 v36, v0
.LBB298_632:                            ;   in Loop: Header=BB298_13 Depth=1
	s_or_b64 exec, exec, s[48:49]
	v_lshrrev_b32_e32 v8, 16, v4
	v_cmp_gt_i16_sdwa s[46:47], v8, s53 src0_sel:BYTE_0 src1_sel:DWORD
	s_mov_b64 vcc, 0
                                        ; implicit-def: $sgpr50
	s_and_saveexec_b64 s[48:49], s[46:47]
	s_xor_b64 s[46:47], exec, s[48:49]
	s_cbranch_execnz .LBB298_922
; %bb.633:                              ;   in Loop: Header=BB298_13 Depth=1
	s_or_saveexec_b64 s[46:47], s[46:47]
	v_mov_b32_e32 v58, s50
	s_xor_b64 exec, exec, s[46:47]
	s_cbranch_execnz .LBB298_925
.LBB298_634:                            ;   in Loop: Header=BB298_13 Depth=1
	s_or_b64 exec, exec, s[46:47]
	s_and_saveexec_b64 s[46:47], vcc
	s_cbranch_execz .LBB298_636
.LBB298_635:                            ;   in Loop: Header=BB298_13 Depth=1
	v_bfe_u32 v3, v4, 16, 3
	v_ffbh_u32_e32 v0, v3
	v_min_u32_e32 v11, 32, v0
	v_subrev_u32_e32 v0, 28, v11
	v_bfe_u32 v7, v4, 19, 4
	v_lshlrev_b64 v[0:1], v0, v[8:9]
	v_sub_u32_e32 v1, 29, v11
	v_cmp_eq_u32_e32 vcc, 0, v7
	v_and_b32_e32 v0, 7, v0
	s_nop 0
	v_cndmask_b32_e32 v1, v7, v1, vcc
	v_cndmask_b32_e32 v0, v3, v0, vcc
	v_lshlrev_b32_e32 v3, 8, v8
	v_lshl_add_u32 v1, v1, 10, v23
	v_and_or_b32 v1, v3, s55, v1
	v_lshl_or_b32 v0, v0, 7, v1
	v_cvt_f32_f16_e32 v58, v0
.LBB298_636:                            ;   in Loop: Header=BB298_13 Depth=1
	s_or_b64 exec, exec, s[46:47]
	v_lshrrev_b32_e32 v8, 24, v4
	v_cmp_lt_i16_e32 vcc, s53, v8
	s_mov_b64 s[46:47], 0
                                        ; implicit-def: $sgpr56
	s_and_saveexec_b64 s[48:49], vcc
	s_xor_b64 s[48:49], exec, s[48:49]
	s_cbranch_execnz .LBB298_926
; %bb.637:                              ;   in Loop: Header=BB298_13 Depth=1
	s_or_saveexec_b64 s[48:49], s[48:49]
	v_mov_b32_e32 v38, s56
	s_xor_b64 exec, exec, s[48:49]
	s_cbranch_execnz .LBB298_929
.LBB298_638:                            ;   in Loop: Header=BB298_13 Depth=1
	s_or_b64 exec, exec, s[48:49]
	s_and_saveexec_b64 s[48:49], s[46:47]
	s_cbranch_execz .LBB298_640
.LBB298_639:                            ;   in Loop: Header=BB298_13 Depth=1
	v_bfe_u32 v3, v4, 24, 3
	v_ffbh_u32_e32 v0, v3
	v_min_u32_e32 v7, 32, v0
	v_subrev_u32_e32 v0, 28, v7
	v_bfe_u32 v4, v4, 27, 4
	v_lshlrev_b64 v[0:1], v0, v[8:9]
	v_sub_u32_e32 v1, 29, v7
	v_cmp_eq_u32_e32 vcc, 0, v4
	v_and_b32_e32 v0, 7, v0
	s_nop 0
	v_cndmask_b32_e32 v1, v4, v1, vcc
	v_cndmask_b32_e32 v0, v3, v0, vcc
	v_lshlrev_b32_e32 v3, 8, v8
	v_lshl_add_u32 v1, v1, 10, v23
	v_and_or_b32 v1, v3, s55, v1
	v_lshl_or_b32 v0, v0, 7, v1
	v_cvt_f32_f16_e32 v38, v0
.LBB298_640:                            ;   in Loop: Header=BB298_13 Depth=1
	s_or_b64 exec, exec, s[48:49]
	flat_load_dword v4, v[50:51] offset:8
	s_mov_b64 vcc, 0
                                        ; implicit-def: $sgpr50
	s_waitcnt vmcnt(0) lgkmcnt(0)
	v_cmp_gt_i16_sdwa s[46:47], v4, s53 src0_sel:BYTE_0 src1_sel:DWORD
	s_and_saveexec_b64 s[48:49], s[46:47]
	s_xor_b64 s[46:47], exec, s[48:49]
	s_cbranch_execnz .LBB298_930
; %bb.641:                              ;   in Loop: Header=BB298_13 Depth=1
	s_or_saveexec_b64 s[46:47], s[46:47]
	v_mov_b32_e32 v16, s50
	s_xor_b64 exec, exec, s[46:47]
	s_cbranch_execnz .LBB298_933
.LBB298_642:                            ;   in Loop: Header=BB298_13 Depth=1
	s_or_b64 exec, exec, s[46:47]
	s_and_saveexec_b64 s[46:47], vcc
	s_cbranch_execz .LBB298_644
.LBB298_643:                            ;   in Loop: Header=BB298_13 Depth=1
	v_and_b32_e32 v3, 7, v4
	v_ffbh_u32_e32 v0, v3
	v_min_u32_e32 v8, 32, v0
	v_subrev_u32_e32 v0, 28, v8
	v_bfe_u32 v7, v4, 3, 4
	v_lshlrev_b64 v[0:1], v0, v[4:5]
	v_sub_u32_e32 v1, 29, v8
	v_cmp_eq_u32_e32 vcc, 0, v7
	v_and_b32_e32 v0, 7, v0
	s_nop 0
	v_cndmask_b32_e32 v1, v7, v1, vcc
	v_cndmask_b32_e32 v0, v3, v0, vcc
	v_lshlrev_b32_e32 v3, 8, v4
	v_lshl_add_u32 v1, v1, 10, v23
	v_and_or_b32 v1, v3, s55, v1
	v_lshl_or_b32 v0, v0, 7, v1
	v_cvt_f32_f16_e32 v16, v0
.LBB298_644:                            ;   in Loop: Header=BB298_13 Depth=1
	s_or_b64 exec, exec, s[46:47]
	v_lshrrev_b16_e32 v8, 8, v4
	v_cmp_lt_i16_e32 vcc, s53, v8
	s_mov_b64 s[46:47], 0
                                        ; implicit-def: $sgpr56
	s_and_saveexec_b64 s[48:49], vcc
	s_xor_b64 s[48:49], exec, s[48:49]
	s_cbranch_execnz .LBB298_934
; %bb.645:                              ;   in Loop: Header=BB298_13 Depth=1
	s_or_saveexec_b64 s[48:49], s[48:49]
	v_mov_b32_e32 v14, s56
	s_xor_b64 exec, exec, s[48:49]
	s_cbranch_execnz .LBB298_937
.LBB298_646:                            ;   in Loop: Header=BB298_13 Depth=1
	s_or_b64 exec, exec, s[48:49]
	s_and_saveexec_b64 s[48:49], s[46:47]
	s_cbranch_execz .LBB298_648
.LBB298_647:                            ;   in Loop: Header=BB298_13 Depth=1
	v_and_b32_e32 v3, 7, v8
	v_ffbh_u32_e32 v0, v3
	v_min_u32_e32 v11, 32, v0
	v_subrev_u32_e32 v0, 28, v11
	v_bfe_u32 v7, v8, 3, 4
	v_lshlrev_b64 v[0:1], v0, v[8:9]
	v_sub_u32_e32 v1, 29, v11
	v_cmp_eq_u32_e32 vcc, 0, v7
	v_and_b32_e32 v0, 7, v0
	s_nop 0
	v_cndmask_b32_e32 v1, v7, v1, vcc
	v_cndmask_b32_e32 v0, v3, v0, vcc
	v_lshlrev_b32_e32 v3, 8, v8
	v_lshl_add_u32 v1, v1, 10, v23
	v_and_or_b32 v1, v3, s55, v1
	v_lshl_or_b32 v0, v0, 7, v1
	v_cvt_f32_f16_e32 v14, v0
.LBB298_648:                            ;   in Loop: Header=BB298_13 Depth=1
	s_or_b64 exec, exec, s[48:49]
	v_lshrrev_b32_e32 v8, 16, v4
	v_cmp_gt_i16_sdwa s[46:47], v8, s53 src0_sel:BYTE_0 src1_sel:DWORD
	s_mov_b64 vcc, 0
                                        ; implicit-def: $sgpr50
	s_and_saveexec_b64 s[48:49], s[46:47]
	s_xor_b64 s[46:47], exec, s[48:49]
	s_cbranch_execnz .LBB298_938
; %bb.649:                              ;   in Loop: Header=BB298_13 Depth=1
	s_or_saveexec_b64 s[46:47], s[46:47]
	v_mov_b32_e32 v37, s50
	s_xor_b64 exec, exec, s[46:47]
	s_cbranch_execnz .LBB298_941
.LBB298_650:                            ;   in Loop: Header=BB298_13 Depth=1
	s_or_b64 exec, exec, s[46:47]
	s_and_saveexec_b64 s[46:47], vcc
	s_cbranch_execz .LBB298_652
.LBB298_651:                            ;   in Loop: Header=BB298_13 Depth=1
	v_bfe_u32 v3, v4, 16, 3
	v_ffbh_u32_e32 v0, v3
	v_min_u32_e32 v11, 32, v0
	v_subrev_u32_e32 v0, 28, v11
	v_bfe_u32 v7, v4, 19, 4
	v_lshlrev_b64 v[0:1], v0, v[8:9]
	v_sub_u32_e32 v1, 29, v11
	v_cmp_eq_u32_e32 vcc, 0, v7
	v_and_b32_e32 v0, 7, v0
	s_nop 0
	v_cndmask_b32_e32 v1, v7, v1, vcc
	v_cndmask_b32_e32 v0, v3, v0, vcc
	v_lshlrev_b32_e32 v3, 8, v8
	v_lshl_add_u32 v1, v1, 10, v23
	v_and_or_b32 v1, v3, s55, v1
	v_lshl_or_b32 v0, v0, 7, v1
	v_cvt_f32_f16_e32 v37, v0
.LBB298_652:                            ;   in Loop: Header=BB298_13 Depth=1
	s_or_b64 exec, exec, s[46:47]
	v_lshrrev_b32_e32 v8, 24, v4
	v_cmp_lt_i16_e32 vcc, s53, v8
	s_mov_b64 s[46:47], 0
                                        ; implicit-def: $sgpr56
	s_and_saveexec_b64 s[48:49], vcc
	s_xor_b64 s[48:49], exec, s[48:49]
	s_cbranch_execnz .LBB298_942
; %bb.653:                              ;   in Loop: Header=BB298_13 Depth=1
	s_or_saveexec_b64 s[48:49], s[48:49]
	v_mov_b32_e32 v0, s56
	s_xor_b64 exec, exec, s[48:49]
	s_cbranch_execnz .LBB298_945
.LBB298_654:                            ;   in Loop: Header=BB298_13 Depth=1
	s_or_b64 exec, exec, s[48:49]
	s_and_saveexec_b64 s[48:49], s[46:47]
	s_cbranch_execz .LBB298_656
.LBB298_655:                            ;   in Loop: Header=BB298_13 Depth=1
	v_bfe_u32 v3, v4, 24, 3
	v_ffbh_u32_e32 v0, v3
	v_min_u32_e32 v7, 32, v0
	v_subrev_u32_e32 v0, 28, v7
	v_bfe_u32 v4, v4, 27, 4
	v_lshlrev_b64 v[0:1], v0, v[8:9]
	v_sub_u32_e32 v1, 29, v7
	v_cmp_eq_u32_e32 vcc, 0, v4
	v_and_b32_e32 v0, 7, v0
	s_nop 0
	v_cndmask_b32_e32 v1, v4, v1, vcc
	v_cndmask_b32_e32 v0, v3, v0, vcc
	v_lshlrev_b32_e32 v3, 8, v8
	v_lshl_add_u32 v1, v1, 10, v23
	v_and_or_b32 v1, v3, s55, v1
	v_lshl_or_b32 v0, v0, 7, v1
	v_cvt_f32_f16_e32 v0, v0
.LBB298_656:                            ;   in Loop: Header=BB298_13 Depth=1
	s_or_b64 exec, exec, s[48:49]
	v_add_co_u32_e32 v20, vcc, 0x1000, v48
                                        ; implicit-def: $sgpr50
	s_nop 1
	v_addc_co_u32_e32 v21, vcc, 0, v49, vcc
	flat_load_dword v4, v[20:21] offset:2560
	s_mov_b64 vcc, 0
	s_waitcnt vmcnt(0) lgkmcnt(0)
	v_cmp_gt_i16_sdwa s[46:47], v4, s53 src0_sel:BYTE_0 src1_sel:DWORD
	s_and_saveexec_b64 s[48:49], s[46:47]
	s_xor_b64 s[46:47], exec, s[48:49]
	s_cbranch_execnz .LBB298_946
; %bb.657:                              ;   in Loop: Header=BB298_13 Depth=1
	s_or_saveexec_b64 s[46:47], s[46:47]
	v_mov_b32_e32 v15, s50
	s_xor_b64 exec, exec, s[46:47]
	s_cbranch_execnz .LBB298_949
.LBB298_658:                            ;   in Loop: Header=BB298_13 Depth=1
	s_or_b64 exec, exec, s[46:47]
	s_and_saveexec_b64 s[46:47], vcc
	s_cbranch_execz .LBB298_660
.LBB298_659:                            ;   in Loop: Header=BB298_13 Depth=1
	v_and_b32_e32 v1, 7, v4
	v_ffbh_u32_e32 v7, v1
	v_bfe_u32 v3, v4, 3, 4
	v_min_u32_e32 v7, 32, v7
	v_subrev_u32_e32 v8, 28, v7
	v_sub_u32_e32 v7, 29, v7
	v_cmp_eq_u32_e32 vcc, 0, v3
	v_lshlrev_b64 v[20:21], v8, v[4:5]
	v_and_b32_e32 v8, 7, v20
	v_cndmask_b32_e32 v3, v3, v7, vcc
	v_lshlrev_b32_e32 v7, 8, v4
	v_lshl_add_u32 v3, v3, 10, v23
	v_cndmask_b32_e32 v1, v1, v8, vcc
	v_and_or_b32 v3, v7, s55, v3
	v_lshl_or_b32 v1, v1, 7, v3
	v_cvt_f32_f16_e32 v15, v1
.LBB298_660:                            ;   in Loop: Header=BB298_13 Depth=1
	s_or_b64 exec, exec, s[46:47]
	v_lshrrev_b16_e32 v8, 8, v4
	v_lshl_add_u64 v[50:51], v[48:49], 0, s[40:41]
	v_cmp_lt_i16_e32 vcc, s53, v8
	s_mov_b64 s[46:47], 0
                                        ; implicit-def: $sgpr56
	s_and_saveexec_b64 s[48:49], vcc
	s_xor_b64 s[48:49], exec, s[48:49]
	s_cbranch_execnz .LBB298_950
; %bb.661:                              ;   in Loop: Header=BB298_13 Depth=1
	s_or_saveexec_b64 s[48:49], s[48:49]
	v_mov_b32_e32 v54, s56
	s_xor_b64 exec, exec, s[48:49]
	s_cbranch_execnz .LBB298_953
.LBB298_662:                            ;   in Loop: Header=BB298_13 Depth=1
	s_or_b64 exec, exec, s[48:49]
	s_and_saveexec_b64 s[48:49], s[46:47]
	s_cbranch_execz .LBB298_664
.LBB298_663:                            ;   in Loop: Header=BB298_13 Depth=1
	v_and_b32_e32 v1, 7, v8
	v_ffbh_u32_e32 v7, v1
	v_bfe_u32 v3, v8, 3, 4
	v_min_u32_e32 v7, 32, v7
	v_subrev_u32_e32 v11, 28, v7
	v_sub_u32_e32 v7, 29, v7
	v_cmp_eq_u32_e32 vcc, 0, v3
	v_lshlrev_b64 v[20:21], v11, v[8:9]
	v_and_b32_e32 v11, 7, v20
	v_cndmask_b32_e32 v3, v3, v7, vcc
	v_lshlrev_b32_e32 v7, 8, v8
	v_lshl_add_u32 v3, v3, 10, v23
	v_cndmask_b32_e32 v1, v1, v11, vcc
	v_and_or_b32 v3, v7, s55, v3
	v_lshl_or_b32 v1, v1, 7, v3
	v_cvt_f32_f16_e32 v54, v1
.LBB298_664:                            ;   in Loop: Header=BB298_13 Depth=1
	s_or_b64 exec, exec, s[48:49]
	v_lshrrev_b32_e32 v8, 16, v4
	v_cmp_gt_i16_sdwa s[46:47], v8, s53 src0_sel:BYTE_0 src1_sel:DWORD
	s_mov_b64 vcc, 0
                                        ; implicit-def: $sgpr50
	s_and_saveexec_b64 s[48:49], s[46:47]
	s_xor_b64 s[46:47], exec, s[48:49]
	s_cbranch_execnz .LBB298_954
; %bb.665:                              ;   in Loop: Header=BB298_13 Depth=1
	s_or_saveexec_b64 s[46:47], s[46:47]
	v_mov_b32_e32 v7, s50
	s_xor_b64 exec, exec, s[46:47]
	s_cbranch_execnz .LBB298_957
.LBB298_666:                            ;   in Loop: Header=BB298_13 Depth=1
	s_or_b64 exec, exec, s[46:47]
	s_and_saveexec_b64 s[46:47], vcc
	s_cbranch_execz .LBB298_668
.LBB298_667:                            ;   in Loop: Header=BB298_13 Depth=1
	v_bfe_u32 v1, v4, 16, 3
	v_ffbh_u32_e32 v7, v1
	v_bfe_u32 v3, v4, 19, 4
	v_min_u32_e32 v7, 32, v7
	v_subrev_u32_e32 v11, 28, v7
	v_sub_u32_e32 v7, 29, v7
	v_cmp_eq_u32_e32 vcc, 0, v3
	v_lshlrev_b64 v[20:21], v11, v[8:9]
	v_and_b32_e32 v11, 7, v20
	v_cndmask_b32_e32 v3, v3, v7, vcc
	v_lshlrev_b32_e32 v7, 8, v8
	v_lshl_add_u32 v3, v3, 10, v23
	v_cndmask_b32_e32 v1, v1, v11, vcc
	v_and_or_b32 v3, v7, s55, v3
	v_lshl_or_b32 v1, v1, 7, v3
	v_cvt_f32_f16_e32 v7, v1
.LBB298_668:                            ;   in Loop: Header=BB298_13 Depth=1
	s_or_b64 exec, exec, s[46:47]
	v_lshrrev_b32_e32 v8, 24, v4
	v_cmp_lt_i16_e32 vcc, s53, v8
	s_mov_b64 s[46:47], 0
                                        ; implicit-def: $sgpr56
	s_and_saveexec_b64 s[48:49], vcc
	s_xor_b64 s[48:49], exec, s[48:49]
	s_cbranch_execnz .LBB298_958
; %bb.669:                              ;   in Loop: Header=BB298_13 Depth=1
	s_or_saveexec_b64 s[48:49], s[48:49]
	v_mov_b32_e32 v42, s56
	s_xor_b64 exec, exec, s[48:49]
	s_cbranch_execnz .LBB298_961
.LBB298_670:                            ;   in Loop: Header=BB298_13 Depth=1
	s_or_b64 exec, exec, s[48:49]
	s_and_saveexec_b64 s[48:49], s[46:47]
	s_cbranch_execz .LBB298_672
.LBB298_671:                            ;   in Loop: Header=BB298_13 Depth=1
	v_bfe_u32 v1, v4, 24, 3
	v_bfe_u32 v3, v4, 27, 4
	v_ffbh_u32_e32 v4, v1
	v_min_u32_e32 v4, 32, v4
	v_subrev_u32_e32 v11, 28, v4
	v_sub_u32_e32 v4, 29, v4
	v_cmp_eq_u32_e32 vcc, 0, v3
	v_lshlrev_b64 v[20:21], v11, v[8:9]
	v_and_b32_e32 v11, 7, v20
	v_cndmask_b32_e32 v3, v3, v4, vcc
	v_lshlrev_b32_e32 v4, 8, v8
	v_lshl_add_u32 v3, v3, 10, v23
	v_cndmask_b32_e32 v1, v1, v11, vcc
	v_and_or_b32 v3, v4, s55, v3
	v_lshl_or_b32 v1, v1, 7, v3
	v_cvt_f32_f16_e32 v42, v1
.LBB298_672:                            ;   in Loop: Header=BB298_13 Depth=1
	s_or_b64 exec, exec, s[48:49]
	flat_load_dword v4, v[50:51] offset:8
	s_mov_b64 vcc, 0
                                        ; implicit-def: $sgpr50
	s_waitcnt vmcnt(0) lgkmcnt(0)
	v_cmp_gt_i16_sdwa s[46:47], v4, s53 src0_sel:BYTE_0 src1_sel:DWORD
	s_and_saveexec_b64 s[48:49], s[46:47]
	s_xor_b64 s[46:47], exec, s[48:49]
	s_cbranch_execnz .LBB298_962
; %bb.673:                              ;   in Loop: Header=BB298_13 Depth=1
	s_or_saveexec_b64 s[46:47], s[46:47]
	v_mov_b32_e32 v44, s50
	s_xor_b64 exec, exec, s[46:47]
	s_cbranch_execnz .LBB298_965
.LBB298_674:                            ;   in Loop: Header=BB298_13 Depth=1
	s_or_b64 exec, exec, s[46:47]
	s_and_saveexec_b64 s[46:47], vcc
	s_cbranch_execz .LBB298_676
.LBB298_675:                            ;   in Loop: Header=BB298_13 Depth=1
	v_and_b32_e32 v1, 7, v4
	v_ffbh_u32_e32 v8, v1
	v_bfe_u32 v3, v4, 3, 4
	v_min_u32_e32 v8, 32, v8
	v_subrev_u32_e32 v11, 28, v8
	v_sub_u32_e32 v8, 29, v8
	v_cmp_eq_u32_e32 vcc, 0, v3
	v_lshlrev_b64 v[20:21], v11, v[4:5]
	v_and_b32_e32 v11, 7, v20
	v_cndmask_b32_e32 v3, v3, v8, vcc
	v_lshlrev_b32_e32 v8, 8, v4
	v_lshl_add_u32 v3, v3, 10, v23
	v_cndmask_b32_e32 v1, v1, v11, vcc
	v_and_or_b32 v3, v8, s55, v3
	v_lshl_or_b32 v1, v1, 7, v3
	v_cvt_f32_f16_e32 v44, v1
.LBB298_676:                            ;   in Loop: Header=BB298_13 Depth=1
	s_or_b64 exec, exec, s[46:47]
	v_lshrrev_b16_e32 v8, 8, v4
	v_cmp_lt_i16_e32 vcc, s53, v8
	s_mov_b64 s[46:47], 0
                                        ; implicit-def: $sgpr56
	s_and_saveexec_b64 s[48:49], vcc
	s_xor_b64 s[48:49], exec, s[48:49]
	s_cbranch_execnz .LBB298_966
; %bb.677:                              ;   in Loop: Header=BB298_13 Depth=1
	s_or_saveexec_b64 s[48:49], s[48:49]
	v_mov_b32_e32 v11, s56
	s_xor_b64 exec, exec, s[48:49]
	s_cbranch_execnz .LBB298_969
.LBB298_678:                            ;   in Loop: Header=BB298_13 Depth=1
	s_or_b64 exec, exec, s[48:49]
	s_and_saveexec_b64 s[48:49], s[46:47]
	s_cbranch_execz .LBB298_680
.LBB298_679:                            ;   in Loop: Header=BB298_13 Depth=1
	v_and_b32_e32 v1, 7, v8
	v_ffbh_u32_e32 v11, v1
	v_bfe_u32 v3, v8, 3, 4
	v_min_u32_e32 v11, 32, v11
	v_subrev_u32_e32 v12, 28, v11
	v_sub_u32_e32 v11, 29, v11
	v_cmp_eq_u32_e32 vcc, 0, v3
	v_lshlrev_b64 v[20:21], v12, v[8:9]
	v_and_b32_e32 v12, 7, v20
	v_cndmask_b32_e32 v3, v3, v11, vcc
	v_lshlrev_b32_e32 v8, 8, v8
	v_lshl_add_u32 v3, v3, 10, v23
	v_cndmask_b32_e32 v1, v1, v12, vcc
	v_and_or_b32 v3, v8, s55, v3
	v_lshl_or_b32 v1, v1, 7, v3
	v_cvt_f32_f16_e32 v11, v1
.LBB298_680:                            ;   in Loop: Header=BB298_13 Depth=1
	s_or_b64 exec, exec, s[48:49]
	v_lshrrev_b32_e32 v8, 16, v4
	v_cmp_gt_i16_sdwa s[46:47], v8, s53 src0_sel:BYTE_0 src1_sel:DWORD
	s_mov_b64 vcc, 0
                                        ; implicit-def: $sgpr50
	s_and_saveexec_b64 s[48:49], s[46:47]
	s_xor_b64 s[46:47], exec, s[48:49]
	s_cbranch_execnz .LBB298_970
; %bb.681:                              ;   in Loop: Header=BB298_13 Depth=1
	s_or_saveexec_b64 s[46:47], s[46:47]
	v_mov_b32_e32 v1, s50
	s_xor_b64 exec, exec, s[46:47]
	s_cbranch_execnz .LBB298_973
.LBB298_682:                            ;   in Loop: Header=BB298_13 Depth=1
	s_or_b64 exec, exec, s[46:47]
	s_and_saveexec_b64 s[46:47], vcc
	s_cbranch_execz .LBB298_684
.LBB298_683:                            ;   in Loop: Header=BB298_13 Depth=1
	v_bfe_u32 v1, v4, 16, 3
	v_ffbh_u32_e32 v12, v1
	v_bfe_u32 v3, v4, 19, 4
	v_min_u32_e32 v12, 32, v12
	v_subrev_u32_e32 v17, 28, v12
	v_sub_u32_e32 v12, 29, v12
	v_cmp_eq_u32_e32 vcc, 0, v3
	v_lshlrev_b64 v[20:21], v17, v[8:9]
	v_and_b32_e32 v17, 7, v20
	v_cndmask_b32_e32 v3, v3, v12, vcc
	v_lshlrev_b32_e32 v8, 8, v8
	v_lshl_add_u32 v3, v3, 10, v23
	v_cndmask_b32_e32 v1, v1, v17, vcc
	v_and_or_b32 v3, v8, s55, v3
	v_lshl_or_b32 v1, v1, 7, v3
	v_cvt_f32_f16_e32 v1, v1
.LBB298_684:                            ;   in Loop: Header=BB298_13 Depth=1
	s_or_b64 exec, exec, s[46:47]
	v_lshrrev_b32_e32 v8, 24, v4
	v_cmp_lt_i16_e32 vcc, s53, v8
	s_mov_b64 s[46:47], 0
                                        ; implicit-def: $sgpr56
	s_and_saveexec_b64 s[48:49], vcc
	s_xor_b64 s[48:49], exec, s[48:49]
	s_cbranch_execnz .LBB298_974
; %bb.685:                              ;   in Loop: Header=BB298_13 Depth=1
	s_or_saveexec_b64 s[48:49], s[48:49]
	v_mov_b32_e32 v12, s56
	s_xor_b64 exec, exec, s[48:49]
	s_cbranch_execnz .LBB298_977
.LBB298_686:                            ;   in Loop: Header=BB298_13 Depth=1
	s_or_b64 exec, exec, s[48:49]
	s_and_saveexec_b64 s[48:49], s[46:47]
	s_cbranch_execz .LBB298_688
.LBB298_687:                            ;   in Loop: Header=BB298_13 Depth=1
	v_bfe_u32 v3, v4, 24, 3
	v_ffbh_u32_e32 v12, v3
	v_bfe_u32 v4, v4, 27, 4
	v_min_u32_e32 v12, 32, v12
	v_subrev_u32_e32 v17, 28, v12
	v_sub_u32_e32 v12, 29, v12
	v_cmp_eq_u32_e32 vcc, 0, v4
	v_lshlrev_b64 v[20:21], v17, v[8:9]
	v_and_b32_e32 v17, 7, v20
	v_cndmask_b32_e32 v4, v4, v12, vcc
	v_lshlrev_b32_e32 v8, 8, v8
	v_lshl_add_u32 v4, v4, 10, v23
	v_cndmask_b32_e32 v3, v3, v17, vcc
	v_and_or_b32 v4, v8, s55, v4
	v_lshl_or_b32 v3, v3, 7, v4
	v_cvt_f32_f16_e32 v12, v3
.LBB298_688:                            ;   in Loop: Header=BB298_13 Depth=1
	s_or_b64 exec, exec, s[48:49]
	v_add_co_u32_e32 v20, vcc, 0x1000, v48
                                        ; implicit-def: $sgpr50
	s_nop 1
	v_addc_co_u32_e32 v21, vcc, 0, v49, vcc
	flat_load_dword v4, v[20:21] offset:3072
	s_mov_b64 vcc, 0
	s_waitcnt vmcnt(0) lgkmcnt(0)
	v_cmp_gt_i16_sdwa s[46:47], v4, s53 src0_sel:BYTE_0 src1_sel:DWORD
	s_and_saveexec_b64 s[48:49], s[46:47]
	s_xor_b64 s[46:47], exec, s[48:49]
	s_cbranch_execnz .LBB298_978
; %bb.689:                              ;   in Loop: Header=BB298_13 Depth=1
	s_or_saveexec_b64 s[46:47], s[46:47]
	v_mov_b32_e32 v3, s50
	s_xor_b64 exec, exec, s[46:47]
	s_cbranch_execnz .LBB298_981
.LBB298_690:                            ;   in Loop: Header=BB298_13 Depth=1
	s_or_b64 exec, exec, s[46:47]
	s_and_saveexec_b64 s[46:47], vcc
	s_cbranch_execz .LBB298_692
.LBB298_691:                            ;   in Loop: Header=BB298_13 Depth=1
	v_and_b32_e32 v3, 7, v4
	v_ffbh_u32_e32 v17, v3
	v_bfe_u32 v8, v4, 3, 4
	v_min_u32_e32 v17, 32, v17
	v_subrev_u32_e32 v19, 28, v17
	v_sub_u32_e32 v17, 29, v17
	v_cmp_eq_u32_e32 vcc, 0, v8
	v_lshlrev_b64 v[20:21], v19, v[4:5]
	v_and_b32_e32 v19, 7, v20
	v_cndmask_b32_e32 v8, v8, v17, vcc
	v_lshlrev_b32_e32 v17, 8, v4
	v_lshl_add_u32 v8, v8, 10, v23
	v_cndmask_b32_e32 v3, v3, v19, vcc
	v_and_or_b32 v8, v17, s55, v8
	v_lshl_or_b32 v3, v3, 7, v8
	v_cvt_f32_f16_e32 v3, v3
.LBB298_692:                            ;   in Loop: Header=BB298_13 Depth=1
	s_or_b64 exec, exec, s[46:47]
	v_lshrrev_b16_e32 v8, 8, v4
	v_lshl_add_u64 v[50:51], v[48:49], 0, s[42:43]
	v_cmp_lt_i16_e32 vcc, s53, v8
	s_mov_b64 s[46:47], 0
                                        ; implicit-def: $sgpr56
	s_and_saveexec_b64 s[48:49], vcc
	s_xor_b64 s[48:49], exec, s[48:49]
	s_cbranch_execnz .LBB298_982
; %bb.693:                              ;   in Loop: Header=BB298_13 Depth=1
	s_or_saveexec_b64 s[48:49], s[48:49]
	v_mov_b32_e32 v19, s56
	s_xor_b64 exec, exec, s[48:49]
	s_cbranch_execnz .LBB298_985
.LBB298_694:                            ;   in Loop: Header=BB298_13 Depth=1
	s_or_b64 exec, exec, s[48:49]
	s_and_saveexec_b64 s[48:49], s[46:47]
	s_cbranch_execz .LBB298_696
.LBB298_695:                            ;   in Loop: Header=BB298_13 Depth=1
	v_and_b32_e32 v17, 7, v8
	v_ffbh_u32_e32 v20, v17
	v_min_u32_e32 v25, 32, v20
	v_subrev_u32_e32 v20, 28, v25
	v_bfe_u32 v19, v8, 3, 4
	v_lshlrev_b64 v[20:21], v20, v[8:9]
	v_sub_u32_e32 v21, 29, v25
	v_cmp_eq_u32_e32 vcc, 0, v19
	v_and_b32_e32 v20, 7, v20
	v_lshlrev_b32_e32 v8, 8, v8
	v_cndmask_b32_e32 v19, v19, v21, vcc
	v_lshl_add_u32 v19, v19, 10, v23
	v_cndmask_b32_e32 v17, v17, v20, vcc
	v_and_or_b32 v8, v8, s55, v19
	v_lshl_or_b32 v8, v17, 7, v8
	v_cvt_f32_f16_e32 v19, v8
.LBB298_696:                            ;   in Loop: Header=BB298_13 Depth=1
	s_or_b64 exec, exec, s[48:49]
	v_lshrrev_b32_e32 v8, 16, v4
	v_cmp_gt_i16_sdwa s[46:47], v8, s53 src0_sel:BYTE_0 src1_sel:DWORD
	s_mov_b64 vcc, 0
                                        ; implicit-def: $sgpr50
	s_and_saveexec_b64 s[48:49], s[46:47]
	s_xor_b64 s[46:47], exec, s[48:49]
	s_cbranch_execnz .LBB298_986
; %bb.697:                              ;   in Loop: Header=BB298_13 Depth=1
	s_or_saveexec_b64 s[46:47], s[46:47]
	v_mov_b32_e32 v34, s50
	s_xor_b64 exec, exec, s[46:47]
	s_cbranch_execnz .LBB298_989
.LBB298_698:                            ;   in Loop: Header=BB298_13 Depth=1
	s_or_b64 exec, exec, s[46:47]
	s_and_saveexec_b64 s[46:47], vcc
	s_cbranch_execz .LBB298_700
.LBB298_699:                            ;   in Loop: Header=BB298_13 Depth=1
	v_bfe_u32 v17, v4, 16, 3
	v_ffbh_u32_e32 v20, v17
	v_min_u32_e32 v34, 32, v20
	v_subrev_u32_e32 v20, 28, v34
	v_bfe_u32 v25, v4, 19, 4
	v_lshlrev_b64 v[20:21], v20, v[8:9]
	v_sub_u32_e32 v21, 29, v34
	v_cmp_eq_u32_e32 vcc, 0, v25
	v_and_b32_e32 v20, 7, v20
	v_lshlrev_b32_e32 v8, 8, v8
	v_cndmask_b32_e32 v21, v25, v21, vcc
	v_cndmask_b32_e32 v17, v17, v20, vcc
	v_lshl_add_u32 v20, v21, 10, v23
	v_and_or_b32 v8, v8, s55, v20
	v_lshl_or_b32 v8, v17, 7, v8
	v_cvt_f32_f16_e32 v34, v8
.LBB298_700:                            ;   in Loop: Header=BB298_13 Depth=1
	s_or_b64 exec, exec, s[46:47]
	v_lshrrev_b32_e32 v8, 24, v4
	v_cmp_lt_i16_e32 vcc, s53, v8
	s_mov_b64 s[46:47], 0
                                        ; implicit-def: $sgpr56
	s_and_saveexec_b64 s[48:49], vcc
	s_xor_b64 s[48:49], exec, s[48:49]
	s_cbranch_execnz .LBB298_990
; %bb.701:                              ;   in Loop: Header=BB298_13 Depth=1
	s_or_saveexec_b64 s[48:49], s[48:49]
	v_mov_b32_e32 v39, s56
	s_xor_b64 exec, exec, s[48:49]
	s_cbranch_execnz .LBB298_993
.LBB298_702:                            ;   in Loop: Header=BB298_13 Depth=1
	s_or_b64 exec, exec, s[48:49]
	s_and_saveexec_b64 s[48:49], s[46:47]
	s_cbranch_execz .LBB298_704
.LBB298_703:                            ;   in Loop: Header=BB298_13 Depth=1
	v_bfe_u32 v17, v4, 24, 3
	v_ffbh_u32_e32 v20, v17
	v_min_u32_e32 v25, 32, v20
	v_subrev_u32_e32 v20, 28, v25
	v_bfe_u32 v4, v4, 27, 4
	v_lshlrev_b64 v[20:21], v20, v[8:9]
	v_sub_u32_e32 v21, 29, v25
	v_cmp_eq_u32_e32 vcc, 0, v4
	v_and_b32_e32 v20, 7, v20
	v_lshlrev_b32_e32 v8, 8, v8
	v_cndmask_b32_e32 v4, v4, v21, vcc
	v_lshl_add_u32 v4, v4, 10, v23
	v_cndmask_b32_e32 v17, v17, v20, vcc
	v_and_or_b32 v4, v8, s55, v4
	v_lshl_or_b32 v4, v17, 7, v4
	v_cvt_f32_f16_e32 v39, v4
.LBB298_704:                            ;   in Loop: Header=BB298_13 Depth=1
	s_or_b64 exec, exec, s[48:49]
	flat_load_dword v4, v[50:51] offset:8
	s_mov_b64 vcc, 0
                                        ; implicit-def: $sgpr50
	s_waitcnt vmcnt(0) lgkmcnt(0)
	v_cmp_gt_i16_sdwa s[46:47], v4, s53 src0_sel:BYTE_0 src1_sel:DWORD
	s_and_saveexec_b64 s[48:49], s[46:47]
	s_xor_b64 s[46:47], exec, s[48:49]
	s_cbranch_execnz .LBB298_994
; %bb.705:                              ;   in Loop: Header=BB298_13 Depth=1
	s_or_saveexec_b64 s[46:47], s[46:47]
	v_mov_b32_e32 v50, s50
	s_xor_b64 exec, exec, s[46:47]
	s_cbranch_execnz .LBB298_997
.LBB298_706:                            ;   in Loop: Header=BB298_13 Depth=1
	s_or_b64 exec, exec, s[46:47]
	s_and_saveexec_b64 s[46:47], vcc
	s_cbranch_execz .LBB298_708
.LBB298_707:                            ;   in Loop: Header=BB298_13 Depth=1
	v_and_b32_e32 v8, 7, v4
	v_ffbh_u32_e32 v20, v8
	v_min_u32_e32 v25, 32, v20
	v_subrev_u32_e32 v20, 28, v25
	v_bfe_u32 v17, v4, 3, 4
	v_lshlrev_b64 v[20:21], v20, v[4:5]
	v_sub_u32_e32 v21, 29, v25
	v_cmp_eq_u32_e32 vcc, 0, v17
	v_and_b32_e32 v20, 7, v20
	s_nop 0
	v_cndmask_b32_e32 v17, v17, v21, vcc
	v_cndmask_b32_e32 v8, v8, v20, vcc
	v_lshlrev_b32_e32 v20, 8, v4
	v_lshl_add_u32 v17, v17, 10, v23
	v_and_or_b32 v17, v20, s55, v17
	v_lshl_or_b32 v8, v8, 7, v17
	v_cvt_f32_f16_e32 v50, v8
.LBB298_708:                            ;   in Loop: Header=BB298_13 Depth=1
	s_or_b64 exec, exec, s[46:47]
	v_lshrrev_b16_e32 v8, 8, v4
	v_cmp_lt_i16_e32 vcc, s53, v8
	s_mov_b64 s[46:47], 0
                                        ; implicit-def: $sgpr56
	s_and_saveexec_b64 s[48:49], vcc
	s_xor_b64 s[48:49], exec, s[48:49]
	s_cbranch_execnz .LBB298_998
; %bb.709:                              ;   in Loop: Header=BB298_13 Depth=1
	s_or_saveexec_b64 s[48:49], s[48:49]
	v_mov_b32_e32 v51, s56
	s_xor_b64 exec, exec, s[48:49]
	s_cbranch_execnz .LBB298_1001
.LBB298_710:                            ;   in Loop: Header=BB298_13 Depth=1
	s_or_b64 exec, exec, s[48:49]
	s_and_saveexec_b64 s[48:49], s[46:47]
	s_cbranch_execz .LBB298_712
.LBB298_711:                            ;   in Loop: Header=BB298_13 Depth=1
	v_and_b32_e32 v17, 7, v8
	v_ffbh_u32_e32 v20, v17
	v_min_u32_e32 v51, 32, v20
	v_subrev_u32_e32 v20, 28, v51
	v_bfe_u32 v25, v8, 3, 4
	v_lshlrev_b64 v[20:21], v20, v[8:9]
	v_sub_u32_e32 v21, 29, v51
	v_cmp_eq_u32_e32 vcc, 0, v25
	v_and_b32_e32 v20, 7, v20
	v_lshlrev_b32_e32 v8, 8, v8
	v_cndmask_b32_e32 v21, v25, v21, vcc
	v_cndmask_b32_e32 v17, v17, v20, vcc
	v_lshl_add_u32 v20, v21, 10, v23
	v_and_or_b32 v8, v8, s55, v20
	v_lshl_or_b32 v8, v17, 7, v8
	v_cvt_f32_f16_e32 v51, v8
.LBB298_712:                            ;   in Loop: Header=BB298_13 Depth=1
	s_or_b64 exec, exec, s[48:49]
	v_lshrrev_b32_e32 v8, 16, v4
	v_cmp_gt_i16_sdwa s[46:47], v8, s53 src0_sel:BYTE_0 src1_sel:DWORD
	s_mov_b64 vcc, 0
                                        ; implicit-def: $sgpr50
	s_and_saveexec_b64 s[48:49], s[46:47]
	s_xor_b64 s[46:47], exec, s[48:49]
	s_cbranch_execnz .LBB298_1002
; %bb.713:                              ;   in Loop: Header=BB298_13 Depth=1
	s_or_saveexec_b64 s[46:47], s[46:47]
	v_mov_b32_e32 v17, s50
	s_xor_b64 exec, exec, s[46:47]
	s_cbranch_execnz .LBB298_1005
.LBB298_714:                            ;   in Loop: Header=BB298_13 Depth=1
	s_or_b64 exec, exec, s[46:47]
	s_and_saveexec_b64 s[46:47], vcc
	s_cbranch_execz .LBB298_716
.LBB298_715:                            ;   in Loop: Header=BB298_13 Depth=1
	v_bfe_u32 v17, v4, 16, 3
	v_ffbh_u32_e32 v20, v17
	v_min_u32_e32 v53, 32, v20
	v_subrev_u32_e32 v20, 28, v53
	v_bfe_u32 v25, v4, 19, 4
	v_lshlrev_b64 v[20:21], v20, v[8:9]
	v_sub_u32_e32 v21, 29, v53
	v_cmp_eq_u32_e32 vcc, 0, v25
	v_and_b32_e32 v20, 7, v20
	v_lshlrev_b32_e32 v8, 8, v8
	v_cndmask_b32_e32 v21, v25, v21, vcc
	v_cndmask_b32_e32 v17, v17, v20, vcc
	v_lshl_add_u32 v20, v21, 10, v23
	v_and_or_b32 v8, v8, s55, v20
	v_lshl_or_b32 v8, v17, 7, v8
	v_cvt_f32_f16_e32 v17, v8
.LBB298_716:                            ;   in Loop: Header=BB298_13 Depth=1
	s_or_b64 exec, exec, s[46:47]
	v_lshrrev_b32_e32 v8, 24, v4
	v_cmp_lt_i16_e32 vcc, s53, v8
	s_mov_b64 s[46:47], 0
                                        ; implicit-def: $sgpr56
	s_and_saveexec_b64 s[48:49], vcc
	s_xor_b64 s[48:49], exec, s[48:49]
	s_cbranch_execnz .LBB298_1006
; %bb.717:                              ;   in Loop: Header=BB298_13 Depth=1
	s_or_saveexec_b64 s[48:49], s[48:49]
	v_mov_b32_e32 v40, s56
	s_xor_b64 exec, exec, s[48:49]
	s_cbranch_execnz .LBB298_1009
.LBB298_718:                            ;   in Loop: Header=BB298_13 Depth=1
	s_or_b64 exec, exec, s[48:49]
	s_and_saveexec_b64 s[48:49], s[46:47]
	s_cbranch_execz .LBB298_720
.LBB298_719:                            ;   in Loop: Header=BB298_13 Depth=1
	v_bfe_u32 v25, v4, 24, 3
	v_ffbh_u32_e32 v20, v25
	v_min_u32_e32 v53, 32, v20
	v_subrev_u32_e32 v20, 28, v53
	v_bfe_u32 v4, v4, 27, 4
	v_lshlrev_b64 v[20:21], v20, v[8:9]
	v_sub_u32_e32 v21, 29, v53
	v_cmp_eq_u32_e32 vcc, 0, v4
	v_and_b32_e32 v20, 7, v20
	v_lshlrev_b32_e32 v8, 8, v8
	v_cndmask_b32_e32 v4, v4, v21, vcc
	v_lshl_add_u32 v4, v4, 10, v23
	v_cndmask_b32_e32 v20, v25, v20, vcc
	v_and_or_b32 v4, v8, s55, v4
	v_lshl_or_b32 v4, v20, 7, v4
	v_cvt_f32_f16_e32 v40, v4
.LBB298_720:                            ;   in Loop: Header=BB298_13 Depth=1
	s_or_b64 exec, exec, s[48:49]
	v_add_co_u32_e32 v20, vcc, 0x1000, v48
                                        ; implicit-def: $sgpr50
	s_nop 1
	v_addc_co_u32_e32 v21, vcc, 0, v49, vcc
	flat_load_dword v4, v[20:21] offset:3584
	s_mov_b64 vcc, 0
	s_waitcnt vmcnt(0) lgkmcnt(0)
	v_cmp_gt_i16_sdwa s[46:47], v4, s53 src0_sel:BYTE_0 src1_sel:DWORD
	s_and_saveexec_b64 s[48:49], s[46:47]
	s_xor_b64 s[46:47], exec, s[48:49]
	s_cbranch_execnz .LBB298_1010
; %bb.721:                              ;   in Loop: Header=BB298_13 Depth=1
	s_or_saveexec_b64 s[46:47], s[46:47]
	v_mov_b32_e32 v41, s50
	s_xor_b64 exec, exec, s[46:47]
	s_cbranch_execnz .LBB298_1013
.LBB298_722:                            ;   in Loop: Header=BB298_13 Depth=1
	s_or_b64 exec, exec, s[46:47]
	s_and_saveexec_b64 s[46:47], vcc
	s_cbranch_execz .LBB298_724
.LBB298_723:                            ;   in Loop: Header=BB298_13 Depth=1
	v_and_b32_e32 v8, 7, v4
	v_ffbh_u32_e32 v20, v8
	v_min_u32_e32 v53, 32, v20
	v_subrev_u32_e32 v20, 28, v53
	v_bfe_u32 v25, v4, 3, 4
	v_lshlrev_b64 v[20:21], v20, v[4:5]
	v_sub_u32_e32 v21, 29, v53
	v_cmp_eq_u32_e32 vcc, 0, v25
	v_and_b32_e32 v20, 7, v20
	s_nop 0
	v_cndmask_b32_e32 v21, v25, v21, vcc
	v_cndmask_b32_e32 v8, v8, v20, vcc
	v_lshlrev_b32_e32 v20, 8, v4
	v_lshl_add_u32 v21, v21, 10, v23
	v_and_or_b32 v20, v20, s55, v21
	v_lshl_or_b32 v8, v8, 7, v20
	v_cvt_f32_f16_e32 v41, v8
.LBB298_724:                            ;   in Loop: Header=BB298_13 Depth=1
	s_or_b64 exec, exec, s[46:47]
	v_lshrrev_b16_e32 v8, 8, v4
	v_lshl_add_u64 v[48:49], v[48:49], 0, s[44:45]
	v_cmp_lt_i16_e32 vcc, s53, v8
	s_mov_b64 s[46:47], 0
                                        ; implicit-def: $sgpr56
	s_and_saveexec_b64 s[48:49], vcc
	s_xor_b64 s[48:49], exec, s[48:49]
	s_cbranch_execnz .LBB298_1014
; %bb.725:                              ;   in Loop: Header=BB298_13 Depth=1
	s_or_saveexec_b64 s[48:49], s[48:49]
	v_mov_b32_e32 v53, s56
	s_xor_b64 exec, exec, s[48:49]
	s_cbranch_execnz .LBB298_1017
.LBB298_726:                            ;   in Loop: Header=BB298_13 Depth=1
	s_or_b64 exec, exec, s[48:49]
	s_and_saveexec_b64 s[48:49], s[46:47]
	s_cbranch_execz .LBB298_728
.LBB298_727:                            ;   in Loop: Header=BB298_13 Depth=1
	v_and_b32_e32 v25, 7, v8
	v_ffbh_u32_e32 v20, v25
	v_min_u32_e32 v43, 32, v20
	v_subrev_u32_e32 v20, 28, v43
	v_bfe_u32 v53, v8, 3, 4
	v_lshlrev_b64 v[20:21], v20, v[8:9]
	v_sub_u32_e32 v21, 29, v43
	v_cmp_eq_u32_e32 vcc, 0, v53
	v_and_b32_e32 v20, 7, v20
	v_lshlrev_b32_e32 v8, 8, v8
	v_cndmask_b32_e32 v21, v53, v21, vcc
	v_lshl_add_u32 v21, v21, 10, v23
	v_cndmask_b32_e32 v20, v25, v20, vcc
	v_and_or_b32 v8, v8, s55, v21
	v_lshl_or_b32 v8, v20, 7, v8
	v_cvt_f32_f16_e32 v53, v8
.LBB298_728:                            ;   in Loop: Header=BB298_13 Depth=1
	s_or_b64 exec, exec, s[48:49]
	v_lshrrev_b32_e32 v8, 16, v4
	v_cmp_gt_i16_sdwa s[46:47], v8, s53 src0_sel:BYTE_0 src1_sel:DWORD
	s_mov_b64 vcc, 0
                                        ; implicit-def: $sgpr50
	s_and_saveexec_b64 s[48:49], s[46:47]
	s_xor_b64 s[46:47], exec, s[48:49]
	s_cbranch_execnz .LBB298_1018
; %bb.729:                              ;   in Loop: Header=BB298_13 Depth=1
	s_or_saveexec_b64 s[46:47], s[46:47]
	v_mov_b32_e32 v43, s50
	s_xor_b64 exec, exec, s[46:47]
	s_cbranch_execnz .LBB298_1021
.LBB298_730:                            ;   in Loop: Header=BB298_13 Depth=1
	s_or_b64 exec, exec, s[46:47]
	s_and_saveexec_b64 s[46:47], vcc
	s_cbranch_execz .LBB298_732
.LBB298_731:                            ;   in Loop: Header=BB298_13 Depth=1
	v_bfe_u32 v25, v4, 16, 3
	v_ffbh_u32_e32 v20, v25
	v_min_u32_e32 v46, 32, v20
	v_subrev_u32_e32 v20, 28, v46
	v_bfe_u32 v43, v4, 19, 4
	v_lshlrev_b64 v[20:21], v20, v[8:9]
	v_sub_u32_e32 v21, 29, v46
	v_cmp_eq_u32_e32 vcc, 0, v43
	v_and_b32_e32 v20, 7, v20
	v_lshlrev_b32_e32 v8, 8, v8
	v_cndmask_b32_e32 v21, v43, v21, vcc
	v_lshl_add_u32 v21, v21, 10, v23
	v_cndmask_b32_e32 v20, v25, v20, vcc
	v_and_or_b32 v8, v8, s55, v21
	v_lshl_or_b32 v8, v20, 7, v8
	v_cvt_f32_f16_e32 v43, v8
.LBB298_732:                            ;   in Loop: Header=BB298_13 Depth=1
	s_or_b64 exec, exec, s[46:47]
	v_lshrrev_b32_e32 v8, 24, v4
	v_cmp_lt_i16_e32 vcc, s53, v8
	s_mov_b64 s[46:47], 0
                                        ; implicit-def: $sgpr56
	s_and_saveexec_b64 s[48:49], vcc
	s_xor_b64 s[48:49], exec, s[48:49]
	s_cbranch_execnz .LBB298_1022
; %bb.733:                              ;   in Loop: Header=BB298_13 Depth=1
	s_or_saveexec_b64 s[48:49], s[48:49]
	v_mov_b32_e32 v21, s56
	s_xor_b64 exec, exec, s[48:49]
	s_cbranch_execnz .LBB298_1025
.LBB298_734:                            ;   in Loop: Header=BB298_13 Depth=1
	s_or_b64 exec, exec, s[48:49]
	s_and_saveexec_b64 s[48:49], s[46:47]
	s_cbranch_execz .LBB298_736
.LBB298_735:                            ;   in Loop: Header=BB298_13 Depth=1
	v_bfe_u32 v25, v4, 24, 3
	v_ffbh_u32_e32 v20, v25
	v_min_u32_e32 v46, 32, v20
	v_subrev_u32_e32 v20, 28, v46
	v_bfe_u32 v4, v4, 27, 4
	v_lshlrev_b64 v[20:21], v20, v[8:9]
	v_sub_u32_e32 v21, 29, v46
	v_cmp_eq_u32_e32 vcc, 0, v4
	v_and_b32_e32 v20, 7, v20
	v_lshlrev_b32_e32 v8, 8, v8
	v_cndmask_b32_e32 v4, v4, v21, vcc
	v_lshl_add_u32 v4, v4, 10, v23
	v_cndmask_b32_e32 v20, v25, v20, vcc
	v_and_or_b32 v4, v8, s55, v4
	v_lshl_or_b32 v4, v20, 7, v4
	v_cvt_f32_f16_e32 v21, v4
.LBB298_736:                            ;   in Loop: Header=BB298_13 Depth=1
	s_or_b64 exec, exec, s[48:49]
	flat_load_dword v4, v[48:49] offset:8
	s_mov_b64 vcc, 0
                                        ; implicit-def: $sgpr50
	s_waitcnt vmcnt(0) lgkmcnt(0)
	v_cmp_gt_i16_sdwa s[46:47], v4, s53 src0_sel:BYTE_0 src1_sel:DWORD
	s_and_saveexec_b64 s[48:49], s[46:47]
	s_xor_b64 s[46:47], exec, s[48:49]
	s_cbranch_execnz .LBB298_1026
; %bb.737:                              ;   in Loop: Header=BB298_13 Depth=1
	s_or_saveexec_b64 s[46:47], s[46:47]
	v_mov_b32_e32 v49, s50
	s_xor_b64 exec, exec, s[46:47]
	s_cbranch_execnz .LBB298_1029
.LBB298_738:                            ;   in Loop: Header=BB298_13 Depth=1
	s_or_b64 exec, exec, s[46:47]
	s_and_saveexec_b64 s[46:47], vcc
	s_cbranch_execz .LBB298_740
.LBB298_739:                            ;   in Loop: Header=BB298_13 Depth=1
	v_and_b32_e32 v8, 7, v4
	v_ffbh_u32_e32 v25, v8
	v_bfe_u32 v20, v4, 3, 4
	v_min_u32_e32 v25, 32, v25
	v_subrev_u32_e32 v48, 28, v25
	v_sub_u32_e32 v25, 29, v25
	v_cmp_eq_u32_e32 vcc, 0, v20
	v_lshlrev_b64 v[48:49], v48, v[4:5]
	v_and_b32_e32 v48, 7, v48
	v_cndmask_b32_e32 v20, v20, v25, vcc
	v_lshlrev_b32_e32 v25, 8, v4
	v_lshl_add_u32 v20, v20, 10, v23
	v_cndmask_b32_e32 v8, v8, v48, vcc
	v_and_or_b32 v20, v25, s55, v20
	v_lshl_or_b32 v8, v8, 7, v20
	v_cvt_f32_f16_e32 v49, v8
.LBB298_740:                            ;   in Loop: Header=BB298_13 Depth=1
	s_or_b64 exec, exec, s[46:47]
	v_lshrrev_b16_e32 v8, 8, v4
	v_cmp_lt_i16_e32 vcc, s53, v8
	s_mov_b64 s[46:47], 0
                                        ; implicit-def: $sgpr56
	s_and_saveexec_b64 s[48:49], vcc
	s_xor_b64 s[48:49], exec, s[48:49]
	s_cbranch_execnz .LBB298_1030
; %bb.741:                              ;   in Loop: Header=BB298_13 Depth=1
	s_or_saveexec_b64 s[48:49], s[48:49]
	v_mov_b32_e32 v48, s56
	s_xor_b64 exec, exec, s[48:49]
	s_cbranch_execnz .LBB298_1033
.LBB298_742:                            ;   in Loop: Header=BB298_13 Depth=1
	s_or_b64 exec, exec, s[48:49]
	s_and_saveexec_b64 s[48:49], s[46:47]
	s_cbranch_execz .LBB298_744
.LBB298_743:                            ;   in Loop: Header=BB298_13 Depth=1
	v_and_b32_e32 v20, 7, v8
	v_ffbh_u32_e32 v48, v20
	v_bfe_u32 v25, v8, 3, 4
	v_min_u32_e32 v48, 32, v48
	v_subrev_u32_e32 v46, 28, v48
	v_sub_u32_e32 v48, 29, v48
	v_cmp_eq_u32_e32 vcc, 0, v25
	v_lshlrev_b64 v[46:47], v46, v[8:9]
	v_and_b32_e32 v46, 7, v46
	v_cndmask_b32_e32 v25, v25, v48, vcc
	v_lshlrev_b32_e32 v8, 8, v8
	v_lshl_add_u32 v25, v25, 10, v23
	v_cndmask_b32_e32 v20, v20, v46, vcc
	v_and_or_b32 v8, v8, s55, v25
	v_lshl_or_b32 v8, v20, 7, v8
	v_cvt_f32_f16_e32 v48, v8
.LBB298_744:                            ;   in Loop: Header=BB298_13 Depth=1
	s_or_b64 exec, exec, s[48:49]
	v_lshrrev_b32_e32 v8, 16, v4
	v_cmp_gt_i16_sdwa s[46:47], v8, s53 src0_sel:BYTE_0 src1_sel:DWORD
	s_mov_b64 vcc, 0
                                        ; implicit-def: $sgpr50
	s_and_saveexec_b64 s[48:49], s[46:47]
	s_xor_b64 s[46:47], exec, s[48:49]
	s_cbranch_execnz .LBB298_1034
; %bb.745:                              ;   in Loop: Header=BB298_13 Depth=1
	s_or_saveexec_b64 s[46:47], s[46:47]
	v_mov_b32_e32 v20, s50
	s_xor_b64 exec, exec, s[46:47]
	s_cbranch_execnz .LBB298_1037
.LBB298_746:                            ;   in Loop: Header=BB298_13 Depth=1
	s_or_b64 exec, exec, s[46:47]
	s_and_saveexec_b64 s[46:47], vcc
	s_cbranch_execz .LBB298_748
.LBB298_747:                            ;   in Loop: Header=BB298_13 Depth=1
	v_bfe_u32 v20, v4, 16, 3
	v_ffbh_u32_e32 v46, v20
	v_accvgpr_write_b32 a58, v57
	v_min_u32_e32 v57, 32, v46
	v_subrev_u32_e32 v46, 28, v57
	v_bfe_u32 v25, v4, 19, 4
	v_lshlrev_b64 v[46:47], v46, v[8:9]
	v_sub_u32_e32 v47, 29, v57
	v_cmp_eq_u32_e32 vcc, 0, v25
	v_and_b32_e32 v46, 7, v46
	v_lshlrev_b32_e32 v8, 8, v8
	v_cndmask_b32_e32 v25, v25, v47, vcc
	v_lshl_add_u32 v25, v25, 10, v23
	v_cndmask_b32_e32 v20, v20, v46, vcc
	v_and_or_b32 v8, v8, s55, v25
	v_lshl_or_b32 v8, v20, 7, v8
	v_cvt_f32_f16_e32 v20, v8
	v_accvgpr_read_b32 v57, a58
.LBB298_748:                            ;   in Loop: Header=BB298_13 Depth=1
	s_or_b64 exec, exec, s[46:47]
	v_lshrrev_b32_e32 v8, 24, v4
	v_cmp_lt_i16_e32 vcc, s53, v8
	s_mov_b64 s[46:47], 0
                                        ; implicit-def: $sgpr56
	s_and_saveexec_b64 s[48:49], vcc
	s_xor_b64 s[48:49], exec, s[48:49]
	s_cbranch_execnz .LBB298_1038
; %bb.749:                              ;   in Loop: Header=BB298_13 Depth=1
	s_or_saveexec_b64 s[48:49], s[48:49]
	v_mov_b32_e32 v25, s56
	s_xor_b64 exec, exec, s[48:49]
	s_cbranch_execnz .LBB298_1041
.LBB298_750:                            ;   in Loop: Header=BB298_13 Depth=1
	s_or_b64 exec, exec, s[48:49]
	s_and_saveexec_b64 s[48:49], s[46:47]
	s_cbranch_execz .LBB298_752
.LBB298_751:                            ;   in Loop: Header=BB298_13 Depth=1
	v_bfe_u32 v25, v4, 24, 3
	v_ffbh_u32_e32 v46, v25
	v_accvgpr_write_b32 a58, v57
	v_min_u32_e32 v57, 32, v46
	v_subrev_u32_e32 v46, 28, v57
	v_bfe_u32 v4, v4, 27, 4
	v_lshlrev_b64 v[46:47], v46, v[8:9]
	v_sub_u32_e32 v47, 29, v57
	v_cmp_eq_u32_e32 vcc, 0, v4
	v_and_b32_e32 v46, 7, v46
	v_lshlrev_b32_e32 v8, 8, v8
	v_cndmask_b32_e32 v4, v4, v47, vcc
	v_lshl_add_u32 v4, v4, 10, v23
	v_cndmask_b32_e32 v25, v25, v46, vcc
	v_and_or_b32 v4, v8, s55, v4
	v_lshl_or_b32 v4, v25, 7, v4
	v_cvt_f32_f16_e32 v25, v4
	v_accvgpr_read_b32 v57, a58
.LBB298_752:                            ;   in Loop: Header=BB298_13 Depth=1
	s_or_b64 exec, exec, s[48:49]
	v_fma_mixlo_f16 v0, v5, v0, 0
	v_accvgpr_write_b32 a22, v0
	v_fma_mixlo_f16 v0, v5, v36, 0
	v_accvgpr_write_b32 a20, v0
	;; [unrolled: 2-line block ×21, first 2 shown]
	scratch_load_dword v0, off, s32 offset:488 ; 4-byte Folded Reload
	v_fma_mixlo_f16 v3, v5, v3, 0
	v_accvgpr_write_b32 a26, v3
	v_fma_mixlo_f16 v3, v5, v34, 0
	v_accvgpr_write_b32 a48, v3
	v_fma_mixlo_f16 v3, v5, v39, 0
	v_fma_mixlo_f16 v4, v5, v53, 0
	scratch_store_dword off, v4, s32 offset:572 ; 4-byte Folded Spill
	v_fma_mixlo_f16 v4, v5, v41, 0
	scratch_store_dword off, v4, s32 offset:576 ; 4-byte Folded Spill
	;; [unrolled: 2-line block ×5, first 2 shown]
	v_fma_mixlo_f16 v4, v5, v50, 0
	v_accvgpr_write_b32 a58, v3
	v_fma_mixlo_f16 v3, v5, v11, 0
	v_fma_mixlo_f16 v1, v5, v1, 0
	v_accvgpr_write_b32 a24, v1
	v_fma_mixlo_f16 v1, v5, v12, 0
	scratch_store_dword off, v4, s32 offset:592 ; 4-byte Folded Spill
	v_fma_mixlo_f16 v4, v5, v17, 0
	scratch_store_dword off, v4, s32 offset:584 ; 4-byte Folded Spill
	;; [unrolled: 2-line block ×3, first 2 shown]
	v_fma_mixlo_f16 v4, v5, v19, 0
	v_accvgpr_write_b32 a35, v3
	v_fma_mixlo_f16 v3, v5, v44, 0
	v_accvgpr_write_b32 a37, v3
	v_accvgpr_write_b32 a36, v4
	;; [unrolled: 1-line block ×3, first 2 shown]
	v_fma_mixlo_f16 v1, v5, v54, 0
	v_accvgpr_write_b32 a42, v1
	v_fma_mixlo_f16 v1, v5, v15, 0
	v_accvgpr_write_b32 a23, v1
	;; [unrolled: 2-line block ×7, first 2 shown]
	v_fma_mixlo_f16 v27, v5, v18, 0
	v_fma_mixlo_f16 v56, v5, v30, 0
	;; [unrolled: 1-line block ×8, first 2 shown]
	v_and_b32_e32 v22, 0xffff, v22
	scratch_load_dword v6, off, s32 offset:536 ; 4-byte Folded Reload
	scratch_load_dword v18, off, s32 offset:520 ; 4-byte Folded Reload
	;; [unrolled: 1-line block ×4, first 2 shown]
	s_waitcnt vmcnt(12)
	v_fma_mixlo_f16 v0, v5, v0, 0
	v_accvgpr_write_b32 a15, v0
	scratch_load_dword v0, off, s32 offset:484 ; 4-byte Folded Reload
	s_waitcnt vmcnt(4)
	v_fma_mixlo_f16 v44, v5, v6, 0
	scratch_load_dword v6, off, s32 offset:316 ; 4-byte Folded Reload
	s_waitcnt vmcnt(3)
	v_fma_mixlo_f16 v32, v5, v7, 0
	scratch_load_dword v7, off, s32 offset:528 ; 4-byte Folded Reload
	v_fma_mixlo_f16 v31, v5, v18, 0
	scratch_load_dword v18, off, s32 offset:516 ; 4-byte Folded Reload
	s_waitcnt vmcnt(4)
	v_fma_mixlo_f16 v57, v5, v21, 0
	v_fma_mixlo_f16 v21, v5, v59, 0
	s_waitcnt vmcnt(3)
	v_fma_mixlo_f16 v0, v5, v0, 0
	v_accvgpr_write_b32 a14, v0
	v_accvgpr_read_b32 v0, a0
	v_fma_mixlo_f16 v0, v5, v0, 0
	v_accvgpr_write_b32 a16, v0
	v_fma_mixlo_f16 v0, v5, v29, 0
	v_accvgpr_write_b32 a29, v0
	scratch_load_dword v0, off, s32 offset:472 ; 4-byte Folded Reload
	s_waitcnt vmcnt(2)
	v_fma_mixlo_f16 v33, v5, v7, 0
	scratch_load_dword v7, off, s32 offset:292 ; 4-byte Folded Reload
	v_fma_mixlo_f16 v15, v5, v6, 0
	scratch_load_dword v6, off, s32 offset:320 ; 4-byte Folded Reload
	s_waitcnt vmcnt(3)
	v_fma_mixlo_f16 v24, v5, v18, 0
	scratch_load_dword v18, off, s32 offset:272 ; 4-byte Folded Reload
	v_and_b32_e32 v24, 0xffff, v24
	scratch_store_dword off, v20, s32 offset:272 ; 4-byte Folded Spill
	s_waitcnt vmcnt(4)
	v_fma_mixlo_f16 v0, v5, v0, 0
	v_accvgpr_write_b32 a12, v0
	scratch_load_dword v0, off, s32 offset:468 ; 4-byte Folded Reload
	s_waitcnt vmcnt(4)
	v_fma_mixlo_f16 v13, v5, v7, 0
	scratch_load_dword v7, off, s32 offset:296 ; 4-byte Folded Reload
	s_waitcnt vmcnt(4)
	v_fma_mixlo_f16 v10, v5, v6, 0
	;; [unrolled: 3-line block ×3, first 2 shown]
	scratch_load_dword v18, off, s32 offset:512 ; 4-byte Folded Reload
	v_and_b32_e32 v13, 0xffff, v13
	s_waitcnt vmcnt(3)
	v_fma_mixlo_f16 v0, v5, v0, 0
	v_accvgpr_write_b32 a46, v0
	scratch_load_dword v0, off, s32 offset:476 ; 4-byte Folded Reload
	s_waitcnt vmcnt(3)
	v_fma_mixlo_f16 v47, v5, v7, 0
	scratch_load_dword v7, off, s32 offset:276 ; 4-byte Folded Reload
	s_waitcnt vmcnt(3)
	v_fma_mixlo_f16 v45, v5, v6, 0
	;; [unrolled: 3-line block ×3, first 2 shown]
	scratch_store_dword off, v30, s32 offset:276 ; 4-byte Folded Spill
	v_fma_mixlo_f16 v30, v5, v49, 0
	v_and_b32_e32 v18, 0xffff, v18
	s_waitcnt vmcnt(3)
	v_fma_mixlo_f16 v0, v5, v0, 0
	v_accvgpr_write_b32 a13, v0
	scratch_load_dword v0, off, s32 offset:480 ; 4-byte Folded Reload
	s_waitcnt vmcnt(3)
	v_fma_mixlo_f16 v26, v5, v7, 0
	scratch_load_dword v7, off, s32 offset:524 ; 4-byte Folded Reload
	s_waitcnt vmcnt(3)
	v_fma_mixlo_f16 v54, v5, v6, 0
	;; [unrolled: 3-line block ×3, first 2 shown]
	v_accvgpr_write_b32 a27, v0
	scratch_load_dword v0, off, s32 offset:464 ; 4-byte Folded Reload
	s_waitcnt vmcnt(2)
	v_fma_mixlo_f16 v53, v5, v7, 0
	scratch_load_dword v7, off, s32 offset:280 ; 4-byte Folded Reload
	s_waitcnt vmcnt(2)
	v_fma_mixlo_f16 v35, v5, v6, 0
	;; [unrolled: 3-line block ×3, first 2 shown]
	v_accvgpr_write_b32 a51, v0
	scratch_load_dword v0, off, s32 offset:460 ; 4-byte Folded Reload
	s_waitcnt vmcnt(2)
	v_fma_mixlo_f16 v42, v5, v7, 0
	scratch_store_dword off, v30, s32 offset:280 ; 4-byte Folded Spill
	scratch_load_dword v30, off, s32 offset:612 ; 4-byte Folded Reload
	s_waitcnt vmcnt(2)
	v_fma_mixlo_f16 v0, v5, v0, 0
	v_accvgpr_write_b32 a55, v0
	v_accvgpr_read_b32 v0, a45
	v_fma_mixlo_f16 v0, v5, v0, 0
	v_accvgpr_write_b32 a45, v0
	v_accvgpr_read_b32 v0, a47
	v_fma_mixlo_f16 v0, v5, v0, 0
	v_accvgpr_write_b32 a47, v0
	scratch_load_dword v0, off, s32 offset:448 ; 4-byte Folded Reload
	scratch_load_dword v7, off, s32 offset:284 ; 4-byte Folded Reload
	v_fma_mixlo_f16 v6, v5, v6, 0
	v_and_b32_e32 v6, 0xffff, v6
	s_waitcnt vmcnt(2)
	ds_read_b64 v[48:49], v30
	s_waitcnt lgkmcnt(0)
	v_and_b32_e32 v20, 0xffff, v48
	s_waitcnt vmcnt(1)
	v_fma_mixlo_f16 v0, v5, v0, 0
	v_accvgpr_write_b32 a57, v0
	scratch_load_dword v0, off, s32 offset:444 ; 4-byte Folded Reload
	s_waitcnt vmcnt(1)
	v_fma_mixlo_f16 v7, v5, v7, 0
	v_and_b32_e32 v7, 0xffff, v7
	s_waitcnt vmcnt(0)
	v_fma_mixlo_f16 v0, v5, v0, 0
	v_accvgpr_write_b32 a56, v0
	scratch_load_dword v0, off, s32 offset:452 ; 4-byte Folded Reload
	s_waitcnt vmcnt(0)
	v_fma_mixlo_f16 v0, v5, v0, 0
	v_accvgpr_write_b32 a53, v0
	scratch_load_dword v0, off, s32 offset:456 ; 4-byte Folded Reload
	;; [unrolled: 4-line block ×15, first 2 shown]
	s_waitcnt vmcnt(0)
	v_fma_mixlo_f16 v39, v5, v0, 0
	scratch_load_dword v0, off, s32 offset:388 ; 4-byte Folded Reload
	s_waitcnt vmcnt(0)
	v_fma_mixlo_f16 v34, v5, v0, 0
	scratch_load_dword v0, off, s32 offset:396 ; 4-byte Folded Reload
	;; [unrolled: 3-line block ×20, first 2 shown]
	v_and_b32_e32 v2, 0xffff, v2
	s_waitcnt vmcnt(0)
	v_fma_mixlo_f16 v41, v5, v0, 0
	scratch_load_dword v0, off, s32 offset:540 ; 4-byte Folded Reload
	s_waitcnt vmcnt(0)
	v_fma_mixlo_f16 v52, v5, v0, 0
	scratch_load_dword v0, off, s32 offset:328 ; 4-byte Folded Reload
	;; [unrolled: 3-line block ×4, first 2 shown]
	s_waitcnt vmcnt(0)
	v_fma_mixlo_f16 v0, v5, v0, 0
	v_fma_mixlo_f16 v5, v5, v25, 0
	scratch_store_dword off, v5, s32 offset:268 ; 4-byte Folded Spill
	v_lshrrev_b32_e32 v5, 16, v48
	;;#ASMSTART
	v_cvt_f32_f16 v25, v20;
	;;#ASMEND
	v_and_b32_e32 v20, 0xffff, v58
	v_and_b32_e32 v0, 0xffff, v0
	;;#ASMSTART
	v_cvt_f32_f16 v5, v5;
	;;#ASMEND
	;;#ASMSTART
	v_cvt_f32_f16 v18, v18;
	;;#ASMEND
	;; [unrolled: 3-line block ×3, first 2 shown]
	v_lshrrev_b32_e32 v20, 16, v49
	v_and_b32_e32 v49, 0xffff, v49
	;;#ASMSTART
	v_cvt_f32_f16 v49, v49;
	;;#ASMEND
	;;#ASMSTART
	v_cvt_f32_f16 v58, v20;
	;;#ASMEND
	v_and_b32_e32 v20, 0xffff, v57
	;;#ASMSTART
	v_cvt_f32_f16 v57, v20;
	;;#ASMEND
	v_and_b32_e32 v20, 0xffff, v21
	;;#ASMSTART
	v_cvt_f32_f16 v62, v20;
	;;#ASMEND
	ds_read_b64 v[20:21], v30 offset:8
	s_waitcnt lgkmcnt(0)
	v_lshrrev_b32_e32 v59, 16, v20
	v_and_b32_e32 v20, 0xffff, v20
	;;#ASMSTART
	v_cvt_f32_f16 v20, v20;
	;;#ASMEND
	;;#ASMSTART
	v_cvt_f32_f16 v59, v59;
	;;#ASMEND
	;; [unrolled: 3-line block ×4, first 2 shown]
	s_nop 0
	v_mul_f32_e32 v22, v20, v24
	v_mul_f32_e32 v24, v59, v60
	v_fmac_f32_e32 v22, v25, v18
	v_and_b32_e32 v18, 0xffff, v21
	v_and_b32_e32 v20, 0xffff, v56
	;; [unrolled: 1-line block ×3, first 2 shown]
	v_fmac_f32_e32 v24, v5, v48
	v_lshrrev_b32_e32 v5, 16, v21
	v_and_b32_e32 v21, 0xffff, v55
	;;#ASMSTART
	v_cvt_f32_f16 v18, v18;
	;;#ASMEND
	;;#ASMSTART
	v_cvt_f32_f16 v5, v5;
	;;#ASMEND
	;; [unrolled: 3-line block ×4, first 2 shown]
	s_nop 0
	v_mul_f32_e32 v55, v18, v20
	v_mul_f32_e32 v56, v5, v21
	ds_read_b64 v[20:21], v30 offset:16
	v_fmac_f32_e32 v55, v49, v57
	v_fmac_f32_e32 v56, v58, v62
	s_waitcnt lgkmcnt(0)
	v_lshrrev_b32_e32 v5, 16, v20
	v_and_b32_e32 v18, 0xffff, v20
	v_and_b32_e32 v20, 0xffff, v31
	;;#ASMSTART
	v_cvt_f32_f16 v18, v18;
	;;#ASMEND
	;;#ASMSTART
	v_cvt_f32_f16 v5, v5;
	;;#ASMEND
	;; [unrolled: 3-line block ×4, first 2 shown]
	s_nop 0
	v_fmac_f32_e32 v22, v18, v20
	v_fmac_f32_e32 v24, v5, v25
	v_lshrrev_b32_e32 v5, 16, v21
	v_and_b32_e32 v18, 0xffff, v21
	v_and_b32_e32 v20, 0xffff, v61
	;; [unrolled: 1-line block ×4, first 2 shown]
	;;#ASMSTART
	v_cvt_f32_f16 v18, v18;
	;;#ASMEND
	;;#ASMSTART
	v_cvt_f32_f16 v5, v5;
	;;#ASMEND
	;; [unrolled: 3-line block ×4, first 2 shown]
	s_nop 0
	v_fmac_f32_e32 v55, v18, v20
	v_fmac_f32_e32 v56, v5, v21
	ds_read_b64 v[20:21], v30 offset:24
	s_waitcnt lgkmcnt(0)
	v_lshrrev_b32_e32 v5, 16, v20
	v_and_b32_e32 v18, 0xffff, v20
	v_and_b32_e32 v20, 0xffff, v53
	;;#ASMSTART
	v_cvt_f32_f16 v18, v18;
	;;#ASMEND
	;;#ASMSTART
	v_cvt_f32_f16 v5, v5;
	;;#ASMEND
	;; [unrolled: 3-line block ×4, first 2 shown]
	s_nop 0
	v_fmac_f32_e32 v22, v18, v20
	v_fmac_f32_e32 v24, v5, v25
	v_lshrrev_b32_e32 v5, 16, v21
	v_and_b32_e32 v18, 0xffff, v21
	v_and_b32_e32 v20, 0xffff, v42
	;;#ASMSTART
	v_cvt_f32_f16 v18, v18;
	;;#ASMEND
	;;#ASMSTART
	v_cvt_f32_f16 v5, v5;
	;;#ASMEND
	;;#ASMSTART
	v_cvt_f32_f16 v20, v20;
	;;#ASMEND
	;;#ASMSTART
	v_cvt_f32_f16 v7, v7;
	;;#ASMEND
	s_nop 0
	v_fmac_f32_e32 v55, v18, v20
	v_fmac_f32_e32 v56, v5, v7
	ds_read_b64 v[20:21], v30 offset:32
	v_and_b32_e32 v18, 0xffff, v33
	s_waitcnt lgkmcnt(0)
	v_lshrrev_b32_e32 v5, 16, v20
	v_and_b32_e32 v7, 0xffff, v20
	v_and_b32_e32 v20, 0xffff, v32
	;;#ASMSTART
	v_cvt_f32_f16 v7, v7;
	;;#ASMEND
	;;#ASMSTART
	v_cvt_f32_f16 v5, v5;
	;;#ASMEND
	;;#ASMSTART
	v_cvt_f32_f16 v18, v18;
	;;#ASMEND
	;;#ASMSTART
	v_cvt_f32_f16 v20, v20;
	;;#ASMEND
	s_nop 0
	v_fmac_f32_e32 v22, v7, v18
	v_fmac_f32_e32 v24, v5, v20
	v_lshrrev_b32_e32 v5, 16, v21
	v_and_b32_e32 v7, 0xffff, v21
	v_and_b32_e32 v18, 0xffff, v47
	;;#ASMSTART
	v_cvt_f32_f16 v7, v7;
	;;#ASMEND
	;;#ASMSTART
	v_cvt_f32_f16 v5, v5;
	;;#ASMEND
	;; [unrolled: 3-line block ×4, first 2 shown]
	ds_read_b64 v[20:21], v30 offset:40
	v_fmac_f32_e32 v55, v7, v13
	v_fmac_f32_e32 v56, v5, v18
	v_and_b32_e32 v13, 0xffff, v54
	v_and_b32_e32 v18, 0xffff, v45
	s_waitcnt lgkmcnt(0)
	v_lshrrev_b32_e32 v5, 16, v20
	v_and_b32_e32 v7, 0xffff, v20
	;;#ASMSTART
	v_cvt_f32_f16 v7, v7;
	;;#ASMEND
	;;#ASMSTART
	v_cvt_f32_f16 v5, v5;
	;;#ASMEND
	;; [unrolled: 3-line block ×4, first 2 shown]
	s_nop 0
	v_fmac_f32_e32 v22, v7, v13
	v_fmac_f32_e32 v24, v5, v18
	v_lshrrev_b32_e32 v5, 16, v21
	v_and_b32_e32 v7, 0xffff, v21
	v_and_b32_e32 v13, 0xffff, v35
	;;#ASMSTART
	v_cvt_f32_f16 v7, v7;
	;;#ASMEND
	;;#ASMSTART
	v_cvt_f32_f16 v5, v5;
	;;#ASMEND
	;;#ASMSTART
	v_cvt_f32_f16 v13, v13;
	;;#ASMEND
	;;#ASMSTART
	v_cvt_f32_f16 v6, v6;
	;;#ASMEND
	s_nop 0
	v_fmac_f32_e32 v55, v7, v13
	v_fmac_f32_e32 v56, v5, v6
	ds_read_b64 v[6:7], v30 offset:48
	v_and_b32_e32 v13, 0xffff, v44
	s_waitcnt lgkmcnt(0)
	v_lshrrev_b32_e32 v5, 16, v6
	v_and_b32_e32 v6, 0xffff, v6
	;;#ASMSTART
	v_cvt_f32_f16 v6, v6;
	;;#ASMEND
	;;#ASMSTART
	v_cvt_f32_f16 v5, v5;
	;;#ASMEND
	;; [unrolled: 3-line block ×4, first 2 shown]
	s_nop 0
	v_fmac_f32_e32 v22, v6, v13
	v_fmac_f32_e32 v24, v5, v0
	v_lshrrev_b32_e32 v0, 16, v7
	v_and_b32_e32 v5, 0xffff, v7
	v_and_b32_e32 v6, 0xffff, v15
	;; [unrolled: 1-line block ×4, first 2 shown]
	;;#ASMSTART
	v_cvt_f32_f16 v5, v5;
	;;#ASMEND
	;;#ASMSTART
	v_cvt_f32_f16 v0, v0;
	;;#ASMEND
	;; [unrolled: 3-line block ×4, first 2 shown]
	s_nop 0
	v_fmac_f32_e32 v55, v5, v6
	v_fmac_f32_e32 v56, v0, v7
	ds_read_b64 v[6:7], v30 offset:56
	s_waitcnt lgkmcnt(0)
	v_lshrrev_b32_e32 v0, 16, v6
	v_and_b32_e32 v5, 0xffff, v6
	v_and_b32_e32 v6, 0xffff, v52
	;;#ASMSTART
	v_cvt_f32_f16 v5, v5;
	;;#ASMEND
	;;#ASMSTART
	v_cvt_f32_f16 v0, v0;
	;;#ASMEND
	;; [unrolled: 3-line block ×4, first 2 shown]
	s_nop 0
	v_fmac_f32_e32 v22, v5, v6
	v_fmac_f32_e32 v24, v0, v10
	v_lshrrev_b32_e32 v0, 16, v7
	v_and_b32_e32 v5, 0xffff, v7
	v_and_b32_e32 v6, 0xffff, v17
	;; [unrolled: 1-line block ×7, first 2 shown]
	;;#ASMSTART
	v_cvt_f32_f16 v5, v5;
	;;#ASMEND
	;;#ASMSTART
	v_cvt_f32_f16 v0, v0;
	;;#ASMEND
	;; [unrolled: 3-line block ×4, first 2 shown]
	s_nop 0
	v_fmac_f32_e32 v55, v5, v6
	v_fmac_f32_e32 v56, v0, v7
	ds_read_b64 v[6:7], v30 offset:64
	s_waitcnt lgkmcnt(0)
	v_lshrrev_b32_e32 v0, 16, v6
	v_and_b32_e32 v5, 0xffff, v6
	v_and_b32_e32 v6, 0xffff, v36
	;;#ASMSTART
	v_cvt_f32_f16 v5, v5;
	;;#ASMEND
	;;#ASMSTART
	v_cvt_f32_f16 v0, v0;
	;;#ASMEND
	;; [unrolled: 3-line block ×4, first 2 shown]
	s_nop 0
	v_fmac_f32_e32 v22, v5, v6
	v_fmac_f32_e32 v24, v0, v10
	v_lshrrev_b32_e32 v0, 16, v7
	v_and_b32_e32 v5, 0xffff, v7
	v_and_b32_e32 v6, 0xffff, v14
	;;#ASMSTART
	v_cvt_f32_f16 v5, v5;
	;;#ASMEND
	;;#ASMSTART
	v_cvt_f32_f16 v0, v0;
	;;#ASMEND
	;; [unrolled: 3-line block ×4, first 2 shown]
	s_nop 0
	v_fmac_f32_e32 v55, v5, v6
	v_fmac_f32_e32 v56, v0, v2
	ds_read_b64 v[6:7], v30 offset:72
	v_and_b32_e32 v5, 0xffff, v43
	s_waitcnt lgkmcnt(0)
	v_lshrrev_b32_e32 v0, 16, v6
	v_and_b32_e32 v2, 0xffff, v6
	v_and_b32_e32 v6, 0xffff, v40
	;;#ASMSTART
	v_cvt_f32_f16 v2, v2;
	;;#ASMEND
	;;#ASMSTART
	v_cvt_f32_f16 v0, v0;
	;;#ASMEND
	;;#ASMSTART
	v_cvt_f32_f16 v5, v5;
	;;#ASMEND
	;;#ASMSTART
	v_cvt_f32_f16 v6, v6;
	;;#ASMEND
	s_nop 0
	v_fmac_f32_e32 v22, v2, v5
	v_fmac_f32_e32 v24, v0, v6
	v_lshrrev_b32_e32 v0, 16, v7
	v_and_b32_e32 v2, 0xffff, v7
	v_and_b32_e32 v5, 0xffff, v16
	;; [unrolled: 1-line block ×3, first 2 shown]
	;;#ASMSTART
	v_cvt_f32_f16 v2, v2;
	;;#ASMEND
	;;#ASMSTART
	v_cvt_f32_f16 v0, v0;
	;;#ASMEND
	;; [unrolled: 3-line block ×4, first 2 shown]
	s_nop 0
	v_fmac_f32_e32 v56, v0, v6
	v_fmac_f32_e32 v55, v2, v5
	ds_read_b64 v[6:7], v30 offset:80
	v_and_b32_e32 v5, 0xffff, v38
	s_waitcnt lgkmcnt(0)
	v_lshrrev_b32_e32 v0, 16, v6
	v_and_b32_e32 v2, 0xffff, v6
	v_and_b32_e32 v6, 0xffff, v28
	;;#ASMSTART
	v_cvt_f32_f16 v2, v2;
	;;#ASMEND
	;;#ASMSTART
	v_cvt_f32_f16 v0, v0;
	;;#ASMEND
	;; [unrolled: 3-line block ×4, first 2 shown]
	s_nop 0
	v_fmac_f32_e32 v22, v2, v5
	v_fmac_f32_e32 v24, v0, v6
	v_lshrrev_b32_e32 v0, 16, v7
	v_and_b32_e32 v2, 0xffff, v7
	;;#ASMSTART
	v_cvt_f32_f16 v2, v2;
	;;#ASMEND
	;;#ASMSTART
	v_cvt_f32_f16 v0, v0;
	;;#ASMEND
	;; [unrolled: 3-line block ×4, first 2 shown]
	ds_read_b64 v[6:7], v30 offset:88
	v_fmac_f32_e32 v55, v2, v1
	v_fmac_f32_e32 v56, v0, v3
	v_and_b32_e32 v2, 0xffff, v8
	v_and_b32_e32 v3, 0xffff, v11
	s_waitcnt lgkmcnt(0)
	v_lshrrev_b32_e32 v0, 16, v6
	v_and_b32_e32 v1, 0xffff, v6
	;;#ASMSTART
	v_cvt_f32_f16 v1, v1;
	;;#ASMEND
	;;#ASMSTART
	v_cvt_f32_f16 v0, v0;
	;;#ASMEND
	;; [unrolled: 3-line block ×4, first 2 shown]
	s_nop 0
	v_fmac_f32_e32 v22, v1, v2
	v_fmac_f32_e32 v24, v0, v3
	v_lshrrev_b32_e32 v0, 16, v7
	v_and_b32_e32 v1, 0xffff, v7
	v_and_b32_e32 v2, 0xffff, v12
	;; [unrolled: 1-line block ×3, first 2 shown]
	;;#ASMSTART
	v_cvt_f32_f16 v1, v1;
	;;#ASMEND
	;;#ASMSTART
	v_cvt_f32_f16 v0, v0;
	;;#ASMEND
	;; [unrolled: 3-line block ×4, first 2 shown]
	s_nop 0
	v_fmac_f32_e32 v55, v1, v2
	v_fmac_f32_e32 v56, v0, v3
	ds_read_b64 v[0:1], v30 offset:96
	v_and_b32_e32 v3, 0xffff, v34
	s_waitcnt lgkmcnt(0)
	v_lshrrev_b32_e32 v2, 16, v0
	v_and_b32_e32 v0, 0xffff, v0
	;;#ASMSTART
	v_cvt_f32_f16 v0, v0;
	;;#ASMEND
	;;#ASMSTART
	v_cvt_f32_f16 v2, v2;
	;;#ASMEND
	;; [unrolled: 3-line block ×4, first 2 shown]
	s_nop 0
	v_fmac_f32_e32 v22, v0, v3
	v_fmac_f32_e32 v24, v2, v4
	v_lshrrev_b32_e32 v0, 16, v1
	v_and_b32_e32 v1, 0xffff, v1
	v_and_b32_e32 v2, 0xffff, v50
	;; [unrolled: 1-line block ×3, first 2 shown]
	v_accvgpr_read_b32 v4, a1
	;;#ASMSTART
	v_cvt_f32_f16 v1, v1;
	;;#ASMEND
	;;#ASMSTART
	v_cvt_f32_f16 v0, v0;
	;;#ASMEND
	;; [unrolled: 3-line block ×4, first 2 shown]
	v_and_b32_e32 v4, 0xffff, v4
	v_fmac_f32_e32 v55, v1, v2
	v_fmac_f32_e32 v56, v0, v3
	ds_read_b64 v[0:1], v30 offset:104
	v_accvgpr_read_b32 v3, a0
	v_and_b32_e32 v3, 0xffff, v3
	s_waitcnt lgkmcnt(0)
	v_lshrrev_b32_e32 v2, 16, v0
	v_and_b32_e32 v0, 0xffff, v0
	;;#ASMSTART
	v_cvt_f32_f16 v0, v0;
	;;#ASMEND
	;;#ASMSTART
	v_cvt_f32_f16 v2, v2;
	;;#ASMEND
	;;#ASMSTART
	v_cvt_f32_f16 v3, v3;
	;;#ASMEND
	;;#ASMSTART
	v_cvt_f32_f16 v4, v4;
	;;#ASMEND
	s_nop 0
	v_fmac_f32_e32 v22, v0, v3
	v_fmac_f32_e32 v24, v2, v4
	v_lshrrev_b32_e32 v0, 16, v1
	v_and_b32_e32 v1, 0xffff, v1
	v_accvgpr_read_b32 v2, a2
	v_accvgpr_read_b32 v3, a3
	v_accvgpr_read_b32 v4, a5
	;;#ASMSTART
	v_cvt_f32_f16 v1, v1;
	;;#ASMEND
	;;#ASMSTART
	v_cvt_f32_f16 v0, v0;
	;;#ASMEND
	v_and_b32_e32 v2, 0xffff, v2
	v_and_b32_e32 v3, 0xffff, v3
	v_and_b32_e32 v4, 0xffff, v4
	;;#ASMSTART
	v_cvt_f32_f16 v2, v2;
	;;#ASMEND
	;;#ASMSTART
	v_cvt_f32_f16 v3, v3;
	;;#ASMEND
	s_nop 0
	v_fmac_f32_e32 v55, v1, v2
	v_fmac_f32_e32 v56, v0, v3
	ds_read_b64 v[0:1], v30 offset:112
	v_accvgpr_read_b32 v3, a4
	v_and_b32_e32 v3, 0xffff, v3
	s_waitcnt lgkmcnt(0)
	v_lshrrev_b32_e32 v2, 16, v0
	v_and_b32_e32 v0, 0xffff, v0
	;;#ASMSTART
	v_cvt_f32_f16 v0, v0;
	;;#ASMEND
	;;#ASMSTART
	v_cvt_f32_f16 v2, v2;
	;;#ASMEND
	;;#ASMSTART
	v_cvt_f32_f16 v3, v3;
	;;#ASMEND
	;;#ASMSTART
	v_cvt_f32_f16 v4, v4;
	;;#ASMEND
	s_nop 0
	v_fmac_f32_e32 v22, v0, v3
	v_fmac_f32_e32 v24, v2, v4
	v_lshrrev_b32_e32 v0, 16, v1
	v_and_b32_e32 v1, 0xffff, v1
	v_accvgpr_read_b32 v2, a6
	v_accvgpr_read_b32 v3, a7
	v_accvgpr_read_b32 v4, a9
	;;#ASMSTART
	v_cvt_f32_f16 v1, v1;
	;;#ASMEND
	;;#ASMSTART
	v_cvt_f32_f16 v0, v0;
	;;#ASMEND
	v_and_b32_e32 v2, 0xffff, v2
	v_and_b32_e32 v3, 0xffff, v3
	v_and_b32_e32 v4, 0xffff, v4
	;;#ASMSTART
	v_cvt_f32_f16 v2, v2;
	;;#ASMEND
	;;#ASMSTART
	v_cvt_f32_f16 v3, v3;
	;;#ASMEND
	s_nop 0
	;; [unrolled: 44-line block ×5, first 2 shown]
	v_fmac_f32_e32 v55, v1, v2
	v_fmac_f32_e32 v56, v0, v3
	ds_read_b64 v[0:1], v30 offset:144
	v_accvgpr_read_b32 v3, a46
	v_and_b32_e32 v3, 0xffff, v3
	s_waitcnt lgkmcnt(0)
	v_lshrrev_b32_e32 v2, 16, v0
	v_and_b32_e32 v0, 0xffff, v0
	;;#ASMSTART
	v_cvt_f32_f16 v0, v0;
	;;#ASMEND
	;;#ASMSTART
	v_cvt_f32_f16 v2, v2;
	;;#ASMEND
	;; [unrolled: 3-line block ×4, first 2 shown]
	s_nop 0
	v_fmac_f32_e32 v22, v0, v3
	v_fmac_f32_e32 v24, v2, v4
	v_accvgpr_read_b32 v2, a13
	v_accvgpr_read_b32 v3, a27
	v_lshrrev_b32_e32 v0, 16, v1
	v_and_b32_e32 v1, 0xffff, v1
	v_and_b32_e32 v2, 0xffff, v2
	;; [unrolled: 1-line block ×3, first 2 shown]
	;;#ASMSTART
	v_cvt_f32_f16 v1, v1;
	;;#ASMEND
	;;#ASMSTART
	v_cvt_f32_f16 v0, v0;
	;;#ASMEND
	;; [unrolled: 3-line block ×4, first 2 shown]
	ds_read_b64 v[4:5], v30 offset:152
	v_fmac_f32_e32 v55, v1, v2
	v_fmac_f32_e32 v56, v0, v3
	v_accvgpr_read_b32 v2, a14
	v_accvgpr_read_b32 v3, a15
	v_and_b32_e32 v2, 0xffff, v2
	v_and_b32_e32 v3, 0xffff, v3
	s_waitcnt lgkmcnt(0)
	v_lshrrev_b32_e32 v0, 16, v4
	v_and_b32_e32 v1, 0xffff, v4
	v_accvgpr_read_b32 v4, a50
	;;#ASMSTART
	v_cvt_f32_f16 v1, v1;
	;;#ASMEND
	;;#ASMSTART
	v_cvt_f32_f16 v0, v0;
	;;#ASMEND
	;; [unrolled: 3-line block ×4, first 2 shown]
	v_and_b32_e32 v4, 0xffff, v4
	v_fmac_f32_e32 v22, v1, v2
	v_fmac_f32_e32 v24, v0, v3
	v_lshrrev_b32_e32 v0, 16, v5
	v_and_b32_e32 v1, 0xffff, v5
	v_accvgpr_read_b32 v2, a16
	v_accvgpr_read_b32 v3, a29
	;;#ASMSTART
	v_cvt_f32_f16 v1, v1;
	;;#ASMEND
	;;#ASMSTART
	v_cvt_f32_f16 v0, v0;
	;;#ASMEND
	v_and_b32_e32 v2, 0xffff, v2
	v_and_b32_e32 v3, 0xffff, v3
	;;#ASMSTART
	v_cvt_f32_f16 v2, v2;
	;;#ASMEND
	;;#ASMSTART
	v_cvt_f32_f16 v3, v3;
	;;#ASMEND
	s_nop 0
	v_fmac_f32_e32 v55, v1, v2
	v_fmac_f32_e32 v56, v0, v3
	ds_read_b64 v[0:1], v30 offset:160
	v_accvgpr_read_b32 v3, a43
	v_and_b32_e32 v3, 0xffff, v3
	s_waitcnt lgkmcnt(0)
	v_lshrrev_b32_e32 v2, 16, v0
	v_and_b32_e32 v0, 0xffff, v0
	;;#ASMSTART
	v_cvt_f32_f16 v0, v0;
	;;#ASMEND
	;;#ASMSTART
	v_cvt_f32_f16 v2, v2;
	;;#ASMEND
	;; [unrolled: 3-line block ×4, first 2 shown]
	s_nop 0
	v_fmac_f32_e32 v22, v0, v3
	v_fmac_f32_e32 v24, v2, v4
	v_accvgpr_read_b32 v2, a28
	v_accvgpr_read_b32 v3, a31
	v_lshrrev_b32_e32 v0, 16, v1
	v_and_b32_e32 v1, 0xffff, v1
	v_and_b32_e32 v2, 0xffff, v2
	;; [unrolled: 1-line block ×3, first 2 shown]
	;;#ASMSTART
	v_cvt_f32_f16 v1, v1;
	;;#ASMEND
	;;#ASMSTART
	v_cvt_f32_f16 v0, v0;
	;;#ASMEND
	;; [unrolled: 3-line block ×4, first 2 shown]
	ds_read_b64 v[4:5], v30 offset:168
	v_fmac_f32_e32 v55, v1, v2
	v_fmac_f32_e32 v56, v0, v3
	v_accvgpr_read_b32 v2, a30
	v_accvgpr_read_b32 v3, a63
	v_and_b32_e32 v2, 0xffff, v2
	v_and_b32_e32 v3, 0xffff, v3
	s_waitcnt lgkmcnt(0)
	v_lshrrev_b32_e32 v0, 16, v4
	v_and_b32_e32 v1, 0xffff, v4
	v_accvgpr_read_b32 v4, a52
	;;#ASMSTART
	v_cvt_f32_f16 v1, v1;
	;;#ASMEND
	;;#ASMSTART
	v_cvt_f32_f16 v0, v0;
	;;#ASMEND
	;; [unrolled: 3-line block ×4, first 2 shown]
	v_and_b32_e32 v4, 0xffff, v4
	v_fmac_f32_e32 v22, v1, v2
	v_fmac_f32_e32 v24, v0, v3
	v_lshrrev_b32_e32 v0, 16, v5
	v_and_b32_e32 v1, 0xffff, v5
	v_accvgpr_read_b32 v2, a62
	v_accvgpr_read_b32 v3, a59
	;;#ASMSTART
	v_cvt_f32_f16 v1, v1;
	;;#ASMEND
	;;#ASMSTART
	v_cvt_f32_f16 v0, v0;
	;;#ASMEND
	v_and_b32_e32 v2, 0xffff, v2
	v_and_b32_e32 v3, 0xffff, v3
	;;#ASMSTART
	v_cvt_f32_f16 v2, v2;
	;;#ASMEND
	;;#ASMSTART
	v_cvt_f32_f16 v3, v3;
	;;#ASMEND
	s_nop 0
	v_fmac_f32_e32 v55, v1, v2
	v_fmac_f32_e32 v56, v0, v3
	ds_read_b64 v[0:1], v30 offset:176
	v_accvgpr_read_b32 v3, a61
	v_and_b32_e32 v3, 0xffff, v3
	s_waitcnt lgkmcnt(0)
	v_lshrrev_b32_e32 v2, 16, v0
	v_and_b32_e32 v0, 0xffff, v0
	;;#ASMSTART
	v_cvt_f32_f16 v0, v0;
	;;#ASMEND
	;;#ASMSTART
	v_cvt_f32_f16 v2, v2;
	;;#ASMEND
	;;#ASMSTART
	v_cvt_f32_f16 v3, v3;
	;;#ASMEND
	;;#ASMSTART
	v_cvt_f32_f16 v4, v4;
	;;#ASMEND
	s_nop 0
	v_fmac_f32_e32 v22, v0, v3
	v_fmac_f32_e32 v24, v2, v4
	v_lshrrev_b32_e32 v0, 16, v1
	v_and_b32_e32 v1, 0xffff, v1
	v_accvgpr_read_b32 v2, a60
	v_accvgpr_read_b32 v3, a17
	v_accvgpr_read_b32 v4, a33
	;;#ASMSTART
	v_cvt_f32_f16 v1, v1;
	;;#ASMEND
	;;#ASMSTART
	v_cvt_f32_f16 v0, v0;
	;;#ASMEND
	v_and_b32_e32 v2, 0xffff, v2
	v_and_b32_e32 v3, 0xffff, v3
	v_and_b32_e32 v4, 0xffff, v4
	;;#ASMSTART
	v_cvt_f32_f16 v2, v2;
	;;#ASMEND
	;;#ASMSTART
	v_cvt_f32_f16 v3, v3;
	;;#ASMEND
	s_nop 0
	v_fmac_f32_e32 v55, v1, v2
	v_fmac_f32_e32 v56, v0, v3
	ds_read_b64 v[0:1], v30 offset:184
	v_accvgpr_read_b32 v3, a44
	v_and_b32_e32 v3, 0xffff, v3
	s_waitcnt lgkmcnt(0)
	v_lshrrev_b32_e32 v2, 16, v0
	v_and_b32_e32 v0, 0xffff, v0
	;;#ASMSTART
	v_cvt_f32_f16 v0, v0;
	;;#ASMEND
	;;#ASMSTART
	v_cvt_f32_f16 v2, v2;
	;;#ASMEND
	;;#ASMSTART
	v_cvt_f32_f16 v3, v3;
	;;#ASMEND
	;;#ASMSTART
	v_cvt_f32_f16 v4, v4;
	;;#ASMEND
	s_nop 0
	v_fmac_f32_e32 v22, v0, v3
	v_fmac_f32_e32 v24, v2, v4
	v_lshrrev_b32_e32 v0, 16, v1
	v_and_b32_e32 v1, 0xffff, v1
	v_accvgpr_read_b32 v2, a32
	v_accvgpr_read_b32 v3, a18
	v_accvgpr_read_b32 v4, a20
	;;#ASMSTART
	v_cvt_f32_f16 v1, v1;
	;;#ASMEND
	;;#ASMSTART
	v_cvt_f32_f16 v0, v0;
	;;#ASMEND
	v_and_b32_e32 v2, 0xffff, v2
	;; [unrolled: 44-line block ×5, first 2 shown]
	v_and_b32_e32 v3, 0xffff, v3
	v_and_b32_e32 v4, 0xffff, v4
	;;#ASMSTART
	v_cvt_f32_f16 v2, v2;
	;;#ASMEND
	;;#ASMSTART
	v_cvt_f32_f16 v3, v3;
	;;#ASMEND
	s_nop 0
	v_fmac_f32_e32 v55, v1, v2
	v_fmac_f32_e32 v56, v0, v3
	ds_read_b64 v[0:1], v30 offset:216
	v_accvgpr_read_b32 v3, a37
	v_and_b32_e32 v3, 0xffff, v3
	s_waitcnt lgkmcnt(0)
	v_lshrrev_b32_e32 v2, 16, v0
	v_and_b32_e32 v0, 0xffff, v0
	;;#ASMSTART
	v_cvt_f32_f16 v0, v0;
	;;#ASMEND
	;;#ASMSTART
	v_cvt_f32_f16 v2, v2;
	;;#ASMEND
	;; [unrolled: 3-line block ×4, first 2 shown]
	s_nop 0
	v_fmac_f32_e32 v22, v0, v3
	v_fmac_f32_e32 v24, v2, v4
	v_lshrrev_b32_e32 v0, 16, v1
	v_and_b32_e32 v1, 0xffff, v1
	v_accvgpr_read_b32 v2, a24
	v_accvgpr_read_b32 v3, a25
	;;#ASMSTART
	v_cvt_f32_f16 v1, v1;
	;;#ASMEND
	;;#ASMSTART
	v_cvt_f32_f16 v0, v0;
	;;#ASMEND
	v_and_b32_e32 v2, 0xffff, v2
	v_and_b32_e32 v3, 0xffff, v3
	;;#ASMSTART
	v_cvt_f32_f16 v2, v2;
	;;#ASMEND
	;;#ASMSTART
	v_cvt_f32_f16 v3, v3;
	;;#ASMEND
	v_accvgpr_read_b32 v4, a36
	v_fmac_f32_e32 v55, v1, v2
	v_fmac_f32_e32 v56, v0, v3
	ds_read_b64 v[0:1], v30 offset:224
	v_accvgpr_read_b32 v3, a26
	v_and_b32_e32 v3, 0xffff, v3
	v_and_b32_e32 v4, 0xffff, v4
	s_waitcnt lgkmcnt(0)
	v_lshrrev_b32_e32 v2, 16, v0
	v_and_b32_e32 v0, 0xffff, v0
	;;#ASMSTART
	v_cvt_f32_f16 v0, v0;
	;;#ASMEND
	;;#ASMSTART
	v_cvt_f32_f16 v2, v2;
	;;#ASMEND
	;; [unrolled: 3-line block ×4, first 2 shown]
	s_nop 0
	v_fmac_f32_e32 v22, v0, v3
	v_fmac_f32_e32 v24, v2, v4
	v_lshrrev_b32_e32 v0, 16, v1
	v_and_b32_e32 v1, 0xffff, v1
	v_accvgpr_read_b32 v2, a48
	v_accvgpr_read_b32 v3, a58
	;;#ASMSTART
	v_cvt_f32_f16 v1, v1;
	;;#ASMEND
	;;#ASMSTART
	v_cvt_f32_f16 v0, v0;
	;;#ASMEND
	v_and_b32_e32 v2, 0xffff, v2
	v_and_b32_e32 v3, 0xffff, v3
	;;#ASMSTART
	v_cvt_f32_f16 v2, v2;
	;;#ASMEND
	;;#ASMSTART
	v_cvt_f32_f16 v3, v3;
	;;#ASMEND
	s_nop 0
	v_fmac_f32_e32 v55, v1, v2
	v_fmac_f32_e32 v56, v0, v3
	ds_read_b64 v[0:1], v30 offset:232
	s_waitcnt lgkmcnt(0)
	v_lshrrev_b32_e32 v2, 16, v0
	v_and_b32_e32 v0, 0xffff, v0
	;;#ASMSTART
	v_cvt_f32_f16 v0, v0;
	;;#ASMEND
	;;#ASMSTART
	v_cvt_f32_f16 v2, v2;
	;;#ASMEND
	scratch_load_dword v3, off, s32 offset:592 ; 4-byte Folded Reload
	s_waitcnt vmcnt(0)
	v_and_b32_e32 v3, 0xffff, v3
	;;#ASMSTART
	v_cvt_f32_f16 v3, v3;
	;;#ASMEND
	scratch_load_dword v4, off, s32 offset:588 ; 4-byte Folded Reload
	v_fmac_f32_e32 v22, v0, v3
	v_lshrrev_b32_e32 v0, 16, v1
	v_and_b32_e32 v1, 0xffff, v1
	s_waitcnt vmcnt(0)
	v_and_b32_e32 v4, 0xffff, v4
	;;#ASMSTART
	v_cvt_f32_f16 v4, v4;
	;;#ASMEND
	;;#ASMSTART
	v_cvt_f32_f16 v1, v1;
	;;#ASMEND
	;;#ASMSTART
	v_cvt_f32_f16 v0, v0;
	;;#ASMEND
	s_nop 0
	v_fmac_f32_e32 v24, v2, v4
	scratch_load_dword v2, off, s32 offset:584 ; 4-byte Folded Reload
	s_waitcnt vmcnt(0)
	v_and_b32_e32 v2, 0xffff, v2
	;;#ASMSTART
	v_cvt_f32_f16 v2, v2;
	;;#ASMEND
	scratch_load_dword v3, off, s32 offset:580 ; 4-byte Folded Reload
	v_fmac_f32_e32 v55, v1, v2
	s_waitcnt vmcnt(0)
	v_and_b32_e32 v3, 0xffff, v3
	;;#ASMSTART
	v_cvt_f32_f16 v3, v3;
	;;#ASMEND
	s_nop 0
	v_fmac_f32_e32 v56, v0, v3
	ds_read_b64 v[0:1], v30 offset:240
	s_waitcnt lgkmcnt(0)
	v_lshrrev_b32_e32 v2, 16, v0
	v_and_b32_e32 v0, 0xffff, v0
	;;#ASMSTART
	v_cvt_f32_f16 v0, v0;
	;;#ASMEND
	;;#ASMSTART
	v_cvt_f32_f16 v2, v2;
	;;#ASMEND
	scratch_load_dword v3, off, s32 offset:576 ; 4-byte Folded Reload
	s_waitcnt vmcnt(0)
	v_and_b32_e32 v3, 0xffff, v3
	;;#ASMSTART
	v_cvt_f32_f16 v3, v3;
	;;#ASMEND
	scratch_load_dword v4, off, s32 offset:572 ; 4-byte Folded Reload
	v_fmac_f32_e32 v22, v0, v3
	v_lshrrev_b32_e32 v0, 16, v1
	v_and_b32_e32 v1, 0xffff, v1
	s_waitcnt vmcnt(0)
	v_and_b32_e32 v4, 0xffff, v4
	;;#ASMSTART
	v_cvt_f32_f16 v4, v4;
	;;#ASMEND
	;;#ASMSTART
	v_cvt_f32_f16 v1, v1;
	;;#ASMEND
	;;#ASMSTART
	v_cvt_f32_f16 v0, v0;
	;;#ASMEND
	s_nop 0
	v_fmac_f32_e32 v24, v2, v4
	scratch_load_dword v2, off, s32 offset:568 ; 4-byte Folded Reload
	s_waitcnt vmcnt(0)
	v_and_b32_e32 v2, 0xffff, v2
	;;#ASMSTART
	v_cvt_f32_f16 v2, v2;
	;;#ASMEND
	scratch_load_dword v3, off, s32 offset:564 ; 4-byte Folded Reload
	v_fmac_f32_e32 v55, v1, v2
	s_waitcnt vmcnt(0)
	v_and_b32_e32 v3, 0xffff, v3
	;;#ASMSTART
	v_cvt_f32_f16 v3, v3;
	;;#ASMEND
	s_nop 0
	;; [unrolled: 48-line block ×3, first 2 shown]
	v_fmac_f32_e32 v56, v0, v3
	scratch_load_dword v3, off, s32 offset:616 ; 4-byte Folded Reload
	v_add_f32_e32 v0, v22, v24
	v_add_f32_e32 v0, v0, v55
	v_add_f32_e32 v0, v56, v0
	s_waitcnt vmcnt(0)
	v_and_b32_e32 v2, 64, v3
	v_xor_b32_e32 v1, 1, v3
	v_add_u32_e32 v2, 64, v2
	v_cmp_lt_i32_e32 vcc, v1, v2
	s_nop 1
	v_cndmask_b32_e32 v1, v3, v1, vcc
	v_lshlrev_b32_e32 v1, 2, v1
	ds_bpermute_b32 v1, v1, v0
	s_and_saveexec_b64 s[46:47], s[4:5]
	s_cbranch_execz .LBB298_11
; %bb.753:                              ;   in Loop: Header=BB298_13 Depth=1
	scratch_load_dword v4, off, s32 offset:232 ; 4-byte Folded Reload
	scratch_load_dword v2, off, s32 offset:648 ; 4-byte Folded Reload
	;; [unrolled: 1-line block ×3, first 2 shown]
	s_waitcnt lgkmcnt(0)
	v_add_f32_e32 v0, v0, v1
	s_load_dword vcc_lo, s[24:25], 0x0
	scratch_load_dword v1, off, s32 offset:640 ; 4-byte Folded Reload
	s_waitcnt vmcnt(2)
	v_add_u32_e32 v2, v2, v4
	s_waitcnt vmcnt(1)
	v_add_u32_e32 v3, v3, v4
	scratch_load_dword v4, off, s32 offset:636 ; 4-byte Folded Reload
	v_cvt_f32_i32_e32 v2, v2
	s_waitcnt vmcnt(0)
	v_mul_f32_e32 v2, v4, v2
	scratch_load_dword v4, off, s32 offset:212 ; 4-byte Folded Reload
	v_cndmask_b32_e64 v2, 0, v2, s[6:7]
	v_fmac_f32_e32 v2, v0, v1
	scratch_load_dwordx2 v[0:1], off, s32 offset:204 ; 8-byte Folded Reload
	scratch_load_dword v1, off, s32 offset:596 ; 4-byte Folded Reload
	s_waitcnt vmcnt(2) lgkmcnt(0)
	v_add_u32_e32 v4, vcc_lo, v4
	s_waitcnt vmcnt(1)
	v_cmp_lt_i32_e32 vcc, v3, v0
	s_nop 1
	v_cndmask_b32_e32 v0, 0, v2, vcc
	ds_write_b32 v4, v0
	s_waitcnt vmcnt(0)
	v_max_f32_e32 v0, v1, v1
	v_max_f32_e32 v0, v0, v2
	v_cndmask_b32_e32 v1, v1, v0, vcc
	scratch_store_dword off, v1, s32 offset:596 ; 4-byte Folded Spill
	s_branch .LBB298_11
.LBB298_754:                            ;   in Loop: Header=BB298_13 Depth=1
	v_cmp_eq_u16_sdwa s[56:57], v4, s54 src0_sel:BYTE_0 src1_sel:DWORD
	s_mov_b64 vcc, -1
                                        ; implicit-def: $sgpr50
	s_and_saveexec_b64 s[48:49], s[56:57]
; %bb.755:                              ;   in Loop: Header=BB298_13 Depth=1
	s_mov_b32 s50, 0x7fc02000
	s_xor_b64 vcc, exec, -1
; %bb.756:                              ;   in Loop: Header=BB298_13 Depth=1
	s_or_b64 exec, exec, s[48:49]
	s_and_b64 vcc, vcc, exec
	s_or_saveexec_b64 s[46:47], s[46:47]
	v_mov_b32_e32 v0, s50
	s_xor_b64 exec, exec, s[46:47]
	s_cbranch_execz .LBB298_18
.LBB298_757:                            ;   in Loop: Header=BB298_13 Depth=1
	v_cmp_ne_u16_sdwa s[48:49], v4, v9 src0_sel:BYTE_0 src1_sel:DWORD
	s_andn2_b64 vcc, vcc, exec
	s_and_b64 s[48:49], s[48:49], exec
	v_mov_b32_e32 v0, 0
	s_or_b64 vcc, vcc, s[48:49]
	s_or_b64 exec, exec, s[46:47]
	s_and_saveexec_b64 s[46:47], vcc
	s_cbranch_execnz .LBB298_19
	s_branch .LBB298_20
.LBB298_758:                            ;   in Loop: Header=BB298_13 Depth=1
	v_cmp_eq_u16_e32 vcc, s54, v8
	s_mov_b64 s[46:47], -1
                                        ; implicit-def: $sgpr56
	s_and_saveexec_b64 s[50:51], vcc
; %bb.759:                              ;   in Loop: Header=BB298_13 Depth=1
	s_mov_b32 s56, 0x7fc02000
	s_xor_b64 s[46:47], exec, -1
; %bb.760:                              ;   in Loop: Header=BB298_13 Depth=1
	s_or_b64 exec, exec, s[50:51]
	s_and_b64 s[46:47], s[46:47], exec
	s_or_saveexec_b64 s[48:49], s[48:49]
	v_mov_b32_e32 v59, s56
	s_xor_b64 exec, exec, s[48:49]
	s_cbranch_execz .LBB298_38
.LBB298_761:                            ;   in Loop: Header=BB298_13 Depth=1
	v_cmp_ne_u16_e32 vcc, 0, v8
	s_andn2_b64 s[46:47], s[46:47], exec
	s_and_b64 vcc, vcc, exec
	v_mov_b32_e32 v59, 0
	s_or_b64 s[46:47], s[46:47], vcc
	s_or_b64 exec, exec, s[48:49]
	s_and_saveexec_b64 s[48:49], s[46:47]
	s_cbranch_execnz .LBB298_39
	s_branch .LBB298_40
.LBB298_762:                            ;   in Loop: Header=BB298_13 Depth=1
	v_cmp_eq_u16_sdwa s[56:57], v4, s54 src0_sel:BYTE_0 src1_sel:DWORD
	s_mov_b64 vcc, -1
                                        ; implicit-def: $sgpr50
	s_and_saveexec_b64 s[48:49], s[56:57]
; %bb.763:                              ;   in Loop: Header=BB298_13 Depth=1
	s_mov_b32 s50, 0x7fc02000
	s_xor_b64 vcc, exec, -1
; %bb.764:                              ;   in Loop: Header=BB298_13 Depth=1
	s_or_b64 exec, exec, s[48:49]
	s_and_b64 vcc, vcc, exec
	s_or_saveexec_b64 s[46:47], s[46:47]
	v_mov_b32_e32 v0, s50
	s_xor_b64 exec, exec, s[46:47]
	s_cbranch_execz .LBB298_42
.LBB298_765:                            ;   in Loop: Header=BB298_13 Depth=1
	v_cmp_ne_u16_sdwa s[48:49], v4, v9 src0_sel:BYTE_0 src1_sel:DWORD
	s_andn2_b64 vcc, vcc, exec
	s_and_b64 s[48:49], s[48:49], exec
	v_mov_b32_e32 v0, 0
	s_or_b64 vcc, vcc, s[48:49]
	s_or_b64 exec, exec, s[46:47]
	s_and_saveexec_b64 s[46:47], vcc
	s_cbranch_execnz .LBB298_43
	s_branch .LBB298_44
.LBB298_766:                            ;   in Loop: Header=BB298_13 Depth=1
	v_cmp_eq_u16_e32 vcc, s54, v8
	s_mov_b64 s[46:47], -1
                                        ; implicit-def: $sgpr56
	s_and_saveexec_b64 s[50:51], vcc
; %bb.767:                              ;   in Loop: Header=BB298_13 Depth=1
	s_mov_b32 s56, 0x7fc02000
	s_xor_b64 s[46:47], exec, -1
; %bb.768:                              ;   in Loop: Header=BB298_13 Depth=1
	s_or_b64 exec, exec, s[50:51]
	s_and_b64 s[46:47], s[46:47], exec
	s_or_saveexec_b64 s[48:49], s[48:49]
	v_mov_b32_e32 v60, s56
	s_xor_b64 exec, exec, s[48:49]
	s_cbranch_execz .LBB298_46
.LBB298_769:                            ;   in Loop: Header=BB298_13 Depth=1
	v_cmp_ne_u16_e32 vcc, 0, v8
	s_andn2_b64 s[46:47], s[46:47], exec
	s_and_b64 vcc, vcc, exec
	v_mov_b32_e32 v60, 0
	s_or_b64 s[46:47], s[46:47], vcc
	s_or_b64 exec, exec, s[48:49]
	s_and_saveexec_b64 s[48:49], s[46:47]
	s_cbranch_execnz .LBB298_47
	s_branch .LBB298_48
.LBB298_770:                            ;   in Loop: Header=BB298_13 Depth=1
	v_cmp_eq_u16_sdwa s[56:57], v8, s54 src0_sel:BYTE_0 src1_sel:DWORD
	s_mov_b64 vcc, -1
                                        ; implicit-def: $sgpr50
	s_and_saveexec_b64 s[48:49], s[56:57]
; %bb.771:                              ;   in Loop: Header=BB298_13 Depth=1
	s_mov_b32 s50, 0x7fc02000
	s_xor_b64 vcc, exec, -1
; %bb.772:                              ;   in Loop: Header=BB298_13 Depth=1
	s_or_b64 exec, exec, s[48:49]
	s_and_b64 vcc, vcc, exec
	s_or_saveexec_b64 s[46:47], s[46:47]
	v_mov_b32_e32 v30, s50
	s_xor_b64 exec, exec, s[46:47]
	s_cbranch_execz .LBB298_50
.LBB298_773:                            ;   in Loop: Header=BB298_13 Depth=1
	v_cmp_ne_u16_sdwa s[48:49], v8, v9 src0_sel:BYTE_0 src1_sel:DWORD
	s_andn2_b64 vcc, vcc, exec
	s_and_b64 s[48:49], s[48:49], exec
	v_mov_b32_e32 v30, 0
	s_or_b64 vcc, vcc, s[48:49]
	s_or_b64 exec, exec, s[46:47]
	s_and_saveexec_b64 s[46:47], vcc
	s_cbranch_execnz .LBB298_51
	s_branch .LBB298_52
.LBB298_774:                            ;   in Loop: Header=BB298_13 Depth=1
	v_cmp_eq_u16_e32 vcc, s54, v8
	s_mov_b64 s[46:47], -1
                                        ; implicit-def: $sgpr56
	s_and_saveexec_b64 s[50:51], vcc
; %bb.775:                              ;   in Loop: Header=BB298_13 Depth=1
	s_mov_b32 s56, 0x7fc02000
	s_xor_b64 s[46:47], exec, -1
; %bb.776:                              ;   in Loop: Header=BB298_13 Depth=1
	s_or_b64 exec, exec, s[50:51]
	s_and_b64 s[46:47], s[46:47], exec
	s_or_saveexec_b64 s[48:49], s[48:49]
	v_mov_b32_e32 v62, s56
	s_xor_b64 exec, exec, s[48:49]
	s_cbranch_execz .LBB298_54
.LBB298_777:                            ;   in Loop: Header=BB298_13 Depth=1
	v_cmp_ne_u16_e32 vcc, 0, v8
	s_andn2_b64 s[46:47], s[46:47], exec
	s_and_b64 vcc, vcc, exec
	v_mov_b32_e32 v62, 0
	s_or_b64 s[46:47], s[46:47], vcc
	s_or_b64 exec, exec, s[48:49]
	s_and_saveexec_b64 s[48:49], s[46:47]
	s_cbranch_execnz .LBB298_55
	s_branch .LBB298_56
.LBB298_778:                            ;   in Loop: Header=BB298_13 Depth=1
	v_cmp_eq_u16_sdwa s[56:57], v4, s54 src0_sel:BYTE_0 src1_sel:DWORD
	s_mov_b64 vcc, -1
                                        ; implicit-def: $sgpr50
	s_and_saveexec_b64 s[48:49], s[56:57]
; %bb.779:                              ;   in Loop: Header=BB298_13 Depth=1
	s_mov_b32 s50, 0x7fc02000
	s_xor_b64 vcc, exec, -1
; %bb.780:                              ;   in Loop: Header=BB298_13 Depth=1
	s_or_b64 exec, exec, s[48:49]
	s_and_b64 vcc, vcc, exec
	s_or_saveexec_b64 s[46:47], s[46:47]
	v_mov_b32_e32 v0, s50
	s_xor_b64 exec, exec, s[46:47]
	s_cbranch_execz .LBB298_58
.LBB298_781:                            ;   in Loop: Header=BB298_13 Depth=1
	v_cmp_ne_u16_sdwa s[48:49], v4, v9 src0_sel:BYTE_0 src1_sel:DWORD
	s_andn2_b64 vcc, vcc, exec
	s_and_b64 s[48:49], s[48:49], exec
	v_mov_b32_e32 v0, 0
	s_or_b64 vcc, vcc, s[48:49]
	s_or_b64 exec, exec, s[46:47]
	s_and_saveexec_b64 s[46:47], vcc
	s_cbranch_execnz .LBB298_59
	s_branch .LBB298_60
.LBB298_782:                            ;   in Loop: Header=BB298_13 Depth=1
	v_cmp_eq_u16_e32 vcc, s54, v8
	s_mov_b64 s[46:47], -1
                                        ; implicit-def: $sgpr56
	s_and_saveexec_b64 s[50:51], vcc
; %bb.783:                              ;   in Loop: Header=BB298_13 Depth=1
	s_mov_b32 s56, 0x7fc02000
	s_xor_b64 s[46:47], exec, -1
; %bb.784:                              ;   in Loop: Header=BB298_13 Depth=1
	s_or_b64 exec, exec, s[50:51]
	s_and_b64 s[46:47], s[46:47], exec
	s_or_saveexec_b64 s[48:49], s[48:49]
	v_mov_b32_e32 v18, s56
	s_xor_b64 exec, exec, s[48:49]
	s_cbranch_execz .LBB298_62
.LBB298_785:                            ;   in Loop: Header=BB298_13 Depth=1
	v_cmp_ne_u16_e32 vcc, 0, v8
	s_andn2_b64 s[46:47], s[46:47], exec
	s_and_b64 vcc, vcc, exec
	v_mov_b32_e32 v18, 0
	s_or_b64 s[46:47], s[46:47], vcc
	s_or_b64 exec, exec, s[48:49]
	s_and_saveexec_b64 s[48:49], s[46:47]
	s_cbranch_execnz .LBB298_63
	s_branch .LBB298_64
.LBB298_786:                            ;   in Loop: Header=BB298_13 Depth=1
	v_cmp_eq_u16_sdwa s[56:57], v8, s54 src0_sel:BYTE_0 src1_sel:DWORD
	s_mov_b64 vcc, -1
                                        ; implicit-def: $sgpr50
	s_and_saveexec_b64 s[48:49], s[56:57]
; %bb.787:                              ;   in Loop: Header=BB298_13 Depth=1
	s_mov_b32 s50, 0x7fc02000
	s_xor_b64 vcc, exec, -1
; %bb.788:                              ;   in Loop: Header=BB298_13 Depth=1
	s_or_b64 exec, exec, s[48:49]
	s_and_b64 vcc, vcc, exec
	s_or_saveexec_b64 s[46:47], s[46:47]
	v_mov_b32_e32 v55, s50
	s_xor_b64 exec, exec, s[46:47]
	s_cbranch_execz .LBB298_66
.LBB298_789:                            ;   in Loop: Header=BB298_13 Depth=1
	v_cmp_ne_u16_sdwa s[48:49], v8, v9 src0_sel:BYTE_0 src1_sel:DWORD
	s_andn2_b64 vcc, vcc, exec
	s_and_b64 s[48:49], s[48:49], exec
	v_mov_b32_e32 v55, 0
	s_or_b64 vcc, vcc, s[48:49]
	s_or_b64 exec, exec, s[46:47]
	s_and_saveexec_b64 s[46:47], vcc
	s_cbranch_execnz .LBB298_67
	s_branch .LBB298_68
.LBB298_790:                            ;   in Loop: Header=BB298_13 Depth=1
	v_cmp_eq_u16_e32 vcc, s54, v8
	s_mov_b64 s[46:47], -1
                                        ; implicit-def: $sgpr56
	s_and_saveexec_b64 s[50:51], vcc
; %bb.791:                              ;   in Loop: Header=BB298_13 Depth=1
	s_mov_b32 s56, 0x7fc02000
	s_xor_b64 s[46:47], exec, -1
; %bb.792:                              ;   in Loop: Header=BB298_13 Depth=1
	s_or_b64 exec, exec, s[50:51]
	s_and_b64 s[46:47], s[46:47], exec
	s_or_saveexec_b64 s[48:49], s[48:49]
	v_mov_b32_e32 v57, s56
	s_xor_b64 exec, exec, s[48:49]
	s_cbranch_execz .LBB298_70
.LBB298_793:                            ;   in Loop: Header=BB298_13 Depth=1
	v_cmp_ne_u16_e32 vcc, 0, v8
	s_andn2_b64 s[46:47], s[46:47], exec
	s_and_b64 vcc, vcc, exec
	v_mov_b32_e32 v57, 0
	s_or_b64 s[46:47], s[46:47], vcc
	s_or_b64 exec, exec, s[48:49]
	s_and_saveexec_b64 s[48:49], s[46:47]
	s_cbranch_execnz .LBB298_71
	s_branch .LBB298_72
.LBB298_794:                            ;   in Loop: Header=BB298_13 Depth=1
	v_cmp_eq_u16_sdwa s[56:57], v4, s54 src0_sel:BYTE_0 src1_sel:DWORD
	s_mov_b64 vcc, -1
                                        ; implicit-def: $sgpr50
	s_and_saveexec_b64 s[48:49], s[56:57]
; %bb.795:                              ;   in Loop: Header=BB298_13 Depth=1
	s_mov_b32 s50, 0x7fc02000
	s_xor_b64 vcc, exec, -1
; %bb.796:                              ;   in Loop: Header=BB298_13 Depth=1
	s_or_b64 exec, exec, s[48:49]
	s_and_b64 vcc, vcc, exec
	s_or_saveexec_b64 s[46:47], s[46:47]
	v_mov_b32_e32 v0, s50
	s_xor_b64 exec, exec, s[46:47]
	s_cbranch_execz .LBB298_74
.LBB298_797:                            ;   in Loop: Header=BB298_13 Depth=1
	v_cmp_ne_u16_sdwa s[48:49], v4, v9 src0_sel:BYTE_0 src1_sel:DWORD
	s_andn2_b64 vcc, vcc, exec
	s_and_b64 s[48:49], s[48:49], exec
	v_mov_b32_e32 v0, 0
	s_or_b64 vcc, vcc, s[48:49]
	s_or_b64 exec, exec, s[46:47]
	s_and_saveexec_b64 s[46:47], vcc
	s_cbranch_execnz .LBB298_75
	s_branch .LBB298_76
.LBB298_798:                            ;   in Loop: Header=BB298_13 Depth=1
	v_cmp_eq_u16_sdwa s[56:57], v4, s54 src0_sel:BYTE_0 src1_sel:DWORD
	s_mov_b64 vcc, -1
                                        ; implicit-def: $sgpr50
	s_and_saveexec_b64 s[48:49], s[56:57]
; %bb.799:                              ;   in Loop: Header=BB298_13 Depth=1
	s_mov_b32 s50, 0x7fc02000
	s_xor_b64 vcc, exec, -1
; %bb.800:                              ;   in Loop: Header=BB298_13 Depth=1
	s_or_b64 exec, exec, s[48:49]
	s_and_b64 vcc, vcc, exec
	s_or_saveexec_b64 s[46:47], s[46:47]
	v_mov_b32_e32 v0, s50
	s_xor_b64 exec, exec, s[46:47]
	s_cbranch_execz .LBB298_102
.LBB298_801:                            ;   in Loop: Header=BB298_13 Depth=1
	v_cmp_ne_u16_sdwa s[48:49], v4, v9 src0_sel:BYTE_0 src1_sel:DWORD
	s_andn2_b64 vcc, vcc, exec
	s_and_b64 s[48:49], s[48:49], exec
	v_mov_b32_e32 v0, 0
	s_or_b64 vcc, vcc, s[48:49]
	s_or_b64 exec, exec, s[46:47]
	s_and_saveexec_b64 s[46:47], vcc
	s_cbranch_execnz .LBB298_103
	s_branch .LBB298_104
.LBB298_802:                            ;   in Loop: Header=BB298_13 Depth=1
	v_cmp_eq_u16_sdwa s[56:57], v4, s54 src0_sel:BYTE_0 src1_sel:DWORD
	s_mov_b64 vcc, -1
                                        ; implicit-def: $sgpr50
	s_and_saveexec_b64 s[48:49], s[56:57]
; %bb.803:                              ;   in Loop: Header=BB298_13 Depth=1
	s_mov_b32 s50, 0x7fc02000
	s_xor_b64 vcc, exec, -1
; %bb.804:                              ;   in Loop: Header=BB298_13 Depth=1
	s_or_b64 exec, exec, s[48:49]
	s_and_b64 vcc, vcc, exec
	s_or_saveexec_b64 s[46:47], s[46:47]
	v_mov_b32_e32 v0, s50
	s_xor_b64 exec, exec, s[46:47]
	s_cbranch_execz .LBB298_130
.LBB298_805:                            ;   in Loop: Header=BB298_13 Depth=1
	v_cmp_ne_u16_sdwa s[48:49], v4, v9 src0_sel:BYTE_0 src1_sel:DWORD
	s_andn2_b64 vcc, vcc, exec
	s_and_b64 s[48:49], s[48:49], exec
	v_mov_b32_e32 v0, 0
	s_or_b64 vcc, vcc, s[48:49]
	s_or_b64 exec, exec, s[46:47]
	s_and_saveexec_b64 s[46:47], vcc
	s_cbranch_execnz .LBB298_131
	s_branch .LBB298_132
.LBB298_806:                            ;   in Loop: Header=BB298_13 Depth=1
	v_cmp_eq_u16_sdwa s[56:57], v4, s54 src0_sel:BYTE_0 src1_sel:DWORD
	s_mov_b64 vcc, -1
                                        ; implicit-def: $sgpr50
	s_and_saveexec_b64 s[48:49], s[56:57]
; %bb.807:                              ;   in Loop: Header=BB298_13 Depth=1
	s_mov_b32 s50, 0x7fc02000
	s_xor_b64 vcc, exec, -1
; %bb.808:                              ;   in Loop: Header=BB298_13 Depth=1
	s_or_b64 exec, exec, s[48:49]
	s_and_b64 vcc, vcc, exec
	s_or_saveexec_b64 s[46:47], s[46:47]
	v_mov_b32_e32 v0, s50
	s_xor_b64 exec, exec, s[46:47]
	s_cbranch_execz .LBB298_158
.LBB298_809:                            ;   in Loop: Header=BB298_13 Depth=1
	v_cmp_ne_u16_sdwa s[48:49], v4, v9 src0_sel:BYTE_0 src1_sel:DWORD
	s_andn2_b64 vcc, vcc, exec
	s_and_b64 s[48:49], s[48:49], exec
	v_mov_b32_e32 v0, 0
	s_or_b64 vcc, vcc, s[48:49]
	s_or_b64 exec, exec, s[46:47]
	s_and_saveexec_b64 s[46:47], vcc
	s_cbranch_execnz .LBB298_159
	s_branch .LBB298_160
.LBB298_810:                            ;   in Loop: Header=BB298_13 Depth=1
	v_cmp_eq_u16_sdwa s[56:57], v4, s54 src0_sel:BYTE_0 src1_sel:DWORD
	s_mov_b64 vcc, -1
                                        ; implicit-def: $sgpr50
	s_and_saveexec_b64 s[48:49], s[56:57]
; %bb.811:                              ;   in Loop: Header=BB298_13 Depth=1
	s_mov_b32 s50, 0x7fc02000
	s_xor_b64 vcc, exec, -1
; %bb.812:                              ;   in Loop: Header=BB298_13 Depth=1
	s_or_b64 exec, exec, s[48:49]
	s_and_b64 vcc, vcc, exec
	s_or_saveexec_b64 s[46:47], s[46:47]
	v_mov_b32_e32 v0, s50
	s_xor_b64 exec, exec, s[46:47]
	s_cbranch_execz .LBB298_186
.LBB298_813:                            ;   in Loop: Header=BB298_13 Depth=1
	v_cmp_ne_u16_sdwa s[48:49], v4, v9 src0_sel:BYTE_0 src1_sel:DWORD
	s_andn2_b64 vcc, vcc, exec
	s_and_b64 s[48:49], s[48:49], exec
	v_mov_b32_e32 v0, 0
	s_or_b64 vcc, vcc, s[48:49]
	s_or_b64 exec, exec, s[46:47]
	s_and_saveexec_b64 s[46:47], vcc
	s_cbranch_execnz .LBB298_187
	s_branch .LBB298_188
.LBB298_814:                            ;   in Loop: Header=BB298_13 Depth=1
	v_cmp_eq_u16_sdwa s[56:57], v4, s54 src0_sel:BYTE_0 src1_sel:DWORD
	s_mov_b64 vcc, -1
                                        ; implicit-def: $sgpr50
	s_and_saveexec_b64 s[48:49], s[56:57]
; %bb.815:                              ;   in Loop: Header=BB298_13 Depth=1
	s_mov_b32 s50, 0x7fc02000
	s_xor_b64 vcc, exec, -1
; %bb.816:                              ;   in Loop: Header=BB298_13 Depth=1
	s_or_b64 exec, exec, s[48:49]
	s_and_b64 vcc, vcc, exec
	s_or_saveexec_b64 s[46:47], s[46:47]
	v_mov_b32_e32 v0, s50
	s_xor_b64 exec, exec, s[46:47]
	s_cbranch_execz .LBB298_214
.LBB298_817:                            ;   in Loop: Header=BB298_13 Depth=1
	v_cmp_ne_u16_sdwa s[48:49], v4, v9 src0_sel:BYTE_0 src1_sel:DWORD
	s_andn2_b64 vcc, vcc, exec
	s_and_b64 s[48:49], s[48:49], exec
	v_mov_b32_e32 v0, 0
	s_or_b64 vcc, vcc, s[48:49]
	s_or_b64 exec, exec, s[46:47]
	s_and_saveexec_b64 s[46:47], vcc
	s_cbranch_execnz .LBB298_215
	s_branch .LBB298_216
.LBB298_818:                            ;   in Loop: Header=BB298_13 Depth=1
	v_cmp_eq_u16_sdwa s[56:57], v4, s54 src0_sel:BYTE_0 src1_sel:DWORD
	s_mov_b64 vcc, -1
                                        ; implicit-def: $sgpr50
	s_and_saveexec_b64 s[48:49], s[56:57]
; %bb.819:                              ;   in Loop: Header=BB298_13 Depth=1
	s_mov_b32 s50, 0x7fc02000
	s_xor_b64 vcc, exec, -1
; %bb.820:                              ;   in Loop: Header=BB298_13 Depth=1
	s_or_b64 exec, exec, s[48:49]
	s_and_b64 vcc, vcc, exec
	s_or_saveexec_b64 s[46:47], s[46:47]
	v_mov_b32_e32 v0, s50
	s_xor_b64 exec, exec, s[46:47]
	s_cbranch_execz .LBB298_242
.LBB298_821:                            ;   in Loop: Header=BB298_13 Depth=1
	v_cmp_ne_u16_sdwa s[48:49], v4, v9 src0_sel:BYTE_0 src1_sel:DWORD
	s_andn2_b64 vcc, vcc, exec
	s_and_b64 s[48:49], s[48:49], exec
	v_mov_b32_e32 v0, 0
	s_or_b64 vcc, vcc, s[48:49]
	s_or_b64 exec, exec, s[46:47]
	s_and_saveexec_b64 s[46:47], vcc
	s_cbranch_execnz .LBB298_243
	s_branch .LBB298_244
.LBB298_822:                            ;   in Loop: Header=BB298_13 Depth=1
	v_cmp_eq_u16_sdwa s[56:57], v4, s54 src0_sel:BYTE_0 src1_sel:DWORD
	s_mov_b64 vcc, -1
                                        ; implicit-def: $sgpr50
	s_and_saveexec_b64 s[48:49], s[56:57]
; %bb.823:                              ;   in Loop: Header=BB298_13 Depth=1
	s_mov_b32 s50, 0x7fc02000
	s_xor_b64 vcc, exec, -1
; %bb.824:                              ;   in Loop: Header=BB298_13 Depth=1
	s_or_b64 exec, exec, s[48:49]
	s_and_b64 vcc, vcc, exec
	s_or_saveexec_b64 s[46:47], s[46:47]
	v_mov_b32_e32 v0, s50
	s_xor_b64 exec, exec, s[46:47]
	s_cbranch_execz .LBB298_270
.LBB298_825:                            ;   in Loop: Header=BB298_13 Depth=1
	v_cmp_ne_u16_sdwa s[48:49], v4, v9 src0_sel:BYTE_0 src1_sel:DWORD
	s_andn2_b64 vcc, vcc, exec
	s_and_b64 s[48:49], s[48:49], exec
	v_mov_b32_e32 v0, 0
	s_or_b64 vcc, vcc, s[48:49]
	s_or_b64 exec, exec, s[46:47]
	s_and_saveexec_b64 s[46:47], vcc
	s_cbranch_execnz .LBB298_271
	s_branch .LBB298_272
.LBB298_826:                            ;   in Loop: Header=BB298_13 Depth=1
	v_cmp_eq_u16_sdwa s[56:57], v8, s54 src0_sel:BYTE_0 src1_sel:DWORD
	s_mov_b64 vcc, -1
                                        ; implicit-def: $sgpr50
	s_and_saveexec_b64 s[48:49], s[56:57]
; %bb.827:                              ;   in Loop: Header=BB298_13 Depth=1
	s_mov_b32 s50, 0x7fc02000
	s_xor_b64 vcc, exec, -1
; %bb.828:                              ;   in Loop: Header=BB298_13 Depth=1
	s_or_b64 exec, exec, s[48:49]
	s_and_b64 vcc, vcc, exec
	s_or_saveexec_b64 s[46:47], s[46:47]
	v_mov_b32_e32 v0, s50
	s_xor_b64 exec, exec, s[46:47]
	s_cbranch_execz .LBB298_442
.LBB298_829:                            ;   in Loop: Header=BB298_13 Depth=1
	v_cmp_ne_u16_sdwa s[48:49], v8, v9 src0_sel:BYTE_0 src1_sel:DWORD
	s_andn2_b64 vcc, vcc, exec
	s_and_b64 s[48:49], s[48:49], exec
	v_mov_b32_e32 v0, 0
	s_or_b64 vcc, vcc, s[48:49]
	s_or_b64 exec, exec, s[46:47]
	s_and_saveexec_b64 s[46:47], vcc
	s_cbranch_execnz .LBB298_443
	s_branch .LBB298_444
.LBB298_830:                            ;   in Loop: Header=BB298_13 Depth=1
	v_cmp_eq_u16_e32 vcc, s54, v8
	s_mov_b64 s[46:47], -1
                                        ; implicit-def: $sgpr56
	s_and_saveexec_b64 s[50:51], vcc
; %bb.831:                              ;   in Loop: Header=BB298_13 Depth=1
	s_mov_b32 s56, 0x7fc02000
	s_xor_b64 s[46:47], exec, -1
; %bb.832:                              ;   in Loop: Header=BB298_13 Depth=1
	s_or_b64 exec, exec, s[50:51]
	s_and_b64 s[46:47], s[46:47], exec
	s_or_saveexec_b64 s[48:49], s[48:49]
	v_mov_b32_e32 v1, s56
	s_xor_b64 exec, exec, s[48:49]
	s_cbranch_execz .LBB298_446
.LBB298_833:                            ;   in Loop: Header=BB298_13 Depth=1
	v_cmp_ne_u16_e32 vcc, 0, v8
	s_andn2_b64 s[46:47], s[46:47], exec
	s_and_b64 vcc, vcc, exec
	v_mov_b32_e32 v1, 0
	s_or_b64 s[46:47], s[46:47], vcc
	s_or_b64 exec, exec, s[48:49]
	scratch_store_dword off, v0, s32 offset:556 ; 4-byte Folded Spill
	s_and_saveexec_b64 s[48:49], s[46:47]
	s_cbranch_execnz .LBB298_447
	s_branch .LBB298_448
.LBB298_834:                            ;   in Loop: Header=BB298_13 Depth=1
	v_cmp_eq_u16_sdwa s[56:57], v8, s54 src0_sel:BYTE_0 src1_sel:DWORD
	s_mov_b64 vcc, -1
                                        ; implicit-def: $sgpr50
	s_and_saveexec_b64 s[48:49], s[56:57]
; %bb.835:                              ;   in Loop: Header=BB298_13 Depth=1
	s_mov_b32 s50, 0x7fc02000
	s_xor_b64 vcc, exec, -1
; %bb.836:                              ;   in Loop: Header=BB298_13 Depth=1
	s_or_b64 exec, exec, s[48:49]
	s_and_b64 vcc, vcc, exec
	s_or_saveexec_b64 s[46:47], s[46:47]
	v_mov_b32_e32 v0, s50
	s_xor_b64 exec, exec, s[46:47]
	s_cbranch_execz .LBB298_498
.LBB298_837:                            ;   in Loop: Header=BB298_13 Depth=1
	v_cmp_ne_u16_sdwa s[48:49], v8, v9 src0_sel:BYTE_0 src1_sel:DWORD
	s_andn2_b64 vcc, vcc, exec
	s_and_b64 s[48:49], s[48:49], exec
	v_mov_b32_e32 v0, 0
	s_or_b64 vcc, vcc, s[48:49]
	s_or_b64 exec, exec, s[46:47]
	s_and_saveexec_b64 s[46:47], vcc
	s_cbranch_execnz .LBB298_499
	s_branch .LBB298_500
.LBB298_838:                            ;   in Loop: Header=BB298_13 Depth=1
	v_cmp_eq_u16_e32 vcc, s54, v8
	s_mov_b64 s[46:47], -1
                                        ; implicit-def: $sgpr56
	s_and_saveexec_b64 s[50:51], vcc
; %bb.839:                              ;   in Loop: Header=BB298_13 Depth=1
	s_mov_b32 s56, 0x7fc02000
	s_xor_b64 s[46:47], exec, -1
; %bb.840:                              ;   in Loop: Header=BB298_13 Depth=1
	s_or_b64 exec, exec, s[50:51]
	s_and_b64 s[46:47], s[46:47], exec
	s_or_saveexec_b64 s[48:49], s[48:49]
	v_mov_b32_e32 v1, s56
	s_xor_b64 exec, exec, s[48:49]
	s_cbranch_execz .LBB298_502
.LBB298_841:                            ;   in Loop: Header=BB298_13 Depth=1
	v_cmp_ne_u16_e32 vcc, 0, v8
	s_andn2_b64 s[46:47], s[46:47], exec
	s_and_b64 vcc, vcc, exec
	v_mov_b32_e32 v1, 0
	s_or_b64 s[46:47], s[46:47], vcc
	s_or_b64 exec, exec, s[48:49]
	v_accvgpr_write_b32 a45, v0
	s_and_saveexec_b64 s[48:49], s[46:47]
	s_cbranch_execnz .LBB298_503
	s_branch .LBB298_504
.LBB298_842:                            ;   in Loop: Header=BB298_13 Depth=1
	v_cmp_eq_u16_sdwa s[56:57], v8, s54 src0_sel:BYTE_0 src1_sel:DWORD
	s_mov_b64 vcc, -1
                                        ; implicit-def: $sgpr50
	s_and_saveexec_b64 s[48:49], s[56:57]
; %bb.843:                              ;   in Loop: Header=BB298_13 Depth=1
	s_mov_b32 s50, 0x7fc02000
	s_xor_b64 vcc, exec, -1
; %bb.844:                              ;   in Loop: Header=BB298_13 Depth=1
	s_or_b64 exec, exec, s[48:49]
	s_and_b64 vcc, vcc, exec
	s_or_saveexec_b64 s[46:47], s[46:47]
	v_mov_b32_e32 v0, s50
	s_xor_b64 exec, exec, s[46:47]
	s_cbranch_execz .LBB298_554
.LBB298_845:                            ;   in Loop: Header=BB298_13 Depth=1
	v_cmp_ne_u16_sdwa s[48:49], v8, v9 src0_sel:BYTE_0 src1_sel:DWORD
	s_andn2_b64 vcc, vcc, exec
	s_and_b64 s[48:49], s[48:49], exec
	v_mov_b32_e32 v0, 0
	s_or_b64 vcc, vcc, s[48:49]
	s_or_b64 exec, exec, s[46:47]
	s_and_saveexec_b64 s[46:47], vcc
	s_cbranch_execnz .LBB298_555
	s_branch .LBB298_556
.LBB298_846:                            ;   in Loop: Header=BB298_13 Depth=1
	v_cmp_eq_u16_e32 vcc, s54, v8
	s_mov_b64 s[46:47], -1
                                        ; implicit-def: $sgpr56
	s_and_saveexec_b64 s[50:51], vcc
; %bb.847:                              ;   in Loop: Header=BB298_13 Depth=1
	s_mov_b32 s56, 0x7fc02000
	s_xor_b64 s[46:47], exec, -1
; %bb.848:                              ;   in Loop: Header=BB298_13 Depth=1
	s_or_b64 exec, exec, s[50:51]
	s_and_b64 s[46:47], s[46:47], exec
	s_or_saveexec_b64 s[48:49], s[48:49]
	v_mov_b32_e32 v29, s56
	s_xor_b64 exec, exec, s[48:49]
	s_cbranch_execz .LBB298_558
.LBB298_849:                            ;   in Loop: Header=BB298_13 Depth=1
	v_cmp_ne_u16_e32 vcc, 0, v8
	s_andn2_b64 s[46:47], s[46:47], exec
	s_and_b64 vcc, vcc, exec
	v_mov_b32_e32 v29, 0
	s_or_b64 s[46:47], s[46:47], vcc
	s_or_b64 exec, exec, s[48:49]
	v_accvgpr_write_b32 a0, v0
	s_and_saveexec_b64 s[48:49], s[46:47]
	s_cbranch_execnz .LBB298_559
	s_branch .LBB298_560
.LBB298_850:                            ;   in Loop: Header=BB298_13 Depth=1
	v_cmp_eq_u16_sdwa s[56:57], v4, s54 src0_sel:BYTE_0 src1_sel:DWORD
	s_mov_b64 vcc, -1
                                        ; implicit-def: $sgpr50
	s_and_saveexec_b64 s[48:49], s[56:57]
; %bb.851:                              ;   in Loop: Header=BB298_13 Depth=1
	s_mov_b32 s50, 0x7fc02000
	s_xor_b64 vcc, exec, -1
; %bb.852:                              ;   in Loop: Header=BB298_13 Depth=1
	s_or_b64 exec, exec, s[48:49]
	s_and_b64 vcc, vcc, exec
	s_or_saveexec_b64 s[46:47], s[46:47]
	v_mov_b32_e32 v61, s50
	s_xor_b64 exec, exec, s[46:47]
	s_cbranch_execz .LBB298_562
.LBB298_853:                            ;   in Loop: Header=BB298_13 Depth=1
	v_cmp_ne_u16_sdwa s[48:49], v4, v9 src0_sel:BYTE_0 src1_sel:DWORD
	s_andn2_b64 vcc, vcc, exec
	s_and_b64 s[48:49], s[48:49], exec
	v_mov_b32_e32 v61, 0
	s_or_b64 vcc, vcc, s[48:49]
	s_or_b64 exec, exec, s[46:47]
	s_and_saveexec_b64 s[46:47], vcc
	s_cbranch_execnz .LBB298_563
	s_branch .LBB298_564
.LBB298_854:                            ;   in Loop: Header=BB298_13 Depth=1
	v_cmp_eq_u16_e32 vcc, s54, v8
	s_mov_b64 s[46:47], -1
                                        ; implicit-def: $sgpr56
	s_and_saveexec_b64 s[50:51], vcc
; %bb.855:                              ;   in Loop: Header=BB298_13 Depth=1
	s_mov_b32 s56, 0x7fc02000
	s_xor_b64 s[46:47], exec, -1
; %bb.856:                              ;   in Loop: Header=BB298_13 Depth=1
	s_or_b64 exec, exec, s[50:51]
	s_and_b64 s[46:47], s[46:47], exec
	s_or_saveexec_b64 s[48:49], s[48:49]
	v_mov_b32_e32 v24, s56
	s_xor_b64 exec, exec, s[48:49]
	s_cbranch_execz .LBB298_566
.LBB298_857:                            ;   in Loop: Header=BB298_13 Depth=1
	v_cmp_ne_u16_e32 vcc, 0, v8
	s_andn2_b64 s[46:47], s[46:47], exec
	s_and_b64 vcc, vcc, exec
	v_mov_b32_e32 v24, 0
	s_or_b64 s[46:47], s[46:47], vcc
	s_or_b64 exec, exec, s[48:49]
	s_and_saveexec_b64 s[48:49], s[46:47]
	s_cbranch_execnz .LBB298_567
	s_branch .LBB298_568
.LBB298_858:                            ;   in Loop: Header=BB298_13 Depth=1
	v_cmp_eq_u16_sdwa s[56:57], v8, s54 src0_sel:BYTE_0 src1_sel:DWORD
	s_mov_b64 vcc, -1
                                        ; implicit-def: $sgpr50
	s_and_saveexec_b64 s[48:49], s[56:57]
; %bb.859:                              ;   in Loop: Header=BB298_13 Depth=1
	s_mov_b32 s50, 0x7fc02000
	s_xor_b64 vcc, exec, -1
; %bb.860:                              ;   in Loop: Header=BB298_13 Depth=1
	s_or_b64 exec, exec, s[48:49]
	s_and_b64 vcc, vcc, exec
	s_or_saveexec_b64 s[46:47], s[46:47]
	v_mov_b32_e32 v22, s50
	s_xor_b64 exec, exec, s[46:47]
	s_cbranch_execz .LBB298_570
.LBB298_861:                            ;   in Loop: Header=BB298_13 Depth=1
	v_cmp_ne_u16_sdwa s[48:49], v8, v9 src0_sel:BYTE_0 src1_sel:DWORD
	s_andn2_b64 vcc, vcc, exec
	s_and_b64 s[48:49], s[48:49], exec
	v_mov_b32_e32 v22, 0
	s_or_b64 vcc, vcc, s[48:49]
	s_or_b64 exec, exec, s[46:47]
	s_and_saveexec_b64 s[46:47], vcc
	s_cbranch_execnz .LBB298_571
	s_branch .LBB298_572
.LBB298_862:                            ;   in Loop: Header=BB298_13 Depth=1
	v_cmp_eq_u16_e32 vcc, s54, v8
	s_mov_b64 s[46:47], -1
                                        ; implicit-def: $sgpr56
	s_and_saveexec_b64 s[50:51], vcc
; %bb.863:                              ;   in Loop: Header=BB298_13 Depth=1
	s_mov_b32 s56, 0x7fc02000
	s_xor_b64 s[46:47], exec, -1
; %bb.864:                              ;   in Loop: Header=BB298_13 Depth=1
	s_or_b64 exec, exec, s[50:51]
	s_and_b64 s[46:47], s[46:47], exec
	s_or_saveexec_b64 s[48:49], s[48:49]
	v_mov_b32_e32 v56, s56
	s_xor_b64 exec, exec, s[48:49]
	s_cbranch_execz .LBB298_574
.LBB298_865:                            ;   in Loop: Header=BB298_13 Depth=1
	v_cmp_ne_u16_e32 vcc, 0, v8
	s_andn2_b64 s[46:47], s[46:47], exec
	s_and_b64 vcc, vcc, exec
	v_mov_b32_e32 v56, 0
	s_or_b64 s[46:47], s[46:47], vcc
	s_or_b64 exec, exec, s[48:49]
	s_and_saveexec_b64 s[48:49], s[46:47]
	s_cbranch_execnz .LBB298_575
	s_branch .LBB298_576
.LBB298_866:                            ;   in Loop: Header=BB298_13 Depth=1
	v_cmp_eq_u16_sdwa s[56:57], v4, s54 src0_sel:BYTE_0 src1_sel:DWORD
	s_mov_b64 vcc, -1
                                        ; implicit-def: $sgpr50
	s_and_saveexec_b64 s[48:49], s[56:57]
; %bb.867:                              ;   in Loop: Header=BB298_13 Depth=1
	s_mov_b32 s50, 0x7fc02000
	s_xor_b64 vcc, exec, -1
; %bb.868:                              ;   in Loop: Header=BB298_13 Depth=1
	s_or_b64 exec, exec, s[48:49]
	s_and_b64 vcc, vcc, exec
	s_or_saveexec_b64 s[46:47], s[46:47]
	v_mov_b32_e32 v31, s50
	s_xor_b64 exec, exec, s[46:47]
	s_cbranch_execz .LBB298_578
.LBB298_869:                            ;   in Loop: Header=BB298_13 Depth=1
	v_cmp_ne_u16_sdwa s[48:49], v4, v9 src0_sel:BYTE_0 src1_sel:DWORD
	s_andn2_b64 vcc, vcc, exec
	s_and_b64 s[48:49], s[48:49], exec
	v_mov_b32_e32 v31, 0
	s_or_b64 vcc, vcc, s[48:49]
	s_or_b64 exec, exec, s[46:47]
	s_and_saveexec_b64 s[46:47], vcc
	s_cbranch_execnz .LBB298_579
	s_branch .LBB298_580
.LBB298_870:                            ;   in Loop: Header=BB298_13 Depth=1
	v_cmp_eq_u16_e32 vcc, s54, v8
	s_mov_b64 s[46:47], -1
                                        ; implicit-def: $sgpr56
	s_and_saveexec_b64 s[50:51], vcc
; %bb.871:                              ;   in Loop: Header=BB298_13 Depth=1
	s_mov_b32 s56, 0x7fc02000
	s_xor_b64 s[46:47], exec, -1
; %bb.872:                              ;   in Loop: Header=BB298_13 Depth=1
	s_or_b64 exec, exec, s[50:51]
	s_and_b64 s[46:47], s[46:47], exec
	s_or_saveexec_b64 s[48:49], s[48:49]
	v_mov_b32_e32 v6, s56
	s_xor_b64 exec, exec, s[48:49]
	s_cbranch_execz .LBB298_582
.LBB298_873:                            ;   in Loop: Header=BB298_13 Depth=1
	v_cmp_ne_u16_e32 vcc, 0, v8
	s_andn2_b64 s[46:47], s[46:47], exec
	s_and_b64 vcc, vcc, exec
	v_mov_b32_e32 v6, 0
	s_or_b64 s[46:47], s[46:47], vcc
	s_or_b64 exec, exec, s[48:49]
	s_and_saveexec_b64 s[48:49], s[46:47]
	s_cbranch_execnz .LBB298_583
	s_branch .LBB298_584
.LBB298_874:                            ;   in Loop: Header=BB298_13 Depth=1
	v_cmp_eq_u16_sdwa s[56:57], v8, s54 src0_sel:BYTE_0 src1_sel:DWORD
	s_mov_b64 vcc, -1
                                        ; implicit-def: $sgpr50
	s_and_saveexec_b64 s[48:49], s[56:57]
; %bb.875:                              ;   in Loop: Header=BB298_13 Depth=1
	s_mov_b32 s50, 0x7fc02000
	s_xor_b64 vcc, exec, -1
; %bb.876:                              ;   in Loop: Header=BB298_13 Depth=1
	s_or_b64 exec, exec, s[48:49]
	s_and_b64 vcc, vcc, exec
	s_or_saveexec_b64 s[46:47], s[46:47]
	v_mov_b32_e32 v45, s50
	s_xor_b64 exec, exec, s[46:47]
	s_cbranch_execz .LBB298_586
.LBB298_877:                            ;   in Loop: Header=BB298_13 Depth=1
	v_cmp_ne_u16_sdwa s[48:49], v8, v9 src0_sel:BYTE_0 src1_sel:DWORD
	s_andn2_b64 vcc, vcc, exec
	s_and_b64 s[48:49], s[48:49], exec
	v_mov_b32_e32 v45, 0
	s_or_b64 vcc, vcc, s[48:49]
	s_or_b64 exec, exec, s[46:47]
	s_and_saveexec_b64 s[46:47], vcc
	s_cbranch_execnz .LBB298_587
	s_branch .LBB298_588
.LBB298_878:                            ;   in Loop: Header=BB298_13 Depth=1
	v_cmp_eq_u16_e32 vcc, s54, v8
	s_mov_b64 s[46:47], -1
                                        ; implicit-def: $sgpr56
	s_and_saveexec_b64 s[50:51], vcc
; %bb.879:                              ;   in Loop: Header=BB298_13 Depth=1
	s_mov_b32 s56, 0x7fc02000
	s_xor_b64 s[46:47], exec, -1
; %bb.880:                              ;   in Loop: Header=BB298_13 Depth=1
	s_or_b64 exec, exec, s[50:51]
	s_and_b64 s[46:47], s[46:47], exec
	s_or_saveexec_b64 s[48:49], s[48:49]
	v_mov_b32_e32 v35, s56
	s_xor_b64 exec, exec, s[48:49]
	s_cbranch_execz .LBB298_590
.LBB298_881:                            ;   in Loop: Header=BB298_13 Depth=1
	v_cmp_ne_u16_e32 vcc, 0, v8
	s_andn2_b64 s[46:47], s[46:47], exec
	s_and_b64 vcc, vcc, exec
	v_mov_b32_e32 v35, 0
	s_or_b64 s[46:47], s[46:47], vcc
	s_or_b64 exec, exec, s[48:49]
	s_and_saveexec_b64 s[48:49], s[46:47]
	s_cbranch_execnz .LBB298_591
	s_branch .LBB298_592
.LBB298_882:                            ;   in Loop: Header=BB298_13 Depth=1
	v_cmp_eq_u16_sdwa s[56:57], v4, s54 src0_sel:BYTE_0 src1_sel:DWORD
	s_mov_b64 vcc, -1
                                        ; implicit-def: $sgpr50
	s_and_saveexec_b64 s[48:49], s[56:57]
; %bb.883:                              ;   in Loop: Header=BB298_13 Depth=1
	s_mov_b32 s50, 0x7fc02000
	s_xor_b64 vcc, exec, -1
; %bb.884:                              ;   in Loop: Header=BB298_13 Depth=1
	s_or_b64 exec, exec, s[48:49]
	s_and_b64 vcc, vcc, exec
	s_or_saveexec_b64 s[46:47], s[46:47]
	v_mov_b32_e32 v13, s50
	s_xor_b64 exec, exec, s[46:47]
	s_cbranch_execz .LBB298_594
.LBB298_885:                            ;   in Loop: Header=BB298_13 Depth=1
	v_cmp_ne_u16_sdwa s[48:49], v4, v9 src0_sel:BYTE_0 src1_sel:DWORD
	s_andn2_b64 vcc, vcc, exec
	s_and_b64 s[48:49], s[48:49], exec
	v_mov_b32_e32 v13, 0
	s_or_b64 vcc, vcc, s[48:49]
	s_or_b64 exec, exec, s[46:47]
	s_and_saveexec_b64 s[46:47], vcc
	s_cbranch_execnz .LBB298_595
	s_branch .LBB298_596
.LBB298_886:                            ;   in Loop: Header=BB298_13 Depth=1
	v_cmp_eq_u16_e32 vcc, s54, v8
	s_mov_b64 s[46:47], -1
                                        ; implicit-def: $sgpr56
	s_and_saveexec_b64 s[50:51], vcc
; %bb.887:                              ;   in Loop: Header=BB298_13 Depth=1
	s_mov_b32 s56, 0x7fc02000
	s_xor_b64 s[46:47], exec, -1
; %bb.888:                              ;   in Loop: Header=BB298_13 Depth=1
	s_or_b64 exec, exec, s[50:51]
	s_and_b64 s[46:47], s[46:47], exec
	s_or_saveexec_b64 s[48:49], s[48:49]
	v_mov_b32_e32 v28, s56
	s_xor_b64 exec, exec, s[48:49]
	s_cbranch_execz .LBB298_598
.LBB298_889:                            ;   in Loop: Header=BB298_13 Depth=1
	v_cmp_ne_u16_e32 vcc, 0, v8
	s_andn2_b64 s[46:47], s[46:47], exec
	s_and_b64 vcc, vcc, exec
	v_mov_b32_e32 v28, 0
	s_or_b64 s[46:47], s[46:47], vcc
	s_or_b64 exec, exec, s[48:49]
	s_and_saveexec_b64 s[48:49], s[46:47]
	s_cbranch_execnz .LBB298_599
	s_branch .LBB298_600
.LBB298_890:                            ;   in Loop: Header=BB298_13 Depth=1
	v_cmp_eq_u16_sdwa s[56:57], v8, s54 src0_sel:BYTE_0 src1_sel:DWORD
	s_mov_b64 vcc, -1
                                        ; implicit-def: $sgpr50
	s_and_saveexec_b64 s[48:49], s[56:57]
; %bb.891:                              ;   in Loop: Header=BB298_13 Depth=1
	s_mov_b32 s50, 0x7fc02000
	s_xor_b64 vcc, exec, -1
; %bb.892:                              ;   in Loop: Header=BB298_13 Depth=1
	s_or_b64 exec, exec, s[48:49]
	s_and_b64 vcc, vcc, exec
	s_or_saveexec_b64 s[46:47], s[46:47]
	v_mov_b32_e32 v10, s50
	s_xor_b64 exec, exec, s[46:47]
	s_cbranch_execz .LBB298_602
.LBB298_893:                            ;   in Loop: Header=BB298_13 Depth=1
	v_cmp_ne_u16_sdwa s[48:49], v8, v9 src0_sel:BYTE_0 src1_sel:DWORD
	s_andn2_b64 vcc, vcc, exec
	s_and_b64 s[48:49], s[48:49], exec
	v_mov_b32_e32 v10, 0
	s_or_b64 vcc, vcc, s[48:49]
	s_or_b64 exec, exec, s[46:47]
	s_and_saveexec_b64 s[46:47], vcc
	s_cbranch_execnz .LBB298_603
	s_branch .LBB298_604
.LBB298_894:                            ;   in Loop: Header=BB298_13 Depth=1
	v_cmp_eq_u16_e32 vcc, s54, v8
	s_mov_b64 s[46:47], -1
                                        ; implicit-def: $sgpr56
	s_and_saveexec_b64 s[50:51], vcc
; %bb.895:                              ;   in Loop: Header=BB298_13 Depth=1
	s_mov_b32 s56, 0x7fc02000
	s_xor_b64 s[46:47], exec, -1
; %bb.896:                              ;   in Loop: Header=BB298_13 Depth=1
	s_or_b64 exec, exec, s[50:51]
	s_and_b64 s[46:47], s[46:47], exec
	s_or_saveexec_b64 s[48:49], s[48:49]
	v_mov_b32_e32 v27, s56
	s_xor_b64 exec, exec, s[48:49]
	s_cbranch_execz .LBB298_606
.LBB298_897:                            ;   in Loop: Header=BB298_13 Depth=1
	v_cmp_ne_u16_e32 vcc, 0, v8
	s_andn2_b64 s[46:47], s[46:47], exec
	s_and_b64 vcc, vcc, exec
	v_mov_b32_e32 v27, 0
	s_or_b64 s[46:47], s[46:47], vcc
	s_or_b64 exec, exec, s[48:49]
	s_and_saveexec_b64 s[48:49], s[46:47]
	s_cbranch_execnz .LBB298_607
	s_branch .LBB298_608
.LBB298_898:                            ;   in Loop: Header=BB298_13 Depth=1
	v_cmp_eq_u16_sdwa s[56:57], v4, s54 src0_sel:BYTE_0 src1_sel:DWORD
	s_mov_b64 vcc, -1
                                        ; implicit-def: $sgpr50
	s_and_saveexec_b64 s[48:49], s[56:57]
; %bb.899:                              ;   in Loop: Header=BB298_13 Depth=1
	s_mov_b32 s50, 0x7fc02000
	s_xor_b64 vcc, exec, -1
; %bb.900:                              ;   in Loop: Header=BB298_13 Depth=1
	s_or_b64 exec, exec, s[48:49]
	s_and_b64 vcc, vcc, exec
	s_or_saveexec_b64 s[46:47], s[46:47]
	v_mov_b32_e32 v52, s50
	s_xor_b64 exec, exec, s[46:47]
	s_cbranch_execz .LBB298_610
.LBB298_901:                            ;   in Loop: Header=BB298_13 Depth=1
	v_cmp_ne_u16_sdwa s[48:49], v4, v9 src0_sel:BYTE_0 src1_sel:DWORD
	s_andn2_b64 vcc, vcc, exec
	s_and_b64 s[48:49], s[48:49], exec
	v_mov_b32_e32 v52, 0
	s_or_b64 vcc, vcc, s[48:49]
	s_or_b64 exec, exec, s[46:47]
	s_and_saveexec_b64 s[46:47], vcc
	s_cbranch_execnz .LBB298_611
	s_branch .LBB298_612
.LBB298_902:                            ;   in Loop: Header=BB298_13 Depth=1
	v_cmp_eq_u16_e32 vcc, s54, v8
	s_mov_b64 s[46:47], -1
                                        ; implicit-def: $sgpr56
	s_and_saveexec_b64 s[50:51], vcc
; %bb.903:                              ;   in Loop: Header=BB298_13 Depth=1
	s_mov_b32 s56, 0x7fc02000
	s_xor_b64 s[46:47], exec, -1
; %bb.904:                              ;   in Loop: Header=BB298_13 Depth=1
	s_or_b64 exec, exec, s[50:51]
	s_and_b64 s[46:47], s[46:47], exec
	s_or_saveexec_b64 s[48:49], s[48:49]
	v_mov_b32_e32 v2, s56
	s_xor_b64 exec, exec, s[48:49]
	s_cbranch_execz .LBB298_614
.LBB298_905:                            ;   in Loop: Header=BB298_13 Depth=1
	v_cmp_ne_u16_e32 vcc, 0, v8
	s_andn2_b64 s[46:47], s[46:47], exec
	s_and_b64 vcc, vcc, exec
	v_mov_b32_e32 v2, 0
	s_or_b64 s[46:47], s[46:47], vcc
	s_or_b64 exec, exec, s[48:49]
	s_and_saveexec_b64 s[48:49], s[46:47]
	s_cbranch_execnz .LBB298_615
	s_branch .LBB298_616
.LBB298_906:                            ;   in Loop: Header=BB298_13 Depth=1
	v_cmp_eq_u16_sdwa s[56:57], v8, s54 src0_sel:BYTE_0 src1_sel:DWORD
	s_mov_b64 vcc, -1
                                        ; implicit-def: $sgpr50
	s_and_saveexec_b64 s[48:49], s[56:57]
; %bb.907:                              ;   in Loop: Header=BB298_13 Depth=1
	s_mov_b32 s50, 0x7fc02000
	s_xor_b64 vcc, exec, -1
; %bb.908:                              ;   in Loop: Header=BB298_13 Depth=1
	s_or_b64 exec, exec, s[48:49]
	s_and_b64 vcc, vcc, exec
	s_or_saveexec_b64 s[46:47], s[46:47]
	v_mov_b32_e32 v33, s50
	s_xor_b64 exec, exec, s[46:47]
	s_cbranch_execz .LBB298_618
.LBB298_909:                            ;   in Loop: Header=BB298_13 Depth=1
	v_cmp_ne_u16_sdwa s[48:49], v8, v9 src0_sel:BYTE_0 src1_sel:DWORD
	s_andn2_b64 vcc, vcc, exec
	s_and_b64 s[48:49], s[48:49], exec
	v_mov_b32_e32 v33, 0
	s_or_b64 vcc, vcc, s[48:49]
	s_or_b64 exec, exec, s[46:47]
	s_and_saveexec_b64 s[46:47], vcc
	s_cbranch_execnz .LBB298_619
	s_branch .LBB298_620
.LBB298_910:                            ;   in Loop: Header=BB298_13 Depth=1
	v_cmp_eq_u16_e32 vcc, s54, v8
	s_mov_b64 s[46:47], -1
                                        ; implicit-def: $sgpr56
	s_and_saveexec_b64 s[50:51], vcc
; %bb.911:                              ;   in Loop: Header=BB298_13 Depth=1
	s_mov_b32 s56, 0x7fc02000
	s_xor_b64 s[46:47], exec, -1
; %bb.912:                              ;   in Loop: Header=BB298_13 Depth=1
	s_or_b64 exec, exec, s[50:51]
	s_and_b64 s[46:47], s[46:47], exec
	s_or_saveexec_b64 s[48:49], s[48:49]
	v_mov_b32_e32 v26, s56
	s_xor_b64 exec, exec, s[48:49]
	s_cbranch_execz .LBB298_622
.LBB298_913:                            ;   in Loop: Header=BB298_13 Depth=1
	v_cmp_ne_u16_e32 vcc, 0, v8
	s_andn2_b64 s[46:47], s[46:47], exec
	s_and_b64 vcc, vcc, exec
	v_mov_b32_e32 v26, 0
	s_or_b64 s[46:47], s[46:47], vcc
	s_or_b64 exec, exec, s[48:49]
	s_and_saveexec_b64 s[48:49], s[46:47]
	s_cbranch_execnz .LBB298_623
	s_branch .LBB298_624
.LBB298_914:                            ;   in Loop: Header=BB298_13 Depth=1
	v_cmp_eq_u16_sdwa s[56:57], v4, s54 src0_sel:BYTE_0 src1_sel:DWORD
	s_mov_b64 vcc, -1
                                        ; implicit-def: $sgpr50
	s_and_saveexec_b64 s[48:49], s[56:57]
; %bb.915:                              ;   in Loop: Header=BB298_13 Depth=1
	s_mov_b32 s50, 0x7fc02000
	s_xor_b64 vcc, exec, -1
; %bb.916:                              ;   in Loop: Header=BB298_13 Depth=1
	s_or_b64 exec, exec, s[48:49]
	s_and_b64 vcc, vcc, exec
	s_or_saveexec_b64 s[46:47], s[46:47]
	v_mov_b32_e32 v32, s50
	s_xor_b64 exec, exec, s[46:47]
	s_cbranch_execz .LBB298_626
.LBB298_917:                            ;   in Loop: Header=BB298_13 Depth=1
	v_cmp_ne_u16_sdwa s[48:49], v4, v9 src0_sel:BYTE_0 src1_sel:DWORD
	s_andn2_b64 vcc, vcc, exec
	s_and_b64 s[48:49], s[48:49], exec
	v_mov_b32_e32 v32, 0
	s_or_b64 vcc, vcc, s[48:49]
	s_or_b64 exec, exec, s[46:47]
	s_and_saveexec_b64 s[46:47], vcc
	s_cbranch_execnz .LBB298_627
	s_branch .LBB298_628
.LBB298_918:                            ;   in Loop: Header=BB298_13 Depth=1
	v_cmp_eq_u16_e32 vcc, s54, v8
	s_mov_b64 s[46:47], -1
                                        ; implicit-def: $sgpr56
	s_and_saveexec_b64 s[50:51], vcc
; %bb.919:                              ;   in Loop: Header=BB298_13 Depth=1
	s_mov_b32 s56, 0x7fc02000
	s_xor_b64 s[46:47], exec, -1
; %bb.920:                              ;   in Loop: Header=BB298_13 Depth=1
	s_or_b64 exec, exec, s[50:51]
	s_and_b64 s[46:47], s[46:47], exec
	s_or_saveexec_b64 s[48:49], s[48:49]
	v_mov_b32_e32 v36, s56
	s_xor_b64 exec, exec, s[48:49]
	s_cbranch_execz .LBB298_630
.LBB298_921:                            ;   in Loop: Header=BB298_13 Depth=1
	v_cmp_ne_u16_e32 vcc, 0, v8
	s_andn2_b64 s[46:47], s[46:47], exec
	s_and_b64 vcc, vcc, exec
	v_mov_b32_e32 v36, 0
	s_or_b64 s[46:47], s[46:47], vcc
	s_or_b64 exec, exec, s[48:49]
	s_and_saveexec_b64 s[48:49], s[46:47]
	s_cbranch_execnz .LBB298_631
	s_branch .LBB298_632
.LBB298_922:                            ;   in Loop: Header=BB298_13 Depth=1
	v_cmp_eq_u16_sdwa s[56:57], v8, s54 src0_sel:BYTE_0 src1_sel:DWORD
	s_mov_b64 vcc, -1
                                        ; implicit-def: $sgpr50
	s_and_saveexec_b64 s[48:49], s[56:57]
; %bb.923:                              ;   in Loop: Header=BB298_13 Depth=1
	s_mov_b32 s50, 0x7fc02000
	s_xor_b64 vcc, exec, -1
; %bb.924:                              ;   in Loop: Header=BB298_13 Depth=1
	s_or_b64 exec, exec, s[48:49]
	s_and_b64 vcc, vcc, exec
	s_or_saveexec_b64 s[46:47], s[46:47]
	v_mov_b32_e32 v58, s50
	s_xor_b64 exec, exec, s[46:47]
	s_cbranch_execz .LBB298_634
.LBB298_925:                            ;   in Loop: Header=BB298_13 Depth=1
	v_cmp_ne_u16_sdwa s[48:49], v8, v9 src0_sel:BYTE_0 src1_sel:DWORD
	s_andn2_b64 vcc, vcc, exec
	s_and_b64 s[48:49], s[48:49], exec
	v_mov_b32_e32 v58, 0
	s_or_b64 vcc, vcc, s[48:49]
	s_or_b64 exec, exec, s[46:47]
	s_and_saveexec_b64 s[46:47], vcc
	s_cbranch_execnz .LBB298_635
	s_branch .LBB298_636
.LBB298_926:                            ;   in Loop: Header=BB298_13 Depth=1
	v_cmp_eq_u16_e32 vcc, s54, v8
	s_mov_b64 s[46:47], -1
                                        ; implicit-def: $sgpr56
	s_and_saveexec_b64 s[50:51], vcc
; %bb.927:                              ;   in Loop: Header=BB298_13 Depth=1
	s_mov_b32 s56, 0x7fc02000
	s_xor_b64 s[46:47], exec, -1
; %bb.928:                              ;   in Loop: Header=BB298_13 Depth=1
	s_or_b64 exec, exec, s[50:51]
	s_and_b64 s[46:47], s[46:47], exec
	s_or_saveexec_b64 s[48:49], s[48:49]
	v_mov_b32_e32 v38, s56
	s_xor_b64 exec, exec, s[48:49]
	s_cbranch_execz .LBB298_638
.LBB298_929:                            ;   in Loop: Header=BB298_13 Depth=1
	v_cmp_ne_u16_e32 vcc, 0, v8
	s_andn2_b64 s[46:47], s[46:47], exec
	s_and_b64 vcc, vcc, exec
	v_mov_b32_e32 v38, 0
	s_or_b64 s[46:47], s[46:47], vcc
	s_or_b64 exec, exec, s[48:49]
	s_and_saveexec_b64 s[48:49], s[46:47]
	s_cbranch_execnz .LBB298_639
	s_branch .LBB298_640
.LBB298_930:                            ;   in Loop: Header=BB298_13 Depth=1
	v_cmp_eq_u16_sdwa s[56:57], v4, s54 src0_sel:BYTE_0 src1_sel:DWORD
	s_mov_b64 vcc, -1
                                        ; implicit-def: $sgpr50
	s_and_saveexec_b64 s[48:49], s[56:57]
; %bb.931:                              ;   in Loop: Header=BB298_13 Depth=1
	s_mov_b32 s50, 0x7fc02000
	s_xor_b64 vcc, exec, -1
; %bb.932:                              ;   in Loop: Header=BB298_13 Depth=1
	s_or_b64 exec, exec, s[48:49]
	s_and_b64 vcc, vcc, exec
	s_or_saveexec_b64 s[46:47], s[46:47]
	v_mov_b32_e32 v16, s50
	s_xor_b64 exec, exec, s[46:47]
	s_cbranch_execz .LBB298_642
.LBB298_933:                            ;   in Loop: Header=BB298_13 Depth=1
	v_cmp_ne_u16_sdwa s[48:49], v4, v9 src0_sel:BYTE_0 src1_sel:DWORD
	s_andn2_b64 vcc, vcc, exec
	s_and_b64 s[48:49], s[48:49], exec
	v_mov_b32_e32 v16, 0
	s_or_b64 vcc, vcc, s[48:49]
	s_or_b64 exec, exec, s[46:47]
	s_and_saveexec_b64 s[46:47], vcc
	s_cbranch_execnz .LBB298_643
	s_branch .LBB298_644
.LBB298_934:                            ;   in Loop: Header=BB298_13 Depth=1
	v_cmp_eq_u16_e32 vcc, s54, v8
	s_mov_b64 s[46:47], -1
                                        ; implicit-def: $sgpr56
	s_and_saveexec_b64 s[50:51], vcc
; %bb.935:                              ;   in Loop: Header=BB298_13 Depth=1
	s_mov_b32 s56, 0x7fc02000
	s_xor_b64 s[46:47], exec, -1
; %bb.936:                              ;   in Loop: Header=BB298_13 Depth=1
	s_or_b64 exec, exec, s[50:51]
	s_and_b64 s[46:47], s[46:47], exec
	s_or_saveexec_b64 s[48:49], s[48:49]
	v_mov_b32_e32 v14, s56
	s_xor_b64 exec, exec, s[48:49]
	s_cbranch_execz .LBB298_646
.LBB298_937:                            ;   in Loop: Header=BB298_13 Depth=1
	v_cmp_ne_u16_e32 vcc, 0, v8
	s_andn2_b64 s[46:47], s[46:47], exec
	s_and_b64 vcc, vcc, exec
	v_mov_b32_e32 v14, 0
	s_or_b64 s[46:47], s[46:47], vcc
	s_or_b64 exec, exec, s[48:49]
	s_and_saveexec_b64 s[48:49], s[46:47]
	s_cbranch_execnz .LBB298_647
	s_branch .LBB298_648
.LBB298_938:                            ;   in Loop: Header=BB298_13 Depth=1
	v_cmp_eq_u16_sdwa s[56:57], v8, s54 src0_sel:BYTE_0 src1_sel:DWORD
	s_mov_b64 vcc, -1
                                        ; implicit-def: $sgpr50
	s_and_saveexec_b64 s[48:49], s[56:57]
; %bb.939:                              ;   in Loop: Header=BB298_13 Depth=1
	s_mov_b32 s50, 0x7fc02000
	s_xor_b64 vcc, exec, -1
; %bb.940:                              ;   in Loop: Header=BB298_13 Depth=1
	s_or_b64 exec, exec, s[48:49]
	s_and_b64 vcc, vcc, exec
	s_or_saveexec_b64 s[46:47], s[46:47]
	v_mov_b32_e32 v37, s50
	s_xor_b64 exec, exec, s[46:47]
	s_cbranch_execz .LBB298_650
.LBB298_941:                            ;   in Loop: Header=BB298_13 Depth=1
	v_cmp_ne_u16_sdwa s[48:49], v8, v9 src0_sel:BYTE_0 src1_sel:DWORD
	s_andn2_b64 vcc, vcc, exec
	s_and_b64 s[48:49], s[48:49], exec
	v_mov_b32_e32 v37, 0
	s_or_b64 vcc, vcc, s[48:49]
	s_or_b64 exec, exec, s[46:47]
	s_and_saveexec_b64 s[46:47], vcc
	s_cbranch_execnz .LBB298_651
	s_branch .LBB298_652
.LBB298_942:                            ;   in Loop: Header=BB298_13 Depth=1
	v_cmp_eq_u16_e32 vcc, s54, v8
	s_mov_b64 s[46:47], -1
                                        ; implicit-def: $sgpr56
	s_and_saveexec_b64 s[50:51], vcc
; %bb.943:                              ;   in Loop: Header=BB298_13 Depth=1
	s_mov_b32 s56, 0x7fc02000
	s_xor_b64 s[46:47], exec, -1
; %bb.944:                              ;   in Loop: Header=BB298_13 Depth=1
	s_or_b64 exec, exec, s[50:51]
	s_and_b64 s[46:47], s[46:47], exec
	s_or_saveexec_b64 s[48:49], s[48:49]
	v_mov_b32_e32 v0, s56
	s_xor_b64 exec, exec, s[48:49]
	s_cbranch_execz .LBB298_654
.LBB298_945:                            ;   in Loop: Header=BB298_13 Depth=1
	v_cmp_ne_u16_e32 vcc, 0, v8
	s_andn2_b64 s[46:47], s[46:47], exec
	s_and_b64 vcc, vcc, exec
	v_mov_b32_e32 v0, 0
	s_or_b64 s[46:47], s[46:47], vcc
	s_or_b64 exec, exec, s[48:49]
	s_and_saveexec_b64 s[48:49], s[46:47]
	s_cbranch_execnz .LBB298_655
	s_branch .LBB298_656
.LBB298_946:                            ;   in Loop: Header=BB298_13 Depth=1
	v_cmp_eq_u16_sdwa s[56:57], v4, s54 src0_sel:BYTE_0 src1_sel:DWORD
	s_mov_b64 vcc, -1
                                        ; implicit-def: $sgpr50
	s_and_saveexec_b64 s[48:49], s[56:57]
; %bb.947:                              ;   in Loop: Header=BB298_13 Depth=1
	s_mov_b32 s50, 0x7fc02000
	s_xor_b64 vcc, exec, -1
; %bb.948:                              ;   in Loop: Header=BB298_13 Depth=1
	s_or_b64 exec, exec, s[48:49]
	s_and_b64 vcc, vcc, exec
	s_or_saveexec_b64 s[46:47], s[46:47]
	v_mov_b32_e32 v15, s50
	s_xor_b64 exec, exec, s[46:47]
	s_cbranch_execz .LBB298_658
.LBB298_949:                            ;   in Loop: Header=BB298_13 Depth=1
	v_cmp_ne_u16_sdwa s[48:49], v4, v9 src0_sel:BYTE_0 src1_sel:DWORD
	s_andn2_b64 vcc, vcc, exec
	s_and_b64 s[48:49], s[48:49], exec
	v_mov_b32_e32 v15, 0
	s_or_b64 vcc, vcc, s[48:49]
	s_or_b64 exec, exec, s[46:47]
	s_and_saveexec_b64 s[46:47], vcc
	s_cbranch_execnz .LBB298_659
	s_branch .LBB298_660
.LBB298_950:                            ;   in Loop: Header=BB298_13 Depth=1
	v_cmp_eq_u16_e32 vcc, s54, v8
	s_mov_b64 s[46:47], -1
                                        ; implicit-def: $sgpr56
	s_and_saveexec_b64 s[50:51], vcc
; %bb.951:                              ;   in Loop: Header=BB298_13 Depth=1
	s_mov_b32 s56, 0x7fc02000
	s_xor_b64 s[46:47], exec, -1
; %bb.952:                              ;   in Loop: Header=BB298_13 Depth=1
	s_or_b64 exec, exec, s[50:51]
	s_and_b64 s[46:47], s[46:47], exec
	s_or_saveexec_b64 s[48:49], s[48:49]
	v_mov_b32_e32 v54, s56
	s_xor_b64 exec, exec, s[48:49]
	s_cbranch_execz .LBB298_662
.LBB298_953:                            ;   in Loop: Header=BB298_13 Depth=1
	v_cmp_ne_u16_e32 vcc, 0, v8
	s_andn2_b64 s[46:47], s[46:47], exec
	s_and_b64 vcc, vcc, exec
	v_mov_b32_e32 v54, 0
	s_or_b64 s[46:47], s[46:47], vcc
	s_or_b64 exec, exec, s[48:49]
	s_and_saveexec_b64 s[48:49], s[46:47]
	s_cbranch_execnz .LBB298_663
	s_branch .LBB298_664
.LBB298_954:                            ;   in Loop: Header=BB298_13 Depth=1
	v_cmp_eq_u16_sdwa s[56:57], v8, s54 src0_sel:BYTE_0 src1_sel:DWORD
	s_mov_b64 vcc, -1
                                        ; implicit-def: $sgpr50
	s_and_saveexec_b64 s[48:49], s[56:57]
; %bb.955:                              ;   in Loop: Header=BB298_13 Depth=1
	s_mov_b32 s50, 0x7fc02000
	s_xor_b64 vcc, exec, -1
; %bb.956:                              ;   in Loop: Header=BB298_13 Depth=1
	s_or_b64 exec, exec, s[48:49]
	s_and_b64 vcc, vcc, exec
	s_or_saveexec_b64 s[46:47], s[46:47]
	v_mov_b32_e32 v7, s50
	s_xor_b64 exec, exec, s[46:47]
	s_cbranch_execz .LBB298_666
.LBB298_957:                            ;   in Loop: Header=BB298_13 Depth=1
	v_cmp_ne_u16_sdwa s[48:49], v8, v9 src0_sel:BYTE_0 src1_sel:DWORD
	s_andn2_b64 vcc, vcc, exec
	s_and_b64 s[48:49], s[48:49], exec
	v_mov_b32_e32 v7, 0
	s_or_b64 vcc, vcc, s[48:49]
	s_or_b64 exec, exec, s[46:47]
	s_and_saveexec_b64 s[46:47], vcc
	s_cbranch_execnz .LBB298_667
	s_branch .LBB298_668
.LBB298_958:                            ;   in Loop: Header=BB298_13 Depth=1
	v_cmp_eq_u16_e32 vcc, s54, v8
	s_mov_b64 s[46:47], -1
                                        ; implicit-def: $sgpr56
	s_and_saveexec_b64 s[50:51], vcc
; %bb.959:                              ;   in Loop: Header=BB298_13 Depth=1
	s_mov_b32 s56, 0x7fc02000
	s_xor_b64 s[46:47], exec, -1
; %bb.960:                              ;   in Loop: Header=BB298_13 Depth=1
	s_or_b64 exec, exec, s[50:51]
	s_and_b64 s[46:47], s[46:47], exec
	s_or_saveexec_b64 s[48:49], s[48:49]
	v_mov_b32_e32 v42, s56
	s_xor_b64 exec, exec, s[48:49]
	s_cbranch_execz .LBB298_670
.LBB298_961:                            ;   in Loop: Header=BB298_13 Depth=1
	v_cmp_ne_u16_e32 vcc, 0, v8
	s_andn2_b64 s[46:47], s[46:47], exec
	s_and_b64 vcc, vcc, exec
	v_mov_b32_e32 v42, 0
	s_or_b64 s[46:47], s[46:47], vcc
	s_or_b64 exec, exec, s[48:49]
	s_and_saveexec_b64 s[48:49], s[46:47]
	s_cbranch_execnz .LBB298_671
	s_branch .LBB298_672
.LBB298_962:                            ;   in Loop: Header=BB298_13 Depth=1
	v_cmp_eq_u16_sdwa s[56:57], v4, s54 src0_sel:BYTE_0 src1_sel:DWORD
	s_mov_b64 vcc, -1
                                        ; implicit-def: $sgpr50
	s_and_saveexec_b64 s[48:49], s[56:57]
; %bb.963:                              ;   in Loop: Header=BB298_13 Depth=1
	s_mov_b32 s50, 0x7fc02000
	s_xor_b64 vcc, exec, -1
; %bb.964:                              ;   in Loop: Header=BB298_13 Depth=1
	s_or_b64 exec, exec, s[48:49]
	s_and_b64 vcc, vcc, exec
	s_or_saveexec_b64 s[46:47], s[46:47]
	v_mov_b32_e32 v44, s50
	s_xor_b64 exec, exec, s[46:47]
	s_cbranch_execz .LBB298_674
.LBB298_965:                            ;   in Loop: Header=BB298_13 Depth=1
	v_cmp_ne_u16_sdwa s[48:49], v4, v9 src0_sel:BYTE_0 src1_sel:DWORD
	s_andn2_b64 vcc, vcc, exec
	s_and_b64 s[48:49], s[48:49], exec
	v_mov_b32_e32 v44, 0
	s_or_b64 vcc, vcc, s[48:49]
	s_or_b64 exec, exec, s[46:47]
	s_and_saveexec_b64 s[46:47], vcc
	s_cbranch_execnz .LBB298_675
	s_branch .LBB298_676
.LBB298_966:                            ;   in Loop: Header=BB298_13 Depth=1
	v_cmp_eq_u16_e32 vcc, s54, v8
	s_mov_b64 s[46:47], -1
                                        ; implicit-def: $sgpr56
	s_and_saveexec_b64 s[50:51], vcc
; %bb.967:                              ;   in Loop: Header=BB298_13 Depth=1
	s_mov_b32 s56, 0x7fc02000
	s_xor_b64 s[46:47], exec, -1
; %bb.968:                              ;   in Loop: Header=BB298_13 Depth=1
	s_or_b64 exec, exec, s[50:51]
	s_and_b64 s[46:47], s[46:47], exec
	s_or_saveexec_b64 s[48:49], s[48:49]
	v_mov_b32_e32 v11, s56
	s_xor_b64 exec, exec, s[48:49]
	s_cbranch_execz .LBB298_678
.LBB298_969:                            ;   in Loop: Header=BB298_13 Depth=1
	v_cmp_ne_u16_e32 vcc, 0, v8
	s_andn2_b64 s[46:47], s[46:47], exec
	s_and_b64 vcc, vcc, exec
	v_mov_b32_e32 v11, 0
	s_or_b64 s[46:47], s[46:47], vcc
	s_or_b64 exec, exec, s[48:49]
	s_and_saveexec_b64 s[48:49], s[46:47]
	s_cbranch_execnz .LBB298_679
	s_branch .LBB298_680
.LBB298_970:                            ;   in Loop: Header=BB298_13 Depth=1
	v_cmp_eq_u16_sdwa s[56:57], v8, s54 src0_sel:BYTE_0 src1_sel:DWORD
	s_mov_b64 vcc, -1
                                        ; implicit-def: $sgpr50
	s_and_saveexec_b64 s[48:49], s[56:57]
; %bb.971:                              ;   in Loop: Header=BB298_13 Depth=1
	s_mov_b32 s50, 0x7fc02000
	s_xor_b64 vcc, exec, -1
; %bb.972:                              ;   in Loop: Header=BB298_13 Depth=1
	s_or_b64 exec, exec, s[48:49]
	s_and_b64 vcc, vcc, exec
	s_or_saveexec_b64 s[46:47], s[46:47]
	v_mov_b32_e32 v1, s50
	s_xor_b64 exec, exec, s[46:47]
	s_cbranch_execz .LBB298_682
.LBB298_973:                            ;   in Loop: Header=BB298_13 Depth=1
	v_cmp_ne_u16_sdwa s[48:49], v8, v9 src0_sel:BYTE_0 src1_sel:DWORD
	s_andn2_b64 vcc, vcc, exec
	s_and_b64 s[48:49], s[48:49], exec
	v_mov_b32_e32 v1, 0
	s_or_b64 vcc, vcc, s[48:49]
	s_or_b64 exec, exec, s[46:47]
	s_and_saveexec_b64 s[46:47], vcc
	s_cbranch_execnz .LBB298_683
	s_branch .LBB298_684
.LBB298_974:                            ;   in Loop: Header=BB298_13 Depth=1
	v_cmp_eq_u16_e32 vcc, s54, v8
	s_mov_b64 s[46:47], -1
                                        ; implicit-def: $sgpr56
	s_and_saveexec_b64 s[50:51], vcc
; %bb.975:                              ;   in Loop: Header=BB298_13 Depth=1
	s_mov_b32 s56, 0x7fc02000
	s_xor_b64 s[46:47], exec, -1
; %bb.976:                              ;   in Loop: Header=BB298_13 Depth=1
	s_or_b64 exec, exec, s[50:51]
	s_and_b64 s[46:47], s[46:47], exec
	s_or_saveexec_b64 s[48:49], s[48:49]
	v_mov_b32_e32 v12, s56
	s_xor_b64 exec, exec, s[48:49]
	s_cbranch_execz .LBB298_686
.LBB298_977:                            ;   in Loop: Header=BB298_13 Depth=1
	v_cmp_ne_u16_e32 vcc, 0, v8
	s_andn2_b64 s[46:47], s[46:47], exec
	s_and_b64 vcc, vcc, exec
	v_mov_b32_e32 v12, 0
	s_or_b64 s[46:47], s[46:47], vcc
	s_or_b64 exec, exec, s[48:49]
	s_and_saveexec_b64 s[48:49], s[46:47]
	s_cbranch_execnz .LBB298_687
	s_branch .LBB298_688
.LBB298_978:                            ;   in Loop: Header=BB298_13 Depth=1
	v_cmp_eq_u16_sdwa s[56:57], v4, s54 src0_sel:BYTE_0 src1_sel:DWORD
	s_mov_b64 vcc, -1
                                        ; implicit-def: $sgpr50
	s_and_saveexec_b64 s[48:49], s[56:57]
; %bb.979:                              ;   in Loop: Header=BB298_13 Depth=1
	s_mov_b32 s50, 0x7fc02000
	s_xor_b64 vcc, exec, -1
; %bb.980:                              ;   in Loop: Header=BB298_13 Depth=1
	s_or_b64 exec, exec, s[48:49]
	s_and_b64 vcc, vcc, exec
	s_or_saveexec_b64 s[46:47], s[46:47]
	v_mov_b32_e32 v3, s50
	s_xor_b64 exec, exec, s[46:47]
	s_cbranch_execz .LBB298_690
.LBB298_981:                            ;   in Loop: Header=BB298_13 Depth=1
	v_cmp_ne_u16_sdwa s[48:49], v4, v9 src0_sel:BYTE_0 src1_sel:DWORD
	s_andn2_b64 vcc, vcc, exec
	s_and_b64 s[48:49], s[48:49], exec
	v_mov_b32_e32 v3, 0
	s_or_b64 vcc, vcc, s[48:49]
	s_or_b64 exec, exec, s[46:47]
	s_and_saveexec_b64 s[46:47], vcc
	s_cbranch_execnz .LBB298_691
	s_branch .LBB298_692
.LBB298_982:                            ;   in Loop: Header=BB298_13 Depth=1
	v_cmp_eq_u16_e32 vcc, s54, v8
	s_mov_b64 s[46:47], -1
                                        ; implicit-def: $sgpr56
	s_and_saveexec_b64 s[50:51], vcc
; %bb.983:                              ;   in Loop: Header=BB298_13 Depth=1
	s_mov_b32 s56, 0x7fc02000
	s_xor_b64 s[46:47], exec, -1
; %bb.984:                              ;   in Loop: Header=BB298_13 Depth=1
	s_or_b64 exec, exec, s[50:51]
	s_and_b64 s[46:47], s[46:47], exec
	s_or_saveexec_b64 s[48:49], s[48:49]
	v_mov_b32_e32 v19, s56
	s_xor_b64 exec, exec, s[48:49]
	s_cbranch_execz .LBB298_694
.LBB298_985:                            ;   in Loop: Header=BB298_13 Depth=1
	v_cmp_ne_u16_e32 vcc, 0, v8
	s_andn2_b64 s[46:47], s[46:47], exec
	s_and_b64 vcc, vcc, exec
	v_mov_b32_e32 v19, 0
	s_or_b64 s[46:47], s[46:47], vcc
	s_or_b64 exec, exec, s[48:49]
	s_and_saveexec_b64 s[48:49], s[46:47]
	s_cbranch_execnz .LBB298_695
	s_branch .LBB298_696
.LBB298_986:                            ;   in Loop: Header=BB298_13 Depth=1
	v_cmp_eq_u16_sdwa s[56:57], v8, s54 src0_sel:BYTE_0 src1_sel:DWORD
	s_mov_b64 vcc, -1
                                        ; implicit-def: $sgpr50
	s_and_saveexec_b64 s[48:49], s[56:57]
; %bb.987:                              ;   in Loop: Header=BB298_13 Depth=1
	s_mov_b32 s50, 0x7fc02000
	s_xor_b64 vcc, exec, -1
; %bb.988:                              ;   in Loop: Header=BB298_13 Depth=1
	s_or_b64 exec, exec, s[48:49]
	s_and_b64 vcc, vcc, exec
	s_or_saveexec_b64 s[46:47], s[46:47]
	v_mov_b32_e32 v34, s50
	s_xor_b64 exec, exec, s[46:47]
	s_cbranch_execz .LBB298_698
.LBB298_989:                            ;   in Loop: Header=BB298_13 Depth=1
	v_cmp_ne_u16_sdwa s[48:49], v8, v9 src0_sel:BYTE_0 src1_sel:DWORD
	s_andn2_b64 vcc, vcc, exec
	s_and_b64 s[48:49], s[48:49], exec
	v_mov_b32_e32 v34, 0
	s_or_b64 vcc, vcc, s[48:49]
	s_or_b64 exec, exec, s[46:47]
	s_and_saveexec_b64 s[46:47], vcc
	s_cbranch_execnz .LBB298_699
	s_branch .LBB298_700
.LBB298_990:                            ;   in Loop: Header=BB298_13 Depth=1
	v_cmp_eq_u16_e32 vcc, s54, v8
	s_mov_b64 s[46:47], -1
                                        ; implicit-def: $sgpr56
	s_and_saveexec_b64 s[50:51], vcc
; %bb.991:                              ;   in Loop: Header=BB298_13 Depth=1
	s_mov_b32 s56, 0x7fc02000
	s_xor_b64 s[46:47], exec, -1
; %bb.992:                              ;   in Loop: Header=BB298_13 Depth=1
	s_or_b64 exec, exec, s[50:51]
	s_and_b64 s[46:47], s[46:47], exec
	s_or_saveexec_b64 s[48:49], s[48:49]
	v_mov_b32_e32 v39, s56
	s_xor_b64 exec, exec, s[48:49]
	s_cbranch_execz .LBB298_702
.LBB298_993:                            ;   in Loop: Header=BB298_13 Depth=1
	v_cmp_ne_u16_e32 vcc, 0, v8
	s_andn2_b64 s[46:47], s[46:47], exec
	s_and_b64 vcc, vcc, exec
	v_mov_b32_e32 v39, 0
	s_or_b64 s[46:47], s[46:47], vcc
	s_or_b64 exec, exec, s[48:49]
	s_and_saveexec_b64 s[48:49], s[46:47]
	s_cbranch_execnz .LBB298_703
	s_branch .LBB298_704
.LBB298_994:                            ;   in Loop: Header=BB298_13 Depth=1
	v_cmp_eq_u16_sdwa s[56:57], v4, s54 src0_sel:BYTE_0 src1_sel:DWORD
	s_mov_b64 vcc, -1
                                        ; implicit-def: $sgpr50
	s_and_saveexec_b64 s[48:49], s[56:57]
; %bb.995:                              ;   in Loop: Header=BB298_13 Depth=1
	s_mov_b32 s50, 0x7fc02000
	s_xor_b64 vcc, exec, -1
; %bb.996:                              ;   in Loop: Header=BB298_13 Depth=1
	s_or_b64 exec, exec, s[48:49]
	s_and_b64 vcc, vcc, exec
	s_or_saveexec_b64 s[46:47], s[46:47]
	v_mov_b32_e32 v50, s50
	s_xor_b64 exec, exec, s[46:47]
	s_cbranch_execz .LBB298_706
.LBB298_997:                            ;   in Loop: Header=BB298_13 Depth=1
	v_cmp_ne_u16_sdwa s[48:49], v4, v9 src0_sel:BYTE_0 src1_sel:DWORD
	s_andn2_b64 vcc, vcc, exec
	s_and_b64 s[48:49], s[48:49], exec
	v_mov_b32_e32 v50, 0
	s_or_b64 vcc, vcc, s[48:49]
	s_or_b64 exec, exec, s[46:47]
	s_and_saveexec_b64 s[46:47], vcc
	s_cbranch_execnz .LBB298_707
	s_branch .LBB298_708
.LBB298_998:                            ;   in Loop: Header=BB298_13 Depth=1
	v_cmp_eq_u16_e32 vcc, s54, v8
	s_mov_b64 s[46:47], -1
                                        ; implicit-def: $sgpr56
	s_and_saveexec_b64 s[50:51], vcc
; %bb.999:                              ;   in Loop: Header=BB298_13 Depth=1
	s_mov_b32 s56, 0x7fc02000
	s_xor_b64 s[46:47], exec, -1
; %bb.1000:                             ;   in Loop: Header=BB298_13 Depth=1
	s_or_b64 exec, exec, s[50:51]
	s_and_b64 s[46:47], s[46:47], exec
	s_or_saveexec_b64 s[48:49], s[48:49]
	v_mov_b32_e32 v51, s56
	s_xor_b64 exec, exec, s[48:49]
	s_cbranch_execz .LBB298_710
.LBB298_1001:                           ;   in Loop: Header=BB298_13 Depth=1
	v_cmp_ne_u16_e32 vcc, 0, v8
	s_andn2_b64 s[46:47], s[46:47], exec
	s_and_b64 vcc, vcc, exec
	v_mov_b32_e32 v51, 0
	s_or_b64 s[46:47], s[46:47], vcc
	s_or_b64 exec, exec, s[48:49]
	s_and_saveexec_b64 s[48:49], s[46:47]
	s_cbranch_execnz .LBB298_711
	s_branch .LBB298_712
.LBB298_1002:                           ;   in Loop: Header=BB298_13 Depth=1
	v_cmp_eq_u16_sdwa s[56:57], v8, s54 src0_sel:BYTE_0 src1_sel:DWORD
	s_mov_b64 vcc, -1
                                        ; implicit-def: $sgpr50
	s_and_saveexec_b64 s[48:49], s[56:57]
; %bb.1003:                             ;   in Loop: Header=BB298_13 Depth=1
	s_mov_b32 s50, 0x7fc02000
	s_xor_b64 vcc, exec, -1
; %bb.1004:                             ;   in Loop: Header=BB298_13 Depth=1
	s_or_b64 exec, exec, s[48:49]
	s_and_b64 vcc, vcc, exec
	s_or_saveexec_b64 s[46:47], s[46:47]
	v_mov_b32_e32 v17, s50
	s_xor_b64 exec, exec, s[46:47]
	s_cbranch_execz .LBB298_714
.LBB298_1005:                           ;   in Loop: Header=BB298_13 Depth=1
	v_cmp_ne_u16_sdwa s[48:49], v8, v9 src0_sel:BYTE_0 src1_sel:DWORD
	s_andn2_b64 vcc, vcc, exec
	s_and_b64 s[48:49], s[48:49], exec
	v_mov_b32_e32 v17, 0
	s_or_b64 vcc, vcc, s[48:49]
	s_or_b64 exec, exec, s[46:47]
	s_and_saveexec_b64 s[46:47], vcc
	s_cbranch_execnz .LBB298_715
	s_branch .LBB298_716
.LBB298_1006:                           ;   in Loop: Header=BB298_13 Depth=1
	v_cmp_eq_u16_e32 vcc, s54, v8
	s_mov_b64 s[46:47], -1
                                        ; implicit-def: $sgpr56
	s_and_saveexec_b64 s[50:51], vcc
; %bb.1007:                             ;   in Loop: Header=BB298_13 Depth=1
	s_mov_b32 s56, 0x7fc02000
	s_xor_b64 s[46:47], exec, -1
; %bb.1008:                             ;   in Loop: Header=BB298_13 Depth=1
	s_or_b64 exec, exec, s[50:51]
	s_and_b64 s[46:47], s[46:47], exec
	s_or_saveexec_b64 s[48:49], s[48:49]
	v_mov_b32_e32 v40, s56
	s_xor_b64 exec, exec, s[48:49]
	s_cbranch_execz .LBB298_718
.LBB298_1009:                           ;   in Loop: Header=BB298_13 Depth=1
	v_cmp_ne_u16_e32 vcc, 0, v8
	s_andn2_b64 s[46:47], s[46:47], exec
	s_and_b64 vcc, vcc, exec
	v_mov_b32_e32 v40, 0
	s_or_b64 s[46:47], s[46:47], vcc
	s_or_b64 exec, exec, s[48:49]
	s_and_saveexec_b64 s[48:49], s[46:47]
	s_cbranch_execnz .LBB298_719
	s_branch .LBB298_720
.LBB298_1010:                           ;   in Loop: Header=BB298_13 Depth=1
	v_cmp_eq_u16_sdwa s[56:57], v4, s54 src0_sel:BYTE_0 src1_sel:DWORD
	s_mov_b64 vcc, -1
                                        ; implicit-def: $sgpr50
	s_and_saveexec_b64 s[48:49], s[56:57]
; %bb.1011:                             ;   in Loop: Header=BB298_13 Depth=1
	s_mov_b32 s50, 0x7fc02000
	s_xor_b64 vcc, exec, -1
; %bb.1012:                             ;   in Loop: Header=BB298_13 Depth=1
	s_or_b64 exec, exec, s[48:49]
	s_and_b64 vcc, vcc, exec
	s_or_saveexec_b64 s[46:47], s[46:47]
	v_mov_b32_e32 v41, s50
	s_xor_b64 exec, exec, s[46:47]
	s_cbranch_execz .LBB298_722
.LBB298_1013:                           ;   in Loop: Header=BB298_13 Depth=1
	v_cmp_ne_u16_sdwa s[48:49], v4, v9 src0_sel:BYTE_0 src1_sel:DWORD
	s_andn2_b64 vcc, vcc, exec
	s_and_b64 s[48:49], s[48:49], exec
	v_mov_b32_e32 v41, 0
	s_or_b64 vcc, vcc, s[48:49]
	s_or_b64 exec, exec, s[46:47]
	s_and_saveexec_b64 s[46:47], vcc
	s_cbranch_execnz .LBB298_723
	s_branch .LBB298_724
.LBB298_1014:                           ;   in Loop: Header=BB298_13 Depth=1
	v_cmp_eq_u16_e32 vcc, s54, v8
	s_mov_b64 s[46:47], -1
                                        ; implicit-def: $sgpr56
	s_and_saveexec_b64 s[50:51], vcc
; %bb.1015:                             ;   in Loop: Header=BB298_13 Depth=1
	s_mov_b32 s56, 0x7fc02000
	s_xor_b64 s[46:47], exec, -1
; %bb.1016:                             ;   in Loop: Header=BB298_13 Depth=1
	s_or_b64 exec, exec, s[50:51]
	s_and_b64 s[46:47], s[46:47], exec
	s_or_saveexec_b64 s[48:49], s[48:49]
	v_mov_b32_e32 v53, s56
	s_xor_b64 exec, exec, s[48:49]
	s_cbranch_execz .LBB298_726
.LBB298_1017:                           ;   in Loop: Header=BB298_13 Depth=1
	v_cmp_ne_u16_e32 vcc, 0, v8
	s_andn2_b64 s[46:47], s[46:47], exec
	s_and_b64 vcc, vcc, exec
	v_mov_b32_e32 v53, 0
	s_or_b64 s[46:47], s[46:47], vcc
	s_or_b64 exec, exec, s[48:49]
	s_and_saveexec_b64 s[48:49], s[46:47]
	s_cbranch_execnz .LBB298_727
	s_branch .LBB298_728
.LBB298_1018:                           ;   in Loop: Header=BB298_13 Depth=1
	v_cmp_eq_u16_sdwa s[56:57], v8, s54 src0_sel:BYTE_0 src1_sel:DWORD
	s_mov_b64 vcc, -1
                                        ; implicit-def: $sgpr50
	s_and_saveexec_b64 s[48:49], s[56:57]
; %bb.1019:                             ;   in Loop: Header=BB298_13 Depth=1
	s_mov_b32 s50, 0x7fc02000
	s_xor_b64 vcc, exec, -1
; %bb.1020:                             ;   in Loop: Header=BB298_13 Depth=1
	s_or_b64 exec, exec, s[48:49]
	s_and_b64 vcc, vcc, exec
	s_or_saveexec_b64 s[46:47], s[46:47]
	v_mov_b32_e32 v43, s50
	s_xor_b64 exec, exec, s[46:47]
	s_cbranch_execz .LBB298_730
.LBB298_1021:                           ;   in Loop: Header=BB298_13 Depth=1
	v_cmp_ne_u16_sdwa s[48:49], v8, v9 src0_sel:BYTE_0 src1_sel:DWORD
	s_andn2_b64 vcc, vcc, exec
	s_and_b64 s[48:49], s[48:49], exec
	v_mov_b32_e32 v43, 0
	s_or_b64 vcc, vcc, s[48:49]
	s_or_b64 exec, exec, s[46:47]
	s_and_saveexec_b64 s[46:47], vcc
	s_cbranch_execnz .LBB298_731
	s_branch .LBB298_732
.LBB298_1022:                           ;   in Loop: Header=BB298_13 Depth=1
	v_cmp_eq_u16_e32 vcc, s54, v8
	s_mov_b64 s[46:47], -1
                                        ; implicit-def: $sgpr56
	s_and_saveexec_b64 s[50:51], vcc
; %bb.1023:                             ;   in Loop: Header=BB298_13 Depth=1
	s_mov_b32 s56, 0x7fc02000
	s_xor_b64 s[46:47], exec, -1
; %bb.1024:                             ;   in Loop: Header=BB298_13 Depth=1
	s_or_b64 exec, exec, s[50:51]
	s_and_b64 s[46:47], s[46:47], exec
	s_or_saveexec_b64 s[48:49], s[48:49]
	v_mov_b32_e32 v21, s56
	s_xor_b64 exec, exec, s[48:49]
	s_cbranch_execz .LBB298_734
.LBB298_1025:                           ;   in Loop: Header=BB298_13 Depth=1
	v_cmp_ne_u16_e32 vcc, 0, v8
	s_andn2_b64 s[46:47], s[46:47], exec
	s_and_b64 vcc, vcc, exec
	v_mov_b32_e32 v21, 0
	s_or_b64 s[46:47], s[46:47], vcc
	s_or_b64 exec, exec, s[48:49]
	s_and_saveexec_b64 s[48:49], s[46:47]
	s_cbranch_execnz .LBB298_735
	s_branch .LBB298_736
.LBB298_1026:                           ;   in Loop: Header=BB298_13 Depth=1
	v_cmp_eq_u16_sdwa s[56:57], v4, s54 src0_sel:BYTE_0 src1_sel:DWORD
	s_mov_b64 vcc, -1
                                        ; implicit-def: $sgpr50
	s_and_saveexec_b64 s[48:49], s[56:57]
; %bb.1027:                             ;   in Loop: Header=BB298_13 Depth=1
	s_mov_b32 s50, 0x7fc02000
	s_xor_b64 vcc, exec, -1
; %bb.1028:                             ;   in Loop: Header=BB298_13 Depth=1
	s_or_b64 exec, exec, s[48:49]
	s_and_b64 vcc, vcc, exec
	s_or_saveexec_b64 s[46:47], s[46:47]
	v_mov_b32_e32 v49, s50
	s_xor_b64 exec, exec, s[46:47]
	s_cbranch_execz .LBB298_738
.LBB298_1029:                           ;   in Loop: Header=BB298_13 Depth=1
	v_cmp_ne_u16_sdwa s[48:49], v4, v9 src0_sel:BYTE_0 src1_sel:DWORD
	s_andn2_b64 vcc, vcc, exec
	s_and_b64 s[48:49], s[48:49], exec
	v_mov_b32_e32 v49, 0
	s_or_b64 vcc, vcc, s[48:49]
	s_or_b64 exec, exec, s[46:47]
	s_and_saveexec_b64 s[46:47], vcc
	s_cbranch_execnz .LBB298_739
	s_branch .LBB298_740
.LBB298_1030:                           ;   in Loop: Header=BB298_13 Depth=1
	v_cmp_eq_u16_e32 vcc, s54, v8
	s_mov_b64 s[46:47], -1
                                        ; implicit-def: $sgpr56
	s_and_saveexec_b64 s[50:51], vcc
; %bb.1031:                             ;   in Loop: Header=BB298_13 Depth=1
	s_mov_b32 s56, 0x7fc02000
	s_xor_b64 s[46:47], exec, -1
; %bb.1032:                             ;   in Loop: Header=BB298_13 Depth=1
	s_or_b64 exec, exec, s[50:51]
	s_and_b64 s[46:47], s[46:47], exec
	s_or_saveexec_b64 s[48:49], s[48:49]
	v_mov_b32_e32 v48, s56
	s_xor_b64 exec, exec, s[48:49]
	s_cbranch_execz .LBB298_742
.LBB298_1033:                           ;   in Loop: Header=BB298_13 Depth=1
	v_cmp_ne_u16_e32 vcc, 0, v8
	s_andn2_b64 s[46:47], s[46:47], exec
	s_and_b64 vcc, vcc, exec
	v_mov_b32_e32 v48, 0
	s_or_b64 s[46:47], s[46:47], vcc
	s_or_b64 exec, exec, s[48:49]
	s_and_saveexec_b64 s[48:49], s[46:47]
	s_cbranch_execnz .LBB298_743
	s_branch .LBB298_744
.LBB298_1034:                           ;   in Loop: Header=BB298_13 Depth=1
	v_cmp_eq_u16_sdwa s[56:57], v8, s54 src0_sel:BYTE_0 src1_sel:DWORD
	s_mov_b64 vcc, -1
                                        ; implicit-def: $sgpr50
	s_and_saveexec_b64 s[48:49], s[56:57]
; %bb.1035:                             ;   in Loop: Header=BB298_13 Depth=1
	s_mov_b32 s50, 0x7fc02000
	s_xor_b64 vcc, exec, -1
; %bb.1036:                             ;   in Loop: Header=BB298_13 Depth=1
	s_or_b64 exec, exec, s[48:49]
	s_and_b64 vcc, vcc, exec
	s_or_saveexec_b64 s[46:47], s[46:47]
	v_mov_b32_e32 v20, s50
	s_xor_b64 exec, exec, s[46:47]
	s_cbranch_execz .LBB298_746
.LBB298_1037:                           ;   in Loop: Header=BB298_13 Depth=1
	v_cmp_ne_u16_sdwa s[48:49], v8, v9 src0_sel:BYTE_0 src1_sel:DWORD
	s_andn2_b64 vcc, vcc, exec
	s_and_b64 s[48:49], s[48:49], exec
	v_mov_b32_e32 v20, 0
	s_or_b64 vcc, vcc, s[48:49]
	s_or_b64 exec, exec, s[46:47]
	s_and_saveexec_b64 s[46:47], vcc
	s_cbranch_execnz .LBB298_747
	s_branch .LBB298_748
.LBB298_1038:                           ;   in Loop: Header=BB298_13 Depth=1
	v_cmp_eq_u16_e32 vcc, s54, v8
	s_mov_b64 s[46:47], -1
                                        ; implicit-def: $sgpr56
	s_and_saveexec_b64 s[50:51], vcc
; %bb.1039:                             ;   in Loop: Header=BB298_13 Depth=1
	s_mov_b32 s56, 0x7fc02000
	s_xor_b64 s[46:47], exec, -1
; %bb.1040:                             ;   in Loop: Header=BB298_13 Depth=1
	s_or_b64 exec, exec, s[50:51]
	s_and_b64 s[46:47], s[46:47], exec
	s_or_saveexec_b64 s[48:49], s[48:49]
	v_mov_b32_e32 v25, s56
	s_xor_b64 exec, exec, s[48:49]
	s_cbranch_execz .LBB298_750
.LBB298_1041:                           ;   in Loop: Header=BB298_13 Depth=1
	v_cmp_ne_u16_e32 vcc, 0, v8
	s_andn2_b64 s[46:47], s[46:47], exec
	s_and_b64 vcc, vcc, exec
	v_mov_b32_e32 v25, 0
	s_or_b64 s[46:47], s[46:47], vcc
	s_or_b64 exec, exec, s[48:49]
	s_and_saveexec_b64 s[48:49], s[46:47]
	s_cbranch_execnz .LBB298_751
	s_branch .LBB298_752
.LBB298_1042:
	s_or_b64 exec, exec, s[26:27]
	scratch_load_dword v18, off, s32 offset:732 ; 4-byte Folded Reload
	scratch_load_dword v19, off, s32 offset:728 ; 4-byte Folded Reload
	scratch_load_dwordx2 v[20:21], off, s32 offset:720 ; 8-byte Folded Reload
.LBB298_1043:
	s_or_b64 exec, exec, s[22:23]
	scratch_load_dword v4, off, s32 offset:596 ; 4-byte Folded Reload
	v_mbcnt_lo_u32_b32 v0, -1, 0
	v_mbcnt_hi_u32_b32 v0, -1, v0
	v_and_b32_e32 v1, 64, v0
	v_add_u32_e32 v1, 64, v1
	v_xor_b32_e32 v2, 32, v0
	v_cmp_lt_i32_e32 vcc, v2, v1
	v_xor_b32_e32 v5, 16, v0
	v_xor_b32_e32 v6, 8, v0
	v_cndmask_b32_e32 v2, v0, v2, vcc
	v_lshlrev_b32_e32 v2, 2, v2
	v_cmp_lt_i32_e32 vcc, v5, v1
	v_xor_b32_e32 v7, 4, v0
	v_xor_b32_e32 v8, 2, v0
	s_waitcnt lgkmcnt(0)
	s_lshr_b32 s26, s52, 16
	s_waitcnt vmcnt(0)
	ds_bpermute_b32 v3, v2, v4
	v_max_f32_e32 v4, v4, v4
	s_waitcnt lgkmcnt(0)
	v_max_f32_e32 v3, v3, v3
	v_max_f32_e32 v4, v4, v3
	v_cndmask_b32_e32 v3, v0, v5, vcc
	v_lshlrev_b32_e32 v3, 2, v3
	ds_bpermute_b32 v5, v3, v4
	v_cmp_lt_i32_e32 vcc, v6, v1
	s_waitcnt lgkmcnt(0)
	v_max_f32_e32 v5, v5, v5
	v_max_f32_e32 v5, v4, v5
	v_cndmask_b32_e32 v4, v0, v6, vcc
	v_lshlrev_b32_e32 v4, 2, v4
	ds_bpermute_b32 v6, v4, v5
	v_cmp_lt_i32_e32 vcc, v7, v1
	;; [unrolled: 7-line block ×3, first 2 shown]
	s_waitcnt lgkmcnt(0)
	v_max_f32_e32 v7, v7, v7
	v_max_f32_e32 v7, v6, v7
	v_cndmask_b32_e32 v6, v0, v8, vcc
	v_lshlrev_b32_e32 v27, 2, v6
	scratch_load_dword v6, off, s32 offset:600 ; 4-byte Folded Reload
	ds_bpermute_b32 v8, v27, v7
	s_waitcnt vmcnt(0)
	v_and_b32_e32 v26, 63, v6
	v_cmp_eq_u32_e32 vcc, 0, v26
	v_lshlrev_b32_e32 v6, 2, v18
	s_and_saveexec_b64 s[4:5], vcc
	s_cbranch_execz .LBB298_1045
; %bb.1044:
	s_waitcnt lgkmcnt(0)
	v_max_f32_e32 v8, v8, v8
	v_max_f32_e32 v7, v7, v7
	;; [unrolled: 1-line block ×3, first 2 shown]
	ds_write_b32 v6, v7 offset:512
.LBB298_1045:
	s_or_b64 exec, exec, s[4:5]
	v_cmp_gt_u32_e64 s[4:5], 2, v26
	s_waitcnt lgkmcnt(0)
	v_mov_b32_e32 v8, 0xff7fffff
	v_lshlrev_b32_e32 v7, 2, v26
	s_barrier
	s_and_saveexec_b64 s[6:7], s[4:5]
	s_cbranch_execz .LBB298_1047
; %bb.1046:
	ds_read_b32 v8, v7 offset:512
.LBB298_1047:
	s_or_b64 exec, exec, s[6:7]
	v_xor_b32_e32 v9, 1, v0
	v_cmp_lt_i32_e64 s[6:7], v9, v1
	scratch_load_dwordx2 v[12:13], off, s32 offset:204 ; 8-byte Folded Reload
	s_nop 0
	v_cndmask_b32_e64 v1, v0, v9, s[6:7]
	scratch_load_dword v9, off, s32 offset:244 ; 4-byte Folded Reload
	v_lshlrev_b32_e32 v28, 2, v1
	s_waitcnt lgkmcnt(0)
	ds_bpermute_b32 v1, v28, v8
	v_max_f32_e32 v8, v8, v8
	v_lshlrev_b32_e32 v0, 2, v0
	s_waitcnt lgkmcnt(0)
	v_max_f32_e32 v1, v1, v1
	v_max_f32_e32 v1, v8, v1
	s_waitcnt vmcnt(0)
	v_subrev_u32_e32 v9, s17, v9
	v_lshl_add_u32 v10, v9, 5, s21
	v_min_i32_e32 v8, v10, v12
	scratch_load_dword v10, off, s32 offset:600 ; 4-byte Folded Reload
	v_and_b32_e32 v9, 0x100, v0
	ds_bpermute_b32 v0, v9, v1
	v_subrev_u32_e32 v1, s21, v8
	s_waitcnt vmcnt(0)
	v_cmp_lt_i32_e64 s[6:7], v10, v1
	v_mov_b32_e32 v10, 0
	s_and_saveexec_b64 s[22:23], s[6:7]
	s_cbranch_execz .LBB298_1051
; %bb.1048:
	scratch_load_dword v12, off, s32 offset:600 ; 4-byte Folded Reload
	s_ashr_i32 s19, s18, 31
	s_lshl_b64 s[8:9], s[18:19], 2
	s_getpc_b64 s[24:25]
	s_add_u32 s24, s24, llvm.amdgcn.dynlds.offset.table@rel32@lo+4
	s_addc_u32 s25, s25, llvm.amdgcn.dynlds.offset.table@rel32@hi+12
	s_add_u32 s8, s8, s24
	s_addc_u32 s9, s9, s25
	s_load_dword s8, s[8:9], 0x0
	s_mov_b64 s[24:25], 0
	v_mov_b32_e32 v10, 0
	s_waitcnt vmcnt(0) lgkmcnt(0)
	v_lshl_add_u32 v11, v12, 2, s8
.LBB298_1049:                           ; =>This Inner Loop Header: Depth=1
	ds_read_b32 v13, v11
	v_add_u32_e32 v12, 0x80, v12
	v_cmp_ge_i32_e64 s[8:9], v12, v1
	s_or_b64 s[24:25], s[8:9], s[24:25]
	s_waitcnt lgkmcnt(0)
	v_sub_f32_e32 v13, v13, v0
	v_mul_f32_e32 v13, 0x3fb8aa3b, v13
	v_exp_f32_e32 v13, v13
	ds_write_b32 v11, v13
	v_add_f32_e32 v10, v10, v13
	v_add_u32_e32 v11, 0x200, v11
	s_andn2_b64 exec, exec, s[24:25]
	s_cbranch_execnz .LBB298_1049
; %bb.1050:
	s_or_b64 exec, exec, s[24:25]
.LBB298_1051:
	s_or_b64 exec, exec, s[22:23]
	ds_bpermute_b32 v2, v2, v10
	s_waitcnt lgkmcnt(0)
	v_add_f32_e32 v2, v10, v2
	ds_bpermute_b32 v3, v3, v2
	s_waitcnt lgkmcnt(0)
	v_add_f32_e32 v2, v2, v3
	;; [unrolled: 3-line block ×6, first 2 shown]
	s_and_saveexec_b64 s[8:9], vcc
	s_cbranch_execz .LBB298_1053
; %bb.1052:
	ds_write_b32 v6, v2 offset:520
.LBB298_1053:
	s_or_b64 exec, exec, s[8:9]
	s_waitcnt lgkmcnt(0)
	s_barrier
	s_mov_b64 s[8:9], exec
	scratch_load_dwordx2 v[10:11], off, s32 offset:688 ; 8-byte Folded Reload
	s_and_b64 s[4:5], s[8:9], s[4:5]
	s_mov_b64 exec, s[4:5]
	s_cbranch_execz .LBB298_1055
; %bb.1054:
	ds_read_b32 v2, v7 offset:520
.LBB298_1055:
	s_or_b64 exec, exec, s[8:9]
	s_waitcnt lgkmcnt(0)
	ds_bpermute_b32 v3, v28, v2
	s_waitcnt lgkmcnt(0)
	v_add_f32_e32 v2, v2, v3
	ds_bpermute_b32 v2, v9, v2
	s_and_saveexec_b64 s[4:5], s[6:7]
	s_cbranch_execz .LBB298_1068
; %bb.1056:
	s_waitcnt lgkmcnt(0)
	v_add_f32_e32 v3, 0x358637bd, v2
	v_div_scale_f32 v4, s[6:7], v3, v3, 1.0
	v_rcp_f32_e32 v5, v4
	v_div_scale_f32 v6, vcc, 1.0, v3, 1.0
	s_movk_i32 s6, 0x7f
	v_fma_f32 v7, -v4, v5, 1.0
	v_fmac_f32_e32 v5, v7, v5
	v_mul_f32_e32 v7, v6, v5
	v_fma_f32 v9, -v4, v7, v6
	v_fmac_f32_e32 v7, v9, v5
	v_fma_f32 v4, -v4, v7, v6
	scratch_load_dword v6, off, s32 offset:600 ; 4-byte Folded Reload
	v_div_fmas_f32 v4, v4, v5, v7
	v_div_fixup_f32 v4, v4, v3, 1.0
	s_mov_b64 s[8:9], -1
	s_waitcnt vmcnt(0)
	v_xad_u32 v3, v6, -1, v8
	v_subrev_u32_e32 v5, s21, v3
	v_cmp_lt_u32_e32 vcc, s6, v5
	v_mov_b32_e32 v3, v6
	s_and_saveexec_b64 s[6:7], vcc
	s_cbranch_execz .LBB298_1065
; %bb.1057:
	v_lshrrev_b32_e32 v3, 7, v5
	v_add_u32_e32 v7, -1, v3
	v_lshrrev_b32_e32 v6, 1, v7
	v_mov_b32_e32 v5, v4
	v_add_u32_e32 v6, 1, v6
	v_cmp_lt_u32_e32 vcc, 13, v7
	v_mov_b32_e32 v9, 0
	s_and_saveexec_b64 s[8:9], vcc
	s_cbranch_execz .LBB298_1061
; %bb.1058:
	scratch_load_dword v8, off, s32 offset:600 ; 4-byte Folded Reload
	s_ashr_i32 s19, s18, 31
	s_lshl_b64 s[22:23], s[18:19], 2
	s_getpc_b64 s[24:25]
	s_add_u32 s24, s24, llvm.amdgcn.dynlds.offset.table@rel32@lo+4
	s_addc_u32 s25, s25, llvm.amdgcn.dynlds.offset.table@rel32@hi+12
	s_add_u32 s22, s22, s24
	s_addc_u32 s23, s23, s25
	s_load_dword s19, s[22:23], 0x0
	v_and_b32_e32 v7, -8, v6
	s_mov_b32 s17, 0
	s_mov_b64 s[22:23], 0
	s_waitcnt vmcnt(0) lgkmcnt(0)
	v_lshl_add_u32 v8, v8, 2, s19
.LBB298_1059:                           ; =>This Inner Loop Header: Depth=1
	ds_read2st64_b32 v[10:11], v8 offset1:2
	ds_read2st64_b32 v[12:13], v8 offset0:4 offset1:6
	ds_read2st64_b32 v[14:15], v8 offset0:8 offset1:10
	;; [unrolled: 1-line block ×3, first 2 shown]
	v_add_u32_e32 v7, -8, v7
	s_waitcnt lgkmcnt(3)
	v_pk_mul_f32 v[10:11], v[4:5], v[10:11]
	s_waitcnt lgkmcnt(2)
	v_pk_mul_f32 v[12:13], v[4:5], v[12:13]
	ds_write2st64_b32 v8, v10, v11 offset1:2
	ds_write2st64_b32 v8, v12, v13 offset0:4 offset1:6
	ds_read2st64_b32 v[12:13], v8 offset0:16 offset1:18
	s_waitcnt lgkmcnt(4)
	v_pk_mul_f32 v[10:11], v[4:5], v[14:15]
	ds_write2st64_b32 v8, v10, v11 offset0:8 offset1:10
	s_waitcnt lgkmcnt(4)
	v_pk_mul_f32 v[10:11], v[4:5], v[16:17]
	ds_write2st64_b32 v8, v10, v11 offset0:12 offset1:14
	ds_read2st64_b32 v[10:11], v8 offset0:20 offset1:22
	s_waitcnt lgkmcnt(3)
	v_pk_mul_f32 v[12:13], v[4:5], v[12:13]
	ds_read2st64_b32 v[14:15], v8 offset0:24 offset1:26
	ds_write2st64_b32 v8, v12, v13 offset0:16 offset1:18
	ds_read2st64_b32 v[12:13], v8 offset0:28 offset1:30
	s_waitcnt lgkmcnt(3)
	v_pk_mul_f32 v[10:11], v[4:5], v[10:11]
	ds_write2st64_b32 v8, v10, v11 offset0:20 offset1:22
	s_waitcnt lgkmcnt(3)
	v_pk_mul_f32 v[10:11], v[4:5], v[14:15]
	ds_write2st64_b32 v8, v10, v11 offset0:24 offset1:26
	s_waitcnt lgkmcnt(2)
	v_pk_mul_f32 v[10:11], v[4:5], v[12:13]
	s_add_i32 s17, s17, 16
	v_cmp_eq_u32_e32 vcc, 0, v7
	ds_write2st64_b32 v8, v10, v11 offset0:28 offset1:30
	v_add_u32_e32 v8, 0x2000, v8
	s_or_b64 s[22:23], vcc, s[22:23]
	v_mov_b32_e32 v9, s17
	s_andn2_b64 exec, exec, s[22:23]
	s_cbranch_execnz .LBB298_1059
; %bb.1060:
	s_or_b64 exec, exec, s[22:23]
	scratch_load_dwordx2 v[10:11], off, s32 offset:688 ; 8-byte Folded Reload
.LBB298_1061:
	s_or_b64 exec, exec, s[8:9]
	v_and_b32_e32 v6, 7, v6
	v_cmp_ne_u32_e32 vcc, 0, v6
	s_and_saveexec_b64 s[8:9], vcc
	s_cbranch_execz .LBB298_1064
; %bb.1062:
	scratch_load_dword v8, off, s32 offset:600 ; 4-byte Folded Reload
	s_ashr_i32 s19, s18, 31
	s_lshl_b64 s[22:23], s[18:19], 2
	s_getpc_b64 s[24:25]
	s_add_u32 s24, s24, llvm.amdgcn.dynlds.offset.table@rel32@lo+4
	s_addc_u32 s25, s25, llvm.amdgcn.dynlds.offset.table@rel32@hi+12
	s_add_u32 s22, s22, s24
	s_addc_u32 s23, s23, s25
	s_load_dword s17, s[22:23], 0x0
	v_lshlrev_b32_e32 v7, 9, v9
	s_mov_b64 s[22:23], 0
	s_waitcnt vmcnt(0)
	v_lshlrev_b32_e32 v8, 2, v8
	s_waitcnt lgkmcnt(0)
	v_add3_u32 v7, v7, v8, s17
.LBB298_1063:                           ; =>This Inner Loop Header: Depth=1
	ds_read2st64_b32 v[8:9], v7 offset1:2
	v_add_u32_e32 v6, -1, v6
	v_cmp_eq_u32_e32 vcc, 0, v6
	s_or_b64 s[22:23], vcc, s[22:23]
	s_waitcnt lgkmcnt(0)
	v_pk_mul_f32 v[8:9], v[4:5], v[8:9]
	ds_write2st64_b32 v7, v8, v9 offset1:2
	v_add_u32_e32 v7, 0x400, v7
	s_andn2_b64 exec, exec, s[22:23]
	s_cbranch_execnz .LBB298_1063
.LBB298_1064:
	s_or_b64 exec, exec, s[8:9]
	v_add_u32_e32 v5, 1, v3
	scratch_load_dword v3, off, s32 offset:600 ; 4-byte Folded Reload
	v_and_b32_e32 v6, 0x3fffffe, v5
	v_cmp_ne_u32_e32 vcc, v5, v6
	s_orn2_b64 s[8:9], vcc, exec
	s_waitcnt vmcnt(0)
	v_lshl_add_u32 v3, v6, 7, v3
.LBB298_1065:
	s_or_b64 exec, exec, s[6:7]
	s_and_b64 exec, exec, s[8:9]
	s_cbranch_execz .LBB298_1068
; %bb.1066:
	s_ashr_i32 s19, s18, 31
	s_lshl_b64 s[6:7], s[18:19], 2
	s_getpc_b64 s[8:9]
	s_add_u32 s8, s8, llvm.amdgcn.dynlds.offset.table@rel32@lo+4
	s_addc_u32 s9, s9, llvm.amdgcn.dynlds.offset.table@rel32@hi+12
	s_add_u32 s6, s6, s8
	s_addc_u32 s7, s7, s9
	s_load_dword s6, s[6:7], 0x0
	s_waitcnt lgkmcnt(0)
	v_lshl_add_u32 v5, v3, 2, s6
	s_mov_b64 s[6:7], 0
.LBB298_1067:                           ; =>This Inner Loop Header: Depth=1
	ds_read_b32 v6, v5
	v_add_u32_e32 v3, 0x80, v3
	v_cmp_ge_i32_e32 vcc, v3, v1
	s_or_b64 s[6:7], vcc, s[6:7]
	s_waitcnt lgkmcnt(0)
	v_mul_f32_e32 v6, v4, v6
	ds_write_b32 v5, v6
	v_add_u32_e32 v5, 0x200, v5
	s_andn2_b64 exec, exec, s[6:7]
	s_cbranch_execnz .LBB298_1067
.LBB298_1068:
	s_or_b64 exec, exec, s[4:5]
	s_waitcnt lgkmcnt(0)
	s_barrier
	scratch_load_dword v1, off, s32 offset:600 ; 4-byte Folded Reload
	v_cmp_ne_u16_e64 s[4:5], s26, 0
	s_cmp_lg_u64 s[4:5], 0
	s_addc_u32 s17, s13, 0
	s_mul_i32 s4, s17, s20
	s_mul_i32 s4, s4, s15
	s_waitcnt vmcnt(0)
	v_cmp_eq_u32_e32 vcc, 0, v1
	s_and_saveexec_b64 s[6:7], vcc
	s_cbranch_execz .LBB298_1070
; %bb.1069:
	s_mul_i32 s12, s17, s12
	s_ashr_i32 s5, s4, 31
	s_ashr_i32 s13, s12, 31
	;; [unrolled: 1-line block ×3, first 2 shown]
	s_lshl_b64 s[8:9], s[4:5], 2
	s_lshl_b64 s[12:13], s[12:13], 2
	;; [unrolled: 1-line block ×3, first 2 shown]
	s_add_u32 s5, s20, s12
	s_addc_u32 s12, s21, s13
	s_add_u32 s8, s5, s8
	s_addc_u32 s9, s12, s9
	v_lshl_add_u64 v[4:5], s[8:9], 0, v[10:11]
	flat_store_dword v[4:5], v0
	scratch_load_dwordx2 v[0:1], off, s32 offset:712 ; 8-byte Folded Reload
	s_waitcnt vmcnt(0)
	v_lshl_add_u64 v[0:1], s[8:9], 0, v[0:1]
	flat_store_dword v[0:1], v2
.LBB298_1070:
	s_or_b64 exec, exec, s[6:7]
	scratch_load_dword v0, off, s32 offset:600 ; 4-byte Folded Reload
	s_ashr_i32 s19, s18, 31
	s_lshl_b64 s[6:7], s[18:19], 2
	s_getpc_b64 s[8:9]
	s_add_u32 s8, s8, llvm.amdgcn.dynlds.offset.table@rel32@lo+4
	s_addc_u32 s9, s9, llvm.amdgcn.dynlds.offset.table@rel32@hi+12
	s_add_u32 s6, s6, s8
	s_addc_u32 s7, s7, s9
	v_mov_b32_e32 v48, 0
	v_mov_b32_e32 v49, 0
	;; [unrolled: 1-line block ×15, first 2 shown]
	s_waitcnt vmcnt(0)
	v_and_b32_e32 v0, 3, v0
	v_accvgpr_write_b32 a23, v0
	v_mov_b32_e32 v0, 0
	s_and_saveexec_b64 s[8:9], s[2:3]
	s_cbranch_execz .LBB298_2132
; %bb.1071:
	scratch_load_dwordx2 v[2:3], off, s32 offset:680 ; 8-byte Folded Reload
	s_load_dword s2, s[6:7], 0x0
	v_accvgpr_write_b32 a22, v28
	v_accvgpr_write_b32 a21, v27
	;; [unrolled: 1-line block ×3, first 2 shown]
	s_mov_b64 s[12:13], 0
	s_movk_i32 s5, 0x7f
	s_movk_i32 s15, 0x80
	s_mov_b32 s26, 0x8000
	s_movk_i32 s27, 0x380
	s_mov_b32 s28, 0x3020706
	s_mov_b32 s29, 0x1000504
	;; [unrolled: 1-line block ×3, first 2 shown]
	v_mov_b32_e32 v9, 0
	v_mov_b32_e32 v8, 0
	;; [unrolled: 1-line block ×12, first 2 shown]
	scratch_load_dword v16, off, s32 offset:704 ; 4-byte Folded Reload
	s_waitcnt vmcnt(0)
	v_and_b32_e32 v0, 24, v2
	v_accvgpr_write_b32 a24, v0
	scratch_load_dwordx2 v[0:1], off, s32 offset:672 ; 8-byte Folded Reload
	v_and_b32_e32 v4, 0x1f8, v2
	v_or_b32_e32 v2, 0x1e00, v2
	v_or_b32_e32 v6, 0x1800, v4
	s_waitcnt vmcnt(0)
	v_lshl_add_u64 v[0:1], v[0:1], 0, v[20:21]
	v_accvgpr_write_b32 a19, v1
	v_accvgpr_write_b32 a18, v0
	scratch_load_dword v0, off, s32 offset:708 ; 4-byte Folded Reload
	v_mov_b32_e32 v21, 0
	v_mov_b32_e32 v1, v21
	;; [unrolled: 1-line block ×3, first 2 shown]
	v_accvgpr_write_b32 a45, v3
	v_accvgpr_write_b32 a44, v2
	scratch_load_dwordx2 v[2:3], off, s32 offset:204 ; 8-byte Folded Reload
	v_mov_b32_e32 v7, v21
	v_accvgpr_write_b32 a35, v7
	v_accvgpr_write_b32 a34, v6
	v_or_b32_e32 v6, 0x1a00, v4
	v_accvgpr_write_b32 a41, v7
	v_accvgpr_write_b32 a40, v6
	v_mov_b32_e32 v5, v21
	v_accvgpr_write_b32 a29, v5
	v_accvgpr_write_b32 a28, v4
	s_waitcnt vmcnt(0)
	v_add_u32_e32 v0, -1, v0
	v_accvgpr_write_b32 a25, v0
	v_or_b32_e32 v0, 0x1000, v4
	v_accvgpr_write_b32 a31, v1
	v_accvgpr_write_b32 a30, v0
	v_or_b32_e32 v0, 0x1200, v4
	v_accvgpr_write_b32 a33, v1
	;; [unrolled: 3-line block ×4, first 2 shown]
	v_accvgpr_write_b32 a38, v0
	scratch_load_dword v0, off, s32 offset:652 ; 4-byte Folded Reload
	v_or_b32_e32 v4, 0x1c00, v4
	v_accvgpr_write_b32 a43, v5
	v_accvgpr_write_b32 a42, v4
	s_waitcnt vmcnt(0)
	v_max_i32_e32 v10, v0, v19
	v_cvt_f32_u32_e32 v0, v10
	v_sub_u32_e32 v1, 0, v10
	v_mov_b32_e32 v19, 0x1c00
	v_rcp_iflag_f32_e32 v0, v0
	s_nop 0
	v_mul_f32_e32 v0, 0x4f7ffffe, v0
	v_cvt_u32_f32_e32 v0, v0
	v_mul_lo_u32 v1, v1, v0
	v_mul_hi_u32 v1, v0, v1
	v_add_u32_e32 v0, v0, v1
	v_accvgpr_write_b32 a46, v0
	scratch_load_dwordx2 v[0:1], off, s32 offset:216 ; 8-byte Folded Reload
	v_mov_b32_e32 v7, v2
	scratch_load_dwordx2 v[2:3], off, s32 offset:696 ; 8-byte Folded Reload
	s_waitcnt vmcnt(0)
	v_lshlrev_b64 v[0:1], 2, v[0:1]
	v_lshl_add_u64 v[0:1], v[2:3], 2, v[0:1]
	scratch_load_dwordx2 v[2:3], off, s32 offset:656 ; 8-byte Folded Reload
	s_waitcnt vmcnt(0)
	v_lshl_add_u64 v[14:15], v[2:3], 0, v[0:1]
	v_accvgpr_read_b32 v0, a23
	v_lshlrev_b32_e32 v0, 5, v0
	v_lshl_or_b32 v0, v18, 7, v0
	s_waitcnt lgkmcnt(0)
	v_add_u32_e32 v11, s2, v0
	v_mov_b32_e32 v1, 0
	v_mov_b32_e32 v0, 0
	;; [unrolled: 1-line block ×4, first 2 shown]
	s_branch .LBB298_1074
.LBB298_1072:                           ;   in Loop: Header=BB298_1074 Depth=1
	s_or_b64 exec, exec, s[2:3]
	v_add_f32_e32 v6, v6, v30
	v_add_f32_e32 v8, v8, v6
	;; [unrolled: 1-line block ×5, first 2 shown]
	v_accvgpr_read_b32 v6, a57
	v_add_f32_e32 v0, v0, v16
	v_add_f32_e32 v16, v18, v23
	;; [unrolled: 1-line block ×6, first 2 shown]
	v_accvgpr_read_b32 v6, a56
	v_add_f32_e32 v2, v2, v16
	v_add_f32_e32 v16, v31, v42
	v_add_f32_e32 v6, v6, v43
	v_add_f32_e32 v9, v9, v16
	v_add_f32_e32 v25, v25, v6
	v_accvgpr_read_b32 v6, a54
	v_accvgpr_read_b32 v16, a55
	v_add_f32_e32 v6, v6, v16
	v_add_f32_e32 v24, v24, v6
	v_accvgpr_read_b32 v6, a52
	v_accvgpr_read_b32 v16, a53
	v_add_f32_e32 v6, v6, v16
	v_add_f32_e32 v35, v35, v6
	;; [unrolled: 4-line block ×7, first 2 shown]
	;;#ASMSTART
	v_pk_mul_f16 v6, v54, v20;

	;;#ASMEND
	;;#ASMSTART
	v_pk_mul_f16 v4, v53, v4;

	;;#ASMEND
	;; [unrolled: 4-line block ×4, first 2 shown]
	s_nop 0
	;;#ASMSTART
	v_pk_add_f16 v4, v6, v4;

	;;#ASMEND
	s_nop 0
	;;#ASMSTART
	v_pk_add_f16 v4, v4, v5;

	;;#ASMEND
	;; [unrolled: 5-line block ×3, first 2 shown]
	s_nop 0
	v_lshrrev_b32_e32 v5, 16, v4
	v_and_b32_e32 v4, 0xffff, v4
	;;#ASMSTART
	v_cvt_f32_f16 v4, v4;
	;;#ASMEND
	;;#ASMSTART
	v_cvt_f32_f16 v5, v5;
	;;#ASMEND
	s_nop 0
	v_add_f32_e32 v4, v4, v5
	v_add_f32_e32 v1, v1, v4
.LBB298_1073:                           ;   in Loop: Header=BB298_1074 Depth=1
	s_or_b64 exec, exec, s[18:19]
	scratch_load_dwordx2 v[4:5], off, s32 offset:216 ; 8-byte Folded Reload
	v_accvgpr_read_b32 v16, a13
	v_lshl_add_u64 v[14:15], v[14:15], 0, 8
	v_add_u32_e32 v16, 64, v16
	v_add_u32_e32 v11, 0x100, v11
	s_waitcnt vmcnt(0)
	v_mov_b32_e32 v6, v4
	v_add_u32_e32 v6, 2, v6
	v_mov_b32_e32 v4, v6
	scratch_store_dwordx2 off, v[4:5], s32 offset:216 ; 8-byte Folded Spill
	scratch_load_dword v4, off, s32 offset:244 ; 4-byte Folded Reload
	s_waitcnt vmcnt(0)
	v_cmp_ge_i32_e32 vcc, v6, v4
	s_or_b64 s[12:13], vcc, s[12:13]
	s_andn2_b64 exec, exec, s[12:13]
	s_cbranch_execz .LBB298_2131
.LBB298_1074:                           ; =>This Inner Loop Header: Depth=1
	scratch_load_dword v5, off, s32 offset:240 ; 4-byte Folded Reload
	scratch_load_dword v6, off, s32 offset:256 ; 4-byte Folded Reload
	scratch_load_dword v17, off, s32 offset:236 ; 4-byte Folded Reload
	v_ashrrev_i32_e32 v4, 31, v16
	v_accvgpr_write_b32 a13, v16
	s_waitcnt vmcnt(2)
	v_xor_b32_e32 v4, v4, v5
	v_sub_u32_e32 v5, 0, v16
	v_max_i32_e32 v5, v16, v5
	s_waitcnt vmcnt(1)
	v_mul_hi_u32 v6, v5, v6
	s_waitcnt vmcnt(0)
	v_mul_lo_u32 v16, v6, v17
	v_sub_u32_e32 v5, v5, v16
	v_add_u32_e32 v16, 1, v6
	v_cmp_ge_u32_e32 vcc, v5, v17
	s_nop 1
	v_cndmask_b32_e32 v6, v6, v16, vcc
	v_sub_u32_e32 v16, v5, v17
	v_cndmask_b32_e32 v5, v5, v16, vcc
	v_add_u32_e32 v16, 1, v6
	v_cmp_ge_u32_e32 vcc, v5, v17
	s_nop 1
	v_cndmask_b32_e32 v5, v6, v16, vcc
	scratch_load_dwordx2 v[16:17], off, s32 offset:248 ; 8-byte Folded Reload
	v_xor_b32_e32 v5, v5, v4
	v_sub_u32_e32 v4, v5, v4
	s_waitcnt vmcnt(0)
	v_add_u32_e32 v5, v4, v16
	v_sub_u32_e32 v16, 0, v5
	v_ashrrev_i32_e32 v6, 31, v5
	v_max_i32_e32 v5, v5, v16
	v_accvgpr_read_b32 v16, a46
	v_mul_hi_u32 v16, v5, v16
	v_mul_lo_u32 v16, v16, v10
	v_sub_u32_e32 v5, v5, v16
	v_sub_u32_e32 v16, v5, v10
	v_cmp_ge_u32_e32 vcc, v5, v10
	s_nop 1
	v_cndmask_b32_e32 v5, v5, v16, vcc
	v_sub_u32_e32 v16, v5, v10
	v_cmp_ge_u32_e32 vcc, v5, v10
	s_nop 1
	v_cndmask_b32_e32 v5, v5, v16, vcc
	v_xor_b32_e32 v5, v5, v6
	v_sub_u32_e32 v5, v5, v6
	v_cmp_eq_u32_e32 vcc, 0, v5
	scratch_load_dword v5, off, s32 offset:260 ; 4-byte Folded Reload
	s_waitcnt vmcnt(0)
	v_cmp_gt_i32_e64 s[2:3], v4, v5
	s_or_b64 s[2:3], vcc, s[2:3]
	s_and_saveexec_b64 s[18:19], s[2:3]
	s_cbranch_execz .LBB298_1073
; %bb.1075:                             ;   in Loop: Header=BB298_1074 Depth=1
	ds_read2_b64 v[26:29], v11 offset1:1
	ds_read2_b64 v[30:33], v11 offset0:2 offset1:3
                                        ; implicit-def: $sgpr24
	s_waitcnt lgkmcnt(1)
	;;#ASMSTART
	v_cvt_f16_f32 v6, v26;

	;;#ASMEND
	;;#ASMSTART
	v_cvt_f16_f32 v16, v27;

	;;#ASMEND
	;; [unrolled: 4-line block ×4, first 2 shown]
	s_waitcnt lgkmcnt(0)
	;;#ASMSTART
	v_cvt_f16_f32 v23, v30;

	;;#ASMEND
	;;#ASMSTART
	v_cvt_f16_f32 v26, v31;

	;;#ASMEND
	;; [unrolled: 4-line block ×4, first 2 shown]
	flat_load_dword v4, v[14:15]
	scratch_load_dwordx2 v[32:33], off, s32 offset:492 ; 8-byte Folded Reload
	v_accvgpr_read_b32 v31, a19
	v_accvgpr_read_b32 v30, a18
	s_waitcnt vmcnt(0) lgkmcnt(0)
	v_mad_i64_i32 v[32:33], s[2:3], v4, v32, v[30:31]
	v_accvgpr_read_b32 v4, a28
	v_accvgpr_read_b32 v5, a29
	v_lshl_add_u64 v[56:57], v[32:33], 0, v[4:5]
	flat_load_dwordx2 v[60:61], v[56:57]
	scratch_load_dwordx2 v[4:5], off, s32 offset:196 ; 8-byte Folded Reload
	s_mov_b64 s[2:3], 0
	s_waitcnt vmcnt(0) lgkmcnt(0)
	v_cmp_gt_i16_sdwa s[20:21], v60, s5 src0_sel:BYTE_0 src1_sel:DWORD
	flat_load_dword v58, v[4:5]
	s_and_saveexec_b64 s[22:23], s[20:21]
	s_xor_b64 s[20:21], exec, s[22:23]
	s_cbranch_execnz .LBB298_1619
; %bb.1076:                             ;   in Loop: Header=BB298_1074 Depth=1
	s_or_saveexec_b64 s[20:21], s[20:21]
	v_mov_b32_e32 v46, s24
	s_xor_b64 exec, exec, s[20:21]
	s_cbranch_execnz .LBB298_1622
.LBB298_1077:                           ;   in Loop: Header=BB298_1074 Depth=1
	s_or_b64 exec, exec, s[20:21]
	s_and_saveexec_b64 s[20:21], s[2:3]
	s_cbranch_execz .LBB298_1079
.LBB298_1078:                           ;   in Loop: Header=BB298_1074 Depth=1
	v_and_b32_e32 v4, 7, v60
	v_ffbh_u32_e32 v4, v4
	v_bfe_u32 v5, v60, 3, 4
	v_min_u32_e32 v4, 32, v4
	v_subrev_u32_e32 v20, 28, v4
	v_sub_u32_e32 v4, 29, v4
	v_cmp_eq_u32_e32 vcc, 0, v5
	s_nop 1
	v_cndmask_b32_e32 v22, v5, v4, vcc
	v_cndmask_b32_e32 v4, 0, v20, vcc
	v_lshlrev_b64 v[4:5], v4, v[60:61]
	v_lshlrev_b32_e32 v5, 8, v60
	v_lshl_add_u32 v20, v22, 10, v19
	v_lshlrev_b32_e32 v4, 7, v4
	v_and_or_b32 v5, v5, s26, v20
	v_and_or_b32 v4, v4, s27, v5
	v_cvt_f32_f16_e32 v46, v4
.LBB298_1079:                           ;   in Loop: Header=BB298_1074 Depth=1
	s_or_b64 exec, exec, s[20:21]
	v_lshrrev_b16_e32 v20, 8, v60
	v_cmp_lt_i16_e32 vcc, s5, v20
	s_mov_b64 s[2:3], 0
                                        ; implicit-def: $sgpr24
	s_and_saveexec_b64 s[20:21], vcc
	s_xor_b64 s[20:21], exec, s[20:21]
	s_cbranch_execnz .LBB298_1623
; %bb.1080:                             ;   in Loop: Header=BB298_1074 Depth=1
	s_or_saveexec_b64 s[20:21], s[20:21]
	v_mov_b32_e32 v4, s24
	s_xor_b64 exec, exec, s[20:21]
	s_cbranch_execnz .LBB298_1626
.LBB298_1081:                           ;   in Loop: Header=BB298_1074 Depth=1
	s_or_b64 exec, exec, s[20:21]
	s_and_saveexec_b64 s[20:21], s[2:3]
	s_cbranch_execz .LBB298_1083
.LBB298_1082:                           ;   in Loop: Header=BB298_1074 Depth=1
	v_and_b32_e32 v22, 7, v20
	v_ffbh_u32_e32 v4, v22
	v_min_u32_e32 v30, 32, v4
	v_subrev_u32_e32 v4, 28, v30
	v_bfe_u32 v29, v20, 3, 4
	v_lshlrev_b64 v[4:5], v4, v[20:21]
	v_sub_u32_e32 v5, 29, v30
	v_cmp_eq_u32_e32 vcc, 0, v29
	v_and_b32_e32 v4, 7, v4
	v_lshlrev_b32_e32 v20, 8, v20
	v_cndmask_b32_e32 v5, v29, v5, vcc
	v_lshl_add_u32 v5, v5, 10, v19
	v_cndmask_b32_e32 v4, v22, v4, vcc
	v_and_or_b32 v5, v20, s26, v5
	v_lshl_or_b32 v4, v4, 7, v5
	v_cvt_f32_f16_e32 v4, v4
.LBB298_1083:                           ;   in Loop: Header=BB298_1074 Depth=1
	s_or_b64 exec, exec, s[20:21]
	v_lshrrev_b32_e32 v20, 16, v60
	v_cmp_gt_i16_sdwa s[20:21], v20, s5 src0_sel:BYTE_0 src1_sel:DWORD
	s_mov_b64 s[2:3], 0
                                        ; implicit-def: $sgpr24
	s_and_saveexec_b64 s[22:23], s[20:21]
	s_xor_b64 s[20:21], exec, s[22:23]
	s_cbranch_execnz .LBB298_1627
; %bb.1084:                             ;   in Loop: Header=BB298_1074 Depth=1
	s_or_saveexec_b64 s[20:21], s[20:21]
	v_mov_b32_e32 v47, s24
	s_xor_b64 exec, exec, s[20:21]
	s_cbranch_execnz .LBB298_1630
.LBB298_1085:                           ;   in Loop: Header=BB298_1074 Depth=1
	s_or_b64 exec, exec, s[20:21]
	s_and_saveexec_b64 s[20:21], s[2:3]
	s_cbranch_execz .LBB298_1087
.LBB298_1086:                           ;   in Loop: Header=BB298_1074 Depth=1
	v_bfe_u32 v5, v60, 16, 3
	v_ffbh_u32_e32 v29, v5
	v_bfe_u32 v22, v60, 19, 4
	v_min_u32_e32 v29, 32, v29
	v_subrev_u32_e32 v30, 28, v29
	v_sub_u32_e32 v29, 29, v29
	v_cmp_eq_u32_e32 vcc, 0, v22
	v_lshlrev_b64 v[30:31], v30, v[20:21]
	v_and_b32_e32 v30, 7, v30
	v_cndmask_b32_e32 v22, v22, v29, vcc
	v_lshlrev_b32_e32 v20, 8, v20
	v_lshl_add_u32 v22, v22, 10, v19
	v_cndmask_b32_e32 v5, v5, v30, vcc
	v_and_or_b32 v20, v20, s26, v22
	v_lshl_or_b32 v5, v5, 7, v20
	v_cvt_f32_f16_e32 v47, v5
.LBB298_1087:                           ;   in Loop: Header=BB298_1074 Depth=1
	s_or_b64 exec, exec, s[20:21]
	v_lshrrev_b32_e32 v20, 24, v60
	v_cmp_lt_i16_e32 vcc, s5, v20
	s_mov_b64 s[2:3], 0
                                        ; implicit-def: $sgpr24
	s_and_saveexec_b64 s[20:21], vcc
	s_xor_b64 s[20:21], exec, s[20:21]
	s_cbranch_execnz .LBB298_1631
; %bb.1088:                             ;   in Loop: Header=BB298_1074 Depth=1
	s_or_saveexec_b64 s[20:21], s[20:21]
	v_mov_b32_e32 v5, s24
	s_xor_b64 exec, exec, s[20:21]
	s_cbranch_execnz .LBB298_1634
.LBB298_1089:                           ;   in Loop: Header=BB298_1074 Depth=1
	s_or_b64 exec, exec, s[20:21]
	s_and_saveexec_b64 s[20:21], s[2:3]
	s_cbranch_execz .LBB298_1091
.LBB298_1090:                           ;   in Loop: Header=BB298_1074 Depth=1
	v_bfe_u32 v5, v60, 24, 3
	v_ffbh_u32_e32 v29, v5
	v_bfe_u32 v22, v60, 27, 4
	v_min_u32_e32 v29, 32, v29
	v_subrev_u32_e32 v30, 28, v29
	v_sub_u32_e32 v29, 29, v29
	v_cmp_eq_u32_e32 vcc, 0, v22
	v_lshlrev_b64 v[30:31], v30, v[20:21]
	v_and_b32_e32 v30, 7, v30
	v_cndmask_b32_e32 v22, v22, v29, vcc
	v_lshlrev_b32_e32 v20, 8, v20
	v_lshl_add_u32 v22, v22, 10, v19
	v_cndmask_b32_e32 v5, v5, v30, vcc
	v_and_or_b32 v20, v20, s26, v22
	v_lshl_or_b32 v5, v5, 7, v20
	v_cvt_f32_f16_e32 v5, v5
.LBB298_1091:                           ;   in Loop: Header=BB298_1074 Depth=1
	s_or_b64 exec, exec, s[20:21]
	v_cmp_gt_i16_sdwa s[20:21], v61, s5 src0_sel:BYTE_0 src1_sel:DWORD
	s_mov_b64 s[2:3], 0
                                        ; implicit-def: $sgpr24
	s_and_saveexec_b64 s[22:23], s[20:21]
	s_xor_b64 s[20:21], exec, s[22:23]
	s_cbranch_execnz .LBB298_1635
; %bb.1092:                             ;   in Loop: Header=BB298_1074 Depth=1
	s_or_saveexec_b64 s[20:21], s[20:21]
	v_mov_b32_e32 v22, s24
	s_xor_b64 exec, exec, s[20:21]
	s_cbranch_execnz .LBB298_1638
.LBB298_1093:                           ;   in Loop: Header=BB298_1074 Depth=1
	s_or_b64 exec, exec, s[20:21]
	v_mov_b32_e32 v20, v61
	s_and_saveexec_b64 s[20:21], s[2:3]
	s_cbranch_execz .LBB298_1095
.LBB298_1094:                           ;   in Loop: Header=BB298_1074 Depth=1
	v_and_b32_e32 v22, 7, v61
	v_ffbh_u32_e32 v22, v22
	v_bfe_u32 v29, v61, 3, 4
	v_min_u32_e32 v22, 32, v22
	v_subrev_u32_e32 v30, 28, v22
	v_sub_u32_e32 v22, 29, v22
	v_cmp_eq_u32_e32 vcc, 0, v29
	s_nop 1
	v_cndmask_b32_e32 v22, v29, v22, vcc
	v_cndmask_b32_e32 v29, 0, v30, vcc
	v_lshlrev_b64 v[30:31], v29, v[20:21]
	v_lshlrev_b32_e32 v29, 7, v30
	v_lshlrev_b32_e32 v30, 8, v61
	v_lshl_add_u32 v22, v22, 10, v19
	v_and_or_b32 v22, v30, s26, v22
	v_and_or_b32 v22, v29, s27, v22
	v_cvt_f32_f16_e32 v22, v22
.LBB298_1095:                           ;   in Loop: Header=BB298_1074 Depth=1
	s_or_b64 exec, exec, s[20:21]
	v_lshrrev_b16_e32 v20, 8, v20
	v_cmp_lt_i16_e32 vcc, s5, v20
	s_mov_b64 s[2:3], 0
                                        ; implicit-def: $sgpr24
	s_and_saveexec_b64 s[20:21], vcc
	s_xor_b64 s[20:21], exec, s[20:21]
	s_cbranch_execnz .LBB298_1639
; %bb.1096:                             ;   in Loop: Header=BB298_1074 Depth=1
	s_or_saveexec_b64 s[20:21], s[20:21]
	v_mov_b32_e32 v29, s24
	s_xor_b64 exec, exec, s[20:21]
	s_cbranch_execnz .LBB298_1642
.LBB298_1097:                           ;   in Loop: Header=BB298_1074 Depth=1
	s_or_b64 exec, exec, s[20:21]
	s_and_saveexec_b64 s[20:21], s[2:3]
	s_cbranch_execz .LBB298_1099
.LBB298_1098:                           ;   in Loop: Header=BB298_1074 Depth=1
	v_and_b32_e32 v29, 7, v20
	v_ffbh_u32_e32 v30, v29
	v_min_u32_e32 v39, 32, v30
	v_subrev_u32_e32 v30, 28, v39
	v_bfe_u32 v38, v20, 3, 4
	v_lshlrev_b64 v[30:31], v30, v[20:21]
	v_sub_u32_e32 v31, 29, v39
	v_cmp_eq_u32_e32 vcc, 0, v38
	v_and_b32_e32 v30, 7, v30
	v_lshlrev_b32_e32 v20, 8, v20
	v_cndmask_b32_e32 v31, v38, v31, vcc
	v_cndmask_b32_e32 v29, v29, v30, vcc
	v_lshl_add_u32 v30, v31, 10, v19
	v_and_or_b32 v20, v20, s26, v30
	v_lshl_or_b32 v20, v29, 7, v20
	v_cvt_f32_f16_e32 v29, v20
.LBB298_1099:                           ;   in Loop: Header=BB298_1074 Depth=1
	s_or_b64 exec, exec, s[20:21]
	v_lshrrev_b32_e32 v20, 16, v61
	v_cmp_gt_i16_sdwa s[20:21], v20, s5 src0_sel:BYTE_0 src1_sel:DWORD
	s_mov_b64 s[2:3], 0
                                        ; implicit-def: $sgpr24
	s_and_saveexec_b64 s[22:23], s[20:21]
	s_xor_b64 s[20:21], exec, s[22:23]
	s_cbranch_execnz .LBB298_1643
; %bb.1100:                             ;   in Loop: Header=BB298_1074 Depth=1
	s_or_saveexec_b64 s[20:21], s[20:21]
	v_mov_b32_e32 v30, s24
	s_xor_b64 exec, exec, s[20:21]
	s_cbranch_execnz .LBB298_1646
.LBB298_1101:                           ;   in Loop: Header=BB298_1074 Depth=1
	s_or_b64 exec, exec, s[20:21]
	s_and_saveexec_b64 s[20:21], s[2:3]
	s_cbranch_execz .LBB298_1103
.LBB298_1102:                           ;   in Loop: Header=BB298_1074 Depth=1
	v_bfe_u32 v38, v61, 16, 3
	v_ffbh_u32_e32 v30, v38
	v_min_u32_e32 v50, 32, v30
	v_subrev_u32_e32 v30, 28, v50
	v_bfe_u32 v39, v61, 19, 4
	v_lshlrev_b64 v[30:31], v30, v[20:21]
	v_sub_u32_e32 v31, 29, v50
	v_cmp_eq_u32_e32 vcc, 0, v39
	v_and_b32_e32 v30, 7, v30
	v_lshlrev_b32_e32 v20, 8, v20
	v_cndmask_b32_e32 v31, v39, v31, vcc
	v_lshl_add_u32 v31, v31, 10, v19
	v_cndmask_b32_e32 v30, v38, v30, vcc
	v_and_or_b32 v20, v20, s26, v31
	v_lshl_or_b32 v20, v30, 7, v20
	v_cvt_f32_f16_e32 v30, v20
.LBB298_1103:                           ;   in Loop: Header=BB298_1074 Depth=1
	s_or_b64 exec, exec, s[20:21]
	v_lshrrev_b32_e32 v20, 24, v61
	v_cmp_lt_i16_e32 vcc, s5, v20
	s_mov_b64 s[2:3], 0
                                        ; implicit-def: $sgpr24
	s_and_saveexec_b64 s[20:21], vcc
	s_xor_b64 s[20:21], exec, s[20:21]
	s_cbranch_execnz .LBB298_1647
; %bb.1104:                             ;   in Loop: Header=BB298_1074 Depth=1
	s_or_saveexec_b64 s[20:21], s[20:21]
	v_mov_b32_e32 v31, s24
	s_xor_b64 exec, exec, s[20:21]
	s_cbranch_execnz .LBB298_1650
.LBB298_1105:                           ;   in Loop: Header=BB298_1074 Depth=1
	s_or_b64 exec, exec, s[20:21]
	s_and_saveexec_b64 s[20:21], s[2:3]
	s_cbranch_execz .LBB298_1107
.LBB298_1106:                           ;   in Loop: Header=BB298_1074 Depth=1
	v_bfe_u32 v31, v61, 24, 3
	v_ffbh_u32_e32 v38, v31
	v_min_u32_e32 v51, 32, v38
	v_subrev_u32_e32 v38, 28, v51
	v_bfe_u32 v50, v61, 27, 4
	v_lshlrev_b64 v[38:39], v38, v[20:21]
	v_sub_u32_e32 v39, 29, v51
	v_cmp_eq_u32_e32 vcc, 0, v50
	v_and_b32_e32 v38, 7, v38
	v_lshlrev_b32_e32 v20, 8, v20
	v_cndmask_b32_e32 v39, v50, v39, vcc
	v_cndmask_b32_e32 v31, v31, v38, vcc
	v_lshl_add_u32 v38, v39, 10, v19
	v_and_or_b32 v20, v20, s26, v38
	v_lshl_or_b32 v20, v31, 7, v20
	v_cvt_f32_f16_e32 v31, v20
.LBB298_1107:                           ;   in Loop: Header=BB298_1074 Depth=1
	s_or_b64 exec, exec, s[20:21]
	scratch_load_dwordx2 v[52:53], off, s32 offset:216 ; 8-byte Folded Reload
	s_waitcnt vmcnt(0) lgkmcnt(0)
	v_pk_mul_f32 v[4:5], v[58:59], v[4:5] op_sel_hi:[0,1]
	v_pk_mul_f32 v[38:39], v[58:59], v[46:47] op_sel_hi:[0,1]
	v_cvt_f16_f32_e32 v5, v5
	v_cvt_f16_f32_e32 v4, v4
	;; [unrolled: 1-line block ×4, first 2 shown]
	v_fma_mixlo_f16 v22, v58, v22, 0
	v_pack_b32_f16 v5, v4, v5
	v_accvgpr_read_b32 v38, a13
	v_pack_b32_f16 v20, v39, v20
	v_perm_b32 v4, v20, v5, s28
	v_perm_b32 v5, v20, v5, s29
	v_fma_mixlo_f16 v20, v58, v29, 0
	v_lshlrev_b32_e32 v20, 16, v20
	v_accvgpr_read_b32 v50, a24
	v_or_b32_sdwa v20, v20, v22 dst_sel:DWORD dst_unused:UNUSED_PAD src0_sel:DWORD src1_sel:WORD_0
	v_fma_mixlo_f16 v22, v58, v31, 0
	v_add_u32_e32 v38, v50, v38
	v_accvgpr_read_b32 v51, a25
	v_fma_mixlo_f16 v30, v58, v30, 0
	v_lshlrev_b32_e32 v22, 16, v22
	v_or_b32_sdwa v29, v22, v30 dst_sel:DWORD dst_unused:UNUSED_PAD src0_sel:DWORD src1_sel:WORD_0
	v_add_u32_e32 v41, 1, v38
	v_or_b32_e32 v40, 3, v38
	v_or_b32_e32 v55, 2, v38
	;; [unrolled: 1-line block ×5, first 2 shown]
	v_cmp_eq_u32_e32 vcc, v51, v52
	v_or_b32_e32 v52, 5, v38
	s_and_saveexec_b64 s[20:21], vcc
	s_cbranch_execz .LBB298_1109
; %bb.1108:                             ;   in Loop: Header=BB298_1074 Depth=1
	scratch_load_dwordx2 a[0:1], off, s32 offset:204 ; 8-byte Folded Reload
	v_lshrrev_b32_e32 v31, 16, v5
	v_cmp_lt_i32_e64 s[2:3], v41, v7
	v_lshrrev_b32_e32 v29, 16, v29
	s_waitcnt vmcnt(0)
	v_accvgpr_read_b32 v54, a0
	v_cndmask_b32_e64 v31, 0, v31, s[2:3]
	v_cmp_lt_i32_e64 s[2:3], v38, v54
	s_nop 1
	v_cndmask_b32_e64 v5, 0, v5, s[2:3]
	v_perm_b32 v5, v31, v5, s30
	v_lshrrev_b32_e32 v31, 16, v4
	v_cmp_lt_i32_e64 s[2:3], v40, v7
	s_nop 1
	v_cndmask_b32_e64 v31, 0, v31, s[2:3]
	v_cmp_lt_i32_e64 s[2:3], v55, v54
	s_nop 1
	v_cndmask_b32_e64 v4, 0, v4, s[2:3]
	v_perm_b32 v4, v31, v4, s30
	v_lshrrev_b32_e32 v31, 16, v20
	v_cmp_lt_i32_e64 s[2:3], v52, v7
	s_nop 1
	v_cndmask_b32_e64 v31, 0, v31, s[2:3]
	v_cmp_lt_i32_e64 s[2:3], v50, v54
	s_nop 1
	v_cndmask_b32_e64 v20, 0, v20, s[2:3]
	v_cmp_lt_i32_e64 s[2:3], v62, v7
	v_perm_b32 v20, v31, v20, s30
	s_nop 0
	v_cndmask_b32_e64 v29, 0, v29, s[2:3]
	v_cmp_lt_i32_e64 s[2:3], v22, v54
	s_nop 1
	v_cndmask_b32_e64 v30, 0, v30, s[2:3]
	v_perm_b32 v29, v29, v30, s30
.LBB298_1109:                           ;   in Loop: Header=BB298_1074 Depth=1
	s_or_b64 exec, exec, s[20:21]
	v_and_b32_e32 v6, 0xffff, v6
	v_lshl_or_b32 v54, v16, 16, v6
	v_and_b32_e32 v6, 0xffff, v17
	v_lshl_or_b32 v53, v18, 16, v6
	;; [unrolled: 2-line block ×3, first 2 shown]
	v_and_b32_e32 v6, 0xffff, v27
	;;#ASMSTART
	v_pk_mul_f16 v5, v54, v5;

	;;#ASMEND
	;;#ASMSTART
	v_pk_mul_f16 v4, v53, v4;

	;;#ASMEND
	v_lshl_or_b32 v39, v28, 16, v6
	;;#ASMSTART
	v_pk_mul_f16 v6, v51, v20;

	;;#ASMEND
	;;#ASMSTART
	v_pk_mul_f16 v16, v39, v29;

	;;#ASMEND
	;;#ASMSTART
	v_pk_add_f16 v4, v5, v4;

	;;#ASMEND
	s_mov_b64 s[2:3], 0
	;;#ASMSTART
	v_pk_add_f16 v4, v4, v6;

	;;#ASMEND
                                        ; implicit-def: $sgpr24
	s_nop 0
	;;#ASMSTART
	v_pk_add_f16 v4, v4, v16;

	;;#ASMEND
	s_nop 0
	v_lshrrev_b32_e32 v5, 16, v4
	v_and_b32_e32 v4, 0xffff, v4
	;;#ASMSTART
	v_cvt_f32_f16 v4, v4;
	;;#ASMEND
	s_nop 0
	v_accvgpr_write_b32 a15, v4
	;;#ASMSTART
	v_cvt_f32_f16 v4, v5;
	;;#ASMEND
	s_nop 0
	v_accvgpr_write_b32 a16, v4
	flat_load_dwordx2 v[60:61], v[56:57] offset:512
	scratch_load_dwordx2 v[4:5], off, s32 offset:196 ; 8-byte Folded Reload
	s_waitcnt vmcnt(0) lgkmcnt(0)
	v_cmp_gt_i16_sdwa s[20:21], v60, s5 src0_sel:BYTE_0 src1_sel:DWORD
	flat_load_dword v58, v[4:5]
	s_and_saveexec_b64 s[22:23], s[20:21]
	s_xor_b64 s[20:21], exec, s[22:23]
	s_cbranch_execnz .LBB298_1651
; %bb.1110:                             ;   in Loop: Header=BB298_1074 Depth=1
	s_or_saveexec_b64 s[20:21], s[20:21]
	v_mov_b32_e32 v46, s24
	s_xor_b64 exec, exec, s[20:21]
	s_cbranch_execnz .LBB298_1654
.LBB298_1111:                           ;   in Loop: Header=BB298_1074 Depth=1
	s_or_b64 exec, exec, s[20:21]
	s_and_saveexec_b64 s[20:21], s[2:3]
	s_cbranch_execz .LBB298_1113
.LBB298_1112:                           ;   in Loop: Header=BB298_1074 Depth=1
	v_and_b32_e32 v4, 7, v60
	v_ffbh_u32_e32 v4, v4
	v_bfe_u32 v5, v60, 3, 4
	v_min_u32_e32 v4, 32, v4
	v_subrev_u32_e32 v6, 28, v4
	v_sub_u32_e32 v4, 29, v4
	v_cmp_eq_u32_e64 s[2:3], 0, v5
	s_nop 1
	v_cndmask_b32_e64 v16, v5, v4, s[2:3]
	v_cndmask_b32_e64 v4, 0, v6, s[2:3]
	v_lshlrev_b64 v[4:5], v4, v[60:61]
	v_lshlrev_b32_e32 v5, 8, v60
	v_lshl_add_u32 v6, v16, 10, v19
	v_lshlrev_b32_e32 v4, 7, v4
	v_and_or_b32 v5, v5, s26, v6
	v_and_or_b32 v4, v4, s27, v5
	v_cvt_f32_f16_e32 v46, v4
.LBB298_1113:                           ;   in Loop: Header=BB298_1074 Depth=1
	s_or_b64 exec, exec, s[20:21]
	v_lshrrev_b16_e32 v20, 8, v60
	v_cmp_lt_i16_e64 s[2:3], s5, v20
	s_mov_b64 s[20:21], 0
                                        ; implicit-def: $sgpr31
	s_and_saveexec_b64 s[22:23], s[2:3]
	s_xor_b64 s[22:23], exec, s[22:23]
	s_cbranch_execnz .LBB298_1655
; %bb.1114:                             ;   in Loop: Header=BB298_1074 Depth=1
	s_or_saveexec_b64 s[22:23], s[22:23]
	v_mov_b32_e32 v4, s31
	s_xor_b64 exec, exec, s[22:23]
	s_cbranch_execnz .LBB298_1658
.LBB298_1115:                           ;   in Loop: Header=BB298_1074 Depth=1
	s_or_b64 exec, exec, s[22:23]
	s_and_saveexec_b64 s[22:23], s[20:21]
	s_cbranch_execz .LBB298_1117
.LBB298_1116:                           ;   in Loop: Header=BB298_1074 Depth=1
	v_and_b32_e32 v6, 7, v20
	v_ffbh_u32_e32 v4, v6
	v_min_u32_e32 v17, 32, v4
	v_subrev_u32_e32 v4, 28, v17
	v_bfe_u32 v16, v20, 3, 4
	v_lshlrev_b64 v[4:5], v4, v[20:21]
	v_sub_u32_e32 v5, 29, v17
	v_cmp_eq_u32_e64 s[2:3], 0, v16
	v_and_b32_e32 v4, 7, v4
	s_nop 0
	v_cndmask_b32_e64 v5, v16, v5, s[2:3]
	v_cndmask_b32_e64 v4, v6, v4, s[2:3]
	v_lshlrev_b32_e32 v6, 8, v20
	v_lshl_add_u32 v5, v5, 10, v19
	v_and_or_b32 v5, v6, s26, v5
	v_lshl_or_b32 v4, v4, 7, v5
	v_cvt_f32_f16_e32 v4, v4
.LBB298_1117:                           ;   in Loop: Header=BB298_1074 Depth=1
	s_or_b64 exec, exec, s[22:23]
	v_lshrrev_b32_e32 v20, 16, v60
	v_cmp_gt_i16_sdwa s[20:21], v20, s5 src0_sel:BYTE_0 src1_sel:DWORD
	s_mov_b64 s[2:3], 0
                                        ; implicit-def: $sgpr24
	s_and_saveexec_b64 s[22:23], s[20:21]
	s_xor_b64 s[20:21], exec, s[22:23]
	s_cbranch_execnz .LBB298_1659
; %bb.1118:                             ;   in Loop: Header=BB298_1074 Depth=1
	s_or_saveexec_b64 s[20:21], s[20:21]
	v_mov_b32_e32 v47, s24
	s_xor_b64 exec, exec, s[20:21]
	s_cbranch_execnz .LBB298_1662
.LBB298_1119:                           ;   in Loop: Header=BB298_1074 Depth=1
	s_or_b64 exec, exec, s[20:21]
	s_and_saveexec_b64 s[20:21], s[2:3]
	s_cbranch_execz .LBB298_1121
.LBB298_1120:                           ;   in Loop: Header=BB298_1074 Depth=1
	v_bfe_u32 v5, v60, 16, 3
	v_ffbh_u32_e32 v16, v5
	v_min_u32_e32 v18, 32, v16
	v_subrev_u32_e32 v16, 28, v18
	v_bfe_u32 v6, v60, 19, 4
	v_lshlrev_b64 v[16:17], v16, v[20:21]
	v_sub_u32_e32 v17, 29, v18
	v_cmp_eq_u32_e64 s[2:3], 0, v6
	v_and_b32_e32 v16, 7, v16
	s_nop 0
	v_cndmask_b32_e64 v6, v6, v17, s[2:3]
	v_cndmask_b32_e64 v5, v5, v16, s[2:3]
	v_lshlrev_b32_e32 v16, 8, v20
	v_lshl_add_u32 v6, v6, 10, v19
	v_and_or_b32 v6, v16, s26, v6
	v_lshl_or_b32 v5, v5, 7, v6
	v_cvt_f32_f16_e32 v47, v5
.LBB298_1121:                           ;   in Loop: Header=BB298_1074 Depth=1
	s_or_b64 exec, exec, s[20:21]
	v_lshrrev_b32_e32 v20, 24, v60
	v_cmp_lt_i16_e64 s[2:3], s5, v20
	s_mov_b64 s[20:21], 0
                                        ; implicit-def: $sgpr31
	s_and_saveexec_b64 s[22:23], s[2:3]
	s_xor_b64 s[22:23], exec, s[22:23]
	s_cbranch_execnz .LBB298_1663
; %bb.1122:                             ;   in Loop: Header=BB298_1074 Depth=1
	s_or_saveexec_b64 s[22:23], s[22:23]
	v_mov_b32_e32 v5, s31
	s_xor_b64 exec, exec, s[22:23]
	s_cbranch_execnz .LBB298_1666
.LBB298_1123:                           ;   in Loop: Header=BB298_1074 Depth=1
	s_or_b64 exec, exec, s[22:23]
	s_and_saveexec_b64 s[22:23], s[20:21]
	s_cbranch_execz .LBB298_1125
.LBB298_1124:                           ;   in Loop: Header=BB298_1074 Depth=1
	v_bfe_u32 v5, v60, 24, 3
	v_ffbh_u32_e32 v16, v5
	v_min_u32_e32 v18, 32, v16
	v_subrev_u32_e32 v16, 28, v18
	v_bfe_u32 v6, v60, 27, 4
	v_lshlrev_b64 v[16:17], v16, v[20:21]
	v_sub_u32_e32 v17, 29, v18
	v_cmp_eq_u32_e64 s[2:3], 0, v6
	v_and_b32_e32 v16, 7, v16
	s_nop 0
	v_cndmask_b32_e64 v6, v6, v17, s[2:3]
	v_cndmask_b32_e64 v5, v5, v16, s[2:3]
	v_lshlrev_b32_e32 v16, 8, v20
	v_lshl_add_u32 v6, v6, 10, v19
	v_and_or_b32 v6, v16, s26, v6
	v_lshl_or_b32 v5, v5, 7, v6
	v_cvt_f32_f16_e32 v5, v5
.LBB298_1125:                           ;   in Loop: Header=BB298_1074 Depth=1
	s_or_b64 exec, exec, s[22:23]
	v_cmp_gt_i16_sdwa s[20:21], v61, s5 src0_sel:BYTE_0 src1_sel:DWORD
	s_mov_b64 s[2:3], 0
                                        ; implicit-def: $sgpr24
	s_and_saveexec_b64 s[22:23], s[20:21]
	s_xor_b64 s[20:21], exec, s[22:23]
	s_cbranch_execnz .LBB298_1667
; %bb.1126:                             ;   in Loop: Header=BB298_1074 Depth=1
	s_or_saveexec_b64 s[20:21], s[20:21]
	v_mov_b32_e32 v6, s24
	s_xor_b64 exec, exec, s[20:21]
	s_cbranch_execnz .LBB298_1670
.LBB298_1127:                           ;   in Loop: Header=BB298_1074 Depth=1
	s_or_b64 exec, exec, s[20:21]
	v_mov_b32_e32 v20, v61
	s_and_saveexec_b64 s[20:21], s[2:3]
	s_cbranch_execz .LBB298_1129
.LBB298_1128:                           ;   in Loop: Header=BB298_1074 Depth=1
	v_and_b32_e32 v6, 7, v61
	v_ffbh_u32_e32 v6, v6
	v_bfe_u32 v16, v61, 3, 4
	v_min_u32_e32 v6, 32, v6
	v_subrev_u32_e32 v17, 28, v6
	v_sub_u32_e32 v6, 29, v6
	v_cmp_eq_u32_e64 s[2:3], 0, v16
	s_nop 1
	v_cndmask_b32_e64 v6, v16, v6, s[2:3]
	v_cndmask_b32_e64 v16, 0, v17, s[2:3]
	v_lshlrev_b64 v[16:17], v16, v[20:21]
	v_lshlrev_b32_e32 v17, 8, v61
	v_lshl_add_u32 v6, v6, 10, v19
	v_lshlrev_b32_e32 v16, 7, v16
	v_and_or_b32 v6, v17, s26, v6
	v_and_or_b32 v6, v16, s27, v6
	v_cvt_f32_f16_e32 v6, v6
.LBB298_1129:                           ;   in Loop: Header=BB298_1074 Depth=1
	s_or_b64 exec, exec, s[20:21]
	v_lshrrev_b16_e32 v20, 8, v20
	v_cmp_lt_i16_e64 s[2:3], s5, v20
	s_mov_b64 s[20:21], 0
                                        ; implicit-def: $sgpr31
	s_and_saveexec_b64 s[22:23], s[2:3]
	s_xor_b64 s[22:23], exec, s[22:23]
	s_cbranch_execnz .LBB298_1671
; %bb.1130:                             ;   in Loop: Header=BB298_1074 Depth=1
	s_or_saveexec_b64 s[22:23], s[22:23]
	v_mov_b32_e32 v16, s31
	s_xor_b64 exec, exec, s[22:23]
	s_cbranch_execnz .LBB298_1674
.LBB298_1131:                           ;   in Loop: Header=BB298_1074 Depth=1
	s_or_b64 exec, exec, s[22:23]
	s_and_saveexec_b64 s[22:23], s[20:21]
	s_cbranch_execz .LBB298_1133
.LBB298_1132:                           ;   in Loop: Header=BB298_1074 Depth=1
	v_and_b32_e32 v18, 7, v20
	v_ffbh_u32_e32 v16, v18
	v_min_u32_e32 v26, 32, v16
	v_subrev_u32_e32 v16, 28, v26
	v_bfe_u32 v23, v20, 3, 4
	v_lshlrev_b64 v[16:17], v16, v[20:21]
	v_sub_u32_e32 v17, 29, v26
	v_cmp_eq_u32_e64 s[2:3], 0, v23
	v_and_b32_e32 v16, 7, v16
	s_nop 0
	v_cndmask_b32_e64 v17, v23, v17, s[2:3]
	v_cndmask_b32_e64 v16, v18, v16, s[2:3]
	v_lshlrev_b32_e32 v18, 8, v20
	v_lshl_add_u32 v17, v17, 10, v19
	v_and_or_b32 v17, v18, s26, v17
	v_lshl_or_b32 v16, v16, 7, v17
	v_cvt_f32_f16_e32 v16, v16
.LBB298_1133:                           ;   in Loop: Header=BB298_1074 Depth=1
	s_or_b64 exec, exec, s[22:23]
	v_lshrrev_b32_e32 v20, 16, v61
	v_cmp_gt_i16_sdwa s[20:21], v20, s5 src0_sel:BYTE_0 src1_sel:DWORD
	s_mov_b64 s[2:3], 0
                                        ; implicit-def: $sgpr24
	s_and_saveexec_b64 s[22:23], s[20:21]
	s_xor_b64 s[20:21], exec, s[22:23]
	s_cbranch_execnz .LBB298_1675
; %bb.1134:                             ;   in Loop: Header=BB298_1074 Depth=1
	s_or_saveexec_b64 s[20:21], s[20:21]
	v_mov_b32_e32 v17, s24
	s_xor_b64 exec, exec, s[20:21]
	s_cbranch_execnz .LBB298_1678
.LBB298_1135:                           ;   in Loop: Header=BB298_1074 Depth=1
	s_or_b64 exec, exec, s[20:21]
	s_and_saveexec_b64 s[20:21], s[2:3]
	s_cbranch_execz .LBB298_1137
.LBB298_1136:                           ;   in Loop: Header=BB298_1074 Depth=1
	v_bfe_u32 v17, v61, 16, 3
	v_ffbh_u32_e32 v23, v17
	v_bfe_u32 v18, v61, 19, 4
	v_min_u32_e32 v23, 32, v23
	v_subrev_u32_e32 v26, 28, v23
	v_sub_u32_e32 v23, 29, v23
	v_cmp_eq_u32_e64 s[2:3], 0, v18
	v_lshlrev_b64 v[26:27], v26, v[20:21]
	v_and_b32_e32 v26, 7, v26
	v_cndmask_b32_e64 v18, v18, v23, s[2:3]
	v_lshlrev_b32_e32 v20, 8, v20
	v_lshl_add_u32 v18, v18, 10, v19
	v_cndmask_b32_e64 v17, v17, v26, s[2:3]
	v_and_or_b32 v18, v20, s26, v18
	v_lshl_or_b32 v17, v17, 7, v18
	v_cvt_f32_f16_e32 v17, v17
.LBB298_1137:                           ;   in Loop: Header=BB298_1074 Depth=1
	s_or_b64 exec, exec, s[20:21]
	v_lshrrev_b32_e32 v20, 24, v61
	v_cmp_lt_i16_e64 s[2:3], s5, v20
	s_mov_b64 s[20:21], 0
                                        ; implicit-def: $sgpr31
	s_and_saveexec_b64 s[22:23], s[2:3]
	s_xor_b64 s[22:23], exec, s[22:23]
	s_cbranch_execnz .LBB298_1679
; %bb.1138:                             ;   in Loop: Header=BB298_1074 Depth=1
	s_or_saveexec_b64 s[22:23], s[22:23]
	v_mov_b32_e32 v23, s31
	s_xor_b64 exec, exec, s[22:23]
	s_cbranch_execnz .LBB298_1682
.LBB298_1139:                           ;   in Loop: Header=BB298_1074 Depth=1
	s_or_b64 exec, exec, s[22:23]
	s_and_saveexec_b64 s[22:23], s[20:21]
	s_cbranch_execz .LBB298_1141
.LBB298_1140:                           ;   in Loop: Header=BB298_1074 Depth=1
	v_bfe_u32 v18, v61, 24, 3
	v_ffbh_u32_e32 v26, v18
	v_min_u32_e32 v28, 32, v26
	v_subrev_u32_e32 v26, 28, v28
	v_bfe_u32 v23, v61, 27, 4
	v_lshlrev_b64 v[26:27], v26, v[20:21]
	v_sub_u32_e32 v27, 29, v28
	v_cmp_eq_u32_e64 s[2:3], 0, v23
	v_and_b32_e32 v26, 7, v26
	v_lshlrev_b32_e32 v20, 8, v20
	v_cndmask_b32_e64 v23, v23, v27, s[2:3]
	v_lshl_add_u32 v23, v23, 10, v19
	v_cndmask_b32_e64 v18, v18, v26, s[2:3]
	v_and_or_b32 v20, v20, s26, v23
	v_lshl_or_b32 v18, v18, 7, v20
	v_cvt_f32_f16_e32 v23, v18
.LBB298_1141:                           ;   in Loop: Header=BB298_1074 Depth=1
	s_or_b64 exec, exec, s[22:23]
	s_waitcnt vmcnt(0) lgkmcnt(0)
	v_pk_mul_f32 v[4:5], v[58:59], v[4:5] op_sel_hi:[0,1]
	v_pk_mul_f32 v[26:27], v[58:59], v[46:47] op_sel_hi:[0,1]
	v_cvt_f16_f32_e32 v5, v5
	v_cvt_f16_f32_e32 v4, v4
	;; [unrolled: 1-line block ×4, first 2 shown]
	v_fma_mixlo_f16 v6, v58, v6, 0
	v_pack_b32_f16 v5, v4, v5
	v_pack_b32_f16 v18, v20, v18
	v_perm_b32 v4, v18, v5, s28
	v_perm_b32 v18, v18, v5, s29
	v_fma_mixlo_f16 v5, v58, v16, 0
	v_lshlrev_b32_e32 v5, 16, v5
	v_or_b32_sdwa v5, v5, v6 dst_sel:DWORD dst_unused:UNUSED_PAD src0_sel:DWORD src1_sel:WORD_0
	v_fma_mixlo_f16 v6, v58, v23, 0
	v_fma_mixlo_f16 v16, v58, v17, 0
	v_lshlrev_b32_e32 v6, 16, v6
	v_or_b32_sdwa v6, v6, v16 dst_sel:DWORD dst_unused:UNUSED_PAD src0_sel:DWORD src1_sel:WORD_0
	s_and_saveexec_b64 s[20:21], vcc
	s_cbranch_execz .LBB298_1143
; %bb.1142:                             ;   in Loop: Header=BB298_1074 Depth=1
	scratch_load_dwordx2 v[26:27], off, s32 offset:204 ; 8-byte Folded Reload
	v_lshrrev_b32_e32 v17, 16, v18
	v_cmp_lt_i32_e64 s[2:3], v41, v7
	v_lshrrev_b32_e32 v6, 16, v6
	s_waitcnt vmcnt(0)
	v_mov_b32_e32 v20, v26
	v_cndmask_b32_e64 v17, 0, v17, s[2:3]
	v_cmp_lt_i32_e64 s[2:3], v38, v20
	s_nop 1
	v_cndmask_b32_e64 v18, 0, v18, s[2:3]
	v_perm_b32 v18, v17, v18, s30
	v_lshrrev_b32_e32 v17, 16, v4
	v_cmp_lt_i32_e64 s[2:3], v40, v7
	s_nop 1
	v_cndmask_b32_e64 v17, 0, v17, s[2:3]
	v_cmp_lt_i32_e64 s[2:3], v55, v20
	s_nop 1
	v_cndmask_b32_e64 v4, 0, v4, s[2:3]
	v_perm_b32 v4, v17, v4, s30
	v_lshrrev_b32_e32 v17, 16, v5
	v_cmp_lt_i32_e64 s[2:3], v52, v7
	s_nop 1
	v_cndmask_b32_e64 v17, 0, v17, s[2:3]
	v_cmp_lt_i32_e64 s[2:3], v50, v20
	s_nop 1
	v_cndmask_b32_e64 v5, 0, v5, s[2:3]
	v_cmp_lt_i32_e64 s[2:3], v62, v7
	v_perm_b32 v5, v17, v5, s30
	s_nop 0
	v_cndmask_b32_e64 v6, 0, v6, s[2:3]
	v_cmp_lt_i32_e64 s[2:3], v22, v20
	s_nop 1
	v_cndmask_b32_e64 v16, 0, v16, s[2:3]
	v_perm_b32 v6, v6, v16, s30
.LBB298_1143:                           ;   in Loop: Header=BB298_1074 Depth=1
	s_or_b64 exec, exec, s[20:21]
	;;#ASMSTART
	v_pk_mul_f16 v16, v54, v18;

	;;#ASMEND
	;;#ASMSTART
	v_pk_mul_f16 v4, v53, v4;

	;;#ASMEND
	;; [unrolled: 4-line block ×4, first 2 shown]
	s_mov_b64 s[2:3], 0
	;;#ASMSTART
	v_pk_add_f16 v4, v16, v4;

	;;#ASMEND
                                        ; implicit-def: $sgpr24
	s_nop 0
	;;#ASMSTART
	v_pk_add_f16 v4, v4, v5;

	;;#ASMEND
	s_nop 0
	;;#ASMSTART
	v_pk_add_f16 v4, v4, v6;

	;;#ASMEND
	s_nop 0
	v_lshrrev_b32_e32 v5, 16, v4
	v_and_b32_e32 v4, 0xffff, v4
	;;#ASMSTART
	v_cvt_f32_f16 v4, v4;
	;;#ASMEND
	s_nop 0
	v_accvgpr_write_b32 a17, v4
	;;#ASMSTART
	v_cvt_f32_f16 v4, v5;
	;;#ASMEND
	s_nop 0
	v_accvgpr_write_b32 a26, v4
	flat_load_dwordx2 v[60:61], v[56:57] offset:1024
	scratch_load_dwordx2 v[4:5], off, s32 offset:196 ; 8-byte Folded Reload
	s_waitcnt vmcnt(0) lgkmcnt(0)
	v_cmp_gt_i16_sdwa s[20:21], v60, s5 src0_sel:BYTE_0 src1_sel:DWORD
	flat_load_dword v58, v[4:5]
	s_and_saveexec_b64 s[22:23], s[20:21]
	s_xor_b64 s[20:21], exec, s[22:23]
	s_cbranch_execnz .LBB298_1683
; %bb.1144:                             ;   in Loop: Header=BB298_1074 Depth=1
	s_or_saveexec_b64 s[20:21], s[20:21]
	v_mov_b32_e32 v46, s24
	s_xor_b64 exec, exec, s[20:21]
	s_cbranch_execnz .LBB298_1686
.LBB298_1145:                           ;   in Loop: Header=BB298_1074 Depth=1
	s_or_b64 exec, exec, s[20:21]
	s_and_saveexec_b64 s[20:21], s[2:3]
	s_cbranch_execz .LBB298_1147
.LBB298_1146:                           ;   in Loop: Header=BB298_1074 Depth=1
	v_and_b32_e32 v4, 7, v60
	v_ffbh_u32_e32 v4, v4
	v_bfe_u32 v5, v60, 3, 4
	v_min_u32_e32 v4, 32, v4
	v_subrev_u32_e32 v6, 28, v4
	v_sub_u32_e32 v4, 29, v4
	v_cmp_eq_u32_e64 s[2:3], 0, v5
	s_nop 1
	v_cndmask_b32_e64 v16, v5, v4, s[2:3]
	v_cndmask_b32_e64 v4, 0, v6, s[2:3]
	v_lshlrev_b64 v[4:5], v4, v[60:61]
	v_lshlrev_b32_e32 v5, 8, v60
	v_lshl_add_u32 v6, v16, 10, v19
	v_lshlrev_b32_e32 v4, 7, v4
	v_and_or_b32 v5, v5, s26, v6
	v_and_or_b32 v4, v4, s27, v5
	v_cvt_f32_f16_e32 v46, v4
.LBB298_1147:                           ;   in Loop: Header=BB298_1074 Depth=1
	s_or_b64 exec, exec, s[20:21]
	v_lshrrev_b16_e32 v20, 8, v60
	v_cmp_lt_i16_e64 s[2:3], s5, v20
	s_mov_b64 s[20:21], 0
                                        ; implicit-def: $sgpr31
	s_and_saveexec_b64 s[22:23], s[2:3]
	s_xor_b64 s[22:23], exec, s[22:23]
	s_cbranch_execnz .LBB298_1687
; %bb.1148:                             ;   in Loop: Header=BB298_1074 Depth=1
	s_or_saveexec_b64 s[22:23], s[22:23]
	v_mov_b32_e32 v4, s31
	s_xor_b64 exec, exec, s[22:23]
	s_cbranch_execnz .LBB298_1690
.LBB298_1149:                           ;   in Loop: Header=BB298_1074 Depth=1
	s_or_b64 exec, exec, s[22:23]
	s_and_saveexec_b64 s[22:23], s[20:21]
	s_cbranch_execz .LBB298_1151
.LBB298_1150:                           ;   in Loop: Header=BB298_1074 Depth=1
	v_and_b32_e32 v6, 7, v20
	v_ffbh_u32_e32 v4, v6
	v_min_u32_e32 v17, 32, v4
	v_subrev_u32_e32 v4, 28, v17
	v_bfe_u32 v16, v20, 3, 4
	v_lshlrev_b64 v[4:5], v4, v[20:21]
	v_sub_u32_e32 v5, 29, v17
	v_cmp_eq_u32_e64 s[2:3], 0, v16
	v_and_b32_e32 v4, 7, v4
	s_nop 0
	v_cndmask_b32_e64 v5, v16, v5, s[2:3]
	v_cndmask_b32_e64 v4, v6, v4, s[2:3]
	v_lshlrev_b32_e32 v6, 8, v20
	v_lshl_add_u32 v5, v5, 10, v19
	v_and_or_b32 v5, v6, s26, v5
	v_lshl_or_b32 v4, v4, 7, v5
	v_cvt_f32_f16_e32 v4, v4
.LBB298_1151:                           ;   in Loop: Header=BB298_1074 Depth=1
	s_or_b64 exec, exec, s[22:23]
	v_lshrrev_b32_e32 v20, 16, v60
	v_cmp_gt_i16_sdwa s[20:21], v20, s5 src0_sel:BYTE_0 src1_sel:DWORD
	s_mov_b64 s[2:3], 0
                                        ; implicit-def: $sgpr24
	s_and_saveexec_b64 s[22:23], s[20:21]
	s_xor_b64 s[20:21], exec, s[22:23]
	s_cbranch_execnz .LBB298_1691
; %bb.1152:                             ;   in Loop: Header=BB298_1074 Depth=1
	s_or_saveexec_b64 s[20:21], s[20:21]
	v_mov_b32_e32 v47, s24
	s_xor_b64 exec, exec, s[20:21]
	s_cbranch_execnz .LBB298_1694
.LBB298_1153:                           ;   in Loop: Header=BB298_1074 Depth=1
	s_or_b64 exec, exec, s[20:21]
	s_and_saveexec_b64 s[20:21], s[2:3]
	s_cbranch_execz .LBB298_1155
.LBB298_1154:                           ;   in Loop: Header=BB298_1074 Depth=1
	v_bfe_u32 v5, v60, 16, 3
	v_ffbh_u32_e32 v16, v5
	v_min_u32_e32 v18, 32, v16
	v_subrev_u32_e32 v16, 28, v18
	v_bfe_u32 v6, v60, 19, 4
	v_lshlrev_b64 v[16:17], v16, v[20:21]
	v_sub_u32_e32 v17, 29, v18
	v_cmp_eq_u32_e64 s[2:3], 0, v6
	v_and_b32_e32 v16, 7, v16
	s_nop 0
	v_cndmask_b32_e64 v6, v6, v17, s[2:3]
	v_cndmask_b32_e64 v5, v5, v16, s[2:3]
	v_lshlrev_b32_e32 v16, 8, v20
	v_lshl_add_u32 v6, v6, 10, v19
	v_and_or_b32 v6, v16, s26, v6
	v_lshl_or_b32 v5, v5, 7, v6
	v_cvt_f32_f16_e32 v47, v5
.LBB298_1155:                           ;   in Loop: Header=BB298_1074 Depth=1
	s_or_b64 exec, exec, s[20:21]
	v_lshrrev_b32_e32 v20, 24, v60
	v_cmp_lt_i16_e64 s[2:3], s5, v20
	s_mov_b64 s[20:21], 0
                                        ; implicit-def: $sgpr31
	s_and_saveexec_b64 s[22:23], s[2:3]
	s_xor_b64 s[22:23], exec, s[22:23]
	s_cbranch_execnz .LBB298_1695
; %bb.1156:                             ;   in Loop: Header=BB298_1074 Depth=1
	s_or_saveexec_b64 s[22:23], s[22:23]
	v_mov_b32_e32 v5, s31
	s_xor_b64 exec, exec, s[22:23]
	s_cbranch_execnz .LBB298_1698
.LBB298_1157:                           ;   in Loop: Header=BB298_1074 Depth=1
	s_or_b64 exec, exec, s[22:23]
	s_and_saveexec_b64 s[22:23], s[20:21]
	s_cbranch_execz .LBB298_1159
.LBB298_1158:                           ;   in Loop: Header=BB298_1074 Depth=1
	v_bfe_u32 v5, v60, 24, 3
	v_ffbh_u32_e32 v16, v5
	v_min_u32_e32 v18, 32, v16
	v_subrev_u32_e32 v16, 28, v18
	v_bfe_u32 v6, v60, 27, 4
	v_lshlrev_b64 v[16:17], v16, v[20:21]
	v_sub_u32_e32 v17, 29, v18
	v_cmp_eq_u32_e64 s[2:3], 0, v6
	v_and_b32_e32 v16, 7, v16
	s_nop 0
	v_cndmask_b32_e64 v6, v6, v17, s[2:3]
	v_cndmask_b32_e64 v5, v5, v16, s[2:3]
	v_lshlrev_b32_e32 v16, 8, v20
	v_lshl_add_u32 v6, v6, 10, v19
	v_and_or_b32 v6, v16, s26, v6
	v_lshl_or_b32 v5, v5, 7, v6
	v_cvt_f32_f16_e32 v5, v5
.LBB298_1159:                           ;   in Loop: Header=BB298_1074 Depth=1
	s_or_b64 exec, exec, s[22:23]
	v_cmp_gt_i16_sdwa s[20:21], v61, s5 src0_sel:BYTE_0 src1_sel:DWORD
	s_mov_b64 s[2:3], 0
                                        ; implicit-def: $sgpr24
	s_and_saveexec_b64 s[22:23], s[20:21]
	s_xor_b64 s[20:21], exec, s[22:23]
	s_cbranch_execnz .LBB298_1699
; %bb.1160:                             ;   in Loop: Header=BB298_1074 Depth=1
	s_or_saveexec_b64 s[20:21], s[20:21]
	v_mov_b32_e32 v6, s24
	s_xor_b64 exec, exec, s[20:21]
	s_cbranch_execnz .LBB298_1702
.LBB298_1161:                           ;   in Loop: Header=BB298_1074 Depth=1
	s_or_b64 exec, exec, s[20:21]
	v_mov_b32_e32 v20, v61
	s_and_saveexec_b64 s[20:21], s[2:3]
	s_cbranch_execz .LBB298_1163
.LBB298_1162:                           ;   in Loop: Header=BB298_1074 Depth=1
	v_and_b32_e32 v6, 7, v61
	v_ffbh_u32_e32 v6, v6
	v_bfe_u32 v16, v61, 3, 4
	v_min_u32_e32 v6, 32, v6
	v_subrev_u32_e32 v17, 28, v6
	v_sub_u32_e32 v6, 29, v6
	v_cmp_eq_u32_e64 s[2:3], 0, v16
	s_nop 1
	v_cndmask_b32_e64 v6, v16, v6, s[2:3]
	v_cndmask_b32_e64 v16, 0, v17, s[2:3]
	v_lshlrev_b64 v[16:17], v16, v[20:21]
	v_lshlrev_b32_e32 v17, 8, v61
	v_lshl_add_u32 v6, v6, 10, v19
	v_lshlrev_b32_e32 v16, 7, v16
	v_and_or_b32 v6, v17, s26, v6
	v_and_or_b32 v6, v16, s27, v6
	v_cvt_f32_f16_e32 v6, v6
.LBB298_1163:                           ;   in Loop: Header=BB298_1074 Depth=1
	s_or_b64 exec, exec, s[20:21]
	v_lshrrev_b16_e32 v20, 8, v20
	v_cmp_lt_i16_e64 s[2:3], s5, v20
	s_mov_b64 s[20:21], 0
                                        ; implicit-def: $sgpr31
	s_and_saveexec_b64 s[22:23], s[2:3]
	s_xor_b64 s[22:23], exec, s[22:23]
	s_cbranch_execnz .LBB298_1703
; %bb.1164:                             ;   in Loop: Header=BB298_1074 Depth=1
	s_or_saveexec_b64 s[22:23], s[22:23]
	v_mov_b32_e32 v16, s31
	s_xor_b64 exec, exec, s[22:23]
	s_cbranch_execnz .LBB298_1706
.LBB298_1165:                           ;   in Loop: Header=BB298_1074 Depth=1
	s_or_b64 exec, exec, s[22:23]
	s_and_saveexec_b64 s[22:23], s[20:21]
	s_cbranch_execz .LBB298_1167
.LBB298_1166:                           ;   in Loop: Header=BB298_1074 Depth=1
	v_and_b32_e32 v18, 7, v20
	v_ffbh_u32_e32 v16, v18
	v_min_u32_e32 v26, 32, v16
	v_subrev_u32_e32 v16, 28, v26
	v_bfe_u32 v23, v20, 3, 4
	v_lshlrev_b64 v[16:17], v16, v[20:21]
	v_sub_u32_e32 v17, 29, v26
	v_cmp_eq_u32_e64 s[2:3], 0, v23
	v_and_b32_e32 v16, 7, v16
	s_nop 0
	v_cndmask_b32_e64 v17, v23, v17, s[2:3]
	v_cndmask_b32_e64 v16, v18, v16, s[2:3]
	v_lshlrev_b32_e32 v18, 8, v20
	v_lshl_add_u32 v17, v17, 10, v19
	v_and_or_b32 v17, v18, s26, v17
	v_lshl_or_b32 v16, v16, 7, v17
	v_cvt_f32_f16_e32 v16, v16
.LBB298_1167:                           ;   in Loop: Header=BB298_1074 Depth=1
	s_or_b64 exec, exec, s[22:23]
	v_lshrrev_b32_e32 v20, 16, v61
	v_cmp_gt_i16_sdwa s[20:21], v20, s5 src0_sel:BYTE_0 src1_sel:DWORD
	s_mov_b64 s[2:3], 0
                                        ; implicit-def: $sgpr24
	s_and_saveexec_b64 s[22:23], s[20:21]
	s_xor_b64 s[20:21], exec, s[22:23]
	s_cbranch_execnz .LBB298_1707
; %bb.1168:                             ;   in Loop: Header=BB298_1074 Depth=1
	s_or_saveexec_b64 s[20:21], s[20:21]
	v_mov_b32_e32 v17, s24
	s_xor_b64 exec, exec, s[20:21]
	s_cbranch_execnz .LBB298_1710
.LBB298_1169:                           ;   in Loop: Header=BB298_1074 Depth=1
	s_or_b64 exec, exec, s[20:21]
	s_and_saveexec_b64 s[20:21], s[2:3]
	s_cbranch_execz .LBB298_1171
.LBB298_1170:                           ;   in Loop: Header=BB298_1074 Depth=1
	v_bfe_u32 v17, v61, 16, 3
	v_ffbh_u32_e32 v23, v17
	v_bfe_u32 v18, v61, 19, 4
	v_min_u32_e32 v23, 32, v23
	v_subrev_u32_e32 v26, 28, v23
	v_sub_u32_e32 v23, 29, v23
	v_cmp_eq_u32_e64 s[2:3], 0, v18
	v_lshlrev_b64 v[26:27], v26, v[20:21]
	v_and_b32_e32 v26, 7, v26
	v_cndmask_b32_e64 v18, v18, v23, s[2:3]
	v_lshlrev_b32_e32 v20, 8, v20
	v_lshl_add_u32 v18, v18, 10, v19
	v_cndmask_b32_e64 v17, v17, v26, s[2:3]
	v_and_or_b32 v18, v20, s26, v18
	v_lshl_or_b32 v17, v17, 7, v18
	v_cvt_f32_f16_e32 v17, v17
.LBB298_1171:                           ;   in Loop: Header=BB298_1074 Depth=1
	s_or_b64 exec, exec, s[20:21]
	v_lshrrev_b32_e32 v20, 24, v61
	v_cmp_lt_i16_e64 s[2:3], s5, v20
	s_mov_b64 s[20:21], 0
                                        ; implicit-def: $sgpr31
	s_and_saveexec_b64 s[22:23], s[2:3]
	s_xor_b64 s[22:23], exec, s[22:23]
	s_cbranch_execnz .LBB298_1711
; %bb.1172:                             ;   in Loop: Header=BB298_1074 Depth=1
	s_or_saveexec_b64 s[22:23], s[22:23]
	v_mov_b32_e32 v23, s31
	s_xor_b64 exec, exec, s[22:23]
	s_cbranch_execnz .LBB298_1714
.LBB298_1173:                           ;   in Loop: Header=BB298_1074 Depth=1
	s_or_b64 exec, exec, s[22:23]
	s_and_saveexec_b64 s[22:23], s[20:21]
	s_cbranch_execz .LBB298_1175
.LBB298_1174:                           ;   in Loop: Header=BB298_1074 Depth=1
	v_bfe_u32 v18, v61, 24, 3
	v_ffbh_u32_e32 v26, v18
	v_min_u32_e32 v28, 32, v26
	v_subrev_u32_e32 v26, 28, v28
	v_bfe_u32 v23, v61, 27, 4
	v_lshlrev_b64 v[26:27], v26, v[20:21]
	v_sub_u32_e32 v27, 29, v28
	v_cmp_eq_u32_e64 s[2:3], 0, v23
	v_and_b32_e32 v26, 7, v26
	v_lshlrev_b32_e32 v20, 8, v20
	v_cndmask_b32_e64 v23, v23, v27, s[2:3]
	v_lshl_add_u32 v23, v23, 10, v19
	v_cndmask_b32_e64 v18, v18, v26, s[2:3]
	v_and_or_b32 v20, v20, s26, v23
	v_lshl_or_b32 v18, v18, 7, v20
	v_cvt_f32_f16_e32 v23, v18
.LBB298_1175:                           ;   in Loop: Header=BB298_1074 Depth=1
	s_or_b64 exec, exec, s[22:23]
	s_waitcnt vmcnt(0) lgkmcnt(0)
	v_pk_mul_f32 v[4:5], v[58:59], v[4:5] op_sel_hi:[0,1]
	v_pk_mul_f32 v[26:27], v[58:59], v[46:47] op_sel_hi:[0,1]
	v_cvt_f16_f32_e32 v5, v5
	v_cvt_f16_f32_e32 v4, v4
	;; [unrolled: 1-line block ×4, first 2 shown]
	v_fma_mixlo_f16 v6, v58, v6, 0
	v_pack_b32_f16 v5, v4, v5
	v_pack_b32_f16 v18, v20, v18
	v_perm_b32 v4, v18, v5, s28
	v_perm_b32 v18, v18, v5, s29
	v_fma_mixlo_f16 v5, v58, v16, 0
	v_lshlrev_b32_e32 v5, 16, v5
	v_or_b32_sdwa v5, v5, v6 dst_sel:DWORD dst_unused:UNUSED_PAD src0_sel:DWORD src1_sel:WORD_0
	v_fma_mixlo_f16 v6, v58, v23, 0
	v_fma_mixlo_f16 v16, v58, v17, 0
	v_lshlrev_b32_e32 v6, 16, v6
	v_or_b32_sdwa v6, v6, v16 dst_sel:DWORD dst_unused:UNUSED_PAD src0_sel:DWORD src1_sel:WORD_0
	s_and_saveexec_b64 s[20:21], vcc
	s_cbranch_execz .LBB298_1177
; %bb.1176:                             ;   in Loop: Header=BB298_1074 Depth=1
	scratch_load_dwordx2 v[26:27], off, s32 offset:204 ; 8-byte Folded Reload
	v_lshrrev_b32_e32 v17, 16, v18
	v_cmp_lt_i32_e64 s[2:3], v41, v7
	v_lshrrev_b32_e32 v6, 16, v6
	s_waitcnt vmcnt(0)
	v_mov_b32_e32 v20, v26
	v_cndmask_b32_e64 v17, 0, v17, s[2:3]
	v_cmp_lt_i32_e64 s[2:3], v38, v20
	s_nop 1
	v_cndmask_b32_e64 v18, 0, v18, s[2:3]
	v_perm_b32 v18, v17, v18, s30
	v_lshrrev_b32_e32 v17, 16, v4
	v_cmp_lt_i32_e64 s[2:3], v40, v7
	s_nop 1
	v_cndmask_b32_e64 v17, 0, v17, s[2:3]
	v_cmp_lt_i32_e64 s[2:3], v55, v20
	s_nop 1
	v_cndmask_b32_e64 v4, 0, v4, s[2:3]
	v_perm_b32 v4, v17, v4, s30
	v_lshrrev_b32_e32 v17, 16, v5
	v_cmp_lt_i32_e64 s[2:3], v52, v7
	s_nop 1
	v_cndmask_b32_e64 v17, 0, v17, s[2:3]
	v_cmp_lt_i32_e64 s[2:3], v50, v20
	s_nop 1
	v_cndmask_b32_e64 v5, 0, v5, s[2:3]
	v_cmp_lt_i32_e64 s[2:3], v62, v7
	v_perm_b32 v5, v17, v5, s30
	s_nop 0
	v_cndmask_b32_e64 v6, 0, v6, s[2:3]
	v_cmp_lt_i32_e64 s[2:3], v22, v20
	s_nop 1
	v_cndmask_b32_e64 v16, 0, v16, s[2:3]
	v_perm_b32 v6, v6, v16, s30
.LBB298_1177:                           ;   in Loop: Header=BB298_1074 Depth=1
	s_or_b64 exec, exec, s[20:21]
	;;#ASMSTART
	v_pk_mul_f16 v16, v54, v18;

	;;#ASMEND
	;;#ASMSTART
	v_pk_mul_f16 v4, v53, v4;

	;;#ASMEND
	;; [unrolled: 4-line block ×4, first 2 shown]
	s_mov_b64 s[2:3], 0
	;;#ASMSTART
	v_pk_add_f16 v4, v16, v4;

	;;#ASMEND
                                        ; implicit-def: $sgpr24
	s_nop 0
	;;#ASMSTART
	v_pk_add_f16 v4, v4, v5;

	;;#ASMEND
	s_nop 0
	;;#ASMSTART
	v_pk_add_f16 v4, v4, v6;

	;;#ASMEND
	s_nop 0
	v_lshrrev_b32_e32 v5, 16, v4
	v_and_b32_e32 v4, 0xffff, v4
	;;#ASMSTART
	v_cvt_f32_f16 v4, v4;
	;;#ASMEND
	s_nop 0
	v_accvgpr_write_b32 a27, v4
	;;#ASMSTART
	v_cvt_f32_f16 v4, v5;
	;;#ASMEND
	s_nop 0
	v_accvgpr_write_b32 a47, v4
	flat_load_dwordx2 v[60:61], v[56:57] offset:1536
	scratch_load_dwordx2 v[4:5], off, s32 offset:196 ; 8-byte Folded Reload
	s_waitcnt vmcnt(0) lgkmcnt(0)
	v_cmp_gt_i16_sdwa s[20:21], v60, s5 src0_sel:BYTE_0 src1_sel:DWORD
	flat_load_dword v58, v[4:5]
	s_and_saveexec_b64 s[22:23], s[20:21]
	s_xor_b64 s[20:21], exec, s[22:23]
	s_cbranch_execnz .LBB298_1715
; %bb.1178:                             ;   in Loop: Header=BB298_1074 Depth=1
	s_or_saveexec_b64 s[20:21], s[20:21]
	v_mov_b32_e32 v46, s24
	s_xor_b64 exec, exec, s[20:21]
	s_cbranch_execnz .LBB298_1718
.LBB298_1179:                           ;   in Loop: Header=BB298_1074 Depth=1
	s_or_b64 exec, exec, s[20:21]
	s_and_saveexec_b64 s[20:21], s[2:3]
	s_cbranch_execz .LBB298_1181
.LBB298_1180:                           ;   in Loop: Header=BB298_1074 Depth=1
	v_and_b32_e32 v4, 7, v60
	v_ffbh_u32_e32 v4, v4
	v_bfe_u32 v5, v60, 3, 4
	v_min_u32_e32 v4, 32, v4
	v_subrev_u32_e32 v6, 28, v4
	v_sub_u32_e32 v4, 29, v4
	v_cmp_eq_u32_e64 s[2:3], 0, v5
	s_nop 1
	v_cndmask_b32_e64 v16, v5, v4, s[2:3]
	v_cndmask_b32_e64 v4, 0, v6, s[2:3]
	v_lshlrev_b64 v[4:5], v4, v[60:61]
	v_lshlrev_b32_e32 v5, 8, v60
	v_lshl_add_u32 v6, v16, 10, v19
	v_lshlrev_b32_e32 v4, 7, v4
	v_and_or_b32 v5, v5, s26, v6
	v_and_or_b32 v4, v4, s27, v5
	v_cvt_f32_f16_e32 v46, v4
.LBB298_1181:                           ;   in Loop: Header=BB298_1074 Depth=1
	s_or_b64 exec, exec, s[20:21]
	v_lshrrev_b16_e32 v20, 8, v60
	v_cmp_lt_i16_e64 s[2:3], s5, v20
	s_mov_b64 s[20:21], 0
                                        ; implicit-def: $sgpr31
	s_and_saveexec_b64 s[22:23], s[2:3]
	s_xor_b64 s[22:23], exec, s[22:23]
	s_cbranch_execnz .LBB298_1719
; %bb.1182:                             ;   in Loop: Header=BB298_1074 Depth=1
	s_or_saveexec_b64 s[22:23], s[22:23]
	v_mov_b32_e32 v4, s31
	s_xor_b64 exec, exec, s[22:23]
	s_cbranch_execnz .LBB298_1722
.LBB298_1183:                           ;   in Loop: Header=BB298_1074 Depth=1
	s_or_b64 exec, exec, s[22:23]
	s_and_saveexec_b64 s[22:23], s[20:21]
	s_cbranch_execz .LBB298_1185
.LBB298_1184:                           ;   in Loop: Header=BB298_1074 Depth=1
	v_and_b32_e32 v6, 7, v20
	v_ffbh_u32_e32 v4, v6
	v_min_u32_e32 v17, 32, v4
	v_subrev_u32_e32 v4, 28, v17
	v_bfe_u32 v16, v20, 3, 4
	v_lshlrev_b64 v[4:5], v4, v[20:21]
	v_sub_u32_e32 v5, 29, v17
	v_cmp_eq_u32_e64 s[2:3], 0, v16
	v_and_b32_e32 v4, 7, v4
	s_nop 0
	v_cndmask_b32_e64 v5, v16, v5, s[2:3]
	v_cndmask_b32_e64 v4, v6, v4, s[2:3]
	v_lshlrev_b32_e32 v6, 8, v20
	v_lshl_add_u32 v5, v5, 10, v19
	v_and_or_b32 v5, v6, s26, v5
	v_lshl_or_b32 v4, v4, 7, v5
	v_cvt_f32_f16_e32 v4, v4
.LBB298_1185:                           ;   in Loop: Header=BB298_1074 Depth=1
	s_or_b64 exec, exec, s[22:23]
	v_lshrrev_b32_e32 v20, 16, v60
	v_cmp_gt_i16_sdwa s[20:21], v20, s5 src0_sel:BYTE_0 src1_sel:DWORD
	s_mov_b64 s[2:3], 0
                                        ; implicit-def: $sgpr24
	s_and_saveexec_b64 s[22:23], s[20:21]
	s_xor_b64 s[20:21], exec, s[22:23]
	s_cbranch_execnz .LBB298_1723
; %bb.1186:                             ;   in Loop: Header=BB298_1074 Depth=1
	s_or_saveexec_b64 s[20:21], s[20:21]
	v_mov_b32_e32 v47, s24
	s_xor_b64 exec, exec, s[20:21]
	s_cbranch_execnz .LBB298_1726
.LBB298_1187:                           ;   in Loop: Header=BB298_1074 Depth=1
	s_or_b64 exec, exec, s[20:21]
	s_and_saveexec_b64 s[20:21], s[2:3]
	s_cbranch_execz .LBB298_1189
.LBB298_1188:                           ;   in Loop: Header=BB298_1074 Depth=1
	v_bfe_u32 v5, v60, 16, 3
	v_ffbh_u32_e32 v16, v5
	v_min_u32_e32 v18, 32, v16
	v_subrev_u32_e32 v16, 28, v18
	v_bfe_u32 v6, v60, 19, 4
	v_lshlrev_b64 v[16:17], v16, v[20:21]
	v_sub_u32_e32 v17, 29, v18
	v_cmp_eq_u32_e64 s[2:3], 0, v6
	v_and_b32_e32 v16, 7, v16
	s_nop 0
	v_cndmask_b32_e64 v6, v6, v17, s[2:3]
	v_cndmask_b32_e64 v5, v5, v16, s[2:3]
	v_lshlrev_b32_e32 v16, 8, v20
	v_lshl_add_u32 v6, v6, 10, v19
	v_and_or_b32 v6, v16, s26, v6
	v_lshl_or_b32 v5, v5, 7, v6
	v_cvt_f32_f16_e32 v47, v5
.LBB298_1189:                           ;   in Loop: Header=BB298_1074 Depth=1
	s_or_b64 exec, exec, s[20:21]
	v_lshrrev_b32_e32 v20, 24, v60
	v_cmp_lt_i16_e64 s[2:3], s5, v20
	s_mov_b64 s[20:21], 0
                                        ; implicit-def: $sgpr31
	s_and_saveexec_b64 s[22:23], s[2:3]
	s_xor_b64 s[22:23], exec, s[22:23]
	s_cbranch_execnz .LBB298_1727
; %bb.1190:                             ;   in Loop: Header=BB298_1074 Depth=1
	s_or_saveexec_b64 s[22:23], s[22:23]
	v_mov_b32_e32 v5, s31
	s_xor_b64 exec, exec, s[22:23]
	s_cbranch_execnz .LBB298_1730
.LBB298_1191:                           ;   in Loop: Header=BB298_1074 Depth=1
	s_or_b64 exec, exec, s[22:23]
	s_and_saveexec_b64 s[22:23], s[20:21]
	s_cbranch_execz .LBB298_1193
.LBB298_1192:                           ;   in Loop: Header=BB298_1074 Depth=1
	v_bfe_u32 v5, v60, 24, 3
	v_ffbh_u32_e32 v16, v5
	v_min_u32_e32 v18, 32, v16
	v_subrev_u32_e32 v16, 28, v18
	v_bfe_u32 v6, v60, 27, 4
	v_lshlrev_b64 v[16:17], v16, v[20:21]
	v_sub_u32_e32 v17, 29, v18
	v_cmp_eq_u32_e64 s[2:3], 0, v6
	v_and_b32_e32 v16, 7, v16
	s_nop 0
	v_cndmask_b32_e64 v6, v6, v17, s[2:3]
	v_cndmask_b32_e64 v5, v5, v16, s[2:3]
	v_lshlrev_b32_e32 v16, 8, v20
	v_lshl_add_u32 v6, v6, 10, v19
	v_and_or_b32 v6, v16, s26, v6
	v_lshl_or_b32 v5, v5, 7, v6
	v_cvt_f32_f16_e32 v5, v5
.LBB298_1193:                           ;   in Loop: Header=BB298_1074 Depth=1
	s_or_b64 exec, exec, s[22:23]
	v_cmp_gt_i16_sdwa s[20:21], v61, s5 src0_sel:BYTE_0 src1_sel:DWORD
	s_mov_b64 s[2:3], 0
                                        ; implicit-def: $sgpr24
	s_and_saveexec_b64 s[22:23], s[20:21]
	s_xor_b64 s[20:21], exec, s[22:23]
	s_cbranch_execnz .LBB298_1731
; %bb.1194:                             ;   in Loop: Header=BB298_1074 Depth=1
	s_or_saveexec_b64 s[20:21], s[20:21]
	v_mov_b32_e32 v6, s24
	s_xor_b64 exec, exec, s[20:21]
	s_cbranch_execnz .LBB298_1734
.LBB298_1195:                           ;   in Loop: Header=BB298_1074 Depth=1
	s_or_b64 exec, exec, s[20:21]
	v_mov_b32_e32 v20, v61
	s_and_saveexec_b64 s[20:21], s[2:3]
	s_cbranch_execz .LBB298_1197
.LBB298_1196:                           ;   in Loop: Header=BB298_1074 Depth=1
	v_and_b32_e32 v6, 7, v61
	v_ffbh_u32_e32 v6, v6
	v_bfe_u32 v16, v61, 3, 4
	v_min_u32_e32 v6, 32, v6
	v_subrev_u32_e32 v17, 28, v6
	v_sub_u32_e32 v6, 29, v6
	v_cmp_eq_u32_e64 s[2:3], 0, v16
	s_nop 1
	v_cndmask_b32_e64 v6, v16, v6, s[2:3]
	v_cndmask_b32_e64 v16, 0, v17, s[2:3]
	v_lshlrev_b64 v[16:17], v16, v[20:21]
	v_lshlrev_b32_e32 v17, 8, v61
	v_lshl_add_u32 v6, v6, 10, v19
	v_lshlrev_b32_e32 v16, 7, v16
	v_and_or_b32 v6, v17, s26, v6
	v_and_or_b32 v6, v16, s27, v6
	v_cvt_f32_f16_e32 v6, v6
.LBB298_1197:                           ;   in Loop: Header=BB298_1074 Depth=1
	s_or_b64 exec, exec, s[20:21]
	v_lshrrev_b16_e32 v20, 8, v20
	v_cmp_lt_i16_e64 s[2:3], s5, v20
	s_mov_b64 s[20:21], 0
                                        ; implicit-def: $sgpr31
	s_and_saveexec_b64 s[22:23], s[2:3]
	s_xor_b64 s[22:23], exec, s[22:23]
	s_cbranch_execnz .LBB298_1735
; %bb.1198:                             ;   in Loop: Header=BB298_1074 Depth=1
	s_or_saveexec_b64 s[22:23], s[22:23]
	v_mov_b32_e32 v16, s31
	s_xor_b64 exec, exec, s[22:23]
	s_cbranch_execnz .LBB298_1738
.LBB298_1199:                           ;   in Loop: Header=BB298_1074 Depth=1
	s_or_b64 exec, exec, s[22:23]
	s_and_saveexec_b64 s[22:23], s[20:21]
	s_cbranch_execz .LBB298_1201
.LBB298_1200:                           ;   in Loop: Header=BB298_1074 Depth=1
	v_and_b32_e32 v18, 7, v20
	v_ffbh_u32_e32 v16, v18
	v_min_u32_e32 v26, 32, v16
	v_subrev_u32_e32 v16, 28, v26
	v_bfe_u32 v23, v20, 3, 4
	v_lshlrev_b64 v[16:17], v16, v[20:21]
	v_sub_u32_e32 v17, 29, v26
	v_cmp_eq_u32_e64 s[2:3], 0, v23
	v_and_b32_e32 v16, 7, v16
	s_nop 0
	v_cndmask_b32_e64 v17, v23, v17, s[2:3]
	v_cndmask_b32_e64 v16, v18, v16, s[2:3]
	v_lshlrev_b32_e32 v18, 8, v20
	v_lshl_add_u32 v17, v17, 10, v19
	v_and_or_b32 v17, v18, s26, v17
	v_lshl_or_b32 v16, v16, 7, v17
	v_cvt_f32_f16_e32 v16, v16
.LBB298_1201:                           ;   in Loop: Header=BB298_1074 Depth=1
	s_or_b64 exec, exec, s[22:23]
	v_lshrrev_b32_e32 v20, 16, v61
	v_cmp_gt_i16_sdwa s[20:21], v20, s5 src0_sel:BYTE_0 src1_sel:DWORD
	s_mov_b64 s[2:3], 0
                                        ; implicit-def: $sgpr24
	s_and_saveexec_b64 s[22:23], s[20:21]
	s_xor_b64 s[20:21], exec, s[22:23]
	s_cbranch_execnz .LBB298_1739
; %bb.1202:                             ;   in Loop: Header=BB298_1074 Depth=1
	s_or_saveexec_b64 s[20:21], s[20:21]
	v_mov_b32_e32 v17, s24
	s_xor_b64 exec, exec, s[20:21]
	s_cbranch_execnz .LBB298_1742
.LBB298_1203:                           ;   in Loop: Header=BB298_1074 Depth=1
	s_or_b64 exec, exec, s[20:21]
	s_and_saveexec_b64 s[20:21], s[2:3]
	s_cbranch_execz .LBB298_1205
.LBB298_1204:                           ;   in Loop: Header=BB298_1074 Depth=1
	v_bfe_u32 v17, v61, 16, 3
	v_ffbh_u32_e32 v23, v17
	v_bfe_u32 v18, v61, 19, 4
	v_min_u32_e32 v23, 32, v23
	v_subrev_u32_e32 v26, 28, v23
	v_sub_u32_e32 v23, 29, v23
	v_cmp_eq_u32_e64 s[2:3], 0, v18
	v_lshlrev_b64 v[26:27], v26, v[20:21]
	v_and_b32_e32 v26, 7, v26
	v_cndmask_b32_e64 v18, v18, v23, s[2:3]
	v_lshlrev_b32_e32 v20, 8, v20
	v_lshl_add_u32 v18, v18, 10, v19
	v_cndmask_b32_e64 v17, v17, v26, s[2:3]
	v_and_or_b32 v18, v20, s26, v18
	v_lshl_or_b32 v17, v17, 7, v18
	v_cvt_f32_f16_e32 v17, v17
.LBB298_1205:                           ;   in Loop: Header=BB298_1074 Depth=1
	s_or_b64 exec, exec, s[20:21]
	v_lshrrev_b32_e32 v20, 24, v61
	v_cmp_lt_i16_e64 s[2:3], s5, v20
	s_mov_b64 s[20:21], 0
                                        ; implicit-def: $sgpr31
	s_and_saveexec_b64 s[22:23], s[2:3]
	s_xor_b64 s[22:23], exec, s[22:23]
	s_cbranch_execnz .LBB298_1743
; %bb.1206:                             ;   in Loop: Header=BB298_1074 Depth=1
	s_or_saveexec_b64 s[22:23], s[22:23]
	v_mov_b32_e32 v23, s31
	s_xor_b64 exec, exec, s[22:23]
	s_cbranch_execnz .LBB298_1746
.LBB298_1207:                           ;   in Loop: Header=BB298_1074 Depth=1
	s_or_b64 exec, exec, s[22:23]
	s_and_saveexec_b64 s[22:23], s[20:21]
	s_cbranch_execz .LBB298_1209
.LBB298_1208:                           ;   in Loop: Header=BB298_1074 Depth=1
	v_bfe_u32 v18, v61, 24, 3
	v_ffbh_u32_e32 v26, v18
	v_min_u32_e32 v28, 32, v26
	v_subrev_u32_e32 v26, 28, v28
	v_bfe_u32 v23, v61, 27, 4
	v_lshlrev_b64 v[26:27], v26, v[20:21]
	v_sub_u32_e32 v27, 29, v28
	v_cmp_eq_u32_e64 s[2:3], 0, v23
	v_and_b32_e32 v26, 7, v26
	v_lshlrev_b32_e32 v20, 8, v20
	v_cndmask_b32_e64 v23, v23, v27, s[2:3]
	v_lshl_add_u32 v23, v23, 10, v19
	v_cndmask_b32_e64 v18, v18, v26, s[2:3]
	v_and_or_b32 v20, v20, s26, v23
	v_lshl_or_b32 v18, v18, 7, v20
	v_cvt_f32_f16_e32 v23, v18
.LBB298_1209:                           ;   in Loop: Header=BB298_1074 Depth=1
	s_or_b64 exec, exec, s[22:23]
	s_waitcnt vmcnt(0) lgkmcnt(0)
	v_pk_mul_f32 v[4:5], v[58:59], v[4:5] op_sel_hi:[0,1]
	v_pk_mul_f32 v[26:27], v[58:59], v[46:47] op_sel_hi:[0,1]
	v_cvt_f16_f32_e32 v5, v5
	v_cvt_f16_f32_e32 v4, v4
	;; [unrolled: 1-line block ×4, first 2 shown]
	v_fma_mixlo_f16 v6, v58, v6, 0
	v_pack_b32_f16 v5, v4, v5
	v_pack_b32_f16 v18, v20, v18
	v_perm_b32 v4, v18, v5, s28
	v_perm_b32 v18, v18, v5, s29
	v_fma_mixlo_f16 v5, v58, v16, 0
	v_lshlrev_b32_e32 v5, 16, v5
	v_or_b32_sdwa v5, v5, v6 dst_sel:DWORD dst_unused:UNUSED_PAD src0_sel:DWORD src1_sel:WORD_0
	v_fma_mixlo_f16 v6, v58, v23, 0
	v_fma_mixlo_f16 v16, v58, v17, 0
	v_lshlrev_b32_e32 v6, 16, v6
	v_or_b32_sdwa v6, v6, v16 dst_sel:DWORD dst_unused:UNUSED_PAD src0_sel:DWORD src1_sel:WORD_0
	s_and_saveexec_b64 s[20:21], vcc
	s_cbranch_execz .LBB298_1211
; %bb.1210:                             ;   in Loop: Header=BB298_1074 Depth=1
	scratch_load_dwordx2 v[26:27], off, s32 offset:204 ; 8-byte Folded Reload
	v_lshrrev_b32_e32 v17, 16, v18
	v_cmp_lt_i32_e64 s[2:3], v41, v7
	v_lshrrev_b32_e32 v6, 16, v6
	s_waitcnt vmcnt(0)
	v_mov_b32_e32 v20, v26
	v_cndmask_b32_e64 v17, 0, v17, s[2:3]
	v_cmp_lt_i32_e64 s[2:3], v38, v20
	s_nop 1
	v_cndmask_b32_e64 v18, 0, v18, s[2:3]
	v_perm_b32 v18, v17, v18, s30
	v_lshrrev_b32_e32 v17, 16, v4
	v_cmp_lt_i32_e64 s[2:3], v40, v7
	s_nop 1
	v_cndmask_b32_e64 v17, 0, v17, s[2:3]
	v_cmp_lt_i32_e64 s[2:3], v55, v20
	s_nop 1
	v_cndmask_b32_e64 v4, 0, v4, s[2:3]
	v_perm_b32 v4, v17, v4, s30
	v_lshrrev_b32_e32 v17, 16, v5
	v_cmp_lt_i32_e64 s[2:3], v52, v7
	s_nop 1
	v_cndmask_b32_e64 v17, 0, v17, s[2:3]
	v_cmp_lt_i32_e64 s[2:3], v50, v20
	s_nop 1
	v_cndmask_b32_e64 v5, 0, v5, s[2:3]
	v_cmp_lt_i32_e64 s[2:3], v62, v7
	v_perm_b32 v5, v17, v5, s30
	s_nop 0
	v_cndmask_b32_e64 v6, 0, v6, s[2:3]
	v_cmp_lt_i32_e64 s[2:3], v22, v20
	s_nop 1
	v_cndmask_b32_e64 v16, 0, v16, s[2:3]
	v_perm_b32 v6, v6, v16, s30
.LBB298_1211:                           ;   in Loop: Header=BB298_1074 Depth=1
	s_or_b64 exec, exec, s[20:21]
	;;#ASMSTART
	v_pk_mul_f16 v16, v54, v18;

	;;#ASMEND
	;;#ASMSTART
	v_pk_mul_f16 v4, v53, v4;

	;;#ASMEND
	;; [unrolled: 4-line block ×4, first 2 shown]
	s_mov_b64 s[2:3], 0
	;;#ASMSTART
	v_pk_add_f16 v4, v16, v4;

	;;#ASMEND
                                        ; implicit-def: $sgpr24
	s_nop 0
	;;#ASMSTART
	v_pk_add_f16 v4, v4, v5;

	;;#ASMEND
	s_nop 0
	;;#ASMSTART
	v_pk_add_f16 v4, v4, v6;

	;;#ASMEND
	s_nop 0
	v_lshrrev_b32_e32 v5, 16, v4
	v_and_b32_e32 v4, 0xffff, v4
	;;#ASMSTART
	v_cvt_f32_f16 v4, v4;
	;;#ASMEND
	s_nop 0
	v_accvgpr_write_b32 a48, v4
	;;#ASMSTART
	v_cvt_f32_f16 v4, v5;
	;;#ASMEND
	s_nop 0
	v_accvgpr_write_b32 a49, v4
	flat_load_dwordx2 v[60:61], v[56:57] offset:2048
	scratch_load_dwordx2 v[4:5], off, s32 offset:196 ; 8-byte Folded Reload
	s_waitcnt vmcnt(0) lgkmcnt(0)
	v_cmp_gt_i16_sdwa s[20:21], v60, s5 src0_sel:BYTE_0 src1_sel:DWORD
	flat_load_dword v58, v[4:5]
	s_and_saveexec_b64 s[22:23], s[20:21]
	s_xor_b64 s[20:21], exec, s[22:23]
	s_cbranch_execnz .LBB298_1747
; %bb.1212:                             ;   in Loop: Header=BB298_1074 Depth=1
	s_or_saveexec_b64 s[20:21], s[20:21]
	v_mov_b32_e32 v46, s24
	s_xor_b64 exec, exec, s[20:21]
	s_cbranch_execnz .LBB298_1750
.LBB298_1213:                           ;   in Loop: Header=BB298_1074 Depth=1
	s_or_b64 exec, exec, s[20:21]
	s_and_saveexec_b64 s[20:21], s[2:3]
	s_cbranch_execz .LBB298_1215
.LBB298_1214:                           ;   in Loop: Header=BB298_1074 Depth=1
	v_and_b32_e32 v4, 7, v60
	v_ffbh_u32_e32 v4, v4
	v_bfe_u32 v5, v60, 3, 4
	v_min_u32_e32 v4, 32, v4
	v_subrev_u32_e32 v6, 28, v4
	v_sub_u32_e32 v4, 29, v4
	v_cmp_eq_u32_e64 s[2:3], 0, v5
	s_nop 1
	v_cndmask_b32_e64 v16, v5, v4, s[2:3]
	v_cndmask_b32_e64 v4, 0, v6, s[2:3]
	v_lshlrev_b64 v[4:5], v4, v[60:61]
	v_lshlrev_b32_e32 v5, 8, v60
	v_lshl_add_u32 v6, v16, 10, v19
	v_lshlrev_b32_e32 v4, 7, v4
	v_and_or_b32 v5, v5, s26, v6
	v_and_or_b32 v4, v4, s27, v5
	v_cvt_f32_f16_e32 v46, v4
.LBB298_1215:                           ;   in Loop: Header=BB298_1074 Depth=1
	s_or_b64 exec, exec, s[20:21]
	v_lshrrev_b16_e32 v20, 8, v60
	v_cmp_lt_i16_e64 s[2:3], s5, v20
	s_mov_b64 s[20:21], 0
                                        ; implicit-def: $sgpr31
	s_and_saveexec_b64 s[22:23], s[2:3]
	s_xor_b64 s[22:23], exec, s[22:23]
	s_cbranch_execnz .LBB298_1751
; %bb.1216:                             ;   in Loop: Header=BB298_1074 Depth=1
	s_or_saveexec_b64 s[22:23], s[22:23]
	v_mov_b32_e32 v4, s31
	s_xor_b64 exec, exec, s[22:23]
	s_cbranch_execnz .LBB298_1754
.LBB298_1217:                           ;   in Loop: Header=BB298_1074 Depth=1
	s_or_b64 exec, exec, s[22:23]
	s_and_saveexec_b64 s[22:23], s[20:21]
	s_cbranch_execz .LBB298_1219
.LBB298_1218:                           ;   in Loop: Header=BB298_1074 Depth=1
	v_and_b32_e32 v6, 7, v20
	v_ffbh_u32_e32 v4, v6
	v_min_u32_e32 v17, 32, v4
	v_subrev_u32_e32 v4, 28, v17
	v_bfe_u32 v16, v20, 3, 4
	v_lshlrev_b64 v[4:5], v4, v[20:21]
	v_sub_u32_e32 v5, 29, v17
	v_cmp_eq_u32_e64 s[2:3], 0, v16
	v_and_b32_e32 v4, 7, v4
	s_nop 0
	v_cndmask_b32_e64 v5, v16, v5, s[2:3]
	v_cndmask_b32_e64 v4, v6, v4, s[2:3]
	v_lshlrev_b32_e32 v6, 8, v20
	v_lshl_add_u32 v5, v5, 10, v19
	v_and_or_b32 v5, v6, s26, v5
	v_lshl_or_b32 v4, v4, 7, v5
	v_cvt_f32_f16_e32 v4, v4
.LBB298_1219:                           ;   in Loop: Header=BB298_1074 Depth=1
	s_or_b64 exec, exec, s[22:23]
	v_lshrrev_b32_e32 v20, 16, v60
	v_cmp_gt_i16_sdwa s[20:21], v20, s5 src0_sel:BYTE_0 src1_sel:DWORD
	s_mov_b64 s[2:3], 0
                                        ; implicit-def: $sgpr24
	s_and_saveexec_b64 s[22:23], s[20:21]
	s_xor_b64 s[20:21], exec, s[22:23]
	s_cbranch_execnz .LBB298_1755
; %bb.1220:                             ;   in Loop: Header=BB298_1074 Depth=1
	s_or_saveexec_b64 s[20:21], s[20:21]
	v_mov_b32_e32 v47, s24
	s_xor_b64 exec, exec, s[20:21]
	s_cbranch_execnz .LBB298_1758
.LBB298_1221:                           ;   in Loop: Header=BB298_1074 Depth=1
	s_or_b64 exec, exec, s[20:21]
	s_and_saveexec_b64 s[20:21], s[2:3]
	s_cbranch_execz .LBB298_1223
.LBB298_1222:                           ;   in Loop: Header=BB298_1074 Depth=1
	v_bfe_u32 v5, v60, 16, 3
	v_ffbh_u32_e32 v16, v5
	v_min_u32_e32 v18, 32, v16
	v_subrev_u32_e32 v16, 28, v18
	v_bfe_u32 v6, v60, 19, 4
	v_lshlrev_b64 v[16:17], v16, v[20:21]
	v_sub_u32_e32 v17, 29, v18
	v_cmp_eq_u32_e64 s[2:3], 0, v6
	v_and_b32_e32 v16, 7, v16
	s_nop 0
	v_cndmask_b32_e64 v6, v6, v17, s[2:3]
	v_cndmask_b32_e64 v5, v5, v16, s[2:3]
	v_lshlrev_b32_e32 v16, 8, v20
	v_lshl_add_u32 v6, v6, 10, v19
	v_and_or_b32 v6, v16, s26, v6
	v_lshl_or_b32 v5, v5, 7, v6
	v_cvt_f32_f16_e32 v47, v5
.LBB298_1223:                           ;   in Loop: Header=BB298_1074 Depth=1
	s_or_b64 exec, exec, s[20:21]
	v_lshrrev_b32_e32 v20, 24, v60
	v_cmp_lt_i16_e64 s[2:3], s5, v20
	s_mov_b64 s[20:21], 0
                                        ; implicit-def: $sgpr31
	s_and_saveexec_b64 s[22:23], s[2:3]
	s_xor_b64 s[22:23], exec, s[22:23]
	s_cbranch_execnz .LBB298_1759
; %bb.1224:                             ;   in Loop: Header=BB298_1074 Depth=1
	s_or_saveexec_b64 s[22:23], s[22:23]
	v_mov_b32_e32 v5, s31
	s_xor_b64 exec, exec, s[22:23]
	s_cbranch_execnz .LBB298_1762
.LBB298_1225:                           ;   in Loop: Header=BB298_1074 Depth=1
	s_or_b64 exec, exec, s[22:23]
	s_and_saveexec_b64 s[22:23], s[20:21]
	s_cbranch_execz .LBB298_1227
.LBB298_1226:                           ;   in Loop: Header=BB298_1074 Depth=1
	v_bfe_u32 v5, v60, 24, 3
	v_ffbh_u32_e32 v16, v5
	v_min_u32_e32 v18, 32, v16
	v_subrev_u32_e32 v16, 28, v18
	v_bfe_u32 v6, v60, 27, 4
	v_lshlrev_b64 v[16:17], v16, v[20:21]
	v_sub_u32_e32 v17, 29, v18
	v_cmp_eq_u32_e64 s[2:3], 0, v6
	v_and_b32_e32 v16, 7, v16
	s_nop 0
	v_cndmask_b32_e64 v6, v6, v17, s[2:3]
	v_cndmask_b32_e64 v5, v5, v16, s[2:3]
	v_lshlrev_b32_e32 v16, 8, v20
	v_lshl_add_u32 v6, v6, 10, v19
	v_and_or_b32 v6, v16, s26, v6
	v_lshl_or_b32 v5, v5, 7, v6
	v_cvt_f32_f16_e32 v5, v5
.LBB298_1227:                           ;   in Loop: Header=BB298_1074 Depth=1
	s_or_b64 exec, exec, s[22:23]
	v_cmp_gt_i16_sdwa s[20:21], v61, s5 src0_sel:BYTE_0 src1_sel:DWORD
	s_mov_b64 s[2:3], 0
                                        ; implicit-def: $sgpr24
	s_and_saveexec_b64 s[22:23], s[20:21]
	s_xor_b64 s[20:21], exec, s[22:23]
	s_cbranch_execnz .LBB298_1763
; %bb.1228:                             ;   in Loop: Header=BB298_1074 Depth=1
	s_or_saveexec_b64 s[20:21], s[20:21]
	v_mov_b32_e32 v6, s24
	s_xor_b64 exec, exec, s[20:21]
	s_cbranch_execnz .LBB298_1766
.LBB298_1229:                           ;   in Loop: Header=BB298_1074 Depth=1
	s_or_b64 exec, exec, s[20:21]
	v_mov_b32_e32 v20, v61
	s_and_saveexec_b64 s[20:21], s[2:3]
	s_cbranch_execz .LBB298_1231
.LBB298_1230:                           ;   in Loop: Header=BB298_1074 Depth=1
	v_and_b32_e32 v6, 7, v61
	v_ffbh_u32_e32 v6, v6
	v_bfe_u32 v16, v61, 3, 4
	v_min_u32_e32 v6, 32, v6
	v_subrev_u32_e32 v17, 28, v6
	v_sub_u32_e32 v6, 29, v6
	v_cmp_eq_u32_e64 s[2:3], 0, v16
	s_nop 1
	v_cndmask_b32_e64 v6, v16, v6, s[2:3]
	v_cndmask_b32_e64 v16, 0, v17, s[2:3]
	v_lshlrev_b64 v[16:17], v16, v[20:21]
	v_lshlrev_b32_e32 v17, 8, v61
	v_lshl_add_u32 v6, v6, 10, v19
	v_lshlrev_b32_e32 v16, 7, v16
	v_and_or_b32 v6, v17, s26, v6
	v_and_or_b32 v6, v16, s27, v6
	v_cvt_f32_f16_e32 v6, v6
.LBB298_1231:                           ;   in Loop: Header=BB298_1074 Depth=1
	s_or_b64 exec, exec, s[20:21]
	v_lshrrev_b16_e32 v20, 8, v20
	v_cmp_lt_i16_e64 s[2:3], s5, v20
	s_mov_b64 s[20:21], 0
                                        ; implicit-def: $sgpr31
	s_and_saveexec_b64 s[22:23], s[2:3]
	s_xor_b64 s[22:23], exec, s[22:23]
	s_cbranch_execnz .LBB298_1767
; %bb.1232:                             ;   in Loop: Header=BB298_1074 Depth=1
	s_or_saveexec_b64 s[22:23], s[22:23]
	v_mov_b32_e32 v16, s31
	s_xor_b64 exec, exec, s[22:23]
	s_cbranch_execnz .LBB298_1770
.LBB298_1233:                           ;   in Loop: Header=BB298_1074 Depth=1
	s_or_b64 exec, exec, s[22:23]
	s_and_saveexec_b64 s[22:23], s[20:21]
	s_cbranch_execz .LBB298_1235
.LBB298_1234:                           ;   in Loop: Header=BB298_1074 Depth=1
	v_and_b32_e32 v18, 7, v20
	v_ffbh_u32_e32 v16, v18
	v_min_u32_e32 v26, 32, v16
	v_subrev_u32_e32 v16, 28, v26
	v_bfe_u32 v23, v20, 3, 4
	v_lshlrev_b64 v[16:17], v16, v[20:21]
	v_sub_u32_e32 v17, 29, v26
	v_cmp_eq_u32_e64 s[2:3], 0, v23
	v_and_b32_e32 v16, 7, v16
	s_nop 0
	v_cndmask_b32_e64 v17, v23, v17, s[2:3]
	v_cndmask_b32_e64 v16, v18, v16, s[2:3]
	v_lshlrev_b32_e32 v18, 8, v20
	v_lshl_add_u32 v17, v17, 10, v19
	v_and_or_b32 v17, v18, s26, v17
	v_lshl_or_b32 v16, v16, 7, v17
	v_cvt_f32_f16_e32 v16, v16
.LBB298_1235:                           ;   in Loop: Header=BB298_1074 Depth=1
	s_or_b64 exec, exec, s[22:23]
	v_lshrrev_b32_e32 v20, 16, v61
	v_cmp_gt_i16_sdwa s[20:21], v20, s5 src0_sel:BYTE_0 src1_sel:DWORD
	s_mov_b64 s[2:3], 0
                                        ; implicit-def: $sgpr24
	s_and_saveexec_b64 s[22:23], s[20:21]
	s_xor_b64 s[20:21], exec, s[22:23]
	s_cbranch_execnz .LBB298_1771
; %bb.1236:                             ;   in Loop: Header=BB298_1074 Depth=1
	s_or_saveexec_b64 s[20:21], s[20:21]
	v_mov_b32_e32 v17, s24
	s_xor_b64 exec, exec, s[20:21]
	s_cbranch_execnz .LBB298_1774
.LBB298_1237:                           ;   in Loop: Header=BB298_1074 Depth=1
	s_or_b64 exec, exec, s[20:21]
	s_and_saveexec_b64 s[20:21], s[2:3]
	s_cbranch_execz .LBB298_1239
.LBB298_1238:                           ;   in Loop: Header=BB298_1074 Depth=1
	v_bfe_u32 v17, v61, 16, 3
	v_ffbh_u32_e32 v23, v17
	v_bfe_u32 v18, v61, 19, 4
	v_min_u32_e32 v23, 32, v23
	v_subrev_u32_e32 v26, 28, v23
	v_sub_u32_e32 v23, 29, v23
	v_cmp_eq_u32_e64 s[2:3], 0, v18
	v_lshlrev_b64 v[26:27], v26, v[20:21]
	v_and_b32_e32 v26, 7, v26
	v_cndmask_b32_e64 v18, v18, v23, s[2:3]
	v_lshlrev_b32_e32 v20, 8, v20
	v_lshl_add_u32 v18, v18, 10, v19
	v_cndmask_b32_e64 v17, v17, v26, s[2:3]
	v_and_or_b32 v18, v20, s26, v18
	v_lshl_or_b32 v17, v17, 7, v18
	v_cvt_f32_f16_e32 v17, v17
.LBB298_1239:                           ;   in Loop: Header=BB298_1074 Depth=1
	s_or_b64 exec, exec, s[20:21]
	v_lshrrev_b32_e32 v20, 24, v61
	v_cmp_lt_i16_e64 s[2:3], s5, v20
	s_mov_b64 s[20:21], 0
                                        ; implicit-def: $sgpr31
	s_and_saveexec_b64 s[22:23], s[2:3]
	s_xor_b64 s[22:23], exec, s[22:23]
	s_cbranch_execnz .LBB298_1775
; %bb.1240:                             ;   in Loop: Header=BB298_1074 Depth=1
	s_or_saveexec_b64 s[22:23], s[22:23]
	v_mov_b32_e32 v23, s31
	s_xor_b64 exec, exec, s[22:23]
	s_cbranch_execnz .LBB298_1778
.LBB298_1241:                           ;   in Loop: Header=BB298_1074 Depth=1
	s_or_b64 exec, exec, s[22:23]
	s_and_saveexec_b64 s[22:23], s[20:21]
	s_cbranch_execz .LBB298_1243
.LBB298_1242:                           ;   in Loop: Header=BB298_1074 Depth=1
	v_bfe_u32 v18, v61, 24, 3
	v_ffbh_u32_e32 v26, v18
	v_min_u32_e32 v28, 32, v26
	v_subrev_u32_e32 v26, 28, v28
	v_bfe_u32 v23, v61, 27, 4
	v_lshlrev_b64 v[26:27], v26, v[20:21]
	v_sub_u32_e32 v27, 29, v28
	v_cmp_eq_u32_e64 s[2:3], 0, v23
	v_and_b32_e32 v26, 7, v26
	v_lshlrev_b32_e32 v20, 8, v20
	v_cndmask_b32_e64 v23, v23, v27, s[2:3]
	v_lshl_add_u32 v23, v23, 10, v19
	v_cndmask_b32_e64 v18, v18, v26, s[2:3]
	v_and_or_b32 v20, v20, s26, v23
	v_lshl_or_b32 v18, v18, 7, v20
	v_cvt_f32_f16_e32 v23, v18
.LBB298_1243:                           ;   in Loop: Header=BB298_1074 Depth=1
	s_or_b64 exec, exec, s[22:23]
	s_waitcnt vmcnt(0) lgkmcnt(0)
	v_pk_mul_f32 v[4:5], v[58:59], v[4:5] op_sel_hi:[0,1]
	v_pk_mul_f32 v[26:27], v[58:59], v[46:47] op_sel_hi:[0,1]
	v_cvt_f16_f32_e32 v5, v5
	v_cvt_f16_f32_e32 v4, v4
	;; [unrolled: 1-line block ×4, first 2 shown]
	v_fma_mixlo_f16 v6, v58, v6, 0
	v_pack_b32_f16 v5, v4, v5
	v_pack_b32_f16 v18, v20, v18
	v_perm_b32 v4, v18, v5, s28
	v_perm_b32 v18, v18, v5, s29
	v_fma_mixlo_f16 v5, v58, v16, 0
	v_lshlrev_b32_e32 v5, 16, v5
	v_or_b32_sdwa v5, v5, v6 dst_sel:DWORD dst_unused:UNUSED_PAD src0_sel:DWORD src1_sel:WORD_0
	v_fma_mixlo_f16 v6, v58, v23, 0
	v_fma_mixlo_f16 v16, v58, v17, 0
	v_lshlrev_b32_e32 v6, 16, v6
	v_or_b32_sdwa v6, v6, v16 dst_sel:DWORD dst_unused:UNUSED_PAD src0_sel:DWORD src1_sel:WORD_0
	s_and_saveexec_b64 s[20:21], vcc
	s_cbranch_execz .LBB298_1245
; %bb.1244:                             ;   in Loop: Header=BB298_1074 Depth=1
	scratch_load_dwordx2 v[26:27], off, s32 offset:204 ; 8-byte Folded Reload
	v_lshrrev_b32_e32 v17, 16, v18
	v_cmp_lt_i32_e64 s[2:3], v41, v7
	v_lshrrev_b32_e32 v6, 16, v6
	s_waitcnt vmcnt(0)
	v_mov_b32_e32 v20, v26
	v_cndmask_b32_e64 v17, 0, v17, s[2:3]
	v_cmp_lt_i32_e64 s[2:3], v38, v20
	s_nop 1
	v_cndmask_b32_e64 v18, 0, v18, s[2:3]
	v_perm_b32 v18, v17, v18, s30
	v_lshrrev_b32_e32 v17, 16, v4
	v_cmp_lt_i32_e64 s[2:3], v40, v7
	s_nop 1
	v_cndmask_b32_e64 v17, 0, v17, s[2:3]
	v_cmp_lt_i32_e64 s[2:3], v55, v20
	s_nop 1
	v_cndmask_b32_e64 v4, 0, v4, s[2:3]
	v_perm_b32 v4, v17, v4, s30
	v_lshrrev_b32_e32 v17, 16, v5
	v_cmp_lt_i32_e64 s[2:3], v52, v7
	s_nop 1
	v_cndmask_b32_e64 v17, 0, v17, s[2:3]
	v_cmp_lt_i32_e64 s[2:3], v50, v20
	s_nop 1
	v_cndmask_b32_e64 v5, 0, v5, s[2:3]
	v_cmp_lt_i32_e64 s[2:3], v62, v7
	v_perm_b32 v5, v17, v5, s30
	s_nop 0
	v_cndmask_b32_e64 v6, 0, v6, s[2:3]
	v_cmp_lt_i32_e64 s[2:3], v22, v20
	s_nop 1
	v_cndmask_b32_e64 v16, 0, v16, s[2:3]
	v_perm_b32 v6, v6, v16, s30
.LBB298_1245:                           ;   in Loop: Header=BB298_1074 Depth=1
	s_or_b64 exec, exec, s[20:21]
	;;#ASMSTART
	v_pk_mul_f16 v16, v54, v18;

	;;#ASMEND
	;;#ASMSTART
	v_pk_mul_f16 v4, v53, v4;

	;;#ASMEND
	;; [unrolled: 4-line block ×4, first 2 shown]
	s_mov_b64 s[2:3], 0
	;;#ASMSTART
	v_pk_add_f16 v4, v16, v4;

	;;#ASMEND
                                        ; implicit-def: $sgpr24
	s_nop 0
	;;#ASMSTART
	v_pk_add_f16 v4, v4, v5;

	;;#ASMEND
	s_nop 0
	;;#ASMSTART
	v_pk_add_f16 v4, v4, v6;

	;;#ASMEND
	s_nop 0
	v_lshrrev_b32_e32 v5, 16, v4
	v_and_b32_e32 v4, 0xffff, v4
	;;#ASMSTART
	v_cvt_f32_f16 v4, v4;
	;;#ASMEND
	s_nop 0
	v_accvgpr_write_b32 a50, v4
	;;#ASMSTART
	v_cvt_f32_f16 v4, v5;
	;;#ASMEND
	s_nop 0
	v_accvgpr_write_b32 a51, v4
	flat_load_dwordx2 v[60:61], v[56:57] offset:2560
	scratch_load_dwordx2 v[4:5], off, s32 offset:196 ; 8-byte Folded Reload
	s_waitcnt vmcnt(0) lgkmcnt(0)
	v_cmp_gt_i16_sdwa s[20:21], v60, s5 src0_sel:BYTE_0 src1_sel:DWORD
	flat_load_dword v58, v[4:5]
	s_and_saveexec_b64 s[22:23], s[20:21]
	s_xor_b64 s[20:21], exec, s[22:23]
	s_cbranch_execnz .LBB298_1779
; %bb.1246:                             ;   in Loop: Header=BB298_1074 Depth=1
	s_or_saveexec_b64 s[20:21], s[20:21]
	v_mov_b32_e32 v46, s24
	s_xor_b64 exec, exec, s[20:21]
	s_cbranch_execnz .LBB298_1782
.LBB298_1247:                           ;   in Loop: Header=BB298_1074 Depth=1
	s_or_b64 exec, exec, s[20:21]
	s_and_saveexec_b64 s[20:21], s[2:3]
	s_cbranch_execz .LBB298_1249
.LBB298_1248:                           ;   in Loop: Header=BB298_1074 Depth=1
	v_and_b32_e32 v4, 7, v60
	v_ffbh_u32_e32 v4, v4
	v_bfe_u32 v5, v60, 3, 4
	v_min_u32_e32 v4, 32, v4
	v_subrev_u32_e32 v6, 28, v4
	v_sub_u32_e32 v4, 29, v4
	v_cmp_eq_u32_e64 s[2:3], 0, v5
	s_nop 1
	v_cndmask_b32_e64 v16, v5, v4, s[2:3]
	v_cndmask_b32_e64 v4, 0, v6, s[2:3]
	v_lshlrev_b64 v[4:5], v4, v[60:61]
	v_lshlrev_b32_e32 v5, 8, v60
	v_lshl_add_u32 v6, v16, 10, v19
	v_lshlrev_b32_e32 v4, 7, v4
	v_and_or_b32 v5, v5, s26, v6
	v_and_or_b32 v4, v4, s27, v5
	v_cvt_f32_f16_e32 v46, v4
.LBB298_1249:                           ;   in Loop: Header=BB298_1074 Depth=1
	s_or_b64 exec, exec, s[20:21]
	v_lshrrev_b16_e32 v20, 8, v60
	v_cmp_lt_i16_e64 s[2:3], s5, v20
	s_mov_b64 s[20:21], 0
                                        ; implicit-def: $sgpr31
	s_and_saveexec_b64 s[22:23], s[2:3]
	s_xor_b64 s[22:23], exec, s[22:23]
	s_cbranch_execnz .LBB298_1783
; %bb.1250:                             ;   in Loop: Header=BB298_1074 Depth=1
	s_or_saveexec_b64 s[22:23], s[22:23]
	v_mov_b32_e32 v4, s31
	s_xor_b64 exec, exec, s[22:23]
	s_cbranch_execnz .LBB298_1786
.LBB298_1251:                           ;   in Loop: Header=BB298_1074 Depth=1
	s_or_b64 exec, exec, s[22:23]
	s_and_saveexec_b64 s[22:23], s[20:21]
	s_cbranch_execz .LBB298_1253
.LBB298_1252:                           ;   in Loop: Header=BB298_1074 Depth=1
	v_and_b32_e32 v6, 7, v20
	v_ffbh_u32_e32 v4, v6
	v_min_u32_e32 v17, 32, v4
	v_subrev_u32_e32 v4, 28, v17
	v_bfe_u32 v16, v20, 3, 4
	v_lshlrev_b64 v[4:5], v4, v[20:21]
	v_sub_u32_e32 v5, 29, v17
	v_cmp_eq_u32_e64 s[2:3], 0, v16
	v_and_b32_e32 v4, 7, v4
	s_nop 0
	v_cndmask_b32_e64 v5, v16, v5, s[2:3]
	v_cndmask_b32_e64 v4, v6, v4, s[2:3]
	v_lshlrev_b32_e32 v6, 8, v20
	v_lshl_add_u32 v5, v5, 10, v19
	v_and_or_b32 v5, v6, s26, v5
	v_lshl_or_b32 v4, v4, 7, v5
	v_cvt_f32_f16_e32 v4, v4
.LBB298_1253:                           ;   in Loop: Header=BB298_1074 Depth=1
	s_or_b64 exec, exec, s[22:23]
	v_lshrrev_b32_e32 v20, 16, v60
	v_cmp_gt_i16_sdwa s[20:21], v20, s5 src0_sel:BYTE_0 src1_sel:DWORD
	s_mov_b64 s[2:3], 0
                                        ; implicit-def: $sgpr24
	s_and_saveexec_b64 s[22:23], s[20:21]
	s_xor_b64 s[20:21], exec, s[22:23]
	s_cbranch_execnz .LBB298_1787
; %bb.1254:                             ;   in Loop: Header=BB298_1074 Depth=1
	s_or_saveexec_b64 s[20:21], s[20:21]
	v_mov_b32_e32 v47, s24
	s_xor_b64 exec, exec, s[20:21]
	s_cbranch_execnz .LBB298_1790
.LBB298_1255:                           ;   in Loop: Header=BB298_1074 Depth=1
	s_or_b64 exec, exec, s[20:21]
	s_and_saveexec_b64 s[20:21], s[2:3]
	s_cbranch_execz .LBB298_1257
.LBB298_1256:                           ;   in Loop: Header=BB298_1074 Depth=1
	v_bfe_u32 v5, v60, 16, 3
	v_ffbh_u32_e32 v16, v5
	v_min_u32_e32 v18, 32, v16
	v_subrev_u32_e32 v16, 28, v18
	v_bfe_u32 v6, v60, 19, 4
	v_lshlrev_b64 v[16:17], v16, v[20:21]
	v_sub_u32_e32 v17, 29, v18
	v_cmp_eq_u32_e64 s[2:3], 0, v6
	v_and_b32_e32 v16, 7, v16
	s_nop 0
	v_cndmask_b32_e64 v6, v6, v17, s[2:3]
	v_cndmask_b32_e64 v5, v5, v16, s[2:3]
	v_lshlrev_b32_e32 v16, 8, v20
	v_lshl_add_u32 v6, v6, 10, v19
	v_and_or_b32 v6, v16, s26, v6
	v_lshl_or_b32 v5, v5, 7, v6
	v_cvt_f32_f16_e32 v47, v5
.LBB298_1257:                           ;   in Loop: Header=BB298_1074 Depth=1
	s_or_b64 exec, exec, s[20:21]
	v_lshrrev_b32_e32 v20, 24, v60
	v_cmp_lt_i16_e64 s[2:3], s5, v20
	s_mov_b64 s[20:21], 0
                                        ; implicit-def: $sgpr31
	s_and_saveexec_b64 s[22:23], s[2:3]
	s_xor_b64 s[22:23], exec, s[22:23]
	s_cbranch_execnz .LBB298_1791
; %bb.1258:                             ;   in Loop: Header=BB298_1074 Depth=1
	s_or_saveexec_b64 s[22:23], s[22:23]
	v_mov_b32_e32 v5, s31
	s_xor_b64 exec, exec, s[22:23]
	s_cbranch_execnz .LBB298_1794
.LBB298_1259:                           ;   in Loop: Header=BB298_1074 Depth=1
	s_or_b64 exec, exec, s[22:23]
	s_and_saveexec_b64 s[22:23], s[20:21]
	s_cbranch_execz .LBB298_1261
.LBB298_1260:                           ;   in Loop: Header=BB298_1074 Depth=1
	v_bfe_u32 v5, v60, 24, 3
	v_ffbh_u32_e32 v16, v5
	v_min_u32_e32 v18, 32, v16
	v_subrev_u32_e32 v16, 28, v18
	v_bfe_u32 v6, v60, 27, 4
	v_lshlrev_b64 v[16:17], v16, v[20:21]
	v_sub_u32_e32 v17, 29, v18
	v_cmp_eq_u32_e64 s[2:3], 0, v6
	v_and_b32_e32 v16, 7, v16
	s_nop 0
	v_cndmask_b32_e64 v6, v6, v17, s[2:3]
	v_cndmask_b32_e64 v5, v5, v16, s[2:3]
	v_lshlrev_b32_e32 v16, 8, v20
	v_lshl_add_u32 v6, v6, 10, v19
	v_and_or_b32 v6, v16, s26, v6
	v_lshl_or_b32 v5, v5, 7, v6
	v_cvt_f32_f16_e32 v5, v5
.LBB298_1261:                           ;   in Loop: Header=BB298_1074 Depth=1
	s_or_b64 exec, exec, s[22:23]
	v_cmp_gt_i16_sdwa s[20:21], v61, s5 src0_sel:BYTE_0 src1_sel:DWORD
	s_mov_b64 s[2:3], 0
                                        ; implicit-def: $sgpr24
	s_and_saveexec_b64 s[22:23], s[20:21]
	s_xor_b64 s[20:21], exec, s[22:23]
	s_cbranch_execnz .LBB298_1795
; %bb.1262:                             ;   in Loop: Header=BB298_1074 Depth=1
	s_or_saveexec_b64 s[20:21], s[20:21]
	v_mov_b32_e32 v6, s24
	s_xor_b64 exec, exec, s[20:21]
	s_cbranch_execnz .LBB298_1798
.LBB298_1263:                           ;   in Loop: Header=BB298_1074 Depth=1
	s_or_b64 exec, exec, s[20:21]
	v_mov_b32_e32 v20, v61
	s_and_saveexec_b64 s[20:21], s[2:3]
	s_cbranch_execz .LBB298_1265
.LBB298_1264:                           ;   in Loop: Header=BB298_1074 Depth=1
	v_and_b32_e32 v6, 7, v61
	v_ffbh_u32_e32 v6, v6
	v_bfe_u32 v16, v61, 3, 4
	v_min_u32_e32 v6, 32, v6
	v_subrev_u32_e32 v17, 28, v6
	v_sub_u32_e32 v6, 29, v6
	v_cmp_eq_u32_e64 s[2:3], 0, v16
	s_nop 1
	v_cndmask_b32_e64 v6, v16, v6, s[2:3]
	v_cndmask_b32_e64 v16, 0, v17, s[2:3]
	v_lshlrev_b64 v[16:17], v16, v[20:21]
	v_lshlrev_b32_e32 v17, 8, v61
	v_lshl_add_u32 v6, v6, 10, v19
	v_lshlrev_b32_e32 v16, 7, v16
	v_and_or_b32 v6, v17, s26, v6
	v_and_or_b32 v6, v16, s27, v6
	v_cvt_f32_f16_e32 v6, v6
.LBB298_1265:                           ;   in Loop: Header=BB298_1074 Depth=1
	s_or_b64 exec, exec, s[20:21]
	v_lshrrev_b16_e32 v20, 8, v20
	v_cmp_lt_i16_e64 s[2:3], s5, v20
	s_mov_b64 s[20:21], 0
                                        ; implicit-def: $sgpr31
	s_and_saveexec_b64 s[22:23], s[2:3]
	s_xor_b64 s[22:23], exec, s[22:23]
	s_cbranch_execnz .LBB298_1799
; %bb.1266:                             ;   in Loop: Header=BB298_1074 Depth=1
	s_or_saveexec_b64 s[22:23], s[22:23]
	v_mov_b32_e32 v16, s31
	s_xor_b64 exec, exec, s[22:23]
	s_cbranch_execnz .LBB298_1802
.LBB298_1267:                           ;   in Loop: Header=BB298_1074 Depth=1
	s_or_b64 exec, exec, s[22:23]
	s_and_saveexec_b64 s[22:23], s[20:21]
	s_cbranch_execz .LBB298_1269
.LBB298_1268:                           ;   in Loop: Header=BB298_1074 Depth=1
	v_and_b32_e32 v18, 7, v20
	v_ffbh_u32_e32 v16, v18
	v_min_u32_e32 v26, 32, v16
	v_subrev_u32_e32 v16, 28, v26
	v_bfe_u32 v23, v20, 3, 4
	v_lshlrev_b64 v[16:17], v16, v[20:21]
	v_sub_u32_e32 v17, 29, v26
	v_cmp_eq_u32_e64 s[2:3], 0, v23
	v_and_b32_e32 v16, 7, v16
	s_nop 0
	v_cndmask_b32_e64 v17, v23, v17, s[2:3]
	v_cndmask_b32_e64 v16, v18, v16, s[2:3]
	v_lshlrev_b32_e32 v18, 8, v20
	v_lshl_add_u32 v17, v17, 10, v19
	v_and_or_b32 v17, v18, s26, v17
	v_lshl_or_b32 v16, v16, 7, v17
	v_cvt_f32_f16_e32 v16, v16
.LBB298_1269:                           ;   in Loop: Header=BB298_1074 Depth=1
	s_or_b64 exec, exec, s[22:23]
	v_lshrrev_b32_e32 v20, 16, v61
	v_cmp_gt_i16_sdwa s[20:21], v20, s5 src0_sel:BYTE_0 src1_sel:DWORD
	s_mov_b64 s[2:3], 0
                                        ; implicit-def: $sgpr24
	s_and_saveexec_b64 s[22:23], s[20:21]
	s_xor_b64 s[20:21], exec, s[22:23]
	s_cbranch_execnz .LBB298_1803
; %bb.1270:                             ;   in Loop: Header=BB298_1074 Depth=1
	s_or_saveexec_b64 s[20:21], s[20:21]
	v_mov_b32_e32 v17, s24
	s_xor_b64 exec, exec, s[20:21]
	s_cbranch_execnz .LBB298_1806
.LBB298_1271:                           ;   in Loop: Header=BB298_1074 Depth=1
	s_or_b64 exec, exec, s[20:21]
	s_and_saveexec_b64 s[20:21], s[2:3]
	s_cbranch_execz .LBB298_1273
.LBB298_1272:                           ;   in Loop: Header=BB298_1074 Depth=1
	v_bfe_u32 v17, v61, 16, 3
	v_ffbh_u32_e32 v23, v17
	v_bfe_u32 v18, v61, 19, 4
	v_min_u32_e32 v23, 32, v23
	v_subrev_u32_e32 v26, 28, v23
	v_sub_u32_e32 v23, 29, v23
	v_cmp_eq_u32_e64 s[2:3], 0, v18
	v_lshlrev_b64 v[26:27], v26, v[20:21]
	v_and_b32_e32 v26, 7, v26
	v_cndmask_b32_e64 v18, v18, v23, s[2:3]
	v_lshlrev_b32_e32 v20, 8, v20
	v_lshl_add_u32 v18, v18, 10, v19
	v_cndmask_b32_e64 v17, v17, v26, s[2:3]
	v_and_or_b32 v18, v20, s26, v18
	v_lshl_or_b32 v17, v17, 7, v18
	v_cvt_f32_f16_e32 v17, v17
.LBB298_1273:                           ;   in Loop: Header=BB298_1074 Depth=1
	s_or_b64 exec, exec, s[20:21]
	v_lshrrev_b32_e32 v20, 24, v61
	v_cmp_lt_i16_e64 s[2:3], s5, v20
	s_mov_b64 s[20:21], 0
                                        ; implicit-def: $sgpr31
	s_and_saveexec_b64 s[22:23], s[2:3]
	s_xor_b64 s[22:23], exec, s[22:23]
	s_cbranch_execnz .LBB298_1807
; %bb.1274:                             ;   in Loop: Header=BB298_1074 Depth=1
	s_or_saveexec_b64 s[22:23], s[22:23]
	v_mov_b32_e32 v23, s31
	s_xor_b64 exec, exec, s[22:23]
	s_cbranch_execnz .LBB298_1810
.LBB298_1275:                           ;   in Loop: Header=BB298_1074 Depth=1
	s_or_b64 exec, exec, s[22:23]
	s_and_saveexec_b64 s[22:23], s[20:21]
	s_cbranch_execz .LBB298_1277
.LBB298_1276:                           ;   in Loop: Header=BB298_1074 Depth=1
	v_bfe_u32 v18, v61, 24, 3
	v_ffbh_u32_e32 v26, v18
	v_min_u32_e32 v28, 32, v26
	v_subrev_u32_e32 v26, 28, v28
	v_bfe_u32 v23, v61, 27, 4
	v_lshlrev_b64 v[26:27], v26, v[20:21]
	v_sub_u32_e32 v27, 29, v28
	v_cmp_eq_u32_e64 s[2:3], 0, v23
	v_and_b32_e32 v26, 7, v26
	v_lshlrev_b32_e32 v20, 8, v20
	v_cndmask_b32_e64 v23, v23, v27, s[2:3]
	v_lshl_add_u32 v23, v23, 10, v19
	v_cndmask_b32_e64 v18, v18, v26, s[2:3]
	v_and_or_b32 v20, v20, s26, v23
	v_lshl_or_b32 v18, v18, 7, v20
	v_cvt_f32_f16_e32 v23, v18
.LBB298_1277:                           ;   in Loop: Header=BB298_1074 Depth=1
	s_or_b64 exec, exec, s[22:23]
	s_waitcnt vmcnt(0) lgkmcnt(0)
	v_pk_mul_f32 v[4:5], v[58:59], v[4:5] op_sel_hi:[0,1]
	v_pk_mul_f32 v[26:27], v[58:59], v[46:47] op_sel_hi:[0,1]
	v_cvt_f16_f32_e32 v5, v5
	v_cvt_f16_f32_e32 v4, v4
	;; [unrolled: 1-line block ×4, first 2 shown]
	v_fma_mixlo_f16 v6, v58, v6, 0
	v_pack_b32_f16 v5, v4, v5
	v_pack_b32_f16 v18, v20, v18
	v_perm_b32 v4, v18, v5, s28
	v_perm_b32 v18, v18, v5, s29
	v_fma_mixlo_f16 v5, v58, v16, 0
	v_lshlrev_b32_e32 v5, 16, v5
	v_or_b32_sdwa v5, v5, v6 dst_sel:DWORD dst_unused:UNUSED_PAD src0_sel:DWORD src1_sel:WORD_0
	v_fma_mixlo_f16 v6, v58, v23, 0
	v_fma_mixlo_f16 v16, v58, v17, 0
	v_lshlrev_b32_e32 v6, 16, v6
	v_or_b32_sdwa v6, v6, v16 dst_sel:DWORD dst_unused:UNUSED_PAD src0_sel:DWORD src1_sel:WORD_0
	s_and_saveexec_b64 s[20:21], vcc
	s_cbranch_execz .LBB298_1279
; %bb.1278:                             ;   in Loop: Header=BB298_1074 Depth=1
	scratch_load_dwordx2 v[26:27], off, s32 offset:204 ; 8-byte Folded Reload
	v_lshrrev_b32_e32 v17, 16, v18
	v_cmp_lt_i32_e64 s[2:3], v41, v7
	v_lshrrev_b32_e32 v6, 16, v6
	s_waitcnt vmcnt(0)
	v_mov_b32_e32 v20, v26
	v_cndmask_b32_e64 v17, 0, v17, s[2:3]
	v_cmp_lt_i32_e64 s[2:3], v38, v20
	s_nop 1
	v_cndmask_b32_e64 v18, 0, v18, s[2:3]
	v_perm_b32 v18, v17, v18, s30
	v_lshrrev_b32_e32 v17, 16, v4
	v_cmp_lt_i32_e64 s[2:3], v40, v7
	s_nop 1
	v_cndmask_b32_e64 v17, 0, v17, s[2:3]
	v_cmp_lt_i32_e64 s[2:3], v55, v20
	s_nop 1
	v_cndmask_b32_e64 v4, 0, v4, s[2:3]
	v_perm_b32 v4, v17, v4, s30
	v_lshrrev_b32_e32 v17, 16, v5
	v_cmp_lt_i32_e64 s[2:3], v52, v7
	s_nop 1
	v_cndmask_b32_e64 v17, 0, v17, s[2:3]
	v_cmp_lt_i32_e64 s[2:3], v50, v20
	s_nop 1
	v_cndmask_b32_e64 v5, 0, v5, s[2:3]
	v_cmp_lt_i32_e64 s[2:3], v62, v7
	v_perm_b32 v5, v17, v5, s30
	s_nop 0
	v_cndmask_b32_e64 v6, 0, v6, s[2:3]
	v_cmp_lt_i32_e64 s[2:3], v22, v20
	s_nop 1
	v_cndmask_b32_e64 v16, 0, v16, s[2:3]
	v_perm_b32 v6, v6, v16, s30
.LBB298_1279:                           ;   in Loop: Header=BB298_1074 Depth=1
	s_or_b64 exec, exec, s[20:21]
	;;#ASMSTART
	v_pk_mul_f16 v16, v54, v18;

	;;#ASMEND
	;;#ASMSTART
	v_pk_mul_f16 v4, v53, v4;

	;;#ASMEND
	;; [unrolled: 4-line block ×4, first 2 shown]
	s_mov_b64 s[2:3], 0
	;;#ASMSTART
	v_pk_add_f16 v4, v16, v4;

	;;#ASMEND
                                        ; implicit-def: $sgpr24
	s_nop 0
	;;#ASMSTART
	v_pk_add_f16 v4, v4, v5;

	;;#ASMEND
	s_nop 0
	;;#ASMSTART
	v_pk_add_f16 v4, v4, v6;

	;;#ASMEND
	s_nop 0
	v_lshrrev_b32_e32 v5, 16, v4
	v_and_b32_e32 v4, 0xffff, v4
	;;#ASMSTART
	v_cvt_f32_f16 v4, v4;
	;;#ASMEND
	s_nop 0
	v_accvgpr_write_b32 a52, v4
	;;#ASMSTART
	v_cvt_f32_f16 v4, v5;
	;;#ASMEND
	s_nop 0
	v_accvgpr_write_b32 a53, v4
	flat_load_dwordx2 v[60:61], v[56:57] offset:3072
	scratch_load_dwordx2 v[4:5], off, s32 offset:196 ; 8-byte Folded Reload
	s_waitcnt vmcnt(0) lgkmcnt(0)
	v_cmp_gt_i16_sdwa s[20:21], v60, s5 src0_sel:BYTE_0 src1_sel:DWORD
	flat_load_dword v58, v[4:5]
	s_and_saveexec_b64 s[22:23], s[20:21]
	s_xor_b64 s[20:21], exec, s[22:23]
	s_cbranch_execnz .LBB298_1811
; %bb.1280:                             ;   in Loop: Header=BB298_1074 Depth=1
	s_or_saveexec_b64 s[20:21], s[20:21]
	v_mov_b32_e32 v46, s24
	s_xor_b64 exec, exec, s[20:21]
	s_cbranch_execnz .LBB298_1814
.LBB298_1281:                           ;   in Loop: Header=BB298_1074 Depth=1
	s_or_b64 exec, exec, s[20:21]
	s_and_saveexec_b64 s[20:21], s[2:3]
	s_cbranch_execz .LBB298_1283
.LBB298_1282:                           ;   in Loop: Header=BB298_1074 Depth=1
	v_and_b32_e32 v4, 7, v60
	v_ffbh_u32_e32 v4, v4
	v_bfe_u32 v5, v60, 3, 4
	v_min_u32_e32 v4, 32, v4
	v_subrev_u32_e32 v6, 28, v4
	v_sub_u32_e32 v4, 29, v4
	v_cmp_eq_u32_e64 s[2:3], 0, v5
	s_nop 1
	v_cndmask_b32_e64 v16, v5, v4, s[2:3]
	v_cndmask_b32_e64 v4, 0, v6, s[2:3]
	v_lshlrev_b64 v[4:5], v4, v[60:61]
	v_lshlrev_b32_e32 v5, 8, v60
	v_lshl_add_u32 v6, v16, 10, v19
	v_lshlrev_b32_e32 v4, 7, v4
	v_and_or_b32 v5, v5, s26, v6
	v_and_or_b32 v4, v4, s27, v5
	v_cvt_f32_f16_e32 v46, v4
.LBB298_1283:                           ;   in Loop: Header=BB298_1074 Depth=1
	s_or_b64 exec, exec, s[20:21]
	v_lshrrev_b16_e32 v20, 8, v60
	v_cmp_lt_i16_e64 s[2:3], s5, v20
	s_mov_b64 s[20:21], 0
                                        ; implicit-def: $sgpr31
	s_and_saveexec_b64 s[22:23], s[2:3]
	s_xor_b64 s[22:23], exec, s[22:23]
	s_cbranch_execnz .LBB298_1815
; %bb.1284:                             ;   in Loop: Header=BB298_1074 Depth=1
	s_or_saveexec_b64 s[22:23], s[22:23]
	v_mov_b32_e32 v4, s31
	s_xor_b64 exec, exec, s[22:23]
	s_cbranch_execnz .LBB298_1818
.LBB298_1285:                           ;   in Loop: Header=BB298_1074 Depth=1
	s_or_b64 exec, exec, s[22:23]
	s_and_saveexec_b64 s[22:23], s[20:21]
	s_cbranch_execz .LBB298_1287
.LBB298_1286:                           ;   in Loop: Header=BB298_1074 Depth=1
	v_and_b32_e32 v6, 7, v20
	v_ffbh_u32_e32 v4, v6
	v_min_u32_e32 v17, 32, v4
	v_subrev_u32_e32 v4, 28, v17
	v_bfe_u32 v16, v20, 3, 4
	v_lshlrev_b64 v[4:5], v4, v[20:21]
	v_sub_u32_e32 v5, 29, v17
	v_cmp_eq_u32_e64 s[2:3], 0, v16
	v_and_b32_e32 v4, 7, v4
	s_nop 0
	v_cndmask_b32_e64 v5, v16, v5, s[2:3]
	v_cndmask_b32_e64 v4, v6, v4, s[2:3]
	v_lshlrev_b32_e32 v6, 8, v20
	v_lshl_add_u32 v5, v5, 10, v19
	v_and_or_b32 v5, v6, s26, v5
	v_lshl_or_b32 v4, v4, 7, v5
	v_cvt_f32_f16_e32 v4, v4
.LBB298_1287:                           ;   in Loop: Header=BB298_1074 Depth=1
	s_or_b64 exec, exec, s[22:23]
	v_lshrrev_b32_e32 v20, 16, v60
	v_cmp_gt_i16_sdwa s[20:21], v20, s5 src0_sel:BYTE_0 src1_sel:DWORD
	s_mov_b64 s[2:3], 0
                                        ; implicit-def: $sgpr24
	s_and_saveexec_b64 s[22:23], s[20:21]
	s_xor_b64 s[20:21], exec, s[22:23]
	s_cbranch_execnz .LBB298_1819
; %bb.1288:                             ;   in Loop: Header=BB298_1074 Depth=1
	s_or_saveexec_b64 s[20:21], s[20:21]
	v_mov_b32_e32 v47, s24
	s_xor_b64 exec, exec, s[20:21]
	s_cbranch_execnz .LBB298_1822
.LBB298_1289:                           ;   in Loop: Header=BB298_1074 Depth=1
	s_or_b64 exec, exec, s[20:21]
	s_and_saveexec_b64 s[20:21], s[2:3]
	s_cbranch_execz .LBB298_1291
.LBB298_1290:                           ;   in Loop: Header=BB298_1074 Depth=1
	v_bfe_u32 v5, v60, 16, 3
	v_ffbh_u32_e32 v16, v5
	v_min_u32_e32 v18, 32, v16
	v_subrev_u32_e32 v16, 28, v18
	v_bfe_u32 v6, v60, 19, 4
	v_lshlrev_b64 v[16:17], v16, v[20:21]
	v_sub_u32_e32 v17, 29, v18
	v_cmp_eq_u32_e64 s[2:3], 0, v6
	v_and_b32_e32 v16, 7, v16
	s_nop 0
	v_cndmask_b32_e64 v6, v6, v17, s[2:3]
	v_cndmask_b32_e64 v5, v5, v16, s[2:3]
	v_lshlrev_b32_e32 v16, 8, v20
	v_lshl_add_u32 v6, v6, 10, v19
	v_and_or_b32 v6, v16, s26, v6
	v_lshl_or_b32 v5, v5, 7, v6
	v_cvt_f32_f16_e32 v47, v5
.LBB298_1291:                           ;   in Loop: Header=BB298_1074 Depth=1
	s_or_b64 exec, exec, s[20:21]
	v_lshrrev_b32_e32 v20, 24, v60
	v_cmp_lt_i16_e64 s[2:3], s5, v20
	s_mov_b64 s[20:21], 0
                                        ; implicit-def: $sgpr31
	s_and_saveexec_b64 s[22:23], s[2:3]
	s_xor_b64 s[22:23], exec, s[22:23]
	s_cbranch_execnz .LBB298_1823
; %bb.1292:                             ;   in Loop: Header=BB298_1074 Depth=1
	s_or_saveexec_b64 s[22:23], s[22:23]
	v_mov_b32_e32 v5, s31
	s_xor_b64 exec, exec, s[22:23]
	s_cbranch_execnz .LBB298_1826
.LBB298_1293:                           ;   in Loop: Header=BB298_1074 Depth=1
	s_or_b64 exec, exec, s[22:23]
	s_and_saveexec_b64 s[22:23], s[20:21]
	s_cbranch_execz .LBB298_1295
.LBB298_1294:                           ;   in Loop: Header=BB298_1074 Depth=1
	v_bfe_u32 v5, v60, 24, 3
	v_ffbh_u32_e32 v16, v5
	v_min_u32_e32 v18, 32, v16
	v_subrev_u32_e32 v16, 28, v18
	v_bfe_u32 v6, v60, 27, 4
	v_lshlrev_b64 v[16:17], v16, v[20:21]
	v_sub_u32_e32 v17, 29, v18
	v_cmp_eq_u32_e64 s[2:3], 0, v6
	v_and_b32_e32 v16, 7, v16
	s_nop 0
	v_cndmask_b32_e64 v6, v6, v17, s[2:3]
	v_cndmask_b32_e64 v5, v5, v16, s[2:3]
	v_lshlrev_b32_e32 v16, 8, v20
	v_lshl_add_u32 v6, v6, 10, v19
	v_and_or_b32 v6, v16, s26, v6
	v_lshl_or_b32 v5, v5, 7, v6
	v_cvt_f32_f16_e32 v5, v5
.LBB298_1295:                           ;   in Loop: Header=BB298_1074 Depth=1
	s_or_b64 exec, exec, s[22:23]
	v_cmp_gt_i16_sdwa s[20:21], v61, s5 src0_sel:BYTE_0 src1_sel:DWORD
	s_mov_b64 s[2:3], 0
                                        ; implicit-def: $sgpr24
	s_and_saveexec_b64 s[22:23], s[20:21]
	s_xor_b64 s[20:21], exec, s[22:23]
	s_cbranch_execnz .LBB298_1827
; %bb.1296:                             ;   in Loop: Header=BB298_1074 Depth=1
	s_or_saveexec_b64 s[20:21], s[20:21]
	v_mov_b32_e32 v6, s24
	s_xor_b64 exec, exec, s[20:21]
	s_cbranch_execnz .LBB298_1830
.LBB298_1297:                           ;   in Loop: Header=BB298_1074 Depth=1
	s_or_b64 exec, exec, s[20:21]
	v_mov_b32_e32 v20, v61
	s_and_saveexec_b64 s[20:21], s[2:3]
	s_cbranch_execz .LBB298_1299
.LBB298_1298:                           ;   in Loop: Header=BB298_1074 Depth=1
	v_and_b32_e32 v6, 7, v61
	v_ffbh_u32_e32 v6, v6
	v_bfe_u32 v16, v61, 3, 4
	v_min_u32_e32 v6, 32, v6
	v_subrev_u32_e32 v17, 28, v6
	v_sub_u32_e32 v6, 29, v6
	v_cmp_eq_u32_e64 s[2:3], 0, v16
	s_nop 1
	v_cndmask_b32_e64 v6, v16, v6, s[2:3]
	v_cndmask_b32_e64 v16, 0, v17, s[2:3]
	v_lshlrev_b64 v[16:17], v16, v[20:21]
	v_lshlrev_b32_e32 v17, 8, v61
	v_lshl_add_u32 v6, v6, 10, v19
	v_lshlrev_b32_e32 v16, 7, v16
	v_and_or_b32 v6, v17, s26, v6
	v_and_or_b32 v6, v16, s27, v6
	v_cvt_f32_f16_e32 v6, v6
.LBB298_1299:                           ;   in Loop: Header=BB298_1074 Depth=1
	s_or_b64 exec, exec, s[20:21]
	v_lshrrev_b16_e32 v20, 8, v20
	v_cmp_lt_i16_e64 s[2:3], s5, v20
	s_mov_b64 s[20:21], 0
                                        ; implicit-def: $sgpr31
	s_and_saveexec_b64 s[22:23], s[2:3]
	s_xor_b64 s[22:23], exec, s[22:23]
	s_cbranch_execnz .LBB298_1831
; %bb.1300:                             ;   in Loop: Header=BB298_1074 Depth=1
	s_or_saveexec_b64 s[22:23], s[22:23]
	v_mov_b32_e32 v16, s31
	s_xor_b64 exec, exec, s[22:23]
	s_cbranch_execnz .LBB298_1834
.LBB298_1301:                           ;   in Loop: Header=BB298_1074 Depth=1
	s_or_b64 exec, exec, s[22:23]
	s_and_saveexec_b64 s[22:23], s[20:21]
	s_cbranch_execz .LBB298_1303
.LBB298_1302:                           ;   in Loop: Header=BB298_1074 Depth=1
	v_and_b32_e32 v18, 7, v20
	v_ffbh_u32_e32 v16, v18
	v_min_u32_e32 v26, 32, v16
	v_subrev_u32_e32 v16, 28, v26
	v_bfe_u32 v23, v20, 3, 4
	v_lshlrev_b64 v[16:17], v16, v[20:21]
	v_sub_u32_e32 v17, 29, v26
	v_cmp_eq_u32_e64 s[2:3], 0, v23
	v_and_b32_e32 v16, 7, v16
	s_nop 0
	v_cndmask_b32_e64 v17, v23, v17, s[2:3]
	v_cndmask_b32_e64 v16, v18, v16, s[2:3]
	v_lshlrev_b32_e32 v18, 8, v20
	v_lshl_add_u32 v17, v17, 10, v19
	v_and_or_b32 v17, v18, s26, v17
	v_lshl_or_b32 v16, v16, 7, v17
	v_cvt_f32_f16_e32 v16, v16
.LBB298_1303:                           ;   in Loop: Header=BB298_1074 Depth=1
	s_or_b64 exec, exec, s[22:23]
	v_lshrrev_b32_e32 v20, 16, v61
	v_cmp_gt_i16_sdwa s[20:21], v20, s5 src0_sel:BYTE_0 src1_sel:DWORD
	s_mov_b64 s[2:3], 0
                                        ; implicit-def: $sgpr24
	s_and_saveexec_b64 s[22:23], s[20:21]
	s_xor_b64 s[20:21], exec, s[22:23]
	s_cbranch_execnz .LBB298_1835
; %bb.1304:                             ;   in Loop: Header=BB298_1074 Depth=1
	s_or_saveexec_b64 s[20:21], s[20:21]
	v_mov_b32_e32 v17, s24
	s_xor_b64 exec, exec, s[20:21]
	s_cbranch_execnz .LBB298_1838
.LBB298_1305:                           ;   in Loop: Header=BB298_1074 Depth=1
	s_or_b64 exec, exec, s[20:21]
	s_and_saveexec_b64 s[20:21], s[2:3]
	s_cbranch_execz .LBB298_1307
.LBB298_1306:                           ;   in Loop: Header=BB298_1074 Depth=1
	v_bfe_u32 v17, v61, 16, 3
	v_ffbh_u32_e32 v23, v17
	v_bfe_u32 v18, v61, 19, 4
	v_min_u32_e32 v23, 32, v23
	v_subrev_u32_e32 v26, 28, v23
	v_sub_u32_e32 v23, 29, v23
	v_cmp_eq_u32_e64 s[2:3], 0, v18
	v_lshlrev_b64 v[26:27], v26, v[20:21]
	v_and_b32_e32 v26, 7, v26
	v_cndmask_b32_e64 v18, v18, v23, s[2:3]
	v_lshlrev_b32_e32 v20, 8, v20
	v_lshl_add_u32 v18, v18, 10, v19
	v_cndmask_b32_e64 v17, v17, v26, s[2:3]
	v_and_or_b32 v18, v20, s26, v18
	v_lshl_or_b32 v17, v17, 7, v18
	v_cvt_f32_f16_e32 v17, v17
.LBB298_1307:                           ;   in Loop: Header=BB298_1074 Depth=1
	s_or_b64 exec, exec, s[20:21]
	v_lshrrev_b32_e32 v20, 24, v61
	v_cmp_lt_i16_e64 s[2:3], s5, v20
	s_mov_b64 s[20:21], 0
                                        ; implicit-def: $sgpr31
	s_and_saveexec_b64 s[22:23], s[2:3]
	s_xor_b64 s[22:23], exec, s[22:23]
	s_cbranch_execnz .LBB298_1839
; %bb.1308:                             ;   in Loop: Header=BB298_1074 Depth=1
	s_or_saveexec_b64 s[22:23], s[22:23]
	v_mov_b32_e32 v23, s31
	s_xor_b64 exec, exec, s[22:23]
	s_cbranch_execnz .LBB298_1842
.LBB298_1309:                           ;   in Loop: Header=BB298_1074 Depth=1
	s_or_b64 exec, exec, s[22:23]
	s_and_saveexec_b64 s[22:23], s[20:21]
	s_cbranch_execz .LBB298_1311
.LBB298_1310:                           ;   in Loop: Header=BB298_1074 Depth=1
	v_bfe_u32 v18, v61, 24, 3
	v_ffbh_u32_e32 v26, v18
	v_min_u32_e32 v28, 32, v26
	v_subrev_u32_e32 v26, 28, v28
	v_bfe_u32 v23, v61, 27, 4
	v_lshlrev_b64 v[26:27], v26, v[20:21]
	v_sub_u32_e32 v27, 29, v28
	v_cmp_eq_u32_e64 s[2:3], 0, v23
	v_and_b32_e32 v26, 7, v26
	v_lshlrev_b32_e32 v20, 8, v20
	v_cndmask_b32_e64 v23, v23, v27, s[2:3]
	v_lshl_add_u32 v23, v23, 10, v19
	v_cndmask_b32_e64 v18, v18, v26, s[2:3]
	v_and_or_b32 v20, v20, s26, v23
	v_lshl_or_b32 v18, v18, 7, v20
	v_cvt_f32_f16_e32 v23, v18
.LBB298_1311:                           ;   in Loop: Header=BB298_1074 Depth=1
	s_or_b64 exec, exec, s[22:23]
	s_waitcnt vmcnt(0) lgkmcnt(0)
	v_pk_mul_f32 v[4:5], v[58:59], v[4:5] op_sel_hi:[0,1]
	v_pk_mul_f32 v[26:27], v[58:59], v[46:47] op_sel_hi:[0,1]
	v_cvt_f16_f32_e32 v5, v5
	v_cvt_f16_f32_e32 v4, v4
	;; [unrolled: 1-line block ×4, first 2 shown]
	v_fma_mixlo_f16 v6, v58, v6, 0
	v_pack_b32_f16 v5, v4, v5
	v_pack_b32_f16 v18, v20, v18
	v_perm_b32 v4, v18, v5, s28
	v_perm_b32 v18, v18, v5, s29
	v_fma_mixlo_f16 v5, v58, v16, 0
	v_lshlrev_b32_e32 v5, 16, v5
	v_or_b32_sdwa v5, v5, v6 dst_sel:DWORD dst_unused:UNUSED_PAD src0_sel:DWORD src1_sel:WORD_0
	v_fma_mixlo_f16 v6, v58, v23, 0
	v_fma_mixlo_f16 v16, v58, v17, 0
	v_lshlrev_b32_e32 v6, 16, v6
	v_or_b32_sdwa v6, v6, v16 dst_sel:DWORD dst_unused:UNUSED_PAD src0_sel:DWORD src1_sel:WORD_0
	s_and_saveexec_b64 s[20:21], vcc
	s_cbranch_execz .LBB298_1313
; %bb.1312:                             ;   in Loop: Header=BB298_1074 Depth=1
	scratch_load_dwordx2 v[26:27], off, s32 offset:204 ; 8-byte Folded Reload
	v_lshrrev_b32_e32 v17, 16, v18
	v_cmp_lt_i32_e64 s[2:3], v41, v7
	v_lshrrev_b32_e32 v6, 16, v6
	s_waitcnt vmcnt(0)
	v_mov_b32_e32 v20, v26
	v_cndmask_b32_e64 v17, 0, v17, s[2:3]
	v_cmp_lt_i32_e64 s[2:3], v38, v20
	s_nop 1
	v_cndmask_b32_e64 v18, 0, v18, s[2:3]
	v_perm_b32 v18, v17, v18, s30
	v_lshrrev_b32_e32 v17, 16, v4
	v_cmp_lt_i32_e64 s[2:3], v40, v7
	s_nop 1
	v_cndmask_b32_e64 v17, 0, v17, s[2:3]
	v_cmp_lt_i32_e64 s[2:3], v55, v20
	s_nop 1
	v_cndmask_b32_e64 v4, 0, v4, s[2:3]
	v_perm_b32 v4, v17, v4, s30
	v_lshrrev_b32_e32 v17, 16, v5
	v_cmp_lt_i32_e64 s[2:3], v52, v7
	s_nop 1
	v_cndmask_b32_e64 v17, 0, v17, s[2:3]
	v_cmp_lt_i32_e64 s[2:3], v50, v20
	s_nop 1
	v_cndmask_b32_e64 v5, 0, v5, s[2:3]
	v_cmp_lt_i32_e64 s[2:3], v62, v7
	v_perm_b32 v5, v17, v5, s30
	s_nop 0
	v_cndmask_b32_e64 v6, 0, v6, s[2:3]
	v_cmp_lt_i32_e64 s[2:3], v22, v20
	s_nop 1
	v_cndmask_b32_e64 v16, 0, v16, s[2:3]
	v_perm_b32 v6, v6, v16, s30
.LBB298_1313:                           ;   in Loop: Header=BB298_1074 Depth=1
	s_or_b64 exec, exec, s[20:21]
	;;#ASMSTART
	v_pk_mul_f16 v16, v54, v18;

	;;#ASMEND
	;;#ASMSTART
	v_pk_mul_f16 v4, v53, v4;

	;;#ASMEND
	;;#ASMSTART
	v_pk_mul_f16 v5, v51, v5;

	;;#ASMEND
	;;#ASMSTART
	v_pk_mul_f16 v6, v39, v6;

	;;#ASMEND
	s_mov_b64 s[2:3], 0
	;;#ASMSTART
	v_pk_add_f16 v4, v16, v4;

	;;#ASMEND
                                        ; implicit-def: $sgpr24
	s_nop 0
	;;#ASMSTART
	v_pk_add_f16 v4, v4, v5;

	;;#ASMEND
	s_nop 0
	;;#ASMSTART
	v_pk_add_f16 v4, v4, v6;

	;;#ASMEND
	s_nop 0
	v_lshrrev_b32_e32 v5, 16, v4
	v_and_b32_e32 v4, 0xffff, v4
	;;#ASMSTART
	v_cvt_f32_f16 v4, v4;
	;;#ASMEND
	s_nop 0
	v_accvgpr_write_b32 a54, v4
	;;#ASMSTART
	v_cvt_f32_f16 v4, v5;
	;;#ASMEND
	s_nop 0
	v_accvgpr_write_b32 a55, v4
	flat_load_dwordx2 v[58:59], v[56:57] offset:3584
	scratch_load_dwordx2 v[4:5], off, s32 offset:196 ; 8-byte Folded Reload
	s_waitcnt vmcnt(0) lgkmcnt(0)
	v_cmp_gt_i16_sdwa s[20:21], v58, s5 src0_sel:BYTE_0 src1_sel:DWORD
	flat_load_dword v56, v[4:5]
	s_and_saveexec_b64 s[22:23], s[20:21]
	s_xor_b64 s[20:21], exec, s[22:23]
	s_cbranch_execnz .LBB298_1843
; %bb.1314:                             ;   in Loop: Header=BB298_1074 Depth=1
	s_or_saveexec_b64 s[20:21], s[20:21]
	v_mov_b32_e32 v46, s24
	s_xor_b64 exec, exec, s[20:21]
	s_cbranch_execnz .LBB298_1846
.LBB298_1315:                           ;   in Loop: Header=BB298_1074 Depth=1
	s_or_b64 exec, exec, s[20:21]
	s_and_saveexec_b64 s[20:21], s[2:3]
	s_cbranch_execz .LBB298_1317
.LBB298_1316:                           ;   in Loop: Header=BB298_1074 Depth=1
	v_and_b32_e32 v4, 7, v58
	v_ffbh_u32_e32 v4, v4
	v_bfe_u32 v5, v58, 3, 4
	v_min_u32_e32 v4, 32, v4
	v_subrev_u32_e32 v6, 28, v4
	v_sub_u32_e32 v4, 29, v4
	v_cmp_eq_u32_e64 s[2:3], 0, v5
	s_nop 1
	v_cndmask_b32_e64 v16, v5, v4, s[2:3]
	v_cndmask_b32_e64 v4, 0, v6, s[2:3]
	v_lshlrev_b64 v[4:5], v4, v[58:59]
	v_lshlrev_b32_e32 v5, 8, v58
	v_lshl_add_u32 v6, v16, 10, v19
	v_lshlrev_b32_e32 v4, 7, v4
	v_and_or_b32 v5, v5, s26, v6
	v_and_or_b32 v4, v4, s27, v5
	v_cvt_f32_f16_e32 v46, v4
.LBB298_1317:                           ;   in Loop: Header=BB298_1074 Depth=1
	s_or_b64 exec, exec, s[20:21]
	v_lshrrev_b16_e32 v20, 8, v58
	v_cmp_lt_i16_e64 s[2:3], s5, v20
	s_mov_b64 s[20:21], 0
                                        ; implicit-def: $sgpr31
	s_and_saveexec_b64 s[22:23], s[2:3]
	s_xor_b64 s[22:23], exec, s[22:23]
	s_cbranch_execnz .LBB298_1847
; %bb.1318:                             ;   in Loop: Header=BB298_1074 Depth=1
	s_or_saveexec_b64 s[22:23], s[22:23]
	v_mov_b32_e32 v4, s31
	s_xor_b64 exec, exec, s[22:23]
	s_cbranch_execnz .LBB298_1850
.LBB298_1319:                           ;   in Loop: Header=BB298_1074 Depth=1
	s_or_b64 exec, exec, s[22:23]
	s_and_saveexec_b64 s[22:23], s[20:21]
	s_cbranch_execz .LBB298_1321
.LBB298_1320:                           ;   in Loop: Header=BB298_1074 Depth=1
	v_and_b32_e32 v6, 7, v20
	v_ffbh_u32_e32 v4, v6
	v_min_u32_e32 v17, 32, v4
	v_subrev_u32_e32 v4, 28, v17
	v_bfe_u32 v16, v20, 3, 4
	v_lshlrev_b64 v[4:5], v4, v[20:21]
	v_sub_u32_e32 v5, 29, v17
	v_cmp_eq_u32_e64 s[2:3], 0, v16
	v_and_b32_e32 v4, 7, v4
	s_nop 0
	v_cndmask_b32_e64 v5, v16, v5, s[2:3]
	v_cndmask_b32_e64 v4, v6, v4, s[2:3]
	v_lshlrev_b32_e32 v6, 8, v20
	v_lshl_add_u32 v5, v5, 10, v19
	v_and_or_b32 v5, v6, s26, v5
	v_lshl_or_b32 v4, v4, 7, v5
	v_cvt_f32_f16_e32 v4, v4
.LBB298_1321:                           ;   in Loop: Header=BB298_1074 Depth=1
	s_or_b64 exec, exec, s[22:23]
	v_lshrrev_b32_e32 v20, 16, v58
	v_cmp_gt_i16_sdwa s[20:21], v20, s5 src0_sel:BYTE_0 src1_sel:DWORD
	s_mov_b64 s[2:3], 0
                                        ; implicit-def: $sgpr24
	s_and_saveexec_b64 s[22:23], s[20:21]
	s_xor_b64 s[20:21], exec, s[22:23]
	s_cbranch_execnz .LBB298_1851
; %bb.1322:                             ;   in Loop: Header=BB298_1074 Depth=1
	s_or_saveexec_b64 s[20:21], s[20:21]
	v_mov_b32_e32 v47, s24
	s_xor_b64 exec, exec, s[20:21]
	s_cbranch_execnz .LBB298_1854
.LBB298_1323:                           ;   in Loop: Header=BB298_1074 Depth=1
	s_or_b64 exec, exec, s[20:21]
	s_and_saveexec_b64 s[20:21], s[2:3]
	s_cbranch_execz .LBB298_1325
.LBB298_1324:                           ;   in Loop: Header=BB298_1074 Depth=1
	v_bfe_u32 v5, v58, 16, 3
	v_ffbh_u32_e32 v16, v5
	v_min_u32_e32 v18, 32, v16
	v_subrev_u32_e32 v16, 28, v18
	v_bfe_u32 v6, v58, 19, 4
	v_lshlrev_b64 v[16:17], v16, v[20:21]
	v_sub_u32_e32 v17, 29, v18
	v_cmp_eq_u32_e64 s[2:3], 0, v6
	v_and_b32_e32 v16, 7, v16
	s_nop 0
	v_cndmask_b32_e64 v6, v6, v17, s[2:3]
	v_cndmask_b32_e64 v5, v5, v16, s[2:3]
	v_lshlrev_b32_e32 v16, 8, v20
	v_lshl_add_u32 v6, v6, 10, v19
	v_and_or_b32 v6, v16, s26, v6
	v_lshl_or_b32 v5, v5, 7, v6
	v_cvt_f32_f16_e32 v47, v5
.LBB298_1325:                           ;   in Loop: Header=BB298_1074 Depth=1
	s_or_b64 exec, exec, s[20:21]
	v_lshrrev_b32_e32 v20, 24, v58
	v_cmp_lt_i16_e64 s[2:3], s5, v20
	s_mov_b64 s[20:21], 0
                                        ; implicit-def: $sgpr31
	s_and_saveexec_b64 s[22:23], s[2:3]
	s_xor_b64 s[22:23], exec, s[22:23]
	s_cbranch_execnz .LBB298_1855
; %bb.1326:                             ;   in Loop: Header=BB298_1074 Depth=1
	s_or_saveexec_b64 s[22:23], s[22:23]
	v_mov_b32_e32 v5, s31
	s_xor_b64 exec, exec, s[22:23]
	s_cbranch_execnz .LBB298_1858
.LBB298_1327:                           ;   in Loop: Header=BB298_1074 Depth=1
	s_or_b64 exec, exec, s[22:23]
	s_and_saveexec_b64 s[22:23], s[20:21]
	s_cbranch_execz .LBB298_1329
.LBB298_1328:                           ;   in Loop: Header=BB298_1074 Depth=1
	v_bfe_u32 v5, v58, 24, 3
	v_ffbh_u32_e32 v16, v5
	v_min_u32_e32 v18, 32, v16
	v_subrev_u32_e32 v16, 28, v18
	v_bfe_u32 v6, v58, 27, 4
	v_lshlrev_b64 v[16:17], v16, v[20:21]
	v_sub_u32_e32 v17, 29, v18
	v_cmp_eq_u32_e64 s[2:3], 0, v6
	v_and_b32_e32 v16, 7, v16
	s_nop 0
	v_cndmask_b32_e64 v6, v6, v17, s[2:3]
	v_cndmask_b32_e64 v5, v5, v16, s[2:3]
	v_lshlrev_b32_e32 v16, 8, v20
	v_lshl_add_u32 v6, v6, 10, v19
	v_and_or_b32 v6, v16, s26, v6
	v_lshl_or_b32 v5, v5, 7, v6
	v_cvt_f32_f16_e32 v5, v5
.LBB298_1329:                           ;   in Loop: Header=BB298_1074 Depth=1
	s_or_b64 exec, exec, s[22:23]
	v_cmp_gt_i16_sdwa s[20:21], v59, s5 src0_sel:BYTE_0 src1_sel:DWORD
	s_mov_b64 s[2:3], 0
                                        ; implicit-def: $sgpr24
	s_and_saveexec_b64 s[22:23], s[20:21]
	s_xor_b64 s[20:21], exec, s[22:23]
	s_cbranch_execnz .LBB298_1859
; %bb.1330:                             ;   in Loop: Header=BB298_1074 Depth=1
	s_or_saveexec_b64 s[20:21], s[20:21]
	v_mov_b32_e32 v6, s24
	s_xor_b64 exec, exec, s[20:21]
	s_cbranch_execnz .LBB298_1862
.LBB298_1331:                           ;   in Loop: Header=BB298_1074 Depth=1
	s_or_b64 exec, exec, s[20:21]
	v_mov_b32_e32 v20, v59
	s_and_saveexec_b64 s[20:21], s[2:3]
	s_cbranch_execz .LBB298_1333
.LBB298_1332:                           ;   in Loop: Header=BB298_1074 Depth=1
	v_and_b32_e32 v6, 7, v59
	v_ffbh_u32_e32 v6, v6
	v_bfe_u32 v16, v59, 3, 4
	v_min_u32_e32 v6, 32, v6
	v_subrev_u32_e32 v17, 28, v6
	v_sub_u32_e32 v6, 29, v6
	v_cmp_eq_u32_e64 s[2:3], 0, v16
	s_nop 1
	v_cndmask_b32_e64 v6, v16, v6, s[2:3]
	v_cndmask_b32_e64 v16, 0, v17, s[2:3]
	v_lshlrev_b64 v[16:17], v16, v[20:21]
	v_lshlrev_b32_e32 v17, 8, v59
	v_lshl_add_u32 v6, v6, 10, v19
	v_lshlrev_b32_e32 v16, 7, v16
	v_and_or_b32 v6, v17, s26, v6
	v_and_or_b32 v6, v16, s27, v6
	v_cvt_f32_f16_e32 v6, v6
.LBB298_1333:                           ;   in Loop: Header=BB298_1074 Depth=1
	s_or_b64 exec, exec, s[20:21]
	v_lshrrev_b16_e32 v20, 8, v20
	v_cmp_lt_i16_e64 s[2:3], s5, v20
	s_mov_b64 s[20:21], 0
                                        ; implicit-def: $sgpr31
	s_and_saveexec_b64 s[22:23], s[2:3]
	s_xor_b64 s[22:23], exec, s[22:23]
	s_cbranch_execnz .LBB298_1863
; %bb.1334:                             ;   in Loop: Header=BB298_1074 Depth=1
	s_or_saveexec_b64 s[22:23], s[22:23]
	v_mov_b32_e32 v16, s31
	s_xor_b64 exec, exec, s[22:23]
	s_cbranch_execnz .LBB298_1866
.LBB298_1335:                           ;   in Loop: Header=BB298_1074 Depth=1
	s_or_b64 exec, exec, s[22:23]
	s_and_saveexec_b64 s[22:23], s[20:21]
	s_cbranch_execz .LBB298_1337
.LBB298_1336:                           ;   in Loop: Header=BB298_1074 Depth=1
	v_and_b32_e32 v18, 7, v20
	v_ffbh_u32_e32 v16, v18
	v_min_u32_e32 v26, 32, v16
	v_subrev_u32_e32 v16, 28, v26
	v_bfe_u32 v23, v20, 3, 4
	v_lshlrev_b64 v[16:17], v16, v[20:21]
	v_sub_u32_e32 v17, 29, v26
	v_cmp_eq_u32_e64 s[2:3], 0, v23
	v_and_b32_e32 v16, 7, v16
	s_nop 0
	v_cndmask_b32_e64 v17, v23, v17, s[2:3]
	v_cndmask_b32_e64 v16, v18, v16, s[2:3]
	v_lshlrev_b32_e32 v18, 8, v20
	v_lshl_add_u32 v17, v17, 10, v19
	v_and_or_b32 v17, v18, s26, v17
	v_lshl_or_b32 v16, v16, 7, v17
	v_cvt_f32_f16_e32 v16, v16
.LBB298_1337:                           ;   in Loop: Header=BB298_1074 Depth=1
	s_or_b64 exec, exec, s[22:23]
	v_lshrrev_b32_e32 v20, 16, v59
	v_cmp_gt_i16_sdwa s[20:21], v20, s5 src0_sel:BYTE_0 src1_sel:DWORD
	s_mov_b64 s[2:3], 0
                                        ; implicit-def: $sgpr24
	s_and_saveexec_b64 s[22:23], s[20:21]
	s_xor_b64 s[20:21], exec, s[22:23]
	s_cbranch_execnz .LBB298_1867
; %bb.1338:                             ;   in Loop: Header=BB298_1074 Depth=1
	s_or_saveexec_b64 s[20:21], s[20:21]
	v_mov_b32_e32 v17, s24
	s_xor_b64 exec, exec, s[20:21]
	s_cbranch_execnz .LBB298_1870
.LBB298_1339:                           ;   in Loop: Header=BB298_1074 Depth=1
	s_or_b64 exec, exec, s[20:21]
	s_and_saveexec_b64 s[20:21], s[2:3]
	s_cbranch_execz .LBB298_1341
.LBB298_1340:                           ;   in Loop: Header=BB298_1074 Depth=1
	v_bfe_u32 v17, v59, 16, 3
	v_ffbh_u32_e32 v23, v17
	v_bfe_u32 v18, v59, 19, 4
	v_min_u32_e32 v23, 32, v23
	v_subrev_u32_e32 v26, 28, v23
	v_sub_u32_e32 v23, 29, v23
	v_cmp_eq_u32_e64 s[2:3], 0, v18
	v_lshlrev_b64 v[26:27], v26, v[20:21]
	v_and_b32_e32 v26, 7, v26
	v_cndmask_b32_e64 v18, v18, v23, s[2:3]
	v_lshlrev_b32_e32 v20, 8, v20
	v_lshl_add_u32 v18, v18, 10, v19
	v_cndmask_b32_e64 v17, v17, v26, s[2:3]
	v_and_or_b32 v18, v20, s26, v18
	v_lshl_or_b32 v17, v17, 7, v18
	v_cvt_f32_f16_e32 v17, v17
.LBB298_1341:                           ;   in Loop: Header=BB298_1074 Depth=1
	s_or_b64 exec, exec, s[20:21]
	v_lshrrev_b32_e32 v20, 24, v59
	v_cmp_lt_i16_e64 s[2:3], s5, v20
	s_mov_b64 s[20:21], 0
                                        ; implicit-def: $sgpr31
	s_and_saveexec_b64 s[22:23], s[2:3]
	s_xor_b64 s[22:23], exec, s[22:23]
	s_cbranch_execnz .LBB298_1871
; %bb.1342:                             ;   in Loop: Header=BB298_1074 Depth=1
	s_or_saveexec_b64 s[22:23], s[22:23]
	v_mov_b32_e32 v23, s31
	s_xor_b64 exec, exec, s[22:23]
	s_cbranch_execnz .LBB298_1874
.LBB298_1343:                           ;   in Loop: Header=BB298_1074 Depth=1
	s_or_b64 exec, exec, s[22:23]
	s_and_saveexec_b64 s[22:23], s[20:21]
	s_cbranch_execz .LBB298_1345
.LBB298_1344:                           ;   in Loop: Header=BB298_1074 Depth=1
	v_bfe_u32 v18, v59, 24, 3
	v_ffbh_u32_e32 v26, v18
	v_min_u32_e32 v28, 32, v26
	v_subrev_u32_e32 v26, 28, v28
	v_bfe_u32 v23, v59, 27, 4
	v_lshlrev_b64 v[26:27], v26, v[20:21]
	v_sub_u32_e32 v27, 29, v28
	v_cmp_eq_u32_e64 s[2:3], 0, v23
	v_and_b32_e32 v26, 7, v26
	v_lshlrev_b32_e32 v20, 8, v20
	v_cndmask_b32_e64 v23, v23, v27, s[2:3]
	v_lshl_add_u32 v23, v23, 10, v19
	v_cndmask_b32_e64 v18, v18, v26, s[2:3]
	v_and_or_b32 v20, v20, s26, v23
	v_lshl_or_b32 v18, v18, 7, v20
	v_cvt_f32_f16_e32 v23, v18
.LBB298_1345:                           ;   in Loop: Header=BB298_1074 Depth=1
	s_or_b64 exec, exec, s[22:23]
	s_waitcnt vmcnt(0) lgkmcnt(0)
	v_pk_mul_f32 v[4:5], v[56:57], v[4:5] op_sel_hi:[0,1]
	v_pk_mul_f32 v[26:27], v[56:57], v[46:47] op_sel_hi:[0,1]
	v_cvt_f16_f32_e32 v5, v5
	v_cvt_f16_f32_e32 v4, v4
	;; [unrolled: 1-line block ×4, first 2 shown]
	v_fma_mixlo_f16 v6, v56, v6, 0
	v_pack_b32_f16 v5, v4, v5
	v_pack_b32_f16 v18, v20, v18
	v_perm_b32 v4, v18, v5, s28
	v_perm_b32 v18, v18, v5, s29
	v_fma_mixlo_f16 v5, v56, v16, 0
	v_lshlrev_b32_e32 v5, 16, v5
	v_or_b32_sdwa v5, v5, v6 dst_sel:DWORD dst_unused:UNUSED_PAD src0_sel:DWORD src1_sel:WORD_0
	v_fma_mixlo_f16 v6, v56, v23, 0
	v_fma_mixlo_f16 v16, v56, v17, 0
	v_lshlrev_b32_e32 v6, 16, v6
	v_or_b32_sdwa v6, v6, v16 dst_sel:DWORD dst_unused:UNUSED_PAD src0_sel:DWORD src1_sel:WORD_0
	s_and_saveexec_b64 s[20:21], vcc
	s_cbranch_execz .LBB298_1347
; %bb.1346:                             ;   in Loop: Header=BB298_1074 Depth=1
	scratch_load_dwordx2 v[26:27], off, s32 offset:204 ; 8-byte Folded Reload
	v_lshrrev_b32_e32 v17, 16, v18
	v_cmp_lt_i32_e64 s[2:3], v41, v7
	v_lshrrev_b32_e32 v6, 16, v6
	s_waitcnt vmcnt(0)
	v_mov_b32_e32 v20, v26
	v_cndmask_b32_e64 v17, 0, v17, s[2:3]
	v_cmp_lt_i32_e64 s[2:3], v38, v20
	s_nop 1
	v_cndmask_b32_e64 v18, 0, v18, s[2:3]
	v_perm_b32 v18, v17, v18, s30
	v_lshrrev_b32_e32 v17, 16, v4
	v_cmp_lt_i32_e64 s[2:3], v40, v7
	s_nop 1
	v_cndmask_b32_e64 v17, 0, v17, s[2:3]
	v_cmp_lt_i32_e64 s[2:3], v55, v20
	s_nop 1
	v_cndmask_b32_e64 v4, 0, v4, s[2:3]
	v_perm_b32 v4, v17, v4, s30
	v_lshrrev_b32_e32 v17, 16, v5
	v_cmp_lt_i32_e64 s[2:3], v52, v7
	s_nop 1
	v_cndmask_b32_e64 v17, 0, v17, s[2:3]
	v_cmp_lt_i32_e64 s[2:3], v50, v20
	s_nop 1
	v_cndmask_b32_e64 v5, 0, v5, s[2:3]
	v_cmp_lt_i32_e64 s[2:3], v62, v7
	v_perm_b32 v5, v17, v5, s30
	s_nop 0
	v_cndmask_b32_e64 v6, 0, v6, s[2:3]
	v_cmp_lt_i32_e64 s[2:3], v22, v20
	s_nop 1
	v_cndmask_b32_e64 v16, 0, v16, s[2:3]
	v_perm_b32 v6, v6, v16, s30
.LBB298_1347:                           ;   in Loop: Header=BB298_1074 Depth=1
	s_or_b64 exec, exec, s[20:21]
	;;#ASMSTART
	v_pk_mul_f16 v16, v54, v18;

	;;#ASMEND
	;;#ASMSTART
	v_pk_mul_f16 v4, v53, v4;

	;;#ASMEND
	;; [unrolled: 4-line block ×4, first 2 shown]
	s_mov_b64 s[2:3], 0
	;;#ASMSTART
	v_pk_add_f16 v4, v16, v4;

	;;#ASMEND
                                        ; implicit-def: $sgpr24
	s_nop 0
	;;#ASMSTART
	v_pk_add_f16 v4, v4, v5;

	;;#ASMEND
	s_nop 0
	;;#ASMSTART
	v_pk_add_f16 v4, v4, v6;

	;;#ASMEND
	s_nop 0
	v_lshrrev_b32_e32 v5, 16, v4
	v_and_b32_e32 v4, 0xffff, v4
	;;#ASMSTART
	v_cvt_f32_f16 v4, v4;
	;;#ASMEND
	;;#ASMSTART
	v_cvt_f32_f16 v43, v5;
	;;#ASMEND
	s_nop 0
	v_accvgpr_write_b32 a56, v4
	v_accvgpr_read_b32 v4, a30
	v_accvgpr_read_b32 v5, a31
	v_lshl_add_u64 v[4:5], v[32:33], 0, v[4:5]
	flat_load_dwordx2 v[58:59], v[4:5]
	s_nop 0
	scratch_load_dwordx2 v[4:5], off, s32 offset:196 ; 8-byte Folded Reload
	s_waitcnt vmcnt(0) lgkmcnt(0)
	v_cmp_gt_i16_sdwa s[20:21], v58, s5 src0_sel:BYTE_0 src1_sel:DWORD
	flat_load_dword v56, v[4:5]
	s_and_saveexec_b64 s[22:23], s[20:21]
	s_xor_b64 s[20:21], exec, s[22:23]
	s_cbranch_execnz .LBB298_1875
; %bb.1348:                             ;   in Loop: Header=BB298_1074 Depth=1
	s_or_saveexec_b64 s[20:21], s[20:21]
	v_mov_b32_e32 v46, s24
	s_xor_b64 exec, exec, s[20:21]
	s_cbranch_execnz .LBB298_1878
.LBB298_1349:                           ;   in Loop: Header=BB298_1074 Depth=1
	s_or_b64 exec, exec, s[20:21]
	s_and_saveexec_b64 s[20:21], s[2:3]
	s_cbranch_execz .LBB298_1351
.LBB298_1350:                           ;   in Loop: Header=BB298_1074 Depth=1
	v_and_b32_e32 v4, 7, v58
	v_ffbh_u32_e32 v4, v4
	v_bfe_u32 v5, v58, 3, 4
	v_min_u32_e32 v4, 32, v4
	v_subrev_u32_e32 v6, 28, v4
	v_sub_u32_e32 v4, 29, v4
	v_cmp_eq_u32_e64 s[2:3], 0, v5
	s_nop 1
	v_cndmask_b32_e64 v16, v5, v4, s[2:3]
	v_cndmask_b32_e64 v4, 0, v6, s[2:3]
	v_lshlrev_b64 v[4:5], v4, v[58:59]
	v_lshlrev_b32_e32 v5, 8, v58
	v_lshl_add_u32 v6, v16, 10, v19
	v_lshlrev_b32_e32 v4, 7, v4
	v_and_or_b32 v5, v5, s26, v6
	v_and_or_b32 v4, v4, s27, v5
	v_cvt_f32_f16_e32 v46, v4
.LBB298_1351:                           ;   in Loop: Header=BB298_1074 Depth=1
	s_or_b64 exec, exec, s[20:21]
	v_lshrrev_b16_e32 v20, 8, v58
	v_cmp_lt_i16_e64 s[2:3], s5, v20
	s_mov_b64 s[20:21], 0
                                        ; implicit-def: $sgpr31
	s_and_saveexec_b64 s[22:23], s[2:3]
	s_xor_b64 s[22:23], exec, s[22:23]
	s_cbranch_execnz .LBB298_1879
; %bb.1352:                             ;   in Loop: Header=BB298_1074 Depth=1
	s_or_saveexec_b64 s[22:23], s[22:23]
	v_mov_b32_e32 v4, s31
	s_xor_b64 exec, exec, s[22:23]
	s_cbranch_execnz .LBB298_1882
.LBB298_1353:                           ;   in Loop: Header=BB298_1074 Depth=1
	s_or_b64 exec, exec, s[22:23]
	s_and_saveexec_b64 s[22:23], s[20:21]
	s_cbranch_execz .LBB298_1355
.LBB298_1354:                           ;   in Loop: Header=BB298_1074 Depth=1
	v_and_b32_e32 v6, 7, v20
	v_ffbh_u32_e32 v4, v6
	v_min_u32_e32 v17, 32, v4
	v_subrev_u32_e32 v4, 28, v17
	v_bfe_u32 v16, v20, 3, 4
	v_lshlrev_b64 v[4:5], v4, v[20:21]
	v_sub_u32_e32 v5, 29, v17
	v_cmp_eq_u32_e64 s[2:3], 0, v16
	v_and_b32_e32 v4, 7, v4
	s_nop 0
	v_cndmask_b32_e64 v5, v16, v5, s[2:3]
	v_cndmask_b32_e64 v4, v6, v4, s[2:3]
	v_lshlrev_b32_e32 v6, 8, v20
	v_lshl_add_u32 v5, v5, 10, v19
	v_and_or_b32 v5, v6, s26, v5
	v_lshl_or_b32 v4, v4, 7, v5
	v_cvt_f32_f16_e32 v4, v4
.LBB298_1355:                           ;   in Loop: Header=BB298_1074 Depth=1
	s_or_b64 exec, exec, s[22:23]
	v_lshrrev_b32_e32 v20, 16, v58
	v_cmp_gt_i16_sdwa s[20:21], v20, s5 src0_sel:BYTE_0 src1_sel:DWORD
	s_mov_b64 s[2:3], 0
                                        ; implicit-def: $sgpr24
	s_and_saveexec_b64 s[22:23], s[20:21]
	s_xor_b64 s[20:21], exec, s[22:23]
	s_cbranch_execnz .LBB298_1883
; %bb.1356:                             ;   in Loop: Header=BB298_1074 Depth=1
	s_or_saveexec_b64 s[20:21], s[20:21]
	v_mov_b32_e32 v47, s24
	s_xor_b64 exec, exec, s[20:21]
	s_cbranch_execnz .LBB298_1886
.LBB298_1357:                           ;   in Loop: Header=BB298_1074 Depth=1
	s_or_b64 exec, exec, s[20:21]
	s_and_saveexec_b64 s[20:21], s[2:3]
	s_cbranch_execz .LBB298_1359
.LBB298_1358:                           ;   in Loop: Header=BB298_1074 Depth=1
	v_bfe_u32 v5, v58, 16, 3
	v_ffbh_u32_e32 v16, v5
	v_min_u32_e32 v18, 32, v16
	v_subrev_u32_e32 v16, 28, v18
	v_bfe_u32 v6, v58, 19, 4
	v_lshlrev_b64 v[16:17], v16, v[20:21]
	v_sub_u32_e32 v17, 29, v18
	v_cmp_eq_u32_e64 s[2:3], 0, v6
	v_and_b32_e32 v16, 7, v16
	s_nop 0
	v_cndmask_b32_e64 v6, v6, v17, s[2:3]
	v_cndmask_b32_e64 v5, v5, v16, s[2:3]
	v_lshlrev_b32_e32 v16, 8, v20
	v_lshl_add_u32 v6, v6, 10, v19
	v_and_or_b32 v6, v16, s26, v6
	v_lshl_or_b32 v5, v5, 7, v6
	v_cvt_f32_f16_e32 v47, v5
.LBB298_1359:                           ;   in Loop: Header=BB298_1074 Depth=1
	s_or_b64 exec, exec, s[20:21]
	v_lshrrev_b32_e32 v20, 24, v58
	v_cmp_lt_i16_e64 s[2:3], s5, v20
	s_mov_b64 s[20:21], 0
                                        ; implicit-def: $sgpr31
	s_and_saveexec_b64 s[22:23], s[2:3]
	s_xor_b64 s[22:23], exec, s[22:23]
	s_cbranch_execnz .LBB298_1887
; %bb.1360:                             ;   in Loop: Header=BB298_1074 Depth=1
	s_or_saveexec_b64 s[22:23], s[22:23]
	v_mov_b32_e32 v5, s31
	s_xor_b64 exec, exec, s[22:23]
	s_cbranch_execnz .LBB298_1890
.LBB298_1361:                           ;   in Loop: Header=BB298_1074 Depth=1
	s_or_b64 exec, exec, s[22:23]
	s_and_saveexec_b64 s[22:23], s[20:21]
	s_cbranch_execz .LBB298_1363
.LBB298_1362:                           ;   in Loop: Header=BB298_1074 Depth=1
	v_bfe_u32 v5, v58, 24, 3
	v_ffbh_u32_e32 v16, v5
	v_min_u32_e32 v18, 32, v16
	v_subrev_u32_e32 v16, 28, v18
	v_bfe_u32 v6, v58, 27, 4
	v_lshlrev_b64 v[16:17], v16, v[20:21]
	v_sub_u32_e32 v17, 29, v18
	v_cmp_eq_u32_e64 s[2:3], 0, v6
	v_and_b32_e32 v16, 7, v16
	s_nop 0
	v_cndmask_b32_e64 v6, v6, v17, s[2:3]
	v_cndmask_b32_e64 v5, v5, v16, s[2:3]
	v_lshlrev_b32_e32 v16, 8, v20
	v_lshl_add_u32 v6, v6, 10, v19
	v_and_or_b32 v6, v16, s26, v6
	v_lshl_or_b32 v5, v5, 7, v6
	v_cvt_f32_f16_e32 v5, v5
.LBB298_1363:                           ;   in Loop: Header=BB298_1074 Depth=1
	s_or_b64 exec, exec, s[22:23]
	v_cmp_gt_i16_sdwa s[20:21], v59, s5 src0_sel:BYTE_0 src1_sel:DWORD
	s_mov_b64 s[2:3], 0
                                        ; implicit-def: $sgpr24
	s_and_saveexec_b64 s[22:23], s[20:21]
	s_xor_b64 s[20:21], exec, s[22:23]
	s_cbranch_execnz .LBB298_1891
; %bb.1364:                             ;   in Loop: Header=BB298_1074 Depth=1
	s_or_saveexec_b64 s[20:21], s[20:21]
	v_mov_b32_e32 v6, s24
	s_xor_b64 exec, exec, s[20:21]
	s_cbranch_execnz .LBB298_1894
.LBB298_1365:                           ;   in Loop: Header=BB298_1074 Depth=1
	s_or_b64 exec, exec, s[20:21]
	v_mov_b32_e32 v20, v59
	s_and_saveexec_b64 s[20:21], s[2:3]
	s_cbranch_execz .LBB298_1367
.LBB298_1366:                           ;   in Loop: Header=BB298_1074 Depth=1
	v_and_b32_e32 v6, 7, v59
	v_ffbh_u32_e32 v6, v6
	v_bfe_u32 v16, v59, 3, 4
	v_min_u32_e32 v6, 32, v6
	v_subrev_u32_e32 v17, 28, v6
	v_sub_u32_e32 v6, 29, v6
	v_cmp_eq_u32_e64 s[2:3], 0, v16
	s_nop 1
	v_cndmask_b32_e64 v6, v16, v6, s[2:3]
	v_cndmask_b32_e64 v16, 0, v17, s[2:3]
	v_lshlrev_b64 v[16:17], v16, v[20:21]
	v_lshlrev_b32_e32 v17, 8, v59
	v_lshl_add_u32 v6, v6, 10, v19
	v_lshlrev_b32_e32 v16, 7, v16
	v_and_or_b32 v6, v17, s26, v6
	v_and_or_b32 v6, v16, s27, v6
	v_cvt_f32_f16_e32 v6, v6
.LBB298_1367:                           ;   in Loop: Header=BB298_1074 Depth=1
	s_or_b64 exec, exec, s[20:21]
	v_lshrrev_b16_e32 v20, 8, v20
	v_cmp_lt_i16_e64 s[2:3], s5, v20
	s_mov_b64 s[20:21], 0
                                        ; implicit-def: $sgpr31
	s_and_saveexec_b64 s[22:23], s[2:3]
	s_xor_b64 s[22:23], exec, s[22:23]
	s_cbranch_execnz .LBB298_1895
; %bb.1368:                             ;   in Loop: Header=BB298_1074 Depth=1
	s_or_saveexec_b64 s[22:23], s[22:23]
	v_mov_b32_e32 v16, s31
	s_xor_b64 exec, exec, s[22:23]
	s_cbranch_execnz .LBB298_1898
.LBB298_1369:                           ;   in Loop: Header=BB298_1074 Depth=1
	s_or_b64 exec, exec, s[22:23]
	s_and_saveexec_b64 s[22:23], s[20:21]
	s_cbranch_execz .LBB298_1371
.LBB298_1370:                           ;   in Loop: Header=BB298_1074 Depth=1
	v_and_b32_e32 v18, 7, v20
	v_ffbh_u32_e32 v16, v18
	v_min_u32_e32 v26, 32, v16
	v_subrev_u32_e32 v16, 28, v26
	v_bfe_u32 v23, v20, 3, 4
	v_lshlrev_b64 v[16:17], v16, v[20:21]
	v_sub_u32_e32 v17, 29, v26
	v_cmp_eq_u32_e64 s[2:3], 0, v23
	v_and_b32_e32 v16, 7, v16
	s_nop 0
	v_cndmask_b32_e64 v17, v23, v17, s[2:3]
	v_cndmask_b32_e64 v16, v18, v16, s[2:3]
	v_lshlrev_b32_e32 v18, 8, v20
	v_lshl_add_u32 v17, v17, 10, v19
	v_and_or_b32 v17, v18, s26, v17
	v_lshl_or_b32 v16, v16, 7, v17
	v_cvt_f32_f16_e32 v16, v16
.LBB298_1371:                           ;   in Loop: Header=BB298_1074 Depth=1
	s_or_b64 exec, exec, s[22:23]
	v_lshrrev_b32_e32 v20, 16, v59
	v_cmp_gt_i16_sdwa s[20:21], v20, s5 src0_sel:BYTE_0 src1_sel:DWORD
	s_mov_b64 s[2:3], 0
                                        ; implicit-def: $sgpr24
	s_and_saveexec_b64 s[22:23], s[20:21]
	s_xor_b64 s[20:21], exec, s[22:23]
	s_cbranch_execnz .LBB298_1899
; %bb.1372:                             ;   in Loop: Header=BB298_1074 Depth=1
	s_or_saveexec_b64 s[20:21], s[20:21]
	v_mov_b32_e32 v17, s24
	s_xor_b64 exec, exec, s[20:21]
	s_cbranch_execnz .LBB298_1902
.LBB298_1373:                           ;   in Loop: Header=BB298_1074 Depth=1
	s_or_b64 exec, exec, s[20:21]
	s_and_saveexec_b64 s[20:21], s[2:3]
	s_cbranch_execz .LBB298_1375
.LBB298_1374:                           ;   in Loop: Header=BB298_1074 Depth=1
	v_bfe_u32 v17, v59, 16, 3
	v_ffbh_u32_e32 v23, v17
	v_bfe_u32 v18, v59, 19, 4
	v_min_u32_e32 v23, 32, v23
	v_subrev_u32_e32 v26, 28, v23
	v_sub_u32_e32 v23, 29, v23
	v_cmp_eq_u32_e64 s[2:3], 0, v18
	v_lshlrev_b64 v[26:27], v26, v[20:21]
	v_and_b32_e32 v26, 7, v26
	v_cndmask_b32_e64 v18, v18, v23, s[2:3]
	v_lshlrev_b32_e32 v20, 8, v20
	v_lshl_add_u32 v18, v18, 10, v19
	v_cndmask_b32_e64 v17, v17, v26, s[2:3]
	v_and_or_b32 v18, v20, s26, v18
	v_lshl_or_b32 v17, v17, 7, v18
	v_cvt_f32_f16_e32 v17, v17
.LBB298_1375:                           ;   in Loop: Header=BB298_1074 Depth=1
	s_or_b64 exec, exec, s[20:21]
	v_lshrrev_b32_e32 v20, 24, v59
	v_cmp_lt_i16_e64 s[2:3], s5, v20
	s_mov_b64 s[20:21], 0
                                        ; implicit-def: $sgpr31
	s_and_saveexec_b64 s[22:23], s[2:3]
	s_xor_b64 s[22:23], exec, s[22:23]
	s_cbranch_execnz .LBB298_1903
; %bb.1376:                             ;   in Loop: Header=BB298_1074 Depth=1
	s_or_saveexec_b64 s[22:23], s[22:23]
	v_mov_b32_e32 v23, s31
	s_xor_b64 exec, exec, s[22:23]
	s_cbranch_execnz .LBB298_1906
.LBB298_1377:                           ;   in Loop: Header=BB298_1074 Depth=1
	s_or_b64 exec, exec, s[22:23]
	s_and_saveexec_b64 s[22:23], s[20:21]
	s_cbranch_execz .LBB298_1379
.LBB298_1378:                           ;   in Loop: Header=BB298_1074 Depth=1
	v_bfe_u32 v18, v59, 24, 3
	v_ffbh_u32_e32 v26, v18
	v_min_u32_e32 v28, 32, v26
	v_subrev_u32_e32 v26, 28, v28
	v_bfe_u32 v23, v59, 27, 4
	v_lshlrev_b64 v[26:27], v26, v[20:21]
	v_sub_u32_e32 v27, 29, v28
	v_cmp_eq_u32_e64 s[2:3], 0, v23
	v_and_b32_e32 v26, 7, v26
	v_lshlrev_b32_e32 v20, 8, v20
	v_cndmask_b32_e64 v23, v23, v27, s[2:3]
	v_lshl_add_u32 v23, v23, 10, v19
	v_cndmask_b32_e64 v18, v18, v26, s[2:3]
	v_and_or_b32 v20, v20, s26, v23
	v_lshl_or_b32 v18, v18, 7, v20
	v_cvt_f32_f16_e32 v23, v18
.LBB298_1379:                           ;   in Loop: Header=BB298_1074 Depth=1
	s_or_b64 exec, exec, s[22:23]
	s_waitcnt vmcnt(0) lgkmcnt(0)
	v_pk_mul_f32 v[4:5], v[56:57], v[4:5] op_sel_hi:[0,1]
	v_pk_mul_f32 v[26:27], v[56:57], v[46:47] op_sel_hi:[0,1]
	v_cvt_f16_f32_e32 v5, v5
	v_cvt_f16_f32_e32 v4, v4
	v_cvt_f16_f32_e32 v18, v27
	v_cvt_f16_f32_e32 v20, v26
	v_fma_mixlo_f16 v6, v56, v6, 0
	v_pack_b32_f16 v5, v4, v5
	v_pack_b32_f16 v18, v20, v18
	v_perm_b32 v4, v18, v5, s28
	v_perm_b32 v18, v18, v5, s29
	v_fma_mixlo_f16 v5, v56, v16, 0
	v_lshlrev_b32_e32 v5, 16, v5
	v_or_b32_sdwa v5, v5, v6 dst_sel:DWORD dst_unused:UNUSED_PAD src0_sel:DWORD src1_sel:WORD_0
	v_fma_mixlo_f16 v6, v56, v23, 0
	v_fma_mixlo_f16 v16, v56, v17, 0
	v_lshlrev_b32_e32 v6, 16, v6
	v_or_b32_sdwa v6, v6, v16 dst_sel:DWORD dst_unused:UNUSED_PAD src0_sel:DWORD src1_sel:WORD_0
	s_and_saveexec_b64 s[20:21], vcc
	s_cbranch_execz .LBB298_1381
; %bb.1380:                             ;   in Loop: Header=BB298_1074 Depth=1
	scratch_load_dwordx2 v[26:27], off, s32 offset:204 ; 8-byte Folded Reload
	v_lshrrev_b32_e32 v17, 16, v18
	v_cmp_lt_i32_e64 s[2:3], v41, v7
	v_lshrrev_b32_e32 v6, 16, v6
	s_waitcnt vmcnt(0)
	v_mov_b32_e32 v20, v26
	v_cndmask_b32_e64 v17, 0, v17, s[2:3]
	v_cmp_lt_i32_e64 s[2:3], v38, v20
	s_nop 1
	v_cndmask_b32_e64 v18, 0, v18, s[2:3]
	v_perm_b32 v18, v17, v18, s30
	v_lshrrev_b32_e32 v17, 16, v4
	v_cmp_lt_i32_e64 s[2:3], v40, v7
	s_nop 1
	v_cndmask_b32_e64 v17, 0, v17, s[2:3]
	v_cmp_lt_i32_e64 s[2:3], v55, v20
	s_nop 1
	v_cndmask_b32_e64 v4, 0, v4, s[2:3]
	v_perm_b32 v4, v17, v4, s30
	v_lshrrev_b32_e32 v17, 16, v5
	v_cmp_lt_i32_e64 s[2:3], v52, v7
	s_nop 1
	v_cndmask_b32_e64 v17, 0, v17, s[2:3]
	v_cmp_lt_i32_e64 s[2:3], v50, v20
	s_nop 1
	v_cndmask_b32_e64 v5, 0, v5, s[2:3]
	v_cmp_lt_i32_e64 s[2:3], v62, v7
	v_perm_b32 v5, v17, v5, s30
	s_nop 0
	v_cndmask_b32_e64 v6, 0, v6, s[2:3]
	v_cmp_lt_i32_e64 s[2:3], v22, v20
	s_nop 1
	v_cndmask_b32_e64 v16, 0, v16, s[2:3]
	v_perm_b32 v6, v6, v16, s30
.LBB298_1381:                           ;   in Loop: Header=BB298_1074 Depth=1
	s_or_b64 exec, exec, s[20:21]
	;;#ASMSTART
	v_pk_mul_f16 v16, v54, v18;

	;;#ASMEND
	;;#ASMSTART
	v_pk_mul_f16 v4, v53, v4;

	;;#ASMEND
	;; [unrolled: 4-line block ×4, first 2 shown]
	s_mov_b64 s[2:3], 0
	;;#ASMSTART
	v_pk_add_f16 v4, v16, v4;

	;;#ASMEND
                                        ; implicit-def: $sgpr24
	s_nop 0
	;;#ASMSTART
	v_pk_add_f16 v4, v4, v5;

	;;#ASMEND
	s_nop 0
	;;#ASMSTART
	v_pk_add_f16 v4, v4, v6;

	;;#ASMEND
	s_nop 0
	v_lshrrev_b32_e32 v5, 16, v4
	v_and_b32_e32 v4, 0xffff, v4
	;;#ASMSTART
	v_cvt_f32_f16 v4, v4;
	;;#ASMEND
	;;#ASMSTART
	v_cvt_f32_f16 v17, v5;
	;;#ASMEND
	s_nop 0
	v_accvgpr_write_b32 a57, v4
	v_accvgpr_read_b32 v4, a32
	v_accvgpr_read_b32 v5, a33
	v_lshl_add_u64 v[4:5], v[32:33], 0, v[4:5]
	flat_load_dwordx2 v[58:59], v[4:5]
	s_nop 0
	scratch_load_dwordx2 v[4:5], off, s32 offset:196 ; 8-byte Folded Reload
	s_waitcnt vmcnt(0) lgkmcnt(0)
	v_cmp_gt_i16_sdwa s[20:21], v58, s5 src0_sel:BYTE_0 src1_sel:DWORD
	flat_load_dword v56, v[4:5]
	s_and_saveexec_b64 s[22:23], s[20:21]
	s_xor_b64 s[20:21], exec, s[22:23]
	s_cbranch_execnz .LBB298_1907
; %bb.1382:                             ;   in Loop: Header=BB298_1074 Depth=1
	s_or_saveexec_b64 s[20:21], s[20:21]
	v_mov_b32_e32 v46, s24
	s_xor_b64 exec, exec, s[20:21]
	s_cbranch_execnz .LBB298_1910
.LBB298_1383:                           ;   in Loop: Header=BB298_1074 Depth=1
	s_or_b64 exec, exec, s[20:21]
	s_and_saveexec_b64 s[20:21], s[2:3]
	s_cbranch_execz .LBB298_1385
.LBB298_1384:                           ;   in Loop: Header=BB298_1074 Depth=1
	v_and_b32_e32 v4, 7, v58
	v_ffbh_u32_e32 v4, v4
	v_bfe_u32 v5, v58, 3, 4
	v_min_u32_e32 v4, 32, v4
	v_subrev_u32_e32 v6, 28, v4
	v_sub_u32_e32 v4, 29, v4
	v_cmp_eq_u32_e64 s[2:3], 0, v5
	s_nop 1
	v_cndmask_b32_e64 v16, v5, v4, s[2:3]
	v_cndmask_b32_e64 v4, 0, v6, s[2:3]
	v_lshlrev_b64 v[4:5], v4, v[58:59]
	v_lshlrev_b32_e32 v5, 8, v58
	v_lshl_add_u32 v6, v16, 10, v19
	v_lshlrev_b32_e32 v4, 7, v4
	v_and_or_b32 v5, v5, s26, v6
	v_and_or_b32 v4, v4, s27, v5
	v_cvt_f32_f16_e32 v46, v4
.LBB298_1385:                           ;   in Loop: Header=BB298_1074 Depth=1
	s_or_b64 exec, exec, s[20:21]
	v_lshrrev_b16_e32 v20, 8, v58
	v_cmp_lt_i16_e64 s[2:3], s5, v20
	s_mov_b64 s[20:21], 0
                                        ; implicit-def: $sgpr31
	s_and_saveexec_b64 s[22:23], s[2:3]
	s_xor_b64 s[22:23], exec, s[22:23]
	s_cbranch_execnz .LBB298_1911
; %bb.1386:                             ;   in Loop: Header=BB298_1074 Depth=1
	s_or_saveexec_b64 s[22:23], s[22:23]
	v_mov_b32_e32 v4, s31
	s_xor_b64 exec, exec, s[22:23]
	s_cbranch_execnz .LBB298_1914
.LBB298_1387:                           ;   in Loop: Header=BB298_1074 Depth=1
	s_or_b64 exec, exec, s[22:23]
	s_and_saveexec_b64 s[22:23], s[20:21]
	s_cbranch_execz .LBB298_1389
.LBB298_1388:                           ;   in Loop: Header=BB298_1074 Depth=1
	v_and_b32_e32 v6, 7, v20
	v_ffbh_u32_e32 v4, v6
	v_min_u32_e32 v18, 32, v4
	v_subrev_u32_e32 v4, 28, v18
	v_bfe_u32 v16, v20, 3, 4
	v_lshlrev_b64 v[4:5], v4, v[20:21]
	v_sub_u32_e32 v5, 29, v18
	v_cmp_eq_u32_e64 s[2:3], 0, v16
	v_and_b32_e32 v4, 7, v4
	s_nop 0
	v_cndmask_b32_e64 v5, v16, v5, s[2:3]
	v_cndmask_b32_e64 v4, v6, v4, s[2:3]
	v_lshlrev_b32_e32 v6, 8, v20
	v_lshl_add_u32 v5, v5, 10, v19
	v_and_or_b32 v5, v6, s26, v5
	v_lshl_or_b32 v4, v4, 7, v5
	v_cvt_f32_f16_e32 v4, v4
.LBB298_1389:                           ;   in Loop: Header=BB298_1074 Depth=1
	s_or_b64 exec, exec, s[22:23]
	v_lshrrev_b32_e32 v20, 16, v58
	v_cmp_gt_i16_sdwa s[20:21], v20, s5 src0_sel:BYTE_0 src1_sel:DWORD
	s_mov_b64 s[2:3], 0
                                        ; implicit-def: $sgpr24
	s_and_saveexec_b64 s[22:23], s[20:21]
	s_xor_b64 s[20:21], exec, s[22:23]
	s_cbranch_execnz .LBB298_1915
; %bb.1390:                             ;   in Loop: Header=BB298_1074 Depth=1
	s_or_saveexec_b64 s[20:21], s[20:21]
	v_mov_b32_e32 v47, s24
	s_xor_b64 exec, exec, s[20:21]
	s_cbranch_execnz .LBB298_1918
.LBB298_1391:                           ;   in Loop: Header=BB298_1074 Depth=1
	s_or_b64 exec, exec, s[20:21]
	s_and_saveexec_b64 s[20:21], s[2:3]
	s_cbranch_execz .LBB298_1393
.LBB298_1392:                           ;   in Loop: Header=BB298_1074 Depth=1
	v_bfe_u32 v5, v58, 16, 3
	v_ffbh_u32_e32 v16, v5
	v_bfe_u32 v6, v58, 19, 4
	v_min_u32_e32 v16, 32, v16
	v_subrev_u32_e32 v18, 28, v16
	v_sub_u32_e32 v16, 29, v16
	v_cmp_eq_u32_e64 s[2:3], 0, v6
	v_lshlrev_b64 v[26:27], v18, v[20:21]
	v_and_b32_e32 v18, 7, v26
	v_cndmask_b32_e64 v6, v6, v16, s[2:3]
	v_lshlrev_b32_e32 v16, 8, v20
	v_lshl_add_u32 v6, v6, 10, v19
	v_cndmask_b32_e64 v5, v5, v18, s[2:3]
	v_and_or_b32 v6, v16, s26, v6
	v_lshl_or_b32 v5, v5, 7, v6
	v_cvt_f32_f16_e32 v47, v5
.LBB298_1393:                           ;   in Loop: Header=BB298_1074 Depth=1
	s_or_b64 exec, exec, s[20:21]
	v_lshrrev_b32_e32 v20, 24, v58
	v_cmp_lt_i16_e64 s[2:3], s5, v20
	s_mov_b64 s[20:21], 0
                                        ; implicit-def: $sgpr31
	s_and_saveexec_b64 s[22:23], s[2:3]
	s_xor_b64 s[22:23], exec, s[22:23]
	s_cbranch_execnz .LBB298_1919
; %bb.1394:                             ;   in Loop: Header=BB298_1074 Depth=1
	s_or_saveexec_b64 s[22:23], s[22:23]
	v_mov_b32_e32 v5, s31
	s_xor_b64 exec, exec, s[22:23]
	s_cbranch_execnz .LBB298_1922
.LBB298_1395:                           ;   in Loop: Header=BB298_1074 Depth=1
	s_or_b64 exec, exec, s[22:23]
	s_and_saveexec_b64 s[22:23], s[20:21]
	s_cbranch_execz .LBB298_1397
.LBB298_1396:                           ;   in Loop: Header=BB298_1074 Depth=1
	v_bfe_u32 v5, v58, 24, 3
	v_ffbh_u32_e32 v16, v5
	v_bfe_u32 v6, v58, 27, 4
	v_min_u32_e32 v16, 32, v16
	v_subrev_u32_e32 v18, 28, v16
	v_sub_u32_e32 v16, 29, v16
	v_cmp_eq_u32_e64 s[2:3], 0, v6
	v_lshlrev_b64 v[26:27], v18, v[20:21]
	v_and_b32_e32 v18, 7, v26
	v_cndmask_b32_e64 v6, v6, v16, s[2:3]
	v_lshlrev_b32_e32 v16, 8, v20
	v_lshl_add_u32 v6, v6, 10, v19
	v_cndmask_b32_e64 v5, v5, v18, s[2:3]
	v_and_or_b32 v6, v16, s26, v6
	v_lshl_or_b32 v5, v5, 7, v6
	v_cvt_f32_f16_e32 v5, v5
.LBB298_1397:                           ;   in Loop: Header=BB298_1074 Depth=1
	s_or_b64 exec, exec, s[22:23]
	v_cmp_gt_i16_sdwa s[20:21], v59, s5 src0_sel:BYTE_0 src1_sel:DWORD
	s_mov_b64 s[2:3], 0
                                        ; implicit-def: $sgpr24
	s_and_saveexec_b64 s[22:23], s[20:21]
	s_xor_b64 s[20:21], exec, s[22:23]
	s_cbranch_execnz .LBB298_1923
; %bb.1398:                             ;   in Loop: Header=BB298_1074 Depth=1
	s_or_saveexec_b64 s[20:21], s[20:21]
	v_mov_b32_e32 v6, s24
	s_xor_b64 exec, exec, s[20:21]
	s_cbranch_execnz .LBB298_1926
.LBB298_1399:                           ;   in Loop: Header=BB298_1074 Depth=1
	s_or_b64 exec, exec, s[20:21]
	v_mov_b32_e32 v20, v59
	s_and_saveexec_b64 s[20:21], s[2:3]
	s_cbranch_execz .LBB298_1401
.LBB298_1400:                           ;   in Loop: Header=BB298_1074 Depth=1
	v_and_b32_e32 v6, 7, v59
	v_ffbh_u32_e32 v6, v6
	v_bfe_u32 v16, v59, 3, 4
	v_min_u32_e32 v6, 32, v6
	v_subrev_u32_e32 v18, 28, v6
	v_sub_u32_e32 v6, 29, v6
	v_cmp_eq_u32_e64 s[2:3], 0, v16
	s_nop 1
	v_cndmask_b32_e64 v6, v16, v6, s[2:3]
	v_cndmask_b32_e64 v16, 0, v18, s[2:3]
	v_lshlrev_b64 v[26:27], v16, v[20:21]
	v_lshlrev_b32_e32 v18, 8, v59
	v_lshl_add_u32 v6, v6, 10, v19
	v_lshlrev_b32_e32 v16, 7, v26
	v_and_or_b32 v6, v18, s26, v6
	v_and_or_b32 v6, v16, s27, v6
	v_cvt_f32_f16_e32 v6, v6
.LBB298_1401:                           ;   in Loop: Header=BB298_1074 Depth=1
	s_or_b64 exec, exec, s[20:21]
	v_lshrrev_b16_e32 v20, 8, v20
	v_cmp_lt_i16_e64 s[2:3], s5, v20
	s_mov_b64 s[20:21], 0
                                        ; implicit-def: $sgpr31
	s_and_saveexec_b64 s[22:23], s[2:3]
	s_xor_b64 s[22:23], exec, s[22:23]
	s_cbranch_execnz .LBB298_1927
; %bb.1402:                             ;   in Loop: Header=BB298_1074 Depth=1
	s_or_saveexec_b64 s[22:23], s[22:23]
	v_mov_b32_e32 v16, s31
	s_xor_b64 exec, exec, s[22:23]
	s_cbranch_execnz .LBB298_1930
.LBB298_1403:                           ;   in Loop: Header=BB298_1074 Depth=1
	s_or_b64 exec, exec, s[22:23]
	s_and_saveexec_b64 s[22:23], s[20:21]
	s_cbranch_execz .LBB298_1405
.LBB298_1404:                           ;   in Loop: Header=BB298_1074 Depth=1
	v_and_b32_e32 v16, 7, v20
	v_ffbh_u32_e32 v23, v16
	v_bfe_u32 v18, v20, 3, 4
	v_min_u32_e32 v23, 32, v23
	v_subrev_u32_e32 v26, 28, v23
	v_sub_u32_e32 v23, 29, v23
	v_cmp_eq_u32_e64 s[2:3], 0, v18
	v_lshlrev_b64 v[26:27], v26, v[20:21]
	v_and_b32_e32 v26, 7, v26
	v_cndmask_b32_e64 v18, v18, v23, s[2:3]
	v_lshlrev_b32_e32 v20, 8, v20
	v_lshl_add_u32 v18, v18, 10, v19
	v_cndmask_b32_e64 v16, v16, v26, s[2:3]
	v_and_or_b32 v18, v20, s26, v18
	v_lshl_or_b32 v16, v16, 7, v18
	v_cvt_f32_f16_e32 v16, v16
.LBB298_1405:                           ;   in Loop: Header=BB298_1074 Depth=1
	s_or_b64 exec, exec, s[22:23]
	v_lshrrev_b32_e32 v20, 16, v59
	v_cmp_gt_i16_sdwa s[20:21], v20, s5 src0_sel:BYTE_0 src1_sel:DWORD
	s_mov_b64 s[2:3], 0
                                        ; implicit-def: $sgpr24
	s_and_saveexec_b64 s[22:23], s[20:21]
	s_xor_b64 s[20:21], exec, s[22:23]
	s_cbranch_execnz .LBB298_1931
; %bb.1406:                             ;   in Loop: Header=BB298_1074 Depth=1
	s_or_saveexec_b64 s[20:21], s[20:21]
	v_mov_b32_e32 v18, s24
	s_xor_b64 exec, exec, s[20:21]
	s_cbranch_execnz .LBB298_1934
.LBB298_1407:                           ;   in Loop: Header=BB298_1074 Depth=1
	s_or_b64 exec, exec, s[20:21]
	s_and_saveexec_b64 s[20:21], s[2:3]
	s_cbranch_execz .LBB298_1409
.LBB298_1408:                           ;   in Loop: Header=BB298_1074 Depth=1
	v_bfe_u32 v18, v59, 16, 3
	v_ffbh_u32_e32 v26, v18
	v_min_u32_e32 v28, 32, v26
	v_subrev_u32_e32 v26, 28, v28
	v_bfe_u32 v23, v59, 19, 4
	v_lshlrev_b64 v[26:27], v26, v[20:21]
	v_sub_u32_e32 v27, 29, v28
	v_cmp_eq_u32_e64 s[2:3], 0, v23
	v_and_b32_e32 v26, 7, v26
	v_lshlrev_b32_e32 v20, 8, v20
	v_cndmask_b32_e64 v23, v23, v27, s[2:3]
	v_lshl_add_u32 v23, v23, 10, v19
	v_cndmask_b32_e64 v18, v18, v26, s[2:3]
	v_and_or_b32 v20, v20, s26, v23
	v_lshl_or_b32 v18, v18, 7, v20
	v_cvt_f32_f16_e32 v18, v18
.LBB298_1409:                           ;   in Loop: Header=BB298_1074 Depth=1
	s_or_b64 exec, exec, s[20:21]
	v_lshrrev_b32_e32 v20, 24, v59
	v_cmp_lt_i16_e64 s[2:3], s5, v20
	s_mov_b64 s[20:21], 0
                                        ; implicit-def: $sgpr31
	s_and_saveexec_b64 s[22:23], s[2:3]
	s_xor_b64 s[22:23], exec, s[22:23]
	s_cbranch_execnz .LBB298_1935
; %bb.1410:                             ;   in Loop: Header=BB298_1074 Depth=1
	s_or_saveexec_b64 s[22:23], s[22:23]
	v_mov_b32_e32 v23, s31
	s_xor_b64 exec, exec, s[22:23]
	s_cbranch_execnz .LBB298_1938
.LBB298_1411:                           ;   in Loop: Header=BB298_1074 Depth=1
	s_or_b64 exec, exec, s[22:23]
	s_and_saveexec_b64 s[22:23], s[20:21]
	s_cbranch_execz .LBB298_1413
.LBB298_1412:                           ;   in Loop: Header=BB298_1074 Depth=1
	v_bfe_u32 v23, v59, 24, 3
	v_ffbh_u32_e32 v26, v23
	v_min_u32_e32 v29, 32, v26
	v_subrev_u32_e32 v26, 28, v29
	v_bfe_u32 v28, v59, 27, 4
	v_lshlrev_b64 v[26:27], v26, v[20:21]
	v_sub_u32_e32 v27, 29, v29
	v_cmp_eq_u32_e64 s[2:3], 0, v28
	v_and_b32_e32 v26, 7, v26
	v_lshlrev_b32_e32 v20, 8, v20
	v_cndmask_b32_e64 v27, v28, v27, s[2:3]
	v_cndmask_b32_e64 v23, v23, v26, s[2:3]
	v_lshl_add_u32 v26, v27, 10, v19
	v_and_or_b32 v20, v20, s26, v26
	v_lshl_or_b32 v20, v23, 7, v20
	v_cvt_f32_f16_e32 v23, v20
.LBB298_1413:                           ;   in Loop: Header=BB298_1074 Depth=1
	s_or_b64 exec, exec, s[22:23]
	s_waitcnt vmcnt(0) lgkmcnt(0)
	v_pk_mul_f32 v[4:5], v[56:57], v[4:5] op_sel_hi:[0,1]
	v_pk_mul_f32 v[26:27], v[56:57], v[46:47] op_sel_hi:[0,1]
	v_cvt_f16_f32_e32 v5, v5
	v_cvt_f16_f32_e32 v4, v4
	;; [unrolled: 1-line block ×4, first 2 shown]
	v_fma_mixlo_f16 v6, v56, v6, 0
	v_pack_b32_f16 v5, v4, v5
	v_pack_b32_f16 v20, v26, v20
	v_perm_b32 v4, v20, v5, s28
	v_perm_b32 v20, v20, v5, s29
	v_fma_mixlo_f16 v5, v56, v16, 0
	v_lshlrev_b32_e32 v5, 16, v5
	v_or_b32_sdwa v5, v5, v6 dst_sel:DWORD dst_unused:UNUSED_PAD src0_sel:DWORD src1_sel:WORD_0
	v_fma_mixlo_f16 v6, v56, v23, 0
	v_fma_mixlo_f16 v16, v56, v18, 0
	v_lshlrev_b32_e32 v6, 16, v6
	v_or_b32_sdwa v6, v6, v16 dst_sel:DWORD dst_unused:UNUSED_PAD src0_sel:DWORD src1_sel:WORD_0
	s_and_saveexec_b64 s[20:21], vcc
	s_cbranch_execz .LBB298_1415
; %bb.1414:                             ;   in Loop: Header=BB298_1074 Depth=1
	scratch_load_dwordx2 v[26:27], off, s32 offset:204 ; 8-byte Folded Reload
	v_lshrrev_b32_e32 v18, 16, v20
	v_cmp_lt_i32_e64 s[2:3], v41, v7
	v_lshrrev_b32_e32 v6, 16, v6
	s_nop 0
	v_cndmask_b32_e64 v18, 0, v18, s[2:3]
	s_waitcnt vmcnt(0)
	v_cmp_lt_i32_e64 s[2:3], v38, v26
	s_nop 1
	v_cndmask_b32_e64 v20, 0, v20, s[2:3]
	v_perm_b32 v20, v18, v20, s30
	v_lshrrev_b32_e32 v18, 16, v4
	v_cmp_lt_i32_e64 s[2:3], v40, v7
	s_nop 1
	v_cndmask_b32_e64 v18, 0, v18, s[2:3]
	v_cmp_lt_i32_e64 s[2:3], v55, v26
	s_nop 1
	v_cndmask_b32_e64 v4, 0, v4, s[2:3]
	v_perm_b32 v4, v18, v4, s30
	v_lshrrev_b32_e32 v18, 16, v5
	v_cmp_lt_i32_e64 s[2:3], v52, v7
	s_nop 1
	v_cndmask_b32_e64 v18, 0, v18, s[2:3]
	v_cmp_lt_i32_e64 s[2:3], v50, v26
	s_nop 1
	v_cndmask_b32_e64 v5, 0, v5, s[2:3]
	v_cmp_lt_i32_e64 s[2:3], v62, v7
	v_perm_b32 v5, v18, v5, s30
	s_nop 0
	v_cndmask_b32_e64 v6, 0, v6, s[2:3]
	v_cmp_lt_i32_e64 s[2:3], v22, v26
	s_nop 1
	v_cndmask_b32_e64 v16, 0, v16, s[2:3]
	v_perm_b32 v6, v6, v16, s30
.LBB298_1415:                           ;   in Loop: Header=BB298_1074 Depth=1
	s_or_b64 exec, exec, s[20:21]
	;;#ASMSTART
	v_pk_mul_f16 v16, v54, v20;

	;;#ASMEND
	;;#ASMSTART
	v_pk_mul_f16 v4, v53, v4;

	;;#ASMEND
	;; [unrolled: 4-line block ×4, first 2 shown]
	s_mov_b64 s[2:3], 0
	;;#ASMSTART
	v_pk_add_f16 v4, v16, v4;

	;;#ASMEND
                                        ; implicit-def: $sgpr24
	s_nop 0
	;;#ASMSTART
	v_pk_add_f16 v4, v4, v5;

	;;#ASMEND
	s_nop 0
	;;#ASMSTART
	v_pk_add_f16 v4, v4, v6;

	;;#ASMEND
	s_nop 0
	v_lshrrev_b32_e32 v5, 16, v4
	v_and_b32_e32 v4, 0xffff, v4
	;;#ASMSTART
	v_cvt_f32_f16 v28, v4;
	;;#ASMEND
	;;#ASMSTART
	v_cvt_f32_f16 v29, v5;
	;;#ASMEND
	v_accvgpr_read_b32 v4, a36
	v_accvgpr_read_b32 v5, a37
	v_lshl_add_u64 v[4:5], v[32:33], 0, v[4:5]
	flat_load_dwordx2 v[58:59], v[4:5]
	s_nop 0
	scratch_load_dwordx2 v[4:5], off, s32 offset:196 ; 8-byte Folded Reload
	s_waitcnt vmcnt(0) lgkmcnt(0)
	v_cmp_gt_i16_sdwa s[20:21], v58, s5 src0_sel:BYTE_0 src1_sel:DWORD
	flat_load_dword v56, v[4:5]
	s_and_saveexec_b64 s[22:23], s[20:21]
	s_xor_b64 s[20:21], exec, s[22:23]
	s_cbranch_execnz .LBB298_1939
; %bb.1416:                             ;   in Loop: Header=BB298_1074 Depth=1
	s_or_saveexec_b64 s[20:21], s[20:21]
	v_mov_b32_e32 v46, s24
	s_xor_b64 exec, exec, s[20:21]
	s_cbranch_execnz .LBB298_1942
.LBB298_1417:                           ;   in Loop: Header=BB298_1074 Depth=1
	s_or_b64 exec, exec, s[20:21]
	s_and_saveexec_b64 s[20:21], s[2:3]
	s_cbranch_execz .LBB298_1419
.LBB298_1418:                           ;   in Loop: Header=BB298_1074 Depth=1
	v_and_b32_e32 v4, 7, v58
	v_ffbh_u32_e32 v4, v4
	v_bfe_u32 v5, v58, 3, 4
	v_min_u32_e32 v4, 32, v4
	v_subrev_u32_e32 v6, 28, v4
	v_sub_u32_e32 v4, 29, v4
	v_cmp_eq_u32_e64 s[2:3], 0, v5
	s_nop 1
	v_cndmask_b32_e64 v16, v5, v4, s[2:3]
	v_cndmask_b32_e64 v4, 0, v6, s[2:3]
	v_lshlrev_b64 v[4:5], v4, v[58:59]
	v_lshlrev_b32_e32 v5, 8, v58
	v_lshl_add_u32 v6, v16, 10, v19
	v_lshlrev_b32_e32 v4, 7, v4
	v_and_or_b32 v5, v5, s26, v6
	v_and_or_b32 v4, v4, s27, v5
	v_cvt_f32_f16_e32 v46, v4
.LBB298_1419:                           ;   in Loop: Header=BB298_1074 Depth=1
	s_or_b64 exec, exec, s[20:21]
	v_lshrrev_b16_e32 v20, 8, v58
	v_cmp_lt_i16_e64 s[2:3], s5, v20
	s_mov_b64 s[20:21], 0
                                        ; implicit-def: $sgpr31
	s_and_saveexec_b64 s[22:23], s[2:3]
	s_xor_b64 s[22:23], exec, s[22:23]
	s_cbranch_execnz .LBB298_1943
; %bb.1420:                             ;   in Loop: Header=BB298_1074 Depth=1
	s_or_saveexec_b64 s[22:23], s[22:23]
	v_mov_b32_e32 v4, s31
	s_xor_b64 exec, exec, s[22:23]
	s_cbranch_execnz .LBB298_1946
.LBB298_1421:                           ;   in Loop: Header=BB298_1074 Depth=1
	s_or_b64 exec, exec, s[22:23]
	s_and_saveexec_b64 s[22:23], s[20:21]
	s_cbranch_execz .LBB298_1423
.LBB298_1422:                           ;   in Loop: Header=BB298_1074 Depth=1
	v_and_b32_e32 v6, 7, v20
	v_ffbh_u32_e32 v4, v6
	v_min_u32_e32 v18, 32, v4
	v_subrev_u32_e32 v4, 28, v18
	v_bfe_u32 v16, v20, 3, 4
	v_lshlrev_b64 v[4:5], v4, v[20:21]
	v_sub_u32_e32 v5, 29, v18
	v_cmp_eq_u32_e64 s[2:3], 0, v16
	v_and_b32_e32 v4, 7, v4
	s_nop 0
	v_cndmask_b32_e64 v5, v16, v5, s[2:3]
	v_cndmask_b32_e64 v4, v6, v4, s[2:3]
	v_lshlrev_b32_e32 v6, 8, v20
	v_lshl_add_u32 v5, v5, 10, v19
	v_and_or_b32 v5, v6, s26, v5
	v_lshl_or_b32 v4, v4, 7, v5
	v_cvt_f32_f16_e32 v4, v4
.LBB298_1423:                           ;   in Loop: Header=BB298_1074 Depth=1
	s_or_b64 exec, exec, s[22:23]
	v_lshrrev_b32_e32 v20, 16, v58
	v_cmp_gt_i16_sdwa s[20:21], v20, s5 src0_sel:BYTE_0 src1_sel:DWORD
	s_mov_b64 s[2:3], 0
                                        ; implicit-def: $sgpr24
	s_and_saveexec_b64 s[22:23], s[20:21]
	s_xor_b64 s[20:21], exec, s[22:23]
	s_cbranch_execnz .LBB298_1947
; %bb.1424:                             ;   in Loop: Header=BB298_1074 Depth=1
	s_or_saveexec_b64 s[20:21], s[20:21]
	v_mov_b32_e32 v47, s24
	s_xor_b64 exec, exec, s[20:21]
	s_cbranch_execnz .LBB298_1950
.LBB298_1425:                           ;   in Loop: Header=BB298_1074 Depth=1
	s_or_b64 exec, exec, s[20:21]
	s_and_saveexec_b64 s[20:21], s[2:3]
	s_cbranch_execz .LBB298_1427
.LBB298_1426:                           ;   in Loop: Header=BB298_1074 Depth=1
	v_bfe_u32 v5, v58, 16, 3
	v_ffbh_u32_e32 v16, v5
	v_bfe_u32 v6, v58, 19, 4
	v_min_u32_e32 v16, 32, v16
	v_subrev_u32_e32 v18, 28, v16
	v_sub_u32_e32 v16, 29, v16
	v_cmp_eq_u32_e64 s[2:3], 0, v6
	v_lshlrev_b64 v[26:27], v18, v[20:21]
	v_and_b32_e32 v18, 7, v26
	v_cndmask_b32_e64 v6, v6, v16, s[2:3]
	v_lshlrev_b32_e32 v16, 8, v20
	v_lshl_add_u32 v6, v6, 10, v19
	v_cndmask_b32_e64 v5, v5, v18, s[2:3]
	v_and_or_b32 v6, v16, s26, v6
	v_lshl_or_b32 v5, v5, 7, v6
	v_cvt_f32_f16_e32 v47, v5
.LBB298_1427:                           ;   in Loop: Header=BB298_1074 Depth=1
	s_or_b64 exec, exec, s[20:21]
	v_lshrrev_b32_e32 v20, 24, v58
	v_cmp_lt_i16_e64 s[2:3], s5, v20
	s_mov_b64 s[20:21], 0
                                        ; implicit-def: $sgpr31
	s_and_saveexec_b64 s[22:23], s[2:3]
	s_xor_b64 s[22:23], exec, s[22:23]
	s_cbranch_execnz .LBB298_1951
; %bb.1428:                             ;   in Loop: Header=BB298_1074 Depth=1
	s_or_saveexec_b64 s[22:23], s[22:23]
	v_mov_b32_e32 v5, s31
	s_xor_b64 exec, exec, s[22:23]
	s_cbranch_execnz .LBB298_1954
.LBB298_1429:                           ;   in Loop: Header=BB298_1074 Depth=1
	s_or_b64 exec, exec, s[22:23]
	s_and_saveexec_b64 s[22:23], s[20:21]
	s_cbranch_execz .LBB298_1431
.LBB298_1430:                           ;   in Loop: Header=BB298_1074 Depth=1
	v_bfe_u32 v5, v58, 24, 3
	v_ffbh_u32_e32 v16, v5
	v_bfe_u32 v6, v58, 27, 4
	v_min_u32_e32 v16, 32, v16
	v_subrev_u32_e32 v18, 28, v16
	v_sub_u32_e32 v16, 29, v16
	v_cmp_eq_u32_e64 s[2:3], 0, v6
	v_lshlrev_b64 v[26:27], v18, v[20:21]
	v_and_b32_e32 v18, 7, v26
	v_cndmask_b32_e64 v6, v6, v16, s[2:3]
	v_lshlrev_b32_e32 v16, 8, v20
	v_lshl_add_u32 v6, v6, 10, v19
	v_cndmask_b32_e64 v5, v5, v18, s[2:3]
	v_and_or_b32 v6, v16, s26, v6
	v_lshl_or_b32 v5, v5, 7, v6
	v_cvt_f32_f16_e32 v5, v5
.LBB298_1431:                           ;   in Loop: Header=BB298_1074 Depth=1
	s_or_b64 exec, exec, s[22:23]
	v_cmp_gt_i16_sdwa s[20:21], v59, s5 src0_sel:BYTE_0 src1_sel:DWORD
	s_mov_b64 s[2:3], 0
                                        ; implicit-def: $sgpr24
	s_and_saveexec_b64 s[22:23], s[20:21]
	s_xor_b64 s[20:21], exec, s[22:23]
	s_cbranch_execnz .LBB298_1955
; %bb.1432:                             ;   in Loop: Header=BB298_1074 Depth=1
	s_or_saveexec_b64 s[20:21], s[20:21]
	v_mov_b32_e32 v6, s24
	s_xor_b64 exec, exec, s[20:21]
	s_cbranch_execnz .LBB298_1958
.LBB298_1433:                           ;   in Loop: Header=BB298_1074 Depth=1
	s_or_b64 exec, exec, s[20:21]
	v_mov_b32_e32 v20, v59
	s_and_saveexec_b64 s[20:21], s[2:3]
	s_cbranch_execz .LBB298_1435
.LBB298_1434:                           ;   in Loop: Header=BB298_1074 Depth=1
	v_and_b32_e32 v6, 7, v59
	v_ffbh_u32_e32 v6, v6
	v_bfe_u32 v16, v59, 3, 4
	v_min_u32_e32 v6, 32, v6
	v_subrev_u32_e32 v18, 28, v6
	v_sub_u32_e32 v6, 29, v6
	v_cmp_eq_u32_e64 s[2:3], 0, v16
	s_nop 1
	v_cndmask_b32_e64 v6, v16, v6, s[2:3]
	v_cndmask_b32_e64 v16, 0, v18, s[2:3]
	v_lshlrev_b64 v[26:27], v16, v[20:21]
	v_lshlrev_b32_e32 v18, 8, v59
	v_lshl_add_u32 v6, v6, 10, v19
	v_lshlrev_b32_e32 v16, 7, v26
	v_and_or_b32 v6, v18, s26, v6
	v_and_or_b32 v6, v16, s27, v6
	v_cvt_f32_f16_e32 v6, v6
.LBB298_1435:                           ;   in Loop: Header=BB298_1074 Depth=1
	s_or_b64 exec, exec, s[20:21]
	v_lshrrev_b16_e32 v20, 8, v20
	v_cmp_lt_i16_e64 s[2:3], s5, v20
	s_mov_b64 s[20:21], 0
                                        ; implicit-def: $sgpr31
	s_and_saveexec_b64 s[22:23], s[2:3]
	s_xor_b64 s[22:23], exec, s[22:23]
	s_cbranch_execnz .LBB298_1959
; %bb.1436:                             ;   in Loop: Header=BB298_1074 Depth=1
	s_or_saveexec_b64 s[22:23], s[22:23]
	v_mov_b32_e32 v16, s31
	s_xor_b64 exec, exec, s[22:23]
	s_cbranch_execnz .LBB298_1962
.LBB298_1437:                           ;   in Loop: Header=BB298_1074 Depth=1
	s_or_b64 exec, exec, s[22:23]
	s_and_saveexec_b64 s[22:23], s[20:21]
	s_cbranch_execz .LBB298_1439
.LBB298_1438:                           ;   in Loop: Header=BB298_1074 Depth=1
	v_and_b32_e32 v16, 7, v20
	v_ffbh_u32_e32 v23, v16
	v_bfe_u32 v18, v20, 3, 4
	v_min_u32_e32 v23, 32, v23
	v_subrev_u32_e32 v26, 28, v23
	v_sub_u32_e32 v23, 29, v23
	v_cmp_eq_u32_e64 s[2:3], 0, v18
	v_lshlrev_b64 v[26:27], v26, v[20:21]
	v_and_b32_e32 v26, 7, v26
	v_cndmask_b32_e64 v18, v18, v23, s[2:3]
	v_lshlrev_b32_e32 v20, 8, v20
	v_lshl_add_u32 v18, v18, 10, v19
	v_cndmask_b32_e64 v16, v16, v26, s[2:3]
	v_and_or_b32 v18, v20, s26, v18
	v_lshl_or_b32 v16, v16, 7, v18
	v_cvt_f32_f16_e32 v16, v16
.LBB298_1439:                           ;   in Loop: Header=BB298_1074 Depth=1
	s_or_b64 exec, exec, s[22:23]
	v_lshrrev_b32_e32 v20, 16, v59
	v_cmp_gt_i16_sdwa s[20:21], v20, s5 src0_sel:BYTE_0 src1_sel:DWORD
	s_mov_b64 s[2:3], 0
                                        ; implicit-def: $sgpr24
	s_and_saveexec_b64 s[22:23], s[20:21]
	s_xor_b64 s[20:21], exec, s[22:23]
	s_cbranch_execnz .LBB298_1963
; %bb.1440:                             ;   in Loop: Header=BB298_1074 Depth=1
	s_or_saveexec_b64 s[20:21], s[20:21]
	v_mov_b32_e32 v18, s24
	s_xor_b64 exec, exec, s[20:21]
	s_cbranch_execnz .LBB298_1966
.LBB298_1441:                           ;   in Loop: Header=BB298_1074 Depth=1
	s_or_b64 exec, exec, s[20:21]
	s_and_saveexec_b64 s[20:21], s[2:3]
	s_cbranch_execz .LBB298_1443
.LBB298_1442:                           ;   in Loop: Header=BB298_1074 Depth=1
	v_bfe_u32 v18, v59, 16, 3
	v_ffbh_u32_e32 v26, v18
	v_min_u32_e32 v30, 32, v26
	v_subrev_u32_e32 v26, 28, v30
	v_bfe_u32 v23, v59, 19, 4
	v_lshlrev_b64 v[26:27], v26, v[20:21]
	v_sub_u32_e32 v27, 29, v30
	v_cmp_eq_u32_e64 s[2:3], 0, v23
	v_and_b32_e32 v26, 7, v26
	v_lshlrev_b32_e32 v20, 8, v20
	v_cndmask_b32_e64 v23, v23, v27, s[2:3]
	v_lshl_add_u32 v23, v23, 10, v19
	v_cndmask_b32_e64 v18, v18, v26, s[2:3]
	v_and_or_b32 v20, v20, s26, v23
	v_lshl_or_b32 v18, v18, 7, v20
	v_cvt_f32_f16_e32 v18, v18
.LBB298_1443:                           ;   in Loop: Header=BB298_1074 Depth=1
	s_or_b64 exec, exec, s[20:21]
	v_lshrrev_b32_e32 v20, 24, v59
	v_cmp_lt_i16_e64 s[2:3], s5, v20
	s_mov_b64 s[20:21], 0
                                        ; implicit-def: $sgpr31
	s_and_saveexec_b64 s[22:23], s[2:3]
	s_xor_b64 s[22:23], exec, s[22:23]
	s_cbranch_execnz .LBB298_1967
; %bb.1444:                             ;   in Loop: Header=BB298_1074 Depth=1
	s_or_saveexec_b64 s[22:23], s[22:23]
	v_mov_b32_e32 v23, s31
	s_xor_b64 exec, exec, s[22:23]
	s_cbranch_execnz .LBB298_1970
.LBB298_1445:                           ;   in Loop: Header=BB298_1074 Depth=1
	s_or_b64 exec, exec, s[22:23]
	s_and_saveexec_b64 s[22:23], s[20:21]
	s_cbranch_execz .LBB298_1447
.LBB298_1446:                           ;   in Loop: Header=BB298_1074 Depth=1
	v_bfe_u32 v23, v59, 24, 3
	v_ffbh_u32_e32 v26, v23
	v_min_u32_e32 v31, 32, v26
	v_subrev_u32_e32 v26, 28, v31
	v_bfe_u32 v30, v59, 27, 4
	v_lshlrev_b64 v[26:27], v26, v[20:21]
	v_sub_u32_e32 v27, 29, v31
	v_cmp_eq_u32_e64 s[2:3], 0, v30
	v_and_b32_e32 v26, 7, v26
	v_lshlrev_b32_e32 v20, 8, v20
	v_cndmask_b32_e64 v27, v30, v27, s[2:3]
	v_cndmask_b32_e64 v23, v23, v26, s[2:3]
	v_lshl_add_u32 v26, v27, 10, v19
	v_and_or_b32 v20, v20, s26, v26
	v_lshl_or_b32 v20, v23, 7, v20
	v_cvt_f32_f16_e32 v23, v20
.LBB298_1447:                           ;   in Loop: Header=BB298_1074 Depth=1
	s_or_b64 exec, exec, s[22:23]
	s_waitcnt vmcnt(0) lgkmcnt(0)
	v_pk_mul_f32 v[4:5], v[56:57], v[4:5] op_sel_hi:[0,1]
	v_pk_mul_f32 v[26:27], v[56:57], v[46:47] op_sel_hi:[0,1]
	v_cvt_f16_f32_e32 v5, v5
	v_cvt_f16_f32_e32 v4, v4
	;; [unrolled: 1-line block ×4, first 2 shown]
	v_fma_mixlo_f16 v6, v56, v6, 0
	v_pack_b32_f16 v5, v4, v5
	v_pack_b32_f16 v20, v26, v20
	v_perm_b32 v4, v20, v5, s28
	v_perm_b32 v20, v20, v5, s29
	v_fma_mixlo_f16 v5, v56, v16, 0
	v_lshlrev_b32_e32 v5, 16, v5
	v_or_b32_sdwa v5, v5, v6 dst_sel:DWORD dst_unused:UNUSED_PAD src0_sel:DWORD src1_sel:WORD_0
	v_fma_mixlo_f16 v6, v56, v23, 0
	v_fma_mixlo_f16 v16, v56, v18, 0
	v_lshlrev_b32_e32 v6, 16, v6
	v_or_b32_sdwa v6, v6, v16 dst_sel:DWORD dst_unused:UNUSED_PAD src0_sel:DWORD src1_sel:WORD_0
	s_and_saveexec_b64 s[20:21], vcc
	s_cbranch_execz .LBB298_1449
; %bb.1448:                             ;   in Loop: Header=BB298_1074 Depth=1
	scratch_load_dwordx2 v[26:27], off, s32 offset:204 ; 8-byte Folded Reload
	v_lshrrev_b32_e32 v18, 16, v20
	v_cmp_lt_i32_e64 s[2:3], v41, v7
	v_lshrrev_b32_e32 v6, 16, v6
	s_nop 0
	v_cndmask_b32_e64 v18, 0, v18, s[2:3]
	s_waitcnt vmcnt(0)
	v_cmp_lt_i32_e64 s[2:3], v38, v26
	s_nop 1
	v_cndmask_b32_e64 v20, 0, v20, s[2:3]
	v_perm_b32 v20, v18, v20, s30
	v_lshrrev_b32_e32 v18, 16, v4
	v_cmp_lt_i32_e64 s[2:3], v40, v7
	s_nop 1
	v_cndmask_b32_e64 v18, 0, v18, s[2:3]
	v_cmp_lt_i32_e64 s[2:3], v55, v26
	s_nop 1
	v_cndmask_b32_e64 v4, 0, v4, s[2:3]
	v_perm_b32 v4, v18, v4, s30
	v_lshrrev_b32_e32 v18, 16, v5
	v_cmp_lt_i32_e64 s[2:3], v52, v7
	s_nop 1
	v_cndmask_b32_e64 v18, 0, v18, s[2:3]
	v_cmp_lt_i32_e64 s[2:3], v50, v26
	s_nop 1
	v_cndmask_b32_e64 v5, 0, v5, s[2:3]
	v_cmp_lt_i32_e64 s[2:3], v62, v7
	v_perm_b32 v5, v18, v5, s30
	s_nop 0
	v_cndmask_b32_e64 v6, 0, v6, s[2:3]
	v_cmp_lt_i32_e64 s[2:3], v22, v26
	s_nop 1
	v_cndmask_b32_e64 v16, 0, v16, s[2:3]
	v_perm_b32 v6, v6, v16, s30
.LBB298_1449:                           ;   in Loop: Header=BB298_1074 Depth=1
	s_or_b64 exec, exec, s[20:21]
	;;#ASMSTART
	v_pk_mul_f16 v16, v54, v20;

	;;#ASMEND
	;;#ASMSTART
	v_pk_mul_f16 v4, v53, v4;

	;;#ASMEND
	;; [unrolled: 4-line block ×4, first 2 shown]
	s_mov_b64 s[2:3], 0
	;;#ASMSTART
	v_pk_add_f16 v4, v16, v4;

	;;#ASMEND
                                        ; implicit-def: $sgpr24
	s_nop 0
	;;#ASMSTART
	v_pk_add_f16 v4, v4, v5;

	;;#ASMEND
	s_nop 0
	;;#ASMSTART
	v_pk_add_f16 v4, v4, v6;

	;;#ASMEND
	s_nop 0
	v_lshrrev_b32_e32 v5, 16, v4
	v_and_b32_e32 v4, 0xffff, v4
	;;#ASMSTART
	v_cvt_f32_f16 v6, v4;
	;;#ASMEND
	;;#ASMSTART
	v_cvt_f32_f16 v30, v5;
	;;#ASMEND
	v_accvgpr_read_b32 v4, a38
	v_accvgpr_read_b32 v5, a39
	v_lshl_add_u64 v[4:5], v[32:33], 0, v[4:5]
	flat_load_dwordx2 v[58:59], v[4:5]
	s_nop 0
	scratch_load_dwordx2 v[4:5], off, s32 offset:196 ; 8-byte Folded Reload
	s_waitcnt vmcnt(0) lgkmcnt(0)
	v_cmp_gt_i16_sdwa s[20:21], v58, s5 src0_sel:BYTE_0 src1_sel:DWORD
	flat_load_dword v56, v[4:5]
	s_and_saveexec_b64 s[22:23], s[20:21]
	s_xor_b64 s[20:21], exec, s[22:23]
	s_cbranch_execnz .LBB298_1971
; %bb.1450:                             ;   in Loop: Header=BB298_1074 Depth=1
	s_or_saveexec_b64 s[20:21], s[20:21]
	v_mov_b32_e32 v46, s24
	s_xor_b64 exec, exec, s[20:21]
	s_cbranch_execnz .LBB298_1974
.LBB298_1451:                           ;   in Loop: Header=BB298_1074 Depth=1
	s_or_b64 exec, exec, s[20:21]
	s_and_saveexec_b64 s[20:21], s[2:3]
	s_cbranch_execz .LBB298_1453
.LBB298_1452:                           ;   in Loop: Header=BB298_1074 Depth=1
	v_and_b32_e32 v4, 7, v58
	v_ffbh_u32_e32 v4, v4
	v_bfe_u32 v5, v58, 3, 4
	v_min_u32_e32 v4, 32, v4
	v_subrev_u32_e32 v16, 28, v4
	v_sub_u32_e32 v4, 29, v4
	v_cmp_eq_u32_e64 s[2:3], 0, v5
	s_nop 1
	v_cndmask_b32_e64 v18, v5, v4, s[2:3]
	v_cndmask_b32_e64 v4, 0, v16, s[2:3]
	v_lshlrev_b64 v[4:5], v4, v[58:59]
	v_lshlrev_b32_e32 v5, 8, v58
	v_lshl_add_u32 v16, v18, 10, v19
	v_lshlrev_b32_e32 v4, 7, v4
	v_and_or_b32 v5, v5, s26, v16
	v_and_or_b32 v4, v4, s27, v5
	v_cvt_f32_f16_e32 v46, v4
.LBB298_1453:                           ;   in Loop: Header=BB298_1074 Depth=1
	s_or_b64 exec, exec, s[20:21]
	v_lshrrev_b16_e32 v20, 8, v58
	v_cmp_lt_i16_e64 s[2:3], s5, v20
	s_mov_b64 s[20:21], 0
                                        ; implicit-def: $sgpr31
	s_and_saveexec_b64 s[22:23], s[2:3]
	s_xor_b64 s[22:23], exec, s[22:23]
	s_cbranch_execnz .LBB298_1975
; %bb.1454:                             ;   in Loop: Header=BB298_1074 Depth=1
	s_or_saveexec_b64 s[22:23], s[22:23]
	v_mov_b32_e32 v4, s31
	s_xor_b64 exec, exec, s[22:23]
	s_cbranch_execnz .LBB298_1978
.LBB298_1455:                           ;   in Loop: Header=BB298_1074 Depth=1
	s_or_b64 exec, exec, s[22:23]
	s_and_saveexec_b64 s[22:23], s[20:21]
	s_cbranch_execz .LBB298_1457
.LBB298_1456:                           ;   in Loop: Header=BB298_1074 Depth=1
	v_and_b32_e32 v16, 7, v20
	v_ffbh_u32_e32 v4, v16
	v_min_u32_e32 v23, 32, v4
	v_subrev_u32_e32 v4, 28, v23
	v_bfe_u32 v18, v20, 3, 4
	v_lshlrev_b64 v[4:5], v4, v[20:21]
	v_sub_u32_e32 v5, 29, v23
	v_cmp_eq_u32_e64 s[2:3], 0, v18
	v_and_b32_e32 v4, 7, v4
	s_nop 0
	v_cndmask_b32_e64 v5, v18, v5, s[2:3]
	v_cndmask_b32_e64 v4, v16, v4, s[2:3]
	v_lshlrev_b32_e32 v16, 8, v20
	v_lshl_add_u32 v5, v5, 10, v19
	v_and_or_b32 v5, v16, s26, v5
	v_lshl_or_b32 v4, v4, 7, v5
	v_cvt_f32_f16_e32 v4, v4
.LBB298_1457:                           ;   in Loop: Header=BB298_1074 Depth=1
	s_or_b64 exec, exec, s[22:23]
	v_lshrrev_b32_e32 v20, 16, v58
	v_cmp_gt_i16_sdwa s[20:21], v20, s5 src0_sel:BYTE_0 src1_sel:DWORD
	s_mov_b64 s[2:3], 0
                                        ; implicit-def: $sgpr24
	s_and_saveexec_b64 s[22:23], s[20:21]
	s_xor_b64 s[20:21], exec, s[22:23]
	s_cbranch_execnz .LBB298_1979
; %bb.1458:                             ;   in Loop: Header=BB298_1074 Depth=1
	s_or_saveexec_b64 s[20:21], s[20:21]
	v_mov_b32_e32 v47, s24
	s_xor_b64 exec, exec, s[20:21]
	s_cbranch_execnz .LBB298_1982
.LBB298_1459:                           ;   in Loop: Header=BB298_1074 Depth=1
	s_or_b64 exec, exec, s[20:21]
	s_and_saveexec_b64 s[20:21], s[2:3]
	s_cbranch_execz .LBB298_1461
.LBB298_1460:                           ;   in Loop: Header=BB298_1074 Depth=1
	v_bfe_u32 v5, v58, 16, 3
	v_ffbh_u32_e32 v18, v5
	v_bfe_u32 v16, v58, 19, 4
	v_min_u32_e32 v18, 32, v18
	v_subrev_u32_e32 v23, 28, v18
	v_sub_u32_e32 v18, 29, v18
	v_cmp_eq_u32_e64 s[2:3], 0, v16
	v_lshlrev_b64 v[26:27], v23, v[20:21]
	v_and_b32_e32 v23, 7, v26
	v_cndmask_b32_e64 v16, v16, v18, s[2:3]
	v_lshlrev_b32_e32 v18, 8, v20
	v_lshl_add_u32 v16, v16, 10, v19
	v_cndmask_b32_e64 v5, v5, v23, s[2:3]
	v_and_or_b32 v16, v18, s26, v16
	v_lshl_or_b32 v5, v5, 7, v16
	v_cvt_f32_f16_e32 v47, v5
.LBB298_1461:                           ;   in Loop: Header=BB298_1074 Depth=1
	s_or_b64 exec, exec, s[20:21]
	v_lshrrev_b32_e32 v20, 24, v58
	v_cmp_lt_i16_e64 s[2:3], s5, v20
	s_mov_b64 s[20:21], 0
                                        ; implicit-def: $sgpr31
	s_and_saveexec_b64 s[22:23], s[2:3]
	s_xor_b64 s[22:23], exec, s[22:23]
	s_cbranch_execnz .LBB298_1983
; %bb.1462:                             ;   in Loop: Header=BB298_1074 Depth=1
	s_or_saveexec_b64 s[22:23], s[22:23]
	v_mov_b32_e32 v5, s31
	s_xor_b64 exec, exec, s[22:23]
	s_cbranch_execnz .LBB298_1986
.LBB298_1463:                           ;   in Loop: Header=BB298_1074 Depth=1
	s_or_b64 exec, exec, s[22:23]
	s_and_saveexec_b64 s[22:23], s[20:21]
	s_cbranch_execz .LBB298_1465
.LBB298_1464:                           ;   in Loop: Header=BB298_1074 Depth=1
	v_bfe_u32 v5, v58, 24, 3
	v_ffbh_u32_e32 v18, v5
	v_bfe_u32 v16, v58, 27, 4
	v_min_u32_e32 v18, 32, v18
	v_subrev_u32_e32 v23, 28, v18
	v_sub_u32_e32 v18, 29, v18
	v_cmp_eq_u32_e64 s[2:3], 0, v16
	v_lshlrev_b64 v[26:27], v23, v[20:21]
	v_and_b32_e32 v23, 7, v26
	v_cndmask_b32_e64 v16, v16, v18, s[2:3]
	v_lshlrev_b32_e32 v18, 8, v20
	v_lshl_add_u32 v16, v16, 10, v19
	v_cndmask_b32_e64 v5, v5, v23, s[2:3]
	v_and_or_b32 v16, v18, s26, v16
	v_lshl_or_b32 v5, v5, 7, v16
	v_cvt_f32_f16_e32 v5, v5
.LBB298_1465:                           ;   in Loop: Header=BB298_1074 Depth=1
	s_or_b64 exec, exec, s[22:23]
	v_cmp_gt_i16_sdwa s[20:21], v59, s5 src0_sel:BYTE_0 src1_sel:DWORD
	s_mov_b64 s[2:3], 0
                                        ; implicit-def: $sgpr24
	s_and_saveexec_b64 s[22:23], s[20:21]
	s_xor_b64 s[20:21], exec, s[22:23]
	s_cbranch_execnz .LBB298_1987
; %bb.1466:                             ;   in Loop: Header=BB298_1074 Depth=1
	s_or_saveexec_b64 s[20:21], s[20:21]
	v_mov_b32_e32 v16, s24
	s_xor_b64 exec, exec, s[20:21]
	s_cbranch_execnz .LBB298_1990
.LBB298_1467:                           ;   in Loop: Header=BB298_1074 Depth=1
	s_or_b64 exec, exec, s[20:21]
	v_mov_b32_e32 v20, v59
	s_and_saveexec_b64 s[20:21], s[2:3]
	s_cbranch_execz .LBB298_1469
.LBB298_1468:                           ;   in Loop: Header=BB298_1074 Depth=1
	v_and_b32_e32 v16, 7, v59
	v_ffbh_u32_e32 v16, v16
	v_bfe_u32 v18, v59, 3, 4
	v_min_u32_e32 v16, 32, v16
	v_subrev_u32_e32 v23, 28, v16
	v_sub_u32_e32 v16, 29, v16
	v_cmp_eq_u32_e64 s[2:3], 0, v18
	s_nop 1
	v_cndmask_b32_e64 v16, v18, v16, s[2:3]
	v_cndmask_b32_e64 v18, 0, v23, s[2:3]
	v_lshlrev_b64 v[26:27], v18, v[20:21]
	v_lshlrev_b32_e32 v23, 8, v59
	v_lshl_add_u32 v16, v16, 10, v19
	v_lshlrev_b32_e32 v18, 7, v26
	v_and_or_b32 v16, v23, s26, v16
	v_and_or_b32 v16, v18, s27, v16
	v_cvt_f32_f16_e32 v16, v16
.LBB298_1469:                           ;   in Loop: Header=BB298_1074 Depth=1
	s_or_b64 exec, exec, s[20:21]
	v_lshrrev_b16_e32 v20, 8, v20
	v_cmp_lt_i16_e64 s[2:3], s5, v20
	s_mov_b64 s[20:21], 0
                                        ; implicit-def: $sgpr31
	s_and_saveexec_b64 s[22:23], s[2:3]
	s_xor_b64 s[22:23], exec, s[22:23]
	s_cbranch_execnz .LBB298_1991
; %bb.1470:                             ;   in Loop: Header=BB298_1074 Depth=1
	s_or_saveexec_b64 s[22:23], s[22:23]
	v_mov_b32_e32 v18, s31
	s_xor_b64 exec, exec, s[22:23]
	s_cbranch_execnz .LBB298_1994
.LBB298_1471:                           ;   in Loop: Header=BB298_1074 Depth=1
	s_or_b64 exec, exec, s[22:23]
	s_and_saveexec_b64 s[22:23], s[20:21]
	s_cbranch_execz .LBB298_1473
.LBB298_1472:                           ;   in Loop: Header=BB298_1074 Depth=1
	v_and_b32_e32 v18, 7, v20
	v_ffbh_u32_e32 v26, v18
	v_min_u32_e32 v31, 32, v26
	v_subrev_u32_e32 v26, 28, v31
	v_bfe_u32 v23, v20, 3, 4
	v_lshlrev_b64 v[26:27], v26, v[20:21]
	v_sub_u32_e32 v27, 29, v31
	v_cmp_eq_u32_e64 s[2:3], 0, v23
	v_and_b32_e32 v26, 7, v26
	v_lshlrev_b32_e32 v20, 8, v20
	v_cndmask_b32_e64 v23, v23, v27, s[2:3]
	v_lshl_add_u32 v23, v23, 10, v19
	v_cndmask_b32_e64 v18, v18, v26, s[2:3]
	v_and_or_b32 v20, v20, s26, v23
	v_lshl_or_b32 v18, v18, 7, v20
	v_cvt_f32_f16_e32 v18, v18
.LBB298_1473:                           ;   in Loop: Header=BB298_1074 Depth=1
	s_or_b64 exec, exec, s[22:23]
	v_lshrrev_b32_e32 v20, 16, v59
	v_cmp_gt_i16_sdwa s[20:21], v20, s5 src0_sel:BYTE_0 src1_sel:DWORD
	s_mov_b64 s[2:3], 0
                                        ; implicit-def: $sgpr24
	s_and_saveexec_b64 s[22:23], s[20:21]
	s_xor_b64 s[20:21], exec, s[22:23]
	s_cbranch_execnz .LBB298_1995
; %bb.1474:                             ;   in Loop: Header=BB298_1074 Depth=1
	s_or_saveexec_b64 s[20:21], s[20:21]
	v_mov_b32_e32 v23, s24
	s_xor_b64 exec, exec, s[20:21]
	s_cbranch_execnz .LBB298_1998
.LBB298_1475:                           ;   in Loop: Header=BB298_1074 Depth=1
	s_or_b64 exec, exec, s[20:21]
	s_and_saveexec_b64 s[20:21], s[2:3]
	s_cbranch_execz .LBB298_1477
.LBB298_1476:                           ;   in Loop: Header=BB298_1074 Depth=1
	v_bfe_u32 v23, v59, 16, 3
	v_ffbh_u32_e32 v26, v23
	v_min_u32_e32 v42, 32, v26
	v_subrev_u32_e32 v26, 28, v42
	v_bfe_u32 v31, v59, 19, 4
	v_lshlrev_b64 v[26:27], v26, v[20:21]
	v_sub_u32_e32 v27, 29, v42
	v_cmp_eq_u32_e64 s[2:3], 0, v31
	v_and_b32_e32 v26, 7, v26
	v_lshlrev_b32_e32 v20, 8, v20
	v_cndmask_b32_e64 v27, v31, v27, s[2:3]
	v_cndmask_b32_e64 v23, v23, v26, s[2:3]
	v_lshl_add_u32 v26, v27, 10, v19
	v_and_or_b32 v20, v20, s26, v26
	v_lshl_or_b32 v20, v23, 7, v20
	v_cvt_f32_f16_e32 v23, v20
.LBB298_1477:                           ;   in Loop: Header=BB298_1074 Depth=1
	s_or_b64 exec, exec, s[20:21]
	v_lshrrev_b32_e32 v20, 24, v59
	v_cmp_lt_i16_e64 s[2:3], s5, v20
	s_mov_b64 s[20:21], 0
                                        ; implicit-def: $sgpr31
	s_and_saveexec_b64 s[22:23], s[2:3]
	s_xor_b64 s[22:23], exec, s[22:23]
	s_cbranch_execnz .LBB298_1999
; %bb.1478:                             ;   in Loop: Header=BB298_1074 Depth=1
	s_or_saveexec_b64 s[22:23], s[22:23]
	v_mov_b32_e32 v26, s31
	s_xor_b64 exec, exec, s[22:23]
	s_cbranch_execnz .LBB298_2002
.LBB298_1479:                           ;   in Loop: Header=BB298_1074 Depth=1
	s_or_b64 exec, exec, s[22:23]
	s_and_saveexec_b64 s[22:23], s[20:21]
	s_cbranch_execz .LBB298_1481
.LBB298_1480:                           ;   in Loop: Header=BB298_1074 Depth=1
	v_bfe_u32 v31, v59, 24, 3
	v_ffbh_u32_e32 v26, v31
	v_min_u32_e32 v44, 32, v26
	v_subrev_u32_e32 v26, 28, v44
	v_bfe_u32 v42, v59, 27, 4
	v_lshlrev_b64 v[26:27], v26, v[20:21]
	v_sub_u32_e32 v27, 29, v44
	v_cmp_eq_u32_e64 s[2:3], 0, v42
	v_and_b32_e32 v26, 7, v26
	v_lshlrev_b32_e32 v20, 8, v20
	v_cndmask_b32_e64 v27, v42, v27, s[2:3]
	v_lshl_add_u32 v27, v27, 10, v19
	v_cndmask_b32_e64 v26, v31, v26, s[2:3]
	v_and_or_b32 v20, v20, s26, v27
	v_lshl_or_b32 v20, v26, 7, v20
	v_cvt_f32_f16_e32 v26, v20
.LBB298_1481:                           ;   in Loop: Header=BB298_1074 Depth=1
	s_or_b64 exec, exec, s[22:23]
	s_waitcnt vmcnt(0) lgkmcnt(0)
	v_pk_mul_f32 v[4:5], v[56:57], v[4:5] op_sel_hi:[0,1]
	v_pk_mul_f32 v[46:47], v[56:57], v[46:47] op_sel_hi:[0,1]
	v_cvt_f16_f32_e32 v5, v5
	v_cvt_f16_f32_e32 v4, v4
	;; [unrolled: 1-line block ×4, first 2 shown]
	v_fma_mixlo_f16 v16, v56, v16, 0
	v_pack_b32_f16 v5, v4, v5
	v_pack_b32_f16 v20, v27, v20
	v_perm_b32 v4, v20, v5, s28
	v_perm_b32 v20, v20, v5, s29
	v_fma_mixlo_f16 v5, v56, v18, 0
	v_lshlrev_b32_e32 v5, 16, v5
	v_or_b32_sdwa v5, v5, v16 dst_sel:DWORD dst_unused:UNUSED_PAD src0_sel:DWORD src1_sel:WORD_0
	v_fma_mixlo_f16 v16, v56, v26, 0
	v_fma_mixlo_f16 v18, v56, v23, 0
	v_lshlrev_b32_e32 v16, 16, v16
	v_or_b32_sdwa v16, v16, v18 dst_sel:DWORD dst_unused:UNUSED_PAD src0_sel:DWORD src1_sel:WORD_0
	s_and_saveexec_b64 s[20:21], vcc
	s_cbranch_execz .LBB298_1483
; %bb.1482:                             ;   in Loop: Header=BB298_1074 Depth=1
	scratch_load_dwordx2 v[26:27], off, s32 offset:204 ; 8-byte Folded Reload
	v_lshrrev_b32_e32 v23, 16, v20
	v_cmp_lt_i32_e64 s[2:3], v41, v7
	v_lshrrev_b32_e32 v16, 16, v16
	s_nop 0
	v_cndmask_b32_e64 v23, 0, v23, s[2:3]
	s_waitcnt vmcnt(0)
	v_cmp_lt_i32_e64 s[2:3], v38, v26
	s_nop 1
	v_cndmask_b32_e64 v20, 0, v20, s[2:3]
	v_perm_b32 v20, v23, v20, s30
	v_lshrrev_b32_e32 v23, 16, v4
	v_cmp_lt_i32_e64 s[2:3], v40, v7
	s_nop 1
	v_cndmask_b32_e64 v23, 0, v23, s[2:3]
	v_cmp_lt_i32_e64 s[2:3], v55, v26
	s_nop 1
	v_cndmask_b32_e64 v4, 0, v4, s[2:3]
	v_perm_b32 v4, v23, v4, s30
	v_lshrrev_b32_e32 v23, 16, v5
	v_cmp_lt_i32_e64 s[2:3], v52, v7
	s_nop 1
	v_cndmask_b32_e64 v23, 0, v23, s[2:3]
	v_cmp_lt_i32_e64 s[2:3], v50, v26
	s_nop 1
	v_cndmask_b32_e64 v5, 0, v5, s[2:3]
	v_cmp_lt_i32_e64 s[2:3], v62, v7
	v_perm_b32 v5, v23, v5, s30
	s_nop 0
	v_cndmask_b32_e64 v16, 0, v16, s[2:3]
	v_cmp_lt_i32_e64 s[2:3], v22, v26
	s_nop 1
	v_cndmask_b32_e64 v18, 0, v18, s[2:3]
	v_perm_b32 v16, v16, v18, s30
.LBB298_1483:                           ;   in Loop: Header=BB298_1074 Depth=1
	s_or_b64 exec, exec, s[20:21]
	;;#ASMSTART
	v_pk_mul_f16 v18, v54, v20;

	;;#ASMEND
	;;#ASMSTART
	v_pk_mul_f16 v4, v53, v4;

	;;#ASMEND
	;; [unrolled: 4-line block ×4, first 2 shown]
	s_mov_b64 s[2:3], 0
	;;#ASMSTART
	v_pk_add_f16 v4, v18, v4;

	;;#ASMEND
                                        ; implicit-def: $sgpr24
	s_nop 0
	;;#ASMSTART
	v_pk_add_f16 v4, v4, v5;

	;;#ASMEND
	s_nop 0
	;;#ASMSTART
	v_pk_add_f16 v4, v4, v16;

	;;#ASMEND
	s_nop 0
	v_lshrrev_b32_e32 v5, 16, v4
	v_and_b32_e32 v4, 0xffff, v4
	;;#ASMSTART
	v_cvt_f32_f16 v31, v4;
	;;#ASMEND
	;;#ASMSTART
	v_cvt_f32_f16 v42, v5;
	;;#ASMEND
	v_accvgpr_read_b32 v4, a34
	v_accvgpr_read_b32 v5, a35
	v_lshl_add_u64 v[4:5], v[32:33], 0, v[4:5]
	flat_load_dwordx2 v[58:59], v[4:5]
	s_nop 0
	scratch_load_dwordx2 v[4:5], off, s32 offset:196 ; 8-byte Folded Reload
	s_waitcnt vmcnt(0) lgkmcnt(0)
	v_cmp_gt_i16_sdwa s[20:21], v58, s5 src0_sel:BYTE_0 src1_sel:DWORD
	flat_load_dword v56, v[4:5]
	s_and_saveexec_b64 s[22:23], s[20:21]
	s_xor_b64 s[20:21], exec, s[22:23]
	s_cbranch_execnz .LBB298_2003
; %bb.1484:                             ;   in Loop: Header=BB298_1074 Depth=1
	s_or_saveexec_b64 s[20:21], s[20:21]
	v_mov_b32_e32 v46, s24
	s_xor_b64 exec, exec, s[20:21]
	s_cbranch_execnz .LBB298_2006
.LBB298_1485:                           ;   in Loop: Header=BB298_1074 Depth=1
	s_or_b64 exec, exec, s[20:21]
	s_and_saveexec_b64 s[20:21], s[2:3]
	s_cbranch_execz .LBB298_1487
.LBB298_1486:                           ;   in Loop: Header=BB298_1074 Depth=1
	v_and_b32_e32 v4, 7, v58
	v_ffbh_u32_e32 v4, v4
	v_bfe_u32 v5, v58, 3, 4
	v_min_u32_e32 v4, 32, v4
	v_subrev_u32_e32 v16, 28, v4
	v_sub_u32_e32 v4, 29, v4
	v_cmp_eq_u32_e64 s[2:3], 0, v5
	s_nop 1
	v_cndmask_b32_e64 v18, v5, v4, s[2:3]
	v_cndmask_b32_e64 v4, 0, v16, s[2:3]
	v_lshlrev_b64 v[4:5], v4, v[58:59]
	v_lshlrev_b32_e32 v5, 8, v58
	v_lshl_add_u32 v16, v18, 10, v19
	v_lshlrev_b32_e32 v4, 7, v4
	v_and_or_b32 v5, v5, s26, v16
	v_and_or_b32 v4, v4, s27, v5
	v_cvt_f32_f16_e32 v46, v4
.LBB298_1487:                           ;   in Loop: Header=BB298_1074 Depth=1
	s_or_b64 exec, exec, s[20:21]
	v_lshrrev_b16_e32 v20, 8, v58
	v_cmp_lt_i16_e64 s[2:3], s5, v20
	s_mov_b64 s[20:21], 0
                                        ; implicit-def: $sgpr31
	s_and_saveexec_b64 s[22:23], s[2:3]
	s_xor_b64 s[22:23], exec, s[22:23]
	s_cbranch_execnz .LBB298_2007
; %bb.1488:                             ;   in Loop: Header=BB298_1074 Depth=1
	s_or_saveexec_b64 s[22:23], s[22:23]
	v_mov_b32_e32 v4, s31
	s_xor_b64 exec, exec, s[22:23]
	s_cbranch_execnz .LBB298_2010
.LBB298_1489:                           ;   in Loop: Header=BB298_1074 Depth=1
	s_or_b64 exec, exec, s[22:23]
	s_and_saveexec_b64 s[22:23], s[20:21]
	s_cbranch_execz .LBB298_1491
.LBB298_1490:                           ;   in Loop: Header=BB298_1074 Depth=1
	v_and_b32_e32 v16, 7, v20
	v_ffbh_u32_e32 v4, v16
	v_min_u32_e32 v23, 32, v4
	v_subrev_u32_e32 v4, 28, v23
	v_bfe_u32 v18, v20, 3, 4
	v_lshlrev_b64 v[4:5], v4, v[20:21]
	v_sub_u32_e32 v5, 29, v23
	v_cmp_eq_u32_e64 s[2:3], 0, v18
	v_and_b32_e32 v4, 7, v4
	s_nop 0
	v_cndmask_b32_e64 v5, v18, v5, s[2:3]
	v_cndmask_b32_e64 v4, v16, v4, s[2:3]
	v_lshlrev_b32_e32 v16, 8, v20
	v_lshl_add_u32 v5, v5, 10, v19
	v_and_or_b32 v5, v16, s26, v5
	v_lshl_or_b32 v4, v4, 7, v5
	v_cvt_f32_f16_e32 v4, v4
.LBB298_1491:                           ;   in Loop: Header=BB298_1074 Depth=1
	s_or_b64 exec, exec, s[22:23]
	v_lshrrev_b32_e32 v20, 16, v58
	v_cmp_gt_i16_sdwa s[20:21], v20, s5 src0_sel:BYTE_0 src1_sel:DWORD
	s_mov_b64 s[2:3], 0
                                        ; implicit-def: $sgpr24
	s_and_saveexec_b64 s[22:23], s[20:21]
	s_xor_b64 s[20:21], exec, s[22:23]
	s_cbranch_execnz .LBB298_2011
; %bb.1492:                             ;   in Loop: Header=BB298_1074 Depth=1
	s_or_saveexec_b64 s[20:21], s[20:21]
	v_mov_b32_e32 v47, s24
	s_xor_b64 exec, exec, s[20:21]
	s_cbranch_execnz .LBB298_2014
.LBB298_1493:                           ;   in Loop: Header=BB298_1074 Depth=1
	s_or_b64 exec, exec, s[20:21]
	s_and_saveexec_b64 s[20:21], s[2:3]
	s_cbranch_execz .LBB298_1495
.LBB298_1494:                           ;   in Loop: Header=BB298_1074 Depth=1
	v_bfe_u32 v5, v58, 16, 3
	v_ffbh_u32_e32 v18, v5
	v_bfe_u32 v16, v58, 19, 4
	v_min_u32_e32 v18, 32, v18
	v_subrev_u32_e32 v23, 28, v18
	v_sub_u32_e32 v18, 29, v18
	v_cmp_eq_u32_e64 s[2:3], 0, v16
	v_lshlrev_b64 v[26:27], v23, v[20:21]
	v_and_b32_e32 v23, 7, v26
	v_cndmask_b32_e64 v16, v16, v18, s[2:3]
	v_lshlrev_b32_e32 v18, 8, v20
	v_lshl_add_u32 v16, v16, 10, v19
	v_cndmask_b32_e64 v5, v5, v23, s[2:3]
	v_and_or_b32 v16, v18, s26, v16
	v_lshl_or_b32 v5, v5, 7, v16
	v_cvt_f32_f16_e32 v47, v5
.LBB298_1495:                           ;   in Loop: Header=BB298_1074 Depth=1
	s_or_b64 exec, exec, s[20:21]
	v_lshrrev_b32_e32 v20, 24, v58
	v_cmp_lt_i16_e64 s[2:3], s5, v20
	s_mov_b64 s[20:21], 0
                                        ; implicit-def: $sgpr31
	s_and_saveexec_b64 s[22:23], s[2:3]
	s_xor_b64 s[22:23], exec, s[22:23]
	s_cbranch_execnz .LBB298_2015
; %bb.1496:                             ;   in Loop: Header=BB298_1074 Depth=1
	s_or_saveexec_b64 s[22:23], s[22:23]
	v_mov_b32_e32 v5, s31
	s_xor_b64 exec, exec, s[22:23]
	s_cbranch_execnz .LBB298_2018
.LBB298_1497:                           ;   in Loop: Header=BB298_1074 Depth=1
	s_or_b64 exec, exec, s[22:23]
	s_and_saveexec_b64 s[22:23], s[20:21]
	s_cbranch_execz .LBB298_1499
.LBB298_1498:                           ;   in Loop: Header=BB298_1074 Depth=1
	v_bfe_u32 v5, v58, 24, 3
	v_ffbh_u32_e32 v18, v5
	v_bfe_u32 v16, v58, 27, 4
	v_min_u32_e32 v18, 32, v18
	v_subrev_u32_e32 v23, 28, v18
	v_sub_u32_e32 v18, 29, v18
	v_cmp_eq_u32_e64 s[2:3], 0, v16
	v_lshlrev_b64 v[26:27], v23, v[20:21]
	v_and_b32_e32 v23, 7, v26
	v_cndmask_b32_e64 v16, v16, v18, s[2:3]
	v_lshlrev_b32_e32 v18, 8, v20
	v_lshl_add_u32 v16, v16, 10, v19
	v_cndmask_b32_e64 v5, v5, v23, s[2:3]
	v_and_or_b32 v16, v18, s26, v16
	v_lshl_or_b32 v5, v5, 7, v16
	v_cvt_f32_f16_e32 v5, v5
.LBB298_1499:                           ;   in Loop: Header=BB298_1074 Depth=1
	s_or_b64 exec, exec, s[22:23]
	v_cmp_gt_i16_sdwa s[20:21], v59, s5 src0_sel:BYTE_0 src1_sel:DWORD
	s_mov_b64 s[2:3], 0
                                        ; implicit-def: $sgpr24
	s_and_saveexec_b64 s[22:23], s[20:21]
	s_xor_b64 s[20:21], exec, s[22:23]
	s_cbranch_execnz .LBB298_2019
; %bb.1500:                             ;   in Loop: Header=BB298_1074 Depth=1
	s_or_saveexec_b64 s[20:21], s[20:21]
	v_mov_b32_e32 v16, s24
	s_xor_b64 exec, exec, s[20:21]
	s_cbranch_execnz .LBB298_2022
.LBB298_1501:                           ;   in Loop: Header=BB298_1074 Depth=1
	s_or_b64 exec, exec, s[20:21]
	v_mov_b32_e32 v20, v59
	s_and_saveexec_b64 s[20:21], s[2:3]
	s_cbranch_execz .LBB298_1503
.LBB298_1502:                           ;   in Loop: Header=BB298_1074 Depth=1
	v_and_b32_e32 v16, 7, v59
	v_ffbh_u32_e32 v16, v16
	v_bfe_u32 v18, v59, 3, 4
	v_min_u32_e32 v16, 32, v16
	v_subrev_u32_e32 v23, 28, v16
	v_sub_u32_e32 v16, 29, v16
	v_cmp_eq_u32_e64 s[2:3], 0, v18
	s_nop 1
	v_cndmask_b32_e64 v16, v18, v16, s[2:3]
	v_cndmask_b32_e64 v18, 0, v23, s[2:3]
	v_lshlrev_b64 v[26:27], v18, v[20:21]
	v_lshlrev_b32_e32 v23, 8, v59
	v_lshl_add_u32 v16, v16, 10, v19
	v_lshlrev_b32_e32 v18, 7, v26
	v_and_or_b32 v16, v23, s26, v16
	v_and_or_b32 v16, v18, s27, v16
	v_cvt_f32_f16_e32 v16, v16
.LBB298_1503:                           ;   in Loop: Header=BB298_1074 Depth=1
	s_or_b64 exec, exec, s[20:21]
	v_lshrrev_b16_e32 v20, 8, v20
	v_cmp_lt_i16_e64 s[2:3], s5, v20
	s_mov_b64 s[20:21], 0
                                        ; implicit-def: $sgpr31
	s_and_saveexec_b64 s[22:23], s[2:3]
	s_xor_b64 s[22:23], exec, s[22:23]
	s_cbranch_execnz .LBB298_2023
; %bb.1504:                             ;   in Loop: Header=BB298_1074 Depth=1
	s_or_saveexec_b64 s[22:23], s[22:23]
	v_mov_b32_e32 v18, s31
	s_xor_b64 exec, exec, s[22:23]
	s_cbranch_execnz .LBB298_2026
.LBB298_1505:                           ;   in Loop: Header=BB298_1074 Depth=1
	s_or_b64 exec, exec, s[22:23]
	s_and_saveexec_b64 s[22:23], s[20:21]
	s_cbranch_execz .LBB298_1507
.LBB298_1506:                           ;   in Loop: Header=BB298_1074 Depth=1
	v_and_b32_e32 v18, 7, v20
	v_ffbh_u32_e32 v26, v18
	v_min_u32_e32 v44, 32, v26
	v_subrev_u32_e32 v26, 28, v44
	v_bfe_u32 v23, v20, 3, 4
	v_lshlrev_b64 v[26:27], v26, v[20:21]
	v_sub_u32_e32 v27, 29, v44
	v_cmp_eq_u32_e64 s[2:3], 0, v23
	v_and_b32_e32 v26, 7, v26
	v_lshlrev_b32_e32 v20, 8, v20
	v_cndmask_b32_e64 v23, v23, v27, s[2:3]
	v_lshl_add_u32 v23, v23, 10, v19
	v_cndmask_b32_e64 v18, v18, v26, s[2:3]
	v_and_or_b32 v20, v20, s26, v23
	v_lshl_or_b32 v18, v18, 7, v20
	v_cvt_f32_f16_e32 v18, v18
.LBB298_1507:                           ;   in Loop: Header=BB298_1074 Depth=1
	s_or_b64 exec, exec, s[22:23]
	v_lshrrev_b32_e32 v20, 16, v59
	v_cmp_gt_i16_sdwa s[20:21], v20, s5 src0_sel:BYTE_0 src1_sel:DWORD
	s_mov_b64 s[2:3], 0
                                        ; implicit-def: $sgpr24
	s_and_saveexec_b64 s[22:23], s[20:21]
	s_xor_b64 s[20:21], exec, s[22:23]
	s_cbranch_execnz .LBB298_2027
; %bb.1508:                             ;   in Loop: Header=BB298_1074 Depth=1
	s_or_saveexec_b64 s[20:21], s[20:21]
	v_mov_b32_e32 v23, s24
	s_xor_b64 exec, exec, s[20:21]
	s_cbranch_execnz .LBB298_2030
.LBB298_1509:                           ;   in Loop: Header=BB298_1074 Depth=1
	s_or_b64 exec, exec, s[20:21]
	s_and_saveexec_b64 s[20:21], s[2:3]
	s_cbranch_execz .LBB298_1511
.LBB298_1510:                           ;   in Loop: Header=BB298_1074 Depth=1
	v_bfe_u32 v23, v59, 16, 3
	v_ffbh_u32_e32 v26, v23
	v_min_u32_e32 v45, 32, v26
	v_subrev_u32_e32 v26, 28, v45
	v_bfe_u32 v44, v59, 19, 4
	v_lshlrev_b64 v[26:27], v26, v[20:21]
	v_sub_u32_e32 v27, 29, v45
	v_cmp_eq_u32_e64 s[2:3], 0, v44
	v_and_b32_e32 v26, 7, v26
	v_lshlrev_b32_e32 v20, 8, v20
	v_cndmask_b32_e64 v27, v44, v27, s[2:3]
	v_cndmask_b32_e64 v23, v23, v26, s[2:3]
	v_lshl_add_u32 v26, v27, 10, v19
	v_and_or_b32 v20, v20, s26, v26
	v_lshl_or_b32 v20, v23, 7, v20
	v_cvt_f32_f16_e32 v23, v20
.LBB298_1511:                           ;   in Loop: Header=BB298_1074 Depth=1
	s_or_b64 exec, exec, s[20:21]
	v_lshrrev_b32_e32 v20, 24, v59
	v_cmp_lt_i16_e64 s[2:3], s5, v20
	s_mov_b64 s[20:21], 0
                                        ; implicit-def: $sgpr31
	s_and_saveexec_b64 s[22:23], s[2:3]
	s_xor_b64 s[22:23], exec, s[22:23]
	s_cbranch_execnz .LBB298_2031
; %bb.1512:                             ;   in Loop: Header=BB298_1074 Depth=1
	s_or_saveexec_b64 s[22:23], s[22:23]
	v_mov_b32_e32 v26, s31
	s_xor_b64 exec, exec, s[22:23]
	s_cbranch_execnz .LBB298_2034
.LBB298_1513:                           ;   in Loop: Header=BB298_1074 Depth=1
	s_or_b64 exec, exec, s[22:23]
	s_and_saveexec_b64 s[22:23], s[20:21]
	s_cbranch_execz .LBB298_1515
.LBB298_1514:                           ;   in Loop: Header=BB298_1074 Depth=1
	v_bfe_u32 v44, v59, 24, 3
	v_ffbh_u32_e32 v26, v44
	v_min_u32_e32 v57, 32, v26
	v_subrev_u32_e32 v26, 28, v57
	v_bfe_u32 v45, v59, 27, 4
	v_lshlrev_b64 v[26:27], v26, v[20:21]
	v_sub_u32_e32 v27, 29, v57
	v_cmp_eq_u32_e64 s[2:3], 0, v45
	v_and_b32_e32 v26, 7, v26
	v_lshlrev_b32_e32 v20, 8, v20
	v_cndmask_b32_e64 v27, v45, v27, s[2:3]
	v_lshl_add_u32 v27, v27, 10, v19
	v_cndmask_b32_e64 v26, v44, v26, s[2:3]
	v_and_or_b32 v20, v20, s26, v27
	v_lshl_or_b32 v20, v26, 7, v20
	v_cvt_f32_f16_e32 v26, v20
.LBB298_1515:                           ;   in Loop: Header=BB298_1074 Depth=1
	s_or_b64 exec, exec, s[22:23]
	s_waitcnt vmcnt(0) lgkmcnt(0)
	v_pk_mul_f32 v[4:5], v[56:57], v[4:5] op_sel_hi:[0,1]
	v_pk_mul_f32 v[46:47], v[56:57], v[46:47] op_sel_hi:[0,1]
	v_cvt_f16_f32_e32 v5, v5
	v_cvt_f16_f32_e32 v4, v4
	;; [unrolled: 1-line block ×4, first 2 shown]
	v_fma_mixlo_f16 v16, v56, v16, 0
	v_pack_b32_f16 v5, v4, v5
	v_pack_b32_f16 v20, v27, v20
	v_perm_b32 v4, v20, v5, s28
	v_perm_b32 v20, v20, v5, s29
	v_fma_mixlo_f16 v5, v56, v18, 0
	v_lshlrev_b32_e32 v5, 16, v5
	v_or_b32_sdwa v5, v5, v16 dst_sel:DWORD dst_unused:UNUSED_PAD src0_sel:DWORD src1_sel:WORD_0
	v_fma_mixlo_f16 v16, v56, v26, 0
	v_fma_mixlo_f16 v18, v56, v23, 0
	v_lshlrev_b32_e32 v16, 16, v16
	v_or_b32_sdwa v16, v16, v18 dst_sel:DWORD dst_unused:UNUSED_PAD src0_sel:DWORD src1_sel:WORD_0
	s_and_saveexec_b64 s[20:21], vcc
	s_cbranch_execz .LBB298_1517
; %bb.1516:                             ;   in Loop: Header=BB298_1074 Depth=1
	scratch_load_dwordx2 v[26:27], off, s32 offset:204 ; 8-byte Folded Reload
	v_lshrrev_b32_e32 v23, 16, v20
	v_cmp_lt_i32_e64 s[2:3], v41, v7
	v_lshrrev_b32_e32 v16, 16, v16
	s_nop 0
	v_cndmask_b32_e64 v23, 0, v23, s[2:3]
	s_waitcnt vmcnt(0)
	v_cmp_lt_i32_e64 s[2:3], v38, v26
	s_nop 1
	v_cndmask_b32_e64 v20, 0, v20, s[2:3]
	v_perm_b32 v20, v23, v20, s30
	v_lshrrev_b32_e32 v23, 16, v4
	v_cmp_lt_i32_e64 s[2:3], v40, v7
	s_nop 1
	v_cndmask_b32_e64 v23, 0, v23, s[2:3]
	v_cmp_lt_i32_e64 s[2:3], v55, v26
	s_nop 1
	v_cndmask_b32_e64 v4, 0, v4, s[2:3]
	v_perm_b32 v4, v23, v4, s30
	v_lshrrev_b32_e32 v23, 16, v5
	v_cmp_lt_i32_e64 s[2:3], v52, v7
	s_nop 1
	v_cndmask_b32_e64 v23, 0, v23, s[2:3]
	v_cmp_lt_i32_e64 s[2:3], v50, v26
	s_nop 1
	v_cndmask_b32_e64 v5, 0, v5, s[2:3]
	v_cmp_lt_i32_e64 s[2:3], v62, v7
	v_perm_b32 v5, v23, v5, s30
	s_nop 0
	v_cndmask_b32_e64 v16, 0, v16, s[2:3]
	v_cmp_lt_i32_e64 s[2:3], v22, v26
	s_nop 1
	v_cndmask_b32_e64 v18, 0, v18, s[2:3]
	v_perm_b32 v16, v16, v18, s30
.LBB298_1517:                           ;   in Loop: Header=BB298_1074 Depth=1
	s_or_b64 exec, exec, s[20:21]
	;;#ASMSTART
	v_pk_mul_f16 v18, v54, v20;

	;;#ASMEND
	;;#ASMSTART
	v_pk_mul_f16 v4, v53, v4;

	;;#ASMEND
	;; [unrolled: 4-line block ×4, first 2 shown]
	s_mov_b64 s[2:3], 0
	;;#ASMSTART
	v_pk_add_f16 v4, v18, v4;

	;;#ASMEND
                                        ; implicit-def: $sgpr24
	s_nop 0
	;;#ASMSTART
	v_pk_add_f16 v4, v4, v5;

	;;#ASMEND
	s_nop 0
	;;#ASMSTART
	v_pk_add_f16 v4, v4, v16;

	;;#ASMEND
	s_nop 0
	v_lshrrev_b32_e32 v5, 16, v4
	v_and_b32_e32 v4, 0xffff, v4
	;;#ASMSTART
	v_cvt_f32_f16 v60, v4;
	;;#ASMEND
	;;#ASMSTART
	v_cvt_f32_f16 v61, v5;
	;;#ASMEND
	v_accvgpr_read_b32 v4, a40
	v_accvgpr_read_b32 v5, a41
	v_lshl_add_u64 v[4:5], v[32:33], 0, v[4:5]
	flat_load_dwordx2 v[58:59], v[4:5]
	s_nop 0
	scratch_load_dwordx2 v[4:5], off, s32 offset:196 ; 8-byte Folded Reload
	s_waitcnt vmcnt(0) lgkmcnt(0)
	v_cmp_gt_i16_sdwa s[20:21], v58, s5 src0_sel:BYTE_0 src1_sel:DWORD
	flat_load_dword v56, v[4:5]
	s_and_saveexec_b64 s[22:23], s[20:21]
	s_xor_b64 s[20:21], exec, s[22:23]
	s_cbranch_execnz .LBB298_2035
; %bb.1518:                             ;   in Loop: Header=BB298_1074 Depth=1
	s_or_saveexec_b64 s[20:21], s[20:21]
	v_mov_b32_e32 v46, s24
	s_xor_b64 exec, exec, s[20:21]
	s_cbranch_execnz .LBB298_2038
.LBB298_1519:                           ;   in Loop: Header=BB298_1074 Depth=1
	s_or_b64 exec, exec, s[20:21]
	s_and_saveexec_b64 s[20:21], s[2:3]
	s_cbranch_execz .LBB298_1521
.LBB298_1520:                           ;   in Loop: Header=BB298_1074 Depth=1
	v_and_b32_e32 v4, 7, v58
	v_ffbh_u32_e32 v4, v4
	v_bfe_u32 v5, v58, 3, 4
	v_min_u32_e32 v4, 32, v4
	v_subrev_u32_e32 v16, 28, v4
	v_sub_u32_e32 v4, 29, v4
	v_cmp_eq_u32_e64 s[2:3], 0, v5
	s_nop 1
	v_cndmask_b32_e64 v18, v5, v4, s[2:3]
	v_cndmask_b32_e64 v4, 0, v16, s[2:3]
	v_lshlrev_b64 v[4:5], v4, v[58:59]
	v_lshlrev_b32_e32 v5, 8, v58
	v_lshl_add_u32 v16, v18, 10, v19
	v_lshlrev_b32_e32 v4, 7, v4
	v_and_or_b32 v5, v5, s26, v16
	v_and_or_b32 v4, v4, s27, v5
	v_cvt_f32_f16_e32 v46, v4
.LBB298_1521:                           ;   in Loop: Header=BB298_1074 Depth=1
	s_or_b64 exec, exec, s[20:21]
	v_lshrrev_b16_e32 v20, 8, v58
	v_cmp_lt_i16_e64 s[2:3], s5, v20
	s_mov_b64 s[20:21], 0
                                        ; implicit-def: $sgpr31
	s_and_saveexec_b64 s[22:23], s[2:3]
	s_xor_b64 s[22:23], exec, s[22:23]
	s_cbranch_execnz .LBB298_2039
; %bb.1522:                             ;   in Loop: Header=BB298_1074 Depth=1
	s_or_saveexec_b64 s[22:23], s[22:23]
	v_mov_b32_e32 v4, s31
	s_xor_b64 exec, exec, s[22:23]
	s_cbranch_execnz .LBB298_2042
.LBB298_1523:                           ;   in Loop: Header=BB298_1074 Depth=1
	s_or_b64 exec, exec, s[22:23]
	s_and_saveexec_b64 s[22:23], s[20:21]
	s_cbranch_execz .LBB298_1525
.LBB298_1524:                           ;   in Loop: Header=BB298_1074 Depth=1
	v_and_b32_e32 v16, 7, v20
	v_ffbh_u32_e32 v4, v16
	v_min_u32_e32 v23, 32, v4
	v_subrev_u32_e32 v4, 28, v23
	v_bfe_u32 v18, v20, 3, 4
	v_lshlrev_b64 v[4:5], v4, v[20:21]
	v_sub_u32_e32 v5, 29, v23
	v_cmp_eq_u32_e64 s[2:3], 0, v18
	v_and_b32_e32 v4, 7, v4
	s_nop 0
	v_cndmask_b32_e64 v5, v18, v5, s[2:3]
	v_cndmask_b32_e64 v4, v16, v4, s[2:3]
	v_lshlrev_b32_e32 v16, 8, v20
	v_lshl_add_u32 v5, v5, 10, v19
	v_and_or_b32 v5, v16, s26, v5
	v_lshl_or_b32 v4, v4, 7, v5
	v_cvt_f32_f16_e32 v4, v4
.LBB298_1525:                           ;   in Loop: Header=BB298_1074 Depth=1
	s_or_b64 exec, exec, s[22:23]
	v_lshrrev_b32_e32 v20, 16, v58
	v_cmp_gt_i16_sdwa s[20:21], v20, s5 src0_sel:BYTE_0 src1_sel:DWORD
	s_mov_b64 s[2:3], 0
                                        ; implicit-def: $sgpr24
	s_and_saveexec_b64 s[22:23], s[20:21]
	s_xor_b64 s[20:21], exec, s[22:23]
	s_cbranch_execnz .LBB298_2043
; %bb.1526:                             ;   in Loop: Header=BB298_1074 Depth=1
	s_or_saveexec_b64 s[20:21], s[20:21]
	v_mov_b32_e32 v47, s24
	s_xor_b64 exec, exec, s[20:21]
	s_cbranch_execnz .LBB298_2046
.LBB298_1527:                           ;   in Loop: Header=BB298_1074 Depth=1
	s_or_b64 exec, exec, s[20:21]
	s_and_saveexec_b64 s[20:21], s[2:3]
	s_cbranch_execz .LBB298_1529
.LBB298_1528:                           ;   in Loop: Header=BB298_1074 Depth=1
	v_bfe_u32 v5, v58, 16, 3
	v_ffbh_u32_e32 v18, v5
	v_bfe_u32 v16, v58, 19, 4
	v_min_u32_e32 v18, 32, v18
	v_subrev_u32_e32 v23, 28, v18
	v_sub_u32_e32 v18, 29, v18
	v_cmp_eq_u32_e64 s[2:3], 0, v16
	v_lshlrev_b64 v[26:27], v23, v[20:21]
	v_and_b32_e32 v23, 7, v26
	v_cndmask_b32_e64 v16, v16, v18, s[2:3]
	v_lshlrev_b32_e32 v18, 8, v20
	v_lshl_add_u32 v16, v16, 10, v19
	v_cndmask_b32_e64 v5, v5, v23, s[2:3]
	v_and_or_b32 v16, v18, s26, v16
	v_lshl_or_b32 v5, v5, 7, v16
	v_cvt_f32_f16_e32 v47, v5
.LBB298_1529:                           ;   in Loop: Header=BB298_1074 Depth=1
	s_or_b64 exec, exec, s[20:21]
	v_lshrrev_b32_e32 v20, 24, v58
	v_cmp_lt_i16_e64 s[2:3], s5, v20
	s_mov_b64 s[20:21], 0
                                        ; implicit-def: $sgpr31
	s_and_saveexec_b64 s[22:23], s[2:3]
	s_xor_b64 s[22:23], exec, s[22:23]
	s_cbranch_execnz .LBB298_2047
; %bb.1530:                             ;   in Loop: Header=BB298_1074 Depth=1
	s_or_saveexec_b64 s[22:23], s[22:23]
	v_mov_b32_e32 v5, s31
	s_xor_b64 exec, exec, s[22:23]
	s_cbranch_execnz .LBB298_2050
.LBB298_1531:                           ;   in Loop: Header=BB298_1074 Depth=1
	s_or_b64 exec, exec, s[22:23]
	s_and_saveexec_b64 s[22:23], s[20:21]
	s_cbranch_execz .LBB298_1533
.LBB298_1532:                           ;   in Loop: Header=BB298_1074 Depth=1
	v_bfe_u32 v5, v58, 24, 3
	v_ffbh_u32_e32 v18, v5
	v_bfe_u32 v16, v58, 27, 4
	v_min_u32_e32 v18, 32, v18
	v_subrev_u32_e32 v23, 28, v18
	v_sub_u32_e32 v18, 29, v18
	v_cmp_eq_u32_e64 s[2:3], 0, v16
	v_lshlrev_b64 v[26:27], v23, v[20:21]
	v_and_b32_e32 v23, 7, v26
	v_cndmask_b32_e64 v16, v16, v18, s[2:3]
	v_lshlrev_b32_e32 v18, 8, v20
	v_lshl_add_u32 v16, v16, 10, v19
	v_cndmask_b32_e64 v5, v5, v23, s[2:3]
	v_and_or_b32 v16, v18, s26, v16
	v_lshl_or_b32 v5, v5, 7, v16
	v_cvt_f32_f16_e32 v5, v5
.LBB298_1533:                           ;   in Loop: Header=BB298_1074 Depth=1
	s_or_b64 exec, exec, s[22:23]
	v_cmp_gt_i16_sdwa s[20:21], v59, s5 src0_sel:BYTE_0 src1_sel:DWORD
	s_mov_b64 s[2:3], 0
                                        ; implicit-def: $sgpr24
	s_and_saveexec_b64 s[22:23], s[20:21]
	s_xor_b64 s[20:21], exec, s[22:23]
	s_cbranch_execnz .LBB298_2051
; %bb.1534:                             ;   in Loop: Header=BB298_1074 Depth=1
	s_or_saveexec_b64 s[20:21], s[20:21]
	v_mov_b32_e32 v16, s24
	s_xor_b64 exec, exec, s[20:21]
	s_cbranch_execnz .LBB298_2054
.LBB298_1535:                           ;   in Loop: Header=BB298_1074 Depth=1
	s_or_b64 exec, exec, s[20:21]
	v_mov_b32_e32 v20, v59
	s_and_saveexec_b64 s[20:21], s[2:3]
	s_cbranch_execz .LBB298_1537
.LBB298_1536:                           ;   in Loop: Header=BB298_1074 Depth=1
	v_and_b32_e32 v16, 7, v59
	v_ffbh_u32_e32 v16, v16
	v_bfe_u32 v18, v59, 3, 4
	v_min_u32_e32 v16, 32, v16
	v_subrev_u32_e32 v23, 28, v16
	v_sub_u32_e32 v16, 29, v16
	v_cmp_eq_u32_e64 s[2:3], 0, v18
	s_nop 1
	v_cndmask_b32_e64 v16, v18, v16, s[2:3]
	v_cndmask_b32_e64 v18, 0, v23, s[2:3]
	v_lshlrev_b64 v[26:27], v18, v[20:21]
	v_lshlrev_b32_e32 v23, 8, v59
	v_lshl_add_u32 v16, v16, 10, v19
	v_lshlrev_b32_e32 v18, 7, v26
	v_and_or_b32 v16, v23, s26, v16
	v_and_or_b32 v16, v18, s27, v16
	v_cvt_f32_f16_e32 v16, v16
.LBB298_1537:                           ;   in Loop: Header=BB298_1074 Depth=1
	s_or_b64 exec, exec, s[20:21]
	v_lshrrev_b16_e32 v20, 8, v20
	v_cmp_lt_i16_e64 s[2:3], s5, v20
	s_mov_b64 s[20:21], 0
                                        ; implicit-def: $sgpr31
	s_and_saveexec_b64 s[22:23], s[2:3]
	s_xor_b64 s[22:23], exec, s[22:23]
	s_cbranch_execnz .LBB298_2055
; %bb.1538:                             ;   in Loop: Header=BB298_1074 Depth=1
	s_or_saveexec_b64 s[22:23], s[22:23]
	v_mov_b32_e32 v18, s31
	s_xor_b64 exec, exec, s[22:23]
	s_cbranch_execnz .LBB298_2058
.LBB298_1539:                           ;   in Loop: Header=BB298_1074 Depth=1
	s_or_b64 exec, exec, s[22:23]
	s_and_saveexec_b64 s[22:23], s[20:21]
	s_cbranch_execz .LBB298_1541
.LBB298_1540:                           ;   in Loop: Header=BB298_1074 Depth=1
	v_and_b32_e32 v18, 7, v20
	v_ffbh_u32_e32 v26, v18
	v_min_u32_e32 v44, 32, v26
	v_subrev_u32_e32 v26, 28, v44
	v_bfe_u32 v23, v20, 3, 4
	v_lshlrev_b64 v[26:27], v26, v[20:21]
	v_sub_u32_e32 v27, 29, v44
	v_cmp_eq_u32_e64 s[2:3], 0, v23
	v_and_b32_e32 v26, 7, v26
	v_lshlrev_b32_e32 v20, 8, v20
	v_cndmask_b32_e64 v23, v23, v27, s[2:3]
	v_lshl_add_u32 v23, v23, 10, v19
	v_cndmask_b32_e64 v18, v18, v26, s[2:3]
	v_and_or_b32 v20, v20, s26, v23
	v_lshl_or_b32 v18, v18, 7, v20
	v_cvt_f32_f16_e32 v18, v18
.LBB298_1541:                           ;   in Loop: Header=BB298_1074 Depth=1
	s_or_b64 exec, exec, s[22:23]
	v_lshrrev_b32_e32 v20, 16, v59
	v_cmp_gt_i16_sdwa s[20:21], v20, s5 src0_sel:BYTE_0 src1_sel:DWORD
	s_mov_b64 s[2:3], 0
                                        ; implicit-def: $sgpr24
	s_and_saveexec_b64 s[22:23], s[20:21]
	s_xor_b64 s[20:21], exec, s[22:23]
	s_cbranch_execnz .LBB298_2059
; %bb.1542:                             ;   in Loop: Header=BB298_1074 Depth=1
	s_or_saveexec_b64 s[20:21], s[20:21]
	v_mov_b32_e32 v23, s24
	s_xor_b64 exec, exec, s[20:21]
	s_cbranch_execnz .LBB298_2062
.LBB298_1543:                           ;   in Loop: Header=BB298_1074 Depth=1
	s_or_b64 exec, exec, s[20:21]
	s_and_saveexec_b64 s[20:21], s[2:3]
	s_cbranch_execz .LBB298_1545
.LBB298_1544:                           ;   in Loop: Header=BB298_1074 Depth=1
	v_bfe_u32 v23, v59, 16, 3
	v_ffbh_u32_e32 v26, v23
	v_min_u32_e32 v45, 32, v26
	v_subrev_u32_e32 v26, 28, v45
	v_bfe_u32 v44, v59, 19, 4
	v_lshlrev_b64 v[26:27], v26, v[20:21]
	v_sub_u32_e32 v27, 29, v45
	v_cmp_eq_u32_e64 s[2:3], 0, v44
	v_and_b32_e32 v26, 7, v26
	v_lshlrev_b32_e32 v20, 8, v20
	v_cndmask_b32_e64 v27, v44, v27, s[2:3]
	v_cndmask_b32_e64 v23, v23, v26, s[2:3]
	v_lshl_add_u32 v26, v27, 10, v19
	v_and_or_b32 v20, v20, s26, v26
	v_lshl_or_b32 v20, v23, 7, v20
	v_cvt_f32_f16_e32 v23, v20
.LBB298_1545:                           ;   in Loop: Header=BB298_1074 Depth=1
	s_or_b64 exec, exec, s[20:21]
	v_lshrrev_b32_e32 v20, 24, v59
	v_cmp_lt_i16_e64 s[2:3], s5, v20
	s_mov_b64 s[20:21], 0
                                        ; implicit-def: $sgpr31
	s_and_saveexec_b64 s[22:23], s[2:3]
	s_xor_b64 s[22:23], exec, s[22:23]
	s_cbranch_execnz .LBB298_2063
; %bb.1546:                             ;   in Loop: Header=BB298_1074 Depth=1
	s_or_saveexec_b64 s[22:23], s[22:23]
	v_mov_b32_e32 v26, s31
	s_xor_b64 exec, exec, s[22:23]
	s_cbranch_execnz .LBB298_2066
.LBB298_1547:                           ;   in Loop: Header=BB298_1074 Depth=1
	s_or_b64 exec, exec, s[22:23]
	s_and_saveexec_b64 s[22:23], s[20:21]
	s_cbranch_execz .LBB298_1549
.LBB298_1548:                           ;   in Loop: Header=BB298_1074 Depth=1
	v_bfe_u32 v44, v59, 24, 3
	v_ffbh_u32_e32 v26, v44
	v_min_u32_e32 v57, 32, v26
	v_subrev_u32_e32 v26, 28, v57
	v_bfe_u32 v45, v59, 27, 4
	v_lshlrev_b64 v[26:27], v26, v[20:21]
	v_sub_u32_e32 v27, 29, v57
	v_cmp_eq_u32_e64 s[2:3], 0, v45
	v_and_b32_e32 v26, 7, v26
	v_lshlrev_b32_e32 v20, 8, v20
	v_cndmask_b32_e64 v27, v45, v27, s[2:3]
	v_lshl_add_u32 v27, v27, 10, v19
	v_cndmask_b32_e64 v26, v44, v26, s[2:3]
	v_and_or_b32 v20, v20, s26, v27
	v_lshl_or_b32 v20, v26, 7, v20
	v_cvt_f32_f16_e32 v26, v20
.LBB298_1549:                           ;   in Loop: Header=BB298_1074 Depth=1
	s_or_b64 exec, exec, s[22:23]
	s_waitcnt vmcnt(0) lgkmcnt(0)
	v_pk_mul_f32 v[4:5], v[56:57], v[4:5] op_sel_hi:[0,1]
	v_pk_mul_f32 v[46:47], v[56:57], v[46:47] op_sel_hi:[0,1]
	v_cvt_f16_f32_e32 v5, v5
	v_cvt_f16_f32_e32 v4, v4
	;; [unrolled: 1-line block ×4, first 2 shown]
	v_fma_mixlo_f16 v16, v56, v16, 0
	v_pack_b32_f16 v5, v4, v5
	v_pack_b32_f16 v20, v27, v20
	v_perm_b32 v4, v20, v5, s28
	v_perm_b32 v20, v20, v5, s29
	v_fma_mixlo_f16 v5, v56, v18, 0
	v_lshlrev_b32_e32 v5, 16, v5
	v_or_b32_sdwa v5, v5, v16 dst_sel:DWORD dst_unused:UNUSED_PAD src0_sel:DWORD src1_sel:WORD_0
	v_fma_mixlo_f16 v16, v56, v26, 0
	v_fma_mixlo_f16 v18, v56, v23, 0
	v_lshlrev_b32_e32 v16, 16, v16
	v_or_b32_sdwa v16, v16, v18 dst_sel:DWORD dst_unused:UNUSED_PAD src0_sel:DWORD src1_sel:WORD_0
	s_and_saveexec_b64 s[20:21], vcc
	s_cbranch_execz .LBB298_1551
; %bb.1550:                             ;   in Loop: Header=BB298_1074 Depth=1
	scratch_load_dwordx2 v[26:27], off, s32 offset:204 ; 8-byte Folded Reload
	v_lshrrev_b32_e32 v23, 16, v20
	v_cmp_lt_i32_e64 s[2:3], v41, v7
	v_lshrrev_b32_e32 v16, 16, v16
	s_nop 0
	v_cndmask_b32_e64 v23, 0, v23, s[2:3]
	s_waitcnt vmcnt(0)
	v_cmp_lt_i32_e64 s[2:3], v38, v26
	s_nop 1
	v_cndmask_b32_e64 v20, 0, v20, s[2:3]
	v_perm_b32 v20, v23, v20, s30
	v_lshrrev_b32_e32 v23, 16, v4
	v_cmp_lt_i32_e64 s[2:3], v40, v7
	s_nop 1
	v_cndmask_b32_e64 v23, 0, v23, s[2:3]
	v_cmp_lt_i32_e64 s[2:3], v55, v26
	s_nop 1
	v_cndmask_b32_e64 v4, 0, v4, s[2:3]
	v_perm_b32 v4, v23, v4, s30
	v_lshrrev_b32_e32 v23, 16, v5
	v_cmp_lt_i32_e64 s[2:3], v52, v7
	s_nop 1
	v_cndmask_b32_e64 v23, 0, v23, s[2:3]
	v_cmp_lt_i32_e64 s[2:3], v50, v26
	s_nop 1
	v_cndmask_b32_e64 v5, 0, v5, s[2:3]
	v_cmp_lt_i32_e64 s[2:3], v62, v7
	v_perm_b32 v5, v23, v5, s30
	s_nop 0
	v_cndmask_b32_e64 v16, 0, v16, s[2:3]
	v_cmp_lt_i32_e64 s[2:3], v22, v26
	s_nop 1
	v_cndmask_b32_e64 v18, 0, v18, s[2:3]
	v_perm_b32 v16, v16, v18, s30
.LBB298_1551:                           ;   in Loop: Header=BB298_1074 Depth=1
	s_or_b64 exec, exec, s[20:21]
	;;#ASMSTART
	v_pk_mul_f16 v18, v54, v20;

	;;#ASMEND
	;;#ASMSTART
	v_pk_mul_f16 v4, v53, v4;

	;;#ASMEND
	;; [unrolled: 4-line block ×4, first 2 shown]
	s_mov_b64 s[2:3], 0
	;;#ASMSTART
	v_pk_add_f16 v4, v18, v4;

	;;#ASMEND
                                        ; implicit-def: $sgpr24
	s_nop 0
	;;#ASMSTART
	v_pk_add_f16 v4, v4, v5;

	;;#ASMEND
	s_nop 0
	;;#ASMSTART
	v_pk_add_f16 v4, v4, v16;

	;;#ASMEND
	s_nop 0
	v_lshrrev_b32_e32 v5, 16, v4
	v_and_b32_e32 v4, 0xffff, v4
	;;#ASMSTART
	v_cvt_f32_f16 v18, v4;
	;;#ASMEND
	;;#ASMSTART
	v_cvt_f32_f16 v23, v5;
	;;#ASMEND
	v_accvgpr_read_b32 v4, a42
	v_accvgpr_read_b32 v5, a43
	v_lshl_add_u64 v[4:5], v[32:33], 0, v[4:5]
	flat_load_dwordx2 v[58:59], v[4:5]
	s_nop 0
	scratch_load_dwordx2 v[4:5], off, s32 offset:196 ; 8-byte Folded Reload
	s_waitcnt vmcnt(0) lgkmcnt(0)
	v_cmp_gt_i16_sdwa s[20:21], v58, s5 src0_sel:BYTE_0 src1_sel:DWORD
	flat_load_dword v56, v[4:5]
	s_and_saveexec_b64 s[22:23], s[20:21]
	s_xor_b64 s[20:21], exec, s[22:23]
	s_cbranch_execnz .LBB298_2067
; %bb.1552:                             ;   in Loop: Header=BB298_1074 Depth=1
	s_or_saveexec_b64 s[20:21], s[20:21]
	v_mov_b32_e32 v46, s24
	s_xor_b64 exec, exec, s[20:21]
	s_cbranch_execnz .LBB298_2070
.LBB298_1553:                           ;   in Loop: Header=BB298_1074 Depth=1
	s_or_b64 exec, exec, s[20:21]
	s_and_saveexec_b64 s[20:21], s[2:3]
	s_cbranch_execz .LBB298_1555
.LBB298_1554:                           ;   in Loop: Header=BB298_1074 Depth=1
	v_and_b32_e32 v4, 7, v58
	v_ffbh_u32_e32 v4, v4
	v_bfe_u32 v5, v58, 3, 4
	v_min_u32_e32 v4, 32, v4
	v_subrev_u32_e32 v16, 28, v4
	v_sub_u32_e32 v4, 29, v4
	v_cmp_eq_u32_e64 s[2:3], 0, v5
	s_nop 1
	v_cndmask_b32_e64 v20, v5, v4, s[2:3]
	v_cndmask_b32_e64 v4, 0, v16, s[2:3]
	v_lshlrev_b64 v[4:5], v4, v[58:59]
	v_lshlrev_b32_e32 v5, 8, v58
	v_lshl_add_u32 v16, v20, 10, v19
	v_lshlrev_b32_e32 v4, 7, v4
	v_and_or_b32 v5, v5, s26, v16
	v_and_or_b32 v4, v4, s27, v5
	v_cvt_f32_f16_e32 v46, v4
.LBB298_1555:                           ;   in Loop: Header=BB298_1074 Depth=1
	s_or_b64 exec, exec, s[20:21]
	v_lshrrev_b16_e32 v20, 8, v58
	v_cmp_lt_i16_e64 s[2:3], s5, v20
	s_mov_b64 s[20:21], 0
                                        ; implicit-def: $sgpr31
	s_and_saveexec_b64 s[22:23], s[2:3]
	s_xor_b64 s[22:23], exec, s[22:23]
	s_cbranch_execnz .LBB298_2071
; %bb.1556:                             ;   in Loop: Header=BB298_1074 Depth=1
	s_or_saveexec_b64 s[22:23], s[22:23]
	v_mov_b32_e32 v4, s31
	s_xor_b64 exec, exec, s[22:23]
	s_cbranch_execnz .LBB298_2074
.LBB298_1557:                           ;   in Loop: Header=BB298_1074 Depth=1
	s_or_b64 exec, exec, s[22:23]
	s_and_saveexec_b64 s[22:23], s[20:21]
	s_cbranch_execz .LBB298_1559
.LBB298_1558:                           ;   in Loop: Header=BB298_1074 Depth=1
	v_and_b32_e32 v16, 7, v20
	v_ffbh_u32_e32 v4, v16
	v_min_u32_e32 v27, 32, v4
	v_subrev_u32_e32 v4, 28, v27
	v_bfe_u32 v26, v20, 3, 4
	v_lshlrev_b64 v[4:5], v4, v[20:21]
	v_sub_u32_e32 v5, 29, v27
	v_cmp_eq_u32_e64 s[2:3], 0, v26
	v_and_b32_e32 v4, 7, v4
	s_nop 0
	v_cndmask_b32_e64 v5, v26, v5, s[2:3]
	v_cndmask_b32_e64 v4, v16, v4, s[2:3]
	v_lshlrev_b32_e32 v16, 8, v20
	v_lshl_add_u32 v5, v5, 10, v19
	v_and_or_b32 v5, v16, s26, v5
	v_lshl_or_b32 v4, v4, 7, v5
	v_cvt_f32_f16_e32 v4, v4
.LBB298_1559:                           ;   in Loop: Header=BB298_1074 Depth=1
	s_or_b64 exec, exec, s[22:23]
	v_lshrrev_b32_e32 v20, 16, v58
	v_cmp_gt_i16_sdwa s[20:21], v20, s5 src0_sel:BYTE_0 src1_sel:DWORD
	s_mov_b64 s[2:3], 0
                                        ; implicit-def: $sgpr24
	s_and_saveexec_b64 s[22:23], s[20:21]
	s_xor_b64 s[20:21], exec, s[22:23]
	s_cbranch_execnz .LBB298_2075
; %bb.1560:                             ;   in Loop: Header=BB298_1074 Depth=1
	s_or_saveexec_b64 s[20:21], s[20:21]
	v_mov_b32_e32 v47, s24
	s_xor_b64 exec, exec, s[20:21]
	s_cbranch_execnz .LBB298_2078
.LBB298_1561:                           ;   in Loop: Header=BB298_1074 Depth=1
	s_or_b64 exec, exec, s[20:21]
	s_and_saveexec_b64 s[20:21], s[2:3]
	s_cbranch_execz .LBB298_1563
.LBB298_1562:                           ;   in Loop: Header=BB298_1074 Depth=1
	v_bfe_u32 v5, v58, 16, 3
	v_ffbh_u32_e32 v26, v5
	v_min_u32_e32 v44, 32, v26
	v_subrev_u32_e32 v26, 28, v44
	v_bfe_u32 v16, v58, 19, 4
	v_lshlrev_b64 v[26:27], v26, v[20:21]
	v_sub_u32_e32 v27, 29, v44
	v_cmp_eq_u32_e64 s[2:3], 0, v16
	v_and_b32_e32 v26, 7, v26
	v_lshlrev_b32_e32 v20, 8, v20
	v_cndmask_b32_e64 v16, v16, v27, s[2:3]
	v_lshl_add_u32 v16, v16, 10, v19
	v_cndmask_b32_e64 v5, v5, v26, s[2:3]
	v_and_or_b32 v16, v20, s26, v16
	v_lshl_or_b32 v5, v5, 7, v16
	v_cvt_f32_f16_e32 v47, v5
.LBB298_1563:                           ;   in Loop: Header=BB298_1074 Depth=1
	s_or_b64 exec, exec, s[20:21]
	v_lshrrev_b32_e32 v20, 24, v58
	v_cmp_lt_i16_e64 s[2:3], s5, v20
	s_mov_b64 s[20:21], 0
                                        ; implicit-def: $sgpr31
	s_and_saveexec_b64 s[22:23], s[2:3]
	s_xor_b64 s[22:23], exec, s[22:23]
	s_cbranch_execnz .LBB298_2079
; %bb.1564:                             ;   in Loop: Header=BB298_1074 Depth=1
	s_or_saveexec_b64 s[22:23], s[22:23]
	v_mov_b32_e32 v5, s31
	s_xor_b64 exec, exec, s[22:23]
	s_cbranch_execnz .LBB298_2082
.LBB298_1565:                           ;   in Loop: Header=BB298_1074 Depth=1
	s_or_b64 exec, exec, s[22:23]
	s_and_saveexec_b64 s[22:23], s[20:21]
	s_cbranch_execz .LBB298_1567
.LBB298_1566:                           ;   in Loop: Header=BB298_1074 Depth=1
	v_bfe_u32 v5, v58, 24, 3
	v_ffbh_u32_e32 v26, v5
	v_min_u32_e32 v44, 32, v26
	v_subrev_u32_e32 v26, 28, v44
	v_bfe_u32 v16, v58, 27, 4
	v_lshlrev_b64 v[26:27], v26, v[20:21]
	v_sub_u32_e32 v27, 29, v44
	v_cmp_eq_u32_e64 s[2:3], 0, v16
	v_and_b32_e32 v26, 7, v26
	v_lshlrev_b32_e32 v20, 8, v20
	v_cndmask_b32_e64 v16, v16, v27, s[2:3]
	v_lshl_add_u32 v16, v16, 10, v19
	v_cndmask_b32_e64 v5, v5, v26, s[2:3]
	v_and_or_b32 v16, v20, s26, v16
	v_lshl_or_b32 v5, v5, 7, v16
	v_cvt_f32_f16_e32 v5, v5
.LBB298_1567:                           ;   in Loop: Header=BB298_1074 Depth=1
	s_or_b64 exec, exec, s[22:23]
	v_cmp_gt_i16_sdwa s[20:21], v59, s5 src0_sel:BYTE_0 src1_sel:DWORD
	s_mov_b64 s[2:3], 0
                                        ; implicit-def: $sgpr24
	s_and_saveexec_b64 s[22:23], s[20:21]
	s_xor_b64 s[20:21], exec, s[22:23]
	s_cbranch_execnz .LBB298_2083
; %bb.1568:                             ;   in Loop: Header=BB298_1074 Depth=1
	s_or_saveexec_b64 s[20:21], s[20:21]
	v_mov_b32_e32 v16, s24
	s_xor_b64 exec, exec, s[20:21]
	s_cbranch_execnz .LBB298_2086
.LBB298_1569:                           ;   in Loop: Header=BB298_1074 Depth=1
	s_or_b64 exec, exec, s[20:21]
	v_mov_b32_e32 v20, v59
	s_and_saveexec_b64 s[20:21], s[2:3]
	s_cbranch_execz .LBB298_1571
.LBB298_1570:                           ;   in Loop: Header=BB298_1074 Depth=1
	v_and_b32_e32 v16, 7, v59
	v_ffbh_u32_e32 v16, v16
	v_bfe_u32 v26, v59, 3, 4
	v_min_u32_e32 v16, 32, v16
	v_subrev_u32_e32 v27, 28, v16
	v_sub_u32_e32 v16, 29, v16
	v_cmp_eq_u32_e64 s[2:3], 0, v26
	s_nop 1
	v_cndmask_b32_e64 v16, v26, v16, s[2:3]
	v_cndmask_b32_e64 v26, 0, v27, s[2:3]
	v_lshlrev_b64 v[26:27], v26, v[20:21]
	v_lshlrev_b32_e32 v27, 8, v59
	v_lshl_add_u32 v16, v16, 10, v19
	v_lshlrev_b32_e32 v26, 7, v26
	v_and_or_b32 v16, v27, s26, v16
	v_and_or_b32 v16, v26, s27, v16
	v_cvt_f32_f16_e32 v16, v16
.LBB298_1571:                           ;   in Loop: Header=BB298_1074 Depth=1
	s_or_b64 exec, exec, s[20:21]
	v_lshrrev_b16_e32 v20, 8, v20
	v_cmp_lt_i16_e64 s[2:3], s5, v20
	s_mov_b64 s[20:21], 0
                                        ; implicit-def: $sgpr31
	s_and_saveexec_b64 s[22:23], s[2:3]
	s_xor_b64 s[22:23], exec, s[22:23]
	s_cbranch_execnz .LBB298_2087
; %bb.1572:                             ;   in Loop: Header=BB298_1074 Depth=1
	s_or_saveexec_b64 s[22:23], s[22:23]
	v_mov_b32_e32 v26, s31
	s_xor_b64 exec, exec, s[22:23]
	s_cbranch_execnz .LBB298_2090
.LBB298_1573:                           ;   in Loop: Header=BB298_1074 Depth=1
	s_or_b64 exec, exec, s[22:23]
	s_and_saveexec_b64 s[22:23], s[20:21]
	s_cbranch_execz .LBB298_1575
.LBB298_1574:                           ;   in Loop: Header=BB298_1074 Depth=1
	v_and_b32_e32 v44, 7, v20
	v_ffbh_u32_e32 v26, v44
	v_min_u32_e32 v57, 32, v26
	v_subrev_u32_e32 v26, 28, v57
	v_bfe_u32 v45, v20, 3, 4
	v_lshlrev_b64 v[26:27], v26, v[20:21]
	v_sub_u32_e32 v27, 29, v57
	v_cmp_eq_u32_e64 s[2:3], 0, v45
	v_and_b32_e32 v26, 7, v26
	v_lshlrev_b32_e32 v20, 8, v20
	v_cndmask_b32_e64 v27, v45, v27, s[2:3]
	v_lshl_add_u32 v27, v27, 10, v19
	v_cndmask_b32_e64 v26, v44, v26, s[2:3]
	v_and_or_b32 v20, v20, s26, v27
	v_lshl_or_b32 v20, v26, 7, v20
	v_cvt_f32_f16_e32 v26, v20
.LBB298_1575:                           ;   in Loop: Header=BB298_1074 Depth=1
	s_or_b64 exec, exec, s[22:23]
	v_lshrrev_b32_e32 v20, 16, v59
	v_cmp_gt_i16_sdwa s[20:21], v20, s5 src0_sel:BYTE_0 src1_sel:DWORD
	s_mov_b64 s[2:3], 0
                                        ; implicit-def: $sgpr24
	s_and_saveexec_b64 s[22:23], s[20:21]
	s_xor_b64 s[20:21], exec, s[22:23]
	s_cbranch_execnz .LBB298_2091
; %bb.1576:                             ;   in Loop: Header=BB298_1074 Depth=1
	s_or_saveexec_b64 s[20:21], s[20:21]
	v_mov_b32_e32 v27, s24
	s_xor_b64 exec, exec, s[20:21]
	s_cbranch_execnz .LBB298_2094
.LBB298_1577:                           ;   in Loop: Header=BB298_1074 Depth=1
	s_or_b64 exec, exec, s[20:21]
	s_and_saveexec_b64 s[20:21], s[2:3]
	s_cbranch_execz .LBB298_1579
.LBB298_1578:                           ;   in Loop: Header=BB298_1074 Depth=1
	v_bfe_u32 v27, v59, 16, 3
	v_ffbh_u32_e32 v44, v27
	v_min_u32_e32 v58, 32, v44
	v_subrev_u32_e32 v44, 28, v58
	v_bfe_u32 v57, v59, 19, 4
	v_lshlrev_b64 v[44:45], v44, v[20:21]
	v_sub_u32_e32 v45, 29, v58
	v_cmp_eq_u32_e64 s[2:3], 0, v57
	v_and_b32_e32 v44, 7, v44
	v_lshlrev_b32_e32 v20, 8, v20
	v_cndmask_b32_e64 v45, v57, v45, s[2:3]
	v_cndmask_b32_e64 v27, v27, v44, s[2:3]
	v_lshl_add_u32 v44, v45, 10, v19
	v_and_or_b32 v20, v20, s26, v44
	v_lshl_or_b32 v20, v27, 7, v20
	v_cvt_f32_f16_e32 v27, v20
.LBB298_1579:                           ;   in Loop: Header=BB298_1074 Depth=1
	s_or_b64 exec, exec, s[20:21]
	v_lshrrev_b32_e32 v20, 24, v59
	v_cmp_lt_i16_e64 s[2:3], s5, v20
	s_mov_b64 s[20:21], 0
                                        ; implicit-def: $sgpr31
	s_and_saveexec_b64 s[22:23], s[2:3]
	s_xor_b64 s[22:23], exec, s[22:23]
	s_cbranch_execnz .LBB298_2095
; %bb.1580:                             ;   in Loop: Header=BB298_1074 Depth=1
	s_or_saveexec_b64 s[22:23], s[22:23]
	v_mov_b32_e32 v57, s31
	s_xor_b64 exec, exec, s[22:23]
	s_cbranch_execnz .LBB298_2098
.LBB298_1581:                           ;   in Loop: Header=BB298_1074 Depth=1
	s_or_b64 exec, exec, s[22:23]
	s_and_saveexec_b64 s[22:23], s[20:21]
	s_cbranch_execz .LBB298_1583
.LBB298_1582:                           ;   in Loop: Header=BB298_1074 Depth=1
	v_bfe_u32 v57, v59, 24, 3
	v_ffbh_u32_e32 v44, v57
	v_bfe_u32 v58, v59, 27, 4
	v_min_u32_e32 v59, 32, v44
	v_subrev_u32_e32 v44, 28, v59
	v_lshlrev_b64 v[44:45], v44, v[20:21]
	v_sub_u32_e32 v45, 29, v59
	v_cmp_eq_u32_e64 s[2:3], 0, v58
	v_and_b32_e32 v44, 7, v44
	v_lshlrev_b32_e32 v20, 8, v20
	v_cndmask_b32_e64 v45, v58, v45, s[2:3]
	v_lshl_add_u32 v45, v45, 10, v19
	v_cndmask_b32_e64 v44, v57, v44, s[2:3]
	v_and_or_b32 v20, v20, s26, v45
	v_lshl_or_b32 v20, v44, 7, v20
	v_cvt_f32_f16_e32 v57, v20
.LBB298_1583:                           ;   in Loop: Header=BB298_1074 Depth=1
	s_or_b64 exec, exec, s[22:23]
	s_waitcnt vmcnt(0) lgkmcnt(0)
	v_pk_mul_f32 v[4:5], v[56:57], v[4:5] op_sel_hi:[0,1]
	v_pk_mul_f32 v[44:45], v[56:57], v[46:47] op_sel_hi:[0,1]
	v_cvt_f16_f32_e32 v5, v5
	v_cvt_f16_f32_e32 v4, v4
	;; [unrolled: 1-line block ×4, first 2 shown]
	v_fma_mixlo_f16 v16, v56, v16, 0
	v_pack_b32_f16 v5, v4, v5
	v_pack_b32_f16 v20, v44, v20
	v_perm_b32 v4, v20, v5, s28
	v_perm_b32 v20, v20, v5, s29
	v_fma_mixlo_f16 v5, v56, v26, 0
	v_lshlrev_b32_e32 v5, 16, v5
	v_or_b32_sdwa v5, v5, v16 dst_sel:DWORD dst_unused:UNUSED_PAD src0_sel:DWORD src1_sel:WORD_0
	v_fma_mixlo_f16 v16, v56, v57, 0
	v_fma_mixlo_f16 v26, v56, v27, 0
	v_lshlrev_b32_e32 v16, 16, v16
	v_or_b32_sdwa v16, v16, v26 dst_sel:DWORD dst_unused:UNUSED_PAD src0_sel:DWORD src1_sel:WORD_0
	s_and_saveexec_b64 s[20:21], vcc
	s_cbranch_execz .LBB298_1585
; %bb.1584:                             ;   in Loop: Header=BB298_1074 Depth=1
	scratch_load_dwordx2 v[44:45], off, s32 offset:204 ; 8-byte Folded Reload
	v_lshrrev_b32_e32 v27, 16, v20
	v_cmp_lt_i32_e64 s[2:3], v41, v7
	v_lshrrev_b32_e32 v16, 16, v16
	s_nop 0
	v_cndmask_b32_e64 v27, 0, v27, s[2:3]
	s_waitcnt vmcnt(0)
	v_cmp_lt_i32_e64 s[2:3], v38, v44
	s_nop 1
	v_cndmask_b32_e64 v20, 0, v20, s[2:3]
	v_perm_b32 v20, v27, v20, s30
	v_lshrrev_b32_e32 v27, 16, v4
	v_cmp_lt_i32_e64 s[2:3], v40, v7
	s_nop 1
	v_cndmask_b32_e64 v27, 0, v27, s[2:3]
	v_cmp_lt_i32_e64 s[2:3], v55, v44
	s_nop 1
	v_cndmask_b32_e64 v4, 0, v4, s[2:3]
	v_perm_b32 v4, v27, v4, s30
	v_lshrrev_b32_e32 v27, 16, v5
	v_cmp_lt_i32_e64 s[2:3], v52, v7
	s_nop 1
	v_cndmask_b32_e64 v27, 0, v27, s[2:3]
	v_cmp_lt_i32_e64 s[2:3], v50, v44
	s_nop 1
	v_cndmask_b32_e64 v5, 0, v5, s[2:3]
	v_cmp_lt_i32_e64 s[2:3], v62, v7
	v_perm_b32 v5, v27, v5, s30
	s_nop 0
	v_cndmask_b32_e64 v16, 0, v16, s[2:3]
	v_cmp_lt_i32_e64 s[2:3], v22, v44
	s_nop 1
	v_cndmask_b32_e64 v26, 0, v26, s[2:3]
	v_perm_b32 v16, v16, v26, s30
.LBB298_1585:                           ;   in Loop: Header=BB298_1074 Depth=1
	s_or_b64 exec, exec, s[20:21]
	;;#ASMSTART
	v_pk_mul_f16 v20, v54, v20;

	;;#ASMEND
	;;#ASMSTART
	v_pk_mul_f16 v4, v53, v4;

	;;#ASMEND
	;; [unrolled: 4-line block ×4, first 2 shown]
	s_mov_b64 s[2:3], 0
	;;#ASMSTART
	v_pk_add_f16 v4, v20, v4;

	;;#ASMEND
                                        ; implicit-def: $sgpr24
	s_nop 0
	;;#ASMSTART
	v_pk_add_f16 v4, v4, v5;

	;;#ASMEND
	s_nop 0
	;;#ASMSTART
	v_pk_add_f16 v4, v4, v16;

	;;#ASMEND
	s_nop 0
	v_lshrrev_b32_e32 v5, 16, v4
	v_and_b32_e32 v4, 0xffff, v4
	;;#ASMSTART
	v_cvt_f32_f16 v16, v4;
	;;#ASMEND
	;;#ASMSTART
	v_cvt_f32_f16 v26, v5;
	;;#ASMEND
	v_accvgpr_read_b32 v4, a44
	v_accvgpr_read_b32 v5, a45
	v_lshl_add_u64 v[4:5], v[32:33], 0, v[4:5]
	flat_load_dwordx2 v[56:57], v[4:5]
	s_nop 0
	scratch_load_dwordx2 v[4:5], off, s32 offset:196 ; 8-byte Folded Reload
	s_waitcnt vmcnt(0) lgkmcnt(0)
	v_cmp_gt_i16_sdwa s[20:21], v56, s5 src0_sel:BYTE_0 src1_sel:DWORD
	flat_load_dword v32, v[4:5]
	s_and_saveexec_b64 s[22:23], s[20:21]
	s_xor_b64 s[20:21], exec, s[22:23]
	s_cbranch_execnz .LBB298_2099
; %bb.1586:                             ;   in Loop: Header=BB298_1074 Depth=1
	s_or_saveexec_b64 s[20:21], s[20:21]
	v_mov_b32_e32 v46, s24
	s_xor_b64 exec, exec, s[20:21]
	s_cbranch_execnz .LBB298_2102
.LBB298_1587:                           ;   in Loop: Header=BB298_1074 Depth=1
	s_or_b64 exec, exec, s[20:21]
	s_and_saveexec_b64 s[20:21], s[2:3]
	s_cbranch_execz .LBB298_1589
.LBB298_1588:                           ;   in Loop: Header=BB298_1074 Depth=1
	v_and_b32_e32 v4, 7, v56
	v_ffbh_u32_e32 v4, v4
	v_bfe_u32 v5, v56, 3, 4
	v_min_u32_e32 v4, 32, v4
	v_subrev_u32_e32 v20, 28, v4
	v_sub_u32_e32 v4, 29, v4
	v_cmp_eq_u32_e64 s[2:3], 0, v5
	s_nop 1
	v_cndmask_b32_e64 v27, v5, v4, s[2:3]
	v_cndmask_b32_e64 v4, 0, v20, s[2:3]
	v_lshlrev_b64 v[4:5], v4, v[56:57]
	v_lshlrev_b32_e32 v5, 8, v56
	v_lshl_add_u32 v20, v27, 10, v19
	v_lshlrev_b32_e32 v4, 7, v4
	v_and_or_b32 v5, v5, s26, v20
	v_and_or_b32 v4, v4, s27, v5
	v_cvt_f32_f16_e32 v46, v4
.LBB298_1589:                           ;   in Loop: Header=BB298_1074 Depth=1
	s_or_b64 exec, exec, s[20:21]
	v_lshrrev_b16_e32 v20, 8, v56
	v_cmp_lt_i16_e64 s[2:3], s5, v20
	s_mov_b64 s[20:21], 0
                                        ; implicit-def: $sgpr31
	s_and_saveexec_b64 s[22:23], s[2:3]
	s_xor_b64 s[22:23], exec, s[22:23]
	s_cbranch_execnz .LBB298_2103
; %bb.1590:                             ;   in Loop: Header=BB298_1074 Depth=1
	s_or_saveexec_b64 s[22:23], s[22:23]
	v_mov_b32_e32 v4, s31
	s_xor_b64 exec, exec, s[22:23]
	s_cbranch_execnz .LBB298_2106
.LBB298_1591:                           ;   in Loop: Header=BB298_1074 Depth=1
	s_or_b64 exec, exec, s[22:23]
	s_and_saveexec_b64 s[22:23], s[20:21]
	s_cbranch_execz .LBB298_1593
.LBB298_1592:                           ;   in Loop: Header=BB298_1074 Depth=1
	v_and_b32_e32 v27, 7, v20
	v_ffbh_u32_e32 v4, v27
	v_min_u32_e32 v44, 32, v4
	v_subrev_u32_e32 v4, 28, v44
	v_bfe_u32 v33, v20, 3, 4
	v_lshlrev_b64 v[4:5], v4, v[20:21]
	v_sub_u32_e32 v5, 29, v44
	v_cmp_eq_u32_e64 s[2:3], 0, v33
	v_and_b32_e32 v4, 7, v4
	v_lshlrev_b32_e32 v20, 8, v20
	v_cndmask_b32_e64 v5, v33, v5, s[2:3]
	v_lshl_add_u32 v5, v5, 10, v19
	v_cndmask_b32_e64 v4, v27, v4, s[2:3]
	v_and_or_b32 v5, v20, s26, v5
	v_lshl_or_b32 v4, v4, 7, v5
	v_cvt_f32_f16_e32 v4, v4
.LBB298_1593:                           ;   in Loop: Header=BB298_1074 Depth=1
	s_or_b64 exec, exec, s[22:23]
	v_lshrrev_b32_e32 v20, 16, v56
	v_cmp_gt_i16_sdwa s[20:21], v20, s5 src0_sel:BYTE_0 src1_sel:DWORD
	s_mov_b64 s[2:3], 0
                                        ; implicit-def: $sgpr24
	s_and_saveexec_b64 s[22:23], s[20:21]
	s_xor_b64 s[20:21], exec, s[22:23]
	s_cbranch_execnz .LBB298_2107
; %bb.1594:                             ;   in Loop: Header=BB298_1074 Depth=1
	s_or_saveexec_b64 s[20:21], s[20:21]
	v_mov_b32_e32 v47, s24
	s_xor_b64 exec, exec, s[20:21]
	s_cbranch_execnz .LBB298_2110
.LBB298_1595:                           ;   in Loop: Header=BB298_1074 Depth=1
	s_or_b64 exec, exec, s[20:21]
	s_and_saveexec_b64 s[20:21], s[2:3]
	s_cbranch_execz .LBB298_1597
.LBB298_1596:                           ;   in Loop: Header=BB298_1074 Depth=1
	v_bfe_u32 v5, v56, 16, 3
	v_ffbh_u32_e32 v33, v5
	v_bfe_u32 v27, v56, 19, 4
	v_min_u32_e32 v33, 32, v33
	v_subrev_u32_e32 v44, 28, v33
	v_sub_u32_e32 v33, 29, v33
	v_cmp_eq_u32_e64 s[2:3], 0, v27
	v_lshlrev_b64 v[44:45], v44, v[20:21]
	v_and_b32_e32 v44, 7, v44
	v_cndmask_b32_e64 v27, v27, v33, s[2:3]
	v_lshlrev_b32_e32 v20, 8, v20
	v_lshl_add_u32 v27, v27, 10, v19
	v_cndmask_b32_e64 v5, v5, v44, s[2:3]
	v_and_or_b32 v20, v20, s26, v27
	v_lshl_or_b32 v5, v5, 7, v20
	v_cvt_f32_f16_e32 v47, v5
.LBB298_1597:                           ;   in Loop: Header=BB298_1074 Depth=1
	s_or_b64 exec, exec, s[20:21]
	v_lshrrev_b32_e32 v20, 24, v56
	v_cmp_lt_i16_e64 s[2:3], s5, v20
	s_mov_b64 s[20:21], 0
                                        ; implicit-def: $sgpr31
	s_and_saveexec_b64 s[22:23], s[2:3]
	s_xor_b64 s[22:23], exec, s[22:23]
	s_cbranch_execnz .LBB298_2111
; %bb.1598:                             ;   in Loop: Header=BB298_1074 Depth=1
	s_or_saveexec_b64 s[22:23], s[22:23]
	v_mov_b32_e32 v5, s31
	s_xor_b64 exec, exec, s[22:23]
	s_cbranch_execnz .LBB298_2114
.LBB298_1599:                           ;   in Loop: Header=BB298_1074 Depth=1
	s_or_b64 exec, exec, s[22:23]
	s_and_saveexec_b64 s[22:23], s[20:21]
	s_cbranch_execz .LBB298_1601
.LBB298_1600:                           ;   in Loop: Header=BB298_1074 Depth=1
	v_bfe_u32 v5, v56, 24, 3
	v_ffbh_u32_e32 v33, v5
	v_bfe_u32 v27, v56, 27, 4
	v_min_u32_e32 v33, 32, v33
	v_subrev_u32_e32 v44, 28, v33
	v_sub_u32_e32 v33, 29, v33
	v_cmp_eq_u32_e64 s[2:3], 0, v27
	v_lshlrev_b64 v[44:45], v44, v[20:21]
	v_and_b32_e32 v44, 7, v44
	v_cndmask_b32_e64 v27, v27, v33, s[2:3]
	v_lshlrev_b32_e32 v20, 8, v20
	v_lshl_add_u32 v27, v27, 10, v19
	v_cndmask_b32_e64 v5, v5, v44, s[2:3]
	v_and_or_b32 v20, v20, s26, v27
	v_lshl_or_b32 v5, v5, 7, v20
	v_cvt_f32_f16_e32 v5, v5
.LBB298_1601:                           ;   in Loop: Header=BB298_1074 Depth=1
	s_or_b64 exec, exec, s[22:23]
	v_cmp_gt_i16_sdwa s[20:21], v57, s5 src0_sel:BYTE_0 src1_sel:DWORD
	s_mov_b64 s[2:3], 0
                                        ; implicit-def: $sgpr24
	s_and_saveexec_b64 s[22:23], s[20:21]
	s_xor_b64 s[20:21], exec, s[22:23]
	s_cbranch_execnz .LBB298_2115
; %bb.1602:                             ;   in Loop: Header=BB298_1074 Depth=1
	s_or_saveexec_b64 s[20:21], s[20:21]
	v_mov_b32_e32 v27, s24
	s_xor_b64 exec, exec, s[20:21]
	s_cbranch_execnz .LBB298_2118
.LBB298_1603:                           ;   in Loop: Header=BB298_1074 Depth=1
	s_or_b64 exec, exec, s[20:21]
	v_mov_b32_e32 v20, v57
	s_and_saveexec_b64 s[20:21], s[2:3]
	s_cbranch_execz .LBB298_1605
.LBB298_1604:                           ;   in Loop: Header=BB298_1074 Depth=1
	v_and_b32_e32 v27, 7, v57
	v_ffbh_u32_e32 v27, v27
	v_bfe_u32 v33, v57, 3, 4
	v_min_u32_e32 v27, 32, v27
	v_subrev_u32_e32 v44, 28, v27
	v_sub_u32_e32 v27, 29, v27
	v_cmp_eq_u32_e64 s[2:3], 0, v33
	s_nop 1
	v_cndmask_b32_e64 v27, v33, v27, s[2:3]
	v_cndmask_b32_e64 v33, 0, v44, s[2:3]
	v_lshlrev_b64 v[44:45], v33, v[20:21]
	v_lshlrev_b32_e32 v33, 7, v44
	v_lshlrev_b32_e32 v44, 8, v57
	v_lshl_add_u32 v27, v27, 10, v19
	v_and_or_b32 v27, v44, s26, v27
	v_and_or_b32 v27, v33, s27, v27
	v_cvt_f32_f16_e32 v27, v27
.LBB298_1605:                           ;   in Loop: Header=BB298_1074 Depth=1
	s_or_b64 exec, exec, s[20:21]
	v_lshrrev_b16_e32 v20, 8, v20
	v_cmp_lt_i16_e64 s[2:3], s5, v20
	s_mov_b64 s[20:21], 0
                                        ; implicit-def: $sgpr31
	s_and_saveexec_b64 s[22:23], s[2:3]
	s_xor_b64 s[22:23], exec, s[22:23]
	s_cbranch_execnz .LBB298_2119
; %bb.1606:                             ;   in Loop: Header=BB298_1074 Depth=1
	s_or_saveexec_b64 s[22:23], s[22:23]
	v_mov_b32_e32 v33, s31
	s_xor_b64 exec, exec, s[22:23]
	s_cbranch_execnz .LBB298_2122
.LBB298_1607:                           ;   in Loop: Header=BB298_1074 Depth=1
	s_or_b64 exec, exec, s[22:23]
	s_and_saveexec_b64 s[22:23], s[20:21]
	s_cbranch_execz .LBB298_1609
.LBB298_1608:                           ;   in Loop: Header=BB298_1074 Depth=1
	v_and_b32_e32 v33, 7, v20
	v_ffbh_u32_e32 v44, v33
	v_min_u32_e32 v58, 32, v44
	v_subrev_u32_e32 v44, 28, v58
	v_bfe_u32 v56, v20, 3, 4
	v_lshlrev_b64 v[44:45], v44, v[20:21]
	v_sub_u32_e32 v45, 29, v58
	v_cmp_eq_u32_e64 s[2:3], 0, v56
	v_and_b32_e32 v44, 7, v44
	v_lshlrev_b32_e32 v20, 8, v20
	v_cndmask_b32_e64 v45, v56, v45, s[2:3]
	v_cndmask_b32_e64 v33, v33, v44, s[2:3]
	v_lshl_add_u32 v44, v45, 10, v19
	v_and_or_b32 v20, v20, s26, v44
	v_lshl_or_b32 v20, v33, 7, v20
	v_cvt_f32_f16_e32 v33, v20
.LBB298_1609:                           ;   in Loop: Header=BB298_1074 Depth=1
	s_or_b64 exec, exec, s[22:23]
	v_lshrrev_b32_e32 v20, 16, v57
	v_cmp_gt_i16_sdwa s[20:21], v20, s5 src0_sel:BYTE_0 src1_sel:DWORD
	s_mov_b64 s[2:3], 0
                                        ; implicit-def: $sgpr24
	s_and_saveexec_b64 s[22:23], s[20:21]
	s_xor_b64 s[20:21], exec, s[22:23]
	s_cbranch_execnz .LBB298_2123
; %bb.1610:                             ;   in Loop: Header=BB298_1074 Depth=1
	s_or_saveexec_b64 s[20:21], s[20:21]
	v_mov_b32_e32 v56, s24
	s_xor_b64 exec, exec, s[20:21]
	s_cbranch_execnz .LBB298_2126
.LBB298_1611:                           ;   in Loop: Header=BB298_1074 Depth=1
	s_or_b64 exec, exec, s[20:21]
	s_and_saveexec_b64 s[20:21], s[2:3]
	s_cbranch_execz .LBB298_1613
.LBB298_1612:                           ;   in Loop: Header=BB298_1074 Depth=1
	v_bfe_u32 v56, v57, 16, 3
	v_ffbh_u32_e32 v44, v56
	v_min_u32_e32 v59, 32, v44
	v_subrev_u32_e32 v44, 28, v59
	v_bfe_u32 v58, v57, 19, 4
	v_lshlrev_b64 v[44:45], v44, v[20:21]
	v_sub_u32_e32 v45, 29, v59
	v_cmp_eq_u32_e64 s[2:3], 0, v58
	v_and_b32_e32 v44, 7, v44
	v_lshlrev_b32_e32 v20, 8, v20
	v_cndmask_b32_e64 v45, v58, v45, s[2:3]
	v_lshl_add_u32 v45, v45, 10, v19
	v_cndmask_b32_e64 v44, v56, v44, s[2:3]
	v_and_or_b32 v20, v20, s26, v45
	v_lshl_or_b32 v20, v44, 7, v20
	v_cvt_f32_f16_e32 v56, v20
.LBB298_1613:                           ;   in Loop: Header=BB298_1074 Depth=1
	s_or_b64 exec, exec, s[20:21]
	v_lshrrev_b32_e32 v20, 24, v57
	v_cmp_lt_i16_e64 s[2:3], s5, v20
	s_mov_b64 s[20:21], 0
                                        ; implicit-def: $sgpr31
	s_and_saveexec_b64 s[22:23], s[2:3]
	s_xor_b64 s[22:23], exec, s[22:23]
	s_cbranch_execnz .LBB298_2127
; %bb.1614:                             ;   in Loop: Header=BB298_1074 Depth=1
	s_or_saveexec_b64 s[22:23], s[22:23]
	v_mov_b32_e32 v58, s31
	s_xor_b64 exec, exec, s[22:23]
	s_cbranch_execnz .LBB298_2130
.LBB298_1615:                           ;   in Loop: Header=BB298_1074 Depth=1
	s_or_b64 exec, exec, s[22:23]
	s_and_saveexec_b64 s[22:23], s[20:21]
	s_cbranch_execz .LBB298_1617
.LBB298_1616:                           ;   in Loop: Header=BB298_1074 Depth=1
	v_bfe_u32 v58, v57, 24, 3
	v_ffbh_u32_e32 v44, v58
	v_min_u32_e32 v59, 32, v44
	v_subrev_u32_e32 v44, 28, v59
	v_bfe_u32 v57, v57, 27, 4
	v_lshlrev_b64 v[44:45], v44, v[20:21]
	v_sub_u32_e32 v45, 29, v59
	v_cmp_eq_u32_e64 s[2:3], 0, v57
	v_and_b32_e32 v44, 7, v44
	v_lshlrev_b32_e32 v20, 8, v20
	v_cndmask_b32_e64 v45, v57, v45, s[2:3]
	v_lshl_add_u32 v45, v45, 10, v19
	v_cndmask_b32_e64 v44, v58, v44, s[2:3]
	v_and_or_b32 v20, v20, s26, v45
	v_lshl_or_b32 v20, v44, 7, v20
	v_cvt_f32_f16_e32 v58, v20
.LBB298_1617:                           ;   in Loop: Header=BB298_1074 Depth=1
	s_or_b64 exec, exec, s[22:23]
	s_waitcnt vmcnt(0) lgkmcnt(0)
	v_pk_mul_f32 v[4:5], v[32:33], v[4:5] op_sel_hi:[0,1]
	v_pk_mul_f32 v[44:45], v[32:33], v[46:47] op_sel_hi:[0,1]
	v_cvt_f16_f32_e32 v5, v5
	v_cvt_f16_f32_e32 v4, v4
	;; [unrolled: 1-line block ×4, first 2 shown]
	v_fma_mixlo_f16 v27, v32, v27, 0
	v_pack_b32_f16 v5, v4, v5
	v_pack_b32_f16 v20, v44, v20
	v_perm_b32 v4, v20, v5, s28
	v_perm_b32 v20, v20, v5, s29
	v_fma_mixlo_f16 v5, v32, v33, 0
	v_lshlrev_b32_e32 v5, 16, v5
	v_or_b32_sdwa v5, v5, v27 dst_sel:DWORD dst_unused:UNUSED_PAD src0_sel:DWORD src1_sel:WORD_0
	v_fma_mixlo_f16 v27, v32, v58, 0
	v_fma_mixlo_f16 v33, v32, v56, 0
	v_lshlrev_b32_e32 v27, 16, v27
	v_or_b32_sdwa v27, v27, v33 dst_sel:DWORD dst_unused:UNUSED_PAD src0_sel:DWORD src1_sel:WORD_0
	s_and_saveexec_b64 s[2:3], vcc
	s_cbranch_execz .LBB298_1072
; %bb.1618:                             ;   in Loop: Header=BB298_1074 Depth=1
	scratch_load_dwordx2 v[44:45], off, s32 offset:204 ; 8-byte Folded Reload
	v_lshrrev_b32_e32 v32, 16, v20
	v_cmp_lt_i32_e32 vcc, v41, v7
	v_lshrrev_b32_e32 v27, 16, v27
	s_nop 0
	v_cndmask_b32_e32 v32, 0, v32, vcc
	s_waitcnt vmcnt(0)
	v_cmp_lt_i32_e32 vcc, v38, v44
	s_nop 1
	v_cndmask_b32_e32 v20, 0, v20, vcc
	v_perm_b32 v20, v32, v20, s30
	v_lshrrev_b32_e32 v32, 16, v4
	v_cmp_lt_i32_e32 vcc, v40, v7
	s_nop 1
	v_cndmask_b32_e32 v32, 0, v32, vcc
	v_cmp_lt_i32_e32 vcc, v55, v44
	s_nop 1
	v_cndmask_b32_e32 v4, 0, v4, vcc
	v_perm_b32 v4, v32, v4, s30
	v_lshrrev_b32_e32 v32, 16, v5
	v_cmp_lt_i32_e32 vcc, v52, v7
	s_nop 1
	v_cndmask_b32_e32 v32, 0, v32, vcc
	v_cmp_lt_i32_e32 vcc, v50, v44
	s_nop 1
	v_cndmask_b32_e32 v5, 0, v5, vcc
	v_cmp_lt_i32_e32 vcc, v62, v7
	v_perm_b32 v5, v32, v5, s30
	s_nop 0
	v_cndmask_b32_e32 v27, 0, v27, vcc
	v_cmp_lt_i32_e32 vcc, v22, v44
	s_nop 1
	v_cndmask_b32_e32 v22, 0, v33, vcc
	v_perm_b32 v27, v27, v22, s30
	s_branch .LBB298_1072
.LBB298_1619:                           ;   in Loop: Header=BB298_1074 Depth=1
	v_cmp_eq_u16_sdwa vcc, v60, s15 src0_sel:BYTE_0 src1_sel:DWORD
	s_mov_b64 s[2:3], -1
                                        ; implicit-def: $sgpr24
	s_and_saveexec_b64 s[22:23], vcc
; %bb.1620:                             ;   in Loop: Header=BB298_1074 Depth=1
	s_mov_b32 s24, 0x7fc02000
	s_xor_b64 s[2:3], exec, -1
; %bb.1621:                             ;   in Loop: Header=BB298_1074 Depth=1
	s_or_b64 exec, exec, s[22:23]
	s_and_b64 s[2:3], s[2:3], exec
	s_or_saveexec_b64 s[20:21], s[20:21]
	v_mov_b32_e32 v46, s24
	s_xor_b64 exec, exec, s[20:21]
	s_cbranch_execz .LBB298_1077
.LBB298_1622:                           ;   in Loop: Header=BB298_1074 Depth=1
	v_cmp_ne_u16_sdwa s[22:23], v60, v21 src0_sel:BYTE_0 src1_sel:DWORD
	s_andn2_b64 s[2:3], s[2:3], exec
	s_and_b64 s[22:23], s[22:23], exec
	v_mov_b32_e32 v46, 0
	s_or_b64 s[2:3], s[2:3], s[22:23]
	s_or_b64 exec, exec, s[20:21]
	s_and_saveexec_b64 s[20:21], s[2:3]
	s_cbranch_execnz .LBB298_1078
	s_branch .LBB298_1079
.LBB298_1623:                           ;   in Loop: Header=BB298_1074 Depth=1
	v_cmp_eq_u16_e32 vcc, s15, v20
	s_mov_b64 s[2:3], -1
                                        ; implicit-def: $sgpr24
	s_and_saveexec_b64 s[22:23], vcc
; %bb.1624:                             ;   in Loop: Header=BB298_1074 Depth=1
	s_mov_b32 s24, 0x7fc02000
	s_xor_b64 s[2:3], exec, -1
; %bb.1625:                             ;   in Loop: Header=BB298_1074 Depth=1
	s_or_b64 exec, exec, s[22:23]
	s_and_b64 s[2:3], s[2:3], exec
	s_or_saveexec_b64 s[20:21], s[20:21]
	v_mov_b32_e32 v4, s24
	s_xor_b64 exec, exec, s[20:21]
	s_cbranch_execz .LBB298_1081
.LBB298_1626:                           ;   in Loop: Header=BB298_1074 Depth=1
	v_cmp_ne_u16_e32 vcc, 0, v20
	s_andn2_b64 s[2:3], s[2:3], exec
	s_and_b64 s[22:23], vcc, exec
	v_mov_b32_e32 v4, 0
	s_or_b64 s[2:3], s[2:3], s[22:23]
	s_or_b64 exec, exec, s[20:21]
	s_and_saveexec_b64 s[20:21], s[2:3]
	s_cbranch_execnz .LBB298_1082
	s_branch .LBB298_1083
.LBB298_1627:                           ;   in Loop: Header=BB298_1074 Depth=1
	v_cmp_eq_u16_sdwa vcc, v20, s15 src0_sel:BYTE_0 src1_sel:DWORD
	s_mov_b64 s[2:3], -1
                                        ; implicit-def: $sgpr24
	s_and_saveexec_b64 s[22:23], vcc
; %bb.1628:                             ;   in Loop: Header=BB298_1074 Depth=1
	s_mov_b32 s24, 0x7fc02000
	s_xor_b64 s[2:3], exec, -1
; %bb.1629:                             ;   in Loop: Header=BB298_1074 Depth=1
	s_or_b64 exec, exec, s[22:23]
	s_and_b64 s[2:3], s[2:3], exec
	s_or_saveexec_b64 s[20:21], s[20:21]
	v_mov_b32_e32 v47, s24
	s_xor_b64 exec, exec, s[20:21]
	s_cbranch_execz .LBB298_1085
.LBB298_1630:                           ;   in Loop: Header=BB298_1074 Depth=1
	v_cmp_ne_u16_sdwa s[22:23], v20, v21 src0_sel:BYTE_0 src1_sel:DWORD
	s_andn2_b64 s[2:3], s[2:3], exec
	s_and_b64 s[22:23], s[22:23], exec
	v_mov_b32_e32 v47, 0
	s_or_b64 s[2:3], s[2:3], s[22:23]
	s_or_b64 exec, exec, s[20:21]
	s_and_saveexec_b64 s[20:21], s[2:3]
	s_cbranch_execnz .LBB298_1086
	s_branch .LBB298_1087
.LBB298_1631:                           ;   in Loop: Header=BB298_1074 Depth=1
	v_cmp_eq_u16_e32 vcc, s15, v20
	s_mov_b64 s[2:3], -1
                                        ; implicit-def: $sgpr24
	s_and_saveexec_b64 s[22:23], vcc
; %bb.1632:                             ;   in Loop: Header=BB298_1074 Depth=1
	s_mov_b32 s24, 0x7fc02000
	s_xor_b64 s[2:3], exec, -1
; %bb.1633:                             ;   in Loop: Header=BB298_1074 Depth=1
	s_or_b64 exec, exec, s[22:23]
	s_and_b64 s[2:3], s[2:3], exec
	s_or_saveexec_b64 s[20:21], s[20:21]
	v_mov_b32_e32 v5, s24
	s_xor_b64 exec, exec, s[20:21]
	s_cbranch_execz .LBB298_1089
.LBB298_1634:                           ;   in Loop: Header=BB298_1074 Depth=1
	v_cmp_ne_u16_e32 vcc, 0, v20
	s_andn2_b64 s[2:3], s[2:3], exec
	s_and_b64 s[22:23], vcc, exec
	v_mov_b32_e32 v5, 0
	s_or_b64 s[2:3], s[2:3], s[22:23]
	s_or_b64 exec, exec, s[20:21]
	s_and_saveexec_b64 s[20:21], s[2:3]
	s_cbranch_execnz .LBB298_1090
	s_branch .LBB298_1091
.LBB298_1635:                           ;   in Loop: Header=BB298_1074 Depth=1
	v_cmp_eq_u16_sdwa vcc, v61, s15 src0_sel:BYTE_0 src1_sel:DWORD
	s_mov_b64 s[2:3], -1
                                        ; implicit-def: $sgpr24
	s_and_saveexec_b64 s[22:23], vcc
; %bb.1636:                             ;   in Loop: Header=BB298_1074 Depth=1
	s_mov_b32 s24, 0x7fc02000
	s_xor_b64 s[2:3], exec, -1
; %bb.1637:                             ;   in Loop: Header=BB298_1074 Depth=1
	s_or_b64 exec, exec, s[22:23]
	s_and_b64 s[2:3], s[2:3], exec
	s_or_saveexec_b64 s[20:21], s[20:21]
	v_mov_b32_e32 v22, s24
	s_xor_b64 exec, exec, s[20:21]
	s_cbranch_execz .LBB298_1093
.LBB298_1638:                           ;   in Loop: Header=BB298_1074 Depth=1
	v_cmp_ne_u16_sdwa s[22:23], v61, v21 src0_sel:BYTE_0 src1_sel:DWORD
	s_andn2_b64 s[2:3], s[2:3], exec
	s_and_b64 s[22:23], s[22:23], exec
	v_mov_b32_e32 v22, 0
	s_or_b64 s[2:3], s[2:3], s[22:23]
	s_or_b64 exec, exec, s[20:21]
	v_mov_b32_e32 v20, v61
	s_and_saveexec_b64 s[20:21], s[2:3]
	s_cbranch_execnz .LBB298_1094
	s_branch .LBB298_1095
.LBB298_1639:                           ;   in Loop: Header=BB298_1074 Depth=1
	v_cmp_eq_u16_e32 vcc, s15, v20
	s_mov_b64 s[2:3], -1
                                        ; implicit-def: $sgpr24
	s_and_saveexec_b64 s[22:23], vcc
; %bb.1640:                             ;   in Loop: Header=BB298_1074 Depth=1
	s_mov_b32 s24, 0x7fc02000
	s_xor_b64 s[2:3], exec, -1
; %bb.1641:                             ;   in Loop: Header=BB298_1074 Depth=1
	s_or_b64 exec, exec, s[22:23]
	s_and_b64 s[2:3], s[2:3], exec
	s_or_saveexec_b64 s[20:21], s[20:21]
	v_mov_b32_e32 v29, s24
	s_xor_b64 exec, exec, s[20:21]
	s_cbranch_execz .LBB298_1097
.LBB298_1642:                           ;   in Loop: Header=BB298_1074 Depth=1
	v_cmp_ne_u16_e32 vcc, 0, v20
	s_andn2_b64 s[2:3], s[2:3], exec
	s_and_b64 s[22:23], vcc, exec
	v_mov_b32_e32 v29, 0
	s_or_b64 s[2:3], s[2:3], s[22:23]
	s_or_b64 exec, exec, s[20:21]
	s_and_saveexec_b64 s[20:21], s[2:3]
	s_cbranch_execnz .LBB298_1098
	s_branch .LBB298_1099
.LBB298_1643:                           ;   in Loop: Header=BB298_1074 Depth=1
	v_cmp_eq_u16_sdwa vcc, v20, s15 src0_sel:BYTE_0 src1_sel:DWORD
	s_mov_b64 s[2:3], -1
                                        ; implicit-def: $sgpr24
	s_and_saveexec_b64 s[22:23], vcc
; %bb.1644:                             ;   in Loop: Header=BB298_1074 Depth=1
	s_mov_b32 s24, 0x7fc02000
	s_xor_b64 s[2:3], exec, -1
; %bb.1645:                             ;   in Loop: Header=BB298_1074 Depth=1
	s_or_b64 exec, exec, s[22:23]
	s_and_b64 s[2:3], s[2:3], exec
	s_or_saveexec_b64 s[20:21], s[20:21]
	v_mov_b32_e32 v30, s24
	s_xor_b64 exec, exec, s[20:21]
	s_cbranch_execz .LBB298_1101
.LBB298_1646:                           ;   in Loop: Header=BB298_1074 Depth=1
	v_cmp_ne_u16_sdwa s[22:23], v20, v21 src0_sel:BYTE_0 src1_sel:DWORD
	s_andn2_b64 s[2:3], s[2:3], exec
	s_and_b64 s[22:23], s[22:23], exec
	v_mov_b32_e32 v30, 0
	s_or_b64 s[2:3], s[2:3], s[22:23]
	s_or_b64 exec, exec, s[20:21]
	s_and_saveexec_b64 s[20:21], s[2:3]
	s_cbranch_execnz .LBB298_1102
	s_branch .LBB298_1103
.LBB298_1647:                           ;   in Loop: Header=BB298_1074 Depth=1
	v_cmp_eq_u16_e32 vcc, s15, v20
	s_mov_b64 s[2:3], -1
                                        ; implicit-def: $sgpr24
	s_and_saveexec_b64 s[22:23], vcc
; %bb.1648:                             ;   in Loop: Header=BB298_1074 Depth=1
	s_mov_b32 s24, 0x7fc02000
	s_xor_b64 s[2:3], exec, -1
; %bb.1649:                             ;   in Loop: Header=BB298_1074 Depth=1
	s_or_b64 exec, exec, s[22:23]
	s_and_b64 s[2:3], s[2:3], exec
	s_or_saveexec_b64 s[20:21], s[20:21]
	v_mov_b32_e32 v31, s24
	s_xor_b64 exec, exec, s[20:21]
	s_cbranch_execz .LBB298_1105
.LBB298_1650:                           ;   in Loop: Header=BB298_1074 Depth=1
	v_cmp_ne_u16_e32 vcc, 0, v20
	s_andn2_b64 s[2:3], s[2:3], exec
	s_and_b64 s[22:23], vcc, exec
	v_mov_b32_e32 v31, 0
	s_or_b64 s[2:3], s[2:3], s[22:23]
	s_or_b64 exec, exec, s[20:21]
	s_and_saveexec_b64 s[20:21], s[2:3]
	s_cbranch_execnz .LBB298_1106
	s_branch .LBB298_1107
.LBB298_1651:                           ;   in Loop: Header=BB298_1074 Depth=1
	v_cmp_eq_u16_sdwa s[34:35], v60, s15 src0_sel:BYTE_0 src1_sel:DWORD
	s_mov_b64 s[2:3], -1
                                        ; implicit-def: $sgpr24
	s_and_saveexec_b64 s[22:23], s[34:35]
; %bb.1652:                             ;   in Loop: Header=BB298_1074 Depth=1
	s_mov_b32 s24, 0x7fc02000
	s_xor_b64 s[2:3], exec, -1
; %bb.1653:                             ;   in Loop: Header=BB298_1074 Depth=1
	s_or_b64 exec, exec, s[22:23]
	s_and_b64 s[2:3], s[2:3], exec
	s_or_saveexec_b64 s[20:21], s[20:21]
	v_mov_b32_e32 v46, s24
	s_xor_b64 exec, exec, s[20:21]
	s_cbranch_execz .LBB298_1111
.LBB298_1654:                           ;   in Loop: Header=BB298_1074 Depth=1
	v_cmp_ne_u16_sdwa s[22:23], v60, v21 src0_sel:BYTE_0 src1_sel:DWORD
	s_andn2_b64 s[2:3], s[2:3], exec
	s_and_b64 s[22:23], s[22:23], exec
	v_mov_b32_e32 v46, 0
	s_or_b64 s[2:3], s[2:3], s[22:23]
	s_or_b64 exec, exec, s[20:21]
	s_and_saveexec_b64 s[20:21], s[2:3]
	s_cbranch_execnz .LBB298_1112
	s_branch .LBB298_1113
.LBB298_1655:                           ;   in Loop: Header=BB298_1074 Depth=1
	v_cmp_eq_u16_e64 s[2:3], s15, v20
	s_mov_b64 s[20:21], -1
                                        ; implicit-def: $sgpr31
	s_and_saveexec_b64 s[24:25], s[2:3]
; %bb.1656:                             ;   in Loop: Header=BB298_1074 Depth=1
	s_mov_b32 s31, 0x7fc02000
	s_xor_b64 s[20:21], exec, -1
; %bb.1657:                             ;   in Loop: Header=BB298_1074 Depth=1
	s_or_b64 exec, exec, s[24:25]
	s_and_b64 s[20:21], s[20:21], exec
	s_or_saveexec_b64 s[22:23], s[22:23]
	v_mov_b32_e32 v4, s31
	s_xor_b64 exec, exec, s[22:23]
	s_cbranch_execz .LBB298_1115
.LBB298_1658:                           ;   in Loop: Header=BB298_1074 Depth=1
	v_cmp_ne_u16_e64 s[2:3], 0, v20
	s_andn2_b64 s[20:21], s[20:21], exec
	s_and_b64 s[2:3], s[2:3], exec
	v_mov_b32_e32 v4, 0
	s_or_b64 s[20:21], s[20:21], s[2:3]
	s_or_b64 exec, exec, s[22:23]
	s_and_saveexec_b64 s[22:23], s[20:21]
	s_cbranch_execnz .LBB298_1116
	s_branch .LBB298_1117
.LBB298_1659:                           ;   in Loop: Header=BB298_1074 Depth=1
	v_cmp_eq_u16_sdwa s[34:35], v20, s15 src0_sel:BYTE_0 src1_sel:DWORD
	s_mov_b64 s[2:3], -1
                                        ; implicit-def: $sgpr24
	s_and_saveexec_b64 s[22:23], s[34:35]
; %bb.1660:                             ;   in Loop: Header=BB298_1074 Depth=1
	s_mov_b32 s24, 0x7fc02000
	s_xor_b64 s[2:3], exec, -1
; %bb.1661:                             ;   in Loop: Header=BB298_1074 Depth=1
	s_or_b64 exec, exec, s[22:23]
	s_and_b64 s[2:3], s[2:3], exec
	s_or_saveexec_b64 s[20:21], s[20:21]
	v_mov_b32_e32 v47, s24
	s_xor_b64 exec, exec, s[20:21]
	s_cbranch_execz .LBB298_1119
.LBB298_1662:                           ;   in Loop: Header=BB298_1074 Depth=1
	v_cmp_ne_u16_sdwa s[22:23], v20, v21 src0_sel:BYTE_0 src1_sel:DWORD
	s_andn2_b64 s[2:3], s[2:3], exec
	s_and_b64 s[22:23], s[22:23], exec
	v_mov_b32_e32 v47, 0
	s_or_b64 s[2:3], s[2:3], s[22:23]
	s_or_b64 exec, exec, s[20:21]
	s_and_saveexec_b64 s[20:21], s[2:3]
	s_cbranch_execnz .LBB298_1120
	s_branch .LBB298_1121
.LBB298_1663:                           ;   in Loop: Header=BB298_1074 Depth=1
	v_cmp_eq_u16_e64 s[2:3], s15, v20
	s_mov_b64 s[20:21], -1
                                        ; implicit-def: $sgpr31
	s_and_saveexec_b64 s[24:25], s[2:3]
; %bb.1664:                             ;   in Loop: Header=BB298_1074 Depth=1
	s_mov_b32 s31, 0x7fc02000
	s_xor_b64 s[20:21], exec, -1
; %bb.1665:                             ;   in Loop: Header=BB298_1074 Depth=1
	s_or_b64 exec, exec, s[24:25]
	s_and_b64 s[20:21], s[20:21], exec
	s_or_saveexec_b64 s[22:23], s[22:23]
	v_mov_b32_e32 v5, s31
	s_xor_b64 exec, exec, s[22:23]
	s_cbranch_execz .LBB298_1123
.LBB298_1666:                           ;   in Loop: Header=BB298_1074 Depth=1
	v_cmp_ne_u16_e64 s[2:3], 0, v20
	s_andn2_b64 s[20:21], s[20:21], exec
	s_and_b64 s[2:3], s[2:3], exec
	v_mov_b32_e32 v5, 0
	s_or_b64 s[20:21], s[20:21], s[2:3]
	s_or_b64 exec, exec, s[22:23]
	s_and_saveexec_b64 s[22:23], s[20:21]
	s_cbranch_execnz .LBB298_1124
	s_branch .LBB298_1125
.LBB298_1667:                           ;   in Loop: Header=BB298_1074 Depth=1
	v_cmp_eq_u16_sdwa s[34:35], v61, s15 src0_sel:BYTE_0 src1_sel:DWORD
	s_mov_b64 s[2:3], -1
                                        ; implicit-def: $sgpr24
	s_and_saveexec_b64 s[22:23], s[34:35]
; %bb.1668:                             ;   in Loop: Header=BB298_1074 Depth=1
	s_mov_b32 s24, 0x7fc02000
	s_xor_b64 s[2:3], exec, -1
; %bb.1669:                             ;   in Loop: Header=BB298_1074 Depth=1
	s_or_b64 exec, exec, s[22:23]
	s_and_b64 s[2:3], s[2:3], exec
	s_or_saveexec_b64 s[20:21], s[20:21]
	v_mov_b32_e32 v6, s24
	s_xor_b64 exec, exec, s[20:21]
	s_cbranch_execz .LBB298_1127
.LBB298_1670:                           ;   in Loop: Header=BB298_1074 Depth=1
	v_cmp_ne_u16_sdwa s[22:23], v61, v21 src0_sel:BYTE_0 src1_sel:DWORD
	s_andn2_b64 s[2:3], s[2:3], exec
	s_and_b64 s[22:23], s[22:23], exec
	v_mov_b32_e32 v6, 0
	s_or_b64 s[2:3], s[2:3], s[22:23]
	s_or_b64 exec, exec, s[20:21]
	v_mov_b32_e32 v20, v61
	s_and_saveexec_b64 s[20:21], s[2:3]
	s_cbranch_execnz .LBB298_1128
	s_branch .LBB298_1129
.LBB298_1671:                           ;   in Loop: Header=BB298_1074 Depth=1
	v_cmp_eq_u16_e64 s[2:3], s15, v20
	s_mov_b64 s[20:21], -1
                                        ; implicit-def: $sgpr31
	s_and_saveexec_b64 s[24:25], s[2:3]
; %bb.1672:                             ;   in Loop: Header=BB298_1074 Depth=1
	s_mov_b32 s31, 0x7fc02000
	s_xor_b64 s[20:21], exec, -1
; %bb.1673:                             ;   in Loop: Header=BB298_1074 Depth=1
	s_or_b64 exec, exec, s[24:25]
	s_and_b64 s[20:21], s[20:21], exec
	s_or_saveexec_b64 s[22:23], s[22:23]
	v_mov_b32_e32 v16, s31
	s_xor_b64 exec, exec, s[22:23]
	s_cbranch_execz .LBB298_1131
.LBB298_1674:                           ;   in Loop: Header=BB298_1074 Depth=1
	v_cmp_ne_u16_e64 s[2:3], 0, v20
	s_andn2_b64 s[20:21], s[20:21], exec
	s_and_b64 s[2:3], s[2:3], exec
	v_mov_b32_e32 v16, 0
	s_or_b64 s[20:21], s[20:21], s[2:3]
	s_or_b64 exec, exec, s[22:23]
	s_and_saveexec_b64 s[22:23], s[20:21]
	s_cbranch_execnz .LBB298_1132
	s_branch .LBB298_1133
.LBB298_1675:                           ;   in Loop: Header=BB298_1074 Depth=1
	v_cmp_eq_u16_sdwa s[34:35], v20, s15 src0_sel:BYTE_0 src1_sel:DWORD
	s_mov_b64 s[2:3], -1
                                        ; implicit-def: $sgpr24
	s_and_saveexec_b64 s[22:23], s[34:35]
; %bb.1676:                             ;   in Loop: Header=BB298_1074 Depth=1
	s_mov_b32 s24, 0x7fc02000
	s_xor_b64 s[2:3], exec, -1
; %bb.1677:                             ;   in Loop: Header=BB298_1074 Depth=1
	s_or_b64 exec, exec, s[22:23]
	s_and_b64 s[2:3], s[2:3], exec
	s_or_saveexec_b64 s[20:21], s[20:21]
	v_mov_b32_e32 v17, s24
	s_xor_b64 exec, exec, s[20:21]
	s_cbranch_execz .LBB298_1135
.LBB298_1678:                           ;   in Loop: Header=BB298_1074 Depth=1
	v_cmp_ne_u16_sdwa s[22:23], v20, v21 src0_sel:BYTE_0 src1_sel:DWORD
	s_andn2_b64 s[2:3], s[2:3], exec
	s_and_b64 s[22:23], s[22:23], exec
	v_mov_b32_e32 v17, 0
	s_or_b64 s[2:3], s[2:3], s[22:23]
	s_or_b64 exec, exec, s[20:21]
	s_and_saveexec_b64 s[20:21], s[2:3]
	s_cbranch_execnz .LBB298_1136
	s_branch .LBB298_1137
.LBB298_1679:                           ;   in Loop: Header=BB298_1074 Depth=1
	v_cmp_eq_u16_e64 s[2:3], s15, v20
	s_mov_b64 s[20:21], -1
                                        ; implicit-def: $sgpr31
	s_and_saveexec_b64 s[24:25], s[2:3]
; %bb.1680:                             ;   in Loop: Header=BB298_1074 Depth=1
	s_mov_b32 s31, 0x7fc02000
	s_xor_b64 s[20:21], exec, -1
; %bb.1681:                             ;   in Loop: Header=BB298_1074 Depth=1
	s_or_b64 exec, exec, s[24:25]
	s_and_b64 s[20:21], s[20:21], exec
	s_or_saveexec_b64 s[22:23], s[22:23]
	v_mov_b32_e32 v23, s31
	s_xor_b64 exec, exec, s[22:23]
	s_cbranch_execz .LBB298_1139
.LBB298_1682:                           ;   in Loop: Header=BB298_1074 Depth=1
	v_cmp_ne_u16_e64 s[2:3], 0, v20
	s_andn2_b64 s[20:21], s[20:21], exec
	s_and_b64 s[2:3], s[2:3], exec
	v_mov_b32_e32 v23, 0
	s_or_b64 s[20:21], s[20:21], s[2:3]
	s_or_b64 exec, exec, s[22:23]
	s_and_saveexec_b64 s[22:23], s[20:21]
	s_cbranch_execnz .LBB298_1140
	s_branch .LBB298_1141
.LBB298_1683:                           ;   in Loop: Header=BB298_1074 Depth=1
	v_cmp_eq_u16_sdwa s[34:35], v60, s15 src0_sel:BYTE_0 src1_sel:DWORD
	s_mov_b64 s[2:3], -1
                                        ; implicit-def: $sgpr24
	s_and_saveexec_b64 s[22:23], s[34:35]
; %bb.1684:                             ;   in Loop: Header=BB298_1074 Depth=1
	s_mov_b32 s24, 0x7fc02000
	s_xor_b64 s[2:3], exec, -1
; %bb.1685:                             ;   in Loop: Header=BB298_1074 Depth=1
	s_or_b64 exec, exec, s[22:23]
	s_and_b64 s[2:3], s[2:3], exec
	s_or_saveexec_b64 s[20:21], s[20:21]
	v_mov_b32_e32 v46, s24
	s_xor_b64 exec, exec, s[20:21]
	s_cbranch_execz .LBB298_1145
.LBB298_1686:                           ;   in Loop: Header=BB298_1074 Depth=1
	v_cmp_ne_u16_sdwa s[22:23], v60, v21 src0_sel:BYTE_0 src1_sel:DWORD
	s_andn2_b64 s[2:3], s[2:3], exec
	s_and_b64 s[22:23], s[22:23], exec
	v_mov_b32_e32 v46, 0
	s_or_b64 s[2:3], s[2:3], s[22:23]
	s_or_b64 exec, exec, s[20:21]
	s_and_saveexec_b64 s[20:21], s[2:3]
	s_cbranch_execnz .LBB298_1146
	s_branch .LBB298_1147
.LBB298_1687:                           ;   in Loop: Header=BB298_1074 Depth=1
	v_cmp_eq_u16_e64 s[2:3], s15, v20
	s_mov_b64 s[20:21], -1
                                        ; implicit-def: $sgpr31
	s_and_saveexec_b64 s[24:25], s[2:3]
; %bb.1688:                             ;   in Loop: Header=BB298_1074 Depth=1
	s_mov_b32 s31, 0x7fc02000
	s_xor_b64 s[20:21], exec, -1
; %bb.1689:                             ;   in Loop: Header=BB298_1074 Depth=1
	s_or_b64 exec, exec, s[24:25]
	s_and_b64 s[20:21], s[20:21], exec
	s_or_saveexec_b64 s[22:23], s[22:23]
	v_mov_b32_e32 v4, s31
	s_xor_b64 exec, exec, s[22:23]
	s_cbranch_execz .LBB298_1149
.LBB298_1690:                           ;   in Loop: Header=BB298_1074 Depth=1
	v_cmp_ne_u16_e64 s[2:3], 0, v20
	s_andn2_b64 s[20:21], s[20:21], exec
	s_and_b64 s[2:3], s[2:3], exec
	v_mov_b32_e32 v4, 0
	s_or_b64 s[20:21], s[20:21], s[2:3]
	s_or_b64 exec, exec, s[22:23]
	s_and_saveexec_b64 s[22:23], s[20:21]
	s_cbranch_execnz .LBB298_1150
	s_branch .LBB298_1151
.LBB298_1691:                           ;   in Loop: Header=BB298_1074 Depth=1
	v_cmp_eq_u16_sdwa s[34:35], v20, s15 src0_sel:BYTE_0 src1_sel:DWORD
	s_mov_b64 s[2:3], -1
                                        ; implicit-def: $sgpr24
	s_and_saveexec_b64 s[22:23], s[34:35]
; %bb.1692:                             ;   in Loop: Header=BB298_1074 Depth=1
	s_mov_b32 s24, 0x7fc02000
	s_xor_b64 s[2:3], exec, -1
; %bb.1693:                             ;   in Loop: Header=BB298_1074 Depth=1
	s_or_b64 exec, exec, s[22:23]
	s_and_b64 s[2:3], s[2:3], exec
	s_or_saveexec_b64 s[20:21], s[20:21]
	v_mov_b32_e32 v47, s24
	s_xor_b64 exec, exec, s[20:21]
	s_cbranch_execz .LBB298_1153
.LBB298_1694:                           ;   in Loop: Header=BB298_1074 Depth=1
	v_cmp_ne_u16_sdwa s[22:23], v20, v21 src0_sel:BYTE_0 src1_sel:DWORD
	s_andn2_b64 s[2:3], s[2:3], exec
	s_and_b64 s[22:23], s[22:23], exec
	v_mov_b32_e32 v47, 0
	s_or_b64 s[2:3], s[2:3], s[22:23]
	s_or_b64 exec, exec, s[20:21]
	s_and_saveexec_b64 s[20:21], s[2:3]
	s_cbranch_execnz .LBB298_1154
	s_branch .LBB298_1155
.LBB298_1695:                           ;   in Loop: Header=BB298_1074 Depth=1
	v_cmp_eq_u16_e64 s[2:3], s15, v20
	s_mov_b64 s[20:21], -1
                                        ; implicit-def: $sgpr31
	s_and_saveexec_b64 s[24:25], s[2:3]
; %bb.1696:                             ;   in Loop: Header=BB298_1074 Depth=1
	s_mov_b32 s31, 0x7fc02000
	s_xor_b64 s[20:21], exec, -1
; %bb.1697:                             ;   in Loop: Header=BB298_1074 Depth=1
	s_or_b64 exec, exec, s[24:25]
	s_and_b64 s[20:21], s[20:21], exec
	s_or_saveexec_b64 s[22:23], s[22:23]
	v_mov_b32_e32 v5, s31
	s_xor_b64 exec, exec, s[22:23]
	s_cbranch_execz .LBB298_1157
.LBB298_1698:                           ;   in Loop: Header=BB298_1074 Depth=1
	v_cmp_ne_u16_e64 s[2:3], 0, v20
	s_andn2_b64 s[20:21], s[20:21], exec
	s_and_b64 s[2:3], s[2:3], exec
	v_mov_b32_e32 v5, 0
	s_or_b64 s[20:21], s[20:21], s[2:3]
	s_or_b64 exec, exec, s[22:23]
	s_and_saveexec_b64 s[22:23], s[20:21]
	s_cbranch_execnz .LBB298_1158
	s_branch .LBB298_1159
.LBB298_1699:                           ;   in Loop: Header=BB298_1074 Depth=1
	v_cmp_eq_u16_sdwa s[34:35], v61, s15 src0_sel:BYTE_0 src1_sel:DWORD
	s_mov_b64 s[2:3], -1
                                        ; implicit-def: $sgpr24
	s_and_saveexec_b64 s[22:23], s[34:35]
; %bb.1700:                             ;   in Loop: Header=BB298_1074 Depth=1
	s_mov_b32 s24, 0x7fc02000
	s_xor_b64 s[2:3], exec, -1
; %bb.1701:                             ;   in Loop: Header=BB298_1074 Depth=1
	s_or_b64 exec, exec, s[22:23]
	s_and_b64 s[2:3], s[2:3], exec
	s_or_saveexec_b64 s[20:21], s[20:21]
	v_mov_b32_e32 v6, s24
	s_xor_b64 exec, exec, s[20:21]
	s_cbranch_execz .LBB298_1161
.LBB298_1702:                           ;   in Loop: Header=BB298_1074 Depth=1
	v_cmp_ne_u16_sdwa s[22:23], v61, v21 src0_sel:BYTE_0 src1_sel:DWORD
	s_andn2_b64 s[2:3], s[2:3], exec
	s_and_b64 s[22:23], s[22:23], exec
	v_mov_b32_e32 v6, 0
	s_or_b64 s[2:3], s[2:3], s[22:23]
	s_or_b64 exec, exec, s[20:21]
	v_mov_b32_e32 v20, v61
	s_and_saveexec_b64 s[20:21], s[2:3]
	s_cbranch_execnz .LBB298_1162
	s_branch .LBB298_1163
.LBB298_1703:                           ;   in Loop: Header=BB298_1074 Depth=1
	v_cmp_eq_u16_e64 s[2:3], s15, v20
	s_mov_b64 s[20:21], -1
                                        ; implicit-def: $sgpr31
	s_and_saveexec_b64 s[24:25], s[2:3]
; %bb.1704:                             ;   in Loop: Header=BB298_1074 Depth=1
	s_mov_b32 s31, 0x7fc02000
	s_xor_b64 s[20:21], exec, -1
; %bb.1705:                             ;   in Loop: Header=BB298_1074 Depth=1
	s_or_b64 exec, exec, s[24:25]
	s_and_b64 s[20:21], s[20:21], exec
	s_or_saveexec_b64 s[22:23], s[22:23]
	v_mov_b32_e32 v16, s31
	s_xor_b64 exec, exec, s[22:23]
	s_cbranch_execz .LBB298_1165
.LBB298_1706:                           ;   in Loop: Header=BB298_1074 Depth=1
	v_cmp_ne_u16_e64 s[2:3], 0, v20
	s_andn2_b64 s[20:21], s[20:21], exec
	s_and_b64 s[2:3], s[2:3], exec
	v_mov_b32_e32 v16, 0
	s_or_b64 s[20:21], s[20:21], s[2:3]
	s_or_b64 exec, exec, s[22:23]
	s_and_saveexec_b64 s[22:23], s[20:21]
	s_cbranch_execnz .LBB298_1166
	s_branch .LBB298_1167
.LBB298_1707:                           ;   in Loop: Header=BB298_1074 Depth=1
	v_cmp_eq_u16_sdwa s[34:35], v20, s15 src0_sel:BYTE_0 src1_sel:DWORD
	s_mov_b64 s[2:3], -1
                                        ; implicit-def: $sgpr24
	s_and_saveexec_b64 s[22:23], s[34:35]
; %bb.1708:                             ;   in Loop: Header=BB298_1074 Depth=1
	s_mov_b32 s24, 0x7fc02000
	s_xor_b64 s[2:3], exec, -1
; %bb.1709:                             ;   in Loop: Header=BB298_1074 Depth=1
	s_or_b64 exec, exec, s[22:23]
	s_and_b64 s[2:3], s[2:3], exec
	s_or_saveexec_b64 s[20:21], s[20:21]
	v_mov_b32_e32 v17, s24
	s_xor_b64 exec, exec, s[20:21]
	s_cbranch_execz .LBB298_1169
.LBB298_1710:                           ;   in Loop: Header=BB298_1074 Depth=1
	v_cmp_ne_u16_sdwa s[22:23], v20, v21 src0_sel:BYTE_0 src1_sel:DWORD
	s_andn2_b64 s[2:3], s[2:3], exec
	s_and_b64 s[22:23], s[22:23], exec
	v_mov_b32_e32 v17, 0
	s_or_b64 s[2:3], s[2:3], s[22:23]
	s_or_b64 exec, exec, s[20:21]
	s_and_saveexec_b64 s[20:21], s[2:3]
	s_cbranch_execnz .LBB298_1170
	s_branch .LBB298_1171
.LBB298_1711:                           ;   in Loop: Header=BB298_1074 Depth=1
	v_cmp_eq_u16_e64 s[2:3], s15, v20
	s_mov_b64 s[20:21], -1
                                        ; implicit-def: $sgpr31
	s_and_saveexec_b64 s[24:25], s[2:3]
; %bb.1712:                             ;   in Loop: Header=BB298_1074 Depth=1
	s_mov_b32 s31, 0x7fc02000
	s_xor_b64 s[20:21], exec, -1
; %bb.1713:                             ;   in Loop: Header=BB298_1074 Depth=1
	s_or_b64 exec, exec, s[24:25]
	s_and_b64 s[20:21], s[20:21], exec
	s_or_saveexec_b64 s[22:23], s[22:23]
	v_mov_b32_e32 v23, s31
	s_xor_b64 exec, exec, s[22:23]
	s_cbranch_execz .LBB298_1173
.LBB298_1714:                           ;   in Loop: Header=BB298_1074 Depth=1
	v_cmp_ne_u16_e64 s[2:3], 0, v20
	s_andn2_b64 s[20:21], s[20:21], exec
	s_and_b64 s[2:3], s[2:3], exec
	v_mov_b32_e32 v23, 0
	s_or_b64 s[20:21], s[20:21], s[2:3]
	s_or_b64 exec, exec, s[22:23]
	s_and_saveexec_b64 s[22:23], s[20:21]
	s_cbranch_execnz .LBB298_1174
	s_branch .LBB298_1175
.LBB298_1715:                           ;   in Loop: Header=BB298_1074 Depth=1
	v_cmp_eq_u16_sdwa s[34:35], v60, s15 src0_sel:BYTE_0 src1_sel:DWORD
	s_mov_b64 s[2:3], -1
                                        ; implicit-def: $sgpr24
	s_and_saveexec_b64 s[22:23], s[34:35]
; %bb.1716:                             ;   in Loop: Header=BB298_1074 Depth=1
	s_mov_b32 s24, 0x7fc02000
	s_xor_b64 s[2:3], exec, -1
; %bb.1717:                             ;   in Loop: Header=BB298_1074 Depth=1
	s_or_b64 exec, exec, s[22:23]
	s_and_b64 s[2:3], s[2:3], exec
	s_or_saveexec_b64 s[20:21], s[20:21]
	v_mov_b32_e32 v46, s24
	s_xor_b64 exec, exec, s[20:21]
	s_cbranch_execz .LBB298_1179
.LBB298_1718:                           ;   in Loop: Header=BB298_1074 Depth=1
	v_cmp_ne_u16_sdwa s[22:23], v60, v21 src0_sel:BYTE_0 src1_sel:DWORD
	s_andn2_b64 s[2:3], s[2:3], exec
	s_and_b64 s[22:23], s[22:23], exec
	v_mov_b32_e32 v46, 0
	s_or_b64 s[2:3], s[2:3], s[22:23]
	s_or_b64 exec, exec, s[20:21]
	s_and_saveexec_b64 s[20:21], s[2:3]
	s_cbranch_execnz .LBB298_1180
	s_branch .LBB298_1181
.LBB298_1719:                           ;   in Loop: Header=BB298_1074 Depth=1
	v_cmp_eq_u16_e64 s[2:3], s15, v20
	s_mov_b64 s[20:21], -1
                                        ; implicit-def: $sgpr31
	s_and_saveexec_b64 s[24:25], s[2:3]
; %bb.1720:                             ;   in Loop: Header=BB298_1074 Depth=1
	s_mov_b32 s31, 0x7fc02000
	s_xor_b64 s[20:21], exec, -1
; %bb.1721:                             ;   in Loop: Header=BB298_1074 Depth=1
	s_or_b64 exec, exec, s[24:25]
	s_and_b64 s[20:21], s[20:21], exec
	s_or_saveexec_b64 s[22:23], s[22:23]
	v_mov_b32_e32 v4, s31
	s_xor_b64 exec, exec, s[22:23]
	s_cbranch_execz .LBB298_1183
.LBB298_1722:                           ;   in Loop: Header=BB298_1074 Depth=1
	v_cmp_ne_u16_e64 s[2:3], 0, v20
	s_andn2_b64 s[20:21], s[20:21], exec
	s_and_b64 s[2:3], s[2:3], exec
	v_mov_b32_e32 v4, 0
	s_or_b64 s[20:21], s[20:21], s[2:3]
	s_or_b64 exec, exec, s[22:23]
	s_and_saveexec_b64 s[22:23], s[20:21]
	s_cbranch_execnz .LBB298_1184
	s_branch .LBB298_1185
.LBB298_1723:                           ;   in Loop: Header=BB298_1074 Depth=1
	v_cmp_eq_u16_sdwa s[34:35], v20, s15 src0_sel:BYTE_0 src1_sel:DWORD
	s_mov_b64 s[2:3], -1
                                        ; implicit-def: $sgpr24
	s_and_saveexec_b64 s[22:23], s[34:35]
; %bb.1724:                             ;   in Loop: Header=BB298_1074 Depth=1
	s_mov_b32 s24, 0x7fc02000
	s_xor_b64 s[2:3], exec, -1
; %bb.1725:                             ;   in Loop: Header=BB298_1074 Depth=1
	s_or_b64 exec, exec, s[22:23]
	s_and_b64 s[2:3], s[2:3], exec
	s_or_saveexec_b64 s[20:21], s[20:21]
	v_mov_b32_e32 v47, s24
	s_xor_b64 exec, exec, s[20:21]
	s_cbranch_execz .LBB298_1187
.LBB298_1726:                           ;   in Loop: Header=BB298_1074 Depth=1
	v_cmp_ne_u16_sdwa s[22:23], v20, v21 src0_sel:BYTE_0 src1_sel:DWORD
	s_andn2_b64 s[2:3], s[2:3], exec
	s_and_b64 s[22:23], s[22:23], exec
	v_mov_b32_e32 v47, 0
	s_or_b64 s[2:3], s[2:3], s[22:23]
	s_or_b64 exec, exec, s[20:21]
	s_and_saveexec_b64 s[20:21], s[2:3]
	s_cbranch_execnz .LBB298_1188
	s_branch .LBB298_1189
.LBB298_1727:                           ;   in Loop: Header=BB298_1074 Depth=1
	v_cmp_eq_u16_e64 s[2:3], s15, v20
	s_mov_b64 s[20:21], -1
                                        ; implicit-def: $sgpr31
	s_and_saveexec_b64 s[24:25], s[2:3]
; %bb.1728:                             ;   in Loop: Header=BB298_1074 Depth=1
	s_mov_b32 s31, 0x7fc02000
	s_xor_b64 s[20:21], exec, -1
; %bb.1729:                             ;   in Loop: Header=BB298_1074 Depth=1
	s_or_b64 exec, exec, s[24:25]
	s_and_b64 s[20:21], s[20:21], exec
	s_or_saveexec_b64 s[22:23], s[22:23]
	v_mov_b32_e32 v5, s31
	s_xor_b64 exec, exec, s[22:23]
	s_cbranch_execz .LBB298_1191
.LBB298_1730:                           ;   in Loop: Header=BB298_1074 Depth=1
	v_cmp_ne_u16_e64 s[2:3], 0, v20
	s_andn2_b64 s[20:21], s[20:21], exec
	s_and_b64 s[2:3], s[2:3], exec
	v_mov_b32_e32 v5, 0
	s_or_b64 s[20:21], s[20:21], s[2:3]
	s_or_b64 exec, exec, s[22:23]
	s_and_saveexec_b64 s[22:23], s[20:21]
	s_cbranch_execnz .LBB298_1192
	s_branch .LBB298_1193
.LBB298_1731:                           ;   in Loop: Header=BB298_1074 Depth=1
	v_cmp_eq_u16_sdwa s[34:35], v61, s15 src0_sel:BYTE_0 src1_sel:DWORD
	s_mov_b64 s[2:3], -1
                                        ; implicit-def: $sgpr24
	s_and_saveexec_b64 s[22:23], s[34:35]
; %bb.1732:                             ;   in Loop: Header=BB298_1074 Depth=1
	s_mov_b32 s24, 0x7fc02000
	s_xor_b64 s[2:3], exec, -1
; %bb.1733:                             ;   in Loop: Header=BB298_1074 Depth=1
	s_or_b64 exec, exec, s[22:23]
	s_and_b64 s[2:3], s[2:3], exec
	s_or_saveexec_b64 s[20:21], s[20:21]
	v_mov_b32_e32 v6, s24
	s_xor_b64 exec, exec, s[20:21]
	s_cbranch_execz .LBB298_1195
.LBB298_1734:                           ;   in Loop: Header=BB298_1074 Depth=1
	v_cmp_ne_u16_sdwa s[22:23], v61, v21 src0_sel:BYTE_0 src1_sel:DWORD
	s_andn2_b64 s[2:3], s[2:3], exec
	s_and_b64 s[22:23], s[22:23], exec
	v_mov_b32_e32 v6, 0
	s_or_b64 s[2:3], s[2:3], s[22:23]
	s_or_b64 exec, exec, s[20:21]
	v_mov_b32_e32 v20, v61
	s_and_saveexec_b64 s[20:21], s[2:3]
	s_cbranch_execnz .LBB298_1196
	s_branch .LBB298_1197
.LBB298_1735:                           ;   in Loop: Header=BB298_1074 Depth=1
	v_cmp_eq_u16_e64 s[2:3], s15, v20
	s_mov_b64 s[20:21], -1
                                        ; implicit-def: $sgpr31
	s_and_saveexec_b64 s[24:25], s[2:3]
; %bb.1736:                             ;   in Loop: Header=BB298_1074 Depth=1
	s_mov_b32 s31, 0x7fc02000
	s_xor_b64 s[20:21], exec, -1
; %bb.1737:                             ;   in Loop: Header=BB298_1074 Depth=1
	s_or_b64 exec, exec, s[24:25]
	s_and_b64 s[20:21], s[20:21], exec
	s_or_saveexec_b64 s[22:23], s[22:23]
	v_mov_b32_e32 v16, s31
	s_xor_b64 exec, exec, s[22:23]
	s_cbranch_execz .LBB298_1199
.LBB298_1738:                           ;   in Loop: Header=BB298_1074 Depth=1
	v_cmp_ne_u16_e64 s[2:3], 0, v20
	s_andn2_b64 s[20:21], s[20:21], exec
	s_and_b64 s[2:3], s[2:3], exec
	v_mov_b32_e32 v16, 0
	s_or_b64 s[20:21], s[20:21], s[2:3]
	s_or_b64 exec, exec, s[22:23]
	s_and_saveexec_b64 s[22:23], s[20:21]
	s_cbranch_execnz .LBB298_1200
	s_branch .LBB298_1201
.LBB298_1739:                           ;   in Loop: Header=BB298_1074 Depth=1
	v_cmp_eq_u16_sdwa s[34:35], v20, s15 src0_sel:BYTE_0 src1_sel:DWORD
	s_mov_b64 s[2:3], -1
                                        ; implicit-def: $sgpr24
	s_and_saveexec_b64 s[22:23], s[34:35]
; %bb.1740:                             ;   in Loop: Header=BB298_1074 Depth=1
	s_mov_b32 s24, 0x7fc02000
	s_xor_b64 s[2:3], exec, -1
; %bb.1741:                             ;   in Loop: Header=BB298_1074 Depth=1
	s_or_b64 exec, exec, s[22:23]
	s_and_b64 s[2:3], s[2:3], exec
	s_or_saveexec_b64 s[20:21], s[20:21]
	v_mov_b32_e32 v17, s24
	s_xor_b64 exec, exec, s[20:21]
	s_cbranch_execz .LBB298_1203
.LBB298_1742:                           ;   in Loop: Header=BB298_1074 Depth=1
	v_cmp_ne_u16_sdwa s[22:23], v20, v21 src0_sel:BYTE_0 src1_sel:DWORD
	s_andn2_b64 s[2:3], s[2:3], exec
	s_and_b64 s[22:23], s[22:23], exec
	v_mov_b32_e32 v17, 0
	s_or_b64 s[2:3], s[2:3], s[22:23]
	s_or_b64 exec, exec, s[20:21]
	s_and_saveexec_b64 s[20:21], s[2:3]
	s_cbranch_execnz .LBB298_1204
	s_branch .LBB298_1205
.LBB298_1743:                           ;   in Loop: Header=BB298_1074 Depth=1
	v_cmp_eq_u16_e64 s[2:3], s15, v20
	s_mov_b64 s[20:21], -1
                                        ; implicit-def: $sgpr31
	s_and_saveexec_b64 s[24:25], s[2:3]
; %bb.1744:                             ;   in Loop: Header=BB298_1074 Depth=1
	s_mov_b32 s31, 0x7fc02000
	s_xor_b64 s[20:21], exec, -1
; %bb.1745:                             ;   in Loop: Header=BB298_1074 Depth=1
	s_or_b64 exec, exec, s[24:25]
	s_and_b64 s[20:21], s[20:21], exec
	s_or_saveexec_b64 s[22:23], s[22:23]
	v_mov_b32_e32 v23, s31
	s_xor_b64 exec, exec, s[22:23]
	s_cbranch_execz .LBB298_1207
.LBB298_1746:                           ;   in Loop: Header=BB298_1074 Depth=1
	v_cmp_ne_u16_e64 s[2:3], 0, v20
	s_andn2_b64 s[20:21], s[20:21], exec
	s_and_b64 s[2:3], s[2:3], exec
	v_mov_b32_e32 v23, 0
	s_or_b64 s[20:21], s[20:21], s[2:3]
	s_or_b64 exec, exec, s[22:23]
	s_and_saveexec_b64 s[22:23], s[20:21]
	s_cbranch_execnz .LBB298_1208
	s_branch .LBB298_1209
.LBB298_1747:                           ;   in Loop: Header=BB298_1074 Depth=1
	v_cmp_eq_u16_sdwa s[34:35], v60, s15 src0_sel:BYTE_0 src1_sel:DWORD
	s_mov_b64 s[2:3], -1
                                        ; implicit-def: $sgpr24
	s_and_saveexec_b64 s[22:23], s[34:35]
; %bb.1748:                             ;   in Loop: Header=BB298_1074 Depth=1
	s_mov_b32 s24, 0x7fc02000
	s_xor_b64 s[2:3], exec, -1
; %bb.1749:                             ;   in Loop: Header=BB298_1074 Depth=1
	s_or_b64 exec, exec, s[22:23]
	s_and_b64 s[2:3], s[2:3], exec
	s_or_saveexec_b64 s[20:21], s[20:21]
	v_mov_b32_e32 v46, s24
	s_xor_b64 exec, exec, s[20:21]
	s_cbranch_execz .LBB298_1213
.LBB298_1750:                           ;   in Loop: Header=BB298_1074 Depth=1
	v_cmp_ne_u16_sdwa s[22:23], v60, v21 src0_sel:BYTE_0 src1_sel:DWORD
	s_andn2_b64 s[2:3], s[2:3], exec
	s_and_b64 s[22:23], s[22:23], exec
	v_mov_b32_e32 v46, 0
	s_or_b64 s[2:3], s[2:3], s[22:23]
	s_or_b64 exec, exec, s[20:21]
	s_and_saveexec_b64 s[20:21], s[2:3]
	s_cbranch_execnz .LBB298_1214
	s_branch .LBB298_1215
.LBB298_1751:                           ;   in Loop: Header=BB298_1074 Depth=1
	v_cmp_eq_u16_e64 s[2:3], s15, v20
	s_mov_b64 s[20:21], -1
                                        ; implicit-def: $sgpr31
	s_and_saveexec_b64 s[24:25], s[2:3]
; %bb.1752:                             ;   in Loop: Header=BB298_1074 Depth=1
	s_mov_b32 s31, 0x7fc02000
	s_xor_b64 s[20:21], exec, -1
; %bb.1753:                             ;   in Loop: Header=BB298_1074 Depth=1
	s_or_b64 exec, exec, s[24:25]
	s_and_b64 s[20:21], s[20:21], exec
	s_or_saveexec_b64 s[22:23], s[22:23]
	v_mov_b32_e32 v4, s31
	s_xor_b64 exec, exec, s[22:23]
	s_cbranch_execz .LBB298_1217
.LBB298_1754:                           ;   in Loop: Header=BB298_1074 Depth=1
	v_cmp_ne_u16_e64 s[2:3], 0, v20
	s_andn2_b64 s[20:21], s[20:21], exec
	s_and_b64 s[2:3], s[2:3], exec
	v_mov_b32_e32 v4, 0
	s_or_b64 s[20:21], s[20:21], s[2:3]
	s_or_b64 exec, exec, s[22:23]
	s_and_saveexec_b64 s[22:23], s[20:21]
	s_cbranch_execnz .LBB298_1218
	s_branch .LBB298_1219
.LBB298_1755:                           ;   in Loop: Header=BB298_1074 Depth=1
	v_cmp_eq_u16_sdwa s[34:35], v20, s15 src0_sel:BYTE_0 src1_sel:DWORD
	s_mov_b64 s[2:3], -1
                                        ; implicit-def: $sgpr24
	s_and_saveexec_b64 s[22:23], s[34:35]
; %bb.1756:                             ;   in Loop: Header=BB298_1074 Depth=1
	s_mov_b32 s24, 0x7fc02000
	s_xor_b64 s[2:3], exec, -1
; %bb.1757:                             ;   in Loop: Header=BB298_1074 Depth=1
	s_or_b64 exec, exec, s[22:23]
	s_and_b64 s[2:3], s[2:3], exec
	s_or_saveexec_b64 s[20:21], s[20:21]
	v_mov_b32_e32 v47, s24
	s_xor_b64 exec, exec, s[20:21]
	s_cbranch_execz .LBB298_1221
.LBB298_1758:                           ;   in Loop: Header=BB298_1074 Depth=1
	v_cmp_ne_u16_sdwa s[22:23], v20, v21 src0_sel:BYTE_0 src1_sel:DWORD
	s_andn2_b64 s[2:3], s[2:3], exec
	s_and_b64 s[22:23], s[22:23], exec
	v_mov_b32_e32 v47, 0
	s_or_b64 s[2:3], s[2:3], s[22:23]
	s_or_b64 exec, exec, s[20:21]
	s_and_saveexec_b64 s[20:21], s[2:3]
	s_cbranch_execnz .LBB298_1222
	s_branch .LBB298_1223
.LBB298_1759:                           ;   in Loop: Header=BB298_1074 Depth=1
	v_cmp_eq_u16_e64 s[2:3], s15, v20
	s_mov_b64 s[20:21], -1
                                        ; implicit-def: $sgpr31
	s_and_saveexec_b64 s[24:25], s[2:3]
; %bb.1760:                             ;   in Loop: Header=BB298_1074 Depth=1
	s_mov_b32 s31, 0x7fc02000
	s_xor_b64 s[20:21], exec, -1
; %bb.1761:                             ;   in Loop: Header=BB298_1074 Depth=1
	s_or_b64 exec, exec, s[24:25]
	s_and_b64 s[20:21], s[20:21], exec
	s_or_saveexec_b64 s[22:23], s[22:23]
	v_mov_b32_e32 v5, s31
	s_xor_b64 exec, exec, s[22:23]
	s_cbranch_execz .LBB298_1225
.LBB298_1762:                           ;   in Loop: Header=BB298_1074 Depth=1
	v_cmp_ne_u16_e64 s[2:3], 0, v20
	s_andn2_b64 s[20:21], s[20:21], exec
	s_and_b64 s[2:3], s[2:3], exec
	v_mov_b32_e32 v5, 0
	s_or_b64 s[20:21], s[20:21], s[2:3]
	s_or_b64 exec, exec, s[22:23]
	s_and_saveexec_b64 s[22:23], s[20:21]
	s_cbranch_execnz .LBB298_1226
	s_branch .LBB298_1227
.LBB298_1763:                           ;   in Loop: Header=BB298_1074 Depth=1
	v_cmp_eq_u16_sdwa s[34:35], v61, s15 src0_sel:BYTE_0 src1_sel:DWORD
	s_mov_b64 s[2:3], -1
                                        ; implicit-def: $sgpr24
	s_and_saveexec_b64 s[22:23], s[34:35]
; %bb.1764:                             ;   in Loop: Header=BB298_1074 Depth=1
	s_mov_b32 s24, 0x7fc02000
	s_xor_b64 s[2:3], exec, -1
; %bb.1765:                             ;   in Loop: Header=BB298_1074 Depth=1
	s_or_b64 exec, exec, s[22:23]
	s_and_b64 s[2:3], s[2:3], exec
	s_or_saveexec_b64 s[20:21], s[20:21]
	v_mov_b32_e32 v6, s24
	s_xor_b64 exec, exec, s[20:21]
	s_cbranch_execz .LBB298_1229
.LBB298_1766:                           ;   in Loop: Header=BB298_1074 Depth=1
	v_cmp_ne_u16_sdwa s[22:23], v61, v21 src0_sel:BYTE_0 src1_sel:DWORD
	s_andn2_b64 s[2:3], s[2:3], exec
	s_and_b64 s[22:23], s[22:23], exec
	v_mov_b32_e32 v6, 0
	s_or_b64 s[2:3], s[2:3], s[22:23]
	s_or_b64 exec, exec, s[20:21]
	v_mov_b32_e32 v20, v61
	s_and_saveexec_b64 s[20:21], s[2:3]
	s_cbranch_execnz .LBB298_1230
	s_branch .LBB298_1231
.LBB298_1767:                           ;   in Loop: Header=BB298_1074 Depth=1
	v_cmp_eq_u16_e64 s[2:3], s15, v20
	s_mov_b64 s[20:21], -1
                                        ; implicit-def: $sgpr31
	s_and_saveexec_b64 s[24:25], s[2:3]
; %bb.1768:                             ;   in Loop: Header=BB298_1074 Depth=1
	s_mov_b32 s31, 0x7fc02000
	s_xor_b64 s[20:21], exec, -1
; %bb.1769:                             ;   in Loop: Header=BB298_1074 Depth=1
	s_or_b64 exec, exec, s[24:25]
	s_and_b64 s[20:21], s[20:21], exec
	s_or_saveexec_b64 s[22:23], s[22:23]
	v_mov_b32_e32 v16, s31
	s_xor_b64 exec, exec, s[22:23]
	s_cbranch_execz .LBB298_1233
.LBB298_1770:                           ;   in Loop: Header=BB298_1074 Depth=1
	v_cmp_ne_u16_e64 s[2:3], 0, v20
	s_andn2_b64 s[20:21], s[20:21], exec
	s_and_b64 s[2:3], s[2:3], exec
	v_mov_b32_e32 v16, 0
	s_or_b64 s[20:21], s[20:21], s[2:3]
	s_or_b64 exec, exec, s[22:23]
	s_and_saveexec_b64 s[22:23], s[20:21]
	s_cbranch_execnz .LBB298_1234
	s_branch .LBB298_1235
.LBB298_1771:                           ;   in Loop: Header=BB298_1074 Depth=1
	v_cmp_eq_u16_sdwa s[34:35], v20, s15 src0_sel:BYTE_0 src1_sel:DWORD
	s_mov_b64 s[2:3], -1
                                        ; implicit-def: $sgpr24
	s_and_saveexec_b64 s[22:23], s[34:35]
; %bb.1772:                             ;   in Loop: Header=BB298_1074 Depth=1
	s_mov_b32 s24, 0x7fc02000
	s_xor_b64 s[2:3], exec, -1
; %bb.1773:                             ;   in Loop: Header=BB298_1074 Depth=1
	s_or_b64 exec, exec, s[22:23]
	s_and_b64 s[2:3], s[2:3], exec
	s_or_saveexec_b64 s[20:21], s[20:21]
	v_mov_b32_e32 v17, s24
	s_xor_b64 exec, exec, s[20:21]
	s_cbranch_execz .LBB298_1237
.LBB298_1774:                           ;   in Loop: Header=BB298_1074 Depth=1
	v_cmp_ne_u16_sdwa s[22:23], v20, v21 src0_sel:BYTE_0 src1_sel:DWORD
	s_andn2_b64 s[2:3], s[2:3], exec
	s_and_b64 s[22:23], s[22:23], exec
	v_mov_b32_e32 v17, 0
	s_or_b64 s[2:3], s[2:3], s[22:23]
	s_or_b64 exec, exec, s[20:21]
	s_and_saveexec_b64 s[20:21], s[2:3]
	s_cbranch_execnz .LBB298_1238
	s_branch .LBB298_1239
.LBB298_1775:                           ;   in Loop: Header=BB298_1074 Depth=1
	v_cmp_eq_u16_e64 s[2:3], s15, v20
	s_mov_b64 s[20:21], -1
                                        ; implicit-def: $sgpr31
	s_and_saveexec_b64 s[24:25], s[2:3]
; %bb.1776:                             ;   in Loop: Header=BB298_1074 Depth=1
	s_mov_b32 s31, 0x7fc02000
	s_xor_b64 s[20:21], exec, -1
; %bb.1777:                             ;   in Loop: Header=BB298_1074 Depth=1
	s_or_b64 exec, exec, s[24:25]
	s_and_b64 s[20:21], s[20:21], exec
	s_or_saveexec_b64 s[22:23], s[22:23]
	v_mov_b32_e32 v23, s31
	s_xor_b64 exec, exec, s[22:23]
	s_cbranch_execz .LBB298_1241
.LBB298_1778:                           ;   in Loop: Header=BB298_1074 Depth=1
	v_cmp_ne_u16_e64 s[2:3], 0, v20
	s_andn2_b64 s[20:21], s[20:21], exec
	s_and_b64 s[2:3], s[2:3], exec
	v_mov_b32_e32 v23, 0
	s_or_b64 s[20:21], s[20:21], s[2:3]
	s_or_b64 exec, exec, s[22:23]
	s_and_saveexec_b64 s[22:23], s[20:21]
	s_cbranch_execnz .LBB298_1242
	s_branch .LBB298_1243
.LBB298_1779:                           ;   in Loop: Header=BB298_1074 Depth=1
	v_cmp_eq_u16_sdwa s[34:35], v60, s15 src0_sel:BYTE_0 src1_sel:DWORD
	s_mov_b64 s[2:3], -1
                                        ; implicit-def: $sgpr24
	s_and_saveexec_b64 s[22:23], s[34:35]
; %bb.1780:                             ;   in Loop: Header=BB298_1074 Depth=1
	s_mov_b32 s24, 0x7fc02000
	s_xor_b64 s[2:3], exec, -1
; %bb.1781:                             ;   in Loop: Header=BB298_1074 Depth=1
	s_or_b64 exec, exec, s[22:23]
	s_and_b64 s[2:3], s[2:3], exec
	s_or_saveexec_b64 s[20:21], s[20:21]
	v_mov_b32_e32 v46, s24
	s_xor_b64 exec, exec, s[20:21]
	s_cbranch_execz .LBB298_1247
.LBB298_1782:                           ;   in Loop: Header=BB298_1074 Depth=1
	v_cmp_ne_u16_sdwa s[22:23], v60, v21 src0_sel:BYTE_0 src1_sel:DWORD
	s_andn2_b64 s[2:3], s[2:3], exec
	s_and_b64 s[22:23], s[22:23], exec
	v_mov_b32_e32 v46, 0
	s_or_b64 s[2:3], s[2:3], s[22:23]
	s_or_b64 exec, exec, s[20:21]
	s_and_saveexec_b64 s[20:21], s[2:3]
	s_cbranch_execnz .LBB298_1248
	s_branch .LBB298_1249
.LBB298_1783:                           ;   in Loop: Header=BB298_1074 Depth=1
	v_cmp_eq_u16_e64 s[2:3], s15, v20
	s_mov_b64 s[20:21], -1
                                        ; implicit-def: $sgpr31
	s_and_saveexec_b64 s[24:25], s[2:3]
; %bb.1784:                             ;   in Loop: Header=BB298_1074 Depth=1
	s_mov_b32 s31, 0x7fc02000
	s_xor_b64 s[20:21], exec, -1
; %bb.1785:                             ;   in Loop: Header=BB298_1074 Depth=1
	s_or_b64 exec, exec, s[24:25]
	s_and_b64 s[20:21], s[20:21], exec
	s_or_saveexec_b64 s[22:23], s[22:23]
	v_mov_b32_e32 v4, s31
	s_xor_b64 exec, exec, s[22:23]
	s_cbranch_execz .LBB298_1251
.LBB298_1786:                           ;   in Loop: Header=BB298_1074 Depth=1
	v_cmp_ne_u16_e64 s[2:3], 0, v20
	s_andn2_b64 s[20:21], s[20:21], exec
	s_and_b64 s[2:3], s[2:3], exec
	v_mov_b32_e32 v4, 0
	s_or_b64 s[20:21], s[20:21], s[2:3]
	s_or_b64 exec, exec, s[22:23]
	s_and_saveexec_b64 s[22:23], s[20:21]
	s_cbranch_execnz .LBB298_1252
	s_branch .LBB298_1253
.LBB298_1787:                           ;   in Loop: Header=BB298_1074 Depth=1
	v_cmp_eq_u16_sdwa s[34:35], v20, s15 src0_sel:BYTE_0 src1_sel:DWORD
	s_mov_b64 s[2:3], -1
                                        ; implicit-def: $sgpr24
	s_and_saveexec_b64 s[22:23], s[34:35]
; %bb.1788:                             ;   in Loop: Header=BB298_1074 Depth=1
	s_mov_b32 s24, 0x7fc02000
	s_xor_b64 s[2:3], exec, -1
; %bb.1789:                             ;   in Loop: Header=BB298_1074 Depth=1
	s_or_b64 exec, exec, s[22:23]
	s_and_b64 s[2:3], s[2:3], exec
	s_or_saveexec_b64 s[20:21], s[20:21]
	v_mov_b32_e32 v47, s24
	s_xor_b64 exec, exec, s[20:21]
	s_cbranch_execz .LBB298_1255
.LBB298_1790:                           ;   in Loop: Header=BB298_1074 Depth=1
	v_cmp_ne_u16_sdwa s[22:23], v20, v21 src0_sel:BYTE_0 src1_sel:DWORD
	s_andn2_b64 s[2:3], s[2:3], exec
	s_and_b64 s[22:23], s[22:23], exec
	v_mov_b32_e32 v47, 0
	s_or_b64 s[2:3], s[2:3], s[22:23]
	s_or_b64 exec, exec, s[20:21]
	s_and_saveexec_b64 s[20:21], s[2:3]
	s_cbranch_execnz .LBB298_1256
	s_branch .LBB298_1257
.LBB298_1791:                           ;   in Loop: Header=BB298_1074 Depth=1
	v_cmp_eq_u16_e64 s[2:3], s15, v20
	s_mov_b64 s[20:21], -1
                                        ; implicit-def: $sgpr31
	s_and_saveexec_b64 s[24:25], s[2:3]
; %bb.1792:                             ;   in Loop: Header=BB298_1074 Depth=1
	s_mov_b32 s31, 0x7fc02000
	s_xor_b64 s[20:21], exec, -1
; %bb.1793:                             ;   in Loop: Header=BB298_1074 Depth=1
	s_or_b64 exec, exec, s[24:25]
	s_and_b64 s[20:21], s[20:21], exec
	s_or_saveexec_b64 s[22:23], s[22:23]
	v_mov_b32_e32 v5, s31
	s_xor_b64 exec, exec, s[22:23]
	s_cbranch_execz .LBB298_1259
.LBB298_1794:                           ;   in Loop: Header=BB298_1074 Depth=1
	v_cmp_ne_u16_e64 s[2:3], 0, v20
	s_andn2_b64 s[20:21], s[20:21], exec
	s_and_b64 s[2:3], s[2:3], exec
	v_mov_b32_e32 v5, 0
	s_or_b64 s[20:21], s[20:21], s[2:3]
	s_or_b64 exec, exec, s[22:23]
	s_and_saveexec_b64 s[22:23], s[20:21]
	s_cbranch_execnz .LBB298_1260
	s_branch .LBB298_1261
.LBB298_1795:                           ;   in Loop: Header=BB298_1074 Depth=1
	v_cmp_eq_u16_sdwa s[34:35], v61, s15 src0_sel:BYTE_0 src1_sel:DWORD
	s_mov_b64 s[2:3], -1
                                        ; implicit-def: $sgpr24
	s_and_saveexec_b64 s[22:23], s[34:35]
; %bb.1796:                             ;   in Loop: Header=BB298_1074 Depth=1
	s_mov_b32 s24, 0x7fc02000
	s_xor_b64 s[2:3], exec, -1
; %bb.1797:                             ;   in Loop: Header=BB298_1074 Depth=1
	s_or_b64 exec, exec, s[22:23]
	s_and_b64 s[2:3], s[2:3], exec
	s_or_saveexec_b64 s[20:21], s[20:21]
	v_mov_b32_e32 v6, s24
	s_xor_b64 exec, exec, s[20:21]
	s_cbranch_execz .LBB298_1263
.LBB298_1798:                           ;   in Loop: Header=BB298_1074 Depth=1
	v_cmp_ne_u16_sdwa s[22:23], v61, v21 src0_sel:BYTE_0 src1_sel:DWORD
	s_andn2_b64 s[2:3], s[2:3], exec
	s_and_b64 s[22:23], s[22:23], exec
	v_mov_b32_e32 v6, 0
	s_or_b64 s[2:3], s[2:3], s[22:23]
	s_or_b64 exec, exec, s[20:21]
	v_mov_b32_e32 v20, v61
	s_and_saveexec_b64 s[20:21], s[2:3]
	s_cbranch_execnz .LBB298_1264
	s_branch .LBB298_1265
.LBB298_1799:                           ;   in Loop: Header=BB298_1074 Depth=1
	v_cmp_eq_u16_e64 s[2:3], s15, v20
	s_mov_b64 s[20:21], -1
                                        ; implicit-def: $sgpr31
	s_and_saveexec_b64 s[24:25], s[2:3]
; %bb.1800:                             ;   in Loop: Header=BB298_1074 Depth=1
	s_mov_b32 s31, 0x7fc02000
	s_xor_b64 s[20:21], exec, -1
; %bb.1801:                             ;   in Loop: Header=BB298_1074 Depth=1
	s_or_b64 exec, exec, s[24:25]
	s_and_b64 s[20:21], s[20:21], exec
	s_or_saveexec_b64 s[22:23], s[22:23]
	v_mov_b32_e32 v16, s31
	s_xor_b64 exec, exec, s[22:23]
	s_cbranch_execz .LBB298_1267
.LBB298_1802:                           ;   in Loop: Header=BB298_1074 Depth=1
	v_cmp_ne_u16_e64 s[2:3], 0, v20
	s_andn2_b64 s[20:21], s[20:21], exec
	s_and_b64 s[2:3], s[2:3], exec
	v_mov_b32_e32 v16, 0
	s_or_b64 s[20:21], s[20:21], s[2:3]
	s_or_b64 exec, exec, s[22:23]
	s_and_saveexec_b64 s[22:23], s[20:21]
	s_cbranch_execnz .LBB298_1268
	s_branch .LBB298_1269
.LBB298_1803:                           ;   in Loop: Header=BB298_1074 Depth=1
	v_cmp_eq_u16_sdwa s[34:35], v20, s15 src0_sel:BYTE_0 src1_sel:DWORD
	s_mov_b64 s[2:3], -1
                                        ; implicit-def: $sgpr24
	s_and_saveexec_b64 s[22:23], s[34:35]
; %bb.1804:                             ;   in Loop: Header=BB298_1074 Depth=1
	s_mov_b32 s24, 0x7fc02000
	s_xor_b64 s[2:3], exec, -1
; %bb.1805:                             ;   in Loop: Header=BB298_1074 Depth=1
	s_or_b64 exec, exec, s[22:23]
	s_and_b64 s[2:3], s[2:3], exec
	s_or_saveexec_b64 s[20:21], s[20:21]
	v_mov_b32_e32 v17, s24
	s_xor_b64 exec, exec, s[20:21]
	s_cbranch_execz .LBB298_1271
.LBB298_1806:                           ;   in Loop: Header=BB298_1074 Depth=1
	v_cmp_ne_u16_sdwa s[22:23], v20, v21 src0_sel:BYTE_0 src1_sel:DWORD
	s_andn2_b64 s[2:3], s[2:3], exec
	s_and_b64 s[22:23], s[22:23], exec
	v_mov_b32_e32 v17, 0
	s_or_b64 s[2:3], s[2:3], s[22:23]
	s_or_b64 exec, exec, s[20:21]
	s_and_saveexec_b64 s[20:21], s[2:3]
	s_cbranch_execnz .LBB298_1272
	s_branch .LBB298_1273
.LBB298_1807:                           ;   in Loop: Header=BB298_1074 Depth=1
	v_cmp_eq_u16_e64 s[2:3], s15, v20
	s_mov_b64 s[20:21], -1
                                        ; implicit-def: $sgpr31
	s_and_saveexec_b64 s[24:25], s[2:3]
; %bb.1808:                             ;   in Loop: Header=BB298_1074 Depth=1
	s_mov_b32 s31, 0x7fc02000
	s_xor_b64 s[20:21], exec, -1
; %bb.1809:                             ;   in Loop: Header=BB298_1074 Depth=1
	s_or_b64 exec, exec, s[24:25]
	s_and_b64 s[20:21], s[20:21], exec
	s_or_saveexec_b64 s[22:23], s[22:23]
	v_mov_b32_e32 v23, s31
	s_xor_b64 exec, exec, s[22:23]
	s_cbranch_execz .LBB298_1275
.LBB298_1810:                           ;   in Loop: Header=BB298_1074 Depth=1
	v_cmp_ne_u16_e64 s[2:3], 0, v20
	s_andn2_b64 s[20:21], s[20:21], exec
	s_and_b64 s[2:3], s[2:3], exec
	v_mov_b32_e32 v23, 0
	s_or_b64 s[20:21], s[20:21], s[2:3]
	s_or_b64 exec, exec, s[22:23]
	s_and_saveexec_b64 s[22:23], s[20:21]
	s_cbranch_execnz .LBB298_1276
	s_branch .LBB298_1277
.LBB298_1811:                           ;   in Loop: Header=BB298_1074 Depth=1
	v_cmp_eq_u16_sdwa s[34:35], v60, s15 src0_sel:BYTE_0 src1_sel:DWORD
	s_mov_b64 s[2:3], -1
                                        ; implicit-def: $sgpr24
	s_and_saveexec_b64 s[22:23], s[34:35]
; %bb.1812:                             ;   in Loop: Header=BB298_1074 Depth=1
	s_mov_b32 s24, 0x7fc02000
	s_xor_b64 s[2:3], exec, -1
; %bb.1813:                             ;   in Loop: Header=BB298_1074 Depth=1
	s_or_b64 exec, exec, s[22:23]
	s_and_b64 s[2:3], s[2:3], exec
	s_or_saveexec_b64 s[20:21], s[20:21]
	v_mov_b32_e32 v46, s24
	s_xor_b64 exec, exec, s[20:21]
	s_cbranch_execz .LBB298_1281
.LBB298_1814:                           ;   in Loop: Header=BB298_1074 Depth=1
	v_cmp_ne_u16_sdwa s[22:23], v60, v21 src0_sel:BYTE_0 src1_sel:DWORD
	s_andn2_b64 s[2:3], s[2:3], exec
	s_and_b64 s[22:23], s[22:23], exec
	v_mov_b32_e32 v46, 0
	s_or_b64 s[2:3], s[2:3], s[22:23]
	s_or_b64 exec, exec, s[20:21]
	s_and_saveexec_b64 s[20:21], s[2:3]
	s_cbranch_execnz .LBB298_1282
	s_branch .LBB298_1283
.LBB298_1815:                           ;   in Loop: Header=BB298_1074 Depth=1
	v_cmp_eq_u16_e64 s[2:3], s15, v20
	s_mov_b64 s[20:21], -1
                                        ; implicit-def: $sgpr31
	s_and_saveexec_b64 s[24:25], s[2:3]
; %bb.1816:                             ;   in Loop: Header=BB298_1074 Depth=1
	s_mov_b32 s31, 0x7fc02000
	s_xor_b64 s[20:21], exec, -1
; %bb.1817:                             ;   in Loop: Header=BB298_1074 Depth=1
	s_or_b64 exec, exec, s[24:25]
	s_and_b64 s[20:21], s[20:21], exec
	s_or_saveexec_b64 s[22:23], s[22:23]
	v_mov_b32_e32 v4, s31
	s_xor_b64 exec, exec, s[22:23]
	s_cbranch_execz .LBB298_1285
.LBB298_1818:                           ;   in Loop: Header=BB298_1074 Depth=1
	v_cmp_ne_u16_e64 s[2:3], 0, v20
	s_andn2_b64 s[20:21], s[20:21], exec
	s_and_b64 s[2:3], s[2:3], exec
	v_mov_b32_e32 v4, 0
	s_or_b64 s[20:21], s[20:21], s[2:3]
	s_or_b64 exec, exec, s[22:23]
	s_and_saveexec_b64 s[22:23], s[20:21]
	s_cbranch_execnz .LBB298_1286
	s_branch .LBB298_1287
.LBB298_1819:                           ;   in Loop: Header=BB298_1074 Depth=1
	v_cmp_eq_u16_sdwa s[34:35], v20, s15 src0_sel:BYTE_0 src1_sel:DWORD
	s_mov_b64 s[2:3], -1
                                        ; implicit-def: $sgpr24
	s_and_saveexec_b64 s[22:23], s[34:35]
; %bb.1820:                             ;   in Loop: Header=BB298_1074 Depth=1
	s_mov_b32 s24, 0x7fc02000
	s_xor_b64 s[2:3], exec, -1
; %bb.1821:                             ;   in Loop: Header=BB298_1074 Depth=1
	s_or_b64 exec, exec, s[22:23]
	s_and_b64 s[2:3], s[2:3], exec
	s_or_saveexec_b64 s[20:21], s[20:21]
	v_mov_b32_e32 v47, s24
	s_xor_b64 exec, exec, s[20:21]
	s_cbranch_execz .LBB298_1289
.LBB298_1822:                           ;   in Loop: Header=BB298_1074 Depth=1
	v_cmp_ne_u16_sdwa s[22:23], v20, v21 src0_sel:BYTE_0 src1_sel:DWORD
	s_andn2_b64 s[2:3], s[2:3], exec
	s_and_b64 s[22:23], s[22:23], exec
	v_mov_b32_e32 v47, 0
	s_or_b64 s[2:3], s[2:3], s[22:23]
	s_or_b64 exec, exec, s[20:21]
	s_and_saveexec_b64 s[20:21], s[2:3]
	s_cbranch_execnz .LBB298_1290
	s_branch .LBB298_1291
.LBB298_1823:                           ;   in Loop: Header=BB298_1074 Depth=1
	v_cmp_eq_u16_e64 s[2:3], s15, v20
	s_mov_b64 s[20:21], -1
                                        ; implicit-def: $sgpr31
	s_and_saveexec_b64 s[24:25], s[2:3]
; %bb.1824:                             ;   in Loop: Header=BB298_1074 Depth=1
	s_mov_b32 s31, 0x7fc02000
	s_xor_b64 s[20:21], exec, -1
; %bb.1825:                             ;   in Loop: Header=BB298_1074 Depth=1
	s_or_b64 exec, exec, s[24:25]
	s_and_b64 s[20:21], s[20:21], exec
	s_or_saveexec_b64 s[22:23], s[22:23]
	v_mov_b32_e32 v5, s31
	s_xor_b64 exec, exec, s[22:23]
	s_cbranch_execz .LBB298_1293
.LBB298_1826:                           ;   in Loop: Header=BB298_1074 Depth=1
	v_cmp_ne_u16_e64 s[2:3], 0, v20
	s_andn2_b64 s[20:21], s[20:21], exec
	s_and_b64 s[2:3], s[2:3], exec
	v_mov_b32_e32 v5, 0
	s_or_b64 s[20:21], s[20:21], s[2:3]
	s_or_b64 exec, exec, s[22:23]
	s_and_saveexec_b64 s[22:23], s[20:21]
	s_cbranch_execnz .LBB298_1294
	s_branch .LBB298_1295
.LBB298_1827:                           ;   in Loop: Header=BB298_1074 Depth=1
	v_cmp_eq_u16_sdwa s[34:35], v61, s15 src0_sel:BYTE_0 src1_sel:DWORD
	s_mov_b64 s[2:3], -1
                                        ; implicit-def: $sgpr24
	s_and_saveexec_b64 s[22:23], s[34:35]
; %bb.1828:                             ;   in Loop: Header=BB298_1074 Depth=1
	s_mov_b32 s24, 0x7fc02000
	s_xor_b64 s[2:3], exec, -1
; %bb.1829:                             ;   in Loop: Header=BB298_1074 Depth=1
	s_or_b64 exec, exec, s[22:23]
	s_and_b64 s[2:3], s[2:3], exec
	s_or_saveexec_b64 s[20:21], s[20:21]
	v_mov_b32_e32 v6, s24
	s_xor_b64 exec, exec, s[20:21]
	s_cbranch_execz .LBB298_1297
.LBB298_1830:                           ;   in Loop: Header=BB298_1074 Depth=1
	v_cmp_ne_u16_sdwa s[22:23], v61, v21 src0_sel:BYTE_0 src1_sel:DWORD
	s_andn2_b64 s[2:3], s[2:3], exec
	s_and_b64 s[22:23], s[22:23], exec
	v_mov_b32_e32 v6, 0
	s_or_b64 s[2:3], s[2:3], s[22:23]
	s_or_b64 exec, exec, s[20:21]
	v_mov_b32_e32 v20, v61
	s_and_saveexec_b64 s[20:21], s[2:3]
	s_cbranch_execnz .LBB298_1298
	s_branch .LBB298_1299
.LBB298_1831:                           ;   in Loop: Header=BB298_1074 Depth=1
	v_cmp_eq_u16_e64 s[2:3], s15, v20
	s_mov_b64 s[20:21], -1
                                        ; implicit-def: $sgpr31
	s_and_saveexec_b64 s[24:25], s[2:3]
; %bb.1832:                             ;   in Loop: Header=BB298_1074 Depth=1
	s_mov_b32 s31, 0x7fc02000
	s_xor_b64 s[20:21], exec, -1
; %bb.1833:                             ;   in Loop: Header=BB298_1074 Depth=1
	s_or_b64 exec, exec, s[24:25]
	s_and_b64 s[20:21], s[20:21], exec
	s_or_saveexec_b64 s[22:23], s[22:23]
	v_mov_b32_e32 v16, s31
	s_xor_b64 exec, exec, s[22:23]
	s_cbranch_execz .LBB298_1301
.LBB298_1834:                           ;   in Loop: Header=BB298_1074 Depth=1
	v_cmp_ne_u16_e64 s[2:3], 0, v20
	s_andn2_b64 s[20:21], s[20:21], exec
	s_and_b64 s[2:3], s[2:3], exec
	v_mov_b32_e32 v16, 0
	s_or_b64 s[20:21], s[20:21], s[2:3]
	s_or_b64 exec, exec, s[22:23]
	s_and_saveexec_b64 s[22:23], s[20:21]
	s_cbranch_execnz .LBB298_1302
	s_branch .LBB298_1303
.LBB298_1835:                           ;   in Loop: Header=BB298_1074 Depth=1
	v_cmp_eq_u16_sdwa s[34:35], v20, s15 src0_sel:BYTE_0 src1_sel:DWORD
	s_mov_b64 s[2:3], -1
                                        ; implicit-def: $sgpr24
	s_and_saveexec_b64 s[22:23], s[34:35]
; %bb.1836:                             ;   in Loop: Header=BB298_1074 Depth=1
	s_mov_b32 s24, 0x7fc02000
	s_xor_b64 s[2:3], exec, -1
; %bb.1837:                             ;   in Loop: Header=BB298_1074 Depth=1
	s_or_b64 exec, exec, s[22:23]
	s_and_b64 s[2:3], s[2:3], exec
	s_or_saveexec_b64 s[20:21], s[20:21]
	v_mov_b32_e32 v17, s24
	s_xor_b64 exec, exec, s[20:21]
	s_cbranch_execz .LBB298_1305
.LBB298_1838:                           ;   in Loop: Header=BB298_1074 Depth=1
	v_cmp_ne_u16_sdwa s[22:23], v20, v21 src0_sel:BYTE_0 src1_sel:DWORD
	s_andn2_b64 s[2:3], s[2:3], exec
	s_and_b64 s[22:23], s[22:23], exec
	v_mov_b32_e32 v17, 0
	s_or_b64 s[2:3], s[2:3], s[22:23]
	s_or_b64 exec, exec, s[20:21]
	s_and_saveexec_b64 s[20:21], s[2:3]
	s_cbranch_execnz .LBB298_1306
	s_branch .LBB298_1307
.LBB298_1839:                           ;   in Loop: Header=BB298_1074 Depth=1
	v_cmp_eq_u16_e64 s[2:3], s15, v20
	s_mov_b64 s[20:21], -1
                                        ; implicit-def: $sgpr31
	s_and_saveexec_b64 s[24:25], s[2:3]
; %bb.1840:                             ;   in Loop: Header=BB298_1074 Depth=1
	s_mov_b32 s31, 0x7fc02000
	s_xor_b64 s[20:21], exec, -1
; %bb.1841:                             ;   in Loop: Header=BB298_1074 Depth=1
	s_or_b64 exec, exec, s[24:25]
	s_and_b64 s[20:21], s[20:21], exec
	s_or_saveexec_b64 s[22:23], s[22:23]
	v_mov_b32_e32 v23, s31
	s_xor_b64 exec, exec, s[22:23]
	s_cbranch_execz .LBB298_1309
.LBB298_1842:                           ;   in Loop: Header=BB298_1074 Depth=1
	v_cmp_ne_u16_e64 s[2:3], 0, v20
	s_andn2_b64 s[20:21], s[20:21], exec
	s_and_b64 s[2:3], s[2:3], exec
	v_mov_b32_e32 v23, 0
	s_or_b64 s[20:21], s[20:21], s[2:3]
	s_or_b64 exec, exec, s[22:23]
	s_and_saveexec_b64 s[22:23], s[20:21]
	s_cbranch_execnz .LBB298_1310
	s_branch .LBB298_1311
.LBB298_1843:                           ;   in Loop: Header=BB298_1074 Depth=1
	v_cmp_eq_u16_sdwa s[34:35], v58, s15 src0_sel:BYTE_0 src1_sel:DWORD
	s_mov_b64 s[2:3], -1
                                        ; implicit-def: $sgpr24
	s_and_saveexec_b64 s[22:23], s[34:35]
; %bb.1844:                             ;   in Loop: Header=BB298_1074 Depth=1
	s_mov_b32 s24, 0x7fc02000
	s_xor_b64 s[2:3], exec, -1
; %bb.1845:                             ;   in Loop: Header=BB298_1074 Depth=1
	s_or_b64 exec, exec, s[22:23]
	s_and_b64 s[2:3], s[2:3], exec
	s_or_saveexec_b64 s[20:21], s[20:21]
	v_mov_b32_e32 v46, s24
	s_xor_b64 exec, exec, s[20:21]
	s_cbranch_execz .LBB298_1315
.LBB298_1846:                           ;   in Loop: Header=BB298_1074 Depth=1
	v_cmp_ne_u16_sdwa s[22:23], v58, v21 src0_sel:BYTE_0 src1_sel:DWORD
	s_andn2_b64 s[2:3], s[2:3], exec
	s_and_b64 s[22:23], s[22:23], exec
	v_mov_b32_e32 v46, 0
	s_or_b64 s[2:3], s[2:3], s[22:23]
	s_or_b64 exec, exec, s[20:21]
	s_and_saveexec_b64 s[20:21], s[2:3]
	s_cbranch_execnz .LBB298_1316
	s_branch .LBB298_1317
.LBB298_1847:                           ;   in Loop: Header=BB298_1074 Depth=1
	v_cmp_eq_u16_e64 s[2:3], s15, v20
	s_mov_b64 s[20:21], -1
                                        ; implicit-def: $sgpr31
	s_and_saveexec_b64 s[24:25], s[2:3]
; %bb.1848:                             ;   in Loop: Header=BB298_1074 Depth=1
	s_mov_b32 s31, 0x7fc02000
	s_xor_b64 s[20:21], exec, -1
; %bb.1849:                             ;   in Loop: Header=BB298_1074 Depth=1
	s_or_b64 exec, exec, s[24:25]
	s_and_b64 s[20:21], s[20:21], exec
	s_or_saveexec_b64 s[22:23], s[22:23]
	v_mov_b32_e32 v4, s31
	s_xor_b64 exec, exec, s[22:23]
	s_cbranch_execz .LBB298_1319
.LBB298_1850:                           ;   in Loop: Header=BB298_1074 Depth=1
	v_cmp_ne_u16_e64 s[2:3], 0, v20
	s_andn2_b64 s[20:21], s[20:21], exec
	s_and_b64 s[2:3], s[2:3], exec
	v_mov_b32_e32 v4, 0
	s_or_b64 s[20:21], s[20:21], s[2:3]
	s_or_b64 exec, exec, s[22:23]
	s_and_saveexec_b64 s[22:23], s[20:21]
	s_cbranch_execnz .LBB298_1320
	s_branch .LBB298_1321
.LBB298_1851:                           ;   in Loop: Header=BB298_1074 Depth=1
	v_cmp_eq_u16_sdwa s[34:35], v20, s15 src0_sel:BYTE_0 src1_sel:DWORD
	s_mov_b64 s[2:3], -1
                                        ; implicit-def: $sgpr24
	s_and_saveexec_b64 s[22:23], s[34:35]
; %bb.1852:                             ;   in Loop: Header=BB298_1074 Depth=1
	s_mov_b32 s24, 0x7fc02000
	s_xor_b64 s[2:3], exec, -1
; %bb.1853:                             ;   in Loop: Header=BB298_1074 Depth=1
	s_or_b64 exec, exec, s[22:23]
	s_and_b64 s[2:3], s[2:3], exec
	s_or_saveexec_b64 s[20:21], s[20:21]
	v_mov_b32_e32 v47, s24
	s_xor_b64 exec, exec, s[20:21]
	s_cbranch_execz .LBB298_1323
.LBB298_1854:                           ;   in Loop: Header=BB298_1074 Depth=1
	v_cmp_ne_u16_sdwa s[22:23], v20, v21 src0_sel:BYTE_0 src1_sel:DWORD
	s_andn2_b64 s[2:3], s[2:3], exec
	s_and_b64 s[22:23], s[22:23], exec
	v_mov_b32_e32 v47, 0
	s_or_b64 s[2:3], s[2:3], s[22:23]
	s_or_b64 exec, exec, s[20:21]
	s_and_saveexec_b64 s[20:21], s[2:3]
	s_cbranch_execnz .LBB298_1324
	s_branch .LBB298_1325
.LBB298_1855:                           ;   in Loop: Header=BB298_1074 Depth=1
	v_cmp_eq_u16_e64 s[2:3], s15, v20
	s_mov_b64 s[20:21], -1
                                        ; implicit-def: $sgpr31
	s_and_saveexec_b64 s[24:25], s[2:3]
; %bb.1856:                             ;   in Loop: Header=BB298_1074 Depth=1
	s_mov_b32 s31, 0x7fc02000
	s_xor_b64 s[20:21], exec, -1
; %bb.1857:                             ;   in Loop: Header=BB298_1074 Depth=1
	s_or_b64 exec, exec, s[24:25]
	s_and_b64 s[20:21], s[20:21], exec
	s_or_saveexec_b64 s[22:23], s[22:23]
	v_mov_b32_e32 v5, s31
	s_xor_b64 exec, exec, s[22:23]
	s_cbranch_execz .LBB298_1327
.LBB298_1858:                           ;   in Loop: Header=BB298_1074 Depth=1
	v_cmp_ne_u16_e64 s[2:3], 0, v20
	s_andn2_b64 s[20:21], s[20:21], exec
	s_and_b64 s[2:3], s[2:3], exec
	v_mov_b32_e32 v5, 0
	s_or_b64 s[20:21], s[20:21], s[2:3]
	s_or_b64 exec, exec, s[22:23]
	s_and_saveexec_b64 s[22:23], s[20:21]
	s_cbranch_execnz .LBB298_1328
	s_branch .LBB298_1329
.LBB298_1859:                           ;   in Loop: Header=BB298_1074 Depth=1
	v_cmp_eq_u16_sdwa s[34:35], v59, s15 src0_sel:BYTE_0 src1_sel:DWORD
	s_mov_b64 s[2:3], -1
                                        ; implicit-def: $sgpr24
	s_and_saveexec_b64 s[22:23], s[34:35]
; %bb.1860:                             ;   in Loop: Header=BB298_1074 Depth=1
	s_mov_b32 s24, 0x7fc02000
	s_xor_b64 s[2:3], exec, -1
; %bb.1861:                             ;   in Loop: Header=BB298_1074 Depth=1
	s_or_b64 exec, exec, s[22:23]
	s_and_b64 s[2:3], s[2:3], exec
	s_or_saveexec_b64 s[20:21], s[20:21]
	v_mov_b32_e32 v6, s24
	s_xor_b64 exec, exec, s[20:21]
	s_cbranch_execz .LBB298_1331
.LBB298_1862:                           ;   in Loop: Header=BB298_1074 Depth=1
	v_cmp_ne_u16_sdwa s[22:23], v59, v21 src0_sel:BYTE_0 src1_sel:DWORD
	s_andn2_b64 s[2:3], s[2:3], exec
	s_and_b64 s[22:23], s[22:23], exec
	v_mov_b32_e32 v6, 0
	s_or_b64 s[2:3], s[2:3], s[22:23]
	s_or_b64 exec, exec, s[20:21]
	v_mov_b32_e32 v20, v59
	s_and_saveexec_b64 s[20:21], s[2:3]
	s_cbranch_execnz .LBB298_1332
	s_branch .LBB298_1333
.LBB298_1863:                           ;   in Loop: Header=BB298_1074 Depth=1
	v_cmp_eq_u16_e64 s[2:3], s15, v20
	s_mov_b64 s[20:21], -1
                                        ; implicit-def: $sgpr31
	s_and_saveexec_b64 s[24:25], s[2:3]
; %bb.1864:                             ;   in Loop: Header=BB298_1074 Depth=1
	s_mov_b32 s31, 0x7fc02000
	s_xor_b64 s[20:21], exec, -1
; %bb.1865:                             ;   in Loop: Header=BB298_1074 Depth=1
	s_or_b64 exec, exec, s[24:25]
	s_and_b64 s[20:21], s[20:21], exec
	s_or_saveexec_b64 s[22:23], s[22:23]
	v_mov_b32_e32 v16, s31
	s_xor_b64 exec, exec, s[22:23]
	s_cbranch_execz .LBB298_1335
.LBB298_1866:                           ;   in Loop: Header=BB298_1074 Depth=1
	v_cmp_ne_u16_e64 s[2:3], 0, v20
	s_andn2_b64 s[20:21], s[20:21], exec
	s_and_b64 s[2:3], s[2:3], exec
	v_mov_b32_e32 v16, 0
	s_or_b64 s[20:21], s[20:21], s[2:3]
	s_or_b64 exec, exec, s[22:23]
	s_and_saveexec_b64 s[22:23], s[20:21]
	s_cbranch_execnz .LBB298_1336
	s_branch .LBB298_1337
.LBB298_1867:                           ;   in Loop: Header=BB298_1074 Depth=1
	v_cmp_eq_u16_sdwa s[34:35], v20, s15 src0_sel:BYTE_0 src1_sel:DWORD
	s_mov_b64 s[2:3], -1
                                        ; implicit-def: $sgpr24
	s_and_saveexec_b64 s[22:23], s[34:35]
; %bb.1868:                             ;   in Loop: Header=BB298_1074 Depth=1
	s_mov_b32 s24, 0x7fc02000
	s_xor_b64 s[2:3], exec, -1
; %bb.1869:                             ;   in Loop: Header=BB298_1074 Depth=1
	s_or_b64 exec, exec, s[22:23]
	s_and_b64 s[2:3], s[2:3], exec
	s_or_saveexec_b64 s[20:21], s[20:21]
	v_mov_b32_e32 v17, s24
	s_xor_b64 exec, exec, s[20:21]
	s_cbranch_execz .LBB298_1339
.LBB298_1870:                           ;   in Loop: Header=BB298_1074 Depth=1
	v_cmp_ne_u16_sdwa s[22:23], v20, v21 src0_sel:BYTE_0 src1_sel:DWORD
	s_andn2_b64 s[2:3], s[2:3], exec
	s_and_b64 s[22:23], s[22:23], exec
	v_mov_b32_e32 v17, 0
	s_or_b64 s[2:3], s[2:3], s[22:23]
	s_or_b64 exec, exec, s[20:21]
	s_and_saveexec_b64 s[20:21], s[2:3]
	s_cbranch_execnz .LBB298_1340
	s_branch .LBB298_1341
.LBB298_1871:                           ;   in Loop: Header=BB298_1074 Depth=1
	v_cmp_eq_u16_e64 s[2:3], s15, v20
	s_mov_b64 s[20:21], -1
                                        ; implicit-def: $sgpr31
	s_and_saveexec_b64 s[24:25], s[2:3]
; %bb.1872:                             ;   in Loop: Header=BB298_1074 Depth=1
	s_mov_b32 s31, 0x7fc02000
	s_xor_b64 s[20:21], exec, -1
; %bb.1873:                             ;   in Loop: Header=BB298_1074 Depth=1
	s_or_b64 exec, exec, s[24:25]
	s_and_b64 s[20:21], s[20:21], exec
	s_or_saveexec_b64 s[22:23], s[22:23]
	v_mov_b32_e32 v23, s31
	s_xor_b64 exec, exec, s[22:23]
	s_cbranch_execz .LBB298_1343
.LBB298_1874:                           ;   in Loop: Header=BB298_1074 Depth=1
	v_cmp_ne_u16_e64 s[2:3], 0, v20
	s_andn2_b64 s[20:21], s[20:21], exec
	s_and_b64 s[2:3], s[2:3], exec
	v_mov_b32_e32 v23, 0
	s_or_b64 s[20:21], s[20:21], s[2:3]
	s_or_b64 exec, exec, s[22:23]
	s_and_saveexec_b64 s[22:23], s[20:21]
	s_cbranch_execnz .LBB298_1344
	s_branch .LBB298_1345
.LBB298_1875:                           ;   in Loop: Header=BB298_1074 Depth=1
	v_cmp_eq_u16_sdwa s[34:35], v58, s15 src0_sel:BYTE_0 src1_sel:DWORD
	s_mov_b64 s[2:3], -1
                                        ; implicit-def: $sgpr24
	s_and_saveexec_b64 s[22:23], s[34:35]
; %bb.1876:                             ;   in Loop: Header=BB298_1074 Depth=1
	s_mov_b32 s24, 0x7fc02000
	s_xor_b64 s[2:3], exec, -1
; %bb.1877:                             ;   in Loop: Header=BB298_1074 Depth=1
	s_or_b64 exec, exec, s[22:23]
	s_and_b64 s[2:3], s[2:3], exec
	s_or_saveexec_b64 s[20:21], s[20:21]
	v_mov_b32_e32 v46, s24
	s_xor_b64 exec, exec, s[20:21]
	s_cbranch_execz .LBB298_1349
.LBB298_1878:                           ;   in Loop: Header=BB298_1074 Depth=1
	v_cmp_ne_u16_sdwa s[22:23], v58, v21 src0_sel:BYTE_0 src1_sel:DWORD
	s_andn2_b64 s[2:3], s[2:3], exec
	s_and_b64 s[22:23], s[22:23], exec
	v_mov_b32_e32 v46, 0
	s_or_b64 s[2:3], s[2:3], s[22:23]
	s_or_b64 exec, exec, s[20:21]
	s_and_saveexec_b64 s[20:21], s[2:3]
	s_cbranch_execnz .LBB298_1350
	s_branch .LBB298_1351
.LBB298_1879:                           ;   in Loop: Header=BB298_1074 Depth=1
	v_cmp_eq_u16_e64 s[2:3], s15, v20
	s_mov_b64 s[20:21], -1
                                        ; implicit-def: $sgpr31
	s_and_saveexec_b64 s[24:25], s[2:3]
; %bb.1880:                             ;   in Loop: Header=BB298_1074 Depth=1
	s_mov_b32 s31, 0x7fc02000
	s_xor_b64 s[20:21], exec, -1
; %bb.1881:                             ;   in Loop: Header=BB298_1074 Depth=1
	s_or_b64 exec, exec, s[24:25]
	s_and_b64 s[20:21], s[20:21], exec
	s_or_saveexec_b64 s[22:23], s[22:23]
	v_mov_b32_e32 v4, s31
	s_xor_b64 exec, exec, s[22:23]
	s_cbranch_execz .LBB298_1353
.LBB298_1882:                           ;   in Loop: Header=BB298_1074 Depth=1
	v_cmp_ne_u16_e64 s[2:3], 0, v20
	s_andn2_b64 s[20:21], s[20:21], exec
	s_and_b64 s[2:3], s[2:3], exec
	v_mov_b32_e32 v4, 0
	s_or_b64 s[20:21], s[20:21], s[2:3]
	s_or_b64 exec, exec, s[22:23]
	s_and_saveexec_b64 s[22:23], s[20:21]
	s_cbranch_execnz .LBB298_1354
	s_branch .LBB298_1355
.LBB298_1883:                           ;   in Loop: Header=BB298_1074 Depth=1
	v_cmp_eq_u16_sdwa s[34:35], v20, s15 src0_sel:BYTE_0 src1_sel:DWORD
	s_mov_b64 s[2:3], -1
                                        ; implicit-def: $sgpr24
	s_and_saveexec_b64 s[22:23], s[34:35]
; %bb.1884:                             ;   in Loop: Header=BB298_1074 Depth=1
	s_mov_b32 s24, 0x7fc02000
	s_xor_b64 s[2:3], exec, -1
; %bb.1885:                             ;   in Loop: Header=BB298_1074 Depth=1
	s_or_b64 exec, exec, s[22:23]
	s_and_b64 s[2:3], s[2:3], exec
	s_or_saveexec_b64 s[20:21], s[20:21]
	v_mov_b32_e32 v47, s24
	s_xor_b64 exec, exec, s[20:21]
	s_cbranch_execz .LBB298_1357
.LBB298_1886:                           ;   in Loop: Header=BB298_1074 Depth=1
	v_cmp_ne_u16_sdwa s[22:23], v20, v21 src0_sel:BYTE_0 src1_sel:DWORD
	s_andn2_b64 s[2:3], s[2:3], exec
	s_and_b64 s[22:23], s[22:23], exec
	v_mov_b32_e32 v47, 0
	s_or_b64 s[2:3], s[2:3], s[22:23]
	s_or_b64 exec, exec, s[20:21]
	s_and_saveexec_b64 s[20:21], s[2:3]
	s_cbranch_execnz .LBB298_1358
	s_branch .LBB298_1359
.LBB298_1887:                           ;   in Loop: Header=BB298_1074 Depth=1
	v_cmp_eq_u16_e64 s[2:3], s15, v20
	s_mov_b64 s[20:21], -1
                                        ; implicit-def: $sgpr31
	s_and_saveexec_b64 s[24:25], s[2:3]
; %bb.1888:                             ;   in Loop: Header=BB298_1074 Depth=1
	s_mov_b32 s31, 0x7fc02000
	s_xor_b64 s[20:21], exec, -1
; %bb.1889:                             ;   in Loop: Header=BB298_1074 Depth=1
	s_or_b64 exec, exec, s[24:25]
	s_and_b64 s[20:21], s[20:21], exec
	s_or_saveexec_b64 s[22:23], s[22:23]
	v_mov_b32_e32 v5, s31
	s_xor_b64 exec, exec, s[22:23]
	s_cbranch_execz .LBB298_1361
.LBB298_1890:                           ;   in Loop: Header=BB298_1074 Depth=1
	v_cmp_ne_u16_e64 s[2:3], 0, v20
	s_andn2_b64 s[20:21], s[20:21], exec
	s_and_b64 s[2:3], s[2:3], exec
	v_mov_b32_e32 v5, 0
	s_or_b64 s[20:21], s[20:21], s[2:3]
	s_or_b64 exec, exec, s[22:23]
	s_and_saveexec_b64 s[22:23], s[20:21]
	s_cbranch_execnz .LBB298_1362
	s_branch .LBB298_1363
.LBB298_1891:                           ;   in Loop: Header=BB298_1074 Depth=1
	v_cmp_eq_u16_sdwa s[34:35], v59, s15 src0_sel:BYTE_0 src1_sel:DWORD
	s_mov_b64 s[2:3], -1
                                        ; implicit-def: $sgpr24
	s_and_saveexec_b64 s[22:23], s[34:35]
; %bb.1892:                             ;   in Loop: Header=BB298_1074 Depth=1
	s_mov_b32 s24, 0x7fc02000
	s_xor_b64 s[2:3], exec, -1
; %bb.1893:                             ;   in Loop: Header=BB298_1074 Depth=1
	s_or_b64 exec, exec, s[22:23]
	s_and_b64 s[2:3], s[2:3], exec
	s_or_saveexec_b64 s[20:21], s[20:21]
	v_mov_b32_e32 v6, s24
	s_xor_b64 exec, exec, s[20:21]
	s_cbranch_execz .LBB298_1365
.LBB298_1894:                           ;   in Loop: Header=BB298_1074 Depth=1
	v_cmp_ne_u16_sdwa s[22:23], v59, v21 src0_sel:BYTE_0 src1_sel:DWORD
	s_andn2_b64 s[2:3], s[2:3], exec
	s_and_b64 s[22:23], s[22:23], exec
	v_mov_b32_e32 v6, 0
	s_or_b64 s[2:3], s[2:3], s[22:23]
	s_or_b64 exec, exec, s[20:21]
	v_mov_b32_e32 v20, v59
	s_and_saveexec_b64 s[20:21], s[2:3]
	s_cbranch_execnz .LBB298_1366
	s_branch .LBB298_1367
.LBB298_1895:                           ;   in Loop: Header=BB298_1074 Depth=1
	v_cmp_eq_u16_e64 s[2:3], s15, v20
	s_mov_b64 s[20:21], -1
                                        ; implicit-def: $sgpr31
	s_and_saveexec_b64 s[24:25], s[2:3]
; %bb.1896:                             ;   in Loop: Header=BB298_1074 Depth=1
	s_mov_b32 s31, 0x7fc02000
	s_xor_b64 s[20:21], exec, -1
; %bb.1897:                             ;   in Loop: Header=BB298_1074 Depth=1
	s_or_b64 exec, exec, s[24:25]
	s_and_b64 s[20:21], s[20:21], exec
	s_or_saveexec_b64 s[22:23], s[22:23]
	v_mov_b32_e32 v16, s31
	s_xor_b64 exec, exec, s[22:23]
	s_cbranch_execz .LBB298_1369
.LBB298_1898:                           ;   in Loop: Header=BB298_1074 Depth=1
	v_cmp_ne_u16_e64 s[2:3], 0, v20
	s_andn2_b64 s[20:21], s[20:21], exec
	s_and_b64 s[2:3], s[2:3], exec
	v_mov_b32_e32 v16, 0
	s_or_b64 s[20:21], s[20:21], s[2:3]
	s_or_b64 exec, exec, s[22:23]
	s_and_saveexec_b64 s[22:23], s[20:21]
	s_cbranch_execnz .LBB298_1370
	s_branch .LBB298_1371
.LBB298_1899:                           ;   in Loop: Header=BB298_1074 Depth=1
	v_cmp_eq_u16_sdwa s[34:35], v20, s15 src0_sel:BYTE_0 src1_sel:DWORD
	s_mov_b64 s[2:3], -1
                                        ; implicit-def: $sgpr24
	s_and_saveexec_b64 s[22:23], s[34:35]
; %bb.1900:                             ;   in Loop: Header=BB298_1074 Depth=1
	s_mov_b32 s24, 0x7fc02000
	s_xor_b64 s[2:3], exec, -1
; %bb.1901:                             ;   in Loop: Header=BB298_1074 Depth=1
	s_or_b64 exec, exec, s[22:23]
	s_and_b64 s[2:3], s[2:3], exec
	s_or_saveexec_b64 s[20:21], s[20:21]
	v_mov_b32_e32 v17, s24
	s_xor_b64 exec, exec, s[20:21]
	s_cbranch_execz .LBB298_1373
.LBB298_1902:                           ;   in Loop: Header=BB298_1074 Depth=1
	v_cmp_ne_u16_sdwa s[22:23], v20, v21 src0_sel:BYTE_0 src1_sel:DWORD
	s_andn2_b64 s[2:3], s[2:3], exec
	s_and_b64 s[22:23], s[22:23], exec
	v_mov_b32_e32 v17, 0
	s_or_b64 s[2:3], s[2:3], s[22:23]
	s_or_b64 exec, exec, s[20:21]
	s_and_saveexec_b64 s[20:21], s[2:3]
	s_cbranch_execnz .LBB298_1374
	s_branch .LBB298_1375
.LBB298_1903:                           ;   in Loop: Header=BB298_1074 Depth=1
	v_cmp_eq_u16_e64 s[2:3], s15, v20
	s_mov_b64 s[20:21], -1
                                        ; implicit-def: $sgpr31
	s_and_saveexec_b64 s[24:25], s[2:3]
; %bb.1904:                             ;   in Loop: Header=BB298_1074 Depth=1
	s_mov_b32 s31, 0x7fc02000
	s_xor_b64 s[20:21], exec, -1
; %bb.1905:                             ;   in Loop: Header=BB298_1074 Depth=1
	s_or_b64 exec, exec, s[24:25]
	s_and_b64 s[20:21], s[20:21], exec
	s_or_saveexec_b64 s[22:23], s[22:23]
	v_mov_b32_e32 v23, s31
	s_xor_b64 exec, exec, s[22:23]
	s_cbranch_execz .LBB298_1377
.LBB298_1906:                           ;   in Loop: Header=BB298_1074 Depth=1
	v_cmp_ne_u16_e64 s[2:3], 0, v20
	s_andn2_b64 s[20:21], s[20:21], exec
	s_and_b64 s[2:3], s[2:3], exec
	v_mov_b32_e32 v23, 0
	s_or_b64 s[20:21], s[20:21], s[2:3]
	s_or_b64 exec, exec, s[22:23]
	s_and_saveexec_b64 s[22:23], s[20:21]
	s_cbranch_execnz .LBB298_1378
	s_branch .LBB298_1379
.LBB298_1907:                           ;   in Loop: Header=BB298_1074 Depth=1
	v_cmp_eq_u16_sdwa s[34:35], v58, s15 src0_sel:BYTE_0 src1_sel:DWORD
	s_mov_b64 s[2:3], -1
                                        ; implicit-def: $sgpr24
	s_and_saveexec_b64 s[22:23], s[34:35]
; %bb.1908:                             ;   in Loop: Header=BB298_1074 Depth=1
	s_mov_b32 s24, 0x7fc02000
	s_xor_b64 s[2:3], exec, -1
; %bb.1909:                             ;   in Loop: Header=BB298_1074 Depth=1
	s_or_b64 exec, exec, s[22:23]
	s_and_b64 s[2:3], s[2:3], exec
	s_or_saveexec_b64 s[20:21], s[20:21]
	v_mov_b32_e32 v46, s24
	s_xor_b64 exec, exec, s[20:21]
	s_cbranch_execz .LBB298_1383
.LBB298_1910:                           ;   in Loop: Header=BB298_1074 Depth=1
	v_cmp_ne_u16_sdwa s[22:23], v58, v21 src0_sel:BYTE_0 src1_sel:DWORD
	s_andn2_b64 s[2:3], s[2:3], exec
	s_and_b64 s[22:23], s[22:23], exec
	v_mov_b32_e32 v46, 0
	s_or_b64 s[2:3], s[2:3], s[22:23]
	s_or_b64 exec, exec, s[20:21]
	s_and_saveexec_b64 s[20:21], s[2:3]
	s_cbranch_execnz .LBB298_1384
	s_branch .LBB298_1385
.LBB298_1911:                           ;   in Loop: Header=BB298_1074 Depth=1
	v_cmp_eq_u16_e64 s[2:3], s15, v20
	s_mov_b64 s[20:21], -1
                                        ; implicit-def: $sgpr31
	s_and_saveexec_b64 s[24:25], s[2:3]
; %bb.1912:                             ;   in Loop: Header=BB298_1074 Depth=1
	s_mov_b32 s31, 0x7fc02000
	s_xor_b64 s[20:21], exec, -1
; %bb.1913:                             ;   in Loop: Header=BB298_1074 Depth=1
	s_or_b64 exec, exec, s[24:25]
	s_and_b64 s[20:21], s[20:21], exec
	s_or_saveexec_b64 s[22:23], s[22:23]
	v_mov_b32_e32 v4, s31
	s_xor_b64 exec, exec, s[22:23]
	s_cbranch_execz .LBB298_1387
.LBB298_1914:                           ;   in Loop: Header=BB298_1074 Depth=1
	v_cmp_ne_u16_e64 s[2:3], 0, v20
	s_andn2_b64 s[20:21], s[20:21], exec
	s_and_b64 s[2:3], s[2:3], exec
	v_mov_b32_e32 v4, 0
	s_or_b64 s[20:21], s[20:21], s[2:3]
	s_or_b64 exec, exec, s[22:23]
	s_and_saveexec_b64 s[22:23], s[20:21]
	s_cbranch_execnz .LBB298_1388
	s_branch .LBB298_1389
.LBB298_1915:                           ;   in Loop: Header=BB298_1074 Depth=1
	v_cmp_eq_u16_sdwa s[34:35], v20, s15 src0_sel:BYTE_0 src1_sel:DWORD
	s_mov_b64 s[2:3], -1
                                        ; implicit-def: $sgpr24
	s_and_saveexec_b64 s[22:23], s[34:35]
; %bb.1916:                             ;   in Loop: Header=BB298_1074 Depth=1
	s_mov_b32 s24, 0x7fc02000
	s_xor_b64 s[2:3], exec, -1
; %bb.1917:                             ;   in Loop: Header=BB298_1074 Depth=1
	s_or_b64 exec, exec, s[22:23]
	s_and_b64 s[2:3], s[2:3], exec
	s_or_saveexec_b64 s[20:21], s[20:21]
	v_mov_b32_e32 v47, s24
	s_xor_b64 exec, exec, s[20:21]
	s_cbranch_execz .LBB298_1391
.LBB298_1918:                           ;   in Loop: Header=BB298_1074 Depth=1
	v_cmp_ne_u16_sdwa s[22:23], v20, v21 src0_sel:BYTE_0 src1_sel:DWORD
	s_andn2_b64 s[2:3], s[2:3], exec
	s_and_b64 s[22:23], s[22:23], exec
	v_mov_b32_e32 v47, 0
	s_or_b64 s[2:3], s[2:3], s[22:23]
	s_or_b64 exec, exec, s[20:21]
	s_and_saveexec_b64 s[20:21], s[2:3]
	s_cbranch_execnz .LBB298_1392
	s_branch .LBB298_1393
.LBB298_1919:                           ;   in Loop: Header=BB298_1074 Depth=1
	v_cmp_eq_u16_e64 s[2:3], s15, v20
	s_mov_b64 s[20:21], -1
                                        ; implicit-def: $sgpr31
	s_and_saveexec_b64 s[24:25], s[2:3]
; %bb.1920:                             ;   in Loop: Header=BB298_1074 Depth=1
	s_mov_b32 s31, 0x7fc02000
	s_xor_b64 s[20:21], exec, -1
; %bb.1921:                             ;   in Loop: Header=BB298_1074 Depth=1
	s_or_b64 exec, exec, s[24:25]
	s_and_b64 s[20:21], s[20:21], exec
	s_or_saveexec_b64 s[22:23], s[22:23]
	v_mov_b32_e32 v5, s31
	s_xor_b64 exec, exec, s[22:23]
	s_cbranch_execz .LBB298_1395
.LBB298_1922:                           ;   in Loop: Header=BB298_1074 Depth=1
	v_cmp_ne_u16_e64 s[2:3], 0, v20
	s_andn2_b64 s[20:21], s[20:21], exec
	s_and_b64 s[2:3], s[2:3], exec
	v_mov_b32_e32 v5, 0
	s_or_b64 s[20:21], s[20:21], s[2:3]
	s_or_b64 exec, exec, s[22:23]
	s_and_saveexec_b64 s[22:23], s[20:21]
	s_cbranch_execnz .LBB298_1396
	s_branch .LBB298_1397
.LBB298_1923:                           ;   in Loop: Header=BB298_1074 Depth=1
	v_cmp_eq_u16_sdwa s[34:35], v59, s15 src0_sel:BYTE_0 src1_sel:DWORD
	s_mov_b64 s[2:3], -1
                                        ; implicit-def: $sgpr24
	s_and_saveexec_b64 s[22:23], s[34:35]
; %bb.1924:                             ;   in Loop: Header=BB298_1074 Depth=1
	s_mov_b32 s24, 0x7fc02000
	s_xor_b64 s[2:3], exec, -1
; %bb.1925:                             ;   in Loop: Header=BB298_1074 Depth=1
	s_or_b64 exec, exec, s[22:23]
	s_and_b64 s[2:3], s[2:3], exec
	s_or_saveexec_b64 s[20:21], s[20:21]
	v_mov_b32_e32 v6, s24
	s_xor_b64 exec, exec, s[20:21]
	s_cbranch_execz .LBB298_1399
.LBB298_1926:                           ;   in Loop: Header=BB298_1074 Depth=1
	v_cmp_ne_u16_sdwa s[22:23], v59, v21 src0_sel:BYTE_0 src1_sel:DWORD
	s_andn2_b64 s[2:3], s[2:3], exec
	s_and_b64 s[22:23], s[22:23], exec
	v_mov_b32_e32 v6, 0
	s_or_b64 s[2:3], s[2:3], s[22:23]
	s_or_b64 exec, exec, s[20:21]
	v_mov_b32_e32 v20, v59
	s_and_saveexec_b64 s[20:21], s[2:3]
	s_cbranch_execnz .LBB298_1400
	s_branch .LBB298_1401
.LBB298_1927:                           ;   in Loop: Header=BB298_1074 Depth=1
	v_cmp_eq_u16_e64 s[2:3], s15, v20
	s_mov_b64 s[20:21], -1
                                        ; implicit-def: $sgpr31
	s_and_saveexec_b64 s[24:25], s[2:3]
; %bb.1928:                             ;   in Loop: Header=BB298_1074 Depth=1
	s_mov_b32 s31, 0x7fc02000
	s_xor_b64 s[20:21], exec, -1
; %bb.1929:                             ;   in Loop: Header=BB298_1074 Depth=1
	s_or_b64 exec, exec, s[24:25]
	s_and_b64 s[20:21], s[20:21], exec
	s_or_saveexec_b64 s[22:23], s[22:23]
	v_mov_b32_e32 v16, s31
	s_xor_b64 exec, exec, s[22:23]
	s_cbranch_execz .LBB298_1403
.LBB298_1930:                           ;   in Loop: Header=BB298_1074 Depth=1
	v_cmp_ne_u16_e64 s[2:3], 0, v20
	s_andn2_b64 s[20:21], s[20:21], exec
	s_and_b64 s[2:3], s[2:3], exec
	v_mov_b32_e32 v16, 0
	s_or_b64 s[20:21], s[20:21], s[2:3]
	s_or_b64 exec, exec, s[22:23]
	s_and_saveexec_b64 s[22:23], s[20:21]
	s_cbranch_execnz .LBB298_1404
	s_branch .LBB298_1405
.LBB298_1931:                           ;   in Loop: Header=BB298_1074 Depth=1
	v_cmp_eq_u16_sdwa s[34:35], v20, s15 src0_sel:BYTE_0 src1_sel:DWORD
	s_mov_b64 s[2:3], -1
                                        ; implicit-def: $sgpr24
	s_and_saveexec_b64 s[22:23], s[34:35]
; %bb.1932:                             ;   in Loop: Header=BB298_1074 Depth=1
	s_mov_b32 s24, 0x7fc02000
	s_xor_b64 s[2:3], exec, -1
; %bb.1933:                             ;   in Loop: Header=BB298_1074 Depth=1
	s_or_b64 exec, exec, s[22:23]
	s_and_b64 s[2:3], s[2:3], exec
	s_or_saveexec_b64 s[20:21], s[20:21]
	v_mov_b32_e32 v18, s24
	s_xor_b64 exec, exec, s[20:21]
	s_cbranch_execz .LBB298_1407
.LBB298_1934:                           ;   in Loop: Header=BB298_1074 Depth=1
	v_cmp_ne_u16_sdwa s[22:23], v20, v21 src0_sel:BYTE_0 src1_sel:DWORD
	s_andn2_b64 s[2:3], s[2:3], exec
	s_and_b64 s[22:23], s[22:23], exec
	v_mov_b32_e32 v18, 0
	s_or_b64 s[2:3], s[2:3], s[22:23]
	s_or_b64 exec, exec, s[20:21]
	s_and_saveexec_b64 s[20:21], s[2:3]
	s_cbranch_execnz .LBB298_1408
	s_branch .LBB298_1409
.LBB298_1935:                           ;   in Loop: Header=BB298_1074 Depth=1
	v_cmp_eq_u16_e64 s[2:3], s15, v20
	s_mov_b64 s[20:21], -1
                                        ; implicit-def: $sgpr31
	s_and_saveexec_b64 s[24:25], s[2:3]
; %bb.1936:                             ;   in Loop: Header=BB298_1074 Depth=1
	s_mov_b32 s31, 0x7fc02000
	s_xor_b64 s[20:21], exec, -1
; %bb.1937:                             ;   in Loop: Header=BB298_1074 Depth=1
	s_or_b64 exec, exec, s[24:25]
	s_and_b64 s[20:21], s[20:21], exec
	s_or_saveexec_b64 s[22:23], s[22:23]
	v_mov_b32_e32 v23, s31
	s_xor_b64 exec, exec, s[22:23]
	s_cbranch_execz .LBB298_1411
.LBB298_1938:                           ;   in Loop: Header=BB298_1074 Depth=1
	v_cmp_ne_u16_e64 s[2:3], 0, v20
	s_andn2_b64 s[20:21], s[20:21], exec
	s_and_b64 s[2:3], s[2:3], exec
	v_mov_b32_e32 v23, 0
	s_or_b64 s[20:21], s[20:21], s[2:3]
	s_or_b64 exec, exec, s[22:23]
	s_and_saveexec_b64 s[22:23], s[20:21]
	s_cbranch_execnz .LBB298_1412
	s_branch .LBB298_1413
.LBB298_1939:                           ;   in Loop: Header=BB298_1074 Depth=1
	v_cmp_eq_u16_sdwa s[34:35], v58, s15 src0_sel:BYTE_0 src1_sel:DWORD
	s_mov_b64 s[2:3], -1
                                        ; implicit-def: $sgpr24
	s_and_saveexec_b64 s[22:23], s[34:35]
; %bb.1940:                             ;   in Loop: Header=BB298_1074 Depth=1
	s_mov_b32 s24, 0x7fc02000
	s_xor_b64 s[2:3], exec, -1
; %bb.1941:                             ;   in Loop: Header=BB298_1074 Depth=1
	s_or_b64 exec, exec, s[22:23]
	s_and_b64 s[2:3], s[2:3], exec
	s_or_saveexec_b64 s[20:21], s[20:21]
	v_mov_b32_e32 v46, s24
	s_xor_b64 exec, exec, s[20:21]
	s_cbranch_execz .LBB298_1417
.LBB298_1942:                           ;   in Loop: Header=BB298_1074 Depth=1
	v_cmp_ne_u16_sdwa s[22:23], v58, v21 src0_sel:BYTE_0 src1_sel:DWORD
	s_andn2_b64 s[2:3], s[2:3], exec
	s_and_b64 s[22:23], s[22:23], exec
	v_mov_b32_e32 v46, 0
	s_or_b64 s[2:3], s[2:3], s[22:23]
	s_or_b64 exec, exec, s[20:21]
	s_and_saveexec_b64 s[20:21], s[2:3]
	s_cbranch_execnz .LBB298_1418
	s_branch .LBB298_1419
.LBB298_1943:                           ;   in Loop: Header=BB298_1074 Depth=1
	v_cmp_eq_u16_e64 s[2:3], s15, v20
	s_mov_b64 s[20:21], -1
                                        ; implicit-def: $sgpr31
	s_and_saveexec_b64 s[24:25], s[2:3]
; %bb.1944:                             ;   in Loop: Header=BB298_1074 Depth=1
	s_mov_b32 s31, 0x7fc02000
	s_xor_b64 s[20:21], exec, -1
; %bb.1945:                             ;   in Loop: Header=BB298_1074 Depth=1
	s_or_b64 exec, exec, s[24:25]
	s_and_b64 s[20:21], s[20:21], exec
	s_or_saveexec_b64 s[22:23], s[22:23]
	v_mov_b32_e32 v4, s31
	s_xor_b64 exec, exec, s[22:23]
	s_cbranch_execz .LBB298_1421
.LBB298_1946:                           ;   in Loop: Header=BB298_1074 Depth=1
	v_cmp_ne_u16_e64 s[2:3], 0, v20
	s_andn2_b64 s[20:21], s[20:21], exec
	s_and_b64 s[2:3], s[2:3], exec
	v_mov_b32_e32 v4, 0
	s_or_b64 s[20:21], s[20:21], s[2:3]
	s_or_b64 exec, exec, s[22:23]
	s_and_saveexec_b64 s[22:23], s[20:21]
	s_cbranch_execnz .LBB298_1422
	s_branch .LBB298_1423
.LBB298_1947:                           ;   in Loop: Header=BB298_1074 Depth=1
	v_cmp_eq_u16_sdwa s[34:35], v20, s15 src0_sel:BYTE_0 src1_sel:DWORD
	s_mov_b64 s[2:3], -1
                                        ; implicit-def: $sgpr24
	s_and_saveexec_b64 s[22:23], s[34:35]
; %bb.1948:                             ;   in Loop: Header=BB298_1074 Depth=1
	s_mov_b32 s24, 0x7fc02000
	s_xor_b64 s[2:3], exec, -1
; %bb.1949:                             ;   in Loop: Header=BB298_1074 Depth=1
	s_or_b64 exec, exec, s[22:23]
	s_and_b64 s[2:3], s[2:3], exec
	s_or_saveexec_b64 s[20:21], s[20:21]
	v_mov_b32_e32 v47, s24
	s_xor_b64 exec, exec, s[20:21]
	s_cbranch_execz .LBB298_1425
.LBB298_1950:                           ;   in Loop: Header=BB298_1074 Depth=1
	v_cmp_ne_u16_sdwa s[22:23], v20, v21 src0_sel:BYTE_0 src1_sel:DWORD
	s_andn2_b64 s[2:3], s[2:3], exec
	s_and_b64 s[22:23], s[22:23], exec
	v_mov_b32_e32 v47, 0
	s_or_b64 s[2:3], s[2:3], s[22:23]
	s_or_b64 exec, exec, s[20:21]
	s_and_saveexec_b64 s[20:21], s[2:3]
	s_cbranch_execnz .LBB298_1426
	s_branch .LBB298_1427
.LBB298_1951:                           ;   in Loop: Header=BB298_1074 Depth=1
	v_cmp_eq_u16_e64 s[2:3], s15, v20
	s_mov_b64 s[20:21], -1
                                        ; implicit-def: $sgpr31
	s_and_saveexec_b64 s[24:25], s[2:3]
; %bb.1952:                             ;   in Loop: Header=BB298_1074 Depth=1
	s_mov_b32 s31, 0x7fc02000
	s_xor_b64 s[20:21], exec, -1
; %bb.1953:                             ;   in Loop: Header=BB298_1074 Depth=1
	s_or_b64 exec, exec, s[24:25]
	s_and_b64 s[20:21], s[20:21], exec
	s_or_saveexec_b64 s[22:23], s[22:23]
	v_mov_b32_e32 v5, s31
	s_xor_b64 exec, exec, s[22:23]
	s_cbranch_execz .LBB298_1429
.LBB298_1954:                           ;   in Loop: Header=BB298_1074 Depth=1
	v_cmp_ne_u16_e64 s[2:3], 0, v20
	s_andn2_b64 s[20:21], s[20:21], exec
	s_and_b64 s[2:3], s[2:3], exec
	v_mov_b32_e32 v5, 0
	s_or_b64 s[20:21], s[20:21], s[2:3]
	s_or_b64 exec, exec, s[22:23]
	s_and_saveexec_b64 s[22:23], s[20:21]
	s_cbranch_execnz .LBB298_1430
	s_branch .LBB298_1431
.LBB298_1955:                           ;   in Loop: Header=BB298_1074 Depth=1
	v_cmp_eq_u16_sdwa s[34:35], v59, s15 src0_sel:BYTE_0 src1_sel:DWORD
	s_mov_b64 s[2:3], -1
                                        ; implicit-def: $sgpr24
	s_and_saveexec_b64 s[22:23], s[34:35]
; %bb.1956:                             ;   in Loop: Header=BB298_1074 Depth=1
	s_mov_b32 s24, 0x7fc02000
	s_xor_b64 s[2:3], exec, -1
; %bb.1957:                             ;   in Loop: Header=BB298_1074 Depth=1
	s_or_b64 exec, exec, s[22:23]
	s_and_b64 s[2:3], s[2:3], exec
	s_or_saveexec_b64 s[20:21], s[20:21]
	v_mov_b32_e32 v6, s24
	s_xor_b64 exec, exec, s[20:21]
	s_cbranch_execz .LBB298_1433
.LBB298_1958:                           ;   in Loop: Header=BB298_1074 Depth=1
	v_cmp_ne_u16_sdwa s[22:23], v59, v21 src0_sel:BYTE_0 src1_sel:DWORD
	s_andn2_b64 s[2:3], s[2:3], exec
	s_and_b64 s[22:23], s[22:23], exec
	v_mov_b32_e32 v6, 0
	s_or_b64 s[2:3], s[2:3], s[22:23]
	s_or_b64 exec, exec, s[20:21]
	v_mov_b32_e32 v20, v59
	s_and_saveexec_b64 s[20:21], s[2:3]
	s_cbranch_execnz .LBB298_1434
	s_branch .LBB298_1435
.LBB298_1959:                           ;   in Loop: Header=BB298_1074 Depth=1
	v_cmp_eq_u16_e64 s[2:3], s15, v20
	s_mov_b64 s[20:21], -1
                                        ; implicit-def: $sgpr31
	s_and_saveexec_b64 s[24:25], s[2:3]
; %bb.1960:                             ;   in Loop: Header=BB298_1074 Depth=1
	s_mov_b32 s31, 0x7fc02000
	s_xor_b64 s[20:21], exec, -1
; %bb.1961:                             ;   in Loop: Header=BB298_1074 Depth=1
	s_or_b64 exec, exec, s[24:25]
	s_and_b64 s[20:21], s[20:21], exec
	s_or_saveexec_b64 s[22:23], s[22:23]
	v_mov_b32_e32 v16, s31
	s_xor_b64 exec, exec, s[22:23]
	s_cbranch_execz .LBB298_1437
.LBB298_1962:                           ;   in Loop: Header=BB298_1074 Depth=1
	v_cmp_ne_u16_e64 s[2:3], 0, v20
	s_andn2_b64 s[20:21], s[20:21], exec
	s_and_b64 s[2:3], s[2:3], exec
	v_mov_b32_e32 v16, 0
	s_or_b64 s[20:21], s[20:21], s[2:3]
	s_or_b64 exec, exec, s[22:23]
	s_and_saveexec_b64 s[22:23], s[20:21]
	s_cbranch_execnz .LBB298_1438
	s_branch .LBB298_1439
.LBB298_1963:                           ;   in Loop: Header=BB298_1074 Depth=1
	v_cmp_eq_u16_sdwa s[34:35], v20, s15 src0_sel:BYTE_0 src1_sel:DWORD
	s_mov_b64 s[2:3], -1
                                        ; implicit-def: $sgpr24
	s_and_saveexec_b64 s[22:23], s[34:35]
; %bb.1964:                             ;   in Loop: Header=BB298_1074 Depth=1
	s_mov_b32 s24, 0x7fc02000
	s_xor_b64 s[2:3], exec, -1
; %bb.1965:                             ;   in Loop: Header=BB298_1074 Depth=1
	s_or_b64 exec, exec, s[22:23]
	s_and_b64 s[2:3], s[2:3], exec
	s_or_saveexec_b64 s[20:21], s[20:21]
	v_mov_b32_e32 v18, s24
	s_xor_b64 exec, exec, s[20:21]
	s_cbranch_execz .LBB298_1441
.LBB298_1966:                           ;   in Loop: Header=BB298_1074 Depth=1
	v_cmp_ne_u16_sdwa s[22:23], v20, v21 src0_sel:BYTE_0 src1_sel:DWORD
	s_andn2_b64 s[2:3], s[2:3], exec
	s_and_b64 s[22:23], s[22:23], exec
	v_mov_b32_e32 v18, 0
	s_or_b64 s[2:3], s[2:3], s[22:23]
	s_or_b64 exec, exec, s[20:21]
	s_and_saveexec_b64 s[20:21], s[2:3]
	s_cbranch_execnz .LBB298_1442
	s_branch .LBB298_1443
.LBB298_1967:                           ;   in Loop: Header=BB298_1074 Depth=1
	v_cmp_eq_u16_e64 s[2:3], s15, v20
	s_mov_b64 s[20:21], -1
                                        ; implicit-def: $sgpr31
	s_and_saveexec_b64 s[24:25], s[2:3]
; %bb.1968:                             ;   in Loop: Header=BB298_1074 Depth=1
	s_mov_b32 s31, 0x7fc02000
	s_xor_b64 s[20:21], exec, -1
; %bb.1969:                             ;   in Loop: Header=BB298_1074 Depth=1
	s_or_b64 exec, exec, s[24:25]
	s_and_b64 s[20:21], s[20:21], exec
	s_or_saveexec_b64 s[22:23], s[22:23]
	v_mov_b32_e32 v23, s31
	s_xor_b64 exec, exec, s[22:23]
	s_cbranch_execz .LBB298_1445
.LBB298_1970:                           ;   in Loop: Header=BB298_1074 Depth=1
	v_cmp_ne_u16_e64 s[2:3], 0, v20
	s_andn2_b64 s[20:21], s[20:21], exec
	s_and_b64 s[2:3], s[2:3], exec
	v_mov_b32_e32 v23, 0
	s_or_b64 s[20:21], s[20:21], s[2:3]
	s_or_b64 exec, exec, s[22:23]
	s_and_saveexec_b64 s[22:23], s[20:21]
	s_cbranch_execnz .LBB298_1446
	s_branch .LBB298_1447
.LBB298_1971:                           ;   in Loop: Header=BB298_1074 Depth=1
	v_cmp_eq_u16_sdwa s[34:35], v58, s15 src0_sel:BYTE_0 src1_sel:DWORD
	s_mov_b64 s[2:3], -1
                                        ; implicit-def: $sgpr24
	s_and_saveexec_b64 s[22:23], s[34:35]
; %bb.1972:                             ;   in Loop: Header=BB298_1074 Depth=1
	s_mov_b32 s24, 0x7fc02000
	s_xor_b64 s[2:3], exec, -1
; %bb.1973:                             ;   in Loop: Header=BB298_1074 Depth=1
	s_or_b64 exec, exec, s[22:23]
	s_and_b64 s[2:3], s[2:3], exec
	s_or_saveexec_b64 s[20:21], s[20:21]
	v_mov_b32_e32 v46, s24
	s_xor_b64 exec, exec, s[20:21]
	s_cbranch_execz .LBB298_1451
.LBB298_1974:                           ;   in Loop: Header=BB298_1074 Depth=1
	v_cmp_ne_u16_sdwa s[22:23], v58, v21 src0_sel:BYTE_0 src1_sel:DWORD
	s_andn2_b64 s[2:3], s[2:3], exec
	s_and_b64 s[22:23], s[22:23], exec
	v_mov_b32_e32 v46, 0
	s_or_b64 s[2:3], s[2:3], s[22:23]
	s_or_b64 exec, exec, s[20:21]
	s_and_saveexec_b64 s[20:21], s[2:3]
	s_cbranch_execnz .LBB298_1452
	s_branch .LBB298_1453
.LBB298_1975:                           ;   in Loop: Header=BB298_1074 Depth=1
	v_cmp_eq_u16_e64 s[2:3], s15, v20
	s_mov_b64 s[20:21], -1
                                        ; implicit-def: $sgpr31
	s_and_saveexec_b64 s[24:25], s[2:3]
; %bb.1976:                             ;   in Loop: Header=BB298_1074 Depth=1
	s_mov_b32 s31, 0x7fc02000
	s_xor_b64 s[20:21], exec, -1
; %bb.1977:                             ;   in Loop: Header=BB298_1074 Depth=1
	s_or_b64 exec, exec, s[24:25]
	s_and_b64 s[20:21], s[20:21], exec
	s_or_saveexec_b64 s[22:23], s[22:23]
	v_mov_b32_e32 v4, s31
	s_xor_b64 exec, exec, s[22:23]
	s_cbranch_execz .LBB298_1455
.LBB298_1978:                           ;   in Loop: Header=BB298_1074 Depth=1
	v_cmp_ne_u16_e64 s[2:3], 0, v20
	s_andn2_b64 s[20:21], s[20:21], exec
	s_and_b64 s[2:3], s[2:3], exec
	v_mov_b32_e32 v4, 0
	s_or_b64 s[20:21], s[20:21], s[2:3]
	s_or_b64 exec, exec, s[22:23]
	s_and_saveexec_b64 s[22:23], s[20:21]
	s_cbranch_execnz .LBB298_1456
	s_branch .LBB298_1457
.LBB298_1979:                           ;   in Loop: Header=BB298_1074 Depth=1
	v_cmp_eq_u16_sdwa s[34:35], v20, s15 src0_sel:BYTE_0 src1_sel:DWORD
	s_mov_b64 s[2:3], -1
                                        ; implicit-def: $sgpr24
	s_and_saveexec_b64 s[22:23], s[34:35]
; %bb.1980:                             ;   in Loop: Header=BB298_1074 Depth=1
	s_mov_b32 s24, 0x7fc02000
	s_xor_b64 s[2:3], exec, -1
; %bb.1981:                             ;   in Loop: Header=BB298_1074 Depth=1
	s_or_b64 exec, exec, s[22:23]
	s_and_b64 s[2:3], s[2:3], exec
	s_or_saveexec_b64 s[20:21], s[20:21]
	v_mov_b32_e32 v47, s24
	s_xor_b64 exec, exec, s[20:21]
	s_cbranch_execz .LBB298_1459
.LBB298_1982:                           ;   in Loop: Header=BB298_1074 Depth=1
	v_cmp_ne_u16_sdwa s[22:23], v20, v21 src0_sel:BYTE_0 src1_sel:DWORD
	s_andn2_b64 s[2:3], s[2:3], exec
	s_and_b64 s[22:23], s[22:23], exec
	v_mov_b32_e32 v47, 0
	s_or_b64 s[2:3], s[2:3], s[22:23]
	s_or_b64 exec, exec, s[20:21]
	s_and_saveexec_b64 s[20:21], s[2:3]
	s_cbranch_execnz .LBB298_1460
	s_branch .LBB298_1461
.LBB298_1983:                           ;   in Loop: Header=BB298_1074 Depth=1
	v_cmp_eq_u16_e64 s[2:3], s15, v20
	s_mov_b64 s[20:21], -1
                                        ; implicit-def: $sgpr31
	s_and_saveexec_b64 s[24:25], s[2:3]
; %bb.1984:                             ;   in Loop: Header=BB298_1074 Depth=1
	s_mov_b32 s31, 0x7fc02000
	s_xor_b64 s[20:21], exec, -1
; %bb.1985:                             ;   in Loop: Header=BB298_1074 Depth=1
	s_or_b64 exec, exec, s[24:25]
	s_and_b64 s[20:21], s[20:21], exec
	s_or_saveexec_b64 s[22:23], s[22:23]
	v_mov_b32_e32 v5, s31
	s_xor_b64 exec, exec, s[22:23]
	s_cbranch_execz .LBB298_1463
.LBB298_1986:                           ;   in Loop: Header=BB298_1074 Depth=1
	v_cmp_ne_u16_e64 s[2:3], 0, v20
	s_andn2_b64 s[20:21], s[20:21], exec
	s_and_b64 s[2:3], s[2:3], exec
	v_mov_b32_e32 v5, 0
	s_or_b64 s[20:21], s[20:21], s[2:3]
	s_or_b64 exec, exec, s[22:23]
	s_and_saveexec_b64 s[22:23], s[20:21]
	s_cbranch_execnz .LBB298_1464
	s_branch .LBB298_1465
.LBB298_1987:                           ;   in Loop: Header=BB298_1074 Depth=1
	v_cmp_eq_u16_sdwa s[34:35], v59, s15 src0_sel:BYTE_0 src1_sel:DWORD
	s_mov_b64 s[2:3], -1
                                        ; implicit-def: $sgpr24
	s_and_saveexec_b64 s[22:23], s[34:35]
; %bb.1988:                             ;   in Loop: Header=BB298_1074 Depth=1
	s_mov_b32 s24, 0x7fc02000
	s_xor_b64 s[2:3], exec, -1
; %bb.1989:                             ;   in Loop: Header=BB298_1074 Depth=1
	s_or_b64 exec, exec, s[22:23]
	s_and_b64 s[2:3], s[2:3], exec
	s_or_saveexec_b64 s[20:21], s[20:21]
	v_mov_b32_e32 v16, s24
	s_xor_b64 exec, exec, s[20:21]
	s_cbranch_execz .LBB298_1467
.LBB298_1990:                           ;   in Loop: Header=BB298_1074 Depth=1
	v_cmp_ne_u16_sdwa s[22:23], v59, v21 src0_sel:BYTE_0 src1_sel:DWORD
	s_andn2_b64 s[2:3], s[2:3], exec
	s_and_b64 s[22:23], s[22:23], exec
	v_mov_b32_e32 v16, 0
	s_or_b64 s[2:3], s[2:3], s[22:23]
	s_or_b64 exec, exec, s[20:21]
	v_mov_b32_e32 v20, v59
	s_and_saveexec_b64 s[20:21], s[2:3]
	s_cbranch_execnz .LBB298_1468
	s_branch .LBB298_1469
.LBB298_1991:                           ;   in Loop: Header=BB298_1074 Depth=1
	v_cmp_eq_u16_e64 s[2:3], s15, v20
	s_mov_b64 s[20:21], -1
                                        ; implicit-def: $sgpr31
	s_and_saveexec_b64 s[24:25], s[2:3]
; %bb.1992:                             ;   in Loop: Header=BB298_1074 Depth=1
	s_mov_b32 s31, 0x7fc02000
	s_xor_b64 s[20:21], exec, -1
; %bb.1993:                             ;   in Loop: Header=BB298_1074 Depth=1
	s_or_b64 exec, exec, s[24:25]
	s_and_b64 s[20:21], s[20:21], exec
	s_or_saveexec_b64 s[22:23], s[22:23]
	v_mov_b32_e32 v18, s31
	s_xor_b64 exec, exec, s[22:23]
	s_cbranch_execz .LBB298_1471
.LBB298_1994:                           ;   in Loop: Header=BB298_1074 Depth=1
	v_cmp_ne_u16_e64 s[2:3], 0, v20
	s_andn2_b64 s[20:21], s[20:21], exec
	s_and_b64 s[2:3], s[2:3], exec
	v_mov_b32_e32 v18, 0
	s_or_b64 s[20:21], s[20:21], s[2:3]
	s_or_b64 exec, exec, s[22:23]
	s_and_saveexec_b64 s[22:23], s[20:21]
	s_cbranch_execnz .LBB298_1472
	s_branch .LBB298_1473
.LBB298_1995:                           ;   in Loop: Header=BB298_1074 Depth=1
	v_cmp_eq_u16_sdwa s[34:35], v20, s15 src0_sel:BYTE_0 src1_sel:DWORD
	s_mov_b64 s[2:3], -1
                                        ; implicit-def: $sgpr24
	s_and_saveexec_b64 s[22:23], s[34:35]
; %bb.1996:                             ;   in Loop: Header=BB298_1074 Depth=1
	s_mov_b32 s24, 0x7fc02000
	s_xor_b64 s[2:3], exec, -1
; %bb.1997:                             ;   in Loop: Header=BB298_1074 Depth=1
	s_or_b64 exec, exec, s[22:23]
	s_and_b64 s[2:3], s[2:3], exec
	s_or_saveexec_b64 s[20:21], s[20:21]
	v_mov_b32_e32 v23, s24
	s_xor_b64 exec, exec, s[20:21]
	s_cbranch_execz .LBB298_1475
.LBB298_1998:                           ;   in Loop: Header=BB298_1074 Depth=1
	v_cmp_ne_u16_sdwa s[22:23], v20, v21 src0_sel:BYTE_0 src1_sel:DWORD
	s_andn2_b64 s[2:3], s[2:3], exec
	s_and_b64 s[22:23], s[22:23], exec
	v_mov_b32_e32 v23, 0
	s_or_b64 s[2:3], s[2:3], s[22:23]
	s_or_b64 exec, exec, s[20:21]
	s_and_saveexec_b64 s[20:21], s[2:3]
	s_cbranch_execnz .LBB298_1476
	s_branch .LBB298_1477
.LBB298_1999:                           ;   in Loop: Header=BB298_1074 Depth=1
	v_cmp_eq_u16_e64 s[2:3], s15, v20
	s_mov_b64 s[20:21], -1
                                        ; implicit-def: $sgpr31
	s_and_saveexec_b64 s[24:25], s[2:3]
; %bb.2000:                             ;   in Loop: Header=BB298_1074 Depth=1
	s_mov_b32 s31, 0x7fc02000
	s_xor_b64 s[20:21], exec, -1
; %bb.2001:                             ;   in Loop: Header=BB298_1074 Depth=1
	s_or_b64 exec, exec, s[24:25]
	s_and_b64 s[20:21], s[20:21], exec
	s_or_saveexec_b64 s[22:23], s[22:23]
	v_mov_b32_e32 v26, s31
	s_xor_b64 exec, exec, s[22:23]
	s_cbranch_execz .LBB298_1479
.LBB298_2002:                           ;   in Loop: Header=BB298_1074 Depth=1
	v_cmp_ne_u16_e64 s[2:3], 0, v20
	s_andn2_b64 s[20:21], s[20:21], exec
	s_and_b64 s[2:3], s[2:3], exec
	v_mov_b32_e32 v26, 0
	s_or_b64 s[20:21], s[20:21], s[2:3]
	s_or_b64 exec, exec, s[22:23]
	s_and_saveexec_b64 s[22:23], s[20:21]
	s_cbranch_execnz .LBB298_1480
	s_branch .LBB298_1481
.LBB298_2003:                           ;   in Loop: Header=BB298_1074 Depth=1
	v_cmp_eq_u16_sdwa s[34:35], v58, s15 src0_sel:BYTE_0 src1_sel:DWORD
	s_mov_b64 s[2:3], -1
                                        ; implicit-def: $sgpr24
	s_and_saveexec_b64 s[22:23], s[34:35]
; %bb.2004:                             ;   in Loop: Header=BB298_1074 Depth=1
	s_mov_b32 s24, 0x7fc02000
	s_xor_b64 s[2:3], exec, -1
; %bb.2005:                             ;   in Loop: Header=BB298_1074 Depth=1
	s_or_b64 exec, exec, s[22:23]
	s_and_b64 s[2:3], s[2:3], exec
	s_or_saveexec_b64 s[20:21], s[20:21]
	v_mov_b32_e32 v46, s24
	s_xor_b64 exec, exec, s[20:21]
	s_cbranch_execz .LBB298_1485
.LBB298_2006:                           ;   in Loop: Header=BB298_1074 Depth=1
	v_cmp_ne_u16_sdwa s[22:23], v58, v21 src0_sel:BYTE_0 src1_sel:DWORD
	s_andn2_b64 s[2:3], s[2:3], exec
	s_and_b64 s[22:23], s[22:23], exec
	v_mov_b32_e32 v46, 0
	s_or_b64 s[2:3], s[2:3], s[22:23]
	s_or_b64 exec, exec, s[20:21]
	s_and_saveexec_b64 s[20:21], s[2:3]
	s_cbranch_execnz .LBB298_1486
	s_branch .LBB298_1487
.LBB298_2007:                           ;   in Loop: Header=BB298_1074 Depth=1
	v_cmp_eq_u16_e64 s[2:3], s15, v20
	s_mov_b64 s[20:21], -1
                                        ; implicit-def: $sgpr31
	s_and_saveexec_b64 s[24:25], s[2:3]
; %bb.2008:                             ;   in Loop: Header=BB298_1074 Depth=1
	s_mov_b32 s31, 0x7fc02000
	s_xor_b64 s[20:21], exec, -1
; %bb.2009:                             ;   in Loop: Header=BB298_1074 Depth=1
	s_or_b64 exec, exec, s[24:25]
	s_and_b64 s[20:21], s[20:21], exec
	s_or_saveexec_b64 s[22:23], s[22:23]
	v_mov_b32_e32 v4, s31
	s_xor_b64 exec, exec, s[22:23]
	s_cbranch_execz .LBB298_1489
.LBB298_2010:                           ;   in Loop: Header=BB298_1074 Depth=1
	v_cmp_ne_u16_e64 s[2:3], 0, v20
	s_andn2_b64 s[20:21], s[20:21], exec
	s_and_b64 s[2:3], s[2:3], exec
	v_mov_b32_e32 v4, 0
	s_or_b64 s[20:21], s[20:21], s[2:3]
	s_or_b64 exec, exec, s[22:23]
	s_and_saveexec_b64 s[22:23], s[20:21]
	s_cbranch_execnz .LBB298_1490
	s_branch .LBB298_1491
.LBB298_2011:                           ;   in Loop: Header=BB298_1074 Depth=1
	v_cmp_eq_u16_sdwa s[34:35], v20, s15 src0_sel:BYTE_0 src1_sel:DWORD
	s_mov_b64 s[2:3], -1
                                        ; implicit-def: $sgpr24
	s_and_saveexec_b64 s[22:23], s[34:35]
; %bb.2012:                             ;   in Loop: Header=BB298_1074 Depth=1
	s_mov_b32 s24, 0x7fc02000
	s_xor_b64 s[2:3], exec, -1
; %bb.2013:                             ;   in Loop: Header=BB298_1074 Depth=1
	s_or_b64 exec, exec, s[22:23]
	s_and_b64 s[2:3], s[2:3], exec
	s_or_saveexec_b64 s[20:21], s[20:21]
	v_mov_b32_e32 v47, s24
	s_xor_b64 exec, exec, s[20:21]
	s_cbranch_execz .LBB298_1493
.LBB298_2014:                           ;   in Loop: Header=BB298_1074 Depth=1
	v_cmp_ne_u16_sdwa s[22:23], v20, v21 src0_sel:BYTE_0 src1_sel:DWORD
	s_andn2_b64 s[2:3], s[2:3], exec
	s_and_b64 s[22:23], s[22:23], exec
	v_mov_b32_e32 v47, 0
	s_or_b64 s[2:3], s[2:3], s[22:23]
	s_or_b64 exec, exec, s[20:21]
	s_and_saveexec_b64 s[20:21], s[2:3]
	s_cbranch_execnz .LBB298_1494
	s_branch .LBB298_1495
.LBB298_2015:                           ;   in Loop: Header=BB298_1074 Depth=1
	v_cmp_eq_u16_e64 s[2:3], s15, v20
	s_mov_b64 s[20:21], -1
                                        ; implicit-def: $sgpr31
	s_and_saveexec_b64 s[24:25], s[2:3]
; %bb.2016:                             ;   in Loop: Header=BB298_1074 Depth=1
	s_mov_b32 s31, 0x7fc02000
	s_xor_b64 s[20:21], exec, -1
; %bb.2017:                             ;   in Loop: Header=BB298_1074 Depth=1
	s_or_b64 exec, exec, s[24:25]
	s_and_b64 s[20:21], s[20:21], exec
	s_or_saveexec_b64 s[22:23], s[22:23]
	v_mov_b32_e32 v5, s31
	s_xor_b64 exec, exec, s[22:23]
	s_cbranch_execz .LBB298_1497
.LBB298_2018:                           ;   in Loop: Header=BB298_1074 Depth=1
	v_cmp_ne_u16_e64 s[2:3], 0, v20
	s_andn2_b64 s[20:21], s[20:21], exec
	s_and_b64 s[2:3], s[2:3], exec
	v_mov_b32_e32 v5, 0
	s_or_b64 s[20:21], s[20:21], s[2:3]
	s_or_b64 exec, exec, s[22:23]
	s_and_saveexec_b64 s[22:23], s[20:21]
	s_cbranch_execnz .LBB298_1498
	s_branch .LBB298_1499
.LBB298_2019:                           ;   in Loop: Header=BB298_1074 Depth=1
	v_cmp_eq_u16_sdwa s[34:35], v59, s15 src0_sel:BYTE_0 src1_sel:DWORD
	s_mov_b64 s[2:3], -1
                                        ; implicit-def: $sgpr24
	s_and_saveexec_b64 s[22:23], s[34:35]
; %bb.2020:                             ;   in Loop: Header=BB298_1074 Depth=1
	s_mov_b32 s24, 0x7fc02000
	s_xor_b64 s[2:3], exec, -1
; %bb.2021:                             ;   in Loop: Header=BB298_1074 Depth=1
	s_or_b64 exec, exec, s[22:23]
	s_and_b64 s[2:3], s[2:3], exec
	s_or_saveexec_b64 s[20:21], s[20:21]
	v_mov_b32_e32 v16, s24
	s_xor_b64 exec, exec, s[20:21]
	s_cbranch_execz .LBB298_1501
.LBB298_2022:                           ;   in Loop: Header=BB298_1074 Depth=1
	v_cmp_ne_u16_sdwa s[22:23], v59, v21 src0_sel:BYTE_0 src1_sel:DWORD
	s_andn2_b64 s[2:3], s[2:3], exec
	s_and_b64 s[22:23], s[22:23], exec
	v_mov_b32_e32 v16, 0
	s_or_b64 s[2:3], s[2:3], s[22:23]
	s_or_b64 exec, exec, s[20:21]
	v_mov_b32_e32 v20, v59
	s_and_saveexec_b64 s[20:21], s[2:3]
	s_cbranch_execnz .LBB298_1502
	s_branch .LBB298_1503
.LBB298_2023:                           ;   in Loop: Header=BB298_1074 Depth=1
	v_cmp_eq_u16_e64 s[2:3], s15, v20
	s_mov_b64 s[20:21], -1
                                        ; implicit-def: $sgpr31
	s_and_saveexec_b64 s[24:25], s[2:3]
; %bb.2024:                             ;   in Loop: Header=BB298_1074 Depth=1
	s_mov_b32 s31, 0x7fc02000
	s_xor_b64 s[20:21], exec, -1
; %bb.2025:                             ;   in Loop: Header=BB298_1074 Depth=1
	s_or_b64 exec, exec, s[24:25]
	s_and_b64 s[20:21], s[20:21], exec
	s_or_saveexec_b64 s[22:23], s[22:23]
	v_mov_b32_e32 v18, s31
	s_xor_b64 exec, exec, s[22:23]
	s_cbranch_execz .LBB298_1505
.LBB298_2026:                           ;   in Loop: Header=BB298_1074 Depth=1
	v_cmp_ne_u16_e64 s[2:3], 0, v20
	s_andn2_b64 s[20:21], s[20:21], exec
	s_and_b64 s[2:3], s[2:3], exec
	v_mov_b32_e32 v18, 0
	s_or_b64 s[20:21], s[20:21], s[2:3]
	s_or_b64 exec, exec, s[22:23]
	s_and_saveexec_b64 s[22:23], s[20:21]
	s_cbranch_execnz .LBB298_1506
	s_branch .LBB298_1507
.LBB298_2027:                           ;   in Loop: Header=BB298_1074 Depth=1
	v_cmp_eq_u16_sdwa s[34:35], v20, s15 src0_sel:BYTE_0 src1_sel:DWORD
	s_mov_b64 s[2:3], -1
                                        ; implicit-def: $sgpr24
	s_and_saveexec_b64 s[22:23], s[34:35]
; %bb.2028:                             ;   in Loop: Header=BB298_1074 Depth=1
	s_mov_b32 s24, 0x7fc02000
	s_xor_b64 s[2:3], exec, -1
; %bb.2029:                             ;   in Loop: Header=BB298_1074 Depth=1
	s_or_b64 exec, exec, s[22:23]
	s_and_b64 s[2:3], s[2:3], exec
	s_or_saveexec_b64 s[20:21], s[20:21]
	v_mov_b32_e32 v23, s24
	s_xor_b64 exec, exec, s[20:21]
	s_cbranch_execz .LBB298_1509
.LBB298_2030:                           ;   in Loop: Header=BB298_1074 Depth=1
	v_cmp_ne_u16_sdwa s[22:23], v20, v21 src0_sel:BYTE_0 src1_sel:DWORD
	s_andn2_b64 s[2:3], s[2:3], exec
	s_and_b64 s[22:23], s[22:23], exec
	v_mov_b32_e32 v23, 0
	s_or_b64 s[2:3], s[2:3], s[22:23]
	s_or_b64 exec, exec, s[20:21]
	s_and_saveexec_b64 s[20:21], s[2:3]
	s_cbranch_execnz .LBB298_1510
	s_branch .LBB298_1511
.LBB298_2031:                           ;   in Loop: Header=BB298_1074 Depth=1
	v_cmp_eq_u16_e64 s[2:3], s15, v20
	s_mov_b64 s[20:21], -1
                                        ; implicit-def: $sgpr31
	s_and_saveexec_b64 s[24:25], s[2:3]
; %bb.2032:                             ;   in Loop: Header=BB298_1074 Depth=1
	s_mov_b32 s31, 0x7fc02000
	s_xor_b64 s[20:21], exec, -1
; %bb.2033:                             ;   in Loop: Header=BB298_1074 Depth=1
	s_or_b64 exec, exec, s[24:25]
	s_and_b64 s[20:21], s[20:21], exec
	s_or_saveexec_b64 s[22:23], s[22:23]
	v_mov_b32_e32 v26, s31
	s_xor_b64 exec, exec, s[22:23]
	s_cbranch_execz .LBB298_1513
.LBB298_2034:                           ;   in Loop: Header=BB298_1074 Depth=1
	v_cmp_ne_u16_e64 s[2:3], 0, v20
	s_andn2_b64 s[20:21], s[20:21], exec
	s_and_b64 s[2:3], s[2:3], exec
	v_mov_b32_e32 v26, 0
	s_or_b64 s[20:21], s[20:21], s[2:3]
	s_or_b64 exec, exec, s[22:23]
	s_and_saveexec_b64 s[22:23], s[20:21]
	s_cbranch_execnz .LBB298_1514
	s_branch .LBB298_1515
.LBB298_2035:                           ;   in Loop: Header=BB298_1074 Depth=1
	v_cmp_eq_u16_sdwa s[34:35], v58, s15 src0_sel:BYTE_0 src1_sel:DWORD
	s_mov_b64 s[2:3], -1
                                        ; implicit-def: $sgpr24
	s_and_saveexec_b64 s[22:23], s[34:35]
; %bb.2036:                             ;   in Loop: Header=BB298_1074 Depth=1
	s_mov_b32 s24, 0x7fc02000
	s_xor_b64 s[2:3], exec, -1
; %bb.2037:                             ;   in Loop: Header=BB298_1074 Depth=1
	s_or_b64 exec, exec, s[22:23]
	s_and_b64 s[2:3], s[2:3], exec
	s_or_saveexec_b64 s[20:21], s[20:21]
	v_mov_b32_e32 v46, s24
	s_xor_b64 exec, exec, s[20:21]
	s_cbranch_execz .LBB298_1519
.LBB298_2038:                           ;   in Loop: Header=BB298_1074 Depth=1
	v_cmp_ne_u16_sdwa s[22:23], v58, v21 src0_sel:BYTE_0 src1_sel:DWORD
	s_andn2_b64 s[2:3], s[2:3], exec
	s_and_b64 s[22:23], s[22:23], exec
	v_mov_b32_e32 v46, 0
	s_or_b64 s[2:3], s[2:3], s[22:23]
	s_or_b64 exec, exec, s[20:21]
	s_and_saveexec_b64 s[20:21], s[2:3]
	s_cbranch_execnz .LBB298_1520
	s_branch .LBB298_1521
.LBB298_2039:                           ;   in Loop: Header=BB298_1074 Depth=1
	v_cmp_eq_u16_e64 s[2:3], s15, v20
	s_mov_b64 s[20:21], -1
                                        ; implicit-def: $sgpr31
	s_and_saveexec_b64 s[24:25], s[2:3]
; %bb.2040:                             ;   in Loop: Header=BB298_1074 Depth=1
	s_mov_b32 s31, 0x7fc02000
	s_xor_b64 s[20:21], exec, -1
; %bb.2041:                             ;   in Loop: Header=BB298_1074 Depth=1
	s_or_b64 exec, exec, s[24:25]
	s_and_b64 s[20:21], s[20:21], exec
	s_or_saveexec_b64 s[22:23], s[22:23]
	v_mov_b32_e32 v4, s31
	s_xor_b64 exec, exec, s[22:23]
	s_cbranch_execz .LBB298_1523
.LBB298_2042:                           ;   in Loop: Header=BB298_1074 Depth=1
	v_cmp_ne_u16_e64 s[2:3], 0, v20
	s_andn2_b64 s[20:21], s[20:21], exec
	s_and_b64 s[2:3], s[2:3], exec
	v_mov_b32_e32 v4, 0
	s_or_b64 s[20:21], s[20:21], s[2:3]
	s_or_b64 exec, exec, s[22:23]
	s_and_saveexec_b64 s[22:23], s[20:21]
	s_cbranch_execnz .LBB298_1524
	s_branch .LBB298_1525
.LBB298_2043:                           ;   in Loop: Header=BB298_1074 Depth=1
	v_cmp_eq_u16_sdwa s[34:35], v20, s15 src0_sel:BYTE_0 src1_sel:DWORD
	s_mov_b64 s[2:3], -1
                                        ; implicit-def: $sgpr24
	s_and_saveexec_b64 s[22:23], s[34:35]
; %bb.2044:                             ;   in Loop: Header=BB298_1074 Depth=1
	s_mov_b32 s24, 0x7fc02000
	s_xor_b64 s[2:3], exec, -1
; %bb.2045:                             ;   in Loop: Header=BB298_1074 Depth=1
	s_or_b64 exec, exec, s[22:23]
	s_and_b64 s[2:3], s[2:3], exec
	s_or_saveexec_b64 s[20:21], s[20:21]
	v_mov_b32_e32 v47, s24
	s_xor_b64 exec, exec, s[20:21]
	s_cbranch_execz .LBB298_1527
.LBB298_2046:                           ;   in Loop: Header=BB298_1074 Depth=1
	v_cmp_ne_u16_sdwa s[22:23], v20, v21 src0_sel:BYTE_0 src1_sel:DWORD
	s_andn2_b64 s[2:3], s[2:3], exec
	s_and_b64 s[22:23], s[22:23], exec
	v_mov_b32_e32 v47, 0
	s_or_b64 s[2:3], s[2:3], s[22:23]
	s_or_b64 exec, exec, s[20:21]
	s_and_saveexec_b64 s[20:21], s[2:3]
	s_cbranch_execnz .LBB298_1528
	s_branch .LBB298_1529
.LBB298_2047:                           ;   in Loop: Header=BB298_1074 Depth=1
	v_cmp_eq_u16_e64 s[2:3], s15, v20
	s_mov_b64 s[20:21], -1
                                        ; implicit-def: $sgpr31
	s_and_saveexec_b64 s[24:25], s[2:3]
; %bb.2048:                             ;   in Loop: Header=BB298_1074 Depth=1
	s_mov_b32 s31, 0x7fc02000
	s_xor_b64 s[20:21], exec, -1
; %bb.2049:                             ;   in Loop: Header=BB298_1074 Depth=1
	s_or_b64 exec, exec, s[24:25]
	s_and_b64 s[20:21], s[20:21], exec
	s_or_saveexec_b64 s[22:23], s[22:23]
	v_mov_b32_e32 v5, s31
	s_xor_b64 exec, exec, s[22:23]
	s_cbranch_execz .LBB298_1531
.LBB298_2050:                           ;   in Loop: Header=BB298_1074 Depth=1
	v_cmp_ne_u16_e64 s[2:3], 0, v20
	s_andn2_b64 s[20:21], s[20:21], exec
	s_and_b64 s[2:3], s[2:3], exec
	v_mov_b32_e32 v5, 0
	s_or_b64 s[20:21], s[20:21], s[2:3]
	s_or_b64 exec, exec, s[22:23]
	s_and_saveexec_b64 s[22:23], s[20:21]
	s_cbranch_execnz .LBB298_1532
	s_branch .LBB298_1533
.LBB298_2051:                           ;   in Loop: Header=BB298_1074 Depth=1
	v_cmp_eq_u16_sdwa s[34:35], v59, s15 src0_sel:BYTE_0 src1_sel:DWORD
	s_mov_b64 s[2:3], -1
                                        ; implicit-def: $sgpr24
	s_and_saveexec_b64 s[22:23], s[34:35]
; %bb.2052:                             ;   in Loop: Header=BB298_1074 Depth=1
	s_mov_b32 s24, 0x7fc02000
	s_xor_b64 s[2:3], exec, -1
; %bb.2053:                             ;   in Loop: Header=BB298_1074 Depth=1
	s_or_b64 exec, exec, s[22:23]
	s_and_b64 s[2:3], s[2:3], exec
	s_or_saveexec_b64 s[20:21], s[20:21]
	v_mov_b32_e32 v16, s24
	s_xor_b64 exec, exec, s[20:21]
	s_cbranch_execz .LBB298_1535
.LBB298_2054:                           ;   in Loop: Header=BB298_1074 Depth=1
	v_cmp_ne_u16_sdwa s[22:23], v59, v21 src0_sel:BYTE_0 src1_sel:DWORD
	s_andn2_b64 s[2:3], s[2:3], exec
	s_and_b64 s[22:23], s[22:23], exec
	v_mov_b32_e32 v16, 0
	s_or_b64 s[2:3], s[2:3], s[22:23]
	s_or_b64 exec, exec, s[20:21]
	v_mov_b32_e32 v20, v59
	s_and_saveexec_b64 s[20:21], s[2:3]
	s_cbranch_execnz .LBB298_1536
	s_branch .LBB298_1537
.LBB298_2055:                           ;   in Loop: Header=BB298_1074 Depth=1
	v_cmp_eq_u16_e64 s[2:3], s15, v20
	s_mov_b64 s[20:21], -1
                                        ; implicit-def: $sgpr31
	s_and_saveexec_b64 s[24:25], s[2:3]
; %bb.2056:                             ;   in Loop: Header=BB298_1074 Depth=1
	s_mov_b32 s31, 0x7fc02000
	s_xor_b64 s[20:21], exec, -1
; %bb.2057:                             ;   in Loop: Header=BB298_1074 Depth=1
	s_or_b64 exec, exec, s[24:25]
	s_and_b64 s[20:21], s[20:21], exec
	s_or_saveexec_b64 s[22:23], s[22:23]
	v_mov_b32_e32 v18, s31
	s_xor_b64 exec, exec, s[22:23]
	s_cbranch_execz .LBB298_1539
.LBB298_2058:                           ;   in Loop: Header=BB298_1074 Depth=1
	v_cmp_ne_u16_e64 s[2:3], 0, v20
	s_andn2_b64 s[20:21], s[20:21], exec
	s_and_b64 s[2:3], s[2:3], exec
	v_mov_b32_e32 v18, 0
	s_or_b64 s[20:21], s[20:21], s[2:3]
	s_or_b64 exec, exec, s[22:23]
	s_and_saveexec_b64 s[22:23], s[20:21]
	s_cbranch_execnz .LBB298_1540
	s_branch .LBB298_1541
.LBB298_2059:                           ;   in Loop: Header=BB298_1074 Depth=1
	v_cmp_eq_u16_sdwa s[34:35], v20, s15 src0_sel:BYTE_0 src1_sel:DWORD
	s_mov_b64 s[2:3], -1
                                        ; implicit-def: $sgpr24
	s_and_saveexec_b64 s[22:23], s[34:35]
; %bb.2060:                             ;   in Loop: Header=BB298_1074 Depth=1
	s_mov_b32 s24, 0x7fc02000
	s_xor_b64 s[2:3], exec, -1
; %bb.2061:                             ;   in Loop: Header=BB298_1074 Depth=1
	s_or_b64 exec, exec, s[22:23]
	s_and_b64 s[2:3], s[2:3], exec
	s_or_saveexec_b64 s[20:21], s[20:21]
	v_mov_b32_e32 v23, s24
	s_xor_b64 exec, exec, s[20:21]
	s_cbranch_execz .LBB298_1543
.LBB298_2062:                           ;   in Loop: Header=BB298_1074 Depth=1
	v_cmp_ne_u16_sdwa s[22:23], v20, v21 src0_sel:BYTE_0 src1_sel:DWORD
	s_andn2_b64 s[2:3], s[2:3], exec
	s_and_b64 s[22:23], s[22:23], exec
	v_mov_b32_e32 v23, 0
	s_or_b64 s[2:3], s[2:3], s[22:23]
	s_or_b64 exec, exec, s[20:21]
	s_and_saveexec_b64 s[20:21], s[2:3]
	s_cbranch_execnz .LBB298_1544
	s_branch .LBB298_1545
.LBB298_2063:                           ;   in Loop: Header=BB298_1074 Depth=1
	v_cmp_eq_u16_e64 s[2:3], s15, v20
	s_mov_b64 s[20:21], -1
                                        ; implicit-def: $sgpr31
	s_and_saveexec_b64 s[24:25], s[2:3]
; %bb.2064:                             ;   in Loop: Header=BB298_1074 Depth=1
	s_mov_b32 s31, 0x7fc02000
	s_xor_b64 s[20:21], exec, -1
; %bb.2065:                             ;   in Loop: Header=BB298_1074 Depth=1
	s_or_b64 exec, exec, s[24:25]
	s_and_b64 s[20:21], s[20:21], exec
	s_or_saveexec_b64 s[22:23], s[22:23]
	v_mov_b32_e32 v26, s31
	s_xor_b64 exec, exec, s[22:23]
	s_cbranch_execz .LBB298_1547
.LBB298_2066:                           ;   in Loop: Header=BB298_1074 Depth=1
	v_cmp_ne_u16_e64 s[2:3], 0, v20
	s_andn2_b64 s[20:21], s[20:21], exec
	s_and_b64 s[2:3], s[2:3], exec
	v_mov_b32_e32 v26, 0
	s_or_b64 s[20:21], s[20:21], s[2:3]
	s_or_b64 exec, exec, s[22:23]
	s_and_saveexec_b64 s[22:23], s[20:21]
	s_cbranch_execnz .LBB298_1548
	s_branch .LBB298_1549
.LBB298_2067:                           ;   in Loop: Header=BB298_1074 Depth=1
	v_cmp_eq_u16_sdwa s[34:35], v58, s15 src0_sel:BYTE_0 src1_sel:DWORD
	s_mov_b64 s[2:3], -1
                                        ; implicit-def: $sgpr24
	s_and_saveexec_b64 s[22:23], s[34:35]
; %bb.2068:                             ;   in Loop: Header=BB298_1074 Depth=1
	s_mov_b32 s24, 0x7fc02000
	s_xor_b64 s[2:3], exec, -1
; %bb.2069:                             ;   in Loop: Header=BB298_1074 Depth=1
	s_or_b64 exec, exec, s[22:23]
	s_and_b64 s[2:3], s[2:3], exec
	s_or_saveexec_b64 s[20:21], s[20:21]
	v_mov_b32_e32 v46, s24
	s_xor_b64 exec, exec, s[20:21]
	s_cbranch_execz .LBB298_1553
.LBB298_2070:                           ;   in Loop: Header=BB298_1074 Depth=1
	v_cmp_ne_u16_sdwa s[22:23], v58, v21 src0_sel:BYTE_0 src1_sel:DWORD
	s_andn2_b64 s[2:3], s[2:3], exec
	s_and_b64 s[22:23], s[22:23], exec
	v_mov_b32_e32 v46, 0
	s_or_b64 s[2:3], s[2:3], s[22:23]
	s_or_b64 exec, exec, s[20:21]
	s_and_saveexec_b64 s[20:21], s[2:3]
	s_cbranch_execnz .LBB298_1554
	s_branch .LBB298_1555
.LBB298_2071:                           ;   in Loop: Header=BB298_1074 Depth=1
	v_cmp_eq_u16_e64 s[2:3], s15, v20
	s_mov_b64 s[20:21], -1
                                        ; implicit-def: $sgpr31
	s_and_saveexec_b64 s[24:25], s[2:3]
; %bb.2072:                             ;   in Loop: Header=BB298_1074 Depth=1
	s_mov_b32 s31, 0x7fc02000
	s_xor_b64 s[20:21], exec, -1
; %bb.2073:                             ;   in Loop: Header=BB298_1074 Depth=1
	s_or_b64 exec, exec, s[24:25]
	s_and_b64 s[20:21], s[20:21], exec
	s_or_saveexec_b64 s[22:23], s[22:23]
	v_mov_b32_e32 v4, s31
	s_xor_b64 exec, exec, s[22:23]
	s_cbranch_execz .LBB298_1557
.LBB298_2074:                           ;   in Loop: Header=BB298_1074 Depth=1
	v_cmp_ne_u16_e64 s[2:3], 0, v20
	s_andn2_b64 s[20:21], s[20:21], exec
	s_and_b64 s[2:3], s[2:3], exec
	v_mov_b32_e32 v4, 0
	s_or_b64 s[20:21], s[20:21], s[2:3]
	s_or_b64 exec, exec, s[22:23]
	s_and_saveexec_b64 s[22:23], s[20:21]
	s_cbranch_execnz .LBB298_1558
	s_branch .LBB298_1559
.LBB298_2075:                           ;   in Loop: Header=BB298_1074 Depth=1
	v_cmp_eq_u16_sdwa s[34:35], v20, s15 src0_sel:BYTE_0 src1_sel:DWORD
	s_mov_b64 s[2:3], -1
                                        ; implicit-def: $sgpr24
	s_and_saveexec_b64 s[22:23], s[34:35]
; %bb.2076:                             ;   in Loop: Header=BB298_1074 Depth=1
	s_mov_b32 s24, 0x7fc02000
	s_xor_b64 s[2:3], exec, -1
; %bb.2077:                             ;   in Loop: Header=BB298_1074 Depth=1
	s_or_b64 exec, exec, s[22:23]
	s_and_b64 s[2:3], s[2:3], exec
	s_or_saveexec_b64 s[20:21], s[20:21]
	v_mov_b32_e32 v47, s24
	s_xor_b64 exec, exec, s[20:21]
	s_cbranch_execz .LBB298_1561
.LBB298_2078:                           ;   in Loop: Header=BB298_1074 Depth=1
	v_cmp_ne_u16_sdwa s[22:23], v20, v21 src0_sel:BYTE_0 src1_sel:DWORD
	s_andn2_b64 s[2:3], s[2:3], exec
	s_and_b64 s[22:23], s[22:23], exec
	v_mov_b32_e32 v47, 0
	s_or_b64 s[2:3], s[2:3], s[22:23]
	s_or_b64 exec, exec, s[20:21]
	s_and_saveexec_b64 s[20:21], s[2:3]
	s_cbranch_execnz .LBB298_1562
	s_branch .LBB298_1563
.LBB298_2079:                           ;   in Loop: Header=BB298_1074 Depth=1
	v_cmp_eq_u16_e64 s[2:3], s15, v20
	s_mov_b64 s[20:21], -1
                                        ; implicit-def: $sgpr31
	s_and_saveexec_b64 s[24:25], s[2:3]
; %bb.2080:                             ;   in Loop: Header=BB298_1074 Depth=1
	s_mov_b32 s31, 0x7fc02000
	s_xor_b64 s[20:21], exec, -1
; %bb.2081:                             ;   in Loop: Header=BB298_1074 Depth=1
	s_or_b64 exec, exec, s[24:25]
	s_and_b64 s[20:21], s[20:21], exec
	s_or_saveexec_b64 s[22:23], s[22:23]
	v_mov_b32_e32 v5, s31
	s_xor_b64 exec, exec, s[22:23]
	s_cbranch_execz .LBB298_1565
.LBB298_2082:                           ;   in Loop: Header=BB298_1074 Depth=1
	v_cmp_ne_u16_e64 s[2:3], 0, v20
	s_andn2_b64 s[20:21], s[20:21], exec
	s_and_b64 s[2:3], s[2:3], exec
	v_mov_b32_e32 v5, 0
	s_or_b64 s[20:21], s[20:21], s[2:3]
	s_or_b64 exec, exec, s[22:23]
	s_and_saveexec_b64 s[22:23], s[20:21]
	s_cbranch_execnz .LBB298_1566
	s_branch .LBB298_1567
.LBB298_2083:                           ;   in Loop: Header=BB298_1074 Depth=1
	v_cmp_eq_u16_sdwa s[34:35], v59, s15 src0_sel:BYTE_0 src1_sel:DWORD
	s_mov_b64 s[2:3], -1
                                        ; implicit-def: $sgpr24
	s_and_saveexec_b64 s[22:23], s[34:35]
; %bb.2084:                             ;   in Loop: Header=BB298_1074 Depth=1
	s_mov_b32 s24, 0x7fc02000
	s_xor_b64 s[2:3], exec, -1
; %bb.2085:                             ;   in Loop: Header=BB298_1074 Depth=1
	s_or_b64 exec, exec, s[22:23]
	s_and_b64 s[2:3], s[2:3], exec
	s_or_saveexec_b64 s[20:21], s[20:21]
	v_mov_b32_e32 v16, s24
	s_xor_b64 exec, exec, s[20:21]
	s_cbranch_execz .LBB298_1569
.LBB298_2086:                           ;   in Loop: Header=BB298_1074 Depth=1
	v_cmp_ne_u16_sdwa s[22:23], v59, v21 src0_sel:BYTE_0 src1_sel:DWORD
	s_andn2_b64 s[2:3], s[2:3], exec
	s_and_b64 s[22:23], s[22:23], exec
	v_mov_b32_e32 v16, 0
	s_or_b64 s[2:3], s[2:3], s[22:23]
	s_or_b64 exec, exec, s[20:21]
	v_mov_b32_e32 v20, v59
	s_and_saveexec_b64 s[20:21], s[2:3]
	s_cbranch_execnz .LBB298_1570
	s_branch .LBB298_1571
.LBB298_2087:                           ;   in Loop: Header=BB298_1074 Depth=1
	v_cmp_eq_u16_e64 s[2:3], s15, v20
	s_mov_b64 s[20:21], -1
                                        ; implicit-def: $sgpr31
	s_and_saveexec_b64 s[24:25], s[2:3]
; %bb.2088:                             ;   in Loop: Header=BB298_1074 Depth=1
	s_mov_b32 s31, 0x7fc02000
	s_xor_b64 s[20:21], exec, -1
; %bb.2089:                             ;   in Loop: Header=BB298_1074 Depth=1
	s_or_b64 exec, exec, s[24:25]
	s_and_b64 s[20:21], s[20:21], exec
	s_or_saveexec_b64 s[22:23], s[22:23]
	v_mov_b32_e32 v26, s31
	s_xor_b64 exec, exec, s[22:23]
	s_cbranch_execz .LBB298_1573
.LBB298_2090:                           ;   in Loop: Header=BB298_1074 Depth=1
	v_cmp_ne_u16_e64 s[2:3], 0, v20
	s_andn2_b64 s[20:21], s[20:21], exec
	s_and_b64 s[2:3], s[2:3], exec
	v_mov_b32_e32 v26, 0
	s_or_b64 s[20:21], s[20:21], s[2:3]
	s_or_b64 exec, exec, s[22:23]
	s_and_saveexec_b64 s[22:23], s[20:21]
	s_cbranch_execnz .LBB298_1574
	s_branch .LBB298_1575
.LBB298_2091:                           ;   in Loop: Header=BB298_1074 Depth=1
	v_cmp_eq_u16_sdwa s[34:35], v20, s15 src0_sel:BYTE_0 src1_sel:DWORD
	s_mov_b64 s[2:3], -1
                                        ; implicit-def: $sgpr24
	s_and_saveexec_b64 s[22:23], s[34:35]
; %bb.2092:                             ;   in Loop: Header=BB298_1074 Depth=1
	s_mov_b32 s24, 0x7fc02000
	s_xor_b64 s[2:3], exec, -1
; %bb.2093:                             ;   in Loop: Header=BB298_1074 Depth=1
	s_or_b64 exec, exec, s[22:23]
	s_and_b64 s[2:3], s[2:3], exec
	s_or_saveexec_b64 s[20:21], s[20:21]
	v_mov_b32_e32 v27, s24
	s_xor_b64 exec, exec, s[20:21]
	s_cbranch_execz .LBB298_1577
.LBB298_2094:                           ;   in Loop: Header=BB298_1074 Depth=1
	v_cmp_ne_u16_sdwa s[22:23], v20, v21 src0_sel:BYTE_0 src1_sel:DWORD
	s_andn2_b64 s[2:3], s[2:3], exec
	s_and_b64 s[22:23], s[22:23], exec
	v_mov_b32_e32 v27, 0
	s_or_b64 s[2:3], s[2:3], s[22:23]
	s_or_b64 exec, exec, s[20:21]
	s_and_saveexec_b64 s[20:21], s[2:3]
	s_cbranch_execnz .LBB298_1578
	s_branch .LBB298_1579
.LBB298_2095:                           ;   in Loop: Header=BB298_1074 Depth=1
	v_cmp_eq_u16_e64 s[2:3], s15, v20
	s_mov_b64 s[20:21], -1
                                        ; implicit-def: $sgpr31
	s_and_saveexec_b64 s[24:25], s[2:3]
; %bb.2096:                             ;   in Loop: Header=BB298_1074 Depth=1
	s_mov_b32 s31, 0x7fc02000
	s_xor_b64 s[20:21], exec, -1
; %bb.2097:                             ;   in Loop: Header=BB298_1074 Depth=1
	s_or_b64 exec, exec, s[24:25]
	s_and_b64 s[20:21], s[20:21], exec
	s_or_saveexec_b64 s[22:23], s[22:23]
	v_mov_b32_e32 v57, s31
	s_xor_b64 exec, exec, s[22:23]
	s_cbranch_execz .LBB298_1581
.LBB298_2098:                           ;   in Loop: Header=BB298_1074 Depth=1
	v_cmp_ne_u16_e64 s[2:3], 0, v20
	s_andn2_b64 s[20:21], s[20:21], exec
	s_and_b64 s[2:3], s[2:3], exec
	v_mov_b32_e32 v57, 0
	s_or_b64 s[20:21], s[20:21], s[2:3]
	s_or_b64 exec, exec, s[22:23]
	s_and_saveexec_b64 s[22:23], s[20:21]
	s_cbranch_execnz .LBB298_1582
	s_branch .LBB298_1583
.LBB298_2099:                           ;   in Loop: Header=BB298_1074 Depth=1
	v_cmp_eq_u16_sdwa s[34:35], v56, s15 src0_sel:BYTE_0 src1_sel:DWORD
	s_mov_b64 s[2:3], -1
                                        ; implicit-def: $sgpr24
	s_and_saveexec_b64 s[22:23], s[34:35]
; %bb.2100:                             ;   in Loop: Header=BB298_1074 Depth=1
	s_mov_b32 s24, 0x7fc02000
	s_xor_b64 s[2:3], exec, -1
; %bb.2101:                             ;   in Loop: Header=BB298_1074 Depth=1
	s_or_b64 exec, exec, s[22:23]
	s_and_b64 s[2:3], s[2:3], exec
	s_or_saveexec_b64 s[20:21], s[20:21]
	v_mov_b32_e32 v46, s24
	s_xor_b64 exec, exec, s[20:21]
	s_cbranch_execz .LBB298_1587
.LBB298_2102:                           ;   in Loop: Header=BB298_1074 Depth=1
	v_cmp_ne_u16_sdwa s[22:23], v56, v21 src0_sel:BYTE_0 src1_sel:DWORD
	s_andn2_b64 s[2:3], s[2:3], exec
	s_and_b64 s[22:23], s[22:23], exec
	v_mov_b32_e32 v46, 0
	s_or_b64 s[2:3], s[2:3], s[22:23]
	s_or_b64 exec, exec, s[20:21]
	s_and_saveexec_b64 s[20:21], s[2:3]
	s_cbranch_execnz .LBB298_1588
	s_branch .LBB298_1589
.LBB298_2103:                           ;   in Loop: Header=BB298_1074 Depth=1
	v_cmp_eq_u16_e64 s[2:3], s15, v20
	s_mov_b64 s[20:21], -1
                                        ; implicit-def: $sgpr31
	s_and_saveexec_b64 s[24:25], s[2:3]
; %bb.2104:                             ;   in Loop: Header=BB298_1074 Depth=1
	s_mov_b32 s31, 0x7fc02000
	s_xor_b64 s[20:21], exec, -1
; %bb.2105:                             ;   in Loop: Header=BB298_1074 Depth=1
	s_or_b64 exec, exec, s[24:25]
	s_and_b64 s[20:21], s[20:21], exec
	s_or_saveexec_b64 s[22:23], s[22:23]
	v_mov_b32_e32 v4, s31
	s_xor_b64 exec, exec, s[22:23]
	s_cbranch_execz .LBB298_1591
.LBB298_2106:                           ;   in Loop: Header=BB298_1074 Depth=1
	v_cmp_ne_u16_e64 s[2:3], 0, v20
	s_andn2_b64 s[20:21], s[20:21], exec
	s_and_b64 s[2:3], s[2:3], exec
	v_mov_b32_e32 v4, 0
	s_or_b64 s[20:21], s[20:21], s[2:3]
	s_or_b64 exec, exec, s[22:23]
	s_and_saveexec_b64 s[22:23], s[20:21]
	s_cbranch_execnz .LBB298_1592
	s_branch .LBB298_1593
.LBB298_2107:                           ;   in Loop: Header=BB298_1074 Depth=1
	v_cmp_eq_u16_sdwa s[34:35], v20, s15 src0_sel:BYTE_0 src1_sel:DWORD
	s_mov_b64 s[2:3], -1
                                        ; implicit-def: $sgpr24
	s_and_saveexec_b64 s[22:23], s[34:35]
; %bb.2108:                             ;   in Loop: Header=BB298_1074 Depth=1
	s_mov_b32 s24, 0x7fc02000
	s_xor_b64 s[2:3], exec, -1
; %bb.2109:                             ;   in Loop: Header=BB298_1074 Depth=1
	s_or_b64 exec, exec, s[22:23]
	s_and_b64 s[2:3], s[2:3], exec
	s_or_saveexec_b64 s[20:21], s[20:21]
	v_mov_b32_e32 v47, s24
	s_xor_b64 exec, exec, s[20:21]
	s_cbranch_execz .LBB298_1595
.LBB298_2110:                           ;   in Loop: Header=BB298_1074 Depth=1
	v_cmp_ne_u16_sdwa s[22:23], v20, v21 src0_sel:BYTE_0 src1_sel:DWORD
	s_andn2_b64 s[2:3], s[2:3], exec
	s_and_b64 s[22:23], s[22:23], exec
	v_mov_b32_e32 v47, 0
	s_or_b64 s[2:3], s[2:3], s[22:23]
	s_or_b64 exec, exec, s[20:21]
	s_and_saveexec_b64 s[20:21], s[2:3]
	s_cbranch_execnz .LBB298_1596
	s_branch .LBB298_1597
.LBB298_2111:                           ;   in Loop: Header=BB298_1074 Depth=1
	v_cmp_eq_u16_e64 s[2:3], s15, v20
	s_mov_b64 s[20:21], -1
                                        ; implicit-def: $sgpr31
	s_and_saveexec_b64 s[24:25], s[2:3]
; %bb.2112:                             ;   in Loop: Header=BB298_1074 Depth=1
	s_mov_b32 s31, 0x7fc02000
	s_xor_b64 s[20:21], exec, -1
; %bb.2113:                             ;   in Loop: Header=BB298_1074 Depth=1
	s_or_b64 exec, exec, s[24:25]
	s_and_b64 s[20:21], s[20:21], exec
	s_or_saveexec_b64 s[22:23], s[22:23]
	v_mov_b32_e32 v5, s31
	s_xor_b64 exec, exec, s[22:23]
	s_cbranch_execz .LBB298_1599
.LBB298_2114:                           ;   in Loop: Header=BB298_1074 Depth=1
	v_cmp_ne_u16_e64 s[2:3], 0, v20
	s_andn2_b64 s[20:21], s[20:21], exec
	s_and_b64 s[2:3], s[2:3], exec
	v_mov_b32_e32 v5, 0
	s_or_b64 s[20:21], s[20:21], s[2:3]
	s_or_b64 exec, exec, s[22:23]
	s_and_saveexec_b64 s[22:23], s[20:21]
	s_cbranch_execnz .LBB298_1600
	s_branch .LBB298_1601
.LBB298_2115:                           ;   in Loop: Header=BB298_1074 Depth=1
	v_cmp_eq_u16_sdwa s[34:35], v57, s15 src0_sel:BYTE_0 src1_sel:DWORD
	s_mov_b64 s[2:3], -1
                                        ; implicit-def: $sgpr24
	s_and_saveexec_b64 s[22:23], s[34:35]
; %bb.2116:                             ;   in Loop: Header=BB298_1074 Depth=1
	s_mov_b32 s24, 0x7fc02000
	s_xor_b64 s[2:3], exec, -1
; %bb.2117:                             ;   in Loop: Header=BB298_1074 Depth=1
	s_or_b64 exec, exec, s[22:23]
	s_and_b64 s[2:3], s[2:3], exec
	s_or_saveexec_b64 s[20:21], s[20:21]
	v_mov_b32_e32 v27, s24
	s_xor_b64 exec, exec, s[20:21]
	s_cbranch_execz .LBB298_1603
.LBB298_2118:                           ;   in Loop: Header=BB298_1074 Depth=1
	v_cmp_ne_u16_sdwa s[22:23], v57, v21 src0_sel:BYTE_0 src1_sel:DWORD
	s_andn2_b64 s[2:3], s[2:3], exec
	s_and_b64 s[22:23], s[22:23], exec
	v_mov_b32_e32 v27, 0
	s_or_b64 s[2:3], s[2:3], s[22:23]
	s_or_b64 exec, exec, s[20:21]
	v_mov_b32_e32 v20, v57
	s_and_saveexec_b64 s[20:21], s[2:3]
	s_cbranch_execnz .LBB298_1604
	s_branch .LBB298_1605
.LBB298_2119:                           ;   in Loop: Header=BB298_1074 Depth=1
	v_cmp_eq_u16_e64 s[2:3], s15, v20
	s_mov_b64 s[20:21], -1
                                        ; implicit-def: $sgpr31
	s_and_saveexec_b64 s[24:25], s[2:3]
; %bb.2120:                             ;   in Loop: Header=BB298_1074 Depth=1
	s_mov_b32 s31, 0x7fc02000
	s_xor_b64 s[20:21], exec, -1
; %bb.2121:                             ;   in Loop: Header=BB298_1074 Depth=1
	s_or_b64 exec, exec, s[24:25]
	s_and_b64 s[20:21], s[20:21], exec
	s_or_saveexec_b64 s[22:23], s[22:23]
	v_mov_b32_e32 v33, s31
	s_xor_b64 exec, exec, s[22:23]
	s_cbranch_execz .LBB298_1607
.LBB298_2122:                           ;   in Loop: Header=BB298_1074 Depth=1
	v_cmp_ne_u16_e64 s[2:3], 0, v20
	s_andn2_b64 s[20:21], s[20:21], exec
	s_and_b64 s[2:3], s[2:3], exec
	v_mov_b32_e32 v33, 0
	s_or_b64 s[20:21], s[20:21], s[2:3]
	s_or_b64 exec, exec, s[22:23]
	s_and_saveexec_b64 s[22:23], s[20:21]
	s_cbranch_execnz .LBB298_1608
	s_branch .LBB298_1609
.LBB298_2123:                           ;   in Loop: Header=BB298_1074 Depth=1
	v_cmp_eq_u16_sdwa s[34:35], v20, s15 src0_sel:BYTE_0 src1_sel:DWORD
	s_mov_b64 s[2:3], -1
                                        ; implicit-def: $sgpr24
	s_and_saveexec_b64 s[22:23], s[34:35]
; %bb.2124:                             ;   in Loop: Header=BB298_1074 Depth=1
	s_mov_b32 s24, 0x7fc02000
	s_xor_b64 s[2:3], exec, -1
; %bb.2125:                             ;   in Loop: Header=BB298_1074 Depth=1
	s_or_b64 exec, exec, s[22:23]
	s_and_b64 s[2:3], s[2:3], exec
	s_or_saveexec_b64 s[20:21], s[20:21]
	v_mov_b32_e32 v56, s24
	s_xor_b64 exec, exec, s[20:21]
	s_cbranch_execz .LBB298_1611
.LBB298_2126:                           ;   in Loop: Header=BB298_1074 Depth=1
	v_cmp_ne_u16_sdwa s[22:23], v20, v21 src0_sel:BYTE_0 src1_sel:DWORD
	s_andn2_b64 s[2:3], s[2:3], exec
	s_and_b64 s[22:23], s[22:23], exec
	v_mov_b32_e32 v56, 0
	s_or_b64 s[2:3], s[2:3], s[22:23]
	s_or_b64 exec, exec, s[20:21]
	s_and_saveexec_b64 s[20:21], s[2:3]
	s_cbranch_execnz .LBB298_1612
	s_branch .LBB298_1613
.LBB298_2127:                           ;   in Loop: Header=BB298_1074 Depth=1
	v_cmp_eq_u16_e64 s[2:3], s15, v20
	s_mov_b64 s[20:21], -1
                                        ; implicit-def: $sgpr31
	s_and_saveexec_b64 s[24:25], s[2:3]
; %bb.2128:                             ;   in Loop: Header=BB298_1074 Depth=1
	s_mov_b32 s31, 0x7fc02000
	s_xor_b64 s[20:21], exec, -1
; %bb.2129:                             ;   in Loop: Header=BB298_1074 Depth=1
	s_or_b64 exec, exec, s[24:25]
	s_and_b64 s[20:21], s[20:21], exec
	s_or_saveexec_b64 s[22:23], s[22:23]
	v_mov_b32_e32 v58, s31
	s_xor_b64 exec, exec, s[22:23]
	s_cbranch_execz .LBB298_1615
.LBB298_2130:                           ;   in Loop: Header=BB298_1074 Depth=1
	v_cmp_ne_u16_e64 s[2:3], 0, v20
	s_andn2_b64 s[20:21], s[20:21], exec
	s_and_b64 s[2:3], s[2:3], exec
	v_mov_b32_e32 v58, 0
	s_or_b64 s[20:21], s[20:21], s[2:3]
	s_or_b64 exec, exec, s[22:23]
	s_and_saveexec_b64 s[22:23], s[20:21]
	s_cbranch_execnz .LBB298_1616
	s_branch .LBB298_1617
.LBB298_2131:
	s_or_b64 exec, exec, s[12:13]
	v_accvgpr_read_b32 v26, a20
	v_accvgpr_read_b32 v27, a21
	;; [unrolled: 1-line block ×3, first 2 shown]
.LBB298_2132:
	s_or_b64 exec, exec, s[8:9]
	ds_bpermute_b32 v4, v27, v48
	ds_bpermute_b32 v5, v27, v49
	;; [unrolled: 1-line block ×6, first 2 shown]
	s_waitcnt lgkmcnt(0)
	v_pk_add_f32 v[4:5], v[48:49], v[4:5]
	ds_bpermute_b32 v10, v28, v4
	ds_bpermute_b32 v11, v28, v5
	s_waitcnt lgkmcnt(0)
	s_barrier
	ds_bpermute_b32 v6, v27, v36
	v_pk_add_f32 v[4:5], v[4:5], v[10:11]
	v_pk_add_f32 v[10:11], v[34:35], v[14:15]
	ds_bpermute_b32 v14, v28, v10
	ds_bpermute_b32 v15, v28, v11
	ds_bpermute_b32 v7, v27, v37
	ds_bpermute_b32 v22, v27, v2
	ds_bpermute_b32 v23, v27, v3
	s_waitcnt lgkmcnt(3)
	v_pk_add_f32 v[10:11], v[10:11], v[14:15]
	v_pk_add_f32 v[14:15], v[24:25], v[18:19]
	ds_bpermute_b32 v18, v28, v14
	ds_bpermute_b32 v19, v28, v15
	s_waitcnt lgkmcnt(4)
	v_pk_add_f32 v[6:7], v[36:37], v[6:7]
	ds_bpermute_b32 v16, v28, v6
	ds_bpermute_b32 v17, v28, v7
	;; [unrolled: 1-line block ×3, first 2 shown]
	s_waitcnt lgkmcnt(3)
	v_pk_add_f32 v[14:15], v[14:15], v[18:19]
	scratch_load_dword v18, off, s32 offset:600 ; 4-byte Folded Reload
	ds_bpermute_b32 v25, v27, v1
	s_waitcnt lgkmcnt(2)
	v_pk_add_f32 v[6:7], v[6:7], v[16:17]
	ds_bpermute_b32 v16, v27, v12
	ds_bpermute_b32 v17, v27, v13
	v_pk_add_f32 v[2:3], v[2:3], v[22:23]
	ds_bpermute_b32 v22, v28, v2
	ds_bpermute_b32 v23, v28, v3
	s_waitcnt lgkmcnt(4)
	v_pk_add_f32 v[0:1], v[0:1], v[24:25]
	s_waitcnt lgkmcnt(2)
	v_pk_add_f32 v[12:13], v[12:13], v[16:17]
	ds_bpermute_b32 v16, v27, v8
	ds_bpermute_b32 v17, v27, v9
	;; [unrolled: 1-line block ×4, first 2 shown]
	s_waitcnt lgkmcnt(4)
	v_pk_add_f32 v[2:3], v[2:3], v[22:23]
	s_waitcnt lgkmcnt(2)
	v_pk_add_f32 v[8:9], v[8:9], v[16:17]
	ds_bpermute_b32 v16, v28, v8
	ds_bpermute_b32 v17, v28, v9
	s_waitcnt lgkmcnt(2)
	v_pk_add_f32 v[12:13], v[12:13], v[20:21]
	s_waitcnt lgkmcnt(0)
	v_pk_add_f32 v[8:9], v[8:9], v[16:17]
	ds_bpermute_b32 v16, v28, v0
	ds_bpermute_b32 v17, v28, v1
	s_waitcnt vmcnt(0)
	v_and_b32_e32 v18, 0x3c3, v18
	v_cmp_ne_u32_e32 vcc, 64, v18
	s_and_saveexec_b64 s[2:3], vcc
	s_xor_b64 s[2:3], exec, s[2:3]
; %bb.2133:
                                        ; implicit-def: $vgpr26
; %bb.2134:
	s_or_saveexec_b64 s[2:3], s[2:3]
	s_waitcnt lgkmcnt(0)
	v_pk_add_f32 v[0:1], v[0:1], v[16:17]
	s_xor_b64 exec, exec, s[2:3]
	s_cbranch_execz .LBB298_2136
; %bb.2135:
	s_load_dword s5, s[6:7], 0x0
	s_waitcnt lgkmcnt(0)
	v_add_u32_e32 v16, s5, v26
	ds_write2_b32 v16, v4, v5 offset1:16
	ds_write2_b32 v16, v6, v7 offset0:32 offset1:48
	ds_write2_b32 v16, v10, v11 offset0:64 offset1:80
	ds_write2_b32 v16, v14, v15 offset0:96 offset1:112
	ds_write2_b32 v16, v12, v13 offset0:128 offset1:144
	ds_write2_b32 v16, v8, v9 offset0:160 offset1:176
	ds_write2_b32 v16, v2, v3 offset0:192 offset1:208
	ds_write2_b32 v16, v0, v1 offset0:224 offset1:240
.LBB298_2136:
	s_or_b64 exec, exec, s[2:3]
	s_waitcnt lgkmcnt(0)
	s_barrier
	s_and_saveexec_b64 s[2:3], s[0:1]
	s_cbranch_execz .LBB298_2155
; %bb.2137:
	v_accvgpr_read_b32 v16, a23
	v_cmp_eq_u32_e32 vcc, 0, v16
	scratch_load_dword v16, off, s32 offset:600 ; 4-byte Folded Reload
	s_waitcnt vmcnt(0)
	v_lshrrev_b32_e32 v16, 2, v16
	s_and_saveexec_b64 s[0:1], vcc
	s_cbranch_execnz .LBB298_2158
; %bb.2138:
	s_or_b64 exec, exec, s[0:1]
	s_and_saveexec_b64 s[0:1], vcc
	s_cbranch_execnz .LBB298_2159
.LBB298_2139:
	s_or_b64 exec, exec, s[0:1]
	s_and_saveexec_b64 s[0:1], vcc
	s_cbranch_execnz .LBB298_2160
.LBB298_2140:
	s_or_b64 exec, exec, s[0:1]
	s_and_saveexec_b64 s[0:1], vcc
	s_cbranch_execnz .LBB298_2161
.LBB298_2141:
	s_or_b64 exec, exec, s[0:1]
	s_and_saveexec_b64 s[0:1], vcc
	s_cbranch_execnz .LBB298_2162
.LBB298_2142:
	s_or_b64 exec, exec, s[0:1]
	s_and_saveexec_b64 s[0:1], vcc
	s_cbranch_execnz .LBB298_2163
.LBB298_2143:
	s_or_b64 exec, exec, s[0:1]
	s_and_saveexec_b64 s[0:1], vcc
	s_cbranch_execnz .LBB298_2164
.LBB298_2144:
	s_or_b64 exec, exec, s[0:1]
	s_and_saveexec_b64 s[0:1], vcc
	s_cbranch_execnz .LBB298_2165
.LBB298_2145:
	s_or_b64 exec, exec, s[0:1]
	s_and_saveexec_b64 s[0:1], vcc
	s_cbranch_execnz .LBB298_2166
.LBB298_2146:
	s_or_b64 exec, exec, s[0:1]
	s_and_saveexec_b64 s[0:1], vcc
	s_cbranch_execnz .LBB298_2167
.LBB298_2147:
	s_or_b64 exec, exec, s[0:1]
	s_and_saveexec_b64 s[0:1], vcc
	s_cbranch_execnz .LBB298_2168
.LBB298_2148:
	s_or_b64 exec, exec, s[0:1]
	s_and_saveexec_b64 s[0:1], vcc
	s_cbranch_execnz .LBB298_2169
.LBB298_2149:
	s_or_b64 exec, exec, s[0:1]
	s_and_saveexec_b64 s[0:1], vcc
	s_cbranch_execnz .LBB298_2170
.LBB298_2150:
	s_or_b64 exec, exec, s[0:1]
	s_and_saveexec_b64 s[0:1], vcc
	s_cbranch_execnz .LBB298_2171
.LBB298_2151:
	s_or_b64 exec, exec, s[0:1]
	s_and_saveexec_b64 s[0:1], vcc
	s_cbranch_execnz .LBB298_2172
.LBB298_2152:
	s_or_b64 exec, exec, s[0:1]
	s_and_saveexec_b64 s[0:1], vcc
	s_cbranch_execz .LBB298_2154
.LBB298_2153:
	s_load_dword s5, s[6:7], 0x0
	s_waitcnt lgkmcnt(0)
	v_lshl_add_u32 v16, v16, 2, s5
	ds_read_b32 v16, v16 offset:960
	s_waitcnt lgkmcnt(0)
	v_add_f32_e32 v1, v16, v1
.LBB298_2154:
	s_or_b64 exec, exec, s[0:1]
.LBB298_2155:
	s_or_b64 exec, exec, s[2:3]
	v_cmp_eq_u32_e32 vcc, 0, v18
	s_barrier
	s_and_b64 exec, exec, vcc
	s_cbranch_execz .LBB298_2157
; %bb.2156:
	scratch_load_dwordx2 v[16:17], off, s32 offset:664 ; 8-byte Folded Reload
	scratch_load_dword v18, off, s32 offset:600 ; 4-byte Folded Reload
	s_lshl_b32 s0, s4, 8
	s_mul_i32 s2, s16, s17
	s_lshl_b32 s4, s14, 8
	s_ashr_i32 s1, s0, 31
	s_ashr_i32 s3, s2, 31
	;; [unrolled: 1-line block ×3, first 2 shown]
	s_lshl_b64 s[0:1], s[0:1], 1
	s_lshl_b64 s[2:3], s[2:3], 1
	;; [unrolled: 1-line block ×3, first 2 shown]
	s_add_u32 s2, s4, s2
	s_addc_u32 s3, s5, s3
	s_add_u32 s0, s2, s0
	s_addc_u32 s1, s3, s1
	v_mov_b32_e32 v19, 0
	;;#ASMSTART
	v_cvt_f16_f32 v4, v4;

	;;#ASMEND
	s_waitcnt vmcnt(1)
	v_lshl_add_u64 v[16:17], s[0:1], 0, v[16:17]
	s_waitcnt vmcnt(0)
	v_lshrrev_b32_e32 v18, 1, v18
	v_lshl_add_u64 v[16:17], v[16:17], 0, v[18:19]
	flat_store_short v[16:17], v4
	;;#ASMSTART
	v_cvt_f16_f32 v4, v5;

	;;#ASMEND
	flat_store_short v[16:17], v4 offset:32
	;;#ASMSTART
	v_cvt_f16_f32 v4, v6;

	;;#ASMEND
	flat_store_short v[16:17], v4 offset:64
	;; [unrolled: 5-line block ×15, first 2 shown]
.LBB298_2157:
	s_or_b64 exec, exec, s[10:11]
	scratch_load_dword a63, off, s32 offset:8 ; 4-byte Folded Reload
	scratch_load_dword a62, off, s32 offset:12 ; 4-byte Folded Reload
	;; [unrolled: 1-line block ×47, first 2 shown]
	v_readlane_b32 s30, v63, 24
	v_readlane_b32 s31, v63, 25
	;; [unrolled: 1-line block ×26, first 2 shown]
	s_or_saveexec_b64 s[0:1], -1
	scratch_load_dword v63, off, s32 offset:736 ; 4-byte Folded Reload
	s_mov_b64 exec, s[0:1]
	s_waitcnt vmcnt(0) lgkmcnt(0)
	s_setpc_b64 s[30:31]
.LBB298_2158:
	s_load_dword s5, s[6:7], 0x0
	s_waitcnt lgkmcnt(0)
	v_lshl_add_u32 v17, v16, 2, s5
	ds_read_b32 v17, v17
	s_waitcnt lgkmcnt(0)
	v_add_f32_e32 v4, v17, v4
	s_or_b64 exec, exec, s[0:1]
	s_and_saveexec_b64 s[0:1], vcc
	s_cbranch_execz .LBB298_2139
.LBB298_2159:
	s_load_dword s5, s[6:7], 0x0
	s_waitcnt lgkmcnt(0)
	v_lshl_add_u32 v17, v16, 2, s5
	ds_read_b32 v17, v17 offset:64
	s_waitcnt lgkmcnt(0)
	v_add_f32_e32 v5, v17, v5
	s_or_b64 exec, exec, s[0:1]
	s_and_saveexec_b64 s[0:1], vcc
	s_cbranch_execz .LBB298_2140
.LBB298_2160:
	s_load_dword s5, s[6:7], 0x0
	s_waitcnt lgkmcnt(0)
	v_lshl_add_u32 v17, v16, 2, s5
	ds_read_b32 v17, v17 offset:128
	s_waitcnt lgkmcnt(0)
	v_add_f32_e32 v6, v17, v6
	s_or_b64 exec, exec, s[0:1]
	s_and_saveexec_b64 s[0:1], vcc
	s_cbranch_execz .LBB298_2141
.LBB298_2161:
	s_load_dword s5, s[6:7], 0x0
	s_waitcnt lgkmcnt(0)
	v_lshl_add_u32 v17, v16, 2, s5
	ds_read_b32 v17, v17 offset:192
	s_waitcnt lgkmcnt(0)
	v_add_f32_e32 v7, v17, v7
	s_or_b64 exec, exec, s[0:1]
	s_and_saveexec_b64 s[0:1], vcc
	s_cbranch_execz .LBB298_2142
.LBB298_2162:
	s_load_dword s5, s[6:7], 0x0
	s_waitcnt lgkmcnt(0)
	v_lshl_add_u32 v17, v16, 2, s5
	ds_read_b32 v17, v17 offset:256
	s_waitcnt lgkmcnt(0)
	v_add_f32_e32 v10, v17, v10
	s_or_b64 exec, exec, s[0:1]
	s_and_saveexec_b64 s[0:1], vcc
	s_cbranch_execz .LBB298_2143
.LBB298_2163:
	s_load_dword s5, s[6:7], 0x0
	s_waitcnt lgkmcnt(0)
	v_lshl_add_u32 v17, v16, 2, s5
	ds_read_b32 v17, v17 offset:320
	s_waitcnt lgkmcnt(0)
	v_add_f32_e32 v11, v17, v11
	s_or_b64 exec, exec, s[0:1]
	s_and_saveexec_b64 s[0:1], vcc
	s_cbranch_execz .LBB298_2144
.LBB298_2164:
	s_load_dword s5, s[6:7], 0x0
	s_waitcnt lgkmcnt(0)
	v_lshl_add_u32 v17, v16, 2, s5
	ds_read_b32 v17, v17 offset:384
	s_waitcnt lgkmcnt(0)
	v_add_f32_e32 v14, v17, v14
	s_or_b64 exec, exec, s[0:1]
	s_and_saveexec_b64 s[0:1], vcc
	s_cbranch_execz .LBB298_2145
.LBB298_2165:
	s_load_dword s5, s[6:7], 0x0
	s_waitcnt lgkmcnt(0)
	v_lshl_add_u32 v17, v16, 2, s5
	ds_read_b32 v17, v17 offset:448
	s_waitcnt lgkmcnt(0)
	v_add_f32_e32 v15, v17, v15
	s_or_b64 exec, exec, s[0:1]
	s_and_saveexec_b64 s[0:1], vcc
	s_cbranch_execz .LBB298_2146
.LBB298_2166:
	s_load_dword s5, s[6:7], 0x0
	s_waitcnt lgkmcnt(0)
	v_lshl_add_u32 v17, v16, 2, s5
	ds_read_b32 v17, v17 offset:512
	s_waitcnt lgkmcnt(0)
	v_add_f32_e32 v12, v17, v12
	s_or_b64 exec, exec, s[0:1]
	s_and_saveexec_b64 s[0:1], vcc
	s_cbranch_execz .LBB298_2147
.LBB298_2167:
	s_load_dword s5, s[6:7], 0x0
	s_waitcnt lgkmcnt(0)
	v_lshl_add_u32 v17, v16, 2, s5
	ds_read_b32 v17, v17 offset:576
	s_waitcnt lgkmcnt(0)
	v_add_f32_e32 v13, v17, v13
	s_or_b64 exec, exec, s[0:1]
	s_and_saveexec_b64 s[0:1], vcc
	s_cbranch_execz .LBB298_2148
.LBB298_2168:
	s_load_dword s5, s[6:7], 0x0
	s_waitcnt lgkmcnt(0)
	v_lshl_add_u32 v17, v16, 2, s5
	ds_read_b32 v17, v17 offset:640
	s_waitcnt lgkmcnt(0)
	v_add_f32_e32 v8, v17, v8
	s_or_b64 exec, exec, s[0:1]
	s_and_saveexec_b64 s[0:1], vcc
	s_cbranch_execz .LBB298_2149
.LBB298_2169:
	s_load_dword s5, s[6:7], 0x0
	s_waitcnt lgkmcnt(0)
	v_lshl_add_u32 v17, v16, 2, s5
	ds_read_b32 v17, v17 offset:704
	s_waitcnt lgkmcnt(0)
	v_add_f32_e32 v9, v17, v9
	s_or_b64 exec, exec, s[0:1]
	s_and_saveexec_b64 s[0:1], vcc
	s_cbranch_execz .LBB298_2150
.LBB298_2170:
	s_load_dword s5, s[6:7], 0x0
	s_waitcnt lgkmcnt(0)
	v_lshl_add_u32 v17, v16, 2, s5
	ds_read_b32 v17, v17 offset:768
	s_waitcnt lgkmcnt(0)
	v_add_f32_e32 v2, v17, v2
	s_or_b64 exec, exec, s[0:1]
	s_and_saveexec_b64 s[0:1], vcc
	s_cbranch_execz .LBB298_2151
.LBB298_2171:
	s_load_dword s5, s[6:7], 0x0
	s_waitcnt lgkmcnt(0)
	v_lshl_add_u32 v17, v16, 2, s5
	ds_read_b32 v17, v17 offset:832
	s_waitcnt lgkmcnt(0)
	v_add_f32_e32 v3, v17, v3
	s_or_b64 exec, exec, s[0:1]
	s_and_saveexec_b64 s[0:1], vcc
	s_cbranch_execz .LBB298_2152
.LBB298_2172:
	s_load_dword s5, s[6:7], 0x0
	s_waitcnt lgkmcnt(0)
	v_lshl_add_u32 v17, v16, 2, s5
	ds_read_b32 v17, v17 offset:896
	s_waitcnt lgkmcnt(0)
	v_add_f32_e32 v0, v17, v0
	s_or_b64 exec, exec, s[0:1]
	s_and_saveexec_b64 s[0:1], vcc
	s_cbranch_execnz .LBB298_2153
	s_branch .LBB298_2154
.Lfunc_end298:
	.size	_ZN4vllm22paged_attention_kernelIthLi256ELi32ELi128ELNS_18Fp8KVCacheDataTypeE1ELb1ELi512EEEvPfS2_PT_PKS3_PKT0_S9_ifPKiSB_iPKfiiiSD_SD_iiiii, .Lfunc_end298-_ZN4vllm22paged_attention_kernelIthLi256ELi32ELi128ELNS_18Fp8KVCacheDataTypeE1ELb1ELi512EEEvPfS2_PT_PKS3_PKT0_S9_ifPKiSB_iPKfiiiSD_SD_iiiii
                                        ; -- End function
	.section	.AMDGPU.csdata,"",@progbits
; Function info:
; codeLenInByte = 87852
; NumSgprs: 64
; NumVgprs: 64
; NumAgprs: 64
; TotalNumVgprs: 128
; ScratchSize: 744
; MemoryBound: 0
	.section	.text._ZN4vllm25paged_attention_v2_kernelIthLi256ELi32ELi128ELNS_18Fp8KVCacheDataTypeE1ELb1ELi512EEEvPfS2_PT_PKS3_PKT0_S9_ifPKiSB_iPKfiiiSD_SD_iiiii,"axG",@progbits,_ZN4vllm25paged_attention_v2_kernelIthLi256ELi32ELi128ELNS_18Fp8KVCacheDataTypeE1ELb1ELi512EEEvPfS2_PT_PKS3_PKT0_S9_ifPKiSB_iPKfiiiSD_SD_iiiii,comdat
	.protected	_ZN4vllm25paged_attention_v2_kernelIthLi256ELi32ELi128ELNS_18Fp8KVCacheDataTypeE1ELb1ELi512EEEvPfS2_PT_PKS3_PKT0_S9_ifPKiSB_iPKfiiiSD_SD_iiiii ; -- Begin function _ZN4vllm25paged_attention_v2_kernelIthLi256ELi32ELi128ELNS_18Fp8KVCacheDataTypeE1ELb1ELi512EEEvPfS2_PT_PKS3_PKT0_S9_ifPKiSB_iPKfiiiSD_SD_iiiii
	.globl	_ZN4vllm25paged_attention_v2_kernelIthLi256ELi32ELi128ELNS_18Fp8KVCacheDataTypeE1ELb1ELi512EEEvPfS2_PT_PKS3_PKT0_S9_ifPKiSB_iPKfiiiSD_SD_iiiii
	.p2align	8
	.type	_ZN4vllm25paged_attention_v2_kernelIthLi256ELi32ELi128ELNS_18Fp8KVCacheDataTypeE1ELb1ELi512EEEvPfS2_PT_PKS3_PKT0_S9_ifPKiSB_iPKfiiiSD_SD_iiiii,@function
_ZN4vllm25paged_attention_v2_kernelIthLi256ELi32ELi128ELNS_18Fp8KVCacheDataTypeE1ELb1ELi512EEEvPfS2_PT_PKS3_PKT0_S9_ifPKiSB_iPKfiiiSD_SD_iiiii: ; @_ZN4vllm25paged_attention_v2_kernelIthLi256ELi32ELi128ELNS_18Fp8KVCacheDataTypeE1ELb1ELi512EEEvPfS2_PT_PKS3_PKT0_S9_ifPKiSB_iPKfiiiSD_SD_iiiii
; %bb.0:
	s_load_dwordx8 s[24:31], s[0:1], 0x0
	s_load_dwordx8 s[16:23], s[0:1], 0x20
	s_load_dwordx2 s[6:7], s[0:1], 0x40
	s_load_dwordx4 s[44:47], s[0:1], 0x78
	s_load_dword s5, s[0:1], 0x88
	s_load_dwordx2 s[10:11], s[0:1], 0x50
	s_load_dword s33, s[0:1], 0x48
	s_load_dwordx8 s[36:43], s[0:1], 0x58
	s_mov_b32 s32, 0
	s_waitcnt lgkmcnt(0)
	v_mov_b32_e32 v2, s47
	v_mov_b32_e32 v3, s5
	s_add_u32 s8, s0, 0x90
	scratch_store_dwordx2 off, v[2:3], s32
	s_addc_u32 s9, s1, 0
	s_mov_b32 s12, s2
	s_mov_b32 s13, s3
	;; [unrolled: 1-line block ×4, first 2 shown]
	v_mov_b32_e32 v31, v0
	v_mov_b32_e32 v0, s24
	;; [unrolled: 1-line block ×32, first 2 shown]
	s_getpc_b64 s[0:1]
	s_add_u32 s0, s0, _ZN4vllm22paged_attention_kernelIthLi256ELi32ELi128ELNS_18Fp8KVCacheDataTypeE1ELb1ELi512EEEvPfS2_PT_PKS3_PKT0_S9_ifPKiSB_iPKfiiiSD_SD_iiiii@rel32@lo+4
	s_addc_u32 s1, s1, _ZN4vllm22paged_attention_kernelIthLi256ELi32ELi128ELNS_18Fp8KVCacheDataTypeE1ELb1ELi512EEEvPfS2_PT_PKS3_PKT0_S9_ifPKiSB_iPKfiiiSD_SD_iiiii@rel32@hi+12
	s_swappc_b64 s[30:31], s[0:1]
	s_endpgm
	.section	.rodata,"a",@progbits
	.p2align	6, 0x0
	.amdhsa_kernel _ZN4vllm25paged_attention_v2_kernelIthLi256ELi32ELi128ELNS_18Fp8KVCacheDataTypeE1ELb1ELi512EEEvPfS2_PT_PKS3_PKT0_S9_ifPKiSB_iPKfiiiSD_SD_iiiii
		.amdhsa_group_segment_fixed_size 528
		.amdhsa_private_segment_fixed_size 744
		.amdhsa_kernarg_size 400
		.amdhsa_user_sgpr_count 2
		.amdhsa_user_sgpr_dispatch_ptr 0
		.amdhsa_user_sgpr_queue_ptr 0
		.amdhsa_user_sgpr_kernarg_segment_ptr 1
		.amdhsa_user_sgpr_dispatch_id 0
		.amdhsa_user_sgpr_kernarg_preload_length 0
		.amdhsa_user_sgpr_kernarg_preload_offset 0
		.amdhsa_user_sgpr_private_segment_size 0
		.amdhsa_uses_dynamic_stack 0
		.amdhsa_enable_private_segment 1
		.amdhsa_system_sgpr_workgroup_id_x 1
		.amdhsa_system_sgpr_workgroup_id_y 1
		.amdhsa_system_sgpr_workgroup_id_z 1
		.amdhsa_system_sgpr_workgroup_info 0
		.amdhsa_system_vgpr_workitem_id 0
		.amdhsa_next_free_vgpr 128
		.amdhsa_next_free_sgpr 58
		.amdhsa_accum_offset 64
		.amdhsa_reserve_vcc 1
		.amdhsa_float_round_mode_32 0
		.amdhsa_float_round_mode_16_64 0
		.amdhsa_float_denorm_mode_32 3
		.amdhsa_float_denorm_mode_16_64 3
		.amdhsa_dx10_clamp 1
		.amdhsa_ieee_mode 1
		.amdhsa_fp16_overflow 0
		.amdhsa_tg_split 0
		.amdhsa_exception_fp_ieee_invalid_op 0
		.amdhsa_exception_fp_denorm_src 0
		.amdhsa_exception_fp_ieee_div_zero 0
		.amdhsa_exception_fp_ieee_overflow 0
		.amdhsa_exception_fp_ieee_underflow 0
		.amdhsa_exception_fp_ieee_inexact 0
		.amdhsa_exception_int_div_zero 0
	.end_amdhsa_kernel
	.section	.text._ZN4vllm25paged_attention_v2_kernelIthLi256ELi32ELi128ELNS_18Fp8KVCacheDataTypeE1ELb1ELi512EEEvPfS2_PT_PKS3_PKT0_S9_ifPKiSB_iPKfiiiSD_SD_iiiii,"axG",@progbits,_ZN4vllm25paged_attention_v2_kernelIthLi256ELi32ELi128ELNS_18Fp8KVCacheDataTypeE1ELb1ELi512EEEvPfS2_PT_PKS3_PKT0_S9_ifPKiSB_iPKfiiiSD_SD_iiiii,comdat
.Lfunc_end299:
	.size	_ZN4vllm25paged_attention_v2_kernelIthLi256ELi32ELi128ELNS_18Fp8KVCacheDataTypeE1ELb1ELi512EEEvPfS2_PT_PKS3_PKT0_S9_ifPKiSB_iPKfiiiSD_SD_iiiii, .Lfunc_end299-_ZN4vllm25paged_attention_v2_kernelIthLi256ELi32ELi128ELNS_18Fp8KVCacheDataTypeE1ELb1ELi512EEEvPfS2_PT_PKS3_PKT0_S9_ifPKiSB_iPKfiiiSD_SD_iiiii
                                        ; -- End function
	.section	.AMDGPU.csdata,"",@progbits
; Kernel info:
; codeLenInByte = 272
; NumSgprs: 64
; NumVgprs: 64
; NumAgprs: 64
; TotalNumVgprs: 128
; ScratchSize: 744
; MemoryBound: 0
; FloatMode: 240
; IeeeMode: 1
; LDSByteSize: 528 bytes/workgroup (compile time only)
; SGPRBlocks: 7
; VGPRBlocks: 15
; NumSGPRsForWavesPerEU: 64
; NumVGPRsForWavesPerEU: 128
; AccumOffset: 64
; Occupancy: 4
; WaveLimiterHint : 1
; COMPUTE_PGM_RSRC2:SCRATCH_EN: 1
; COMPUTE_PGM_RSRC2:USER_SGPR: 2
; COMPUTE_PGM_RSRC2:TRAP_HANDLER: 0
; COMPUTE_PGM_RSRC2:TGID_X_EN: 1
; COMPUTE_PGM_RSRC2:TGID_Y_EN: 1
; COMPUTE_PGM_RSRC2:TGID_Z_EN: 1
; COMPUTE_PGM_RSRC2:TIDIG_COMP_CNT: 0
; COMPUTE_PGM_RSRC3_GFX90A:ACCUM_OFFSET: 15
; COMPUTE_PGM_RSRC3_GFX90A:TG_SPLIT: 0
	.section	.text._ZN4vllm25paged_attention_v2_kernelIthLi32ELi32ELi128ELNS_18Fp8KVCacheDataTypeE1ELb0ELi512EEEvPfS2_PT_PKS3_PKT0_S9_ifPKiSB_iPKfiiiSD_SD_iiiii,"axG",@progbits,_ZN4vllm25paged_attention_v2_kernelIthLi32ELi32ELi128ELNS_18Fp8KVCacheDataTypeE1ELb0ELi512EEEvPfS2_PT_PKS3_PKT0_S9_ifPKiSB_iPKfiiiSD_SD_iiiii,comdat
	.protected	_ZN4vllm25paged_attention_v2_kernelIthLi32ELi32ELi128ELNS_18Fp8KVCacheDataTypeE1ELb0ELi512EEEvPfS2_PT_PKS3_PKT0_S9_ifPKiSB_iPKfiiiSD_SD_iiiii ; -- Begin function _ZN4vllm25paged_attention_v2_kernelIthLi32ELi32ELi128ELNS_18Fp8KVCacheDataTypeE1ELb0ELi512EEEvPfS2_PT_PKS3_PKT0_S9_ifPKiSB_iPKfiiiSD_SD_iiiii
	.globl	_ZN4vllm25paged_attention_v2_kernelIthLi32ELi32ELi128ELNS_18Fp8KVCacheDataTypeE1ELb0ELi512EEEvPfS2_PT_PKS3_PKT0_S9_ifPKiSB_iPKfiiiSD_SD_iiiii
	.p2align	8
	.type	_ZN4vllm25paged_attention_v2_kernelIthLi32ELi32ELi128ELNS_18Fp8KVCacheDataTypeE1ELb0ELi512EEEvPfS2_PT_PKS3_PKT0_S9_ifPKiSB_iPKfiiiSD_SD_iiiii,@function
_ZN4vllm25paged_attention_v2_kernelIthLi32ELi32ELi128ELNS_18Fp8KVCacheDataTypeE1ELb0ELi512EEEvPfS2_PT_PKS3_PKT0_S9_ifPKiSB_iPKfiiiSD_SD_iiiii: ; @_ZN4vllm25paged_attention_v2_kernelIthLi32ELi32ELi128ELNS_18Fp8KVCacheDataTypeE1ELb0ELi512EEEvPfS2_PT_PKS3_PKT0_S9_ifPKiSB_iPKfiiiSD_SD_iiiii
; %bb.0:
	s_load_dwordx2 s[6:7], s[0:1], 0x40
	s_mov_b32 s28, s3
	s_ashr_i32 s29, s3, 31
	s_lshl_b64 s[8:9], s[28:29], 2
	s_waitcnt lgkmcnt(0)
	s_add_u32 s6, s6, s8
	s_addc_u32 s7, s7, s9
	s_load_dword s29, s[6:7], 0x0
	s_lshl_b32 s46, s4, 9
	s_waitcnt lgkmcnt(0)
	s_cmp_ge_i32 s46, s29
	s_cbranch_scc1 .LBB300_314
; %bb.1:
	s_load_dword s5, s[0:1], 0x90
	s_load_dwordx2 s[10:11], s[0:1], 0x30
	s_waitcnt lgkmcnt(0)
	s_abs_i32 s7, s5
	s_abs_i32 s3, s10
	v_cvt_f32_u32_e32 v1, s3
	s_sub_i32 s8, 0, s3
	s_xor_b32 s6, s5, s10
	s_ashr_i32 s6, s6, 31
	v_rcp_iflag_f32_e32 v1, v1
	s_nop 0
	v_mul_f32_e32 v1, 0x4f7ffffe, v1
	v_cvt_u32_f32_e32 v1, v1
	s_nop 0
	v_readfirstlane_b32 s9, v1
	s_mul_i32 s8, s8, s9
	s_mul_hi_u32 s8, s9, s8
	s_add_i32 s9, s9, s8
	s_mul_hi_u32 s8, s7, s9
	s_mul_i32 s9, s8, s3
	s_sub_i32 s7, s7, s9
	s_add_i32 s10, s8, 1
	s_sub_i32 s9, s7, s3
	s_cmp_ge_u32 s7, s3
	s_cselect_b32 s8, s10, s8
	s_cselect_b32 s7, s9, s7
	s_add_i32 s9, s8, 1
	s_cmp_ge_u32 s7, s3
	s_cselect_b32 s3, s9, s8
	s_xor_b32 s3, s3, s6
	s_sub_i32 s14, s3, s6
	s_abs_i32 s8, s14
	v_cvt_f32_u32_e32 v1, s8
	s_load_dwordx2 s[6:7], s[0:1], 0x50
	s_sub_i32 s3, 0, s8
	s_abs_i32 s9, s2
	v_rcp_iflag_f32_e32 v1, v1
	s_mov_b32 s10, 0
	v_mul_f32_e32 v1, 0x4f7ffffe, v1
	v_cvt_u32_f32_e32 v1, v1
	s_nop 0
	v_readfirstlane_b32 s12, v1
	s_mul_i32 s3, s3, s12
	s_mul_hi_u32 s3, s12, s3
	s_add_i32 s12, s12, s3
	s_waitcnt lgkmcnt(0)
	s_cmp_eq_u64 s[6:7], 0
	s_mul_hi_u32 s12, s9, s12
	s_cbranch_scc1 .LBB300_3
; %bb.2:
	s_ashr_i32 s3, s2, 31
	s_lshl_b64 s[16:17], s[2:3], 2
	s_add_u32 s6, s6, s16
	s_addc_u32 s7, s7, s17
	s_load_dword s10, s[6:7], 0x0
.LBB300_3:
	s_load_dwordx4 s[16:19], s[0:1], 0x58
	s_ashr_i32 s13, s2, 31
	s_ashr_i32 s14, s14, 31
	v_and_b32_e32 v9, 1, v0
	s_lshl_b32 s24, s2, 5
	v_cmp_gt_u32_e32 vcc, 8, v0
	v_lshlrev_b32_e32 v1, 3, v0
	s_and_saveexec_b64 s[6:7], vcc
	s_cbranch_execz .LBB300_5
; %bb.4:
	s_load_dwordx2 s[20:21], s[0:1], 0x18
	s_waitcnt lgkmcnt(0)
	s_mul_i32 s22, s28, s16
	s_ashr_i32 s23, s22, 31
	s_lshl_b64 s[22:23], s[22:23], 1
	v_lshlrev_b32_e32 v4, 2, v0
	s_add_u32 s3, s20, s22
	s_addc_u32 s15, s21, s23
	s_ashr_i32 s25, s24, 31
	s_lshl_b64 s[20:21], s[24:25], 1
	s_add_u32 s20, s3, s20
	s_addc_u32 s21, s15, s21
	global_load_dwordx2 v[2:3], v1, s[20:21]
	v_and_b32_e32 v4, 0xff8, v4
	v_lshl_add_u32 v4, v9, 5, v4
	s_waitcnt vmcnt(0)
	ds_write_b64 v4, v[2:3]
.LBB300_5:
	s_or_b64 exec, exec, s[6:7]
	s_add_i32 s3, s29, 31
	s_ashr_i32 s6, s3, 31
	s_lshr_b32 s6, s6, 27
	s_add_i32 s3, s3, s6
	s_waitcnt lgkmcnt(0)
	s_ashr_i32 s16, s3, 5
	s_lshl_b32 s3, s4, 4
	s_mul_i32 s7, s12, s8
	s_add_i32 s6, s3, 16
	s_sub_i32 s7, s9, s7
	s_min_i32 s33, s6, s16
	s_xor_b32 s6, s13, s14
	s_add_i32 s9, s12, 1
	s_sub_i32 s13, s7, s8
	s_cmp_ge_u32 s7, s8
	s_cselect_b32 s9, s9, s12
	s_cselect_b32 s7, s13, s7
	s_add_i32 s12, s9, 1
	s_cmp_ge_u32 s7, s8
	s_load_dwordx2 s[30:31], s[0:1], 0x38
	s_load_dword s8, s[0:1], 0x48
	v_lshrrev_b32_e32 v15, 6, v0
	s_cselect_b32 s7, s12, s9
	s_xor_b32 s7, s7, s6
	v_or_b32_e32 v2, s3, v15
	s_waitcnt lgkmcnt(0)
	s_mul_i32 s34, s28, s8
	s_sub_i32 s47, s7, s6
	s_ashr_i32 s35, s34, 31
	v_cmp_gt_i32_e64 s[8:9], s33, v2
	v_cmp_le_i32_e32 vcc, s33, v2
	v_mbcnt_lo_u32_b32 v12, -1, 0
	s_barrier
	s_waitcnt lgkmcnt(0)
                                        ; implicit-def: $sgpr19
                                        ; implicit-def: $vgpr17
                                        ; implicit-def: $vgpr4
	s_and_saveexec_b64 s[6:7], vcc
	s_xor_b64 s[6:7], exec, s[6:7]
; %bb.6:
	v_mbcnt_hi_u32_b32 v17, -1, v12
	v_and_b32_e32 v3, 64, v17
	v_add_u32_e32 v4, 64, v3
	s_mov_b32 s19, 0xff7fffff
                                        ; implicit-def: $vgpr9
                                        ; implicit-def: $vgpr12
; %bb.7:
	s_or_saveexec_b64 s[38:39], s[6:7]
	s_load_dwordx4 s[20:23], s[0:1], 0x0
	s_load_dwordx2 s[26:27], s[0:1], 0x10
	s_load_dword s25, s[0:1], 0x98
	s_load_dwordx2 s[36:37], s[0:1], 0x28
	s_load_dwordx4 s[12:15], s[0:1], 0x68
	v_mov_b32_e32 v18, s19
	s_mul_i32 s47, s47, s18
	v_ashrrev_i32_e32 v3, 31, v2
	v_lshlrev_b32_e32 v16, 5, v15
	s_xor_b64 exec, exec, s[38:39]
	s_cbranch_execz .LBB300_141
; %bb.8:
	s_load_dwordx2 s[0:1], s[0:1], 0x20
	s_ashr_i32 s6, s47, 31
	v_bfe_u32 v10, v0, 1, 5
	v_lshlrev_b32_e32 v4, 4, v10
	v_mov_b32_e32 v5, 0
	s_waitcnt lgkmcnt(0)
	s_add_u32 s0, s0, s47
	s_addc_u32 s1, s1, s6
	v_lshl_add_u64 v[6:7], s[0:1], 0, v[4:5]
	s_sub_i32 s49, 1, s29
	s_lshl_b64 s[0:1], s[34:35], 2
	v_lshlrev_b32_e32 v4, 2, v10
	s_add_u32 s0, s30, s0
	v_lshl_or_b32 v4, v15, 7, v4
	s_addc_u32 s1, s31, s1
	s_mov_b32 s48, s17
	v_lshlrev_b32_e32 v8, 2, v9
	v_lshlrev_b32_e32 v19, 5, v9
	v_cmp_eq_u32_e32 vcc, 0, v9
	v_cmp_neq_f32_e64 s[6:7], s10, 0
	v_mov_b32_e32 v9, v5
	v_add3_u32 v20, s46, v16, v10
	v_add_u32_e32 v21, 0x50, v4
	v_lshl_add_u64 v[10:11], v[2:3], 2, s[0:1]
	s_mov_b64 s[18:19], 0
	v_mov_b32_e32 v18, 0xff7fffff
	s_movk_i32 s50, 0x7f
	s_movk_i32 s51, 0x80
	s_mov_b32 s52, 0x8000
	v_mbcnt_hi_u32_b32 v17, -1, v12
	v_mov_b32_e32 v22, 0x1c00
	v_mov_b32_e32 v23, v2
	s_branch .LBB300_10
.LBB300_9:                              ;   in Loop: Header=BB300_10 Depth=1
	s_or_b64 exec, exec, s[40:41]
	v_add_u32_e32 v23, 2, v23
	v_cmp_le_i32_e64 s[0:1], s33, v23
	v_add_u32_e32 v20, 64, v20
	v_add_u32_e32 v21, 0x100, v21
	s_or_b64 s[18:19], s[0:1], s[18:19]
	v_lshl_add_u64 v[10:11], v[10:11], 0, 8
	s_andn2_b64 exec, exec, s[18:19]
	s_cbranch_execz .LBB300_140
.LBB300_10:                             ; =>This Inner Loop Header: Depth=1
	global_load_dword v4, v[10:11], off
                                        ; implicit-def: $sgpr44
	s_waitcnt vmcnt(0) lgkmcnt(0)
	v_mad_i64_i32 v[12:13], s[0:1], v4, s48, v[6:7]
	v_lshl_add_u64 v[12:13], v[12:13], 0, v[8:9]
	global_load_dword v14, v[12:13], off
	global_load_dword v24, v5, s[12:13]
	s_mov_b64 s[0:1], 0
	s_waitcnt vmcnt(1)
	v_cmp_gt_i16_sdwa s[40:41], v14, s50 src0_sel:BYTE_0 src1_sel:DWORD
	s_and_saveexec_b64 s[42:43], s[40:41]
	s_xor_b64 s[40:41], exec, s[42:43]
	s_cbranch_execnz .LBB300_76
; %bb.11:                               ;   in Loop: Header=BB300_10 Depth=1
	s_or_saveexec_b64 s[40:41], s[40:41]
	v_mov_b32_e32 v25, s44
	s_xor_b64 exec, exec, s[40:41]
	s_cbranch_execnz .LBB300_79
.LBB300_12:                             ;   in Loop: Header=BB300_10 Depth=1
	s_or_b64 exec, exec, s[40:41]
	s_and_saveexec_b64 s[40:41], s[0:1]
	s_cbranch_execz .LBB300_14
.LBB300_13:                             ;   in Loop: Header=BB300_10 Depth=1
	v_and_b32_e32 v4, 7, v14
	v_ffbh_u32_e32 v26, v4
	v_min_u32_e32 v28, 32, v26
	v_subrev_u32_e32 v26, 28, v28
	v_bfe_u32 v25, v14, 3, 4
	v_lshlrev_b64 v[26:27], v26, v[14:15]
	v_sub_u32_e32 v27, 29, v28
	v_cmp_eq_u32_e64 s[0:1], 0, v25
	v_and_b32_e32 v26, 7, v26
	s_nop 0
	v_cndmask_b32_e64 v25, v25, v27, s[0:1]
	v_cndmask_b32_e64 v4, v4, v26, s[0:1]
	v_lshlrev_b32_e32 v26, 8, v14
	v_lshl_add_u32 v25, v25, 10, v22
	v_and_or_b32 v25, v26, s52, v25
	v_lshl_or_b32 v4, v4, 7, v25
	v_cvt_f32_f16_e32 v25, v4
.LBB300_14:                             ;   in Loop: Header=BB300_10 Depth=1
	s_or_b64 exec, exec, s[40:41]
	v_lshrrev_b16_e32 v4, 8, v14
	v_cmp_lt_i16_e64 s[0:1], s50, v4
	s_mov_b64 s[40:41], 0
                                        ; implicit-def: $sgpr53
	s_and_saveexec_b64 s[42:43], s[0:1]
	s_xor_b64 s[42:43], exec, s[42:43]
	s_cbranch_execnz .LBB300_80
; %bb.15:                               ;   in Loop: Header=BB300_10 Depth=1
	s_or_saveexec_b64 s[42:43], s[42:43]
	v_mov_b32_e32 v26, s53
	s_xor_b64 exec, exec, s[42:43]
	s_cbranch_execnz .LBB300_83
.LBB300_16:                             ;   in Loop: Header=BB300_10 Depth=1
	s_or_b64 exec, exec, s[42:43]
	s_and_saveexec_b64 s[42:43], s[40:41]
	s_cbranch_execz .LBB300_18
.LBB300_17:                             ;   in Loop: Header=BB300_10 Depth=1
	v_and_b32_e32 v28, 7, v4
	v_ffbh_u32_e32 v26, v28
	v_min_u32_e32 v30, 32, v26
	v_subrev_u32_e32 v26, 28, v30
	v_bfe_u32 v29, v4, 3, 4
	v_lshlrev_b64 v[26:27], v26, v[4:5]
	v_sub_u32_e32 v27, 29, v30
	v_cmp_eq_u32_e64 s[0:1], 0, v29
	v_and_b32_e32 v26, 7, v26
	v_lshlrev_b32_e32 v4, 8, v4
	v_cndmask_b32_e64 v27, v29, v27, s[0:1]
	v_lshl_add_u32 v27, v27, 10, v22
	v_cndmask_b32_e64 v26, v28, v26, s[0:1]
	v_and_or_b32 v4, v4, s52, v27
	v_lshl_or_b32 v4, v26, 7, v4
	v_cvt_f32_f16_e32 v26, v4
.LBB300_18:                             ;   in Loop: Header=BB300_10 Depth=1
	s_or_b64 exec, exec, s[42:43]
	v_lshrrev_b32_e32 v4, 16, v14
	v_cmp_gt_i16_sdwa s[40:41], v4, s50 src0_sel:BYTE_0 src1_sel:DWORD
	s_mov_b64 s[0:1], 0
                                        ; implicit-def: $sgpr44
	s_and_saveexec_b64 s[42:43], s[40:41]
	s_xor_b64 s[40:41], exec, s[42:43]
	s_cbranch_execnz .LBB300_84
; %bb.19:                               ;   in Loop: Header=BB300_10 Depth=1
	s_or_saveexec_b64 s[40:41], s[40:41]
	v_mov_b32_e32 v27, s44
	s_xor_b64 exec, exec, s[40:41]
	s_cbranch_execnz .LBB300_87
.LBB300_20:                             ;   in Loop: Header=BB300_10 Depth=1
	s_or_b64 exec, exec, s[40:41]
	s_and_saveexec_b64 s[40:41], s[0:1]
	s_cbranch_execz .LBB300_22
.LBB300_21:                             ;   in Loop: Header=BB300_10 Depth=1
	v_bfe_u32 v27, v14, 16, 3
	v_ffbh_u32_e32 v28, v27
	v_min_u32_e32 v31, 32, v28
	v_subrev_u32_e32 v28, 28, v31
	v_bfe_u32 v30, v14, 19, 4
	v_lshlrev_b64 v[28:29], v28, v[4:5]
	v_sub_u32_e32 v29, 29, v31
	v_cmp_eq_u32_e64 s[0:1], 0, v30
	v_and_b32_e32 v28, 7, v28
	v_lshlrev_b32_e32 v4, 8, v4
	v_cndmask_b32_e64 v29, v30, v29, s[0:1]
	v_cndmask_b32_e64 v27, v27, v28, s[0:1]
	v_lshl_add_u32 v28, v29, 10, v22
	v_and_or_b32 v4, v4, s52, v28
	v_lshl_or_b32 v4, v27, 7, v4
	v_cvt_f32_f16_e32 v27, v4
.LBB300_22:                             ;   in Loop: Header=BB300_10 Depth=1
	s_or_b64 exec, exec, s[40:41]
	v_lshrrev_b32_e32 v4, 24, v14
	v_cmp_lt_i16_e64 s[0:1], s50, v4
	s_mov_b64 s[40:41], 0
                                        ; implicit-def: $sgpr53
	s_and_saveexec_b64 s[42:43], s[0:1]
	s_xor_b64 s[42:43], exec, s[42:43]
	s_cbranch_execnz .LBB300_88
; %bb.23:                               ;   in Loop: Header=BB300_10 Depth=1
	s_or_saveexec_b64 s[42:43], s[42:43]
	v_mov_b32_e32 v28, s53
	s_xor_b64 exec, exec, s[42:43]
	s_cbranch_execnz .LBB300_91
.LBB300_24:                             ;   in Loop: Header=BB300_10 Depth=1
	s_or_b64 exec, exec, s[42:43]
	s_and_saveexec_b64 s[42:43], s[40:41]
	s_cbranch_execz .LBB300_26
.LBB300_25:                             ;   in Loop: Header=BB300_10 Depth=1
	v_bfe_u32 v30, v14, 24, 3
	v_ffbh_u32_e32 v28, v30
	v_min_u32_e32 v31, 32, v28
	v_subrev_u32_e32 v28, 28, v31
	v_bfe_u32 v14, v14, 27, 4
	v_lshlrev_b64 v[28:29], v28, v[4:5]
	v_sub_u32_e32 v29, 29, v31
	v_cmp_eq_u32_e64 s[0:1], 0, v14
	v_and_b32_e32 v28, 7, v28
	v_lshlrev_b32_e32 v4, 8, v4
	v_cndmask_b32_e64 v14, v14, v29, s[0:1]
	v_lshl_add_u32 v14, v14, 10, v22
	v_cndmask_b32_e64 v28, v30, v28, s[0:1]
	v_and_or_b32 v4, v4, s52, v14
	v_lshl_or_b32 v4, v28, 7, v4
	v_cvt_f32_f16_e32 v28, v4
.LBB300_26:                             ;   in Loop: Header=BB300_10 Depth=1
	s_or_b64 exec, exec, s[42:43]
	global_load_dword v14, v[12:13], off offset:8
	s_mov_b64 s[0:1], 0
                                        ; implicit-def: $sgpr44
	s_waitcnt vmcnt(0)
	v_cmp_gt_i16_sdwa s[40:41], v14, s50 src0_sel:BYTE_0 src1_sel:DWORD
	s_and_saveexec_b64 s[42:43], s[40:41]
	s_xor_b64 s[40:41], exec, s[42:43]
	s_cbranch_execnz .LBB300_92
; %bb.27:                               ;   in Loop: Header=BB300_10 Depth=1
	s_or_saveexec_b64 s[40:41], s[40:41]
	v_mov_b32_e32 v29, s44
	s_xor_b64 exec, exec, s[40:41]
	s_cbranch_execnz .LBB300_95
.LBB300_28:                             ;   in Loop: Header=BB300_10 Depth=1
	s_or_b64 exec, exec, s[40:41]
	s_and_saveexec_b64 s[40:41], s[0:1]
	s_cbranch_execz .LBB300_30
.LBB300_29:                             ;   in Loop: Header=BB300_10 Depth=1
	v_and_b32_e32 v4, 7, v14
	v_ffbh_u32_e32 v30, v4
	v_min_u32_e32 v32, 32, v30
	v_subrev_u32_e32 v30, 28, v32
	v_bfe_u32 v29, v14, 3, 4
	v_lshlrev_b64 v[30:31], v30, v[14:15]
	v_sub_u32_e32 v31, 29, v32
	v_cmp_eq_u32_e64 s[0:1], 0, v29
	v_and_b32_e32 v30, 7, v30
	s_nop 0
	v_cndmask_b32_e64 v29, v29, v31, s[0:1]
	v_cndmask_b32_e64 v4, v4, v30, s[0:1]
	v_lshlrev_b32_e32 v30, 8, v14
	v_lshl_add_u32 v29, v29, 10, v22
	v_and_or_b32 v29, v30, s52, v29
	v_lshl_or_b32 v4, v4, 7, v29
	v_cvt_f32_f16_e32 v29, v4
.LBB300_30:                             ;   in Loop: Header=BB300_10 Depth=1
	s_or_b64 exec, exec, s[40:41]
	v_lshrrev_b16_e32 v4, 8, v14
	v_cmp_lt_i16_e64 s[0:1], s50, v4
	s_mov_b64 s[40:41], 0
                                        ; implicit-def: $sgpr53
	s_and_saveexec_b64 s[42:43], s[0:1]
	s_xor_b64 s[42:43], exec, s[42:43]
	s_cbranch_execnz .LBB300_96
; %bb.31:                               ;   in Loop: Header=BB300_10 Depth=1
	s_or_saveexec_b64 s[42:43], s[42:43]
	v_mov_b32_e32 v30, s53
	s_xor_b64 exec, exec, s[42:43]
	s_cbranch_execnz .LBB300_99
.LBB300_32:                             ;   in Loop: Header=BB300_10 Depth=1
	s_or_b64 exec, exec, s[42:43]
	s_and_saveexec_b64 s[42:43], s[40:41]
	s_cbranch_execz .LBB300_34
.LBB300_33:                             ;   in Loop: Header=BB300_10 Depth=1
	v_and_b32_e32 v32, 7, v4
	v_ffbh_u32_e32 v30, v32
	v_min_u32_e32 v34, 32, v30
	v_subrev_u32_e32 v30, 28, v34
	v_bfe_u32 v33, v4, 3, 4
	v_lshlrev_b64 v[30:31], v30, v[4:5]
	v_sub_u32_e32 v31, 29, v34
	v_cmp_eq_u32_e64 s[0:1], 0, v33
	v_and_b32_e32 v30, 7, v30
	v_lshlrev_b32_e32 v4, 8, v4
	v_cndmask_b32_e64 v31, v33, v31, s[0:1]
	v_lshl_add_u32 v31, v31, 10, v22
	v_cndmask_b32_e64 v30, v32, v30, s[0:1]
	v_and_or_b32 v4, v4, s52, v31
	v_lshl_or_b32 v4, v30, 7, v4
	v_cvt_f32_f16_e32 v30, v4
.LBB300_34:                             ;   in Loop: Header=BB300_10 Depth=1
	s_or_b64 exec, exec, s[42:43]
	v_lshrrev_b32_e32 v4, 16, v14
	v_cmp_gt_i16_sdwa s[40:41], v4, s50 src0_sel:BYTE_0 src1_sel:DWORD
	s_mov_b64 s[0:1], 0
                                        ; implicit-def: $sgpr44
	s_and_saveexec_b64 s[42:43], s[40:41]
	s_xor_b64 s[40:41], exec, s[42:43]
	s_cbranch_execnz .LBB300_100
; %bb.35:                               ;   in Loop: Header=BB300_10 Depth=1
	s_or_saveexec_b64 s[40:41], s[40:41]
	v_mov_b32_e32 v31, s44
	s_xor_b64 exec, exec, s[40:41]
	s_cbranch_execnz .LBB300_103
.LBB300_36:                             ;   in Loop: Header=BB300_10 Depth=1
	s_or_b64 exec, exec, s[40:41]
	s_and_saveexec_b64 s[40:41], s[0:1]
	s_cbranch_execz .LBB300_38
.LBB300_37:                             ;   in Loop: Header=BB300_10 Depth=1
	v_bfe_u32 v31, v14, 16, 3
	v_ffbh_u32_e32 v32, v31
	v_min_u32_e32 v35, 32, v32
	v_subrev_u32_e32 v32, 28, v35
	v_bfe_u32 v34, v14, 19, 4
	v_lshlrev_b64 v[32:33], v32, v[4:5]
	v_sub_u32_e32 v33, 29, v35
	v_cmp_eq_u32_e64 s[0:1], 0, v34
	v_and_b32_e32 v32, 7, v32
	v_lshlrev_b32_e32 v4, 8, v4
	v_cndmask_b32_e64 v33, v34, v33, s[0:1]
	v_cndmask_b32_e64 v31, v31, v32, s[0:1]
	v_lshl_add_u32 v32, v33, 10, v22
	v_and_or_b32 v4, v4, s52, v32
	v_lshl_or_b32 v4, v31, 7, v4
	v_cvt_f32_f16_e32 v31, v4
.LBB300_38:                             ;   in Loop: Header=BB300_10 Depth=1
	s_or_b64 exec, exec, s[40:41]
	v_lshrrev_b32_e32 v4, 24, v14
	v_cmp_lt_i16_e64 s[0:1], s50, v4
	s_mov_b64 s[40:41], 0
                                        ; implicit-def: $sgpr53
	s_and_saveexec_b64 s[42:43], s[0:1]
	s_xor_b64 s[42:43], exec, s[42:43]
	s_cbranch_execnz .LBB300_104
; %bb.39:                               ;   in Loop: Header=BB300_10 Depth=1
	s_or_saveexec_b64 s[42:43], s[42:43]
	v_mov_b32_e32 v32, s53
	s_xor_b64 exec, exec, s[42:43]
	s_cbranch_execnz .LBB300_107
.LBB300_40:                             ;   in Loop: Header=BB300_10 Depth=1
	s_or_b64 exec, exec, s[42:43]
	s_and_saveexec_b64 s[42:43], s[40:41]
	s_cbranch_execz .LBB300_42
.LBB300_41:                             ;   in Loop: Header=BB300_10 Depth=1
	v_bfe_u32 v34, v14, 24, 3
	v_ffbh_u32_e32 v32, v34
	v_min_u32_e32 v35, 32, v32
	v_subrev_u32_e32 v32, 28, v35
	v_bfe_u32 v14, v14, 27, 4
	v_lshlrev_b64 v[32:33], v32, v[4:5]
	v_sub_u32_e32 v33, 29, v35
	v_cmp_eq_u32_e64 s[0:1], 0, v14
	v_and_b32_e32 v32, 7, v32
	v_lshlrev_b32_e32 v4, 8, v4
	v_cndmask_b32_e64 v14, v14, v33, s[0:1]
	v_lshl_add_u32 v14, v14, 10, v22
	v_cndmask_b32_e64 v32, v34, v32, s[0:1]
	v_and_or_b32 v4, v4, s52, v14
	v_lshl_or_b32 v4, v32, 7, v4
	v_cvt_f32_f16_e32 v32, v4
.LBB300_42:                             ;   in Loop: Header=BB300_10 Depth=1
	s_or_b64 exec, exec, s[42:43]
	global_load_dword v14, v[12:13], off offset:512
	s_mov_b64 s[0:1], 0
                                        ; implicit-def: $sgpr44
	s_waitcnt vmcnt(0)
	v_cmp_gt_i16_sdwa s[40:41], v14, s50 src0_sel:BYTE_0 src1_sel:DWORD
	s_and_saveexec_b64 s[42:43], s[40:41]
	s_xor_b64 s[40:41], exec, s[42:43]
	s_cbranch_execnz .LBB300_108
; %bb.43:                               ;   in Loop: Header=BB300_10 Depth=1
	s_or_saveexec_b64 s[40:41], s[40:41]
	v_mov_b32_e32 v33, s44
	s_xor_b64 exec, exec, s[40:41]
	s_cbranch_execnz .LBB300_111
.LBB300_44:                             ;   in Loop: Header=BB300_10 Depth=1
	s_or_b64 exec, exec, s[40:41]
	s_and_saveexec_b64 s[40:41], s[0:1]
	s_cbranch_execz .LBB300_46
.LBB300_45:                             ;   in Loop: Header=BB300_10 Depth=1
	v_and_b32_e32 v4, 7, v14
	v_ffbh_u32_e32 v34, v4
	v_min_u32_e32 v36, 32, v34
	v_subrev_u32_e32 v34, 28, v36
	v_bfe_u32 v33, v14, 3, 4
	v_lshlrev_b64 v[34:35], v34, v[14:15]
	v_sub_u32_e32 v35, 29, v36
	v_cmp_eq_u32_e64 s[0:1], 0, v33
	v_and_b32_e32 v34, 7, v34
	s_nop 0
	v_cndmask_b32_e64 v33, v33, v35, s[0:1]
	v_cndmask_b32_e64 v4, v4, v34, s[0:1]
	v_lshlrev_b32_e32 v34, 8, v14
	v_lshl_add_u32 v33, v33, 10, v22
	v_and_or_b32 v33, v34, s52, v33
	v_lshl_or_b32 v4, v4, 7, v33
	v_cvt_f32_f16_e32 v33, v4
.LBB300_46:                             ;   in Loop: Header=BB300_10 Depth=1
	s_or_b64 exec, exec, s[40:41]
	v_lshrrev_b16_e32 v4, 8, v14
	v_cmp_lt_i16_e64 s[0:1], s50, v4
	s_mov_b64 s[40:41], 0
                                        ; implicit-def: $sgpr53
	s_and_saveexec_b64 s[42:43], s[0:1]
	s_xor_b64 s[42:43], exec, s[42:43]
	s_cbranch_execnz .LBB300_112
; %bb.47:                               ;   in Loop: Header=BB300_10 Depth=1
	s_or_saveexec_b64 s[42:43], s[42:43]
	v_mov_b32_e32 v34, s53
	s_xor_b64 exec, exec, s[42:43]
	s_cbranch_execnz .LBB300_115
.LBB300_48:                             ;   in Loop: Header=BB300_10 Depth=1
	s_or_b64 exec, exec, s[42:43]
	s_and_saveexec_b64 s[42:43], s[40:41]
	s_cbranch_execz .LBB300_50
.LBB300_49:                             ;   in Loop: Header=BB300_10 Depth=1
	v_and_b32_e32 v36, 7, v4
	v_ffbh_u32_e32 v34, v36
	v_min_u32_e32 v38, 32, v34
	v_subrev_u32_e32 v34, 28, v38
	v_bfe_u32 v37, v4, 3, 4
	v_lshlrev_b64 v[34:35], v34, v[4:5]
	v_sub_u32_e32 v35, 29, v38
	v_cmp_eq_u32_e64 s[0:1], 0, v37
	v_and_b32_e32 v34, 7, v34
	v_lshlrev_b32_e32 v4, 8, v4
	v_cndmask_b32_e64 v35, v37, v35, s[0:1]
	v_lshl_add_u32 v35, v35, 10, v22
	v_cndmask_b32_e64 v34, v36, v34, s[0:1]
	v_and_or_b32 v4, v4, s52, v35
	v_lshl_or_b32 v4, v34, 7, v4
	v_cvt_f32_f16_e32 v34, v4
.LBB300_50:                             ;   in Loop: Header=BB300_10 Depth=1
	s_or_b64 exec, exec, s[42:43]
	v_lshrrev_b32_e32 v4, 16, v14
	v_cmp_gt_i16_sdwa s[40:41], v4, s50 src0_sel:BYTE_0 src1_sel:DWORD
	s_mov_b64 s[0:1], 0
                                        ; implicit-def: $sgpr44
	s_and_saveexec_b64 s[42:43], s[40:41]
	s_xor_b64 s[40:41], exec, s[42:43]
	s_cbranch_execnz .LBB300_116
; %bb.51:                               ;   in Loop: Header=BB300_10 Depth=1
	s_or_saveexec_b64 s[40:41], s[40:41]
	v_mov_b32_e32 v35, s44
	s_xor_b64 exec, exec, s[40:41]
	s_cbranch_execnz .LBB300_119
.LBB300_52:                             ;   in Loop: Header=BB300_10 Depth=1
	s_or_b64 exec, exec, s[40:41]
	s_and_saveexec_b64 s[40:41], s[0:1]
	s_cbranch_execz .LBB300_54
.LBB300_53:                             ;   in Loop: Header=BB300_10 Depth=1
	v_bfe_u32 v35, v14, 16, 3
	v_ffbh_u32_e32 v36, v35
	v_min_u32_e32 v39, 32, v36
	v_subrev_u32_e32 v36, 28, v39
	v_bfe_u32 v38, v14, 19, 4
	v_lshlrev_b64 v[36:37], v36, v[4:5]
	v_sub_u32_e32 v37, 29, v39
	v_cmp_eq_u32_e64 s[0:1], 0, v38
	v_and_b32_e32 v36, 7, v36
	v_lshlrev_b32_e32 v4, 8, v4
	v_cndmask_b32_e64 v37, v38, v37, s[0:1]
	v_cndmask_b32_e64 v35, v35, v36, s[0:1]
	v_lshl_add_u32 v36, v37, 10, v22
	v_and_or_b32 v4, v4, s52, v36
	v_lshl_or_b32 v4, v35, 7, v4
	v_cvt_f32_f16_e32 v35, v4
.LBB300_54:                             ;   in Loop: Header=BB300_10 Depth=1
	s_or_b64 exec, exec, s[40:41]
	v_lshrrev_b32_e32 v4, 24, v14
	v_cmp_lt_i16_e64 s[0:1], s50, v4
	s_mov_b64 s[40:41], 0
                                        ; implicit-def: $sgpr53
	s_and_saveexec_b64 s[42:43], s[0:1]
	s_xor_b64 s[42:43], exec, s[42:43]
	s_cbranch_execnz .LBB300_120
; %bb.55:                               ;   in Loop: Header=BB300_10 Depth=1
	s_or_saveexec_b64 s[42:43], s[42:43]
	v_mov_b32_e32 v36, s53
	s_xor_b64 exec, exec, s[42:43]
	s_cbranch_execnz .LBB300_123
.LBB300_56:                             ;   in Loop: Header=BB300_10 Depth=1
	s_or_b64 exec, exec, s[42:43]
	s_and_saveexec_b64 s[42:43], s[40:41]
	s_cbranch_execz .LBB300_58
.LBB300_57:                             ;   in Loop: Header=BB300_10 Depth=1
	v_bfe_u32 v38, v14, 24, 3
	v_ffbh_u32_e32 v36, v38
	v_min_u32_e32 v39, 32, v36
	v_subrev_u32_e32 v36, 28, v39
	v_bfe_u32 v14, v14, 27, 4
	v_lshlrev_b64 v[36:37], v36, v[4:5]
	v_sub_u32_e32 v37, 29, v39
	v_cmp_eq_u32_e64 s[0:1], 0, v14
	v_and_b32_e32 v36, 7, v36
	v_lshlrev_b32_e32 v4, 8, v4
	v_cndmask_b32_e64 v14, v14, v37, s[0:1]
	v_lshl_add_u32 v14, v14, 10, v22
	v_cndmask_b32_e64 v36, v38, v36, s[0:1]
	v_and_or_b32 v4, v4, s52, v14
	v_lshl_or_b32 v4, v36, 7, v4
	v_cvt_f32_f16_e32 v36, v4
.LBB300_58:                             ;   in Loop: Header=BB300_10 Depth=1
	s_or_b64 exec, exec, s[42:43]
	global_load_dword v12, v[12:13], off offset:520
	s_mov_b64 s[0:1], 0
                                        ; implicit-def: $sgpr44
	s_waitcnt vmcnt(0)
	v_cmp_gt_i16_sdwa s[40:41], v12, s50 src0_sel:BYTE_0 src1_sel:DWORD
	s_and_saveexec_b64 s[42:43], s[40:41]
	s_xor_b64 s[40:41], exec, s[42:43]
	s_cbranch_execnz .LBB300_124
; %bb.59:                               ;   in Loop: Header=BB300_10 Depth=1
	s_or_saveexec_b64 s[40:41], s[40:41]
	v_mov_b32_e32 v13, s44
	s_xor_b64 exec, exec, s[40:41]
	s_cbranch_execnz .LBB300_127
.LBB300_60:                             ;   in Loop: Header=BB300_10 Depth=1
	s_or_b64 exec, exec, s[40:41]
	s_and_saveexec_b64 s[40:41], s[0:1]
	s_cbranch_execz .LBB300_62
.LBB300_61:                             ;   in Loop: Header=BB300_10 Depth=1
	v_and_b32_e32 v4, 7, v12
	v_ffbh_u32_e32 v14, v4
	v_bfe_u32 v13, v12, 3, 4
	v_min_u32_e32 v14, 32, v14
	v_subrev_u32_e32 v37, 28, v14
	v_sub_u32_e32 v14, 29, v14
	v_cmp_eq_u32_e64 s[0:1], 0, v13
	v_lshlrev_b64 v[38:39], v37, v[12:13]
	v_and_b32_e32 v37, 7, v38
	v_cndmask_b32_e64 v13, v13, v14, s[0:1]
	v_lshlrev_b32_e32 v14, 8, v12
	v_lshl_add_u32 v13, v13, 10, v22
	v_cndmask_b32_e64 v4, v4, v37, s[0:1]
	v_and_or_b32 v13, v14, s52, v13
	v_lshl_or_b32 v4, v4, 7, v13
	v_cvt_f32_f16_e32 v13, v4
.LBB300_62:                             ;   in Loop: Header=BB300_10 Depth=1
	s_or_b64 exec, exec, s[40:41]
	v_lshrrev_b16_e32 v4, 8, v12
	v_cmp_lt_i16_e64 s[0:1], s50, v4
	s_mov_b64 s[40:41], 0
                                        ; implicit-def: $sgpr53
	s_and_saveexec_b64 s[42:43], s[0:1]
	s_xor_b64 s[42:43], exec, s[42:43]
	s_cbranch_execnz .LBB300_128
; %bb.63:                               ;   in Loop: Header=BB300_10 Depth=1
	s_or_saveexec_b64 s[42:43], s[42:43]
	v_mov_b32_e32 v14, s53
	s_xor_b64 exec, exec, s[42:43]
	s_cbranch_execnz .LBB300_131
.LBB300_64:                             ;   in Loop: Header=BB300_10 Depth=1
	s_or_b64 exec, exec, s[42:43]
	s_and_saveexec_b64 s[42:43], s[40:41]
	s_cbranch_execz .LBB300_66
.LBB300_65:                             ;   in Loop: Header=BB300_10 Depth=1
	v_and_b32_e32 v14, 7, v4
	v_ffbh_u32_e32 v38, v14
	v_min_u32_e32 v40, 32, v38
	v_subrev_u32_e32 v38, 28, v40
	v_bfe_u32 v37, v4, 3, 4
	v_lshlrev_b64 v[38:39], v38, v[4:5]
	v_sub_u32_e32 v39, 29, v40
	v_cmp_eq_u32_e64 s[0:1], 0, v37
	v_and_b32_e32 v38, 7, v38
	v_lshlrev_b32_e32 v4, 8, v4
	v_cndmask_b32_e64 v37, v37, v39, s[0:1]
	v_lshl_add_u32 v37, v37, 10, v22
	v_cndmask_b32_e64 v14, v14, v38, s[0:1]
	v_and_or_b32 v4, v4, s52, v37
	v_lshl_or_b32 v4, v14, 7, v4
	v_cvt_f32_f16_e32 v14, v4
.LBB300_66:                             ;   in Loop: Header=BB300_10 Depth=1
	s_or_b64 exec, exec, s[42:43]
	v_lshrrev_b32_e32 v4, 16, v12
	v_cmp_gt_i16_sdwa s[40:41], v4, s50 src0_sel:BYTE_0 src1_sel:DWORD
	s_mov_b64 s[0:1], 0
                                        ; implicit-def: $sgpr44
	s_and_saveexec_b64 s[42:43], s[40:41]
	s_xor_b64 s[40:41], exec, s[42:43]
	s_cbranch_execnz .LBB300_132
; %bb.67:                               ;   in Loop: Header=BB300_10 Depth=1
	s_or_saveexec_b64 s[40:41], s[40:41]
	v_mov_b32_e32 v37, s44
	s_xor_b64 exec, exec, s[40:41]
	s_cbranch_execnz .LBB300_135
.LBB300_68:                             ;   in Loop: Header=BB300_10 Depth=1
	s_or_b64 exec, exec, s[40:41]
	s_and_saveexec_b64 s[40:41], s[0:1]
	s_cbranch_execz .LBB300_70
.LBB300_69:                             ;   in Loop: Header=BB300_10 Depth=1
	v_bfe_u32 v37, v12, 16, 3
	v_ffbh_u32_e32 v38, v37
	v_min_u32_e32 v41, 32, v38
	v_subrev_u32_e32 v38, 28, v41
	v_bfe_u32 v40, v12, 19, 4
	v_lshlrev_b64 v[38:39], v38, v[4:5]
	v_sub_u32_e32 v39, 29, v41
	v_cmp_eq_u32_e64 s[0:1], 0, v40
	v_and_b32_e32 v38, 7, v38
	v_lshlrev_b32_e32 v4, 8, v4
	v_cndmask_b32_e64 v39, v40, v39, s[0:1]
	v_cndmask_b32_e64 v37, v37, v38, s[0:1]
	v_lshl_add_u32 v38, v39, 10, v22
	v_and_or_b32 v4, v4, s52, v38
	v_lshl_or_b32 v4, v37, 7, v4
	v_cvt_f32_f16_e32 v37, v4
.LBB300_70:                             ;   in Loop: Header=BB300_10 Depth=1
	s_or_b64 exec, exec, s[40:41]
	v_lshrrev_b32_e32 v4, 24, v12
	v_cmp_lt_i16_e64 s[0:1], s50, v4
	s_mov_b64 s[40:41], 0
                                        ; implicit-def: $sgpr53
	s_and_saveexec_b64 s[42:43], s[0:1]
	s_xor_b64 s[42:43], exec, s[42:43]
	s_cbranch_execnz .LBB300_136
; %bb.71:                               ;   in Loop: Header=BB300_10 Depth=1
	s_or_saveexec_b64 s[42:43], s[42:43]
	v_mov_b32_e32 v38, s53
	s_xor_b64 exec, exec, s[42:43]
	s_cbranch_execnz .LBB300_139
.LBB300_72:                             ;   in Loop: Header=BB300_10 Depth=1
	s_or_b64 exec, exec, s[42:43]
	s_and_saveexec_b64 s[42:43], s[40:41]
	s_cbranch_execz .LBB300_74
.LBB300_73:                             ;   in Loop: Header=BB300_10 Depth=1
	v_bfe_u32 v40, v12, 24, 3
	v_ffbh_u32_e32 v38, v40
	v_min_u32_e32 v41, 32, v38
	v_subrev_u32_e32 v38, 28, v41
	v_bfe_u32 v12, v12, 27, 4
	v_lshlrev_b64 v[38:39], v38, v[4:5]
	v_sub_u32_e32 v39, 29, v41
	v_cmp_eq_u32_e64 s[0:1], 0, v12
	v_and_b32_e32 v38, 7, v38
	v_lshlrev_b32_e32 v4, 8, v4
	v_cndmask_b32_e64 v12, v12, v39, s[0:1]
	v_lshl_add_u32 v12, v12, 10, v22
	v_cndmask_b32_e64 v38, v40, v38, s[0:1]
	v_and_or_b32 v4, v4, s52, v12
	v_lshl_or_b32 v4, v38, 7, v4
	v_cvt_f32_f16_e32 v38, v4
.LBB300_74:                             ;   in Loop: Header=BB300_10 Depth=1
	s_or_b64 exec, exec, s[42:43]
	v_fma_mixlo_f16 v4, v24, v34, 0
	v_fma_mixlo_f16 v34, v24, v35, 0
	;; [unrolled: 1-line block ×5, first 2 shown]
	ds_read_b64 v[30:31], v19
	v_fma_mixlo_f16 v26, v24, v26, 0
	v_fma_mixlo_f16 v25, v24, v25, 0
	v_and_b32_e32 v25, 0xffff, v25
	v_and_b32_e32 v26, 0xffff, v26
	s_waitcnt lgkmcnt(0)
	v_lshrrev_b32_e32 v39, 16, v30
	v_and_b32_e32 v30, 0xffff, v30
	v_fma_mixlo_f16 v27, v24, v27, 0
	;;#ASMSTART
	v_cvt_f32_f16 v30, v30;
	;;#ASMEND
	;;#ASMSTART
	v_cvt_f32_f16 v39, v39;
	;;#ASMEND
	;; [unrolled: 3-line block ×4, first 2 shown]
	v_lshrrev_b32_e32 v26, 16, v31
	v_and_b32_e32 v31, 0xffff, v31
	v_fma_mixlo_f16 v28, v24, v28, 0
	;;#ASMSTART
	v_cvt_f32_f16 v31, v31;
	;;#ASMEND
	;;#ASMSTART
	v_cvt_f32_f16 v41, v26;
	;;#ASMEND
	v_and_b32_e32 v26, 0xffff, v27
	;;#ASMSTART
	v_cvt_f32_f16 v42, v26;
	;;#ASMEND
	v_and_b32_e32 v26, 0xffff, v28
	;;#ASMSTART
	v_cvt_f32_f16 v28, v26;
	;;#ASMEND
	ds_read_b64 v[26:27], v19 offset:8
	v_fma_mixlo_f16 v29, v24, v29, 0
	v_fma_mixlo_f16 v43, v24, v13, 0
	v_and_b32_e32 v29, 0xffff, v29
	v_and_b32_e32 v12, 0xffff, v12
	s_waitcnt lgkmcnt(0)
	v_lshrrev_b32_e32 v13, 16, v26
	v_and_b32_e32 v26, 0xffff, v26
	;;#ASMSTART
	v_cvt_f32_f16 v26, v26;
	;;#ASMEND
	;;#ASMSTART
	v_cvt_f32_f16 v13, v13;
	;;#ASMEND
	;; [unrolled: 3-line block ×4, first 2 shown]
	v_fma_mixlo_f16 v32, v24, v32, 0
	v_mul_f32_e32 v26, v26, v29
	v_fmac_f32_e32 v26, v30, v25
	v_mul_f32_e32 v25, v13, v12
	v_lshrrev_b32_e32 v12, 16, v27
	v_and_b32_e32 v13, 0xffff, v27
	;;#ASMSTART
	v_cvt_f32_f16 v27, v13;
	;;#ASMEND
	;;#ASMSTART
	v_cvt_f32_f16 v29, v12;
	;;#ASMEND
	v_and_b32_e32 v12, 0xffff, v36
	;;#ASMSTART
	v_cvt_f32_f16 v30, v12;
	;;#ASMEND
	v_and_b32_e32 v12, 0xffff, v32
	;;#ASMSTART
	v_cvt_f32_f16 v32, v12;
	;;#ASMEND
	ds_read_b64 v[12:13], v19 offset:16
	v_mul_f32_e32 v29, v29, v32
	v_fma_mixlo_f16 v33, v24, v33, 0
	v_fmac_f32_e32 v29, v41, v28
	v_mul_f32_e32 v27, v27, v30
	s_waitcnt lgkmcnt(0)
	v_lshrrev_b32_e32 v28, 16, v12
	v_and_b32_e32 v12, 0xffff, v12
	;;#ASMSTART
	v_cvt_f32_f16 v30, v12;
	;;#ASMEND
	v_and_b32_e32 v12, 0xffff, v33
	v_fmac_f32_e32 v27, v31, v42
	;;#ASMSTART
	v_cvt_f32_f16 v28, v28;
	;;#ASMEND
	;;#ASMSTART
	v_cvt_f32_f16 v31, v12;
	;;#ASMEND
	v_and_b32_e32 v4, 0xffff, v4
	v_lshrrev_b32_e32 v12, 16, v13
	;;#ASMSTART
	v_cvt_f32_f16 v4, v4;
	;;#ASMEND
	v_and_b32_e32 v13, 0xffff, v13
	;;#ASMSTART
	v_cvt_f32_f16 v32, v13;
	;;#ASMEND
	;;#ASMSTART
	v_cvt_f32_f16 v33, v12;
	;;#ASMEND
	v_and_b32_e32 v12, 0xffff, v34
	;;#ASMSTART
	v_cvt_f32_f16 v34, v12;
	;;#ASMEND
	v_and_b32_e32 v12, 0xffff, v35
	;;#ASMSTART
	v_cvt_f32_f16 v35, v12;
	;;#ASMEND
	ds_read_b64 v[12:13], v19 offset:24
	v_fmac_f32_e32 v25, v39, v40
	v_fma_mixlo_f16 v14, v24, v14, 0
	v_fmac_f32_e32 v25, v28, v4
	v_fmac_f32_e32 v26, v30, v31
	s_waitcnt lgkmcnt(0)
	v_lshrrev_b32_e32 v4, 16, v12
	v_and_b32_e32 v12, 0xffff, v12
	;;#ASMSTART
	v_cvt_f32_f16 v12, v12;
	;;#ASMEND
	;;#ASMSTART
	v_cvt_f32_f16 v4, v4;
	;;#ASMEND
	v_and_b32_e32 v28, 0xffff, v43
	v_and_b32_e32 v14, 0xffff, v14
	v_fma_mixlo_f16 v37, v24, v37, 0
	v_fma_mixlo_f16 v24, v24, v38, 0
	;;#ASMSTART
	v_cvt_f32_f16 v28, v28;
	;;#ASMEND
	;;#ASMSTART
	v_cvt_f32_f16 v14, v14;
	;;#ASMEND
	v_fmac_f32_e32 v27, v32, v34
	v_fmac_f32_e32 v26, v12, v28
	;; [unrolled: 1-line block ×3, first 2 shown]
	v_lshrrev_b32_e32 v4, 16, v13
	v_and_b32_e32 v12, 0xffff, v13
	v_fmac_f32_e32 v29, v33, v35
	;;#ASMSTART
	v_cvt_f32_f16 v12, v12;
	;;#ASMEND
	;;#ASMSTART
	v_cvt_f32_f16 v4, v4;
	;;#ASMEND
	v_and_b32_e32 v13, 0xffff, v37
	v_and_b32_e32 v14, 0xffff, v24
	;;#ASMSTART
	v_cvt_f32_f16 v13, v13;
	;;#ASMEND
	;;#ASMSTART
	v_cvt_f32_f16 v14, v14;
	;;#ASMEND
	s_nop 0
	v_fmac_f32_e32 v27, v12, v13
	v_fmac_f32_e32 v29, v4, v14
	v_add_f32_e32 v4, v26, v25
	v_add_f32_e32 v4, v4, v27
	v_add_f32_e32 v12, v29, v4
	v_and_b32_e32 v4, 64, v17
	v_xor_b32_e32 v13, 1, v17
	v_add_u32_e32 v4, 64, v4
	v_cmp_lt_i32_e64 s[0:1], v13, v4
	s_nop 1
	v_cndmask_b32_e64 v13, v17, v13, s[0:1]
	v_lshlrev_b32_e32 v13, 2, v13
	ds_bpermute_b32 v13, v13, v12
	s_and_saveexec_b64 s[40:41], vcc
	s_cbranch_execz .LBB300_9
; %bb.75:                               ;   in Loop: Header=BB300_10 Depth=1
	v_add_u32_e32 v14, s49, v20
	v_cvt_f32_i32_e32 v14, v14
	s_waitcnt lgkmcnt(0)
	v_add_f32_e32 v12, v12, v13
	v_cmp_gt_i32_e64 s[0:1], s29, v20
	v_max_f32_e32 v13, v18, v18
	v_mul_f32_e32 v14, s10, v14
	v_cndmask_b32_e64 v14, 0, v14, s[6:7]
	v_fmac_f32_e32 v14, s11, v12
	v_cndmask_b32_e64 v12, 0, v14, s[0:1]
	ds_write_b32 v21, v12
	v_max_f32_e32 v12, v13, v14
	v_cndmask_b32_e64 v18, v18, v12, s[0:1]
	s_branch .LBB300_9
.LBB300_76:                             ;   in Loop: Header=BB300_10 Depth=1
	v_cmp_eq_u16_sdwa s[54:55], v14, s51 src0_sel:BYTE_0 src1_sel:DWORD
	s_mov_b64 s[0:1], -1
                                        ; implicit-def: $sgpr44
	s_and_saveexec_b64 s[42:43], s[54:55]
; %bb.77:                               ;   in Loop: Header=BB300_10 Depth=1
	s_mov_b32 s44, 0x7fc02000
	s_xor_b64 s[0:1], exec, -1
; %bb.78:                               ;   in Loop: Header=BB300_10 Depth=1
	s_or_b64 exec, exec, s[42:43]
	s_and_b64 s[0:1], s[0:1], exec
	s_or_saveexec_b64 s[40:41], s[40:41]
	v_mov_b32_e32 v25, s44
	s_xor_b64 exec, exec, s[40:41]
	s_cbranch_execz .LBB300_12
.LBB300_79:                             ;   in Loop: Header=BB300_10 Depth=1
	v_cmp_ne_u16_sdwa s[42:43], v14, v5 src0_sel:BYTE_0 src1_sel:DWORD
	s_andn2_b64 s[0:1], s[0:1], exec
	s_and_b64 s[42:43], s[42:43], exec
	v_mov_b32_e32 v25, 0
	s_or_b64 s[0:1], s[0:1], s[42:43]
	s_or_b64 exec, exec, s[40:41]
	s_and_saveexec_b64 s[40:41], s[0:1]
	s_cbranch_execnz .LBB300_13
	s_branch .LBB300_14
.LBB300_80:                             ;   in Loop: Header=BB300_10 Depth=1
	v_cmp_eq_u16_e64 s[0:1], s51, v4
	s_mov_b64 s[40:41], -1
                                        ; implicit-def: $sgpr53
	s_and_saveexec_b64 s[44:45], s[0:1]
; %bb.81:                               ;   in Loop: Header=BB300_10 Depth=1
	s_mov_b32 s53, 0x7fc02000
	s_xor_b64 s[40:41], exec, -1
; %bb.82:                               ;   in Loop: Header=BB300_10 Depth=1
	s_or_b64 exec, exec, s[44:45]
	s_and_b64 s[40:41], s[40:41], exec
	s_or_saveexec_b64 s[42:43], s[42:43]
	v_mov_b32_e32 v26, s53
	s_xor_b64 exec, exec, s[42:43]
	s_cbranch_execz .LBB300_16
.LBB300_83:                             ;   in Loop: Header=BB300_10 Depth=1
	v_cmp_ne_u16_e64 s[0:1], 0, v4
	s_andn2_b64 s[40:41], s[40:41], exec
	s_and_b64 s[0:1], s[0:1], exec
	v_mov_b32_e32 v26, 0
	s_or_b64 s[40:41], s[40:41], s[0:1]
	s_or_b64 exec, exec, s[42:43]
	s_and_saveexec_b64 s[42:43], s[40:41]
	s_cbranch_execnz .LBB300_17
	s_branch .LBB300_18
.LBB300_84:                             ;   in Loop: Header=BB300_10 Depth=1
	v_cmp_eq_u16_sdwa s[54:55], v4, s51 src0_sel:BYTE_0 src1_sel:DWORD
	s_mov_b64 s[0:1], -1
                                        ; implicit-def: $sgpr44
	s_and_saveexec_b64 s[42:43], s[54:55]
; %bb.85:                               ;   in Loop: Header=BB300_10 Depth=1
	s_mov_b32 s44, 0x7fc02000
	s_xor_b64 s[0:1], exec, -1
; %bb.86:                               ;   in Loop: Header=BB300_10 Depth=1
	s_or_b64 exec, exec, s[42:43]
	s_and_b64 s[0:1], s[0:1], exec
	s_or_saveexec_b64 s[40:41], s[40:41]
	v_mov_b32_e32 v27, s44
	s_xor_b64 exec, exec, s[40:41]
	s_cbranch_execz .LBB300_20
.LBB300_87:                             ;   in Loop: Header=BB300_10 Depth=1
	v_cmp_ne_u16_sdwa s[42:43], v4, v5 src0_sel:BYTE_0 src1_sel:DWORD
	s_andn2_b64 s[0:1], s[0:1], exec
	s_and_b64 s[42:43], s[42:43], exec
	v_mov_b32_e32 v27, 0
	s_or_b64 s[0:1], s[0:1], s[42:43]
	s_or_b64 exec, exec, s[40:41]
	s_and_saveexec_b64 s[40:41], s[0:1]
	s_cbranch_execnz .LBB300_21
	s_branch .LBB300_22
.LBB300_88:                             ;   in Loop: Header=BB300_10 Depth=1
	v_cmp_eq_u16_e64 s[0:1], s51, v4
	s_mov_b64 s[40:41], -1
                                        ; implicit-def: $sgpr53
	s_and_saveexec_b64 s[44:45], s[0:1]
; %bb.89:                               ;   in Loop: Header=BB300_10 Depth=1
	s_mov_b32 s53, 0x7fc02000
	s_xor_b64 s[40:41], exec, -1
; %bb.90:                               ;   in Loop: Header=BB300_10 Depth=1
	s_or_b64 exec, exec, s[44:45]
	s_and_b64 s[40:41], s[40:41], exec
	s_or_saveexec_b64 s[42:43], s[42:43]
	v_mov_b32_e32 v28, s53
	s_xor_b64 exec, exec, s[42:43]
	s_cbranch_execz .LBB300_24
.LBB300_91:                             ;   in Loop: Header=BB300_10 Depth=1
	v_cmp_ne_u16_e64 s[0:1], 0, v4
	s_andn2_b64 s[40:41], s[40:41], exec
	s_and_b64 s[0:1], s[0:1], exec
	v_mov_b32_e32 v28, 0
	s_or_b64 s[40:41], s[40:41], s[0:1]
	s_or_b64 exec, exec, s[42:43]
	s_and_saveexec_b64 s[42:43], s[40:41]
	s_cbranch_execnz .LBB300_25
	s_branch .LBB300_26
.LBB300_92:                             ;   in Loop: Header=BB300_10 Depth=1
	v_cmp_eq_u16_sdwa s[54:55], v14, s51 src0_sel:BYTE_0 src1_sel:DWORD
	s_mov_b64 s[0:1], -1
                                        ; implicit-def: $sgpr44
	s_and_saveexec_b64 s[42:43], s[54:55]
; %bb.93:                               ;   in Loop: Header=BB300_10 Depth=1
	s_mov_b32 s44, 0x7fc02000
	s_xor_b64 s[0:1], exec, -1
; %bb.94:                               ;   in Loop: Header=BB300_10 Depth=1
	s_or_b64 exec, exec, s[42:43]
	s_and_b64 s[0:1], s[0:1], exec
	s_or_saveexec_b64 s[40:41], s[40:41]
	v_mov_b32_e32 v29, s44
	s_xor_b64 exec, exec, s[40:41]
	s_cbranch_execz .LBB300_28
.LBB300_95:                             ;   in Loop: Header=BB300_10 Depth=1
	v_cmp_ne_u16_sdwa s[42:43], v14, v5 src0_sel:BYTE_0 src1_sel:DWORD
	s_andn2_b64 s[0:1], s[0:1], exec
	s_and_b64 s[42:43], s[42:43], exec
	v_mov_b32_e32 v29, 0
	s_or_b64 s[0:1], s[0:1], s[42:43]
	s_or_b64 exec, exec, s[40:41]
	s_and_saveexec_b64 s[40:41], s[0:1]
	s_cbranch_execnz .LBB300_29
	s_branch .LBB300_30
.LBB300_96:                             ;   in Loop: Header=BB300_10 Depth=1
	v_cmp_eq_u16_e64 s[0:1], s51, v4
	s_mov_b64 s[40:41], -1
                                        ; implicit-def: $sgpr53
	s_and_saveexec_b64 s[44:45], s[0:1]
; %bb.97:                               ;   in Loop: Header=BB300_10 Depth=1
	s_mov_b32 s53, 0x7fc02000
	s_xor_b64 s[40:41], exec, -1
; %bb.98:                               ;   in Loop: Header=BB300_10 Depth=1
	s_or_b64 exec, exec, s[44:45]
	s_and_b64 s[40:41], s[40:41], exec
	s_or_saveexec_b64 s[42:43], s[42:43]
	v_mov_b32_e32 v30, s53
	s_xor_b64 exec, exec, s[42:43]
	s_cbranch_execz .LBB300_32
.LBB300_99:                             ;   in Loop: Header=BB300_10 Depth=1
	v_cmp_ne_u16_e64 s[0:1], 0, v4
	s_andn2_b64 s[40:41], s[40:41], exec
	s_and_b64 s[0:1], s[0:1], exec
	v_mov_b32_e32 v30, 0
	s_or_b64 s[40:41], s[40:41], s[0:1]
	s_or_b64 exec, exec, s[42:43]
	s_and_saveexec_b64 s[42:43], s[40:41]
	s_cbranch_execnz .LBB300_33
	s_branch .LBB300_34
.LBB300_100:                            ;   in Loop: Header=BB300_10 Depth=1
	v_cmp_eq_u16_sdwa s[54:55], v4, s51 src0_sel:BYTE_0 src1_sel:DWORD
	s_mov_b64 s[0:1], -1
                                        ; implicit-def: $sgpr44
	s_and_saveexec_b64 s[42:43], s[54:55]
; %bb.101:                              ;   in Loop: Header=BB300_10 Depth=1
	s_mov_b32 s44, 0x7fc02000
	s_xor_b64 s[0:1], exec, -1
; %bb.102:                              ;   in Loop: Header=BB300_10 Depth=1
	s_or_b64 exec, exec, s[42:43]
	s_and_b64 s[0:1], s[0:1], exec
	s_or_saveexec_b64 s[40:41], s[40:41]
	v_mov_b32_e32 v31, s44
	s_xor_b64 exec, exec, s[40:41]
	s_cbranch_execz .LBB300_36
.LBB300_103:                            ;   in Loop: Header=BB300_10 Depth=1
	v_cmp_ne_u16_sdwa s[42:43], v4, v5 src0_sel:BYTE_0 src1_sel:DWORD
	s_andn2_b64 s[0:1], s[0:1], exec
	s_and_b64 s[42:43], s[42:43], exec
	v_mov_b32_e32 v31, 0
	s_or_b64 s[0:1], s[0:1], s[42:43]
	s_or_b64 exec, exec, s[40:41]
	s_and_saveexec_b64 s[40:41], s[0:1]
	s_cbranch_execnz .LBB300_37
	s_branch .LBB300_38
.LBB300_104:                            ;   in Loop: Header=BB300_10 Depth=1
	v_cmp_eq_u16_e64 s[0:1], s51, v4
	s_mov_b64 s[40:41], -1
                                        ; implicit-def: $sgpr53
	s_and_saveexec_b64 s[44:45], s[0:1]
; %bb.105:                              ;   in Loop: Header=BB300_10 Depth=1
	s_mov_b32 s53, 0x7fc02000
	s_xor_b64 s[40:41], exec, -1
; %bb.106:                              ;   in Loop: Header=BB300_10 Depth=1
	s_or_b64 exec, exec, s[44:45]
	s_and_b64 s[40:41], s[40:41], exec
	s_or_saveexec_b64 s[42:43], s[42:43]
	v_mov_b32_e32 v32, s53
	s_xor_b64 exec, exec, s[42:43]
	s_cbranch_execz .LBB300_40
.LBB300_107:                            ;   in Loop: Header=BB300_10 Depth=1
	v_cmp_ne_u16_e64 s[0:1], 0, v4
	s_andn2_b64 s[40:41], s[40:41], exec
	s_and_b64 s[0:1], s[0:1], exec
	v_mov_b32_e32 v32, 0
	s_or_b64 s[40:41], s[40:41], s[0:1]
	s_or_b64 exec, exec, s[42:43]
	s_and_saveexec_b64 s[42:43], s[40:41]
	s_cbranch_execnz .LBB300_41
	s_branch .LBB300_42
.LBB300_108:                            ;   in Loop: Header=BB300_10 Depth=1
	v_cmp_eq_u16_sdwa s[54:55], v14, s51 src0_sel:BYTE_0 src1_sel:DWORD
	s_mov_b64 s[0:1], -1
                                        ; implicit-def: $sgpr44
	s_and_saveexec_b64 s[42:43], s[54:55]
; %bb.109:                              ;   in Loop: Header=BB300_10 Depth=1
	s_mov_b32 s44, 0x7fc02000
	s_xor_b64 s[0:1], exec, -1
; %bb.110:                              ;   in Loop: Header=BB300_10 Depth=1
	s_or_b64 exec, exec, s[42:43]
	s_and_b64 s[0:1], s[0:1], exec
	s_or_saveexec_b64 s[40:41], s[40:41]
	v_mov_b32_e32 v33, s44
	s_xor_b64 exec, exec, s[40:41]
	s_cbranch_execz .LBB300_44
.LBB300_111:                            ;   in Loop: Header=BB300_10 Depth=1
	v_cmp_ne_u16_sdwa s[42:43], v14, v5 src0_sel:BYTE_0 src1_sel:DWORD
	s_andn2_b64 s[0:1], s[0:1], exec
	s_and_b64 s[42:43], s[42:43], exec
	v_mov_b32_e32 v33, 0
	s_or_b64 s[0:1], s[0:1], s[42:43]
	s_or_b64 exec, exec, s[40:41]
	s_and_saveexec_b64 s[40:41], s[0:1]
	s_cbranch_execnz .LBB300_45
	s_branch .LBB300_46
.LBB300_112:                            ;   in Loop: Header=BB300_10 Depth=1
	v_cmp_eq_u16_e64 s[0:1], s51, v4
	s_mov_b64 s[40:41], -1
                                        ; implicit-def: $sgpr53
	s_and_saveexec_b64 s[44:45], s[0:1]
; %bb.113:                              ;   in Loop: Header=BB300_10 Depth=1
	s_mov_b32 s53, 0x7fc02000
	s_xor_b64 s[40:41], exec, -1
; %bb.114:                              ;   in Loop: Header=BB300_10 Depth=1
	s_or_b64 exec, exec, s[44:45]
	s_and_b64 s[40:41], s[40:41], exec
	s_or_saveexec_b64 s[42:43], s[42:43]
	v_mov_b32_e32 v34, s53
	s_xor_b64 exec, exec, s[42:43]
	s_cbranch_execz .LBB300_48
.LBB300_115:                            ;   in Loop: Header=BB300_10 Depth=1
	v_cmp_ne_u16_e64 s[0:1], 0, v4
	s_andn2_b64 s[40:41], s[40:41], exec
	s_and_b64 s[0:1], s[0:1], exec
	v_mov_b32_e32 v34, 0
	s_or_b64 s[40:41], s[40:41], s[0:1]
	s_or_b64 exec, exec, s[42:43]
	s_and_saveexec_b64 s[42:43], s[40:41]
	s_cbranch_execnz .LBB300_49
	s_branch .LBB300_50
.LBB300_116:                            ;   in Loop: Header=BB300_10 Depth=1
	v_cmp_eq_u16_sdwa s[54:55], v4, s51 src0_sel:BYTE_0 src1_sel:DWORD
	s_mov_b64 s[0:1], -1
                                        ; implicit-def: $sgpr44
	s_and_saveexec_b64 s[42:43], s[54:55]
; %bb.117:                              ;   in Loop: Header=BB300_10 Depth=1
	s_mov_b32 s44, 0x7fc02000
	s_xor_b64 s[0:1], exec, -1
; %bb.118:                              ;   in Loop: Header=BB300_10 Depth=1
	s_or_b64 exec, exec, s[42:43]
	s_and_b64 s[0:1], s[0:1], exec
	s_or_saveexec_b64 s[40:41], s[40:41]
	v_mov_b32_e32 v35, s44
	s_xor_b64 exec, exec, s[40:41]
	s_cbranch_execz .LBB300_52
.LBB300_119:                            ;   in Loop: Header=BB300_10 Depth=1
	v_cmp_ne_u16_sdwa s[42:43], v4, v5 src0_sel:BYTE_0 src1_sel:DWORD
	s_andn2_b64 s[0:1], s[0:1], exec
	s_and_b64 s[42:43], s[42:43], exec
	v_mov_b32_e32 v35, 0
	s_or_b64 s[0:1], s[0:1], s[42:43]
	s_or_b64 exec, exec, s[40:41]
	s_and_saveexec_b64 s[40:41], s[0:1]
	s_cbranch_execnz .LBB300_53
	s_branch .LBB300_54
.LBB300_120:                            ;   in Loop: Header=BB300_10 Depth=1
	v_cmp_eq_u16_e64 s[0:1], s51, v4
	s_mov_b64 s[40:41], -1
                                        ; implicit-def: $sgpr53
	s_and_saveexec_b64 s[44:45], s[0:1]
; %bb.121:                              ;   in Loop: Header=BB300_10 Depth=1
	s_mov_b32 s53, 0x7fc02000
	s_xor_b64 s[40:41], exec, -1
; %bb.122:                              ;   in Loop: Header=BB300_10 Depth=1
	s_or_b64 exec, exec, s[44:45]
	s_and_b64 s[40:41], s[40:41], exec
	s_or_saveexec_b64 s[42:43], s[42:43]
	v_mov_b32_e32 v36, s53
	s_xor_b64 exec, exec, s[42:43]
	s_cbranch_execz .LBB300_56
.LBB300_123:                            ;   in Loop: Header=BB300_10 Depth=1
	v_cmp_ne_u16_e64 s[0:1], 0, v4
	s_andn2_b64 s[40:41], s[40:41], exec
	s_and_b64 s[0:1], s[0:1], exec
	v_mov_b32_e32 v36, 0
	s_or_b64 s[40:41], s[40:41], s[0:1]
	s_or_b64 exec, exec, s[42:43]
	s_and_saveexec_b64 s[42:43], s[40:41]
	s_cbranch_execnz .LBB300_57
	s_branch .LBB300_58
.LBB300_124:                            ;   in Loop: Header=BB300_10 Depth=1
	v_cmp_eq_u16_sdwa s[54:55], v12, s51 src0_sel:BYTE_0 src1_sel:DWORD
	s_mov_b64 s[0:1], -1
                                        ; implicit-def: $sgpr44
	s_and_saveexec_b64 s[42:43], s[54:55]
; %bb.125:                              ;   in Loop: Header=BB300_10 Depth=1
	s_mov_b32 s44, 0x7fc02000
	s_xor_b64 s[0:1], exec, -1
; %bb.126:                              ;   in Loop: Header=BB300_10 Depth=1
	s_or_b64 exec, exec, s[42:43]
	s_and_b64 s[0:1], s[0:1], exec
	s_or_saveexec_b64 s[40:41], s[40:41]
	v_mov_b32_e32 v13, s44
	s_xor_b64 exec, exec, s[40:41]
	s_cbranch_execz .LBB300_60
.LBB300_127:                            ;   in Loop: Header=BB300_10 Depth=1
	v_cmp_ne_u16_sdwa s[42:43], v12, v5 src0_sel:BYTE_0 src1_sel:DWORD
	s_andn2_b64 s[0:1], s[0:1], exec
	s_and_b64 s[42:43], s[42:43], exec
	v_mov_b32_e32 v13, 0
	s_or_b64 s[0:1], s[0:1], s[42:43]
	s_or_b64 exec, exec, s[40:41]
	s_and_saveexec_b64 s[40:41], s[0:1]
	s_cbranch_execnz .LBB300_61
	s_branch .LBB300_62
.LBB300_128:                            ;   in Loop: Header=BB300_10 Depth=1
	v_cmp_eq_u16_e64 s[0:1], s51, v4
	s_mov_b64 s[40:41], -1
                                        ; implicit-def: $sgpr53
	s_and_saveexec_b64 s[44:45], s[0:1]
; %bb.129:                              ;   in Loop: Header=BB300_10 Depth=1
	s_mov_b32 s53, 0x7fc02000
	s_xor_b64 s[40:41], exec, -1
; %bb.130:                              ;   in Loop: Header=BB300_10 Depth=1
	s_or_b64 exec, exec, s[44:45]
	s_and_b64 s[40:41], s[40:41], exec
	s_or_saveexec_b64 s[42:43], s[42:43]
	v_mov_b32_e32 v14, s53
	s_xor_b64 exec, exec, s[42:43]
	s_cbranch_execz .LBB300_64
.LBB300_131:                            ;   in Loop: Header=BB300_10 Depth=1
	v_cmp_ne_u16_e64 s[0:1], 0, v4
	s_andn2_b64 s[40:41], s[40:41], exec
	s_and_b64 s[0:1], s[0:1], exec
	v_mov_b32_e32 v14, 0
	s_or_b64 s[40:41], s[40:41], s[0:1]
	s_or_b64 exec, exec, s[42:43]
	s_and_saveexec_b64 s[42:43], s[40:41]
	s_cbranch_execnz .LBB300_65
	s_branch .LBB300_66
.LBB300_132:                            ;   in Loop: Header=BB300_10 Depth=1
	v_cmp_eq_u16_sdwa s[54:55], v4, s51 src0_sel:BYTE_0 src1_sel:DWORD
	s_mov_b64 s[0:1], -1
                                        ; implicit-def: $sgpr44
	s_and_saveexec_b64 s[42:43], s[54:55]
; %bb.133:                              ;   in Loop: Header=BB300_10 Depth=1
	s_mov_b32 s44, 0x7fc02000
	s_xor_b64 s[0:1], exec, -1
; %bb.134:                              ;   in Loop: Header=BB300_10 Depth=1
	s_or_b64 exec, exec, s[42:43]
	s_and_b64 s[0:1], s[0:1], exec
	s_or_saveexec_b64 s[40:41], s[40:41]
	v_mov_b32_e32 v37, s44
	s_xor_b64 exec, exec, s[40:41]
	s_cbranch_execz .LBB300_68
.LBB300_135:                            ;   in Loop: Header=BB300_10 Depth=1
	v_cmp_ne_u16_sdwa s[42:43], v4, v5 src0_sel:BYTE_0 src1_sel:DWORD
	s_andn2_b64 s[0:1], s[0:1], exec
	s_and_b64 s[42:43], s[42:43], exec
	v_mov_b32_e32 v37, 0
	s_or_b64 s[0:1], s[0:1], s[42:43]
	s_or_b64 exec, exec, s[40:41]
	s_and_saveexec_b64 s[40:41], s[0:1]
	s_cbranch_execnz .LBB300_69
	s_branch .LBB300_70
.LBB300_136:                            ;   in Loop: Header=BB300_10 Depth=1
	v_cmp_eq_u16_e64 s[0:1], s51, v4
	s_mov_b64 s[40:41], -1
                                        ; implicit-def: $sgpr53
	s_and_saveexec_b64 s[44:45], s[0:1]
; %bb.137:                              ;   in Loop: Header=BB300_10 Depth=1
	s_mov_b32 s53, 0x7fc02000
	s_xor_b64 s[40:41], exec, -1
; %bb.138:                              ;   in Loop: Header=BB300_10 Depth=1
	s_or_b64 exec, exec, s[44:45]
	s_and_b64 s[40:41], s[40:41], exec
	s_or_saveexec_b64 s[42:43], s[42:43]
	v_mov_b32_e32 v38, s53
	s_xor_b64 exec, exec, s[42:43]
	s_cbranch_execz .LBB300_72
.LBB300_139:                            ;   in Loop: Header=BB300_10 Depth=1
	v_cmp_ne_u16_e64 s[0:1], 0, v4
	s_andn2_b64 s[40:41], s[40:41], exec
	s_and_b64 s[0:1], s[0:1], exec
	v_mov_b32_e32 v38, 0
	s_or_b64 s[40:41], s[40:41], s[0:1]
	s_or_b64 exec, exec, s[42:43]
	s_and_saveexec_b64 s[42:43], s[40:41]
	s_cbranch_execnz .LBB300_73
	s_branch .LBB300_74
.LBB300_140:
	s_or_b64 exec, exec, s[18:19]
.LBB300_141:
	s_or_b64 exec, exec, s[38:39]
	v_xor_b32_e32 v5, 32, v17
	v_cmp_lt_i32_e32 vcc, v5, v4
	v_xor_b32_e32 v8, 16, v17
	v_max_f32_e32 v7, v18, v18
	v_cndmask_b32_e32 v5, v17, v5, vcc
	v_lshlrev_b32_e32 v5, 2, v5
	ds_bpermute_b32 v6, v5, v18
	v_cmp_lt_i32_e32 vcc, v8, v4
	v_xor_b32_e32 v9, 8, v17
	v_xor_b32_e32 v10, 4, v17
	;; [unrolled: 1-line block ×3, first 2 shown]
	s_waitcnt lgkmcnt(0)
	v_max_f32_e32 v6, v6, v6
	v_max_f32_e32 v6, v7, v6
	v_cndmask_b32_e32 v7, v17, v8, vcc
	v_lshlrev_b32_e32 v7, 2, v7
	ds_bpermute_b32 v8, v7, v6
	v_cmp_lt_i32_e32 vcc, v9, v4
	v_and_b32_e32 v22, 63, v0
	s_waitcnt lgkmcnt(0)
	v_max_f32_e32 v8, v8, v8
	v_max_f32_e32 v6, v6, v8
	v_cndmask_b32_e32 v8, v17, v9, vcc
	v_lshlrev_b32_e32 v8, 2, v8
	ds_bpermute_b32 v9, v8, v6
	v_cmp_lt_i32_e32 vcc, v10, v4
	s_waitcnt lgkmcnt(0)
	v_max_f32_e32 v9, v9, v9
	v_max_f32_e32 v6, v6, v9
	v_cndmask_b32_e32 v9, v17, v10, vcc
	v_lshlrev_b32_e32 v9, 2, v9
	ds_bpermute_b32 v10, v9, v6
	v_cmp_lt_i32_e32 vcc, v11, v4
	s_waitcnt lgkmcnt(0)
	v_max_f32_e32 v10, v10, v10
	v_max_f32_e32 v6, v6, v10
	v_cndmask_b32_e32 v10, v17, v11, vcc
	v_lshlrev_b32_e32 v23, 2, v10
	ds_bpermute_b32 v11, v23, v6
	v_cmp_eq_u32_e32 vcc, 0, v22
	v_lshlrev_b32_e32 v10, 2, v15
	s_and_saveexec_b64 s[0:1], vcc
	s_cbranch_execz .LBB300_143
; %bb.142:
	s_waitcnt lgkmcnt(0)
	v_max_f32_e32 v11, v11, v11
	v_max_f32_e32 v6, v6, v6
	;; [unrolled: 1-line block ×3, first 2 shown]
	ds_write_b32 v10, v6 offset:64
.LBB300_143:
	s_or_b64 exec, exec, s[0:1]
	v_cmp_gt_u32_e64 s[0:1], 2, v22
	v_mov_b32_e32 v6, 0xff7fffff
	s_waitcnt lgkmcnt(0)
	v_lshlrev_b32_e32 v11, 2, v22
	s_barrier
	s_and_saveexec_b64 s[6:7], s[0:1]
	s_cbranch_execz .LBB300_145
; %bb.144:
	ds_read_b32 v6, v11 offset:64
.LBB300_145:
	s_or_b64 exec, exec, s[6:7]
	v_xor_b32_e32 v12, 1, v17
	v_cmp_lt_i32_e64 s[6:7], v12, v4
	s_sub_i32 s3, s33, s3
	s_lshl_b32 s3, s3, 5
	v_cndmask_b32_e64 v4, v17, v12, s[6:7]
	v_lshlrev_b32_e32 v24, 2, v4
	s_waitcnt lgkmcnt(0)
	ds_bpermute_b32 v4, v24, v6
	v_max_f32_e32 v6, v6, v6
	s_add_i32 s3, s3, s46
	s_min_i32 s38, s3, s29
	s_sub_i32 s3, s38, s46
	s_waitcnt lgkmcnt(0)
	v_max_f32_e32 v4, v4, v4
	v_max_f32_e32 v6, v6, v4
	v_lshlrev_b32_e32 v4, 2, v17
	v_and_b32_e32 v4, 0xffffff00, v4
	ds_bpermute_b32 v6, v4, v6
	v_cmp_gt_i32_e64 s[6:7], s3, v0
	v_mov_b32_e32 v12, 0
	s_and_saveexec_b64 s[12:13], s[6:7]
	s_cbranch_execz .LBB300_149
; %bb.146:
	v_mov_b32_e32 v12, 0x50
	v_lshl_add_u32 v13, v0, 2, v12
	s_mov_b64 s[18:19], 0
	v_mov_b32_e32 v12, 0
	v_mov_b32_e32 v14, v0
.LBB300_147:                            ; =>This Inner Loop Header: Depth=1
	ds_read_b32 v17, v13
	v_add_u32_e32 v14, 0x80, v14
	v_cmp_le_i32_e64 s[10:11], s3, v14
	s_or_b64 s[18:19], s[10:11], s[18:19]
	s_waitcnt lgkmcnt(0)
	v_sub_f32_e32 v17, v17, v6
	v_mul_f32_e32 v17, 0x3fb8aa3b, v17
	v_exp_f32_e32 v17, v17
	ds_write_b32 v13, v17
	v_add_f32_e32 v12, v12, v17
	v_add_u32_e32 v13, 0x200, v13
	s_andn2_b64 exec, exec, s[18:19]
	s_cbranch_execnz .LBB300_147
; %bb.148:
	s_or_b64 exec, exec, s[18:19]
.LBB300_149:
	s_or_b64 exec, exec, s[12:13]
	ds_bpermute_b32 v5, v5, v12
	s_waitcnt lgkmcnt(0)
	v_add_f32_e32 v5, v12, v5
	ds_bpermute_b32 v7, v7, v5
	s_waitcnt lgkmcnt(0)
	v_add_f32_e32 v5, v5, v7
	;; [unrolled: 3-line block ×6, first 2 shown]
	s_and_saveexec_b64 s[10:11], vcc
	s_cbranch_execz .LBB300_151
; %bb.150:
	ds_write_b32 v10, v5 offset:72
.LBB300_151:
	s_or_b64 exec, exec, s[10:11]
	s_waitcnt lgkmcnt(0)
	s_barrier
	s_and_saveexec_b64 s[10:11], s[0:1]
	s_cbranch_execz .LBB300_153
; %bb.152:
	ds_read_b32 v5, v11 offset:72
.LBB300_153:
	s_or_b64 exec, exec, s[10:11]
	s_waitcnt lgkmcnt(0)
	ds_bpermute_b32 v7, v24, v5
	s_waitcnt lgkmcnt(0)
	v_add_f32_e32 v5, v5, v7
	ds_bpermute_b32 v7, v4, v5
	s_and_saveexec_b64 s[0:1], s[6:7]
	s_cbranch_execz .LBB300_166
; %bb.154:
	s_waitcnt lgkmcnt(0)
	v_add_f32_e32 v4, 0x358637bd, v7
	v_div_scale_f32 v5, s[6:7], v4, v4, 1.0
	v_rcp_f32_e32 v8, v5
	v_div_scale_f32 v9, vcc, 1.0, v4, 1.0
	s_movk_i32 s6, 0x7f
	v_fma_f32 v10, -v5, v8, 1.0
	v_fmac_f32_e32 v8, v10, v8
	v_mul_f32_e32 v10, v9, v8
	v_fma_f32 v11, -v5, v10, v9
	v_fmac_f32_e32 v10, v11, v8
	v_fma_f32 v5, -v5, v10, v9
	v_div_fmas_f32 v5, v5, v8, v10
	v_div_fixup_f32 v4, v5, v4, 1.0
	v_xad_u32 v5, v0, -1, s38
	v_subrev_u32_e32 v8, s46, v5
	v_cmp_lt_u32_e32 vcc, s6, v8
	s_mov_b64 s[10:11], -1
	v_mov_b32_e32 v5, v0
	s_and_saveexec_b64 s[6:7], vcc
	s_cbranch_execz .LBB300_163
; %bb.155:
	v_lshrrev_b32_e32 v8, 7, v8
	v_add_u32_e32 v10, -1, v8
	v_lshrrev_b32_e32 v9, 1, v10
	v_mov_b32_e32 v5, v4
	v_add_u32_e32 v9, 1, v9
	v_cmp_lt_u32_e32 vcc, 13, v10
	v_mov_b32_e32 v12, 0
	s_and_saveexec_b64 s[10:11], vcc
	s_cbranch_execz .LBB300_159
; %bb.156:
	v_mov_b32_e32 v11, 0x50
	v_and_b32_e32 v10, -8, v9
	v_lshl_add_u32 v11, v0, 2, v11
	s_mov_b32 s18, 0
	s_mov_b64 s[12:13], 0
.LBB300_157:                            ; =>This Inner Loop Header: Depth=1
	ds_read2st64_b32 v[12:13], v11 offset1:2
	ds_read2st64_b32 v[18:19], v11 offset0:4 offset1:6
	ds_read2st64_b32 v[20:21], v11 offset0:8 offset1:10
	ds_read2st64_b32 v[26:27], v11 offset0:12 offset1:14
	v_add_u32_e32 v10, -8, v10
	s_waitcnt lgkmcnt(3)
	v_pk_mul_f32 v[12:13], v[4:5], v[12:13]
	s_waitcnt lgkmcnt(2)
	v_pk_mul_f32 v[18:19], v[4:5], v[18:19]
	ds_write2st64_b32 v11, v12, v13 offset1:2
	ds_write2st64_b32 v11, v18, v19 offset0:4 offset1:6
	ds_read2st64_b32 v[18:19], v11 offset0:16 offset1:18
	s_waitcnt lgkmcnt(4)
	v_pk_mul_f32 v[12:13], v[4:5], v[20:21]
	ds_write2st64_b32 v11, v12, v13 offset0:8 offset1:10
	s_waitcnt lgkmcnt(4)
	v_pk_mul_f32 v[12:13], v[4:5], v[26:27]
	ds_write2st64_b32 v11, v12, v13 offset0:12 offset1:14
	ds_read2st64_b32 v[12:13], v11 offset0:20 offset1:22
	s_waitcnt lgkmcnt(3)
	v_pk_mul_f32 v[18:19], v[4:5], v[18:19]
	ds_read2st64_b32 v[20:21], v11 offset0:24 offset1:26
	ds_write2st64_b32 v11, v18, v19 offset0:16 offset1:18
	ds_read2st64_b32 v[18:19], v11 offset0:28 offset1:30
	s_waitcnt lgkmcnt(3)
	v_pk_mul_f32 v[12:13], v[4:5], v[12:13]
	ds_write2st64_b32 v11, v12, v13 offset0:20 offset1:22
	s_waitcnt lgkmcnt(3)
	v_pk_mul_f32 v[12:13], v[4:5], v[20:21]
	ds_write2st64_b32 v11, v12, v13 offset0:24 offset1:26
	s_waitcnt lgkmcnt(2)
	v_pk_mul_f32 v[12:13], v[4:5], v[18:19]
	s_add_i32 s18, s18, 16
	v_cmp_eq_u32_e32 vcc, 0, v10
	ds_write2st64_b32 v11, v12, v13 offset0:28 offset1:30
	v_add_u32_e32 v11, 0x2000, v11
	s_or_b64 s[12:13], vcc, s[12:13]
	v_mov_b32_e32 v12, s18
	s_andn2_b64 exec, exec, s[12:13]
	s_cbranch_execnz .LBB300_157
; %bb.158:
	s_or_b64 exec, exec, s[12:13]
.LBB300_159:
	s_or_b64 exec, exec, s[10:11]
	v_and_b32_e32 v9, 7, v9
	v_cmp_ne_u32_e32 vcc, 0, v9
	s_and_saveexec_b64 s[10:11], vcc
	s_cbranch_execz .LBB300_162
; %bb.160:
	v_lshlrev_b32_e32 v10, 9, v12
	v_lshlrev_b32_e32 v11, 2, v0
	s_movk_i32 s12, 0x50
	v_add3_u32 v10, v10, v11, s12
	s_mov_b64 s[12:13], 0
.LBB300_161:                            ; =>This Inner Loop Header: Depth=1
	ds_read2st64_b32 v[12:13], v10 offset1:2
	v_add_u32_e32 v9, -1, v9
	v_cmp_eq_u32_e32 vcc, 0, v9
	s_or_b64 s[12:13], vcc, s[12:13]
	s_waitcnt lgkmcnt(0)
	v_pk_mul_f32 v[12:13], v[4:5], v[12:13]
	ds_write2st64_b32 v10, v12, v13 offset1:2
	v_add_u32_e32 v10, 0x400, v10
	s_andn2_b64 exec, exec, s[12:13]
	s_cbranch_execnz .LBB300_161
.LBB300_162:
	s_or_b64 exec, exec, s[10:11]
	v_add_u32_e32 v8, 1, v8
	v_and_b32_e32 v9, 0x3fffffe, v8
	v_cmp_ne_u32_e32 vcc, v8, v9
	v_lshl_add_u32 v5, v9, 7, v0
	s_orn2_b64 s[10:11], vcc, exec
.LBB300_163:
	s_or_b64 exec, exec, s[6:7]
	s_and_b64 exec, exec, s[10:11]
	s_cbranch_execz .LBB300_166
; %bb.164:
	v_mov_b32_e32 v8, 0x50
	v_lshl_add_u32 v8, v5, 2, v8
	s_mov_b64 s[6:7], 0
.LBB300_165:                            ; =>This Inner Loop Header: Depth=1
	ds_read_b32 v9, v8
	v_add_u32_e32 v5, 0x80, v5
	v_cmp_le_i32_e32 vcc, s3, v5
	s_or_b64 s[6:7], vcc, s[6:7]
	s_waitcnt lgkmcnt(0)
	v_mul_f32_e32 v9, v4, v9
	ds_write_b32 v8, v9
	v_add_u32_e32 v8, 0x200, v8
	s_andn2_b64 exec, exec, s[6:7]
	s_cbranch_execnz .LBB300_165
.LBB300_166:
	s_or_b64 exec, exec, s[0:1]
	s_mul_i32 s0, s25, s28
	v_cmp_eq_u32_e32 vcc, 0, v0
	s_mul_i32 s6, s0, s5
	s_waitcnt lgkmcnt(0)
	s_barrier
	s_and_saveexec_b64 s[0:1], vcc
	s_cbranch_execz .LBB300_168
; %bb.167:
	s_ashr_i32 s7, s6, 31
	s_lshl_b64 s[10:11], s[6:7], 2
	s_add_u32 s5, s22, s10
	s_mul_i32 s2, s25, s2
	s_addc_u32 s7, s23, s11
	s_ashr_i32 s3, s2, 31
	s_lshl_b64 s[2:3], s[2:3], 2
	s_add_u32 s18, s5, s2
	s_addc_u32 s7, s7, s3
	s_ashr_i32 s5, s4, 31
	s_lshl_b64 s[12:13], s[4:5], 2
	s_add_u32 s18, s18, s12
	s_addc_u32 s19, s7, s13
	s_add_u32 s5, s20, s10
	s_addc_u32 s7, s21, s11
	;; [unrolled: 2-line block ×3, first 2 shown]
	s_add_u32 s2, s2, s12
	v_mov_b32_e32 v4, 0
	s_addc_u32 s3, s3, s13
	global_store_dword v4, v6, s[18:19]
	global_store_dword v4, v7, s[2:3]
.LBB300_168:
	s_or_b64 exec, exec, s[0:1]
	v_mov_b32_e32 v9, 0
	v_and_b32_e32 v25, 3, v0
	v_mov_b32_e32 v8, 0
	s_and_saveexec_b64 s[2:3], s[8:9]
	s_cbranch_execz .LBB300_304
; %bb.169:
	s_ashr_i32 s1, s47, 31
	s_add_u32 s0, s36, s47
	s_addc_u32 s1, s37, s1
	v_and_b32_e32 v4, 0x1f8, v1
	v_mov_b32_e32 v5, 0
	s_add_i32 s7, s16, -1
	v_lshl_add_u64 v[6:7], s[0:1], 0, v[4:5]
	s_lshl_b64 s[0:1], s[34:35], 2
	v_lshlrev_b32_e32 v4, 5, v25
	s_add_u32 s0, s30, s0
	v_and_b32_e32 v8, 24, v1
	v_lshl_or_b32 v4, v15, 7, v4
	s_addc_u32 s1, s31, s1
	s_mov_b32 s5, s17
	s_mov_b32 s18, s29
	v_add3_u32 v1, s46, v16, v8
	v_add_u32_e32 v15, 0x50, v4
	v_lshl_add_u64 v[10:11], v[2:3], 2, s[0:1]
	s_mov_b64 s[8:9], 0
	s_movk_i32 s19, 0x7f
	s_movk_i32 s20, 0x80
	s_mov_b32 s21, 0x8000
	s_movk_i32 s22, 0x380
	s_mov_b32 s23, 0x3020706
	s_mov_b32 s28, 0x1000504
	;; [unrolled: 1-line block ×3, first 2 shown]
	v_mov_b32_e32 v3, 0x1c00
	v_mov_b32_e32 v8, 0
	;; [unrolled: 1-line block ×3, first 2 shown]
	s_branch .LBB300_171
.LBB300_170:                            ;   in Loop: Header=BB300_171 Depth=1
	s_or_b64 exec, exec, s[0:1]
	;;#ASMSTART
	v_pk_mul_f16 v12, v31, v12;

	;;#ASMEND
	;;#ASMSTART
	v_pk_mul_f16 v4, v32, v4;

	;;#ASMEND
	;; [unrolled: 4-line block ×4, first 2 shown]
	v_add_u32_e32 v2, 2, v2
	;;#ASMSTART
	v_pk_add_f16 v4, v12, v4;

	;;#ASMEND
	v_add_f32_e32 v16, v35, v36
	;;#ASMSTART
	v_pk_add_f16 v4, v4, v13;

	;;#ASMEND
	v_cmp_le_i32_e32 vcc, s33, v2
	;;#ASMSTART
	v_pk_add_f16 v4, v4, v14;

	;;#ASMEND
	v_add_f32_e32 v8, v8, v16
	v_lshrrev_b32_e32 v12, 16, v4
	v_and_b32_e32 v4, 0xffff, v4
	;;#ASMSTART
	v_cvt_f32_f16 v4, v4;
	;;#ASMEND
	;;#ASMSTART
	v_cvt_f32_f16 v12, v12;
	;;#ASMEND
	v_add_u32_e32 v1, 64, v1
	v_add_f32_e32 v4, v4, v12
	v_add_f32_e32 v9, v9, v4
	v_add_u32_e32 v15, 0x100, v15
	s_or_b64 s[8:9], vcc, s[8:9]
	v_lshl_add_u64 v[10:11], v[10:11], 0, 8
	s_andn2_b64 exec, exec, s[8:9]
	s_cbranch_execz .LBB300_303
.LBB300_171:                            ; =>This Inner Loop Header: Depth=1
	ds_read2_b64 v[16:19], v15 offset1:1
	ds_read2_b64 v[26:29], v15 offset0:2 offset1:3
                                        ; implicit-def: $sgpr16
	s_waitcnt lgkmcnt(1)
	;;#ASMSTART
	v_cvt_f16_f32 v31, v16;

	;;#ASMEND
	;;#ASMSTART
	v_cvt_f16_f32 v32, v17;

	;;#ASMEND
	;; [unrolled: 4-line block ×4, first 2 shown]
	s_waitcnt lgkmcnt(0)
	;;#ASMSTART
	v_cvt_f16_f32 v35, v26;

	;;#ASMEND
	;;#ASMSTART
	v_cvt_f16_f32 v36, v27;

	;;#ASMEND
	;; [unrolled: 4-line block ×4, first 2 shown]
	global_load_dword v4, v[10:11], off
	s_waitcnt vmcnt(0)
	v_mad_i64_i32 v[12:13], s[0:1], v4, s5, v[6:7]
	global_load_dwordx2 v[16:17], v[12:13], off
	global_load_dword v14, v5, s[14:15]
	s_mov_b64 s[0:1], 0
	s_waitcnt vmcnt(1)
	v_cmp_gt_i16_sdwa s[10:11], v16, s19 src0_sel:BYTE_0 src1_sel:DWORD
	s_and_saveexec_b64 s[12:13], s[10:11]
	s_xor_b64 s[10:11], exec, s[12:13]
	s_cbranch_execnz .LBB300_239
; %bb.172:                              ;   in Loop: Header=BB300_171 Depth=1
	s_or_saveexec_b64 s[10:11], s[10:11]
	v_mov_b32_e32 v18, s16
	s_xor_b64 exec, exec, s[10:11]
	s_cbranch_execnz .LBB300_242
.LBB300_173:                            ;   in Loop: Header=BB300_171 Depth=1
	s_or_b64 exec, exec, s[10:11]
	s_and_saveexec_b64 s[10:11], s[0:1]
	s_cbranch_execz .LBB300_175
.LBB300_174:                            ;   in Loop: Header=BB300_171 Depth=1
	v_and_b32_e32 v4, 7, v16
	v_ffbh_u32_e32 v4, v4
	v_bfe_u32 v18, v16, 3, 4
	v_min_u32_e32 v4, 32, v4
	v_subrev_u32_e32 v19, 28, v4
	v_sub_u32_e32 v4, 29, v4
	v_cmp_eq_u32_e32 vcc, 0, v18
	s_nop 1
	v_cndmask_b32_e32 v4, v18, v4, vcc
	v_cndmask_b32_e32 v18, 0, v19, vcc
	v_lshlrev_b64 v[18:19], v18, v[16:17]
	v_lshlrev_b32_e32 v19, 8, v16
	v_lshl_add_u32 v4, v4, 10, v3
	v_lshlrev_b32_e32 v18, 7, v18
	v_and_or_b32 v4, v19, s21, v4
	v_and_or_b32 v4, v18, s22, v4
	v_cvt_f32_f16_e32 v18, v4
.LBB300_175:                            ;   in Loop: Header=BB300_171 Depth=1
	s_or_b64 exec, exec, s[10:11]
	v_lshrrev_b16_e32 v4, 8, v16
	v_cmp_lt_i16_e32 vcc, s19, v4
	s_mov_b64 s[0:1], 0
                                        ; implicit-def: $sgpr16
	s_and_saveexec_b64 s[10:11], vcc
	s_xor_b64 s[10:11], exec, s[10:11]
	s_cbranch_execnz .LBB300_243
; %bb.176:                              ;   in Loop: Header=BB300_171 Depth=1
	s_or_saveexec_b64 s[10:11], s[10:11]
	v_mov_b32_e32 v20, s16
	s_xor_b64 exec, exec, s[10:11]
	s_cbranch_execnz .LBB300_246
.LBB300_177:                            ;   in Loop: Header=BB300_171 Depth=1
	s_or_b64 exec, exec, s[10:11]
	s_and_saveexec_b64 s[10:11], s[0:1]
	s_cbranch_execz .LBB300_179
.LBB300_178:                            ;   in Loop: Header=BB300_171 Depth=1
	v_and_b32_e32 v19, 7, v4
	v_ffbh_u32_e32 v20, v19
	v_min_u32_e32 v27, 32, v20
	v_subrev_u32_e32 v20, 28, v27
	v_bfe_u32 v26, v4, 3, 4
	v_lshlrev_b64 v[20:21], v20, v[4:5]
	v_sub_u32_e32 v21, 29, v27
	v_cmp_eq_u32_e32 vcc, 0, v26
	v_and_b32_e32 v20, 7, v20
	v_lshlrev_b32_e32 v4, 8, v4
	v_cndmask_b32_e32 v21, v26, v21, vcc
	v_cndmask_b32_e32 v19, v19, v20, vcc
	v_lshl_add_u32 v20, v21, 10, v3
	v_and_or_b32 v4, v4, s21, v20
	v_lshl_or_b32 v4, v19, 7, v4
	v_cvt_f32_f16_e32 v20, v4
.LBB300_179:                            ;   in Loop: Header=BB300_171 Depth=1
	s_or_b64 exec, exec, s[10:11]
	v_lshrrev_b32_e32 v4, 16, v16
	v_cmp_gt_i16_sdwa s[10:11], v4, s19 src0_sel:BYTE_0 src1_sel:DWORD
	s_mov_b64 s[0:1], 0
                                        ; implicit-def: $sgpr16
	s_and_saveexec_b64 s[12:13], s[10:11]
	s_xor_b64 s[10:11], exec, s[12:13]
	s_cbranch_execnz .LBB300_247
; %bb.180:                              ;   in Loop: Header=BB300_171 Depth=1
	s_or_saveexec_b64 s[10:11], s[10:11]
	v_mov_b32_e32 v19, s16
	s_xor_b64 exec, exec, s[10:11]
	s_cbranch_execnz .LBB300_250
.LBB300_181:                            ;   in Loop: Header=BB300_171 Depth=1
	s_or_b64 exec, exec, s[10:11]
	s_and_saveexec_b64 s[10:11], s[0:1]
	s_cbranch_execz .LBB300_183
.LBB300_182:                            ;   in Loop: Header=BB300_171 Depth=1
	v_bfe_u32 v19, v16, 16, 3
	v_ffbh_u32_e32 v26, v19
	v_min_u32_e32 v28, 32, v26
	v_subrev_u32_e32 v26, 28, v28
	v_bfe_u32 v21, v16, 19, 4
	v_lshlrev_b64 v[26:27], v26, v[4:5]
	v_sub_u32_e32 v27, 29, v28
	v_cmp_eq_u32_e32 vcc, 0, v21
	v_and_b32_e32 v26, 7, v26
	v_lshlrev_b32_e32 v4, 8, v4
	v_cndmask_b32_e32 v21, v21, v27, vcc
	v_lshl_add_u32 v21, v21, 10, v3
	v_cndmask_b32_e32 v19, v19, v26, vcc
	v_and_or_b32 v4, v4, s21, v21
	v_lshl_or_b32 v4, v19, 7, v4
	v_cvt_f32_f16_e32 v19, v4
.LBB300_183:                            ;   in Loop: Header=BB300_171 Depth=1
	s_or_b64 exec, exec, s[10:11]
	v_lshrrev_b32_e32 v4, 24, v16
	v_cmp_lt_i16_e32 vcc, s19, v4
	s_mov_b64 s[0:1], 0
                                        ; implicit-def: $sgpr16
	s_and_saveexec_b64 s[10:11], vcc
	s_xor_b64 s[10:11], exec, s[10:11]
	s_cbranch_execnz .LBB300_251
; %bb.184:                              ;   in Loop: Header=BB300_171 Depth=1
	s_or_saveexec_b64 s[10:11], s[10:11]
	v_mov_b32_e32 v21, s16
	s_xor_b64 exec, exec, s[10:11]
	s_cbranch_execnz .LBB300_254
.LBB300_185:                            ;   in Loop: Header=BB300_171 Depth=1
	s_or_b64 exec, exec, s[10:11]
	s_and_saveexec_b64 s[10:11], s[0:1]
	s_cbranch_execz .LBB300_187
.LBB300_186:                            ;   in Loop: Header=BB300_171 Depth=1
	v_bfe_u32 v21, v16, 24, 3
	v_ffbh_u32_e32 v26, v21
	v_min_u32_e32 v28, 32, v26
	v_subrev_u32_e32 v26, 28, v28
	v_bfe_u32 v16, v16, 27, 4
	v_lshlrev_b64 v[26:27], v26, v[4:5]
	v_sub_u32_e32 v27, 29, v28
	v_cmp_eq_u32_e32 vcc, 0, v16
	v_and_b32_e32 v26, 7, v26
	v_lshlrev_b32_e32 v4, 8, v4
	v_cndmask_b32_e32 v16, v16, v27, vcc
	v_lshl_add_u32 v16, v16, 10, v3
	v_cndmask_b32_e32 v21, v21, v26, vcc
	v_and_or_b32 v4, v4, s21, v16
	v_lshl_or_b32 v4, v21, 7, v4
	v_cvt_f32_f16_e32 v21, v4
.LBB300_187:                            ;   in Loop: Header=BB300_171 Depth=1
	s_or_b64 exec, exec, s[10:11]
	v_cmp_gt_i16_sdwa s[10:11], v17, s19 src0_sel:BYTE_0 src1_sel:DWORD
	s_mov_b64 s[0:1], 0
                                        ; implicit-def: $sgpr16
	s_and_saveexec_b64 s[12:13], s[10:11]
	s_xor_b64 s[10:11], exec, s[12:13]
	s_cbranch_execnz .LBB300_255
; %bb.188:                              ;   in Loop: Header=BB300_171 Depth=1
	s_or_saveexec_b64 s[10:11], s[10:11]
	v_mov_b32_e32 v16, s16
	s_xor_b64 exec, exec, s[10:11]
	s_cbranch_execnz .LBB300_258
.LBB300_189:                            ;   in Loop: Header=BB300_171 Depth=1
	s_or_b64 exec, exec, s[10:11]
	v_mov_b32_e32 v4, v17
	s_and_saveexec_b64 s[10:11], s[0:1]
	s_cbranch_execz .LBB300_191
.LBB300_190:                            ;   in Loop: Header=BB300_171 Depth=1
	v_and_b32_e32 v16, 7, v17
	v_ffbh_u32_e32 v16, v16
	v_bfe_u32 v26, v17, 3, 4
	v_min_u32_e32 v16, 32, v16
	v_subrev_u32_e32 v27, 28, v16
	v_sub_u32_e32 v16, 29, v16
	v_cmp_eq_u32_e32 vcc, 0, v26
	s_nop 1
	v_cndmask_b32_e32 v16, v26, v16, vcc
	v_cndmask_b32_e32 v26, 0, v27, vcc
	v_lshlrev_b64 v[26:27], v26, v[4:5]
	v_lshlrev_b32_e32 v27, 8, v17
	v_lshl_add_u32 v16, v16, 10, v3
	v_lshlrev_b32_e32 v26, 7, v26
	v_and_or_b32 v16, v27, s21, v16
	v_and_or_b32 v16, v26, s22, v16
	v_cvt_f32_f16_e32 v16, v16
.LBB300_191:                            ;   in Loop: Header=BB300_171 Depth=1
	s_or_b64 exec, exec, s[10:11]
	v_lshrrev_b16_e32 v4, 8, v4
	v_cmp_lt_i16_e32 vcc, s19, v4
	s_mov_b64 s[0:1], 0
                                        ; implicit-def: $sgpr16
	s_and_saveexec_b64 s[10:11], vcc
	s_xor_b64 s[10:11], exec, s[10:11]
	s_cbranch_execnz .LBB300_259
; %bb.192:                              ;   in Loop: Header=BB300_171 Depth=1
	s_or_saveexec_b64 s[10:11], s[10:11]
	v_mov_b32_e32 v26, s16
	s_xor_b64 exec, exec, s[10:11]
	s_cbranch_execnz .LBB300_262
.LBB300_193:                            ;   in Loop: Header=BB300_171 Depth=1
	s_or_b64 exec, exec, s[10:11]
	s_and_saveexec_b64 s[10:11], s[0:1]
	s_cbranch_execz .LBB300_195
.LBB300_194:                            ;   in Loop: Header=BB300_171 Depth=1
	v_and_b32_e32 v28, 7, v4
	v_ffbh_u32_e32 v26, v28
	v_min_u32_e32 v30, 32, v26
	v_subrev_u32_e32 v26, 28, v30
	v_bfe_u32 v29, v4, 3, 4
	v_lshlrev_b64 v[26:27], v26, v[4:5]
	v_sub_u32_e32 v27, 29, v30
	v_cmp_eq_u32_e32 vcc, 0, v29
	v_and_b32_e32 v26, 7, v26
	v_lshlrev_b32_e32 v4, 8, v4
	v_cndmask_b32_e32 v27, v29, v27, vcc
	v_lshl_add_u32 v27, v27, 10, v3
	v_cndmask_b32_e32 v26, v28, v26, vcc
	v_and_or_b32 v4, v4, s21, v27
	v_lshl_or_b32 v4, v26, 7, v4
	v_cvt_f32_f16_e32 v26, v4
.LBB300_195:                            ;   in Loop: Header=BB300_171 Depth=1
	s_or_b64 exec, exec, s[10:11]
	v_lshrrev_b32_e32 v4, 16, v17
	v_cmp_gt_i16_sdwa s[10:11], v4, s19 src0_sel:BYTE_0 src1_sel:DWORD
	s_mov_b64 s[0:1], 0
                                        ; implicit-def: $sgpr16
	s_and_saveexec_b64 s[12:13], s[10:11]
	s_xor_b64 s[10:11], exec, s[12:13]
	s_cbranch_execnz .LBB300_263
; %bb.196:                              ;   in Loop: Header=BB300_171 Depth=1
	s_or_saveexec_b64 s[10:11], s[10:11]
	v_mov_b32_e32 v27, s16
	s_xor_b64 exec, exec, s[10:11]
	s_cbranch_execnz .LBB300_266
.LBB300_197:                            ;   in Loop: Header=BB300_171 Depth=1
	s_or_b64 exec, exec, s[10:11]
	s_and_saveexec_b64 s[10:11], s[0:1]
	s_cbranch_execz .LBB300_199
.LBB300_198:                            ;   in Loop: Header=BB300_171 Depth=1
	v_bfe_u32 v27, v17, 16, 3
	v_ffbh_u32_e32 v28, v27
	v_min_u32_e32 v39, 32, v28
	v_subrev_u32_e32 v28, 28, v39
	v_bfe_u32 v30, v17, 19, 4
	v_lshlrev_b64 v[28:29], v28, v[4:5]
	v_sub_u32_e32 v29, 29, v39
	v_cmp_eq_u32_e32 vcc, 0, v30
	v_and_b32_e32 v28, 7, v28
	v_lshlrev_b32_e32 v4, 8, v4
	v_cndmask_b32_e32 v29, v30, v29, vcc
	v_cndmask_b32_e32 v27, v27, v28, vcc
	v_lshl_add_u32 v28, v29, 10, v3
	v_and_or_b32 v4, v4, s21, v28
	v_lshl_or_b32 v4, v27, 7, v4
	v_cvt_f32_f16_e32 v27, v4
.LBB300_199:                            ;   in Loop: Header=BB300_171 Depth=1
	s_or_b64 exec, exec, s[10:11]
	v_lshrrev_b32_e32 v4, 24, v17
	v_cmp_lt_i16_e32 vcc, s19, v4
	s_mov_b64 s[0:1], 0
                                        ; implicit-def: $sgpr16
	s_and_saveexec_b64 s[10:11], vcc
	s_xor_b64 s[10:11], exec, s[10:11]
	s_cbranch_execnz .LBB300_267
; %bb.200:                              ;   in Loop: Header=BB300_171 Depth=1
	s_or_saveexec_b64 s[10:11], s[10:11]
	v_mov_b32_e32 v28, s16
	s_xor_b64 exec, exec, s[10:11]
	s_cbranch_execnz .LBB300_270
.LBB300_201:                            ;   in Loop: Header=BB300_171 Depth=1
	s_or_b64 exec, exec, s[10:11]
	s_and_saveexec_b64 s[10:11], s[0:1]
	s_cbranch_execz .LBB300_203
.LBB300_202:                            ;   in Loop: Header=BB300_171 Depth=1
	v_bfe_u32 v30, v17, 24, 3
	v_ffbh_u32_e32 v28, v30
	v_min_u32_e32 v39, 32, v28
	v_subrev_u32_e32 v28, 28, v39
	v_bfe_u32 v17, v17, 27, 4
	v_lshlrev_b64 v[28:29], v28, v[4:5]
	v_sub_u32_e32 v29, 29, v39
	v_cmp_eq_u32_e32 vcc, 0, v17
	v_and_b32_e32 v28, 7, v28
	v_lshlrev_b32_e32 v4, 8, v4
	v_cndmask_b32_e32 v17, v17, v29, vcc
	v_lshl_add_u32 v17, v17, 10, v3
	v_cndmask_b32_e32 v28, v30, v28, vcc
	v_and_or_b32 v4, v4, s21, v17
	v_lshl_or_b32 v4, v28, 7, v4
	v_cvt_f32_f16_e32 v28, v4
.LBB300_203:                            ;   in Loop: Header=BB300_171 Depth=1
	s_or_b64 exec, exec, s[10:11]
	s_waitcnt vmcnt(0)
	v_pk_mul_f32 v[20:21], v[14:15], v[20:21] op_sel_hi:[0,1]
	v_pk_mul_f32 v[18:19], v[14:15], v[18:19] op_sel_hi:[0,1]
	v_cvt_f16_f32_e32 v4, v21
	v_cvt_f16_f32_e32 v17, v20
	;; [unrolled: 1-line block ×4, first 2 shown]
	v_fma_mixlo_f16 v16, v14, v16, 0
	v_pack_b32_f16 v17, v17, v4
	v_cmp_eq_u32_e32 vcc, s7, v2
	v_pack_b32_f16 v18, v18, v19
	v_perm_b32 v4, v18, v17, s23
	v_perm_b32 v17, v18, v17, s28
	v_fma_mixlo_f16 v18, v14, v26, 0
	v_lshlrev_b32_e32 v18, 16, v18
	v_or_b32_sdwa v16, v18, v16 dst_sel:DWORD dst_unused:UNUSED_PAD src0_sel:DWORD src1_sel:WORD_0
	v_fma_mixlo_f16 v18, v14, v27, 0
	v_fma_mixlo_f16 v14, v14, v28, 0
	v_lshlrev_b32_e32 v14, 16, v14
	v_or_b32_sdwa v14, v14, v18 dst_sel:DWORD dst_unused:UNUSED_PAD src0_sel:DWORD src1_sel:WORD_0
	v_add_u32_e32 v30, 1, v1
	v_or_b32_e32 v29, 3, v1
	v_or_b32_e32 v28, 2, v1
	v_or_b32_e32 v27, 5, v1
	v_or_b32_e32 v26, 4, v1
	v_or_b32_e32 v21, 7, v1
	v_or_b32_e32 v20, 6, v1
	s_and_saveexec_b64 s[10:11], vcc
	s_cbranch_execz .LBB300_205
; %bb.204:                              ;   in Loop: Header=BB300_171 Depth=1
	v_lshrrev_b32_e32 v19, 16, v17
	v_cmp_gt_i32_e64 s[0:1], s18, v30
	v_lshrrev_b32_e32 v14, 16, v14
	s_nop 0
	v_cndmask_b32_e64 v19, 0, v19, s[0:1]
	v_cmp_gt_i32_e64 s[0:1], s29, v1
	s_nop 1
	v_cndmask_b32_e64 v17, 0, v17, s[0:1]
	v_perm_b32 v17, v19, v17, s30
	v_lshrrev_b32_e32 v19, 16, v4
	v_cmp_gt_i32_e64 s[0:1], s18, v29
	s_nop 1
	v_cndmask_b32_e64 v19, 0, v19, s[0:1]
	v_cmp_gt_i32_e64 s[0:1], s29, v28
	s_nop 1
	v_cndmask_b32_e64 v4, 0, v4, s[0:1]
	v_perm_b32 v4, v19, v4, s30
	v_lshrrev_b32_e32 v19, 16, v16
	v_cmp_gt_i32_e64 s[0:1], s18, v27
	s_nop 1
	v_cndmask_b32_e64 v19, 0, v19, s[0:1]
	v_cmp_gt_i32_e64 s[0:1], s29, v26
	s_nop 1
	v_cndmask_b32_e64 v16, 0, v16, s[0:1]
	v_cmp_gt_i32_e64 s[0:1], s18, v21
	v_perm_b32 v16, v19, v16, s30
	s_nop 0
	v_cndmask_b32_e64 v14, 0, v14, s[0:1]
	v_cmp_gt_i32_e64 s[0:1], s29, v20
	s_nop 1
	v_cndmask_b32_e64 v18, 0, v18, s[0:1]
	v_perm_b32 v14, v14, v18, s30
.LBB300_205:                            ;   in Loop: Header=BB300_171 Depth=1
	s_or_b64 exec, exec, s[10:11]
	v_and_b32_e32 v18, 0xffff, v31
	v_lshl_or_b32 v31, v32, 16, v18
	v_and_b32_e32 v18, 0xffff, v33
	v_lshl_or_b32 v32, v34, 16, v18
	;; [unrolled: 2-line block ×3, first 2 shown]
	v_and_b32_e32 v18, 0xffff, v37
	;;#ASMSTART
	v_pk_mul_f16 v17, v31, v17;

	;;#ASMEND
	;;#ASMSTART
	v_pk_mul_f16 v4, v32, v4;

	;;#ASMEND
	v_lshl_or_b32 v34, v38, 16, v18
	;;#ASMSTART
	v_pk_mul_f16 v16, v33, v16;

	;;#ASMEND
	;;#ASMSTART
	v_pk_mul_f16 v14, v34, v14;

	;;#ASMEND
	;;#ASMSTART
	v_pk_add_f16 v4, v17, v4;

	;;#ASMEND
	s_mov_b64 s[0:1], 0
	;;#ASMSTART
	v_pk_add_f16 v4, v4, v16;

	;;#ASMEND
                                        ; implicit-def: $sgpr16
	s_nop 0
	;;#ASMSTART
	v_pk_add_f16 v4, v4, v14;

	;;#ASMEND
	s_nop 0
	v_lshrrev_b32_e32 v14, 16, v4
	v_and_b32_e32 v4, 0xffff, v4
	;;#ASMSTART
	v_cvt_f32_f16 v35, v4;
	;;#ASMEND
	;;#ASMSTART
	v_cvt_f32_f16 v36, v14;
	;;#ASMEND
	global_load_dwordx2 v[16:17], v[12:13], off offset:512
	global_load_dword v14, v5, s[14:15]
	s_waitcnt vmcnt(1)
	v_cmp_gt_i16_sdwa s[10:11], v16, s19 src0_sel:BYTE_0 src1_sel:DWORD
	s_and_saveexec_b64 s[12:13], s[10:11]
	s_xor_b64 s[10:11], exec, s[12:13]
	s_cbranch_execnz .LBB300_271
; %bb.206:                              ;   in Loop: Header=BB300_171 Depth=1
	s_or_saveexec_b64 s[10:11], s[10:11]
	v_mov_b32_e32 v12, s16
	s_xor_b64 exec, exec, s[10:11]
	s_cbranch_execnz .LBB300_274
.LBB300_207:                            ;   in Loop: Header=BB300_171 Depth=1
	s_or_b64 exec, exec, s[10:11]
	s_and_saveexec_b64 s[10:11], s[0:1]
	s_cbranch_execz .LBB300_209
.LBB300_208:                            ;   in Loop: Header=BB300_171 Depth=1
	v_and_b32_e32 v4, 7, v16
	v_ffbh_u32_e32 v4, v4
	v_bfe_u32 v12, v16, 3, 4
	v_min_u32_e32 v4, 32, v4
	v_subrev_u32_e32 v13, 28, v4
	v_sub_u32_e32 v4, 29, v4
	v_cmp_eq_u32_e64 s[0:1], 0, v12
	s_nop 1
	v_cndmask_b32_e64 v4, v12, v4, s[0:1]
	v_cndmask_b32_e64 v12, 0, v13, s[0:1]
	v_lshlrev_b64 v[12:13], v12, v[16:17]
	v_lshlrev_b32_e32 v13, 8, v16
	v_lshl_add_u32 v4, v4, 10, v3
	v_lshlrev_b32_e32 v12, 7, v12
	v_and_or_b32 v4, v13, s21, v4
	v_and_or_b32 v4, v12, s22, v4
	v_cvt_f32_f16_e32 v12, v4
.LBB300_209:                            ;   in Loop: Header=BB300_171 Depth=1
	s_or_b64 exec, exec, s[10:11]
	v_lshrrev_b16_e32 v4, 8, v16
	v_cmp_lt_i16_e64 s[0:1], s19, v4
	s_mov_b64 s[10:11], 0
                                        ; implicit-def: $sgpr31
	s_and_saveexec_b64 s[12:13], s[0:1]
	s_xor_b64 s[12:13], exec, s[12:13]
	s_cbranch_execnz .LBB300_275
; %bb.210:                              ;   in Loop: Header=BB300_171 Depth=1
	s_or_saveexec_b64 s[12:13], s[12:13]
	v_mov_b32_e32 v18, s31
	s_xor_b64 exec, exec, s[12:13]
	s_cbranch_execnz .LBB300_278
.LBB300_211:                            ;   in Loop: Header=BB300_171 Depth=1
	s_or_b64 exec, exec, s[12:13]
	s_and_saveexec_b64 s[12:13], s[10:11]
	s_cbranch_execz .LBB300_213
.LBB300_212:                            ;   in Loop: Header=BB300_171 Depth=1
	v_and_b32_e32 v13, 7, v4
	v_ffbh_u32_e32 v18, v13
	v_min_u32_e32 v38, 32, v18
	v_subrev_u32_e32 v18, 28, v38
	v_bfe_u32 v37, v4, 3, 4
	v_lshlrev_b64 v[18:19], v18, v[4:5]
	v_sub_u32_e32 v19, 29, v38
	v_cmp_eq_u32_e64 s[0:1], 0, v37
	v_and_b32_e32 v18, 7, v18
	v_lshlrev_b32_e32 v4, 8, v4
	v_cndmask_b32_e64 v19, v37, v19, s[0:1]
	v_cndmask_b32_e64 v13, v13, v18, s[0:1]
	v_lshl_add_u32 v18, v19, 10, v3
	v_and_or_b32 v4, v4, s21, v18
	v_lshl_or_b32 v4, v13, 7, v4
	v_cvt_f32_f16_e32 v18, v4
.LBB300_213:                            ;   in Loop: Header=BB300_171 Depth=1
	s_or_b64 exec, exec, s[12:13]
	v_lshrrev_b32_e32 v4, 16, v16
	v_cmp_gt_i16_sdwa s[10:11], v4, s19 src0_sel:BYTE_0 src1_sel:DWORD
	s_mov_b64 s[0:1], 0
                                        ; implicit-def: $sgpr16
	s_and_saveexec_b64 s[12:13], s[10:11]
	s_xor_b64 s[10:11], exec, s[12:13]
	s_cbranch_execnz .LBB300_279
; %bb.214:                              ;   in Loop: Header=BB300_171 Depth=1
	s_or_saveexec_b64 s[10:11], s[10:11]
	v_mov_b32_e32 v13, s16
	s_xor_b64 exec, exec, s[10:11]
	s_cbranch_execnz .LBB300_282
.LBB300_215:                            ;   in Loop: Header=BB300_171 Depth=1
	s_or_b64 exec, exec, s[10:11]
	s_and_saveexec_b64 s[10:11], s[0:1]
	s_cbranch_execz .LBB300_217
.LBB300_216:                            ;   in Loop: Header=BB300_171 Depth=1
	v_bfe_u32 v13, v16, 16, 3
	v_ffbh_u32_e32 v37, v13
	v_bfe_u32 v19, v16, 19, 4
	v_min_u32_e32 v37, 32, v37
	v_subrev_u32_e32 v38, 28, v37
	v_sub_u32_e32 v37, 29, v37
	v_cmp_eq_u32_e64 s[0:1], 0, v19
	v_lshlrev_b64 v[38:39], v38, v[4:5]
	v_and_b32_e32 v38, 7, v38
	v_cndmask_b32_e64 v19, v19, v37, s[0:1]
	v_lshlrev_b32_e32 v4, 8, v4
	v_lshl_add_u32 v19, v19, 10, v3
	v_cndmask_b32_e64 v13, v13, v38, s[0:1]
	v_and_or_b32 v4, v4, s21, v19
	v_lshl_or_b32 v4, v13, 7, v4
	v_cvt_f32_f16_e32 v13, v4
.LBB300_217:                            ;   in Loop: Header=BB300_171 Depth=1
	s_or_b64 exec, exec, s[10:11]
	v_lshrrev_b32_e32 v4, 24, v16
	v_cmp_lt_i16_e64 s[0:1], s19, v4
	s_mov_b64 s[10:11], 0
                                        ; implicit-def: $sgpr31
	s_and_saveexec_b64 s[12:13], s[0:1]
	s_xor_b64 s[12:13], exec, s[12:13]
	s_cbranch_execnz .LBB300_283
; %bb.218:                              ;   in Loop: Header=BB300_171 Depth=1
	s_or_saveexec_b64 s[12:13], s[12:13]
	v_mov_b32_e32 v19, s31
	s_xor_b64 exec, exec, s[12:13]
	s_cbranch_execnz .LBB300_286
.LBB300_219:                            ;   in Loop: Header=BB300_171 Depth=1
	s_or_b64 exec, exec, s[12:13]
	s_and_saveexec_b64 s[12:13], s[10:11]
	s_cbranch_execz .LBB300_221
.LBB300_220:                            ;   in Loop: Header=BB300_171 Depth=1
	v_bfe_u32 v19, v16, 24, 3
	v_ffbh_u32_e32 v37, v19
	v_bfe_u32 v16, v16, 27, 4
	v_min_u32_e32 v37, 32, v37
	v_subrev_u32_e32 v38, 28, v37
	v_sub_u32_e32 v37, 29, v37
	v_cmp_eq_u32_e64 s[0:1], 0, v16
	v_lshlrev_b64 v[38:39], v38, v[4:5]
	v_and_b32_e32 v38, 7, v38
	v_cndmask_b32_e64 v16, v16, v37, s[0:1]
	v_lshlrev_b32_e32 v4, 8, v4
	v_lshl_add_u32 v16, v16, 10, v3
	v_cndmask_b32_e64 v19, v19, v38, s[0:1]
	v_and_or_b32 v4, v4, s21, v16
	v_lshl_or_b32 v4, v19, 7, v4
	v_cvt_f32_f16_e32 v19, v4
.LBB300_221:                            ;   in Loop: Header=BB300_171 Depth=1
	s_or_b64 exec, exec, s[12:13]
	v_cmp_gt_i16_sdwa s[10:11], v17, s19 src0_sel:BYTE_0 src1_sel:DWORD
	s_mov_b64 s[0:1], 0
                                        ; implicit-def: $sgpr16
	s_and_saveexec_b64 s[12:13], s[10:11]
	s_xor_b64 s[10:11], exec, s[12:13]
	s_cbranch_execnz .LBB300_287
; %bb.222:                              ;   in Loop: Header=BB300_171 Depth=1
	s_or_saveexec_b64 s[10:11], s[10:11]
	v_mov_b32_e32 v16, s16
	s_xor_b64 exec, exec, s[10:11]
	s_cbranch_execnz .LBB300_290
.LBB300_223:                            ;   in Loop: Header=BB300_171 Depth=1
	s_or_b64 exec, exec, s[10:11]
	v_mov_b32_e32 v4, v17
	s_and_saveexec_b64 s[10:11], s[0:1]
	s_cbranch_execz .LBB300_225
.LBB300_224:                            ;   in Loop: Header=BB300_171 Depth=1
	v_and_b32_e32 v16, 7, v17
	v_ffbh_u32_e32 v16, v16
	v_bfe_u32 v37, v17, 3, 4
	v_min_u32_e32 v16, 32, v16
	v_subrev_u32_e32 v38, 28, v16
	v_sub_u32_e32 v16, 29, v16
	v_cmp_eq_u32_e64 s[0:1], 0, v37
	s_nop 1
	v_cndmask_b32_e64 v16, v37, v16, s[0:1]
	v_cndmask_b32_e64 v37, 0, v38, s[0:1]
	v_lshlrev_b64 v[38:39], v37, v[4:5]
	v_lshlrev_b32_e32 v37, 7, v38
	v_lshlrev_b32_e32 v38, 8, v17
	v_lshl_add_u32 v16, v16, 10, v3
	v_and_or_b32 v16, v38, s21, v16
	v_and_or_b32 v16, v37, s22, v16
	v_cvt_f32_f16_e32 v16, v16
.LBB300_225:                            ;   in Loop: Header=BB300_171 Depth=1
	s_or_b64 exec, exec, s[10:11]
	v_lshrrev_b16_e32 v4, 8, v4
	v_cmp_lt_i16_e64 s[0:1], s19, v4
	s_mov_b64 s[10:11], 0
                                        ; implicit-def: $sgpr31
	s_and_saveexec_b64 s[12:13], s[0:1]
	s_xor_b64 s[12:13], exec, s[12:13]
	s_cbranch_execnz .LBB300_291
; %bb.226:                              ;   in Loop: Header=BB300_171 Depth=1
	s_or_saveexec_b64 s[12:13], s[12:13]
	v_mov_b32_e32 v37, s31
	s_xor_b64 exec, exec, s[12:13]
	s_cbranch_execnz .LBB300_294
.LBB300_227:                            ;   in Loop: Header=BB300_171 Depth=1
	s_or_b64 exec, exec, s[12:13]
	s_and_saveexec_b64 s[12:13], s[10:11]
	s_cbranch_execz .LBB300_229
.LBB300_228:                            ;   in Loop: Header=BB300_171 Depth=1
	v_and_b32_e32 v37, 7, v4
	v_ffbh_u32_e32 v38, v37
	v_min_u32_e32 v41, 32, v38
	v_subrev_u32_e32 v38, 28, v41
	v_bfe_u32 v40, v4, 3, 4
	v_lshlrev_b64 v[38:39], v38, v[4:5]
	v_sub_u32_e32 v39, 29, v41
	v_cmp_eq_u32_e64 s[0:1], 0, v40
	v_and_b32_e32 v38, 7, v38
	v_lshlrev_b32_e32 v4, 8, v4
	v_cndmask_b32_e64 v39, v40, v39, s[0:1]
	v_cndmask_b32_e64 v37, v37, v38, s[0:1]
	v_lshl_add_u32 v38, v39, 10, v3
	v_and_or_b32 v4, v4, s21, v38
	v_lshl_or_b32 v4, v37, 7, v4
	v_cvt_f32_f16_e32 v37, v4
.LBB300_229:                            ;   in Loop: Header=BB300_171 Depth=1
	s_or_b64 exec, exec, s[12:13]
	v_lshrrev_b32_e32 v4, 16, v17
	v_cmp_gt_i16_sdwa s[10:11], v4, s19 src0_sel:BYTE_0 src1_sel:DWORD
	s_mov_b64 s[0:1], 0
                                        ; implicit-def: $sgpr16
	s_and_saveexec_b64 s[12:13], s[10:11]
	s_xor_b64 s[10:11], exec, s[12:13]
	s_cbranch_execnz .LBB300_295
; %bb.230:                              ;   in Loop: Header=BB300_171 Depth=1
	s_or_saveexec_b64 s[10:11], s[10:11]
	v_mov_b32_e32 v38, s16
	s_xor_b64 exec, exec, s[10:11]
	s_cbranch_execnz .LBB300_298
.LBB300_231:                            ;   in Loop: Header=BB300_171 Depth=1
	s_or_b64 exec, exec, s[10:11]
	s_and_saveexec_b64 s[10:11], s[0:1]
	s_cbranch_execz .LBB300_233
.LBB300_232:                            ;   in Loop: Header=BB300_171 Depth=1
	v_bfe_u32 v40, v17, 16, 3
	v_ffbh_u32_e32 v38, v40
	v_min_u32_e32 v42, 32, v38
	v_subrev_u32_e32 v38, 28, v42
	v_bfe_u32 v41, v17, 19, 4
	v_lshlrev_b64 v[38:39], v38, v[4:5]
	v_sub_u32_e32 v39, 29, v42
	v_cmp_eq_u32_e64 s[0:1], 0, v41
	v_and_b32_e32 v38, 7, v38
	v_lshlrev_b32_e32 v4, 8, v4
	v_cndmask_b32_e64 v39, v41, v39, s[0:1]
	v_lshl_add_u32 v39, v39, 10, v3
	v_cndmask_b32_e64 v38, v40, v38, s[0:1]
	v_and_or_b32 v4, v4, s21, v39
	v_lshl_or_b32 v4, v38, 7, v4
	v_cvt_f32_f16_e32 v38, v4
.LBB300_233:                            ;   in Loop: Header=BB300_171 Depth=1
	s_or_b64 exec, exec, s[10:11]
	v_lshrrev_b32_e32 v4, 24, v17
	v_cmp_lt_i16_e64 s[0:1], s19, v4
	s_mov_b64 s[10:11], 0
                                        ; implicit-def: $sgpr31
	s_and_saveexec_b64 s[12:13], s[0:1]
	s_xor_b64 s[12:13], exec, s[12:13]
	s_cbranch_execnz .LBB300_299
; %bb.234:                              ;   in Loop: Header=BB300_171 Depth=1
	s_or_saveexec_b64 s[12:13], s[12:13]
	v_mov_b32_e32 v39, s31
	s_xor_b64 exec, exec, s[12:13]
	s_cbranch_execnz .LBB300_302
.LBB300_235:                            ;   in Loop: Header=BB300_171 Depth=1
	s_or_b64 exec, exec, s[12:13]
	s_and_saveexec_b64 s[12:13], s[10:11]
	s_cbranch_execz .LBB300_237
.LBB300_236:                            ;   in Loop: Header=BB300_171 Depth=1
	v_bfe_u32 v39, v17, 24, 3
	v_ffbh_u32_e32 v40, v39
	v_min_u32_e32 v42, 32, v40
	v_subrev_u32_e32 v40, 28, v42
	v_bfe_u32 v17, v17, 27, 4
	v_lshlrev_b64 v[40:41], v40, v[4:5]
	v_sub_u32_e32 v41, 29, v42
	v_cmp_eq_u32_e64 s[0:1], 0, v17
	v_and_b32_e32 v40, 7, v40
	v_lshlrev_b32_e32 v4, 8, v4
	v_cndmask_b32_e64 v17, v17, v41, s[0:1]
	v_lshl_add_u32 v17, v17, 10, v3
	v_cndmask_b32_e64 v39, v39, v40, s[0:1]
	v_and_or_b32 v4, v4, s21, v17
	v_lshl_or_b32 v4, v39, 7, v4
	v_cvt_f32_f16_e32 v39, v4
.LBB300_237:                            ;   in Loop: Header=BB300_171 Depth=1
	s_or_b64 exec, exec, s[12:13]
	s_waitcnt vmcnt(0)
	v_pk_mul_f32 v[12:13], v[14:15], v[12:13] op_sel_hi:[0,1]
	v_cvt_f16_f32_e32 v13, v13
	v_cvt_f16_f32_e32 v12, v12
	v_pk_mul_f32 v[18:19], v[14:15], v[18:19] op_sel_hi:[0,1]
	v_cvt_f16_f32_e32 v4, v19
	v_cvt_f16_f32_e32 v17, v18
	v_pack_b32_f16 v12, v12, v13
	v_fma_mixlo_f16 v13, v14, v37, 0
	v_lshlrev_b32_e32 v13, 16, v13
	v_fma_mixlo_f16 v16, v14, v16, 0
	v_or_b32_sdwa v13, v13, v16 dst_sel:DWORD dst_unused:UNUSED_PAD src0_sel:DWORD src1_sel:WORD_0
	v_fma_mixlo_f16 v16, v14, v38, 0
	v_fma_mixlo_f16 v14, v14, v39, 0
	v_pack_b32_f16 v17, v17, v4
	v_lshlrev_b32_e32 v14, 16, v14
	v_perm_b32 v4, v12, v17, s23
	v_perm_b32 v12, v12, v17, s28
	v_or_b32_sdwa v14, v14, v16 dst_sel:DWORD dst_unused:UNUSED_PAD src0_sel:DWORD src1_sel:WORD_0
	s_and_saveexec_b64 s[0:1], vcc
	s_cbranch_execz .LBB300_170
; %bb.238:                              ;   in Loop: Header=BB300_171 Depth=1
	v_lshrrev_b32_e32 v17, 16, v12
	v_cmp_gt_i32_e32 vcc, s18, v30
	v_lshrrev_b32_e32 v14, 16, v14
	s_nop 0
	v_cndmask_b32_e32 v17, 0, v17, vcc
	v_cmp_gt_i32_e32 vcc, s29, v1
	s_nop 1
	v_cndmask_b32_e32 v12, 0, v12, vcc
	v_perm_b32 v12, v17, v12, s30
	v_lshrrev_b32_e32 v17, 16, v4
	v_cmp_gt_i32_e32 vcc, s18, v29
	s_nop 1
	v_cndmask_b32_e32 v17, 0, v17, vcc
	v_cmp_gt_i32_e32 vcc, s29, v28
	s_nop 1
	v_cndmask_b32_e32 v4, 0, v4, vcc
	v_perm_b32 v4, v17, v4, s30
	v_lshrrev_b32_e32 v17, 16, v13
	v_cmp_gt_i32_e32 vcc, s18, v27
	s_nop 1
	v_cndmask_b32_e32 v17, 0, v17, vcc
	v_cmp_gt_i32_e32 vcc, s29, v26
	s_nop 1
	v_cndmask_b32_e32 v13, 0, v13, vcc
	v_cmp_gt_i32_e32 vcc, s18, v21
	v_perm_b32 v13, v17, v13, s30
	s_nop 0
	v_cndmask_b32_e32 v14, 0, v14, vcc
	v_cmp_gt_i32_e32 vcc, s29, v20
	s_nop 1
	v_cndmask_b32_e32 v16, 0, v16, vcc
	v_perm_b32 v14, v14, v16, s30
	s_branch .LBB300_170
.LBB300_239:                            ;   in Loop: Header=BB300_171 Depth=1
	v_cmp_eq_u16_sdwa s[34:35], v16, s20 src0_sel:BYTE_0 src1_sel:DWORD
	s_mov_b64 s[0:1], -1
                                        ; implicit-def: $sgpr16
	s_and_saveexec_b64 s[12:13], s[34:35]
; %bb.240:                              ;   in Loop: Header=BB300_171 Depth=1
	s_mov_b32 s16, 0x7fc02000
	s_xor_b64 s[0:1], exec, -1
; %bb.241:                              ;   in Loop: Header=BB300_171 Depth=1
	s_or_b64 exec, exec, s[12:13]
	s_and_b64 s[0:1], s[0:1], exec
	s_or_saveexec_b64 s[10:11], s[10:11]
	v_mov_b32_e32 v18, s16
	s_xor_b64 exec, exec, s[10:11]
	s_cbranch_execz .LBB300_173
.LBB300_242:                            ;   in Loop: Header=BB300_171 Depth=1
	v_cmp_ne_u16_sdwa s[12:13], v16, v5 src0_sel:BYTE_0 src1_sel:DWORD
	s_andn2_b64 s[0:1], s[0:1], exec
	s_and_b64 s[12:13], s[12:13], exec
	v_mov_b32_e32 v18, 0
	s_or_b64 s[0:1], s[0:1], s[12:13]
	s_or_b64 exec, exec, s[10:11]
	s_and_saveexec_b64 s[10:11], s[0:1]
	s_cbranch_execnz .LBB300_174
	s_branch .LBB300_175
.LBB300_243:                            ;   in Loop: Header=BB300_171 Depth=1
	v_cmp_eq_u16_e32 vcc, s20, v4
	s_mov_b64 s[0:1], -1
                                        ; implicit-def: $sgpr16
	s_and_saveexec_b64 s[12:13], vcc
; %bb.244:                              ;   in Loop: Header=BB300_171 Depth=1
	s_mov_b32 s16, 0x7fc02000
	s_xor_b64 s[0:1], exec, -1
; %bb.245:                              ;   in Loop: Header=BB300_171 Depth=1
	s_or_b64 exec, exec, s[12:13]
	s_and_b64 s[0:1], s[0:1], exec
	s_or_saveexec_b64 s[10:11], s[10:11]
	v_mov_b32_e32 v20, s16
	s_xor_b64 exec, exec, s[10:11]
	s_cbranch_execz .LBB300_177
.LBB300_246:                            ;   in Loop: Header=BB300_171 Depth=1
	v_cmp_ne_u16_e32 vcc, 0, v4
	s_andn2_b64 s[0:1], s[0:1], exec
	s_and_b64 s[12:13], vcc, exec
	v_mov_b32_e32 v20, 0
	s_or_b64 s[0:1], s[0:1], s[12:13]
	s_or_b64 exec, exec, s[10:11]
	s_and_saveexec_b64 s[10:11], s[0:1]
	s_cbranch_execnz .LBB300_178
	s_branch .LBB300_179
.LBB300_247:                            ;   in Loop: Header=BB300_171 Depth=1
	v_cmp_eq_u16_sdwa s[34:35], v4, s20 src0_sel:BYTE_0 src1_sel:DWORD
	s_mov_b64 s[0:1], -1
                                        ; implicit-def: $sgpr16
	s_and_saveexec_b64 s[12:13], s[34:35]
; %bb.248:                              ;   in Loop: Header=BB300_171 Depth=1
	s_mov_b32 s16, 0x7fc02000
	s_xor_b64 s[0:1], exec, -1
; %bb.249:                              ;   in Loop: Header=BB300_171 Depth=1
	s_or_b64 exec, exec, s[12:13]
	s_and_b64 s[0:1], s[0:1], exec
	s_or_saveexec_b64 s[10:11], s[10:11]
	v_mov_b32_e32 v19, s16
	s_xor_b64 exec, exec, s[10:11]
	s_cbranch_execz .LBB300_181
.LBB300_250:                            ;   in Loop: Header=BB300_171 Depth=1
	v_cmp_ne_u16_sdwa s[12:13], v4, v5 src0_sel:BYTE_0 src1_sel:DWORD
	s_andn2_b64 s[0:1], s[0:1], exec
	s_and_b64 s[12:13], s[12:13], exec
	v_mov_b32_e32 v19, 0
	s_or_b64 s[0:1], s[0:1], s[12:13]
	s_or_b64 exec, exec, s[10:11]
	s_and_saveexec_b64 s[10:11], s[0:1]
	s_cbranch_execnz .LBB300_182
	s_branch .LBB300_183
.LBB300_251:                            ;   in Loop: Header=BB300_171 Depth=1
	v_cmp_eq_u16_e32 vcc, s20, v4
	s_mov_b64 s[0:1], -1
                                        ; implicit-def: $sgpr16
	s_and_saveexec_b64 s[12:13], vcc
; %bb.252:                              ;   in Loop: Header=BB300_171 Depth=1
	s_mov_b32 s16, 0x7fc02000
	s_xor_b64 s[0:1], exec, -1
; %bb.253:                              ;   in Loop: Header=BB300_171 Depth=1
	s_or_b64 exec, exec, s[12:13]
	s_and_b64 s[0:1], s[0:1], exec
	s_or_saveexec_b64 s[10:11], s[10:11]
	v_mov_b32_e32 v21, s16
	s_xor_b64 exec, exec, s[10:11]
	s_cbranch_execz .LBB300_185
.LBB300_254:                            ;   in Loop: Header=BB300_171 Depth=1
	v_cmp_ne_u16_e32 vcc, 0, v4
	s_andn2_b64 s[0:1], s[0:1], exec
	s_and_b64 s[12:13], vcc, exec
	v_mov_b32_e32 v21, 0
	s_or_b64 s[0:1], s[0:1], s[12:13]
	s_or_b64 exec, exec, s[10:11]
	s_and_saveexec_b64 s[10:11], s[0:1]
	s_cbranch_execnz .LBB300_186
	s_branch .LBB300_187
.LBB300_255:                            ;   in Loop: Header=BB300_171 Depth=1
	v_cmp_eq_u16_sdwa s[34:35], v17, s20 src0_sel:BYTE_0 src1_sel:DWORD
	s_mov_b64 s[0:1], -1
                                        ; implicit-def: $sgpr16
	s_and_saveexec_b64 s[12:13], s[34:35]
; %bb.256:                              ;   in Loop: Header=BB300_171 Depth=1
	s_mov_b32 s16, 0x7fc02000
	s_xor_b64 s[0:1], exec, -1
; %bb.257:                              ;   in Loop: Header=BB300_171 Depth=1
	s_or_b64 exec, exec, s[12:13]
	s_and_b64 s[0:1], s[0:1], exec
	s_or_saveexec_b64 s[10:11], s[10:11]
	v_mov_b32_e32 v16, s16
	s_xor_b64 exec, exec, s[10:11]
	s_cbranch_execz .LBB300_189
.LBB300_258:                            ;   in Loop: Header=BB300_171 Depth=1
	v_cmp_ne_u16_sdwa s[12:13], v17, v5 src0_sel:BYTE_0 src1_sel:DWORD
	s_andn2_b64 s[0:1], s[0:1], exec
	s_and_b64 s[12:13], s[12:13], exec
	v_mov_b32_e32 v16, 0
	s_or_b64 s[0:1], s[0:1], s[12:13]
	s_or_b64 exec, exec, s[10:11]
	v_mov_b32_e32 v4, v17
	s_and_saveexec_b64 s[10:11], s[0:1]
	s_cbranch_execnz .LBB300_190
	s_branch .LBB300_191
.LBB300_259:                            ;   in Loop: Header=BB300_171 Depth=1
	v_cmp_eq_u16_e32 vcc, s20, v4
	s_mov_b64 s[0:1], -1
                                        ; implicit-def: $sgpr16
	s_and_saveexec_b64 s[12:13], vcc
; %bb.260:                              ;   in Loop: Header=BB300_171 Depth=1
	s_mov_b32 s16, 0x7fc02000
	s_xor_b64 s[0:1], exec, -1
; %bb.261:                              ;   in Loop: Header=BB300_171 Depth=1
	s_or_b64 exec, exec, s[12:13]
	s_and_b64 s[0:1], s[0:1], exec
	s_or_saveexec_b64 s[10:11], s[10:11]
	v_mov_b32_e32 v26, s16
	s_xor_b64 exec, exec, s[10:11]
	s_cbranch_execz .LBB300_193
.LBB300_262:                            ;   in Loop: Header=BB300_171 Depth=1
	v_cmp_ne_u16_e32 vcc, 0, v4
	s_andn2_b64 s[0:1], s[0:1], exec
	s_and_b64 s[12:13], vcc, exec
	v_mov_b32_e32 v26, 0
	s_or_b64 s[0:1], s[0:1], s[12:13]
	s_or_b64 exec, exec, s[10:11]
	s_and_saveexec_b64 s[10:11], s[0:1]
	s_cbranch_execnz .LBB300_194
	s_branch .LBB300_195
.LBB300_263:                            ;   in Loop: Header=BB300_171 Depth=1
	v_cmp_eq_u16_sdwa s[34:35], v4, s20 src0_sel:BYTE_0 src1_sel:DWORD
	s_mov_b64 s[0:1], -1
                                        ; implicit-def: $sgpr16
	s_and_saveexec_b64 s[12:13], s[34:35]
; %bb.264:                              ;   in Loop: Header=BB300_171 Depth=1
	s_mov_b32 s16, 0x7fc02000
	s_xor_b64 s[0:1], exec, -1
; %bb.265:                              ;   in Loop: Header=BB300_171 Depth=1
	s_or_b64 exec, exec, s[12:13]
	s_and_b64 s[0:1], s[0:1], exec
	s_or_saveexec_b64 s[10:11], s[10:11]
	v_mov_b32_e32 v27, s16
	s_xor_b64 exec, exec, s[10:11]
	s_cbranch_execz .LBB300_197
.LBB300_266:                            ;   in Loop: Header=BB300_171 Depth=1
	v_cmp_ne_u16_sdwa s[12:13], v4, v5 src0_sel:BYTE_0 src1_sel:DWORD
	s_andn2_b64 s[0:1], s[0:1], exec
	s_and_b64 s[12:13], s[12:13], exec
	v_mov_b32_e32 v27, 0
	s_or_b64 s[0:1], s[0:1], s[12:13]
	s_or_b64 exec, exec, s[10:11]
	s_and_saveexec_b64 s[10:11], s[0:1]
	s_cbranch_execnz .LBB300_198
	s_branch .LBB300_199
.LBB300_267:                            ;   in Loop: Header=BB300_171 Depth=1
	v_cmp_eq_u16_e32 vcc, s20, v4
	s_mov_b64 s[0:1], -1
                                        ; implicit-def: $sgpr16
	s_and_saveexec_b64 s[12:13], vcc
; %bb.268:                              ;   in Loop: Header=BB300_171 Depth=1
	s_mov_b32 s16, 0x7fc02000
	s_xor_b64 s[0:1], exec, -1
; %bb.269:                              ;   in Loop: Header=BB300_171 Depth=1
	s_or_b64 exec, exec, s[12:13]
	s_and_b64 s[0:1], s[0:1], exec
	s_or_saveexec_b64 s[10:11], s[10:11]
	v_mov_b32_e32 v28, s16
	s_xor_b64 exec, exec, s[10:11]
	s_cbranch_execz .LBB300_201
.LBB300_270:                            ;   in Loop: Header=BB300_171 Depth=1
	v_cmp_ne_u16_e32 vcc, 0, v4
	s_andn2_b64 s[0:1], s[0:1], exec
	s_and_b64 s[12:13], vcc, exec
	v_mov_b32_e32 v28, 0
	s_or_b64 s[0:1], s[0:1], s[12:13]
	s_or_b64 exec, exec, s[10:11]
	s_and_saveexec_b64 s[10:11], s[0:1]
	s_cbranch_execnz .LBB300_202
	s_branch .LBB300_203
.LBB300_271:                            ;   in Loop: Header=BB300_171 Depth=1
	v_cmp_eq_u16_sdwa s[34:35], v16, s20 src0_sel:BYTE_0 src1_sel:DWORD
	s_mov_b64 s[0:1], -1
                                        ; implicit-def: $sgpr16
	s_and_saveexec_b64 s[12:13], s[34:35]
; %bb.272:                              ;   in Loop: Header=BB300_171 Depth=1
	s_mov_b32 s16, 0x7fc02000
	s_xor_b64 s[0:1], exec, -1
; %bb.273:                              ;   in Loop: Header=BB300_171 Depth=1
	s_or_b64 exec, exec, s[12:13]
	s_and_b64 s[0:1], s[0:1], exec
	s_or_saveexec_b64 s[10:11], s[10:11]
	v_mov_b32_e32 v12, s16
	s_xor_b64 exec, exec, s[10:11]
	s_cbranch_execz .LBB300_207
.LBB300_274:                            ;   in Loop: Header=BB300_171 Depth=1
	v_cmp_ne_u16_sdwa s[12:13], v16, v5 src0_sel:BYTE_0 src1_sel:DWORD
	s_andn2_b64 s[0:1], s[0:1], exec
	s_and_b64 s[12:13], s[12:13], exec
	v_mov_b32_e32 v12, 0
	s_or_b64 s[0:1], s[0:1], s[12:13]
	s_or_b64 exec, exec, s[10:11]
	s_and_saveexec_b64 s[10:11], s[0:1]
	s_cbranch_execnz .LBB300_208
	s_branch .LBB300_209
.LBB300_275:                            ;   in Loop: Header=BB300_171 Depth=1
	v_cmp_eq_u16_e64 s[0:1], s20, v4
	s_mov_b64 s[10:11], -1
                                        ; implicit-def: $sgpr31
	s_and_saveexec_b64 s[16:17], s[0:1]
; %bb.276:                              ;   in Loop: Header=BB300_171 Depth=1
	s_mov_b32 s31, 0x7fc02000
	s_xor_b64 s[10:11], exec, -1
; %bb.277:                              ;   in Loop: Header=BB300_171 Depth=1
	s_or_b64 exec, exec, s[16:17]
	s_and_b64 s[10:11], s[10:11], exec
	s_or_saveexec_b64 s[12:13], s[12:13]
	v_mov_b32_e32 v18, s31
	s_xor_b64 exec, exec, s[12:13]
	s_cbranch_execz .LBB300_211
.LBB300_278:                            ;   in Loop: Header=BB300_171 Depth=1
	v_cmp_ne_u16_e64 s[0:1], 0, v4
	s_andn2_b64 s[10:11], s[10:11], exec
	s_and_b64 s[0:1], s[0:1], exec
	v_mov_b32_e32 v18, 0
	s_or_b64 s[10:11], s[10:11], s[0:1]
	s_or_b64 exec, exec, s[12:13]
	s_and_saveexec_b64 s[12:13], s[10:11]
	s_cbranch_execnz .LBB300_212
	s_branch .LBB300_213
.LBB300_279:                            ;   in Loop: Header=BB300_171 Depth=1
	v_cmp_eq_u16_sdwa s[34:35], v4, s20 src0_sel:BYTE_0 src1_sel:DWORD
	s_mov_b64 s[0:1], -1
                                        ; implicit-def: $sgpr16
	s_and_saveexec_b64 s[12:13], s[34:35]
; %bb.280:                              ;   in Loop: Header=BB300_171 Depth=1
	s_mov_b32 s16, 0x7fc02000
	s_xor_b64 s[0:1], exec, -1
; %bb.281:                              ;   in Loop: Header=BB300_171 Depth=1
	s_or_b64 exec, exec, s[12:13]
	s_and_b64 s[0:1], s[0:1], exec
	s_or_saveexec_b64 s[10:11], s[10:11]
	v_mov_b32_e32 v13, s16
	s_xor_b64 exec, exec, s[10:11]
	s_cbranch_execz .LBB300_215
.LBB300_282:                            ;   in Loop: Header=BB300_171 Depth=1
	v_cmp_ne_u16_sdwa s[12:13], v4, v5 src0_sel:BYTE_0 src1_sel:DWORD
	s_andn2_b64 s[0:1], s[0:1], exec
	s_and_b64 s[12:13], s[12:13], exec
	v_mov_b32_e32 v13, 0
	s_or_b64 s[0:1], s[0:1], s[12:13]
	s_or_b64 exec, exec, s[10:11]
	s_and_saveexec_b64 s[10:11], s[0:1]
	s_cbranch_execnz .LBB300_216
	s_branch .LBB300_217
.LBB300_283:                            ;   in Loop: Header=BB300_171 Depth=1
	v_cmp_eq_u16_e64 s[0:1], s20, v4
	s_mov_b64 s[10:11], -1
                                        ; implicit-def: $sgpr31
	s_and_saveexec_b64 s[16:17], s[0:1]
; %bb.284:                              ;   in Loop: Header=BB300_171 Depth=1
	s_mov_b32 s31, 0x7fc02000
	s_xor_b64 s[10:11], exec, -1
; %bb.285:                              ;   in Loop: Header=BB300_171 Depth=1
	s_or_b64 exec, exec, s[16:17]
	s_and_b64 s[10:11], s[10:11], exec
	s_or_saveexec_b64 s[12:13], s[12:13]
	v_mov_b32_e32 v19, s31
	s_xor_b64 exec, exec, s[12:13]
	s_cbranch_execz .LBB300_219
.LBB300_286:                            ;   in Loop: Header=BB300_171 Depth=1
	v_cmp_ne_u16_e64 s[0:1], 0, v4
	s_andn2_b64 s[10:11], s[10:11], exec
	s_and_b64 s[0:1], s[0:1], exec
	v_mov_b32_e32 v19, 0
	s_or_b64 s[10:11], s[10:11], s[0:1]
	s_or_b64 exec, exec, s[12:13]
	s_and_saveexec_b64 s[12:13], s[10:11]
	s_cbranch_execnz .LBB300_220
	s_branch .LBB300_221
.LBB300_287:                            ;   in Loop: Header=BB300_171 Depth=1
	v_cmp_eq_u16_sdwa s[34:35], v17, s20 src0_sel:BYTE_0 src1_sel:DWORD
	s_mov_b64 s[0:1], -1
                                        ; implicit-def: $sgpr16
	s_and_saveexec_b64 s[12:13], s[34:35]
; %bb.288:                              ;   in Loop: Header=BB300_171 Depth=1
	s_mov_b32 s16, 0x7fc02000
	s_xor_b64 s[0:1], exec, -1
; %bb.289:                              ;   in Loop: Header=BB300_171 Depth=1
	s_or_b64 exec, exec, s[12:13]
	s_and_b64 s[0:1], s[0:1], exec
	s_or_saveexec_b64 s[10:11], s[10:11]
	v_mov_b32_e32 v16, s16
	s_xor_b64 exec, exec, s[10:11]
	s_cbranch_execz .LBB300_223
.LBB300_290:                            ;   in Loop: Header=BB300_171 Depth=1
	v_cmp_ne_u16_sdwa s[12:13], v17, v5 src0_sel:BYTE_0 src1_sel:DWORD
	s_andn2_b64 s[0:1], s[0:1], exec
	s_and_b64 s[12:13], s[12:13], exec
	v_mov_b32_e32 v16, 0
	s_or_b64 s[0:1], s[0:1], s[12:13]
	s_or_b64 exec, exec, s[10:11]
	v_mov_b32_e32 v4, v17
	s_and_saveexec_b64 s[10:11], s[0:1]
	s_cbranch_execnz .LBB300_224
	s_branch .LBB300_225
.LBB300_291:                            ;   in Loop: Header=BB300_171 Depth=1
	v_cmp_eq_u16_e64 s[0:1], s20, v4
	s_mov_b64 s[10:11], -1
                                        ; implicit-def: $sgpr31
	s_and_saveexec_b64 s[16:17], s[0:1]
; %bb.292:                              ;   in Loop: Header=BB300_171 Depth=1
	s_mov_b32 s31, 0x7fc02000
	s_xor_b64 s[10:11], exec, -1
; %bb.293:                              ;   in Loop: Header=BB300_171 Depth=1
	s_or_b64 exec, exec, s[16:17]
	s_and_b64 s[10:11], s[10:11], exec
	s_or_saveexec_b64 s[12:13], s[12:13]
	v_mov_b32_e32 v37, s31
	s_xor_b64 exec, exec, s[12:13]
	s_cbranch_execz .LBB300_227
.LBB300_294:                            ;   in Loop: Header=BB300_171 Depth=1
	v_cmp_ne_u16_e64 s[0:1], 0, v4
	s_andn2_b64 s[10:11], s[10:11], exec
	s_and_b64 s[0:1], s[0:1], exec
	v_mov_b32_e32 v37, 0
	s_or_b64 s[10:11], s[10:11], s[0:1]
	s_or_b64 exec, exec, s[12:13]
	s_and_saveexec_b64 s[12:13], s[10:11]
	s_cbranch_execnz .LBB300_228
	s_branch .LBB300_229
.LBB300_295:                            ;   in Loop: Header=BB300_171 Depth=1
	v_cmp_eq_u16_sdwa s[34:35], v4, s20 src0_sel:BYTE_0 src1_sel:DWORD
	s_mov_b64 s[0:1], -1
                                        ; implicit-def: $sgpr16
	s_and_saveexec_b64 s[12:13], s[34:35]
; %bb.296:                              ;   in Loop: Header=BB300_171 Depth=1
	s_mov_b32 s16, 0x7fc02000
	s_xor_b64 s[0:1], exec, -1
; %bb.297:                              ;   in Loop: Header=BB300_171 Depth=1
	s_or_b64 exec, exec, s[12:13]
	s_and_b64 s[0:1], s[0:1], exec
	s_or_saveexec_b64 s[10:11], s[10:11]
	v_mov_b32_e32 v38, s16
	s_xor_b64 exec, exec, s[10:11]
	s_cbranch_execz .LBB300_231
.LBB300_298:                            ;   in Loop: Header=BB300_171 Depth=1
	v_cmp_ne_u16_sdwa s[12:13], v4, v5 src0_sel:BYTE_0 src1_sel:DWORD
	s_andn2_b64 s[0:1], s[0:1], exec
	s_and_b64 s[12:13], s[12:13], exec
	v_mov_b32_e32 v38, 0
	s_or_b64 s[0:1], s[0:1], s[12:13]
	s_or_b64 exec, exec, s[10:11]
	s_and_saveexec_b64 s[10:11], s[0:1]
	s_cbranch_execnz .LBB300_232
	s_branch .LBB300_233
.LBB300_299:                            ;   in Loop: Header=BB300_171 Depth=1
	v_cmp_eq_u16_e64 s[0:1], s20, v4
	s_mov_b64 s[10:11], -1
                                        ; implicit-def: $sgpr31
	s_and_saveexec_b64 s[16:17], s[0:1]
; %bb.300:                              ;   in Loop: Header=BB300_171 Depth=1
	s_mov_b32 s31, 0x7fc02000
	s_xor_b64 s[10:11], exec, -1
; %bb.301:                              ;   in Loop: Header=BB300_171 Depth=1
	s_or_b64 exec, exec, s[16:17]
	s_and_b64 s[10:11], s[10:11], exec
	s_or_saveexec_b64 s[12:13], s[12:13]
	v_mov_b32_e32 v39, s31
	s_xor_b64 exec, exec, s[12:13]
	s_cbranch_execz .LBB300_235
.LBB300_302:                            ;   in Loop: Header=BB300_171 Depth=1
	v_cmp_ne_u16_e64 s[0:1], 0, v4
	s_andn2_b64 s[10:11], s[10:11], exec
	s_and_b64 s[0:1], s[0:1], exec
	v_mov_b32_e32 v39, 0
	s_or_b64 s[10:11], s[10:11], s[0:1]
	s_or_b64 exec, exec, s[12:13]
	s_and_saveexec_b64 s[12:13], s[10:11]
	s_cbranch_execnz .LBB300_236
	s_branch .LBB300_237
.LBB300_303:
	s_or_b64 exec, exec, s[8:9]
.LBB300_304:
	s_or_b64 exec, exec, s[2:3]
	ds_bpermute_b32 v2, v23, v8
	ds_bpermute_b32 v3, v23, v9
	v_and_b32_e32 v1, 0x3c3, v0
	v_cmp_eq_u32_e32 vcc, 64, v1
	s_waitcnt lgkmcnt(0)
	s_barrier
	v_pk_add_f32 v[2:3], v[8:9], v[2:3]
	ds_bpermute_b32 v4, v24, v2
	ds_bpermute_b32 v5, v24, v3
	s_waitcnt lgkmcnt(0)
	v_pk_add_f32 v[2:3], v[2:3], v[4:5]
	s_and_saveexec_b64 s[0:1], vcc
	s_cbranch_execz .LBB300_306
; %bb.305:
	v_add_u32_e32 v5, 0x50, v22
	v_add_u32_e32 v4, 0x50, v0
	ds_write_b32 v5, v2
	ds_write_b32 v4, v3
.LBB300_306:
	s_or_b64 exec, exec, s[0:1]
	v_cmp_gt_u32_e32 vcc, 64, v0
	s_waitcnt lgkmcnt(0)
	s_barrier
	s_and_saveexec_b64 s[0:1], vcc
	s_cbranch_execz .LBB300_312
; %bb.307:
	v_cmp_eq_u32_e32 vcc, 0, v25
	v_lshrrev_b32_e32 v4, 2, v0
	s_and_saveexec_b64 s[2:3], vcc
	s_cbranch_execz .LBB300_309
; %bb.308:
	v_mov_b32_e32 v5, 0x50
	v_lshl_add_u32 v5, v4, 2, v5
	ds_read_b32 v5, v5
	s_waitcnt lgkmcnt(0)
	v_add_f32_e32 v2, v2, v5
.LBB300_309:
	s_or_b64 exec, exec, s[2:3]
	s_and_saveexec_b64 s[2:3], vcc
	s_cbranch_execz .LBB300_311
; %bb.310:
	v_mov_b32_e32 v5, 0x50
	v_lshl_add_u32 v4, v4, 2, v5
	ds_read_b32 v4, v4 offset:64
	s_waitcnt lgkmcnt(0)
	v_add_f32_e32 v3, v3, v4
.LBB300_311:
	s_or_b64 exec, exec, s[2:3]
.LBB300_312:
	s_or_b64 exec, exec, s[0:1]
	v_cmp_eq_u32_e32 vcc, 0, v1
	s_barrier
	s_and_saveexec_b64 s[0:1], vcc
	s_cbranch_execz .LBB300_314
; %bb.313:
	s_lshl_b32 s0, s6, 5
	s_ashr_i32 s1, s0, 31
	s_lshl_b64 s[0:1], s[0:1], 1
	s_add_u32 s2, s26, s0
	s_mul_i32 s0, s25, s24
	s_addc_u32 s3, s27, s1
	s_ashr_i32 s1, s0, 31
	s_lshl_b64 s[0:1], s[0:1], 1
	s_add_u32 s2, s2, s0
	s_addc_u32 s3, s3, s1
	s_lshl_b32 s0, s4, 5
	s_ashr_i32 s1, s0, 31
	s_lshl_b64 s[0:1], s[0:1], 1
	s_add_u32 s0, s2, s0
	s_addc_u32 s1, s3, s1
	v_lshrrev_b32_e32 v0, 1, v0
	;;#ASMSTART
	v_cvt_f16_f32 v1, v2;

	;;#ASMEND
	global_store_short v0, v1, s[0:1]
	;;#ASMSTART
	v_cvt_f16_f32 v1, v3;

	;;#ASMEND
	global_store_short v0, v1, s[0:1] offset:32
.LBB300_314:
	s_endpgm
	.section	.rodata,"a",@progbits
	.p2align	6, 0x0
	.amdhsa_kernel _ZN4vllm25paged_attention_v2_kernelIthLi32ELi32ELi128ELNS_18Fp8KVCacheDataTypeE1ELb0ELi512EEEvPfS2_PT_PKS3_PKT0_S9_ifPKiSB_iPKfiiiSD_SD_iiiii
		.amdhsa_group_segment_fixed_size 80
		.amdhsa_private_segment_fixed_size 0
		.amdhsa_kernarg_size 400
		.amdhsa_user_sgpr_count 2
		.amdhsa_user_sgpr_dispatch_ptr 0
		.amdhsa_user_sgpr_queue_ptr 0
		.amdhsa_user_sgpr_kernarg_segment_ptr 1
		.amdhsa_user_sgpr_dispatch_id 0
		.amdhsa_user_sgpr_kernarg_preload_length 0
		.amdhsa_user_sgpr_kernarg_preload_offset 0
		.amdhsa_user_sgpr_private_segment_size 0
		.amdhsa_uses_dynamic_stack 0
		.amdhsa_enable_private_segment 0
		.amdhsa_system_sgpr_workgroup_id_x 1
		.amdhsa_system_sgpr_workgroup_id_y 1
		.amdhsa_system_sgpr_workgroup_id_z 1
		.amdhsa_system_sgpr_workgroup_info 0
		.amdhsa_system_vgpr_workitem_id 0
		.amdhsa_next_free_vgpr 44
		.amdhsa_next_free_sgpr 56
		.amdhsa_accum_offset 44
		.amdhsa_reserve_vcc 1
		.amdhsa_float_round_mode_32 0
		.amdhsa_float_round_mode_16_64 0
		.amdhsa_float_denorm_mode_32 3
		.amdhsa_float_denorm_mode_16_64 3
		.amdhsa_dx10_clamp 1
		.amdhsa_ieee_mode 1
		.amdhsa_fp16_overflow 0
		.amdhsa_tg_split 0
		.amdhsa_exception_fp_ieee_invalid_op 0
		.amdhsa_exception_fp_denorm_src 0
		.amdhsa_exception_fp_ieee_div_zero 0
		.amdhsa_exception_fp_ieee_overflow 0
		.amdhsa_exception_fp_ieee_underflow 0
		.amdhsa_exception_fp_ieee_inexact 0
		.amdhsa_exception_int_div_zero 0
	.end_amdhsa_kernel
	.section	.text._ZN4vllm25paged_attention_v2_kernelIthLi32ELi32ELi128ELNS_18Fp8KVCacheDataTypeE1ELb0ELi512EEEvPfS2_PT_PKS3_PKT0_S9_ifPKiSB_iPKfiiiSD_SD_iiiii,"axG",@progbits,_ZN4vllm25paged_attention_v2_kernelIthLi32ELi32ELi128ELNS_18Fp8KVCacheDataTypeE1ELb0ELi512EEEvPfS2_PT_PKS3_PKT0_S9_ifPKiSB_iPKfiiiSD_SD_iiiii,comdat
.Lfunc_end300:
	.size	_ZN4vllm25paged_attention_v2_kernelIthLi32ELi32ELi128ELNS_18Fp8KVCacheDataTypeE1ELb0ELi512EEEvPfS2_PT_PKS3_PKT0_S9_ifPKiSB_iPKfiiiSD_SD_iiiii, .Lfunc_end300-_ZN4vllm25paged_attention_v2_kernelIthLi32ELi32ELi128ELNS_18Fp8KVCacheDataTypeE1ELb0ELi512EEEvPfS2_PT_PKS3_PKT0_S9_ifPKiSB_iPKfiiiSD_SD_iiiii
                                        ; -- End function
	.section	.AMDGPU.csdata,"",@progbits
; Kernel info:
; codeLenInByte = 12852
; NumSgprs: 62
; NumVgprs: 44
; NumAgprs: 0
; TotalNumVgprs: 44
; ScratchSize: 0
; MemoryBound: 0
; FloatMode: 240
; IeeeMode: 1
; LDSByteSize: 80 bytes/workgroup (compile time only)
; SGPRBlocks: 7
; VGPRBlocks: 5
; NumSGPRsForWavesPerEU: 62
; NumVGPRsForWavesPerEU: 44
; AccumOffset: 44
; Occupancy: 8
; WaveLimiterHint : 1
; COMPUTE_PGM_RSRC2:SCRATCH_EN: 0
; COMPUTE_PGM_RSRC2:USER_SGPR: 2
; COMPUTE_PGM_RSRC2:TRAP_HANDLER: 0
; COMPUTE_PGM_RSRC2:TGID_X_EN: 1
; COMPUTE_PGM_RSRC2:TGID_Y_EN: 1
; COMPUTE_PGM_RSRC2:TGID_Z_EN: 1
; COMPUTE_PGM_RSRC2:TIDIG_COMP_CNT: 0
; COMPUTE_PGM_RSRC3_GFX90A:ACCUM_OFFSET: 10
; COMPUTE_PGM_RSRC3_GFX90A:TG_SPLIT: 0
	.section	.text._ZN4vllm25paged_attention_v2_kernelIthLi64ELi32ELi128ELNS_18Fp8KVCacheDataTypeE1ELb0ELi512EEEvPfS2_PT_PKS3_PKT0_S9_ifPKiSB_iPKfiiiSD_SD_iiiii,"axG",@progbits,_ZN4vllm25paged_attention_v2_kernelIthLi64ELi32ELi128ELNS_18Fp8KVCacheDataTypeE1ELb0ELi512EEEvPfS2_PT_PKS3_PKT0_S9_ifPKiSB_iPKfiiiSD_SD_iiiii,comdat
	.protected	_ZN4vllm25paged_attention_v2_kernelIthLi64ELi32ELi128ELNS_18Fp8KVCacheDataTypeE1ELb0ELi512EEEvPfS2_PT_PKS3_PKT0_S9_ifPKiSB_iPKfiiiSD_SD_iiiii ; -- Begin function _ZN4vllm25paged_attention_v2_kernelIthLi64ELi32ELi128ELNS_18Fp8KVCacheDataTypeE1ELb0ELi512EEEvPfS2_PT_PKS3_PKT0_S9_ifPKiSB_iPKfiiiSD_SD_iiiii
	.globl	_ZN4vllm25paged_attention_v2_kernelIthLi64ELi32ELi128ELNS_18Fp8KVCacheDataTypeE1ELb0ELi512EEEvPfS2_PT_PKS3_PKT0_S9_ifPKiSB_iPKfiiiSD_SD_iiiii
	.p2align	8
	.type	_ZN4vllm25paged_attention_v2_kernelIthLi64ELi32ELi128ELNS_18Fp8KVCacheDataTypeE1ELb0ELi512EEEvPfS2_PT_PKS3_PKT0_S9_ifPKiSB_iPKfiiiSD_SD_iiiii,@function
_ZN4vllm25paged_attention_v2_kernelIthLi64ELi32ELi128ELNS_18Fp8KVCacheDataTypeE1ELb0ELi512EEEvPfS2_PT_PKS3_PKT0_S9_ifPKiSB_iPKfiiiSD_SD_iiiii: ; @_ZN4vllm25paged_attention_v2_kernelIthLi64ELi32ELi128ELNS_18Fp8KVCacheDataTypeE1ELb0ELi512EEEvPfS2_PT_PKS3_PKT0_S9_ifPKiSB_iPKfiiiSD_SD_iiiii
; %bb.0:
	s_load_dwordx2 s[6:7], s[0:1], 0x40
	s_mov_b32 s28, s3
	s_ashr_i32 s29, s3, 31
	s_lshl_b64 s[8:9], s[28:29], 2
	s_waitcnt lgkmcnt(0)
	s_add_u32 s6, s6, s8
	s_addc_u32 s7, s7, s9
	s_load_dword s29, s[6:7], 0x0
	s_lshl_b32 s46, s4, 9
	s_waitcnt lgkmcnt(0)
	s_cmp_ge_i32 s46, s29
	s_cbranch_scc1 .LBB301_575
; %bb.1:
	s_load_dword s5, s[0:1], 0x90
	s_load_dwordx2 s[10:11], s[0:1], 0x30
	s_waitcnt lgkmcnt(0)
	s_abs_i32 s7, s5
	s_abs_i32 s3, s10
	v_cvt_f32_u32_e32 v1, s3
	s_sub_i32 s8, 0, s3
	s_xor_b32 s6, s5, s10
	s_ashr_i32 s6, s6, 31
	v_rcp_iflag_f32_e32 v1, v1
	s_nop 0
	v_mul_f32_e32 v1, 0x4f7ffffe, v1
	v_cvt_u32_f32_e32 v1, v1
	s_nop 0
	v_readfirstlane_b32 s9, v1
	s_mul_i32 s8, s8, s9
	s_mul_hi_u32 s8, s9, s8
	s_add_i32 s9, s9, s8
	s_mul_hi_u32 s8, s7, s9
	s_mul_i32 s9, s8, s3
	s_sub_i32 s7, s7, s9
	s_add_i32 s10, s8, 1
	s_sub_i32 s9, s7, s3
	s_cmp_ge_u32 s7, s3
	s_cselect_b32 s8, s10, s8
	s_cselect_b32 s7, s9, s7
	s_add_i32 s9, s8, 1
	s_cmp_ge_u32 s7, s3
	s_cselect_b32 s3, s9, s8
	s_xor_b32 s3, s3, s6
	s_sub_i32 s14, s3, s6
	s_abs_i32 s8, s14
	v_cvt_f32_u32_e32 v1, s8
	s_load_dwordx2 s[6:7], s[0:1], 0x50
	s_sub_i32 s3, 0, s8
	s_abs_i32 s9, s2
	v_rcp_iflag_f32_e32 v1, v1
	s_mov_b32 s10, 0
	v_mul_f32_e32 v1, 0x4f7ffffe, v1
	v_cvt_u32_f32_e32 v1, v1
	s_nop 0
	v_readfirstlane_b32 s12, v1
	s_mul_i32 s3, s3, s12
	s_mul_hi_u32 s3, s12, s3
	s_add_i32 s12, s12, s3
	s_waitcnt lgkmcnt(0)
	s_cmp_eq_u64 s[6:7], 0
	s_mul_hi_u32 s12, s9, s12
	s_cbranch_scc1 .LBB301_3
; %bb.2:
	s_ashr_i32 s3, s2, 31
	s_lshl_b64 s[16:17], s[2:3], 2
	s_add_u32 s6, s6, s16
	s_addc_u32 s7, s7, s17
	s_load_dword s10, s[6:7], 0x0
.LBB301_3:
	s_load_dwordx4 s[16:19], s[0:1], 0x58
	s_ashr_i32 s13, s2, 31
	s_ashr_i32 s14, s14, 31
	v_and_b32_e32 v9, 1, v0
	s_lshl_b32 s24, s2, 6
	v_cmp_gt_u32_e32 vcc, 16, v0
	v_lshlrev_b32_e32 v15, 3, v0
	s_and_saveexec_b64 s[6:7], vcc
	s_cbranch_execz .LBB301_5
; %bb.4:
	s_load_dwordx2 s[20:21], s[0:1], 0x18
	s_waitcnt lgkmcnt(0)
	s_mul_i32 s22, s28, s16
	s_ashr_i32 s23, s22, 31
	s_lshl_b64 s[22:23], s[22:23], 1
	v_lshlrev_b32_e32 v1, 2, v0
	s_add_u32 s3, s20, s22
	s_addc_u32 s15, s21, s23
	s_ashr_i32 s25, s24, 31
	s_lshl_b64 s[20:21], s[24:25], 1
	s_add_u32 s20, s3, s20
	s_addc_u32 s21, s15, s21
	global_load_dwordx2 v[2:3], v15, s[20:21]
	v_and_b32_e32 v1, 0xff8, v1
	v_lshl_add_u32 v1, v9, 6, v1
	s_waitcnt vmcnt(0)
	ds_write_b64 v1, v[2:3]
.LBB301_5:
	s_or_b64 exec, exec, s[6:7]
	s_add_i32 s3, s29, 31
	s_ashr_i32 s6, s3, 31
	s_lshr_b32 s6, s6, 27
	s_add_i32 s3, s3, s6
	s_waitcnt lgkmcnt(0)
	s_ashr_i32 s16, s3, 5
	s_lshl_b32 s3, s4, 4
	s_mul_i32 s7, s12, s8
	s_add_i32 s6, s3, 16
	s_sub_i32 s7, s9, s7
	s_min_i32 s33, s6, s16
	s_xor_b32 s6, s13, s14
	s_add_i32 s9, s12, 1
	s_sub_i32 s13, s7, s8
	s_cmp_ge_u32 s7, s8
	s_cselect_b32 s9, s9, s12
	s_cselect_b32 s7, s13, s7
	s_add_i32 s12, s9, 1
	s_cmp_ge_u32 s7, s8
	s_load_dwordx2 s[30:31], s[0:1], 0x38
	s_load_dword s8, s[0:1], 0x48
	v_lshrrev_b32_e32 v16, 6, v0
	s_cselect_b32 s7, s12, s9
	s_xor_b32 s7, s7, s6
	v_or_b32_e32 v2, s3, v16
	s_waitcnt lgkmcnt(0)
	s_mul_i32 s34, s28, s8
	s_sub_i32 s47, s7, s6
	s_ashr_i32 s35, s34, 31
	v_cmp_gt_i32_e64 s[8:9], s33, v2
	v_cmp_le_i32_e32 vcc, s33, v2
	v_mbcnt_lo_u32_b32 v12, -1, 0
	s_barrier
	s_waitcnt lgkmcnt(0)
                                        ; implicit-def: $sgpr19
                                        ; implicit-def: $vgpr19
                                        ; implicit-def: $vgpr4
	s_and_saveexec_b64 s[6:7], vcc
	s_xor_b64 s[6:7], exec, s[6:7]
; %bb.6:
	v_mbcnt_hi_u32_b32 v19, -1, v12
	v_and_b32_e32 v1, 64, v19
	v_add_u32_e32 v4, 64, v1
	s_mov_b32 s19, 0xff7fffff
                                        ; implicit-def: $vgpr9
                                        ; implicit-def: $vgpr12
; %bb.7:
	s_or_saveexec_b64 s[38:39], s[6:7]
	s_load_dwordx4 s[20:23], s[0:1], 0x0
	s_load_dwordx2 s[26:27], s[0:1], 0x10
	s_load_dword s25, s[0:1], 0x98
	s_load_dwordx2 s[36:37], s[0:1], 0x28
	s_load_dwordx4 s[12:15], s[0:1], 0x68
	v_mov_b32_e32 v1, s19
	s_mul_i32 s47, s47, s18
	v_ashrrev_i32_e32 v3, 31, v2
	v_lshlrev_b32_e32 v18, 5, v16
	s_xor_b64 exec, exec, s[38:39]
	s_cbranch_execz .LBB301_269
; %bb.8:
	s_load_dwordx2 s[0:1], s[0:1], 0x20
	s_ashr_i32 s6, s47, 31
	v_bfe_u32 v1, v0, 1, 5
	v_lshlrev_b32_e32 v4, 4, v1
	v_mov_b32_e32 v5, 0
	s_waitcnt lgkmcnt(0)
	s_add_u32 s0, s0, s47
	s_addc_u32 s1, s1, s6
	v_lshl_add_u64 v[6:7], s[0:1], 0, v[4:5]
	s_sub_i32 s49, 1, s29
	s_lshl_b64 s[0:1], s[34:35], 2
	v_add3_u32 v20, s46, v18, v1
	v_lshlrev_b32_e32 v1, 2, v1
	s_add_u32 s0, s30, s0
	v_lshl_or_b32 v1, v16, 7, v1
	s_addc_u32 s1, s31, s1
	s_mov_b32 s48, s17
	v_lshlrev_b32_e32 v8, 2, v9
	v_lshlrev_b32_e32 v17, 6, v9
	v_cmp_eq_u32_e32 vcc, 0, v9
	v_cmp_neq_f32_e64 s[6:7], s10, 0
	v_mov_b32_e32 v9, v5
	v_add_u32_e32 v21, 0x90, v1
	v_lshl_add_u64 v[10:11], v[2:3], 2, s[0:1]
	s_mov_b64 s[18:19], 0
	v_mov_b32_e32 v1, 0xff7fffff
	s_movk_i32 s50, 0x7f
	s_movk_i32 s51, 0x80
	s_mov_b32 s52, 0x8000
	v_mbcnt_hi_u32_b32 v19, -1, v12
	v_mov_b32_e32 v22, 0x1c00
	v_mov_b32_e32 v23, v2
	s_branch .LBB301_10
.LBB301_9:                              ;   in Loop: Header=BB301_10 Depth=1
	s_or_b64 exec, exec, s[40:41]
	v_add_u32_e32 v23, 2, v23
	v_cmp_le_i32_e64 s[0:1], s33, v23
	v_add_u32_e32 v20, 64, v20
	v_add_u32_e32 v21, 0x100, v21
	s_or_b64 s[18:19], s[0:1], s[18:19]
	v_lshl_add_u64 v[10:11], v[10:11], 0, 8
	s_andn2_b64 exec, exec, s[18:19]
	s_cbranch_execz .LBB301_268
.LBB301_10:                             ; =>This Inner Loop Header: Depth=1
	global_load_dword v4, v[10:11], off
                                        ; implicit-def: $sgpr44
	s_waitcnt vmcnt(0) lgkmcnt(0)
	v_mad_i64_i32 v[12:13], s[0:1], v4, s48, v[6:7]
	v_lshl_add_u64 v[12:13], v[12:13], 0, v[8:9]
	global_load_dword v14, v[12:13], off
	global_load_dword v24, v5, s[12:13]
	s_mov_b64 s[0:1], 0
	s_waitcnt vmcnt(1)
	v_cmp_gt_i16_sdwa s[40:41], v14, s50 src0_sel:BYTE_0 src1_sel:DWORD
	s_and_saveexec_b64 s[42:43], s[40:41]
	s_xor_b64 s[40:41], exec, s[42:43]
	s_cbranch_execnz .LBB301_140
; %bb.11:                               ;   in Loop: Header=BB301_10 Depth=1
	s_or_saveexec_b64 s[40:41], s[40:41]
	v_mov_b32_e32 v25, s44
	s_xor_b64 exec, exec, s[40:41]
	s_cbranch_execnz .LBB301_143
.LBB301_12:                             ;   in Loop: Header=BB301_10 Depth=1
	s_or_b64 exec, exec, s[40:41]
	s_and_saveexec_b64 s[40:41], s[0:1]
	s_cbranch_execz .LBB301_14
.LBB301_13:                             ;   in Loop: Header=BB301_10 Depth=1
	v_and_b32_e32 v4, 7, v14
	v_ffbh_u32_e32 v26, v4
	v_min_u32_e32 v28, 32, v26
	v_subrev_u32_e32 v26, 28, v28
	v_bfe_u32 v25, v14, 3, 4
	v_lshlrev_b64 v[26:27], v26, v[14:15]
	v_sub_u32_e32 v27, 29, v28
	v_cmp_eq_u32_e64 s[0:1], 0, v25
	v_and_b32_e32 v26, 7, v26
	s_nop 0
	v_cndmask_b32_e64 v25, v25, v27, s[0:1]
	v_cndmask_b32_e64 v4, v4, v26, s[0:1]
	v_lshlrev_b32_e32 v26, 8, v14
	v_lshl_add_u32 v25, v25, 10, v22
	v_and_or_b32 v25, v26, s52, v25
	v_lshl_or_b32 v4, v4, 7, v25
	v_cvt_f32_f16_e32 v25, v4
.LBB301_14:                             ;   in Loop: Header=BB301_10 Depth=1
	s_or_b64 exec, exec, s[40:41]
	v_lshrrev_b16_e32 v4, 8, v14
	v_cmp_lt_i16_e64 s[0:1], s50, v4
	s_mov_b64 s[40:41], 0
                                        ; implicit-def: $sgpr53
	s_and_saveexec_b64 s[42:43], s[0:1]
	s_xor_b64 s[42:43], exec, s[42:43]
	s_cbranch_execnz .LBB301_144
; %bb.15:                               ;   in Loop: Header=BB301_10 Depth=1
	s_or_saveexec_b64 s[42:43], s[42:43]
	v_mov_b32_e32 v26, s53
	s_xor_b64 exec, exec, s[42:43]
	s_cbranch_execnz .LBB301_147
.LBB301_16:                             ;   in Loop: Header=BB301_10 Depth=1
	s_or_b64 exec, exec, s[42:43]
	s_and_saveexec_b64 s[42:43], s[40:41]
	s_cbranch_execz .LBB301_18
.LBB301_17:                             ;   in Loop: Header=BB301_10 Depth=1
	v_and_b32_e32 v28, 7, v4
	v_ffbh_u32_e32 v26, v28
	v_min_u32_e32 v30, 32, v26
	v_subrev_u32_e32 v26, 28, v30
	v_bfe_u32 v29, v4, 3, 4
	v_lshlrev_b64 v[26:27], v26, v[4:5]
	v_sub_u32_e32 v27, 29, v30
	v_cmp_eq_u32_e64 s[0:1], 0, v29
	v_and_b32_e32 v26, 7, v26
	v_lshlrev_b32_e32 v4, 8, v4
	v_cndmask_b32_e64 v27, v29, v27, s[0:1]
	v_lshl_add_u32 v27, v27, 10, v22
	v_cndmask_b32_e64 v26, v28, v26, s[0:1]
	v_and_or_b32 v4, v4, s52, v27
	v_lshl_or_b32 v4, v26, 7, v4
	v_cvt_f32_f16_e32 v26, v4
.LBB301_18:                             ;   in Loop: Header=BB301_10 Depth=1
	s_or_b64 exec, exec, s[42:43]
	v_lshrrev_b32_e32 v4, 16, v14
	v_cmp_gt_i16_sdwa s[40:41], v4, s50 src0_sel:BYTE_0 src1_sel:DWORD
	s_mov_b64 s[0:1], 0
                                        ; implicit-def: $sgpr44
	s_and_saveexec_b64 s[42:43], s[40:41]
	s_xor_b64 s[40:41], exec, s[42:43]
	s_cbranch_execnz .LBB301_148
; %bb.19:                               ;   in Loop: Header=BB301_10 Depth=1
	s_or_saveexec_b64 s[40:41], s[40:41]
	v_mov_b32_e32 v27, s44
	s_xor_b64 exec, exec, s[40:41]
	s_cbranch_execnz .LBB301_151
.LBB301_20:                             ;   in Loop: Header=BB301_10 Depth=1
	s_or_b64 exec, exec, s[40:41]
	s_and_saveexec_b64 s[40:41], s[0:1]
	s_cbranch_execz .LBB301_22
.LBB301_21:                             ;   in Loop: Header=BB301_10 Depth=1
	v_bfe_u32 v27, v14, 16, 3
	v_ffbh_u32_e32 v28, v27
	v_min_u32_e32 v31, 32, v28
	v_subrev_u32_e32 v28, 28, v31
	v_bfe_u32 v30, v14, 19, 4
	v_lshlrev_b64 v[28:29], v28, v[4:5]
	v_sub_u32_e32 v29, 29, v31
	v_cmp_eq_u32_e64 s[0:1], 0, v30
	v_and_b32_e32 v28, 7, v28
	v_lshlrev_b32_e32 v4, 8, v4
	v_cndmask_b32_e64 v29, v30, v29, s[0:1]
	v_cndmask_b32_e64 v27, v27, v28, s[0:1]
	v_lshl_add_u32 v28, v29, 10, v22
	v_and_or_b32 v4, v4, s52, v28
	v_lshl_or_b32 v4, v27, 7, v4
	v_cvt_f32_f16_e32 v27, v4
.LBB301_22:                             ;   in Loop: Header=BB301_10 Depth=1
	s_or_b64 exec, exec, s[40:41]
	v_lshrrev_b32_e32 v4, 24, v14
	v_cmp_lt_i16_e64 s[0:1], s50, v4
	s_mov_b64 s[40:41], 0
                                        ; implicit-def: $sgpr53
	s_and_saveexec_b64 s[42:43], s[0:1]
	s_xor_b64 s[42:43], exec, s[42:43]
	s_cbranch_execnz .LBB301_152
; %bb.23:                               ;   in Loop: Header=BB301_10 Depth=1
	s_or_saveexec_b64 s[42:43], s[42:43]
	v_mov_b32_e32 v28, s53
	s_xor_b64 exec, exec, s[42:43]
	s_cbranch_execnz .LBB301_155
.LBB301_24:                             ;   in Loop: Header=BB301_10 Depth=1
	s_or_b64 exec, exec, s[42:43]
	s_and_saveexec_b64 s[42:43], s[40:41]
	s_cbranch_execz .LBB301_26
.LBB301_25:                             ;   in Loop: Header=BB301_10 Depth=1
	v_bfe_u32 v30, v14, 24, 3
	v_ffbh_u32_e32 v28, v30
	v_min_u32_e32 v31, 32, v28
	v_subrev_u32_e32 v28, 28, v31
	v_bfe_u32 v14, v14, 27, 4
	v_lshlrev_b64 v[28:29], v28, v[4:5]
	v_sub_u32_e32 v29, 29, v31
	v_cmp_eq_u32_e64 s[0:1], 0, v14
	v_and_b32_e32 v28, 7, v28
	v_lshlrev_b32_e32 v4, 8, v4
	v_cndmask_b32_e64 v14, v14, v29, s[0:1]
	v_lshl_add_u32 v14, v14, 10, v22
	v_cndmask_b32_e64 v28, v30, v28, s[0:1]
	v_and_or_b32 v4, v4, s52, v14
	v_lshl_or_b32 v4, v28, 7, v4
	v_cvt_f32_f16_e32 v28, v4
.LBB301_26:                             ;   in Loop: Header=BB301_10 Depth=1
	s_or_b64 exec, exec, s[42:43]
	global_load_dword v14, v[12:13], off offset:8
	s_mov_b64 s[0:1], 0
                                        ; implicit-def: $sgpr44
	s_waitcnt vmcnt(0)
	v_cmp_gt_i16_sdwa s[40:41], v14, s50 src0_sel:BYTE_0 src1_sel:DWORD
	s_and_saveexec_b64 s[42:43], s[40:41]
	s_xor_b64 s[40:41], exec, s[42:43]
	s_cbranch_execnz .LBB301_156
; %bb.27:                               ;   in Loop: Header=BB301_10 Depth=1
	s_or_saveexec_b64 s[40:41], s[40:41]
	v_mov_b32_e32 v29, s44
	s_xor_b64 exec, exec, s[40:41]
	s_cbranch_execnz .LBB301_159
.LBB301_28:                             ;   in Loop: Header=BB301_10 Depth=1
	s_or_b64 exec, exec, s[40:41]
	s_and_saveexec_b64 s[40:41], s[0:1]
	s_cbranch_execz .LBB301_30
.LBB301_29:                             ;   in Loop: Header=BB301_10 Depth=1
	v_and_b32_e32 v4, 7, v14
	v_ffbh_u32_e32 v30, v4
	v_min_u32_e32 v32, 32, v30
	v_subrev_u32_e32 v30, 28, v32
	v_bfe_u32 v29, v14, 3, 4
	v_lshlrev_b64 v[30:31], v30, v[14:15]
	v_sub_u32_e32 v31, 29, v32
	v_cmp_eq_u32_e64 s[0:1], 0, v29
	v_and_b32_e32 v30, 7, v30
	s_nop 0
	v_cndmask_b32_e64 v29, v29, v31, s[0:1]
	v_cndmask_b32_e64 v4, v4, v30, s[0:1]
	v_lshlrev_b32_e32 v30, 8, v14
	v_lshl_add_u32 v29, v29, 10, v22
	v_and_or_b32 v29, v30, s52, v29
	v_lshl_or_b32 v4, v4, 7, v29
	v_cvt_f32_f16_e32 v29, v4
.LBB301_30:                             ;   in Loop: Header=BB301_10 Depth=1
	s_or_b64 exec, exec, s[40:41]
	v_lshrrev_b16_e32 v4, 8, v14
	v_cmp_lt_i16_e64 s[0:1], s50, v4
	s_mov_b64 s[40:41], 0
                                        ; implicit-def: $sgpr53
	s_and_saveexec_b64 s[42:43], s[0:1]
	s_xor_b64 s[42:43], exec, s[42:43]
	s_cbranch_execnz .LBB301_160
; %bb.31:                               ;   in Loop: Header=BB301_10 Depth=1
	s_or_saveexec_b64 s[42:43], s[42:43]
	v_mov_b32_e32 v30, s53
	s_xor_b64 exec, exec, s[42:43]
	s_cbranch_execnz .LBB301_163
.LBB301_32:                             ;   in Loop: Header=BB301_10 Depth=1
	s_or_b64 exec, exec, s[42:43]
	s_and_saveexec_b64 s[42:43], s[40:41]
	s_cbranch_execz .LBB301_34
.LBB301_33:                             ;   in Loop: Header=BB301_10 Depth=1
	v_and_b32_e32 v32, 7, v4
	v_ffbh_u32_e32 v30, v32
	v_min_u32_e32 v34, 32, v30
	v_subrev_u32_e32 v30, 28, v34
	v_bfe_u32 v33, v4, 3, 4
	v_lshlrev_b64 v[30:31], v30, v[4:5]
	v_sub_u32_e32 v31, 29, v34
	v_cmp_eq_u32_e64 s[0:1], 0, v33
	v_and_b32_e32 v30, 7, v30
	v_lshlrev_b32_e32 v4, 8, v4
	v_cndmask_b32_e64 v31, v33, v31, s[0:1]
	v_lshl_add_u32 v31, v31, 10, v22
	v_cndmask_b32_e64 v30, v32, v30, s[0:1]
	v_and_or_b32 v4, v4, s52, v31
	v_lshl_or_b32 v4, v30, 7, v4
	v_cvt_f32_f16_e32 v30, v4
.LBB301_34:                             ;   in Loop: Header=BB301_10 Depth=1
	s_or_b64 exec, exec, s[42:43]
	v_lshrrev_b32_e32 v4, 16, v14
	v_cmp_gt_i16_sdwa s[40:41], v4, s50 src0_sel:BYTE_0 src1_sel:DWORD
	s_mov_b64 s[0:1], 0
                                        ; implicit-def: $sgpr44
	s_and_saveexec_b64 s[42:43], s[40:41]
	s_xor_b64 s[40:41], exec, s[42:43]
	s_cbranch_execnz .LBB301_164
; %bb.35:                               ;   in Loop: Header=BB301_10 Depth=1
	s_or_saveexec_b64 s[40:41], s[40:41]
	v_mov_b32_e32 v31, s44
	s_xor_b64 exec, exec, s[40:41]
	s_cbranch_execnz .LBB301_167
.LBB301_36:                             ;   in Loop: Header=BB301_10 Depth=1
	s_or_b64 exec, exec, s[40:41]
	s_and_saveexec_b64 s[40:41], s[0:1]
	s_cbranch_execz .LBB301_38
.LBB301_37:                             ;   in Loop: Header=BB301_10 Depth=1
	v_bfe_u32 v31, v14, 16, 3
	v_ffbh_u32_e32 v32, v31
	v_min_u32_e32 v35, 32, v32
	v_subrev_u32_e32 v32, 28, v35
	v_bfe_u32 v34, v14, 19, 4
	v_lshlrev_b64 v[32:33], v32, v[4:5]
	v_sub_u32_e32 v33, 29, v35
	v_cmp_eq_u32_e64 s[0:1], 0, v34
	v_and_b32_e32 v32, 7, v32
	v_lshlrev_b32_e32 v4, 8, v4
	v_cndmask_b32_e64 v33, v34, v33, s[0:1]
	v_cndmask_b32_e64 v31, v31, v32, s[0:1]
	v_lshl_add_u32 v32, v33, 10, v22
	v_and_or_b32 v4, v4, s52, v32
	v_lshl_or_b32 v4, v31, 7, v4
	v_cvt_f32_f16_e32 v31, v4
.LBB301_38:                             ;   in Loop: Header=BB301_10 Depth=1
	s_or_b64 exec, exec, s[40:41]
	v_lshrrev_b32_e32 v4, 24, v14
	v_cmp_lt_i16_e64 s[0:1], s50, v4
	s_mov_b64 s[40:41], 0
                                        ; implicit-def: $sgpr53
	s_and_saveexec_b64 s[42:43], s[0:1]
	s_xor_b64 s[42:43], exec, s[42:43]
	s_cbranch_execnz .LBB301_168
; %bb.39:                               ;   in Loop: Header=BB301_10 Depth=1
	s_or_saveexec_b64 s[42:43], s[42:43]
	v_mov_b32_e32 v32, s53
	s_xor_b64 exec, exec, s[42:43]
	s_cbranch_execnz .LBB301_171
.LBB301_40:                             ;   in Loop: Header=BB301_10 Depth=1
	s_or_b64 exec, exec, s[42:43]
	s_and_saveexec_b64 s[42:43], s[40:41]
	s_cbranch_execz .LBB301_42
.LBB301_41:                             ;   in Loop: Header=BB301_10 Depth=1
	v_bfe_u32 v34, v14, 24, 3
	v_ffbh_u32_e32 v32, v34
	v_min_u32_e32 v35, 32, v32
	v_subrev_u32_e32 v32, 28, v35
	v_bfe_u32 v14, v14, 27, 4
	v_lshlrev_b64 v[32:33], v32, v[4:5]
	v_sub_u32_e32 v33, 29, v35
	v_cmp_eq_u32_e64 s[0:1], 0, v14
	v_and_b32_e32 v32, 7, v32
	v_lshlrev_b32_e32 v4, 8, v4
	v_cndmask_b32_e64 v14, v14, v33, s[0:1]
	v_lshl_add_u32 v14, v14, 10, v22
	v_cndmask_b32_e64 v32, v34, v32, s[0:1]
	v_and_or_b32 v4, v4, s52, v14
	v_lshl_or_b32 v4, v32, 7, v4
	v_cvt_f32_f16_e32 v32, v4
.LBB301_42:                             ;   in Loop: Header=BB301_10 Depth=1
	s_or_b64 exec, exec, s[42:43]
	global_load_dword v14, v[12:13], off offset:512
	s_mov_b64 s[0:1], 0
                                        ; implicit-def: $sgpr44
	s_waitcnt vmcnt(0)
	v_cmp_gt_i16_sdwa s[40:41], v14, s50 src0_sel:BYTE_0 src1_sel:DWORD
	s_and_saveexec_b64 s[42:43], s[40:41]
	s_xor_b64 s[40:41], exec, s[42:43]
	s_cbranch_execnz .LBB301_172
; %bb.43:                               ;   in Loop: Header=BB301_10 Depth=1
	s_or_saveexec_b64 s[40:41], s[40:41]
	v_mov_b32_e32 v33, s44
	s_xor_b64 exec, exec, s[40:41]
	s_cbranch_execnz .LBB301_175
.LBB301_44:                             ;   in Loop: Header=BB301_10 Depth=1
	s_or_b64 exec, exec, s[40:41]
	s_and_saveexec_b64 s[40:41], s[0:1]
	s_cbranch_execz .LBB301_46
.LBB301_45:                             ;   in Loop: Header=BB301_10 Depth=1
	v_and_b32_e32 v4, 7, v14
	v_ffbh_u32_e32 v34, v4
	v_min_u32_e32 v36, 32, v34
	v_subrev_u32_e32 v34, 28, v36
	v_bfe_u32 v33, v14, 3, 4
	v_lshlrev_b64 v[34:35], v34, v[14:15]
	v_sub_u32_e32 v35, 29, v36
	v_cmp_eq_u32_e64 s[0:1], 0, v33
	v_and_b32_e32 v34, 7, v34
	s_nop 0
	v_cndmask_b32_e64 v33, v33, v35, s[0:1]
	v_cndmask_b32_e64 v4, v4, v34, s[0:1]
	v_lshlrev_b32_e32 v34, 8, v14
	v_lshl_add_u32 v33, v33, 10, v22
	v_and_or_b32 v33, v34, s52, v33
	v_lshl_or_b32 v4, v4, 7, v33
	v_cvt_f32_f16_e32 v33, v4
.LBB301_46:                             ;   in Loop: Header=BB301_10 Depth=1
	s_or_b64 exec, exec, s[40:41]
	v_lshrrev_b16_e32 v4, 8, v14
	v_cmp_lt_i16_e64 s[0:1], s50, v4
	s_mov_b64 s[40:41], 0
                                        ; implicit-def: $sgpr53
	s_and_saveexec_b64 s[42:43], s[0:1]
	s_xor_b64 s[42:43], exec, s[42:43]
	s_cbranch_execnz .LBB301_176
; %bb.47:                               ;   in Loop: Header=BB301_10 Depth=1
	s_or_saveexec_b64 s[42:43], s[42:43]
	v_mov_b32_e32 v34, s53
	s_xor_b64 exec, exec, s[42:43]
	s_cbranch_execnz .LBB301_179
.LBB301_48:                             ;   in Loop: Header=BB301_10 Depth=1
	s_or_b64 exec, exec, s[42:43]
	s_and_saveexec_b64 s[42:43], s[40:41]
	s_cbranch_execz .LBB301_50
.LBB301_49:                             ;   in Loop: Header=BB301_10 Depth=1
	v_and_b32_e32 v36, 7, v4
	v_ffbh_u32_e32 v34, v36
	v_min_u32_e32 v38, 32, v34
	v_subrev_u32_e32 v34, 28, v38
	v_bfe_u32 v37, v4, 3, 4
	v_lshlrev_b64 v[34:35], v34, v[4:5]
	v_sub_u32_e32 v35, 29, v38
	v_cmp_eq_u32_e64 s[0:1], 0, v37
	v_and_b32_e32 v34, 7, v34
	v_lshlrev_b32_e32 v4, 8, v4
	v_cndmask_b32_e64 v35, v37, v35, s[0:1]
	v_lshl_add_u32 v35, v35, 10, v22
	v_cndmask_b32_e64 v34, v36, v34, s[0:1]
	v_and_or_b32 v4, v4, s52, v35
	v_lshl_or_b32 v4, v34, 7, v4
	v_cvt_f32_f16_e32 v34, v4
.LBB301_50:                             ;   in Loop: Header=BB301_10 Depth=1
	s_or_b64 exec, exec, s[42:43]
	v_lshrrev_b32_e32 v4, 16, v14
	v_cmp_gt_i16_sdwa s[40:41], v4, s50 src0_sel:BYTE_0 src1_sel:DWORD
	s_mov_b64 s[0:1], 0
                                        ; implicit-def: $sgpr44
	s_and_saveexec_b64 s[42:43], s[40:41]
	s_xor_b64 s[40:41], exec, s[42:43]
	s_cbranch_execnz .LBB301_180
; %bb.51:                               ;   in Loop: Header=BB301_10 Depth=1
	s_or_saveexec_b64 s[40:41], s[40:41]
	v_mov_b32_e32 v35, s44
	s_xor_b64 exec, exec, s[40:41]
	s_cbranch_execnz .LBB301_183
.LBB301_52:                             ;   in Loop: Header=BB301_10 Depth=1
	s_or_b64 exec, exec, s[40:41]
	s_and_saveexec_b64 s[40:41], s[0:1]
	s_cbranch_execz .LBB301_54
.LBB301_53:                             ;   in Loop: Header=BB301_10 Depth=1
	v_bfe_u32 v35, v14, 16, 3
	v_ffbh_u32_e32 v36, v35
	v_min_u32_e32 v39, 32, v36
	v_subrev_u32_e32 v36, 28, v39
	v_bfe_u32 v38, v14, 19, 4
	v_lshlrev_b64 v[36:37], v36, v[4:5]
	v_sub_u32_e32 v37, 29, v39
	v_cmp_eq_u32_e64 s[0:1], 0, v38
	v_and_b32_e32 v36, 7, v36
	v_lshlrev_b32_e32 v4, 8, v4
	v_cndmask_b32_e64 v37, v38, v37, s[0:1]
	v_cndmask_b32_e64 v35, v35, v36, s[0:1]
	v_lshl_add_u32 v36, v37, 10, v22
	v_and_or_b32 v4, v4, s52, v36
	v_lshl_or_b32 v4, v35, 7, v4
	v_cvt_f32_f16_e32 v35, v4
.LBB301_54:                             ;   in Loop: Header=BB301_10 Depth=1
	s_or_b64 exec, exec, s[40:41]
	v_lshrrev_b32_e32 v4, 24, v14
	v_cmp_lt_i16_e64 s[0:1], s50, v4
	s_mov_b64 s[40:41], 0
                                        ; implicit-def: $sgpr53
	s_and_saveexec_b64 s[42:43], s[0:1]
	s_xor_b64 s[42:43], exec, s[42:43]
	s_cbranch_execnz .LBB301_184
; %bb.55:                               ;   in Loop: Header=BB301_10 Depth=1
	s_or_saveexec_b64 s[42:43], s[42:43]
	v_mov_b32_e32 v36, s53
	s_xor_b64 exec, exec, s[42:43]
	s_cbranch_execnz .LBB301_187
.LBB301_56:                             ;   in Loop: Header=BB301_10 Depth=1
	s_or_b64 exec, exec, s[42:43]
	s_and_saveexec_b64 s[42:43], s[40:41]
	s_cbranch_execz .LBB301_58
.LBB301_57:                             ;   in Loop: Header=BB301_10 Depth=1
	v_bfe_u32 v38, v14, 24, 3
	v_ffbh_u32_e32 v36, v38
	v_min_u32_e32 v39, 32, v36
	v_subrev_u32_e32 v36, 28, v39
	v_bfe_u32 v14, v14, 27, 4
	v_lshlrev_b64 v[36:37], v36, v[4:5]
	v_sub_u32_e32 v37, 29, v39
	v_cmp_eq_u32_e64 s[0:1], 0, v14
	v_and_b32_e32 v36, 7, v36
	v_lshlrev_b32_e32 v4, 8, v4
	v_cndmask_b32_e64 v14, v14, v37, s[0:1]
	v_lshl_add_u32 v14, v14, 10, v22
	v_cndmask_b32_e64 v36, v38, v36, s[0:1]
	v_and_or_b32 v4, v4, s52, v14
	v_lshl_or_b32 v4, v36, 7, v4
	v_cvt_f32_f16_e32 v36, v4
.LBB301_58:                             ;   in Loop: Header=BB301_10 Depth=1
	s_or_b64 exec, exec, s[42:43]
	global_load_dword v14, v[12:13], off offset:520
	s_mov_b64 s[0:1], 0
                                        ; implicit-def: $sgpr44
	s_waitcnt vmcnt(0)
	v_cmp_gt_i16_sdwa s[40:41], v14, s50 src0_sel:BYTE_0 src1_sel:DWORD
	s_and_saveexec_b64 s[42:43], s[40:41]
	s_xor_b64 s[40:41], exec, s[42:43]
	s_cbranch_execnz .LBB301_188
; %bb.59:                               ;   in Loop: Header=BB301_10 Depth=1
	s_or_saveexec_b64 s[40:41], s[40:41]
	v_mov_b32_e32 v37, s44
	s_xor_b64 exec, exec, s[40:41]
	s_cbranch_execnz .LBB301_191
.LBB301_60:                             ;   in Loop: Header=BB301_10 Depth=1
	s_or_b64 exec, exec, s[40:41]
	s_and_saveexec_b64 s[40:41], s[0:1]
	s_cbranch_execz .LBB301_62
.LBB301_61:                             ;   in Loop: Header=BB301_10 Depth=1
	v_and_b32_e32 v4, 7, v14
	v_ffbh_u32_e32 v38, v4
	v_min_u32_e32 v40, 32, v38
	v_subrev_u32_e32 v38, 28, v40
	v_bfe_u32 v37, v14, 3, 4
	v_lshlrev_b64 v[38:39], v38, v[14:15]
	v_sub_u32_e32 v39, 29, v40
	v_cmp_eq_u32_e64 s[0:1], 0, v37
	v_and_b32_e32 v38, 7, v38
	s_nop 0
	v_cndmask_b32_e64 v37, v37, v39, s[0:1]
	v_cndmask_b32_e64 v4, v4, v38, s[0:1]
	v_lshlrev_b32_e32 v38, 8, v14
	v_lshl_add_u32 v37, v37, 10, v22
	v_and_or_b32 v37, v38, s52, v37
	v_lshl_or_b32 v4, v4, 7, v37
	v_cvt_f32_f16_e32 v37, v4
.LBB301_62:                             ;   in Loop: Header=BB301_10 Depth=1
	s_or_b64 exec, exec, s[40:41]
	v_lshrrev_b16_e32 v4, 8, v14
	v_cmp_lt_i16_e64 s[0:1], s50, v4
	s_mov_b64 s[40:41], 0
                                        ; implicit-def: $sgpr53
	s_and_saveexec_b64 s[42:43], s[0:1]
	s_xor_b64 s[42:43], exec, s[42:43]
	s_cbranch_execnz .LBB301_192
; %bb.63:                               ;   in Loop: Header=BB301_10 Depth=1
	s_or_saveexec_b64 s[42:43], s[42:43]
	v_mov_b32_e32 v38, s53
	s_xor_b64 exec, exec, s[42:43]
	s_cbranch_execnz .LBB301_195
.LBB301_64:                             ;   in Loop: Header=BB301_10 Depth=1
	s_or_b64 exec, exec, s[42:43]
	s_and_saveexec_b64 s[42:43], s[40:41]
	s_cbranch_execz .LBB301_66
.LBB301_65:                             ;   in Loop: Header=BB301_10 Depth=1
	v_and_b32_e32 v40, 7, v4
	v_ffbh_u32_e32 v38, v40
	v_min_u32_e32 v42, 32, v38
	v_subrev_u32_e32 v38, 28, v42
	v_bfe_u32 v41, v4, 3, 4
	v_lshlrev_b64 v[38:39], v38, v[4:5]
	v_sub_u32_e32 v39, 29, v42
	v_cmp_eq_u32_e64 s[0:1], 0, v41
	v_and_b32_e32 v38, 7, v38
	v_lshlrev_b32_e32 v4, 8, v4
	v_cndmask_b32_e64 v39, v41, v39, s[0:1]
	v_lshl_add_u32 v39, v39, 10, v22
	v_cndmask_b32_e64 v38, v40, v38, s[0:1]
	v_and_or_b32 v4, v4, s52, v39
	v_lshl_or_b32 v4, v38, 7, v4
	v_cvt_f32_f16_e32 v38, v4
.LBB301_66:                             ;   in Loop: Header=BB301_10 Depth=1
	s_or_b64 exec, exec, s[42:43]
	v_lshrrev_b32_e32 v4, 16, v14
	v_cmp_gt_i16_sdwa s[40:41], v4, s50 src0_sel:BYTE_0 src1_sel:DWORD
	s_mov_b64 s[0:1], 0
                                        ; implicit-def: $sgpr44
	s_and_saveexec_b64 s[42:43], s[40:41]
	s_xor_b64 s[40:41], exec, s[42:43]
	s_cbranch_execnz .LBB301_196
; %bb.67:                               ;   in Loop: Header=BB301_10 Depth=1
	s_or_saveexec_b64 s[40:41], s[40:41]
	v_mov_b32_e32 v39, s44
	s_xor_b64 exec, exec, s[40:41]
	s_cbranch_execnz .LBB301_199
.LBB301_68:                             ;   in Loop: Header=BB301_10 Depth=1
	s_or_b64 exec, exec, s[40:41]
	s_and_saveexec_b64 s[40:41], s[0:1]
	s_cbranch_execz .LBB301_70
.LBB301_69:                             ;   in Loop: Header=BB301_10 Depth=1
	v_bfe_u32 v39, v14, 16, 3
	v_ffbh_u32_e32 v40, v39
	v_min_u32_e32 v43, 32, v40
	v_subrev_u32_e32 v40, 28, v43
	v_bfe_u32 v42, v14, 19, 4
	v_lshlrev_b64 v[40:41], v40, v[4:5]
	v_sub_u32_e32 v41, 29, v43
	v_cmp_eq_u32_e64 s[0:1], 0, v42
	v_and_b32_e32 v40, 7, v40
	v_lshlrev_b32_e32 v4, 8, v4
	v_cndmask_b32_e64 v41, v42, v41, s[0:1]
	v_cndmask_b32_e64 v39, v39, v40, s[0:1]
	v_lshl_add_u32 v40, v41, 10, v22
	v_and_or_b32 v4, v4, s52, v40
	v_lshl_or_b32 v4, v39, 7, v4
	v_cvt_f32_f16_e32 v39, v4
.LBB301_70:                             ;   in Loop: Header=BB301_10 Depth=1
	s_or_b64 exec, exec, s[40:41]
	v_lshrrev_b32_e32 v4, 24, v14
	v_cmp_lt_i16_e64 s[0:1], s50, v4
	s_mov_b64 s[40:41], 0
                                        ; implicit-def: $sgpr53
	s_and_saveexec_b64 s[42:43], s[0:1]
	s_xor_b64 s[42:43], exec, s[42:43]
	s_cbranch_execnz .LBB301_200
; %bb.71:                               ;   in Loop: Header=BB301_10 Depth=1
	s_or_saveexec_b64 s[42:43], s[42:43]
	v_mov_b32_e32 v40, s53
	s_xor_b64 exec, exec, s[42:43]
	s_cbranch_execnz .LBB301_203
.LBB301_72:                             ;   in Loop: Header=BB301_10 Depth=1
	s_or_b64 exec, exec, s[42:43]
	s_and_saveexec_b64 s[42:43], s[40:41]
	s_cbranch_execz .LBB301_74
.LBB301_73:                             ;   in Loop: Header=BB301_10 Depth=1
	v_bfe_u32 v42, v14, 24, 3
	v_ffbh_u32_e32 v40, v42
	v_min_u32_e32 v43, 32, v40
	v_subrev_u32_e32 v40, 28, v43
	v_bfe_u32 v14, v14, 27, 4
	v_lshlrev_b64 v[40:41], v40, v[4:5]
	v_sub_u32_e32 v41, 29, v43
	v_cmp_eq_u32_e64 s[0:1], 0, v14
	v_and_b32_e32 v40, 7, v40
	v_lshlrev_b32_e32 v4, 8, v4
	v_cndmask_b32_e64 v14, v14, v41, s[0:1]
	v_lshl_add_u32 v14, v14, 10, v22
	v_cndmask_b32_e64 v40, v42, v40, s[0:1]
	v_and_or_b32 v4, v4, s52, v14
	v_lshl_or_b32 v4, v40, 7, v4
	v_cvt_f32_f16_e32 v40, v4
.LBB301_74:                             ;   in Loop: Header=BB301_10 Depth=1
	s_or_b64 exec, exec, s[42:43]
	global_load_dword v14, v[12:13], off offset:1024
	s_mov_b64 s[0:1], 0
                                        ; implicit-def: $sgpr44
	s_waitcnt vmcnt(0)
	v_cmp_gt_i16_sdwa s[40:41], v14, s50 src0_sel:BYTE_0 src1_sel:DWORD
	s_and_saveexec_b64 s[42:43], s[40:41]
	s_xor_b64 s[40:41], exec, s[42:43]
	s_cbranch_execnz .LBB301_204
; %bb.75:                               ;   in Loop: Header=BB301_10 Depth=1
	s_or_saveexec_b64 s[40:41], s[40:41]
	v_mov_b32_e32 v41, s44
	s_xor_b64 exec, exec, s[40:41]
	s_cbranch_execnz .LBB301_207
.LBB301_76:                             ;   in Loop: Header=BB301_10 Depth=1
	s_or_b64 exec, exec, s[40:41]
	s_and_saveexec_b64 s[40:41], s[0:1]
	s_cbranch_execz .LBB301_78
.LBB301_77:                             ;   in Loop: Header=BB301_10 Depth=1
	v_and_b32_e32 v4, 7, v14
	v_ffbh_u32_e32 v42, v4
	v_min_u32_e32 v44, 32, v42
	v_subrev_u32_e32 v42, 28, v44
	v_bfe_u32 v41, v14, 3, 4
	v_lshlrev_b64 v[42:43], v42, v[14:15]
	v_sub_u32_e32 v43, 29, v44
	v_cmp_eq_u32_e64 s[0:1], 0, v41
	v_and_b32_e32 v42, 7, v42
	s_nop 0
	v_cndmask_b32_e64 v41, v41, v43, s[0:1]
	v_cndmask_b32_e64 v4, v4, v42, s[0:1]
	v_lshlrev_b32_e32 v42, 8, v14
	v_lshl_add_u32 v41, v41, 10, v22
	v_and_or_b32 v41, v42, s52, v41
	v_lshl_or_b32 v4, v4, 7, v41
	v_cvt_f32_f16_e32 v41, v4
.LBB301_78:                             ;   in Loop: Header=BB301_10 Depth=1
	s_or_b64 exec, exec, s[40:41]
	v_lshrrev_b16_e32 v4, 8, v14
	v_cmp_lt_i16_e64 s[0:1], s50, v4
	s_mov_b64 s[40:41], 0
                                        ; implicit-def: $sgpr53
	s_and_saveexec_b64 s[42:43], s[0:1]
	s_xor_b64 s[42:43], exec, s[42:43]
	s_cbranch_execnz .LBB301_208
; %bb.79:                               ;   in Loop: Header=BB301_10 Depth=1
	s_or_saveexec_b64 s[42:43], s[42:43]
	v_mov_b32_e32 v42, s53
	s_xor_b64 exec, exec, s[42:43]
	s_cbranch_execnz .LBB301_211
.LBB301_80:                             ;   in Loop: Header=BB301_10 Depth=1
	s_or_b64 exec, exec, s[42:43]
	s_and_saveexec_b64 s[42:43], s[40:41]
	s_cbranch_execz .LBB301_82
.LBB301_81:                             ;   in Loop: Header=BB301_10 Depth=1
	v_and_b32_e32 v44, 7, v4
	v_ffbh_u32_e32 v42, v44
	v_min_u32_e32 v46, 32, v42
	v_subrev_u32_e32 v42, 28, v46
	v_bfe_u32 v45, v4, 3, 4
	v_lshlrev_b64 v[42:43], v42, v[4:5]
	v_sub_u32_e32 v43, 29, v46
	v_cmp_eq_u32_e64 s[0:1], 0, v45
	v_and_b32_e32 v42, 7, v42
	v_lshlrev_b32_e32 v4, 8, v4
	v_cndmask_b32_e64 v43, v45, v43, s[0:1]
	v_lshl_add_u32 v43, v43, 10, v22
	v_cndmask_b32_e64 v42, v44, v42, s[0:1]
	v_and_or_b32 v4, v4, s52, v43
	v_lshl_or_b32 v4, v42, 7, v4
	v_cvt_f32_f16_e32 v42, v4
.LBB301_82:                             ;   in Loop: Header=BB301_10 Depth=1
	s_or_b64 exec, exec, s[42:43]
	v_lshrrev_b32_e32 v4, 16, v14
	v_cmp_gt_i16_sdwa s[40:41], v4, s50 src0_sel:BYTE_0 src1_sel:DWORD
	s_mov_b64 s[0:1], 0
                                        ; implicit-def: $sgpr44
	s_and_saveexec_b64 s[42:43], s[40:41]
	s_xor_b64 s[40:41], exec, s[42:43]
	s_cbranch_execnz .LBB301_212
; %bb.83:                               ;   in Loop: Header=BB301_10 Depth=1
	s_or_saveexec_b64 s[40:41], s[40:41]
	v_mov_b32_e32 v43, s44
	s_xor_b64 exec, exec, s[40:41]
	s_cbranch_execnz .LBB301_215
.LBB301_84:                             ;   in Loop: Header=BB301_10 Depth=1
	s_or_b64 exec, exec, s[40:41]
	s_and_saveexec_b64 s[40:41], s[0:1]
	s_cbranch_execz .LBB301_86
.LBB301_85:                             ;   in Loop: Header=BB301_10 Depth=1
	v_bfe_u32 v43, v14, 16, 3
	v_ffbh_u32_e32 v44, v43
	v_min_u32_e32 v47, 32, v44
	v_subrev_u32_e32 v44, 28, v47
	v_bfe_u32 v46, v14, 19, 4
	v_lshlrev_b64 v[44:45], v44, v[4:5]
	v_sub_u32_e32 v45, 29, v47
	v_cmp_eq_u32_e64 s[0:1], 0, v46
	v_and_b32_e32 v44, 7, v44
	v_lshlrev_b32_e32 v4, 8, v4
	v_cndmask_b32_e64 v45, v46, v45, s[0:1]
	v_cndmask_b32_e64 v43, v43, v44, s[0:1]
	v_lshl_add_u32 v44, v45, 10, v22
	v_and_or_b32 v4, v4, s52, v44
	v_lshl_or_b32 v4, v43, 7, v4
	v_cvt_f32_f16_e32 v43, v4
.LBB301_86:                             ;   in Loop: Header=BB301_10 Depth=1
	s_or_b64 exec, exec, s[40:41]
	v_lshrrev_b32_e32 v4, 24, v14
	v_cmp_lt_i16_e64 s[0:1], s50, v4
	s_mov_b64 s[40:41], 0
                                        ; implicit-def: $sgpr53
	s_and_saveexec_b64 s[42:43], s[0:1]
	s_xor_b64 s[42:43], exec, s[42:43]
	s_cbranch_execnz .LBB301_216
; %bb.87:                               ;   in Loop: Header=BB301_10 Depth=1
	s_or_saveexec_b64 s[42:43], s[42:43]
	v_mov_b32_e32 v44, s53
	s_xor_b64 exec, exec, s[42:43]
	s_cbranch_execnz .LBB301_219
.LBB301_88:                             ;   in Loop: Header=BB301_10 Depth=1
	s_or_b64 exec, exec, s[42:43]
	s_and_saveexec_b64 s[42:43], s[40:41]
	s_cbranch_execz .LBB301_90
.LBB301_89:                             ;   in Loop: Header=BB301_10 Depth=1
	v_bfe_u32 v46, v14, 24, 3
	v_ffbh_u32_e32 v44, v46
	v_min_u32_e32 v47, 32, v44
	v_subrev_u32_e32 v44, 28, v47
	v_bfe_u32 v14, v14, 27, 4
	v_lshlrev_b64 v[44:45], v44, v[4:5]
	v_sub_u32_e32 v45, 29, v47
	v_cmp_eq_u32_e64 s[0:1], 0, v14
	v_and_b32_e32 v44, 7, v44
	v_lshlrev_b32_e32 v4, 8, v4
	v_cndmask_b32_e64 v14, v14, v45, s[0:1]
	v_lshl_add_u32 v14, v14, 10, v22
	v_cndmask_b32_e64 v44, v46, v44, s[0:1]
	v_and_or_b32 v4, v4, s52, v14
	v_lshl_or_b32 v4, v44, 7, v4
	v_cvt_f32_f16_e32 v44, v4
.LBB301_90:                             ;   in Loop: Header=BB301_10 Depth=1
	s_or_b64 exec, exec, s[42:43]
	global_load_dword v14, v[12:13], off offset:1032
	s_mov_b64 s[0:1], 0
                                        ; implicit-def: $sgpr44
	s_waitcnt vmcnt(0)
	v_cmp_gt_i16_sdwa s[40:41], v14, s50 src0_sel:BYTE_0 src1_sel:DWORD
	s_and_saveexec_b64 s[42:43], s[40:41]
	s_xor_b64 s[40:41], exec, s[42:43]
	s_cbranch_execnz .LBB301_220
; %bb.91:                               ;   in Loop: Header=BB301_10 Depth=1
	s_or_saveexec_b64 s[40:41], s[40:41]
	v_mov_b32_e32 v45, s44
	s_xor_b64 exec, exec, s[40:41]
	s_cbranch_execnz .LBB301_223
.LBB301_92:                             ;   in Loop: Header=BB301_10 Depth=1
	s_or_b64 exec, exec, s[40:41]
	s_and_saveexec_b64 s[40:41], s[0:1]
	s_cbranch_execz .LBB301_94
.LBB301_93:                             ;   in Loop: Header=BB301_10 Depth=1
	v_and_b32_e32 v4, 7, v14
	v_ffbh_u32_e32 v46, v4
	v_min_u32_e32 v48, 32, v46
	v_subrev_u32_e32 v46, 28, v48
	v_bfe_u32 v45, v14, 3, 4
	v_lshlrev_b64 v[46:47], v46, v[14:15]
	v_sub_u32_e32 v47, 29, v48
	v_cmp_eq_u32_e64 s[0:1], 0, v45
	v_and_b32_e32 v46, 7, v46
	s_nop 0
	v_cndmask_b32_e64 v45, v45, v47, s[0:1]
	v_cndmask_b32_e64 v4, v4, v46, s[0:1]
	v_lshlrev_b32_e32 v46, 8, v14
	v_lshl_add_u32 v45, v45, 10, v22
	v_and_or_b32 v45, v46, s52, v45
	v_lshl_or_b32 v4, v4, 7, v45
	v_cvt_f32_f16_e32 v45, v4
.LBB301_94:                             ;   in Loop: Header=BB301_10 Depth=1
	s_or_b64 exec, exec, s[40:41]
	v_lshrrev_b16_e32 v4, 8, v14
	v_cmp_lt_i16_e64 s[0:1], s50, v4
	s_mov_b64 s[40:41], 0
                                        ; implicit-def: $sgpr53
	s_and_saveexec_b64 s[42:43], s[0:1]
	s_xor_b64 s[42:43], exec, s[42:43]
	s_cbranch_execnz .LBB301_224
; %bb.95:                               ;   in Loop: Header=BB301_10 Depth=1
	s_or_saveexec_b64 s[42:43], s[42:43]
	v_mov_b32_e32 v46, s53
	s_xor_b64 exec, exec, s[42:43]
	s_cbranch_execnz .LBB301_227
.LBB301_96:                             ;   in Loop: Header=BB301_10 Depth=1
	s_or_b64 exec, exec, s[42:43]
	s_and_saveexec_b64 s[42:43], s[40:41]
	s_cbranch_execz .LBB301_98
.LBB301_97:                             ;   in Loop: Header=BB301_10 Depth=1
	v_and_b32_e32 v48, 7, v4
	v_ffbh_u32_e32 v46, v48
	v_min_u32_e32 v50, 32, v46
	v_subrev_u32_e32 v46, 28, v50
	v_bfe_u32 v49, v4, 3, 4
	v_lshlrev_b64 v[46:47], v46, v[4:5]
	v_sub_u32_e32 v47, 29, v50
	v_cmp_eq_u32_e64 s[0:1], 0, v49
	v_and_b32_e32 v46, 7, v46
	v_lshlrev_b32_e32 v4, 8, v4
	v_cndmask_b32_e64 v47, v49, v47, s[0:1]
	v_lshl_add_u32 v47, v47, 10, v22
	v_cndmask_b32_e64 v46, v48, v46, s[0:1]
	v_and_or_b32 v4, v4, s52, v47
	v_lshl_or_b32 v4, v46, 7, v4
	v_cvt_f32_f16_e32 v46, v4
.LBB301_98:                             ;   in Loop: Header=BB301_10 Depth=1
	s_or_b64 exec, exec, s[42:43]
	v_lshrrev_b32_e32 v4, 16, v14
	v_cmp_gt_i16_sdwa s[40:41], v4, s50 src0_sel:BYTE_0 src1_sel:DWORD
	s_mov_b64 s[0:1], 0
                                        ; implicit-def: $sgpr44
	s_and_saveexec_b64 s[42:43], s[40:41]
	s_xor_b64 s[40:41], exec, s[42:43]
	s_cbranch_execnz .LBB301_228
; %bb.99:                               ;   in Loop: Header=BB301_10 Depth=1
	s_or_saveexec_b64 s[40:41], s[40:41]
	v_mov_b32_e32 v47, s44
	s_xor_b64 exec, exec, s[40:41]
	s_cbranch_execnz .LBB301_231
.LBB301_100:                            ;   in Loop: Header=BB301_10 Depth=1
	s_or_b64 exec, exec, s[40:41]
	s_and_saveexec_b64 s[40:41], s[0:1]
	s_cbranch_execz .LBB301_102
.LBB301_101:                            ;   in Loop: Header=BB301_10 Depth=1
	v_bfe_u32 v47, v14, 16, 3
	v_ffbh_u32_e32 v48, v47
	v_min_u32_e32 v51, 32, v48
	v_subrev_u32_e32 v48, 28, v51
	v_bfe_u32 v50, v14, 19, 4
	v_lshlrev_b64 v[48:49], v48, v[4:5]
	v_sub_u32_e32 v49, 29, v51
	v_cmp_eq_u32_e64 s[0:1], 0, v50
	v_and_b32_e32 v48, 7, v48
	v_lshlrev_b32_e32 v4, 8, v4
	v_cndmask_b32_e64 v49, v50, v49, s[0:1]
	v_cndmask_b32_e64 v47, v47, v48, s[0:1]
	v_lshl_add_u32 v48, v49, 10, v22
	v_and_or_b32 v4, v4, s52, v48
	v_lshl_or_b32 v4, v47, 7, v4
	v_cvt_f32_f16_e32 v47, v4
.LBB301_102:                            ;   in Loop: Header=BB301_10 Depth=1
	s_or_b64 exec, exec, s[40:41]
	v_lshrrev_b32_e32 v4, 24, v14
	v_cmp_lt_i16_e64 s[0:1], s50, v4
	s_mov_b64 s[40:41], 0
                                        ; implicit-def: $sgpr53
	s_and_saveexec_b64 s[42:43], s[0:1]
	s_xor_b64 s[42:43], exec, s[42:43]
	s_cbranch_execnz .LBB301_232
; %bb.103:                              ;   in Loop: Header=BB301_10 Depth=1
	s_or_saveexec_b64 s[42:43], s[42:43]
	v_mov_b32_e32 v48, s53
	s_xor_b64 exec, exec, s[42:43]
	s_cbranch_execnz .LBB301_235
.LBB301_104:                            ;   in Loop: Header=BB301_10 Depth=1
	s_or_b64 exec, exec, s[42:43]
	s_and_saveexec_b64 s[42:43], s[40:41]
	s_cbranch_execz .LBB301_106
.LBB301_105:                            ;   in Loop: Header=BB301_10 Depth=1
	v_bfe_u32 v50, v14, 24, 3
	v_ffbh_u32_e32 v48, v50
	v_min_u32_e32 v51, 32, v48
	v_subrev_u32_e32 v48, 28, v51
	v_bfe_u32 v14, v14, 27, 4
	v_lshlrev_b64 v[48:49], v48, v[4:5]
	v_sub_u32_e32 v49, 29, v51
	v_cmp_eq_u32_e64 s[0:1], 0, v14
	v_and_b32_e32 v48, 7, v48
	v_lshlrev_b32_e32 v4, 8, v4
	v_cndmask_b32_e64 v14, v14, v49, s[0:1]
	v_lshl_add_u32 v14, v14, 10, v22
	v_cndmask_b32_e64 v48, v50, v48, s[0:1]
	v_and_or_b32 v4, v4, s52, v14
	v_lshl_or_b32 v4, v48, 7, v4
	v_cvt_f32_f16_e32 v48, v4
.LBB301_106:                            ;   in Loop: Header=BB301_10 Depth=1
	s_or_b64 exec, exec, s[42:43]
	global_load_dword v14, v[12:13], off offset:1536
	s_mov_b64 s[0:1], 0
                                        ; implicit-def: $sgpr44
	s_waitcnt vmcnt(0)
	v_cmp_gt_i16_sdwa s[40:41], v14, s50 src0_sel:BYTE_0 src1_sel:DWORD
	s_and_saveexec_b64 s[42:43], s[40:41]
	s_xor_b64 s[40:41], exec, s[42:43]
	s_cbranch_execnz .LBB301_236
; %bb.107:                              ;   in Loop: Header=BB301_10 Depth=1
	s_or_saveexec_b64 s[40:41], s[40:41]
	v_mov_b32_e32 v49, s44
	s_xor_b64 exec, exec, s[40:41]
	s_cbranch_execnz .LBB301_239
.LBB301_108:                            ;   in Loop: Header=BB301_10 Depth=1
	s_or_b64 exec, exec, s[40:41]
	s_and_saveexec_b64 s[40:41], s[0:1]
	s_cbranch_execz .LBB301_110
.LBB301_109:                            ;   in Loop: Header=BB301_10 Depth=1
	v_and_b32_e32 v4, 7, v14
	v_ffbh_u32_e32 v50, v4
	v_min_u32_e32 v52, 32, v50
	v_subrev_u32_e32 v50, 28, v52
	v_bfe_u32 v49, v14, 3, 4
	v_lshlrev_b64 v[50:51], v50, v[14:15]
	v_sub_u32_e32 v51, 29, v52
	v_cmp_eq_u32_e64 s[0:1], 0, v49
	v_and_b32_e32 v50, 7, v50
	s_nop 0
	v_cndmask_b32_e64 v49, v49, v51, s[0:1]
	v_cndmask_b32_e64 v4, v4, v50, s[0:1]
	v_lshlrev_b32_e32 v50, 8, v14
	v_lshl_add_u32 v49, v49, 10, v22
	v_and_or_b32 v49, v50, s52, v49
	v_lshl_or_b32 v4, v4, 7, v49
	v_cvt_f32_f16_e32 v49, v4
.LBB301_110:                            ;   in Loop: Header=BB301_10 Depth=1
	s_or_b64 exec, exec, s[40:41]
	v_lshrrev_b16_e32 v4, 8, v14
	v_cmp_lt_i16_e64 s[0:1], s50, v4
	s_mov_b64 s[40:41], 0
                                        ; implicit-def: $sgpr53
	s_and_saveexec_b64 s[42:43], s[0:1]
	s_xor_b64 s[42:43], exec, s[42:43]
	s_cbranch_execnz .LBB301_240
; %bb.111:                              ;   in Loop: Header=BB301_10 Depth=1
	s_or_saveexec_b64 s[42:43], s[42:43]
	v_mov_b32_e32 v50, s53
	s_xor_b64 exec, exec, s[42:43]
	s_cbranch_execnz .LBB301_243
.LBB301_112:                            ;   in Loop: Header=BB301_10 Depth=1
	s_or_b64 exec, exec, s[42:43]
	s_and_saveexec_b64 s[42:43], s[40:41]
	s_cbranch_execz .LBB301_114
.LBB301_113:                            ;   in Loop: Header=BB301_10 Depth=1
	v_and_b32_e32 v52, 7, v4
	v_ffbh_u32_e32 v50, v52
	v_min_u32_e32 v54, 32, v50
	v_subrev_u32_e32 v50, 28, v54
	v_bfe_u32 v53, v4, 3, 4
	v_lshlrev_b64 v[50:51], v50, v[4:5]
	v_sub_u32_e32 v51, 29, v54
	v_cmp_eq_u32_e64 s[0:1], 0, v53
	v_and_b32_e32 v50, 7, v50
	v_lshlrev_b32_e32 v4, 8, v4
	v_cndmask_b32_e64 v51, v53, v51, s[0:1]
	v_lshl_add_u32 v51, v51, 10, v22
	v_cndmask_b32_e64 v50, v52, v50, s[0:1]
	v_and_or_b32 v4, v4, s52, v51
	v_lshl_or_b32 v4, v50, 7, v4
	v_cvt_f32_f16_e32 v50, v4
.LBB301_114:                            ;   in Loop: Header=BB301_10 Depth=1
	s_or_b64 exec, exec, s[42:43]
	v_lshrrev_b32_e32 v4, 16, v14
	v_cmp_gt_i16_sdwa s[40:41], v4, s50 src0_sel:BYTE_0 src1_sel:DWORD
	s_mov_b64 s[0:1], 0
                                        ; implicit-def: $sgpr44
	s_and_saveexec_b64 s[42:43], s[40:41]
	s_xor_b64 s[40:41], exec, s[42:43]
	s_cbranch_execnz .LBB301_244
; %bb.115:                              ;   in Loop: Header=BB301_10 Depth=1
	s_or_saveexec_b64 s[40:41], s[40:41]
	v_mov_b32_e32 v51, s44
	s_xor_b64 exec, exec, s[40:41]
	s_cbranch_execnz .LBB301_247
.LBB301_116:                            ;   in Loop: Header=BB301_10 Depth=1
	s_or_b64 exec, exec, s[40:41]
	s_and_saveexec_b64 s[40:41], s[0:1]
	s_cbranch_execz .LBB301_118
.LBB301_117:                            ;   in Loop: Header=BB301_10 Depth=1
	v_bfe_u32 v51, v14, 16, 3
	v_ffbh_u32_e32 v52, v51
	v_min_u32_e32 v55, 32, v52
	v_subrev_u32_e32 v52, 28, v55
	v_bfe_u32 v54, v14, 19, 4
	v_lshlrev_b64 v[52:53], v52, v[4:5]
	v_sub_u32_e32 v53, 29, v55
	v_cmp_eq_u32_e64 s[0:1], 0, v54
	v_and_b32_e32 v52, 7, v52
	v_lshlrev_b32_e32 v4, 8, v4
	v_cndmask_b32_e64 v53, v54, v53, s[0:1]
	v_cndmask_b32_e64 v51, v51, v52, s[0:1]
	v_lshl_add_u32 v52, v53, 10, v22
	v_and_or_b32 v4, v4, s52, v52
	v_lshl_or_b32 v4, v51, 7, v4
	v_cvt_f32_f16_e32 v51, v4
.LBB301_118:                            ;   in Loop: Header=BB301_10 Depth=1
	s_or_b64 exec, exec, s[40:41]
	v_lshrrev_b32_e32 v4, 24, v14
	v_cmp_lt_i16_e64 s[0:1], s50, v4
	s_mov_b64 s[40:41], 0
                                        ; implicit-def: $sgpr53
	s_and_saveexec_b64 s[42:43], s[0:1]
	s_xor_b64 s[42:43], exec, s[42:43]
	s_cbranch_execnz .LBB301_248
; %bb.119:                              ;   in Loop: Header=BB301_10 Depth=1
	s_or_saveexec_b64 s[42:43], s[42:43]
	v_mov_b32_e32 v52, s53
	s_xor_b64 exec, exec, s[42:43]
	s_cbranch_execnz .LBB301_251
.LBB301_120:                            ;   in Loop: Header=BB301_10 Depth=1
	s_or_b64 exec, exec, s[42:43]
	s_and_saveexec_b64 s[42:43], s[40:41]
	s_cbranch_execz .LBB301_122
.LBB301_121:                            ;   in Loop: Header=BB301_10 Depth=1
	v_bfe_u32 v54, v14, 24, 3
	v_ffbh_u32_e32 v52, v54
	v_min_u32_e32 v55, 32, v52
	v_subrev_u32_e32 v52, 28, v55
	v_bfe_u32 v14, v14, 27, 4
	v_lshlrev_b64 v[52:53], v52, v[4:5]
	v_sub_u32_e32 v53, 29, v55
	v_cmp_eq_u32_e64 s[0:1], 0, v14
	v_and_b32_e32 v52, 7, v52
	v_lshlrev_b32_e32 v4, 8, v4
	v_cndmask_b32_e64 v14, v14, v53, s[0:1]
	v_lshl_add_u32 v14, v14, 10, v22
	v_cndmask_b32_e64 v52, v54, v52, s[0:1]
	v_and_or_b32 v4, v4, s52, v14
	v_lshl_or_b32 v4, v52, 7, v4
	v_cvt_f32_f16_e32 v52, v4
.LBB301_122:                            ;   in Loop: Header=BB301_10 Depth=1
	s_or_b64 exec, exec, s[42:43]
	global_load_dword v12, v[12:13], off offset:1544
	s_mov_b64 s[0:1], 0
                                        ; implicit-def: $sgpr44
	s_waitcnt vmcnt(0)
	v_cmp_gt_i16_sdwa s[40:41], v12, s50 src0_sel:BYTE_0 src1_sel:DWORD
	s_and_saveexec_b64 s[42:43], s[40:41]
	s_xor_b64 s[40:41], exec, s[42:43]
	s_cbranch_execnz .LBB301_252
; %bb.123:                              ;   in Loop: Header=BB301_10 Depth=1
	s_or_saveexec_b64 s[40:41], s[40:41]
	v_mov_b32_e32 v13, s44
	s_xor_b64 exec, exec, s[40:41]
	s_cbranch_execnz .LBB301_255
.LBB301_124:                            ;   in Loop: Header=BB301_10 Depth=1
	s_or_b64 exec, exec, s[40:41]
	s_and_saveexec_b64 s[40:41], s[0:1]
	s_cbranch_execz .LBB301_126
.LBB301_125:                            ;   in Loop: Header=BB301_10 Depth=1
	v_and_b32_e32 v4, 7, v12
	v_ffbh_u32_e32 v14, v4
	v_bfe_u32 v13, v12, 3, 4
	v_min_u32_e32 v14, 32, v14
	v_subrev_u32_e32 v53, 28, v14
	v_sub_u32_e32 v14, 29, v14
	v_cmp_eq_u32_e64 s[0:1], 0, v13
	v_lshlrev_b64 v[54:55], v53, v[12:13]
	v_and_b32_e32 v53, 7, v54
	v_cndmask_b32_e64 v13, v13, v14, s[0:1]
	v_lshlrev_b32_e32 v14, 8, v12
	v_lshl_add_u32 v13, v13, 10, v22
	v_cndmask_b32_e64 v4, v4, v53, s[0:1]
	v_and_or_b32 v13, v14, s52, v13
	v_lshl_or_b32 v4, v4, 7, v13
	v_cvt_f32_f16_e32 v13, v4
.LBB301_126:                            ;   in Loop: Header=BB301_10 Depth=1
	s_or_b64 exec, exec, s[40:41]
	v_lshrrev_b16_e32 v4, 8, v12
	v_cmp_lt_i16_e64 s[0:1], s50, v4
	s_mov_b64 s[40:41], 0
                                        ; implicit-def: $sgpr53
	s_and_saveexec_b64 s[42:43], s[0:1]
	s_xor_b64 s[42:43], exec, s[42:43]
	s_cbranch_execnz .LBB301_256
; %bb.127:                              ;   in Loop: Header=BB301_10 Depth=1
	s_or_saveexec_b64 s[42:43], s[42:43]
	v_mov_b32_e32 v14, s53
	s_xor_b64 exec, exec, s[42:43]
	s_cbranch_execnz .LBB301_259
.LBB301_128:                            ;   in Loop: Header=BB301_10 Depth=1
	s_or_b64 exec, exec, s[42:43]
	s_and_saveexec_b64 s[42:43], s[40:41]
	s_cbranch_execz .LBB301_130
.LBB301_129:                            ;   in Loop: Header=BB301_10 Depth=1
	v_and_b32_e32 v14, 7, v4
	v_ffbh_u32_e32 v54, v14
	v_min_u32_e32 v56, 32, v54
	v_subrev_u32_e32 v54, 28, v56
	v_bfe_u32 v53, v4, 3, 4
	v_lshlrev_b64 v[54:55], v54, v[4:5]
	v_sub_u32_e32 v55, 29, v56
	v_cmp_eq_u32_e64 s[0:1], 0, v53
	v_and_b32_e32 v54, 7, v54
	v_lshlrev_b32_e32 v4, 8, v4
	v_cndmask_b32_e64 v53, v53, v55, s[0:1]
	v_lshl_add_u32 v53, v53, 10, v22
	v_cndmask_b32_e64 v14, v14, v54, s[0:1]
	v_and_or_b32 v4, v4, s52, v53
	v_lshl_or_b32 v4, v14, 7, v4
	v_cvt_f32_f16_e32 v14, v4
.LBB301_130:                            ;   in Loop: Header=BB301_10 Depth=1
	s_or_b64 exec, exec, s[42:43]
	v_lshrrev_b32_e32 v4, 16, v12
	v_cmp_gt_i16_sdwa s[40:41], v4, s50 src0_sel:BYTE_0 src1_sel:DWORD
	s_mov_b64 s[0:1], 0
                                        ; implicit-def: $sgpr44
	s_and_saveexec_b64 s[42:43], s[40:41]
	s_xor_b64 s[40:41], exec, s[42:43]
	s_cbranch_execnz .LBB301_260
; %bb.131:                              ;   in Loop: Header=BB301_10 Depth=1
	s_or_saveexec_b64 s[40:41], s[40:41]
	v_mov_b32_e32 v53, s44
	s_xor_b64 exec, exec, s[40:41]
	s_cbranch_execnz .LBB301_263
.LBB301_132:                            ;   in Loop: Header=BB301_10 Depth=1
	s_or_b64 exec, exec, s[40:41]
	s_and_saveexec_b64 s[40:41], s[0:1]
	s_cbranch_execz .LBB301_134
.LBB301_133:                            ;   in Loop: Header=BB301_10 Depth=1
	v_bfe_u32 v53, v12, 16, 3
	v_ffbh_u32_e32 v54, v53
	v_min_u32_e32 v57, 32, v54
	v_subrev_u32_e32 v54, 28, v57
	v_bfe_u32 v56, v12, 19, 4
	v_lshlrev_b64 v[54:55], v54, v[4:5]
	v_sub_u32_e32 v55, 29, v57
	v_cmp_eq_u32_e64 s[0:1], 0, v56
	v_and_b32_e32 v54, 7, v54
	v_lshlrev_b32_e32 v4, 8, v4
	v_cndmask_b32_e64 v55, v56, v55, s[0:1]
	v_cndmask_b32_e64 v53, v53, v54, s[0:1]
	v_lshl_add_u32 v54, v55, 10, v22
	v_and_or_b32 v4, v4, s52, v54
	v_lshl_or_b32 v4, v53, 7, v4
	v_cvt_f32_f16_e32 v53, v4
.LBB301_134:                            ;   in Loop: Header=BB301_10 Depth=1
	s_or_b64 exec, exec, s[40:41]
	v_lshrrev_b32_e32 v4, 24, v12
	v_cmp_lt_i16_e64 s[0:1], s50, v4
	s_mov_b64 s[40:41], 0
                                        ; implicit-def: $sgpr53
	s_and_saveexec_b64 s[42:43], s[0:1]
	s_xor_b64 s[42:43], exec, s[42:43]
	s_cbranch_execnz .LBB301_264
; %bb.135:                              ;   in Loop: Header=BB301_10 Depth=1
	s_or_saveexec_b64 s[42:43], s[42:43]
	v_mov_b32_e32 v54, s53
	s_xor_b64 exec, exec, s[42:43]
	s_cbranch_execnz .LBB301_267
.LBB301_136:                            ;   in Loop: Header=BB301_10 Depth=1
	s_or_b64 exec, exec, s[42:43]
	s_and_saveexec_b64 s[42:43], s[40:41]
	s_cbranch_execz .LBB301_138
.LBB301_137:                            ;   in Loop: Header=BB301_10 Depth=1
	v_bfe_u32 v56, v12, 24, 3
	v_ffbh_u32_e32 v54, v56
	v_min_u32_e32 v57, 32, v54
	v_subrev_u32_e32 v54, 28, v57
	v_bfe_u32 v12, v12, 27, 4
	v_lshlrev_b64 v[54:55], v54, v[4:5]
	v_sub_u32_e32 v55, 29, v57
	v_cmp_eq_u32_e64 s[0:1], 0, v12
	v_and_b32_e32 v54, 7, v54
	v_lshlrev_b32_e32 v4, 8, v4
	v_cndmask_b32_e64 v12, v12, v55, s[0:1]
	v_lshl_add_u32 v12, v12, 10, v22
	v_cndmask_b32_e64 v54, v56, v54, s[0:1]
	v_and_or_b32 v4, v4, s52, v12
	v_lshl_or_b32 v4, v54, 7, v4
	v_cvt_f32_f16_e32 v54, v4
.LBB301_138:                            ;   in Loop: Header=BB301_10 Depth=1
	s_or_b64 exec, exec, s[42:43]
	v_fma_mixlo_f16 v4, v24, v50, 0
	v_fma_mixlo_f16 v50, v24, v51, 0
	;; [unrolled: 1-line block ×5, first 2 shown]
	ds_read_b64 v[30:31], v17
	v_fma_mixlo_f16 v26, v24, v26, 0
	v_fma_mixlo_f16 v25, v24, v25, 0
	v_and_b32_e32 v25, 0xffff, v25
	v_and_b32_e32 v26, 0xffff, v26
	s_waitcnt lgkmcnt(0)
	v_lshrrev_b32_e32 v55, 16, v30
	v_and_b32_e32 v30, 0xffff, v30
	v_fma_mixlo_f16 v27, v24, v27, 0
	;;#ASMSTART
	v_cvt_f32_f16 v30, v30;
	;;#ASMEND
	;;#ASMSTART
	v_cvt_f32_f16 v55, v55;
	;;#ASMEND
	;; [unrolled: 3-line block ×4, first 2 shown]
	v_lshrrev_b32_e32 v26, 16, v31
	v_and_b32_e32 v31, 0xffff, v31
	v_fma_mixlo_f16 v28, v24, v28, 0
	;;#ASMSTART
	v_cvt_f32_f16 v31, v31;
	;;#ASMEND
	;;#ASMSTART
	v_cvt_f32_f16 v57, v26;
	;;#ASMEND
	v_and_b32_e32 v26, 0xffff, v27
	;;#ASMSTART
	v_cvt_f32_f16 v58, v26;
	;;#ASMEND
	v_and_b32_e32 v26, 0xffff, v28
	;;#ASMSTART
	v_cvt_f32_f16 v28, v26;
	;;#ASMEND
	ds_read_b64 v[26:27], v17 offset:8
	v_fma_mixlo_f16 v29, v24, v29, 0
	v_fma_mixlo_f16 v59, v24, v13, 0
	v_and_b32_e32 v29, 0xffff, v29
	v_and_b32_e32 v12, 0xffff, v12
	s_waitcnt lgkmcnt(0)
	v_lshrrev_b32_e32 v13, 16, v26
	v_and_b32_e32 v26, 0xffff, v26
	;;#ASMSTART
	v_cvt_f32_f16 v26, v26;
	;;#ASMEND
	;;#ASMSTART
	v_cvt_f32_f16 v13, v13;
	;;#ASMEND
	;; [unrolled: 3-line block ×4, first 2 shown]
	v_fma_mixlo_f16 v32, v24, v32, 0
	v_mul_f32_e32 v26, v26, v29
	v_fmac_f32_e32 v26, v30, v25
	v_mul_f32_e32 v25, v13, v12
	v_lshrrev_b32_e32 v12, 16, v27
	v_and_b32_e32 v13, 0xffff, v27
	;;#ASMSTART
	v_cvt_f32_f16 v27, v13;
	;;#ASMEND
	;;#ASMSTART
	v_cvt_f32_f16 v29, v12;
	;;#ASMEND
	v_and_b32_e32 v12, 0xffff, v52
	;;#ASMSTART
	v_cvt_f32_f16 v30, v12;
	;;#ASMEND
	v_and_b32_e32 v12, 0xffff, v32
	;;#ASMSTART
	v_cvt_f32_f16 v32, v12;
	;;#ASMEND
	ds_read_b64 v[12:13], v17 offset:16
	v_mul_f32_e32 v29, v29, v32
	v_fma_mixlo_f16 v33, v24, v33, 0
	v_fmac_f32_e32 v29, v57, v28
	v_fma_mixlo_f16 v34, v24, v34, 0
	s_waitcnt lgkmcnt(0)
	v_lshrrev_b32_e32 v28, 16, v12
	v_and_b32_e32 v12, 0xffff, v12
	v_mul_f32_e32 v27, v27, v30
	;;#ASMSTART
	v_cvt_f32_f16 v30, v12;
	;;#ASMEND
	v_and_b32_e32 v12, 0xffff, v33
	v_fmac_f32_e32 v27, v31, v58
	;;#ASMSTART
	v_cvt_f32_f16 v28, v28;
	;;#ASMEND
	;;#ASMSTART
	v_cvt_f32_f16 v31, v12;
	;;#ASMEND
	v_and_b32_e32 v12, 0xffff, v34
	v_fma_mixlo_f16 v35, v24, v35, 0
	;;#ASMSTART
	v_cvt_f32_f16 v32, v12;
	;;#ASMEND
	v_lshrrev_b32_e32 v12, 16, v13
	v_fma_mixlo_f16 v36, v24, v36, 0
	v_and_b32_e32 v13, 0xffff, v13
	;;#ASMSTART
	v_cvt_f32_f16 v33, v13;
	;;#ASMEND
	;;#ASMSTART
	v_cvt_f32_f16 v34, v12;
	;;#ASMEND
	v_and_b32_e32 v12, 0xffff, v35
	;;#ASMSTART
	v_cvt_f32_f16 v35, v12;
	;;#ASMEND
	v_and_b32_e32 v12, 0xffff, v36
	;;#ASMSTART
	v_cvt_f32_f16 v36, v12;
	;;#ASMEND
	ds_read_b64 v[12:13], v17 offset:24
	v_fmac_f32_e32 v25, v55, v56
	v_fma_mixlo_f16 v37, v24, v37, 0
	v_fmac_f32_e32 v25, v28, v32
	v_fma_mixlo_f16 v38, v24, v38, 0
	s_waitcnt lgkmcnt(0)
	v_lshrrev_b32_e32 v28, 16, v12
	v_and_b32_e32 v12, 0xffff, v12
	v_fmac_f32_e32 v26, v30, v31
	;;#ASMSTART
	v_cvt_f32_f16 v30, v12;
	;;#ASMEND
	v_and_b32_e32 v12, 0xffff, v37
	;;#ASMSTART
	v_cvt_f32_f16 v28, v28;
	;;#ASMEND
	;;#ASMSTART
	v_cvt_f32_f16 v31, v12;
	;;#ASMEND
	v_and_b32_e32 v12, 0xffff, v38
	v_fma_mixlo_f16 v39, v24, v39, 0
	;;#ASMSTART
	v_cvt_f32_f16 v32, v12;
	;;#ASMEND
	v_lshrrev_b32_e32 v12, 16, v13
	v_fma_mixlo_f16 v40, v24, v40, 0
	v_fmac_f32_e32 v27, v33, v35
	v_fmac_f32_e32 v29, v34, v36
	v_and_b32_e32 v13, 0xffff, v13
	;;#ASMSTART
	v_cvt_f32_f16 v33, v13;
	;;#ASMEND
	;;#ASMSTART
	v_cvt_f32_f16 v34, v12;
	;;#ASMEND
	v_and_b32_e32 v12, 0xffff, v39
	;;#ASMSTART
	v_cvt_f32_f16 v35, v12;
	;;#ASMEND
	v_and_b32_e32 v12, 0xffff, v40
	;;#ASMSTART
	v_cvt_f32_f16 v36, v12;
	;;#ASMEND
	ds_read_b64 v[12:13], v17 offset:32
	v_fma_mixlo_f16 v41, v24, v41, 0
	v_fmac_f32_e32 v25, v28, v32
	v_fma_mixlo_f16 v42, v24, v42, 0
	v_fmac_f32_e32 v26, v30, v31
	s_waitcnt lgkmcnt(0)
	v_lshrrev_b32_e32 v28, 16, v12
	v_and_b32_e32 v12, 0xffff, v12
	;;#ASMSTART
	v_cvt_f32_f16 v30, v12;
	;;#ASMEND
	v_and_b32_e32 v12, 0xffff, v41
	;;#ASMSTART
	v_cvt_f32_f16 v28, v28;
	;;#ASMEND
	;;#ASMSTART
	v_cvt_f32_f16 v31, v12;
	;;#ASMEND
	v_and_b32_e32 v12, 0xffff, v42
	v_fma_mixlo_f16 v43, v24, v43, 0
	;;#ASMSTART
	v_cvt_f32_f16 v32, v12;
	;;#ASMEND
	v_lshrrev_b32_e32 v12, 16, v13
	v_fma_mixlo_f16 v44, v24, v44, 0
	v_fmac_f32_e32 v27, v33, v35
	v_fmac_f32_e32 v29, v34, v36
	v_and_b32_e32 v13, 0xffff, v13
	;;#ASMSTART
	v_cvt_f32_f16 v33, v13;
	;;#ASMEND
	;;#ASMSTART
	v_cvt_f32_f16 v34, v12;
	;;#ASMEND
	v_and_b32_e32 v12, 0xffff, v43
	;;#ASMSTART
	v_cvt_f32_f16 v35, v12;
	;;#ASMEND
	v_and_b32_e32 v12, 0xffff, v44
	;;#ASMSTART
	v_cvt_f32_f16 v36, v12;
	;;#ASMEND
	ds_read_b64 v[12:13], v17 offset:40
	v_fma_mixlo_f16 v45, v24, v45, 0
	v_fmac_f32_e32 v25, v28, v32
	v_fma_mixlo_f16 v46, v24, v46, 0
	v_fmac_f32_e32 v26, v30, v31
	s_waitcnt lgkmcnt(0)
	v_lshrrev_b32_e32 v28, 16, v12
	v_and_b32_e32 v12, 0xffff, v12
	;;#ASMSTART
	v_cvt_f32_f16 v30, v12;
	;;#ASMEND
	v_and_b32_e32 v12, 0xffff, v45
	;;#ASMSTART
	v_cvt_f32_f16 v28, v28;
	;;#ASMEND
	;;#ASMSTART
	v_cvt_f32_f16 v31, v12;
	;;#ASMEND
	v_and_b32_e32 v12, 0xffff, v46
	v_fma_mixlo_f16 v47, v24, v47, 0
	;;#ASMSTART
	v_cvt_f32_f16 v32, v12;
	;;#ASMEND
	v_lshrrev_b32_e32 v12, 16, v13
	v_fma_mixlo_f16 v48, v24, v48, 0
	v_fmac_f32_e32 v27, v33, v35
	v_fmac_f32_e32 v29, v34, v36
	v_and_b32_e32 v13, 0xffff, v13
	;;#ASMSTART
	v_cvt_f32_f16 v33, v13;
	;;#ASMEND
	;;#ASMSTART
	v_cvt_f32_f16 v34, v12;
	;;#ASMEND
	v_and_b32_e32 v12, 0xffff, v47
	;;#ASMSTART
	v_cvt_f32_f16 v35, v12;
	;;#ASMEND
	v_and_b32_e32 v12, 0xffff, v48
	;;#ASMSTART
	v_cvt_f32_f16 v36, v12;
	;;#ASMEND
	ds_read_b64 v[12:13], v17 offset:48
	v_fma_mixlo_f16 v49, v24, v49, 0
	v_fmac_f32_e32 v25, v28, v32
	v_fmac_f32_e32 v26, v30, v31
	v_and_b32_e32 v4, 0xffff, v4
	s_waitcnt lgkmcnt(0)
	v_lshrrev_b32_e32 v28, 16, v12
	v_and_b32_e32 v12, 0xffff, v12
	;;#ASMSTART
	v_cvt_f32_f16 v30, v12;
	;;#ASMEND
	v_and_b32_e32 v12, 0xffff, v49
	;;#ASMSTART
	v_cvt_f32_f16 v28, v28;
	;;#ASMEND
	;;#ASMSTART
	v_cvt_f32_f16 v31, v12;
	;;#ASMEND
	v_lshrrev_b32_e32 v12, 16, v13
	v_fmac_f32_e32 v27, v33, v35
	;;#ASMSTART
	v_cvt_f32_f16 v4, v4;
	;;#ASMEND
	v_and_b32_e32 v13, 0xffff, v13
	;;#ASMSTART
	v_cvt_f32_f16 v32, v13;
	;;#ASMEND
	;;#ASMSTART
	v_cvt_f32_f16 v33, v12;
	;;#ASMEND
	v_and_b32_e32 v12, 0xffff, v50
	v_fmac_f32_e32 v29, v34, v36
	;;#ASMSTART
	v_cvt_f32_f16 v34, v12;
	;;#ASMEND
	v_and_b32_e32 v12, 0xffff, v51
	;;#ASMSTART
	v_cvt_f32_f16 v35, v12;
	;;#ASMEND
	ds_read_b64 v[12:13], v17 offset:56
	v_fma_mixlo_f16 v14, v24, v14, 0
	v_fmac_f32_e32 v25, v28, v4
	v_fmac_f32_e32 v26, v30, v31
	v_and_b32_e32 v28, 0xffff, v59
	s_waitcnt lgkmcnt(0)
	v_lshrrev_b32_e32 v4, 16, v12
	v_and_b32_e32 v12, 0xffff, v12
	;;#ASMSTART
	v_cvt_f32_f16 v12, v12;
	;;#ASMEND
	;;#ASMSTART
	v_cvt_f32_f16 v4, v4;
	;;#ASMEND
	v_and_b32_e32 v14, 0xffff, v14
	v_fma_mixlo_f16 v53, v24, v53, 0
	v_fma_mixlo_f16 v24, v24, v54, 0
	;;#ASMSTART
	v_cvt_f32_f16 v28, v28;
	;;#ASMEND
	;;#ASMSTART
	v_cvt_f32_f16 v14, v14;
	;;#ASMEND
	v_fmac_f32_e32 v27, v32, v34
	v_fmac_f32_e32 v26, v12, v28
	;; [unrolled: 1-line block ×3, first 2 shown]
	v_lshrrev_b32_e32 v4, 16, v13
	v_and_b32_e32 v12, 0xffff, v13
	v_fmac_f32_e32 v29, v33, v35
	;;#ASMSTART
	v_cvt_f32_f16 v12, v12;
	;;#ASMEND
	;;#ASMSTART
	v_cvt_f32_f16 v4, v4;
	;;#ASMEND
	v_and_b32_e32 v13, 0xffff, v53
	v_and_b32_e32 v14, 0xffff, v24
	;;#ASMSTART
	v_cvt_f32_f16 v13, v13;
	;;#ASMEND
	;;#ASMSTART
	v_cvt_f32_f16 v14, v14;
	;;#ASMEND
	s_nop 0
	v_fmac_f32_e32 v27, v12, v13
	v_fmac_f32_e32 v29, v4, v14
	v_add_f32_e32 v4, v26, v25
	v_add_f32_e32 v4, v4, v27
	v_add_f32_e32 v12, v29, v4
	v_and_b32_e32 v4, 64, v19
	v_xor_b32_e32 v13, 1, v19
	v_add_u32_e32 v4, 64, v4
	v_cmp_lt_i32_e64 s[0:1], v13, v4
	s_nop 1
	v_cndmask_b32_e64 v13, v19, v13, s[0:1]
	v_lshlrev_b32_e32 v13, 2, v13
	ds_bpermute_b32 v13, v13, v12
	s_and_saveexec_b64 s[40:41], vcc
	s_cbranch_execz .LBB301_9
; %bb.139:                              ;   in Loop: Header=BB301_10 Depth=1
	v_add_u32_e32 v14, s49, v20
	v_cvt_f32_i32_e32 v14, v14
	s_waitcnt lgkmcnt(0)
	v_add_f32_e32 v12, v12, v13
	v_cmp_gt_i32_e64 s[0:1], s29, v20
	v_max_f32_e32 v13, v1, v1
	v_mul_f32_e32 v14, s10, v14
	v_cndmask_b32_e64 v14, 0, v14, s[6:7]
	v_fmac_f32_e32 v14, s11, v12
	v_cndmask_b32_e64 v12, 0, v14, s[0:1]
	ds_write_b32 v21, v12
	v_max_f32_e32 v12, v13, v14
	v_cndmask_b32_e64 v1, v1, v12, s[0:1]
	s_branch .LBB301_9
.LBB301_140:                            ;   in Loop: Header=BB301_10 Depth=1
	v_cmp_eq_u16_sdwa s[54:55], v14, s51 src0_sel:BYTE_0 src1_sel:DWORD
	s_mov_b64 s[0:1], -1
                                        ; implicit-def: $sgpr44
	s_and_saveexec_b64 s[42:43], s[54:55]
; %bb.141:                              ;   in Loop: Header=BB301_10 Depth=1
	s_mov_b32 s44, 0x7fc02000
	s_xor_b64 s[0:1], exec, -1
; %bb.142:                              ;   in Loop: Header=BB301_10 Depth=1
	s_or_b64 exec, exec, s[42:43]
	s_and_b64 s[0:1], s[0:1], exec
	s_or_saveexec_b64 s[40:41], s[40:41]
	v_mov_b32_e32 v25, s44
	s_xor_b64 exec, exec, s[40:41]
	s_cbranch_execz .LBB301_12
.LBB301_143:                            ;   in Loop: Header=BB301_10 Depth=1
	v_cmp_ne_u16_sdwa s[42:43], v14, v5 src0_sel:BYTE_0 src1_sel:DWORD
	s_andn2_b64 s[0:1], s[0:1], exec
	s_and_b64 s[42:43], s[42:43], exec
	v_mov_b32_e32 v25, 0
	s_or_b64 s[0:1], s[0:1], s[42:43]
	s_or_b64 exec, exec, s[40:41]
	s_and_saveexec_b64 s[40:41], s[0:1]
	s_cbranch_execnz .LBB301_13
	s_branch .LBB301_14
.LBB301_144:                            ;   in Loop: Header=BB301_10 Depth=1
	v_cmp_eq_u16_e64 s[0:1], s51, v4
	s_mov_b64 s[40:41], -1
                                        ; implicit-def: $sgpr53
	s_and_saveexec_b64 s[44:45], s[0:1]
; %bb.145:                              ;   in Loop: Header=BB301_10 Depth=1
	s_mov_b32 s53, 0x7fc02000
	s_xor_b64 s[40:41], exec, -1
; %bb.146:                              ;   in Loop: Header=BB301_10 Depth=1
	s_or_b64 exec, exec, s[44:45]
	s_and_b64 s[40:41], s[40:41], exec
	s_or_saveexec_b64 s[42:43], s[42:43]
	v_mov_b32_e32 v26, s53
	s_xor_b64 exec, exec, s[42:43]
	s_cbranch_execz .LBB301_16
.LBB301_147:                            ;   in Loop: Header=BB301_10 Depth=1
	v_cmp_ne_u16_e64 s[0:1], 0, v4
	s_andn2_b64 s[40:41], s[40:41], exec
	s_and_b64 s[0:1], s[0:1], exec
	v_mov_b32_e32 v26, 0
	s_or_b64 s[40:41], s[40:41], s[0:1]
	s_or_b64 exec, exec, s[42:43]
	s_and_saveexec_b64 s[42:43], s[40:41]
	s_cbranch_execnz .LBB301_17
	s_branch .LBB301_18
.LBB301_148:                            ;   in Loop: Header=BB301_10 Depth=1
	v_cmp_eq_u16_sdwa s[54:55], v4, s51 src0_sel:BYTE_0 src1_sel:DWORD
	s_mov_b64 s[0:1], -1
                                        ; implicit-def: $sgpr44
	s_and_saveexec_b64 s[42:43], s[54:55]
; %bb.149:                              ;   in Loop: Header=BB301_10 Depth=1
	s_mov_b32 s44, 0x7fc02000
	s_xor_b64 s[0:1], exec, -1
; %bb.150:                              ;   in Loop: Header=BB301_10 Depth=1
	s_or_b64 exec, exec, s[42:43]
	s_and_b64 s[0:1], s[0:1], exec
	s_or_saveexec_b64 s[40:41], s[40:41]
	v_mov_b32_e32 v27, s44
	s_xor_b64 exec, exec, s[40:41]
	s_cbranch_execz .LBB301_20
.LBB301_151:                            ;   in Loop: Header=BB301_10 Depth=1
	v_cmp_ne_u16_sdwa s[42:43], v4, v5 src0_sel:BYTE_0 src1_sel:DWORD
	s_andn2_b64 s[0:1], s[0:1], exec
	s_and_b64 s[42:43], s[42:43], exec
	v_mov_b32_e32 v27, 0
	s_or_b64 s[0:1], s[0:1], s[42:43]
	s_or_b64 exec, exec, s[40:41]
	s_and_saveexec_b64 s[40:41], s[0:1]
	s_cbranch_execnz .LBB301_21
	s_branch .LBB301_22
.LBB301_152:                            ;   in Loop: Header=BB301_10 Depth=1
	v_cmp_eq_u16_e64 s[0:1], s51, v4
	s_mov_b64 s[40:41], -1
                                        ; implicit-def: $sgpr53
	s_and_saveexec_b64 s[44:45], s[0:1]
; %bb.153:                              ;   in Loop: Header=BB301_10 Depth=1
	s_mov_b32 s53, 0x7fc02000
	s_xor_b64 s[40:41], exec, -1
; %bb.154:                              ;   in Loop: Header=BB301_10 Depth=1
	s_or_b64 exec, exec, s[44:45]
	s_and_b64 s[40:41], s[40:41], exec
	s_or_saveexec_b64 s[42:43], s[42:43]
	v_mov_b32_e32 v28, s53
	s_xor_b64 exec, exec, s[42:43]
	s_cbranch_execz .LBB301_24
.LBB301_155:                            ;   in Loop: Header=BB301_10 Depth=1
	v_cmp_ne_u16_e64 s[0:1], 0, v4
	s_andn2_b64 s[40:41], s[40:41], exec
	s_and_b64 s[0:1], s[0:1], exec
	v_mov_b32_e32 v28, 0
	s_or_b64 s[40:41], s[40:41], s[0:1]
	s_or_b64 exec, exec, s[42:43]
	s_and_saveexec_b64 s[42:43], s[40:41]
	s_cbranch_execnz .LBB301_25
	s_branch .LBB301_26
.LBB301_156:                            ;   in Loop: Header=BB301_10 Depth=1
	v_cmp_eq_u16_sdwa s[54:55], v14, s51 src0_sel:BYTE_0 src1_sel:DWORD
	s_mov_b64 s[0:1], -1
                                        ; implicit-def: $sgpr44
	s_and_saveexec_b64 s[42:43], s[54:55]
; %bb.157:                              ;   in Loop: Header=BB301_10 Depth=1
	s_mov_b32 s44, 0x7fc02000
	s_xor_b64 s[0:1], exec, -1
; %bb.158:                              ;   in Loop: Header=BB301_10 Depth=1
	s_or_b64 exec, exec, s[42:43]
	s_and_b64 s[0:1], s[0:1], exec
	s_or_saveexec_b64 s[40:41], s[40:41]
	v_mov_b32_e32 v29, s44
	s_xor_b64 exec, exec, s[40:41]
	s_cbranch_execz .LBB301_28
.LBB301_159:                            ;   in Loop: Header=BB301_10 Depth=1
	v_cmp_ne_u16_sdwa s[42:43], v14, v5 src0_sel:BYTE_0 src1_sel:DWORD
	s_andn2_b64 s[0:1], s[0:1], exec
	s_and_b64 s[42:43], s[42:43], exec
	v_mov_b32_e32 v29, 0
	s_or_b64 s[0:1], s[0:1], s[42:43]
	s_or_b64 exec, exec, s[40:41]
	s_and_saveexec_b64 s[40:41], s[0:1]
	s_cbranch_execnz .LBB301_29
	s_branch .LBB301_30
.LBB301_160:                            ;   in Loop: Header=BB301_10 Depth=1
	v_cmp_eq_u16_e64 s[0:1], s51, v4
	s_mov_b64 s[40:41], -1
                                        ; implicit-def: $sgpr53
	s_and_saveexec_b64 s[44:45], s[0:1]
; %bb.161:                              ;   in Loop: Header=BB301_10 Depth=1
	s_mov_b32 s53, 0x7fc02000
	s_xor_b64 s[40:41], exec, -1
; %bb.162:                              ;   in Loop: Header=BB301_10 Depth=1
	s_or_b64 exec, exec, s[44:45]
	s_and_b64 s[40:41], s[40:41], exec
	s_or_saveexec_b64 s[42:43], s[42:43]
	v_mov_b32_e32 v30, s53
	s_xor_b64 exec, exec, s[42:43]
	s_cbranch_execz .LBB301_32
.LBB301_163:                            ;   in Loop: Header=BB301_10 Depth=1
	v_cmp_ne_u16_e64 s[0:1], 0, v4
	s_andn2_b64 s[40:41], s[40:41], exec
	s_and_b64 s[0:1], s[0:1], exec
	v_mov_b32_e32 v30, 0
	s_or_b64 s[40:41], s[40:41], s[0:1]
	s_or_b64 exec, exec, s[42:43]
	s_and_saveexec_b64 s[42:43], s[40:41]
	s_cbranch_execnz .LBB301_33
	s_branch .LBB301_34
.LBB301_164:                            ;   in Loop: Header=BB301_10 Depth=1
	v_cmp_eq_u16_sdwa s[54:55], v4, s51 src0_sel:BYTE_0 src1_sel:DWORD
	s_mov_b64 s[0:1], -1
                                        ; implicit-def: $sgpr44
	s_and_saveexec_b64 s[42:43], s[54:55]
; %bb.165:                              ;   in Loop: Header=BB301_10 Depth=1
	s_mov_b32 s44, 0x7fc02000
	s_xor_b64 s[0:1], exec, -1
; %bb.166:                              ;   in Loop: Header=BB301_10 Depth=1
	s_or_b64 exec, exec, s[42:43]
	s_and_b64 s[0:1], s[0:1], exec
	s_or_saveexec_b64 s[40:41], s[40:41]
	v_mov_b32_e32 v31, s44
	s_xor_b64 exec, exec, s[40:41]
	s_cbranch_execz .LBB301_36
.LBB301_167:                            ;   in Loop: Header=BB301_10 Depth=1
	v_cmp_ne_u16_sdwa s[42:43], v4, v5 src0_sel:BYTE_0 src1_sel:DWORD
	s_andn2_b64 s[0:1], s[0:1], exec
	s_and_b64 s[42:43], s[42:43], exec
	v_mov_b32_e32 v31, 0
	s_or_b64 s[0:1], s[0:1], s[42:43]
	s_or_b64 exec, exec, s[40:41]
	s_and_saveexec_b64 s[40:41], s[0:1]
	s_cbranch_execnz .LBB301_37
	s_branch .LBB301_38
.LBB301_168:                            ;   in Loop: Header=BB301_10 Depth=1
	v_cmp_eq_u16_e64 s[0:1], s51, v4
	s_mov_b64 s[40:41], -1
                                        ; implicit-def: $sgpr53
	s_and_saveexec_b64 s[44:45], s[0:1]
; %bb.169:                              ;   in Loop: Header=BB301_10 Depth=1
	s_mov_b32 s53, 0x7fc02000
	s_xor_b64 s[40:41], exec, -1
; %bb.170:                              ;   in Loop: Header=BB301_10 Depth=1
	s_or_b64 exec, exec, s[44:45]
	s_and_b64 s[40:41], s[40:41], exec
	s_or_saveexec_b64 s[42:43], s[42:43]
	v_mov_b32_e32 v32, s53
	s_xor_b64 exec, exec, s[42:43]
	s_cbranch_execz .LBB301_40
.LBB301_171:                            ;   in Loop: Header=BB301_10 Depth=1
	v_cmp_ne_u16_e64 s[0:1], 0, v4
	s_andn2_b64 s[40:41], s[40:41], exec
	s_and_b64 s[0:1], s[0:1], exec
	v_mov_b32_e32 v32, 0
	s_or_b64 s[40:41], s[40:41], s[0:1]
	s_or_b64 exec, exec, s[42:43]
	s_and_saveexec_b64 s[42:43], s[40:41]
	s_cbranch_execnz .LBB301_41
	s_branch .LBB301_42
.LBB301_172:                            ;   in Loop: Header=BB301_10 Depth=1
	v_cmp_eq_u16_sdwa s[54:55], v14, s51 src0_sel:BYTE_0 src1_sel:DWORD
	s_mov_b64 s[0:1], -1
                                        ; implicit-def: $sgpr44
	s_and_saveexec_b64 s[42:43], s[54:55]
; %bb.173:                              ;   in Loop: Header=BB301_10 Depth=1
	s_mov_b32 s44, 0x7fc02000
	s_xor_b64 s[0:1], exec, -1
; %bb.174:                              ;   in Loop: Header=BB301_10 Depth=1
	s_or_b64 exec, exec, s[42:43]
	s_and_b64 s[0:1], s[0:1], exec
	s_or_saveexec_b64 s[40:41], s[40:41]
	v_mov_b32_e32 v33, s44
	s_xor_b64 exec, exec, s[40:41]
	s_cbranch_execz .LBB301_44
.LBB301_175:                            ;   in Loop: Header=BB301_10 Depth=1
	v_cmp_ne_u16_sdwa s[42:43], v14, v5 src0_sel:BYTE_0 src1_sel:DWORD
	s_andn2_b64 s[0:1], s[0:1], exec
	s_and_b64 s[42:43], s[42:43], exec
	v_mov_b32_e32 v33, 0
	s_or_b64 s[0:1], s[0:1], s[42:43]
	s_or_b64 exec, exec, s[40:41]
	s_and_saveexec_b64 s[40:41], s[0:1]
	s_cbranch_execnz .LBB301_45
	s_branch .LBB301_46
.LBB301_176:                            ;   in Loop: Header=BB301_10 Depth=1
	v_cmp_eq_u16_e64 s[0:1], s51, v4
	s_mov_b64 s[40:41], -1
                                        ; implicit-def: $sgpr53
	s_and_saveexec_b64 s[44:45], s[0:1]
; %bb.177:                              ;   in Loop: Header=BB301_10 Depth=1
	s_mov_b32 s53, 0x7fc02000
	s_xor_b64 s[40:41], exec, -1
; %bb.178:                              ;   in Loop: Header=BB301_10 Depth=1
	s_or_b64 exec, exec, s[44:45]
	s_and_b64 s[40:41], s[40:41], exec
	s_or_saveexec_b64 s[42:43], s[42:43]
	v_mov_b32_e32 v34, s53
	s_xor_b64 exec, exec, s[42:43]
	s_cbranch_execz .LBB301_48
.LBB301_179:                            ;   in Loop: Header=BB301_10 Depth=1
	v_cmp_ne_u16_e64 s[0:1], 0, v4
	s_andn2_b64 s[40:41], s[40:41], exec
	s_and_b64 s[0:1], s[0:1], exec
	v_mov_b32_e32 v34, 0
	s_or_b64 s[40:41], s[40:41], s[0:1]
	s_or_b64 exec, exec, s[42:43]
	s_and_saveexec_b64 s[42:43], s[40:41]
	s_cbranch_execnz .LBB301_49
	s_branch .LBB301_50
.LBB301_180:                            ;   in Loop: Header=BB301_10 Depth=1
	v_cmp_eq_u16_sdwa s[54:55], v4, s51 src0_sel:BYTE_0 src1_sel:DWORD
	s_mov_b64 s[0:1], -1
                                        ; implicit-def: $sgpr44
	s_and_saveexec_b64 s[42:43], s[54:55]
; %bb.181:                              ;   in Loop: Header=BB301_10 Depth=1
	s_mov_b32 s44, 0x7fc02000
	s_xor_b64 s[0:1], exec, -1
; %bb.182:                              ;   in Loop: Header=BB301_10 Depth=1
	s_or_b64 exec, exec, s[42:43]
	s_and_b64 s[0:1], s[0:1], exec
	s_or_saveexec_b64 s[40:41], s[40:41]
	v_mov_b32_e32 v35, s44
	s_xor_b64 exec, exec, s[40:41]
	s_cbranch_execz .LBB301_52
.LBB301_183:                            ;   in Loop: Header=BB301_10 Depth=1
	v_cmp_ne_u16_sdwa s[42:43], v4, v5 src0_sel:BYTE_0 src1_sel:DWORD
	s_andn2_b64 s[0:1], s[0:1], exec
	s_and_b64 s[42:43], s[42:43], exec
	v_mov_b32_e32 v35, 0
	s_or_b64 s[0:1], s[0:1], s[42:43]
	s_or_b64 exec, exec, s[40:41]
	s_and_saveexec_b64 s[40:41], s[0:1]
	s_cbranch_execnz .LBB301_53
	s_branch .LBB301_54
.LBB301_184:                            ;   in Loop: Header=BB301_10 Depth=1
	v_cmp_eq_u16_e64 s[0:1], s51, v4
	s_mov_b64 s[40:41], -1
                                        ; implicit-def: $sgpr53
	s_and_saveexec_b64 s[44:45], s[0:1]
; %bb.185:                              ;   in Loop: Header=BB301_10 Depth=1
	s_mov_b32 s53, 0x7fc02000
	s_xor_b64 s[40:41], exec, -1
; %bb.186:                              ;   in Loop: Header=BB301_10 Depth=1
	s_or_b64 exec, exec, s[44:45]
	s_and_b64 s[40:41], s[40:41], exec
	s_or_saveexec_b64 s[42:43], s[42:43]
	v_mov_b32_e32 v36, s53
	s_xor_b64 exec, exec, s[42:43]
	s_cbranch_execz .LBB301_56
.LBB301_187:                            ;   in Loop: Header=BB301_10 Depth=1
	v_cmp_ne_u16_e64 s[0:1], 0, v4
	s_andn2_b64 s[40:41], s[40:41], exec
	s_and_b64 s[0:1], s[0:1], exec
	v_mov_b32_e32 v36, 0
	s_or_b64 s[40:41], s[40:41], s[0:1]
	s_or_b64 exec, exec, s[42:43]
	s_and_saveexec_b64 s[42:43], s[40:41]
	s_cbranch_execnz .LBB301_57
	s_branch .LBB301_58
.LBB301_188:                            ;   in Loop: Header=BB301_10 Depth=1
	v_cmp_eq_u16_sdwa s[54:55], v14, s51 src0_sel:BYTE_0 src1_sel:DWORD
	s_mov_b64 s[0:1], -1
                                        ; implicit-def: $sgpr44
	s_and_saveexec_b64 s[42:43], s[54:55]
; %bb.189:                              ;   in Loop: Header=BB301_10 Depth=1
	s_mov_b32 s44, 0x7fc02000
	s_xor_b64 s[0:1], exec, -1
; %bb.190:                              ;   in Loop: Header=BB301_10 Depth=1
	s_or_b64 exec, exec, s[42:43]
	s_and_b64 s[0:1], s[0:1], exec
	s_or_saveexec_b64 s[40:41], s[40:41]
	v_mov_b32_e32 v37, s44
	s_xor_b64 exec, exec, s[40:41]
	s_cbranch_execz .LBB301_60
.LBB301_191:                            ;   in Loop: Header=BB301_10 Depth=1
	v_cmp_ne_u16_sdwa s[42:43], v14, v5 src0_sel:BYTE_0 src1_sel:DWORD
	s_andn2_b64 s[0:1], s[0:1], exec
	s_and_b64 s[42:43], s[42:43], exec
	v_mov_b32_e32 v37, 0
	s_or_b64 s[0:1], s[0:1], s[42:43]
	s_or_b64 exec, exec, s[40:41]
	s_and_saveexec_b64 s[40:41], s[0:1]
	s_cbranch_execnz .LBB301_61
	s_branch .LBB301_62
.LBB301_192:                            ;   in Loop: Header=BB301_10 Depth=1
	v_cmp_eq_u16_e64 s[0:1], s51, v4
	s_mov_b64 s[40:41], -1
                                        ; implicit-def: $sgpr53
	s_and_saveexec_b64 s[44:45], s[0:1]
; %bb.193:                              ;   in Loop: Header=BB301_10 Depth=1
	s_mov_b32 s53, 0x7fc02000
	s_xor_b64 s[40:41], exec, -1
; %bb.194:                              ;   in Loop: Header=BB301_10 Depth=1
	s_or_b64 exec, exec, s[44:45]
	s_and_b64 s[40:41], s[40:41], exec
	s_or_saveexec_b64 s[42:43], s[42:43]
	v_mov_b32_e32 v38, s53
	s_xor_b64 exec, exec, s[42:43]
	s_cbranch_execz .LBB301_64
.LBB301_195:                            ;   in Loop: Header=BB301_10 Depth=1
	v_cmp_ne_u16_e64 s[0:1], 0, v4
	s_andn2_b64 s[40:41], s[40:41], exec
	s_and_b64 s[0:1], s[0:1], exec
	v_mov_b32_e32 v38, 0
	s_or_b64 s[40:41], s[40:41], s[0:1]
	s_or_b64 exec, exec, s[42:43]
	s_and_saveexec_b64 s[42:43], s[40:41]
	s_cbranch_execnz .LBB301_65
	s_branch .LBB301_66
.LBB301_196:                            ;   in Loop: Header=BB301_10 Depth=1
	v_cmp_eq_u16_sdwa s[54:55], v4, s51 src0_sel:BYTE_0 src1_sel:DWORD
	s_mov_b64 s[0:1], -1
                                        ; implicit-def: $sgpr44
	s_and_saveexec_b64 s[42:43], s[54:55]
; %bb.197:                              ;   in Loop: Header=BB301_10 Depth=1
	s_mov_b32 s44, 0x7fc02000
	s_xor_b64 s[0:1], exec, -1
; %bb.198:                              ;   in Loop: Header=BB301_10 Depth=1
	s_or_b64 exec, exec, s[42:43]
	s_and_b64 s[0:1], s[0:1], exec
	s_or_saveexec_b64 s[40:41], s[40:41]
	v_mov_b32_e32 v39, s44
	s_xor_b64 exec, exec, s[40:41]
	s_cbranch_execz .LBB301_68
.LBB301_199:                            ;   in Loop: Header=BB301_10 Depth=1
	v_cmp_ne_u16_sdwa s[42:43], v4, v5 src0_sel:BYTE_0 src1_sel:DWORD
	s_andn2_b64 s[0:1], s[0:1], exec
	s_and_b64 s[42:43], s[42:43], exec
	v_mov_b32_e32 v39, 0
	s_or_b64 s[0:1], s[0:1], s[42:43]
	s_or_b64 exec, exec, s[40:41]
	s_and_saveexec_b64 s[40:41], s[0:1]
	s_cbranch_execnz .LBB301_69
	s_branch .LBB301_70
.LBB301_200:                            ;   in Loop: Header=BB301_10 Depth=1
	v_cmp_eq_u16_e64 s[0:1], s51, v4
	s_mov_b64 s[40:41], -1
                                        ; implicit-def: $sgpr53
	s_and_saveexec_b64 s[44:45], s[0:1]
; %bb.201:                              ;   in Loop: Header=BB301_10 Depth=1
	s_mov_b32 s53, 0x7fc02000
	s_xor_b64 s[40:41], exec, -1
; %bb.202:                              ;   in Loop: Header=BB301_10 Depth=1
	s_or_b64 exec, exec, s[44:45]
	s_and_b64 s[40:41], s[40:41], exec
	s_or_saveexec_b64 s[42:43], s[42:43]
	v_mov_b32_e32 v40, s53
	s_xor_b64 exec, exec, s[42:43]
	s_cbranch_execz .LBB301_72
.LBB301_203:                            ;   in Loop: Header=BB301_10 Depth=1
	v_cmp_ne_u16_e64 s[0:1], 0, v4
	s_andn2_b64 s[40:41], s[40:41], exec
	s_and_b64 s[0:1], s[0:1], exec
	v_mov_b32_e32 v40, 0
	s_or_b64 s[40:41], s[40:41], s[0:1]
	s_or_b64 exec, exec, s[42:43]
	s_and_saveexec_b64 s[42:43], s[40:41]
	s_cbranch_execnz .LBB301_73
	s_branch .LBB301_74
.LBB301_204:                            ;   in Loop: Header=BB301_10 Depth=1
	v_cmp_eq_u16_sdwa s[54:55], v14, s51 src0_sel:BYTE_0 src1_sel:DWORD
	s_mov_b64 s[0:1], -1
                                        ; implicit-def: $sgpr44
	s_and_saveexec_b64 s[42:43], s[54:55]
; %bb.205:                              ;   in Loop: Header=BB301_10 Depth=1
	s_mov_b32 s44, 0x7fc02000
	s_xor_b64 s[0:1], exec, -1
; %bb.206:                              ;   in Loop: Header=BB301_10 Depth=1
	s_or_b64 exec, exec, s[42:43]
	s_and_b64 s[0:1], s[0:1], exec
	s_or_saveexec_b64 s[40:41], s[40:41]
	v_mov_b32_e32 v41, s44
	s_xor_b64 exec, exec, s[40:41]
	s_cbranch_execz .LBB301_76
.LBB301_207:                            ;   in Loop: Header=BB301_10 Depth=1
	v_cmp_ne_u16_sdwa s[42:43], v14, v5 src0_sel:BYTE_0 src1_sel:DWORD
	s_andn2_b64 s[0:1], s[0:1], exec
	s_and_b64 s[42:43], s[42:43], exec
	v_mov_b32_e32 v41, 0
	s_or_b64 s[0:1], s[0:1], s[42:43]
	s_or_b64 exec, exec, s[40:41]
	s_and_saveexec_b64 s[40:41], s[0:1]
	s_cbranch_execnz .LBB301_77
	s_branch .LBB301_78
.LBB301_208:                            ;   in Loop: Header=BB301_10 Depth=1
	v_cmp_eq_u16_e64 s[0:1], s51, v4
	s_mov_b64 s[40:41], -1
                                        ; implicit-def: $sgpr53
	s_and_saveexec_b64 s[44:45], s[0:1]
; %bb.209:                              ;   in Loop: Header=BB301_10 Depth=1
	s_mov_b32 s53, 0x7fc02000
	s_xor_b64 s[40:41], exec, -1
; %bb.210:                              ;   in Loop: Header=BB301_10 Depth=1
	s_or_b64 exec, exec, s[44:45]
	s_and_b64 s[40:41], s[40:41], exec
	s_or_saveexec_b64 s[42:43], s[42:43]
	v_mov_b32_e32 v42, s53
	s_xor_b64 exec, exec, s[42:43]
	s_cbranch_execz .LBB301_80
.LBB301_211:                            ;   in Loop: Header=BB301_10 Depth=1
	v_cmp_ne_u16_e64 s[0:1], 0, v4
	s_andn2_b64 s[40:41], s[40:41], exec
	s_and_b64 s[0:1], s[0:1], exec
	v_mov_b32_e32 v42, 0
	s_or_b64 s[40:41], s[40:41], s[0:1]
	s_or_b64 exec, exec, s[42:43]
	s_and_saveexec_b64 s[42:43], s[40:41]
	s_cbranch_execnz .LBB301_81
	s_branch .LBB301_82
.LBB301_212:                            ;   in Loop: Header=BB301_10 Depth=1
	v_cmp_eq_u16_sdwa s[54:55], v4, s51 src0_sel:BYTE_0 src1_sel:DWORD
	s_mov_b64 s[0:1], -1
                                        ; implicit-def: $sgpr44
	s_and_saveexec_b64 s[42:43], s[54:55]
; %bb.213:                              ;   in Loop: Header=BB301_10 Depth=1
	s_mov_b32 s44, 0x7fc02000
	s_xor_b64 s[0:1], exec, -1
; %bb.214:                              ;   in Loop: Header=BB301_10 Depth=1
	s_or_b64 exec, exec, s[42:43]
	s_and_b64 s[0:1], s[0:1], exec
	s_or_saveexec_b64 s[40:41], s[40:41]
	v_mov_b32_e32 v43, s44
	s_xor_b64 exec, exec, s[40:41]
	s_cbranch_execz .LBB301_84
.LBB301_215:                            ;   in Loop: Header=BB301_10 Depth=1
	v_cmp_ne_u16_sdwa s[42:43], v4, v5 src0_sel:BYTE_0 src1_sel:DWORD
	s_andn2_b64 s[0:1], s[0:1], exec
	s_and_b64 s[42:43], s[42:43], exec
	v_mov_b32_e32 v43, 0
	s_or_b64 s[0:1], s[0:1], s[42:43]
	s_or_b64 exec, exec, s[40:41]
	s_and_saveexec_b64 s[40:41], s[0:1]
	s_cbranch_execnz .LBB301_85
	s_branch .LBB301_86
.LBB301_216:                            ;   in Loop: Header=BB301_10 Depth=1
	v_cmp_eq_u16_e64 s[0:1], s51, v4
	s_mov_b64 s[40:41], -1
                                        ; implicit-def: $sgpr53
	s_and_saveexec_b64 s[44:45], s[0:1]
; %bb.217:                              ;   in Loop: Header=BB301_10 Depth=1
	s_mov_b32 s53, 0x7fc02000
	s_xor_b64 s[40:41], exec, -1
; %bb.218:                              ;   in Loop: Header=BB301_10 Depth=1
	s_or_b64 exec, exec, s[44:45]
	s_and_b64 s[40:41], s[40:41], exec
	s_or_saveexec_b64 s[42:43], s[42:43]
	v_mov_b32_e32 v44, s53
	s_xor_b64 exec, exec, s[42:43]
	s_cbranch_execz .LBB301_88
.LBB301_219:                            ;   in Loop: Header=BB301_10 Depth=1
	v_cmp_ne_u16_e64 s[0:1], 0, v4
	s_andn2_b64 s[40:41], s[40:41], exec
	s_and_b64 s[0:1], s[0:1], exec
	v_mov_b32_e32 v44, 0
	s_or_b64 s[40:41], s[40:41], s[0:1]
	s_or_b64 exec, exec, s[42:43]
	s_and_saveexec_b64 s[42:43], s[40:41]
	s_cbranch_execnz .LBB301_89
	s_branch .LBB301_90
.LBB301_220:                            ;   in Loop: Header=BB301_10 Depth=1
	v_cmp_eq_u16_sdwa s[54:55], v14, s51 src0_sel:BYTE_0 src1_sel:DWORD
	s_mov_b64 s[0:1], -1
                                        ; implicit-def: $sgpr44
	s_and_saveexec_b64 s[42:43], s[54:55]
; %bb.221:                              ;   in Loop: Header=BB301_10 Depth=1
	s_mov_b32 s44, 0x7fc02000
	s_xor_b64 s[0:1], exec, -1
; %bb.222:                              ;   in Loop: Header=BB301_10 Depth=1
	s_or_b64 exec, exec, s[42:43]
	s_and_b64 s[0:1], s[0:1], exec
	s_or_saveexec_b64 s[40:41], s[40:41]
	v_mov_b32_e32 v45, s44
	s_xor_b64 exec, exec, s[40:41]
	s_cbranch_execz .LBB301_92
.LBB301_223:                            ;   in Loop: Header=BB301_10 Depth=1
	v_cmp_ne_u16_sdwa s[42:43], v14, v5 src0_sel:BYTE_0 src1_sel:DWORD
	s_andn2_b64 s[0:1], s[0:1], exec
	s_and_b64 s[42:43], s[42:43], exec
	v_mov_b32_e32 v45, 0
	s_or_b64 s[0:1], s[0:1], s[42:43]
	s_or_b64 exec, exec, s[40:41]
	s_and_saveexec_b64 s[40:41], s[0:1]
	s_cbranch_execnz .LBB301_93
	s_branch .LBB301_94
.LBB301_224:                            ;   in Loop: Header=BB301_10 Depth=1
	v_cmp_eq_u16_e64 s[0:1], s51, v4
	s_mov_b64 s[40:41], -1
                                        ; implicit-def: $sgpr53
	s_and_saveexec_b64 s[44:45], s[0:1]
; %bb.225:                              ;   in Loop: Header=BB301_10 Depth=1
	s_mov_b32 s53, 0x7fc02000
	s_xor_b64 s[40:41], exec, -1
; %bb.226:                              ;   in Loop: Header=BB301_10 Depth=1
	s_or_b64 exec, exec, s[44:45]
	s_and_b64 s[40:41], s[40:41], exec
	s_or_saveexec_b64 s[42:43], s[42:43]
	v_mov_b32_e32 v46, s53
	s_xor_b64 exec, exec, s[42:43]
	s_cbranch_execz .LBB301_96
.LBB301_227:                            ;   in Loop: Header=BB301_10 Depth=1
	v_cmp_ne_u16_e64 s[0:1], 0, v4
	s_andn2_b64 s[40:41], s[40:41], exec
	s_and_b64 s[0:1], s[0:1], exec
	v_mov_b32_e32 v46, 0
	s_or_b64 s[40:41], s[40:41], s[0:1]
	s_or_b64 exec, exec, s[42:43]
	s_and_saveexec_b64 s[42:43], s[40:41]
	s_cbranch_execnz .LBB301_97
	s_branch .LBB301_98
.LBB301_228:                            ;   in Loop: Header=BB301_10 Depth=1
	v_cmp_eq_u16_sdwa s[54:55], v4, s51 src0_sel:BYTE_0 src1_sel:DWORD
	s_mov_b64 s[0:1], -1
                                        ; implicit-def: $sgpr44
	s_and_saveexec_b64 s[42:43], s[54:55]
; %bb.229:                              ;   in Loop: Header=BB301_10 Depth=1
	s_mov_b32 s44, 0x7fc02000
	s_xor_b64 s[0:1], exec, -1
; %bb.230:                              ;   in Loop: Header=BB301_10 Depth=1
	s_or_b64 exec, exec, s[42:43]
	s_and_b64 s[0:1], s[0:1], exec
	s_or_saveexec_b64 s[40:41], s[40:41]
	v_mov_b32_e32 v47, s44
	s_xor_b64 exec, exec, s[40:41]
	s_cbranch_execz .LBB301_100
.LBB301_231:                            ;   in Loop: Header=BB301_10 Depth=1
	v_cmp_ne_u16_sdwa s[42:43], v4, v5 src0_sel:BYTE_0 src1_sel:DWORD
	s_andn2_b64 s[0:1], s[0:1], exec
	s_and_b64 s[42:43], s[42:43], exec
	v_mov_b32_e32 v47, 0
	s_or_b64 s[0:1], s[0:1], s[42:43]
	s_or_b64 exec, exec, s[40:41]
	s_and_saveexec_b64 s[40:41], s[0:1]
	s_cbranch_execnz .LBB301_101
	s_branch .LBB301_102
.LBB301_232:                            ;   in Loop: Header=BB301_10 Depth=1
	v_cmp_eq_u16_e64 s[0:1], s51, v4
	s_mov_b64 s[40:41], -1
                                        ; implicit-def: $sgpr53
	s_and_saveexec_b64 s[44:45], s[0:1]
; %bb.233:                              ;   in Loop: Header=BB301_10 Depth=1
	s_mov_b32 s53, 0x7fc02000
	s_xor_b64 s[40:41], exec, -1
; %bb.234:                              ;   in Loop: Header=BB301_10 Depth=1
	s_or_b64 exec, exec, s[44:45]
	s_and_b64 s[40:41], s[40:41], exec
	s_or_saveexec_b64 s[42:43], s[42:43]
	v_mov_b32_e32 v48, s53
	s_xor_b64 exec, exec, s[42:43]
	s_cbranch_execz .LBB301_104
.LBB301_235:                            ;   in Loop: Header=BB301_10 Depth=1
	v_cmp_ne_u16_e64 s[0:1], 0, v4
	s_andn2_b64 s[40:41], s[40:41], exec
	s_and_b64 s[0:1], s[0:1], exec
	v_mov_b32_e32 v48, 0
	s_or_b64 s[40:41], s[40:41], s[0:1]
	s_or_b64 exec, exec, s[42:43]
	s_and_saveexec_b64 s[42:43], s[40:41]
	s_cbranch_execnz .LBB301_105
	s_branch .LBB301_106
.LBB301_236:                            ;   in Loop: Header=BB301_10 Depth=1
	v_cmp_eq_u16_sdwa s[54:55], v14, s51 src0_sel:BYTE_0 src1_sel:DWORD
	s_mov_b64 s[0:1], -1
                                        ; implicit-def: $sgpr44
	s_and_saveexec_b64 s[42:43], s[54:55]
; %bb.237:                              ;   in Loop: Header=BB301_10 Depth=1
	s_mov_b32 s44, 0x7fc02000
	s_xor_b64 s[0:1], exec, -1
; %bb.238:                              ;   in Loop: Header=BB301_10 Depth=1
	s_or_b64 exec, exec, s[42:43]
	s_and_b64 s[0:1], s[0:1], exec
	s_or_saveexec_b64 s[40:41], s[40:41]
	v_mov_b32_e32 v49, s44
	s_xor_b64 exec, exec, s[40:41]
	s_cbranch_execz .LBB301_108
.LBB301_239:                            ;   in Loop: Header=BB301_10 Depth=1
	v_cmp_ne_u16_sdwa s[42:43], v14, v5 src0_sel:BYTE_0 src1_sel:DWORD
	s_andn2_b64 s[0:1], s[0:1], exec
	s_and_b64 s[42:43], s[42:43], exec
	v_mov_b32_e32 v49, 0
	s_or_b64 s[0:1], s[0:1], s[42:43]
	s_or_b64 exec, exec, s[40:41]
	s_and_saveexec_b64 s[40:41], s[0:1]
	s_cbranch_execnz .LBB301_109
	s_branch .LBB301_110
.LBB301_240:                            ;   in Loop: Header=BB301_10 Depth=1
	v_cmp_eq_u16_e64 s[0:1], s51, v4
	s_mov_b64 s[40:41], -1
                                        ; implicit-def: $sgpr53
	s_and_saveexec_b64 s[44:45], s[0:1]
; %bb.241:                              ;   in Loop: Header=BB301_10 Depth=1
	s_mov_b32 s53, 0x7fc02000
	s_xor_b64 s[40:41], exec, -1
; %bb.242:                              ;   in Loop: Header=BB301_10 Depth=1
	s_or_b64 exec, exec, s[44:45]
	s_and_b64 s[40:41], s[40:41], exec
	s_or_saveexec_b64 s[42:43], s[42:43]
	v_mov_b32_e32 v50, s53
	s_xor_b64 exec, exec, s[42:43]
	s_cbranch_execz .LBB301_112
.LBB301_243:                            ;   in Loop: Header=BB301_10 Depth=1
	v_cmp_ne_u16_e64 s[0:1], 0, v4
	s_andn2_b64 s[40:41], s[40:41], exec
	s_and_b64 s[0:1], s[0:1], exec
	v_mov_b32_e32 v50, 0
	s_or_b64 s[40:41], s[40:41], s[0:1]
	s_or_b64 exec, exec, s[42:43]
	s_and_saveexec_b64 s[42:43], s[40:41]
	s_cbranch_execnz .LBB301_113
	s_branch .LBB301_114
.LBB301_244:                            ;   in Loop: Header=BB301_10 Depth=1
	v_cmp_eq_u16_sdwa s[54:55], v4, s51 src0_sel:BYTE_0 src1_sel:DWORD
	s_mov_b64 s[0:1], -1
                                        ; implicit-def: $sgpr44
	s_and_saveexec_b64 s[42:43], s[54:55]
; %bb.245:                              ;   in Loop: Header=BB301_10 Depth=1
	s_mov_b32 s44, 0x7fc02000
	s_xor_b64 s[0:1], exec, -1
; %bb.246:                              ;   in Loop: Header=BB301_10 Depth=1
	s_or_b64 exec, exec, s[42:43]
	s_and_b64 s[0:1], s[0:1], exec
	s_or_saveexec_b64 s[40:41], s[40:41]
	v_mov_b32_e32 v51, s44
	s_xor_b64 exec, exec, s[40:41]
	s_cbranch_execz .LBB301_116
.LBB301_247:                            ;   in Loop: Header=BB301_10 Depth=1
	v_cmp_ne_u16_sdwa s[42:43], v4, v5 src0_sel:BYTE_0 src1_sel:DWORD
	s_andn2_b64 s[0:1], s[0:1], exec
	s_and_b64 s[42:43], s[42:43], exec
	v_mov_b32_e32 v51, 0
	s_or_b64 s[0:1], s[0:1], s[42:43]
	s_or_b64 exec, exec, s[40:41]
	s_and_saveexec_b64 s[40:41], s[0:1]
	s_cbranch_execnz .LBB301_117
	s_branch .LBB301_118
.LBB301_248:                            ;   in Loop: Header=BB301_10 Depth=1
	v_cmp_eq_u16_e64 s[0:1], s51, v4
	s_mov_b64 s[40:41], -1
                                        ; implicit-def: $sgpr53
	s_and_saveexec_b64 s[44:45], s[0:1]
; %bb.249:                              ;   in Loop: Header=BB301_10 Depth=1
	s_mov_b32 s53, 0x7fc02000
	s_xor_b64 s[40:41], exec, -1
; %bb.250:                              ;   in Loop: Header=BB301_10 Depth=1
	s_or_b64 exec, exec, s[44:45]
	s_and_b64 s[40:41], s[40:41], exec
	s_or_saveexec_b64 s[42:43], s[42:43]
	v_mov_b32_e32 v52, s53
	s_xor_b64 exec, exec, s[42:43]
	s_cbranch_execz .LBB301_120
.LBB301_251:                            ;   in Loop: Header=BB301_10 Depth=1
	v_cmp_ne_u16_e64 s[0:1], 0, v4
	s_andn2_b64 s[40:41], s[40:41], exec
	s_and_b64 s[0:1], s[0:1], exec
	v_mov_b32_e32 v52, 0
	s_or_b64 s[40:41], s[40:41], s[0:1]
	s_or_b64 exec, exec, s[42:43]
	s_and_saveexec_b64 s[42:43], s[40:41]
	s_cbranch_execnz .LBB301_121
	s_branch .LBB301_122
.LBB301_252:                            ;   in Loop: Header=BB301_10 Depth=1
	v_cmp_eq_u16_sdwa s[54:55], v12, s51 src0_sel:BYTE_0 src1_sel:DWORD
	s_mov_b64 s[0:1], -1
                                        ; implicit-def: $sgpr44
	s_and_saveexec_b64 s[42:43], s[54:55]
; %bb.253:                              ;   in Loop: Header=BB301_10 Depth=1
	s_mov_b32 s44, 0x7fc02000
	s_xor_b64 s[0:1], exec, -1
; %bb.254:                              ;   in Loop: Header=BB301_10 Depth=1
	s_or_b64 exec, exec, s[42:43]
	s_and_b64 s[0:1], s[0:1], exec
	s_or_saveexec_b64 s[40:41], s[40:41]
	v_mov_b32_e32 v13, s44
	s_xor_b64 exec, exec, s[40:41]
	s_cbranch_execz .LBB301_124
.LBB301_255:                            ;   in Loop: Header=BB301_10 Depth=1
	v_cmp_ne_u16_sdwa s[42:43], v12, v5 src0_sel:BYTE_0 src1_sel:DWORD
	s_andn2_b64 s[0:1], s[0:1], exec
	s_and_b64 s[42:43], s[42:43], exec
	v_mov_b32_e32 v13, 0
	s_or_b64 s[0:1], s[0:1], s[42:43]
	s_or_b64 exec, exec, s[40:41]
	s_and_saveexec_b64 s[40:41], s[0:1]
	s_cbranch_execnz .LBB301_125
	s_branch .LBB301_126
.LBB301_256:                            ;   in Loop: Header=BB301_10 Depth=1
	v_cmp_eq_u16_e64 s[0:1], s51, v4
	s_mov_b64 s[40:41], -1
                                        ; implicit-def: $sgpr53
	s_and_saveexec_b64 s[44:45], s[0:1]
; %bb.257:                              ;   in Loop: Header=BB301_10 Depth=1
	s_mov_b32 s53, 0x7fc02000
	s_xor_b64 s[40:41], exec, -1
; %bb.258:                              ;   in Loop: Header=BB301_10 Depth=1
	s_or_b64 exec, exec, s[44:45]
	s_and_b64 s[40:41], s[40:41], exec
	s_or_saveexec_b64 s[42:43], s[42:43]
	v_mov_b32_e32 v14, s53
	s_xor_b64 exec, exec, s[42:43]
	s_cbranch_execz .LBB301_128
.LBB301_259:                            ;   in Loop: Header=BB301_10 Depth=1
	v_cmp_ne_u16_e64 s[0:1], 0, v4
	s_andn2_b64 s[40:41], s[40:41], exec
	s_and_b64 s[0:1], s[0:1], exec
	v_mov_b32_e32 v14, 0
	s_or_b64 s[40:41], s[40:41], s[0:1]
	s_or_b64 exec, exec, s[42:43]
	s_and_saveexec_b64 s[42:43], s[40:41]
	s_cbranch_execnz .LBB301_129
	s_branch .LBB301_130
.LBB301_260:                            ;   in Loop: Header=BB301_10 Depth=1
	v_cmp_eq_u16_sdwa s[54:55], v4, s51 src0_sel:BYTE_0 src1_sel:DWORD
	s_mov_b64 s[0:1], -1
                                        ; implicit-def: $sgpr44
	s_and_saveexec_b64 s[42:43], s[54:55]
; %bb.261:                              ;   in Loop: Header=BB301_10 Depth=1
	s_mov_b32 s44, 0x7fc02000
	s_xor_b64 s[0:1], exec, -1
; %bb.262:                              ;   in Loop: Header=BB301_10 Depth=1
	s_or_b64 exec, exec, s[42:43]
	s_and_b64 s[0:1], s[0:1], exec
	s_or_saveexec_b64 s[40:41], s[40:41]
	v_mov_b32_e32 v53, s44
	s_xor_b64 exec, exec, s[40:41]
	s_cbranch_execz .LBB301_132
.LBB301_263:                            ;   in Loop: Header=BB301_10 Depth=1
	v_cmp_ne_u16_sdwa s[42:43], v4, v5 src0_sel:BYTE_0 src1_sel:DWORD
	s_andn2_b64 s[0:1], s[0:1], exec
	s_and_b64 s[42:43], s[42:43], exec
	v_mov_b32_e32 v53, 0
	s_or_b64 s[0:1], s[0:1], s[42:43]
	s_or_b64 exec, exec, s[40:41]
	s_and_saveexec_b64 s[40:41], s[0:1]
	s_cbranch_execnz .LBB301_133
	s_branch .LBB301_134
.LBB301_264:                            ;   in Loop: Header=BB301_10 Depth=1
	v_cmp_eq_u16_e64 s[0:1], s51, v4
	s_mov_b64 s[40:41], -1
                                        ; implicit-def: $sgpr53
	s_and_saveexec_b64 s[44:45], s[0:1]
; %bb.265:                              ;   in Loop: Header=BB301_10 Depth=1
	s_mov_b32 s53, 0x7fc02000
	s_xor_b64 s[40:41], exec, -1
; %bb.266:                              ;   in Loop: Header=BB301_10 Depth=1
	s_or_b64 exec, exec, s[44:45]
	s_and_b64 s[40:41], s[40:41], exec
	s_or_saveexec_b64 s[42:43], s[42:43]
	v_mov_b32_e32 v54, s53
	s_xor_b64 exec, exec, s[42:43]
	s_cbranch_execz .LBB301_136
.LBB301_267:                            ;   in Loop: Header=BB301_10 Depth=1
	v_cmp_ne_u16_e64 s[0:1], 0, v4
	s_andn2_b64 s[40:41], s[40:41], exec
	s_and_b64 s[0:1], s[0:1], exec
	v_mov_b32_e32 v54, 0
	s_or_b64 s[40:41], s[40:41], s[0:1]
	s_or_b64 exec, exec, s[42:43]
	s_and_saveexec_b64 s[42:43], s[40:41]
	s_cbranch_execnz .LBB301_137
	s_branch .LBB301_138
.LBB301_268:
	s_or_b64 exec, exec, s[18:19]
.LBB301_269:
	s_or_b64 exec, exec, s[38:39]
	v_xor_b32_e32 v5, 32, v19
	v_cmp_lt_i32_e32 vcc, v5, v4
	v_xor_b32_e32 v7, 16, v19
	v_xor_b32_e32 v8, 8, v19
	v_cndmask_b32_e32 v5, v19, v5, vcc
	v_lshlrev_b32_e32 v5, 2, v5
	ds_bpermute_b32 v6, v5, v1
	v_max_f32_e32 v1, v1, v1
	v_cmp_lt_i32_e32 vcc, v7, v4
	v_xor_b32_e32 v9, 4, v19
	v_xor_b32_e32 v10, 2, v19
	s_waitcnt lgkmcnt(0)
	v_max_f32_e32 v6, v6, v6
	v_max_f32_e32 v1, v1, v6
	v_cndmask_b32_e32 v6, v19, v7, vcc
	v_lshlrev_b32_e32 v7, 2, v6
	ds_bpermute_b32 v6, v7, v1
	v_cmp_lt_i32_e32 vcc, v8, v4
	s_waitcnt lgkmcnt(0)
	v_max_f32_e32 v6, v6, v6
	v_max_f32_e32 v1, v1, v6
	v_cndmask_b32_e32 v6, v19, v8, vcc
	v_lshlrev_b32_e32 v8, 2, v6
	ds_bpermute_b32 v6, v8, v1
	v_cmp_lt_i32_e32 vcc, v9, v4
	;; [unrolled: 7-line block ×3, first 2 shown]
	s_waitcnt lgkmcnt(0)
	v_max_f32_e32 v6, v6, v6
	v_max_f32_e32 v6, v1, v6
	v_cndmask_b32_e32 v1, v19, v10, vcc
	v_lshlrev_b32_e32 v17, 2, v1
	ds_bpermute_b32 v11, v17, v6
	v_and_b32_e32 v1, 63, v0
	v_cmp_eq_u32_e32 vcc, 0, v1
	v_lshlrev_b32_e32 v10, 2, v16
	s_and_saveexec_b64 s[0:1], vcc
	s_cbranch_execz .LBB301_271
; %bb.270:
	s_waitcnt lgkmcnt(0)
	v_max_f32_e32 v11, v11, v11
	v_max_f32_e32 v6, v6, v6
	;; [unrolled: 1-line block ×3, first 2 shown]
	ds_write_b32 v10, v6 offset:128
.LBB301_271:
	s_or_b64 exec, exec, s[0:1]
	v_cmp_gt_u32_e64 s[0:1], 2, v1
	v_mov_b32_e32 v6, 0xff7fffff
	s_waitcnt lgkmcnt(0)
	v_lshlrev_b32_e32 v11, 2, v1
	s_barrier
	s_and_saveexec_b64 s[6:7], s[0:1]
	s_cbranch_execz .LBB301_273
; %bb.272:
	ds_read_b32 v6, v11 offset:128
.LBB301_273:
	s_or_b64 exec, exec, s[6:7]
	v_xor_b32_e32 v12, 1, v19
	v_cmp_lt_i32_e64 s[6:7], v12, v4
	s_sub_i32 s3, s33, s3
	s_lshl_b32 s3, s3, 5
	v_cndmask_b32_e64 v4, v19, v12, s[6:7]
	v_lshlrev_b32_e32 v24, 2, v4
	s_waitcnt lgkmcnt(0)
	ds_bpermute_b32 v4, v24, v6
	v_max_f32_e32 v6, v6, v6
	s_add_i32 s3, s3, s46
	s_min_i32 s38, s3, s29
	s_sub_i32 s3, s38, s46
	s_waitcnt lgkmcnt(0)
	v_max_f32_e32 v4, v4, v4
	v_max_f32_e32 v6, v6, v4
	v_lshlrev_b32_e32 v4, 2, v19
	v_and_b32_e32 v4, 0xffffff00, v4
	ds_bpermute_b32 v6, v4, v6
	v_cmp_gt_i32_e64 s[6:7], s3, v0
	v_mov_b32_e32 v12, 0
	s_and_saveexec_b64 s[12:13], s[6:7]
	s_cbranch_execz .LBB301_277
; %bb.274:
	v_mov_b32_e32 v12, 0x90
	v_lshl_add_u32 v13, v0, 2, v12
	s_mov_b64 s[18:19], 0
	v_mov_b32_e32 v12, 0
	v_mov_b32_e32 v14, v0
.LBB301_275:                            ; =>This Inner Loop Header: Depth=1
	ds_read_b32 v19, v13
	v_add_u32_e32 v14, 0x80, v14
	v_cmp_le_i32_e64 s[10:11], s3, v14
	s_or_b64 s[18:19], s[10:11], s[18:19]
	s_waitcnt lgkmcnt(0)
	v_sub_f32_e32 v19, v19, v6
	v_mul_f32_e32 v19, 0x3fb8aa3b, v19
	v_exp_f32_e32 v19, v19
	ds_write_b32 v13, v19
	v_add_f32_e32 v12, v12, v19
	v_add_u32_e32 v13, 0x200, v13
	s_andn2_b64 exec, exec, s[18:19]
	s_cbranch_execnz .LBB301_275
; %bb.276:
	s_or_b64 exec, exec, s[18:19]
.LBB301_277:
	s_or_b64 exec, exec, s[12:13]
	ds_bpermute_b32 v5, v5, v12
	s_waitcnt lgkmcnt(0)
	v_add_f32_e32 v5, v12, v5
	ds_bpermute_b32 v7, v7, v5
	s_waitcnt lgkmcnt(0)
	v_add_f32_e32 v5, v5, v7
	;; [unrolled: 3-line block ×6, first 2 shown]
	s_and_saveexec_b64 s[10:11], vcc
	s_cbranch_execz .LBB301_279
; %bb.278:
	ds_write_b32 v10, v5 offset:136
.LBB301_279:
	s_or_b64 exec, exec, s[10:11]
	s_waitcnt lgkmcnt(0)
	s_barrier
	s_and_saveexec_b64 s[10:11], s[0:1]
	s_cbranch_execz .LBB301_281
; %bb.280:
	ds_read_b32 v5, v11 offset:136
.LBB301_281:
	s_or_b64 exec, exec, s[10:11]
	s_waitcnt lgkmcnt(0)
	ds_bpermute_b32 v7, v24, v5
	s_waitcnt lgkmcnt(0)
	v_add_f32_e32 v5, v5, v7
	ds_bpermute_b32 v7, v4, v5
	s_and_saveexec_b64 s[0:1], s[6:7]
	s_cbranch_execz .LBB301_294
; %bb.282:
	s_waitcnt lgkmcnt(0)
	v_add_f32_e32 v4, 0x358637bd, v7
	v_div_scale_f32 v5, s[6:7], v4, v4, 1.0
	v_rcp_f32_e32 v8, v5
	v_div_scale_f32 v9, vcc, 1.0, v4, 1.0
	s_movk_i32 s6, 0x7f
	v_fma_f32 v10, -v5, v8, 1.0
	v_fmac_f32_e32 v8, v10, v8
	v_mul_f32_e32 v10, v9, v8
	v_fma_f32 v11, -v5, v10, v9
	v_fmac_f32_e32 v10, v11, v8
	v_fma_f32 v5, -v5, v10, v9
	v_div_fmas_f32 v5, v5, v8, v10
	v_div_fixup_f32 v4, v5, v4, 1.0
	v_xad_u32 v5, v0, -1, s38
	v_subrev_u32_e32 v8, s46, v5
	v_cmp_lt_u32_e32 vcc, s6, v8
	s_mov_b64 s[10:11], -1
	v_mov_b32_e32 v5, v0
	s_and_saveexec_b64 s[6:7], vcc
	s_cbranch_execz .LBB301_291
; %bb.283:
	v_lshrrev_b32_e32 v8, 7, v8
	v_add_u32_e32 v10, -1, v8
	v_lshrrev_b32_e32 v9, 1, v10
	v_mov_b32_e32 v5, v4
	v_add_u32_e32 v9, 1, v9
	v_cmp_lt_u32_e32 vcc, 13, v10
	v_mov_b32_e32 v12, 0
	s_and_saveexec_b64 s[10:11], vcc
	s_cbranch_execz .LBB301_287
; %bb.284:
	v_mov_b32_e32 v11, 0x90
	v_and_b32_e32 v10, -8, v9
	v_lshl_add_u32 v11, v0, 2, v11
	s_mov_b32 s18, 0
	s_mov_b64 s[12:13], 0
.LBB301_285:                            ; =>This Inner Loop Header: Depth=1
	ds_read2st64_b32 v[12:13], v11 offset1:2
	ds_read2st64_b32 v[20:21], v11 offset0:4 offset1:6
	ds_read2st64_b32 v[22:23], v11 offset0:8 offset1:10
	;; [unrolled: 1-line block ×3, first 2 shown]
	v_add_u32_e32 v10, -8, v10
	s_waitcnt lgkmcnt(3)
	v_pk_mul_f32 v[12:13], v[4:5], v[12:13]
	s_waitcnt lgkmcnt(2)
	v_pk_mul_f32 v[20:21], v[4:5], v[20:21]
	ds_write2st64_b32 v11, v12, v13 offset1:2
	ds_write2st64_b32 v11, v20, v21 offset0:4 offset1:6
	ds_read2st64_b32 v[20:21], v11 offset0:16 offset1:18
	s_waitcnt lgkmcnt(4)
	v_pk_mul_f32 v[12:13], v[4:5], v[22:23]
	ds_write2st64_b32 v11, v12, v13 offset0:8 offset1:10
	s_waitcnt lgkmcnt(4)
	v_pk_mul_f32 v[12:13], v[4:5], v[26:27]
	ds_write2st64_b32 v11, v12, v13 offset0:12 offset1:14
	ds_read2st64_b32 v[12:13], v11 offset0:20 offset1:22
	s_waitcnt lgkmcnt(3)
	v_pk_mul_f32 v[20:21], v[4:5], v[20:21]
	ds_read2st64_b32 v[22:23], v11 offset0:24 offset1:26
	ds_write2st64_b32 v11, v20, v21 offset0:16 offset1:18
	ds_read2st64_b32 v[20:21], v11 offset0:28 offset1:30
	s_waitcnt lgkmcnt(3)
	v_pk_mul_f32 v[12:13], v[4:5], v[12:13]
	ds_write2st64_b32 v11, v12, v13 offset0:20 offset1:22
	s_waitcnt lgkmcnt(3)
	v_pk_mul_f32 v[12:13], v[4:5], v[22:23]
	ds_write2st64_b32 v11, v12, v13 offset0:24 offset1:26
	s_waitcnt lgkmcnt(2)
	v_pk_mul_f32 v[12:13], v[4:5], v[20:21]
	s_add_i32 s18, s18, 16
	v_cmp_eq_u32_e32 vcc, 0, v10
	ds_write2st64_b32 v11, v12, v13 offset0:28 offset1:30
	v_add_u32_e32 v11, 0x2000, v11
	s_or_b64 s[12:13], vcc, s[12:13]
	v_mov_b32_e32 v12, s18
	s_andn2_b64 exec, exec, s[12:13]
	s_cbranch_execnz .LBB301_285
; %bb.286:
	s_or_b64 exec, exec, s[12:13]
.LBB301_287:
	s_or_b64 exec, exec, s[10:11]
	v_and_b32_e32 v9, 7, v9
	v_cmp_ne_u32_e32 vcc, 0, v9
	s_and_saveexec_b64 s[10:11], vcc
	s_cbranch_execz .LBB301_290
; %bb.288:
	v_lshlrev_b32_e32 v10, 9, v12
	v_lshlrev_b32_e32 v11, 2, v0
	s_movk_i32 s12, 0x90
	v_add3_u32 v10, v10, v11, s12
	s_mov_b64 s[12:13], 0
.LBB301_289:                            ; =>This Inner Loop Header: Depth=1
	ds_read2st64_b32 v[12:13], v10 offset1:2
	v_add_u32_e32 v9, -1, v9
	v_cmp_eq_u32_e32 vcc, 0, v9
	s_or_b64 s[12:13], vcc, s[12:13]
	s_waitcnt lgkmcnt(0)
	v_pk_mul_f32 v[12:13], v[4:5], v[12:13]
	ds_write2st64_b32 v10, v12, v13 offset1:2
	v_add_u32_e32 v10, 0x400, v10
	s_andn2_b64 exec, exec, s[12:13]
	s_cbranch_execnz .LBB301_289
.LBB301_290:
	s_or_b64 exec, exec, s[10:11]
	v_add_u32_e32 v8, 1, v8
	v_and_b32_e32 v9, 0x3fffffe, v8
	v_cmp_ne_u32_e32 vcc, v8, v9
	v_lshl_add_u32 v5, v9, 7, v0
	s_orn2_b64 s[10:11], vcc, exec
.LBB301_291:
	s_or_b64 exec, exec, s[6:7]
	s_and_b64 exec, exec, s[10:11]
	s_cbranch_execz .LBB301_294
; %bb.292:
	v_mov_b32_e32 v8, 0x90
	v_lshl_add_u32 v8, v5, 2, v8
	s_mov_b64 s[6:7], 0
.LBB301_293:                            ; =>This Inner Loop Header: Depth=1
	ds_read_b32 v9, v8
	v_add_u32_e32 v5, 0x80, v5
	v_cmp_le_i32_e32 vcc, s3, v5
	s_or_b64 s[6:7], vcc, s[6:7]
	s_waitcnt lgkmcnt(0)
	v_mul_f32_e32 v9, v4, v9
	ds_write_b32 v8, v9
	v_add_u32_e32 v8, 0x200, v8
	s_andn2_b64 exec, exec, s[6:7]
	s_cbranch_execnz .LBB301_293
.LBB301_294:
	s_or_b64 exec, exec, s[0:1]
	s_mul_i32 s0, s25, s28
	v_cmp_eq_u32_e32 vcc, 0, v0
	s_mul_i32 s6, s0, s5
	s_waitcnt lgkmcnt(0)
	s_barrier
	s_and_saveexec_b64 s[0:1], vcc
	s_cbranch_execz .LBB301_296
; %bb.295:
	s_ashr_i32 s7, s6, 31
	s_lshl_b64 s[10:11], s[6:7], 2
	s_add_u32 s5, s22, s10
	s_mul_i32 s2, s25, s2
	s_addc_u32 s7, s23, s11
	s_ashr_i32 s3, s2, 31
	s_lshl_b64 s[2:3], s[2:3], 2
	s_add_u32 s18, s5, s2
	s_addc_u32 s7, s7, s3
	s_ashr_i32 s5, s4, 31
	s_lshl_b64 s[12:13], s[4:5], 2
	s_add_u32 s18, s18, s12
	s_addc_u32 s19, s7, s13
	s_add_u32 s5, s20, s10
	s_addc_u32 s7, s21, s11
	;; [unrolled: 2-line block ×3, first 2 shown]
	s_add_u32 s2, s2, s12
	v_mov_b32_e32 v4, 0
	s_addc_u32 s3, s3, s13
	global_store_dword v4, v6, s[18:19]
	global_store_dword v4, v7, s[2:3]
.LBB301_296:
	s_or_b64 exec, exec, s[0:1]
	v_mov_b32_e32 v5, 0
	v_and_b32_e32 v25, 3, v0
	v_mov_b32_e32 v4, 0
	v_mov_b32_e32 v7, 0
	;; [unrolled: 1-line block ×3, first 2 shown]
	s_and_saveexec_b64 s[2:3], s[8:9]
	s_cbranch_execz .LBB301_564
; %bb.297:
	s_ashr_i32 s1, s47, 31
	s_add_u32 s0, s36, s47
	s_addc_u32 s1, s37, s1
	v_and_b32_e32 v8, 0x1f8, v15
	v_mov_b32_e32 v9, 0
	v_and_b32_e32 v4, 24, v15
	s_add_i32 s7, s16, -1
	v_lshl_add_u64 v[10:11], s[0:1], 0, v[8:9]
	s_lshl_b64 s[0:1], s[34:35], 2
	v_add3_u32 v26, s46, v18, v4
	v_lshlrev_b32_e32 v4, 5, v25
	s_add_u32 s0, s30, s0
	v_lshl_or_b32 v4, v16, 7, v4
	s_addc_u32 s1, s31, s1
	s_mov_b32 s5, s17
	s_mov_b32 s18, s29
	v_add_u32_e32 v27, 0x90, v4
	v_lshl_add_u64 v[12:13], v[2:3], 2, s[0:1]
	s_mov_b64 s[8:9], 0
	s_movk_i32 s19, 0x7f
	s_movk_i32 s20, 0x80
	s_mov_b32 s21, 0x8000
	s_movk_i32 s22, 0x380
	s_mov_b32 s23, 0x3020706
	s_mov_b32 s28, 0x1000504
	s_mov_b32 s30, 0x5040100
	v_mov_b32_e32 v3, 0x1c00
	v_mov_b32_e32 v6, 0
	;; [unrolled: 1-line block ×5, first 2 shown]
	s_branch .LBB301_299
.LBB301_298:                            ;   in Loop: Header=BB301_299 Depth=1
	s_or_b64 exec, exec, s[0:1]
	;;#ASMSTART
	v_pk_mul_f16 v14, v35, v14;

	;;#ASMEND
	;;#ASMSTART
	v_pk_mul_f16 v8, v36, v8;

	;;#ASMEND
	;; [unrolled: 4-line block ×4, first 2 shown]
	v_add_f32_e32 v18, v39, v40
	;;#ASMSTART
	v_pk_add_f16 v8, v14, v8;

	;;#ASMEND
	v_add_f32_e32 v6, v6, v18
	;;#ASMSTART
	v_pk_add_f16 v8, v8, v15;

	;;#ASMEND
	;; [unrolled: 5-line block ×3, first 2 shown]
	v_add_u32_e32 v2, 2, v2
	v_lshrrev_b32_e32 v14, 16, v8
	v_and_b32_e32 v8, 0xffff, v8
	;;#ASMSTART
	v_cvt_f32_f16 v8, v8;
	;;#ASMEND
	v_add_f32_e32 v7, v7, v18
	v_add_f32_e32 v18, v22, v23
	;;#ASMSTART
	v_cvt_f32_f16 v14, v14;
	;;#ASMEND
	v_cmp_le_i32_e32 vcc, s33, v2
	v_add_f32_e32 v8, v8, v14
	v_add_f32_e32 v4, v4, v18
	;; [unrolled: 1-line block ×3, first 2 shown]
	v_add_u32_e32 v26, 64, v26
	v_add_u32_e32 v27, 0x100, v27
	s_or_b64 s[8:9], vcc, s[8:9]
	v_lshl_add_u64 v[12:13], v[12:13], 0, 8
	s_andn2_b64 exec, exec, s[8:9]
	s_cbranch_execz .LBB301_563
.LBB301_299:                            ; =>This Inner Loop Header: Depth=1
	ds_read2_b64 v[18:21], v27 offset1:1
	ds_read2_b64 v[28:31], v27 offset0:2 offset1:3
                                        ; implicit-def: $sgpr16
	s_waitcnt lgkmcnt(1)
	;;#ASMSTART
	v_cvt_f16_f32 v35, v18;

	;;#ASMEND
	;;#ASMSTART
	v_cvt_f16_f32 v36, v19;

	;;#ASMEND
	;; [unrolled: 4-line block ×4, first 2 shown]
	s_waitcnt lgkmcnt(0)
	;;#ASMSTART
	v_cvt_f16_f32 v39, v28;

	;;#ASMEND
	;;#ASMSTART
	v_cvt_f16_f32 v40, v29;

	;;#ASMEND
	;; [unrolled: 4-line block ×4, first 2 shown]
	global_load_dword v8, v[12:13], off
	s_waitcnt vmcnt(0)
	v_mad_i64_i32 v[14:15], s[0:1], v8, s5, v[10:11]
	global_load_dwordx2 v[18:19], v[14:15], off
	global_load_dword v16, v9, s[14:15]
	s_mov_b64 s[0:1], 0
	s_waitcnt vmcnt(1)
	v_cmp_gt_i16_sdwa s[10:11], v18, s19 src0_sel:BYTE_0 src1_sel:DWORD
	s_and_saveexec_b64 s[12:13], s[10:11]
	s_xor_b64 s[10:11], exec, s[12:13]
	s_cbranch_execnz .LBB301_435
; %bb.300:                              ;   in Loop: Header=BB301_299 Depth=1
	s_or_saveexec_b64 s[10:11], s[10:11]
	v_mov_b32_e32 v20, s16
	s_xor_b64 exec, exec, s[10:11]
	s_cbranch_execnz .LBB301_438
.LBB301_301:                            ;   in Loop: Header=BB301_299 Depth=1
	s_or_b64 exec, exec, s[10:11]
	s_and_saveexec_b64 s[10:11], s[0:1]
	s_cbranch_execz .LBB301_303
.LBB301_302:                            ;   in Loop: Header=BB301_299 Depth=1
	v_and_b32_e32 v8, 7, v18
	v_ffbh_u32_e32 v8, v8
	v_bfe_u32 v20, v18, 3, 4
	v_min_u32_e32 v8, 32, v8
	v_subrev_u32_e32 v21, 28, v8
	v_sub_u32_e32 v8, 29, v8
	v_cmp_eq_u32_e32 vcc, 0, v20
	s_nop 1
	v_cndmask_b32_e32 v8, v20, v8, vcc
	v_cndmask_b32_e32 v20, 0, v21, vcc
	v_lshlrev_b64 v[20:21], v20, v[18:19]
	v_lshlrev_b32_e32 v21, 8, v18
	v_lshl_add_u32 v8, v8, 10, v3
	v_lshlrev_b32_e32 v20, 7, v20
	v_and_or_b32 v8, v21, s21, v8
	v_and_or_b32 v8, v20, s22, v8
	v_cvt_f32_f16_e32 v20, v8
.LBB301_303:                            ;   in Loop: Header=BB301_299 Depth=1
	s_or_b64 exec, exec, s[10:11]
	v_lshrrev_b16_e32 v8, 8, v18
	v_cmp_lt_i16_e32 vcc, s19, v8
	s_mov_b64 s[0:1], 0
                                        ; implicit-def: $sgpr16
	s_and_saveexec_b64 s[10:11], vcc
	s_xor_b64 s[10:11], exec, s[10:11]
	s_cbranch_execnz .LBB301_439
; %bb.304:                              ;   in Loop: Header=BB301_299 Depth=1
	s_or_saveexec_b64 s[10:11], s[10:11]
	v_mov_b32_e32 v22, s16
	s_xor_b64 exec, exec, s[10:11]
	s_cbranch_execnz .LBB301_442
.LBB301_305:                            ;   in Loop: Header=BB301_299 Depth=1
	s_or_b64 exec, exec, s[10:11]
	s_and_saveexec_b64 s[10:11], s[0:1]
	s_cbranch_execz .LBB301_307
.LBB301_306:                            ;   in Loop: Header=BB301_299 Depth=1
	v_and_b32_e32 v21, 7, v8
	v_ffbh_u32_e32 v22, v21
	v_min_u32_e32 v29, 32, v22
	v_subrev_u32_e32 v22, 28, v29
	v_bfe_u32 v28, v8, 3, 4
	v_lshlrev_b64 v[22:23], v22, v[8:9]
	v_sub_u32_e32 v23, 29, v29
	v_cmp_eq_u32_e32 vcc, 0, v28
	v_and_b32_e32 v22, 7, v22
	v_lshlrev_b32_e32 v8, 8, v8
	v_cndmask_b32_e32 v23, v28, v23, vcc
	v_cndmask_b32_e32 v21, v21, v22, vcc
	v_lshl_add_u32 v22, v23, 10, v3
	v_and_or_b32 v8, v8, s21, v22
	v_lshl_or_b32 v8, v21, 7, v8
	v_cvt_f32_f16_e32 v22, v8
.LBB301_307:                            ;   in Loop: Header=BB301_299 Depth=1
	s_or_b64 exec, exec, s[10:11]
	v_lshrrev_b32_e32 v8, 16, v18
	v_cmp_gt_i16_sdwa s[10:11], v8, s19 src0_sel:BYTE_0 src1_sel:DWORD
	s_mov_b64 s[0:1], 0
                                        ; implicit-def: $sgpr16
	s_and_saveexec_b64 s[12:13], s[10:11]
	s_xor_b64 s[10:11], exec, s[12:13]
	s_cbranch_execnz .LBB301_443
; %bb.308:                              ;   in Loop: Header=BB301_299 Depth=1
	s_or_saveexec_b64 s[10:11], s[10:11]
	v_mov_b32_e32 v21, s16
	s_xor_b64 exec, exec, s[10:11]
	s_cbranch_execnz .LBB301_446
.LBB301_309:                            ;   in Loop: Header=BB301_299 Depth=1
	s_or_b64 exec, exec, s[10:11]
	s_and_saveexec_b64 s[10:11], s[0:1]
	s_cbranch_execz .LBB301_311
.LBB301_310:                            ;   in Loop: Header=BB301_299 Depth=1
	v_bfe_u32 v21, v18, 16, 3
	v_ffbh_u32_e32 v28, v21
	v_min_u32_e32 v30, 32, v28
	v_subrev_u32_e32 v28, 28, v30
	v_bfe_u32 v23, v18, 19, 4
	v_lshlrev_b64 v[28:29], v28, v[8:9]
	v_sub_u32_e32 v29, 29, v30
	v_cmp_eq_u32_e32 vcc, 0, v23
	v_and_b32_e32 v28, 7, v28
	v_lshlrev_b32_e32 v8, 8, v8
	v_cndmask_b32_e32 v23, v23, v29, vcc
	v_lshl_add_u32 v23, v23, 10, v3
	v_cndmask_b32_e32 v21, v21, v28, vcc
	v_and_or_b32 v8, v8, s21, v23
	v_lshl_or_b32 v8, v21, 7, v8
	v_cvt_f32_f16_e32 v21, v8
.LBB301_311:                            ;   in Loop: Header=BB301_299 Depth=1
	s_or_b64 exec, exec, s[10:11]
	v_lshrrev_b32_e32 v8, 24, v18
	v_cmp_lt_i16_e32 vcc, s19, v8
	s_mov_b64 s[0:1], 0
                                        ; implicit-def: $sgpr16
	s_and_saveexec_b64 s[10:11], vcc
	s_xor_b64 s[10:11], exec, s[10:11]
	s_cbranch_execnz .LBB301_447
; %bb.312:                              ;   in Loop: Header=BB301_299 Depth=1
	s_or_saveexec_b64 s[10:11], s[10:11]
	v_mov_b32_e32 v23, s16
	s_xor_b64 exec, exec, s[10:11]
	s_cbranch_execnz .LBB301_450
.LBB301_313:                            ;   in Loop: Header=BB301_299 Depth=1
	s_or_b64 exec, exec, s[10:11]
	s_and_saveexec_b64 s[10:11], s[0:1]
	s_cbranch_execz .LBB301_315
.LBB301_314:                            ;   in Loop: Header=BB301_299 Depth=1
	v_bfe_u32 v23, v18, 24, 3
	v_ffbh_u32_e32 v28, v23
	v_min_u32_e32 v30, 32, v28
	v_subrev_u32_e32 v28, 28, v30
	v_bfe_u32 v18, v18, 27, 4
	v_lshlrev_b64 v[28:29], v28, v[8:9]
	v_sub_u32_e32 v29, 29, v30
	v_cmp_eq_u32_e32 vcc, 0, v18
	v_and_b32_e32 v28, 7, v28
	v_lshlrev_b32_e32 v8, 8, v8
	v_cndmask_b32_e32 v18, v18, v29, vcc
	v_lshl_add_u32 v18, v18, 10, v3
	v_cndmask_b32_e32 v23, v23, v28, vcc
	v_and_or_b32 v8, v8, s21, v18
	v_lshl_or_b32 v8, v23, 7, v8
	v_cvt_f32_f16_e32 v23, v8
.LBB301_315:                            ;   in Loop: Header=BB301_299 Depth=1
	s_or_b64 exec, exec, s[10:11]
	v_cmp_gt_i16_sdwa s[10:11], v19, s19 src0_sel:BYTE_0 src1_sel:DWORD
	s_mov_b64 s[0:1], 0
                                        ; implicit-def: $sgpr16
	s_and_saveexec_b64 s[12:13], s[10:11]
	s_xor_b64 s[10:11], exec, s[12:13]
	s_cbranch_execnz .LBB301_451
; %bb.316:                              ;   in Loop: Header=BB301_299 Depth=1
	s_or_saveexec_b64 s[10:11], s[10:11]
	v_mov_b32_e32 v18, s16
	s_xor_b64 exec, exec, s[10:11]
	s_cbranch_execnz .LBB301_454
.LBB301_317:                            ;   in Loop: Header=BB301_299 Depth=1
	s_or_b64 exec, exec, s[10:11]
	v_mov_b32_e32 v8, v19
	s_and_saveexec_b64 s[10:11], s[0:1]
	s_cbranch_execz .LBB301_319
.LBB301_318:                            ;   in Loop: Header=BB301_299 Depth=1
	v_and_b32_e32 v18, 7, v19
	v_ffbh_u32_e32 v18, v18
	v_bfe_u32 v28, v19, 3, 4
	v_min_u32_e32 v18, 32, v18
	v_subrev_u32_e32 v29, 28, v18
	v_sub_u32_e32 v18, 29, v18
	v_cmp_eq_u32_e32 vcc, 0, v28
	s_nop 1
	v_cndmask_b32_e32 v18, v28, v18, vcc
	v_cndmask_b32_e32 v28, 0, v29, vcc
	v_lshlrev_b64 v[28:29], v28, v[8:9]
	v_lshlrev_b32_e32 v29, 8, v19
	v_lshl_add_u32 v18, v18, 10, v3
	v_lshlrev_b32_e32 v28, 7, v28
	v_and_or_b32 v18, v29, s21, v18
	v_and_or_b32 v18, v28, s22, v18
	v_cvt_f32_f16_e32 v18, v18
.LBB301_319:                            ;   in Loop: Header=BB301_299 Depth=1
	s_or_b64 exec, exec, s[10:11]
	v_lshrrev_b16_e32 v8, 8, v8
	v_cmp_lt_i16_e32 vcc, s19, v8
	s_mov_b64 s[0:1], 0
                                        ; implicit-def: $sgpr16
	s_and_saveexec_b64 s[10:11], vcc
	s_xor_b64 s[10:11], exec, s[10:11]
	s_cbranch_execnz .LBB301_455
; %bb.320:                              ;   in Loop: Header=BB301_299 Depth=1
	s_or_saveexec_b64 s[10:11], s[10:11]
	v_mov_b32_e32 v28, s16
	s_xor_b64 exec, exec, s[10:11]
	s_cbranch_execnz .LBB301_458
.LBB301_321:                            ;   in Loop: Header=BB301_299 Depth=1
	s_or_b64 exec, exec, s[10:11]
	s_and_saveexec_b64 s[10:11], s[0:1]
	s_cbranch_execz .LBB301_323
.LBB301_322:                            ;   in Loop: Header=BB301_299 Depth=1
	v_and_b32_e32 v30, 7, v8
	v_ffbh_u32_e32 v28, v30
	v_min_u32_e32 v32, 32, v28
	v_subrev_u32_e32 v28, 28, v32
	v_bfe_u32 v31, v8, 3, 4
	v_lshlrev_b64 v[28:29], v28, v[8:9]
	v_sub_u32_e32 v29, 29, v32
	v_cmp_eq_u32_e32 vcc, 0, v31
	v_and_b32_e32 v28, 7, v28
	v_lshlrev_b32_e32 v8, 8, v8
	v_cndmask_b32_e32 v29, v31, v29, vcc
	v_lshl_add_u32 v29, v29, 10, v3
	v_cndmask_b32_e32 v28, v30, v28, vcc
	v_and_or_b32 v8, v8, s21, v29
	v_lshl_or_b32 v8, v28, 7, v8
	v_cvt_f32_f16_e32 v28, v8
.LBB301_323:                            ;   in Loop: Header=BB301_299 Depth=1
	s_or_b64 exec, exec, s[10:11]
	v_lshrrev_b32_e32 v8, 16, v19
	v_cmp_gt_i16_sdwa s[10:11], v8, s19 src0_sel:BYTE_0 src1_sel:DWORD
	s_mov_b64 s[0:1], 0
                                        ; implicit-def: $sgpr16
	s_and_saveexec_b64 s[12:13], s[10:11]
	s_xor_b64 s[10:11], exec, s[12:13]
	s_cbranch_execnz .LBB301_459
; %bb.324:                              ;   in Loop: Header=BB301_299 Depth=1
	s_or_saveexec_b64 s[10:11], s[10:11]
	v_mov_b32_e32 v29, s16
	s_xor_b64 exec, exec, s[10:11]
	s_cbranch_execnz .LBB301_462
.LBB301_325:                            ;   in Loop: Header=BB301_299 Depth=1
	s_or_b64 exec, exec, s[10:11]
	s_and_saveexec_b64 s[10:11], s[0:1]
	s_cbranch_execz .LBB301_327
.LBB301_326:                            ;   in Loop: Header=BB301_299 Depth=1
	v_bfe_u32 v29, v19, 16, 3
	v_ffbh_u32_e32 v30, v29
	v_min_u32_e32 v33, 32, v30
	v_subrev_u32_e32 v30, 28, v33
	v_bfe_u32 v32, v19, 19, 4
	v_lshlrev_b64 v[30:31], v30, v[8:9]
	v_sub_u32_e32 v31, 29, v33
	v_cmp_eq_u32_e32 vcc, 0, v32
	v_and_b32_e32 v30, 7, v30
	v_lshlrev_b32_e32 v8, 8, v8
	v_cndmask_b32_e32 v31, v32, v31, vcc
	v_cndmask_b32_e32 v29, v29, v30, vcc
	v_lshl_add_u32 v30, v31, 10, v3
	v_and_or_b32 v8, v8, s21, v30
	v_lshl_or_b32 v8, v29, 7, v8
	v_cvt_f32_f16_e32 v29, v8
.LBB301_327:                            ;   in Loop: Header=BB301_299 Depth=1
	s_or_b64 exec, exec, s[10:11]
	v_lshrrev_b32_e32 v8, 24, v19
	v_cmp_lt_i16_e32 vcc, s19, v8
	s_mov_b64 s[0:1], 0
                                        ; implicit-def: $sgpr16
	s_and_saveexec_b64 s[10:11], vcc
	s_xor_b64 s[10:11], exec, s[10:11]
	s_cbranch_execnz .LBB301_463
; %bb.328:                              ;   in Loop: Header=BB301_299 Depth=1
	s_or_saveexec_b64 s[10:11], s[10:11]
	v_mov_b32_e32 v30, s16
	s_xor_b64 exec, exec, s[10:11]
	s_cbranch_execnz .LBB301_466
.LBB301_329:                            ;   in Loop: Header=BB301_299 Depth=1
	s_or_b64 exec, exec, s[10:11]
	s_and_saveexec_b64 s[10:11], s[0:1]
	s_cbranch_execz .LBB301_331
.LBB301_330:                            ;   in Loop: Header=BB301_299 Depth=1
	v_bfe_u32 v32, v19, 24, 3
	v_ffbh_u32_e32 v30, v32
	v_min_u32_e32 v33, 32, v30
	v_subrev_u32_e32 v30, 28, v33
	v_bfe_u32 v19, v19, 27, 4
	v_lshlrev_b64 v[30:31], v30, v[8:9]
	v_sub_u32_e32 v31, 29, v33
	v_cmp_eq_u32_e32 vcc, 0, v19
	v_and_b32_e32 v30, 7, v30
	v_lshlrev_b32_e32 v8, 8, v8
	v_cndmask_b32_e32 v19, v19, v31, vcc
	v_lshl_add_u32 v19, v19, 10, v3
	v_cndmask_b32_e32 v30, v32, v30, vcc
	v_and_or_b32 v8, v8, s21, v19
	v_lshl_or_b32 v8, v30, 7, v8
	v_cvt_f32_f16_e32 v30, v8
.LBB301_331:                            ;   in Loop: Header=BB301_299 Depth=1
	s_or_b64 exec, exec, s[10:11]
	s_waitcnt vmcnt(0)
	v_pk_mul_f32 v[22:23], v[16:17], v[22:23] op_sel_hi:[0,1]
	v_pk_mul_f32 v[20:21], v[16:17], v[20:21] op_sel_hi:[0,1]
	v_cvt_f16_f32_e32 v8, v23
	v_cvt_f16_f32_e32 v19, v22
	;; [unrolled: 1-line block ×4, first 2 shown]
	v_fma_mixlo_f16 v18, v16, v18, 0
	v_pack_b32_f16 v19, v19, v8
	v_cmp_eq_u32_e32 vcc, s7, v2
	v_pack_b32_f16 v20, v20, v21
	v_perm_b32 v8, v20, v19, s23
	v_perm_b32 v19, v20, v19, s28
	v_fma_mixlo_f16 v20, v16, v28, 0
	v_lshlrev_b32_e32 v20, 16, v20
	v_or_b32_sdwa v18, v20, v18 dst_sel:DWORD dst_unused:UNUSED_PAD src0_sel:DWORD src1_sel:WORD_0
	v_fma_mixlo_f16 v20, v16, v29, 0
	v_fma_mixlo_f16 v16, v16, v30, 0
	v_lshlrev_b32_e32 v16, 16, v16
	v_or_b32_sdwa v16, v16, v20 dst_sel:DWORD dst_unused:UNUSED_PAD src0_sel:DWORD src1_sel:WORD_0
	v_add_u32_e32 v34, 1, v26
	v_or_b32_e32 v33, 3, v26
	v_or_b32_e32 v32, 2, v26
	;; [unrolled: 1-line block ×6, first 2 shown]
	s_and_saveexec_b64 s[10:11], vcc
	s_cbranch_execz .LBB301_333
; %bb.332:                              ;   in Loop: Header=BB301_299 Depth=1
	v_lshrrev_b32_e32 v21, 16, v19
	v_cmp_gt_i32_e64 s[0:1], s18, v34
	v_lshrrev_b32_e32 v16, 16, v16
	s_nop 0
	v_cndmask_b32_e64 v21, 0, v21, s[0:1]
	v_cmp_gt_i32_e64 s[0:1], s29, v26
	s_nop 1
	v_cndmask_b32_e64 v19, 0, v19, s[0:1]
	v_perm_b32 v19, v21, v19, s30
	v_lshrrev_b32_e32 v21, 16, v8
	v_cmp_gt_i32_e64 s[0:1], s18, v33
	s_nop 1
	v_cndmask_b32_e64 v21, 0, v21, s[0:1]
	v_cmp_gt_i32_e64 s[0:1], s29, v32
	s_nop 1
	v_cndmask_b32_e64 v8, 0, v8, s[0:1]
	v_perm_b32 v8, v21, v8, s30
	v_lshrrev_b32_e32 v21, 16, v18
	v_cmp_gt_i32_e64 s[0:1], s18, v31
	s_nop 1
	v_cndmask_b32_e64 v21, 0, v21, s[0:1]
	v_cmp_gt_i32_e64 s[0:1], s29, v30
	s_nop 1
	v_cndmask_b32_e64 v18, 0, v18, s[0:1]
	v_cmp_gt_i32_e64 s[0:1], s18, v29
	v_perm_b32 v18, v21, v18, s30
	s_nop 0
	v_cndmask_b32_e64 v16, 0, v16, s[0:1]
	v_cmp_gt_i32_e64 s[0:1], s29, v28
	s_nop 1
	v_cndmask_b32_e64 v20, 0, v20, s[0:1]
	v_perm_b32 v16, v16, v20, s30
.LBB301_333:                            ;   in Loop: Header=BB301_299 Depth=1
	s_or_b64 exec, exec, s[10:11]
	v_and_b32_e32 v20, 0xffff, v35
	v_lshl_or_b32 v35, v36, 16, v20
	v_and_b32_e32 v20, 0xffff, v37
	v_lshl_or_b32 v36, v38, 16, v20
	;; [unrolled: 2-line block ×3, first 2 shown]
	v_and_b32_e32 v20, 0xffff, v41
	;;#ASMSTART
	v_pk_mul_f16 v19, v35, v19;

	;;#ASMEND
	;;#ASMSTART
	v_pk_mul_f16 v8, v36, v8;

	;;#ASMEND
	v_lshl_or_b32 v38, v42, 16, v20
	;;#ASMSTART
	v_pk_mul_f16 v18, v37, v18;

	;;#ASMEND
	;;#ASMSTART
	v_pk_mul_f16 v16, v38, v16;

	;;#ASMEND
	;;#ASMSTART
	v_pk_add_f16 v8, v19, v8;

	;;#ASMEND
	s_mov_b64 s[0:1], 0
	;;#ASMSTART
	v_pk_add_f16 v8, v8, v18;

	;;#ASMEND
                                        ; implicit-def: $sgpr16
	s_nop 0
	;;#ASMSTART
	v_pk_add_f16 v8, v8, v16;

	;;#ASMEND
	s_nop 0
	v_lshrrev_b32_e32 v16, 16, v8
	v_and_b32_e32 v8, 0xffff, v8
	;;#ASMSTART
	v_cvt_f32_f16 v39, v8;
	;;#ASMEND
	;;#ASMSTART
	v_cvt_f32_f16 v40, v16;
	;;#ASMEND
	global_load_dwordx2 v[18:19], v[14:15], off offset:512
	global_load_dword v16, v9, s[14:15]
	s_waitcnt vmcnt(1)
	v_cmp_gt_i16_sdwa s[10:11], v18, s19 src0_sel:BYTE_0 src1_sel:DWORD
	s_and_saveexec_b64 s[12:13], s[10:11]
	s_xor_b64 s[10:11], exec, s[12:13]
	s_cbranch_execnz .LBB301_467
; %bb.334:                              ;   in Loop: Header=BB301_299 Depth=1
	s_or_saveexec_b64 s[10:11], s[10:11]
	v_mov_b32_e32 v20, s16
	s_xor_b64 exec, exec, s[10:11]
	s_cbranch_execnz .LBB301_470
.LBB301_335:                            ;   in Loop: Header=BB301_299 Depth=1
	s_or_b64 exec, exec, s[10:11]
	s_and_saveexec_b64 s[10:11], s[0:1]
	s_cbranch_execz .LBB301_337
.LBB301_336:                            ;   in Loop: Header=BB301_299 Depth=1
	v_and_b32_e32 v8, 7, v18
	v_ffbh_u32_e32 v8, v8
	v_bfe_u32 v20, v18, 3, 4
	v_min_u32_e32 v8, 32, v8
	v_subrev_u32_e32 v21, 28, v8
	v_sub_u32_e32 v8, 29, v8
	v_cmp_eq_u32_e64 s[0:1], 0, v20
	s_nop 1
	v_cndmask_b32_e64 v8, v20, v8, s[0:1]
	v_cndmask_b32_e64 v20, 0, v21, s[0:1]
	v_lshlrev_b64 v[20:21], v20, v[18:19]
	v_lshlrev_b32_e32 v21, 8, v18
	v_lshl_add_u32 v8, v8, 10, v3
	v_lshlrev_b32_e32 v20, 7, v20
	v_and_or_b32 v8, v21, s21, v8
	v_and_or_b32 v8, v20, s22, v8
	v_cvt_f32_f16_e32 v20, v8
.LBB301_337:                            ;   in Loop: Header=BB301_299 Depth=1
	s_or_b64 exec, exec, s[10:11]
	v_lshrrev_b16_e32 v8, 8, v18
	v_cmp_lt_i16_e64 s[0:1], s19, v8
	s_mov_b64 s[10:11], 0
                                        ; implicit-def: $sgpr31
	s_and_saveexec_b64 s[12:13], s[0:1]
	s_xor_b64 s[12:13], exec, s[12:13]
	s_cbranch_execnz .LBB301_471
; %bb.338:                              ;   in Loop: Header=BB301_299 Depth=1
	s_or_saveexec_b64 s[12:13], s[12:13]
	v_mov_b32_e32 v22, s31
	s_xor_b64 exec, exec, s[12:13]
	s_cbranch_execnz .LBB301_474
.LBB301_339:                            ;   in Loop: Header=BB301_299 Depth=1
	s_or_b64 exec, exec, s[12:13]
	s_and_saveexec_b64 s[12:13], s[10:11]
	s_cbranch_execz .LBB301_341
.LBB301_340:                            ;   in Loop: Header=BB301_299 Depth=1
	v_and_b32_e32 v21, 7, v8
	v_ffbh_u32_e32 v22, v21
	v_min_u32_e32 v42, 32, v22
	v_subrev_u32_e32 v22, 28, v42
	v_bfe_u32 v41, v8, 3, 4
	v_lshlrev_b64 v[22:23], v22, v[8:9]
	v_sub_u32_e32 v23, 29, v42
	v_cmp_eq_u32_e64 s[0:1], 0, v41
	v_and_b32_e32 v22, 7, v22
	v_lshlrev_b32_e32 v8, 8, v8
	v_cndmask_b32_e64 v23, v41, v23, s[0:1]
	v_cndmask_b32_e64 v21, v21, v22, s[0:1]
	v_lshl_add_u32 v22, v23, 10, v3
	v_and_or_b32 v8, v8, s21, v22
	v_lshl_or_b32 v8, v21, 7, v8
	v_cvt_f32_f16_e32 v22, v8
.LBB301_341:                            ;   in Loop: Header=BB301_299 Depth=1
	s_or_b64 exec, exec, s[12:13]
	v_lshrrev_b32_e32 v8, 16, v18
	v_cmp_gt_i16_sdwa s[10:11], v8, s19 src0_sel:BYTE_0 src1_sel:DWORD
	s_mov_b64 s[0:1], 0
                                        ; implicit-def: $sgpr16
	s_and_saveexec_b64 s[12:13], s[10:11]
	s_xor_b64 s[10:11], exec, s[12:13]
	s_cbranch_execnz .LBB301_475
; %bb.342:                              ;   in Loop: Header=BB301_299 Depth=1
	s_or_saveexec_b64 s[10:11], s[10:11]
	v_mov_b32_e32 v21, s16
	s_xor_b64 exec, exec, s[10:11]
	s_cbranch_execnz .LBB301_478
.LBB301_343:                            ;   in Loop: Header=BB301_299 Depth=1
	s_or_b64 exec, exec, s[10:11]
	s_and_saveexec_b64 s[10:11], s[0:1]
	s_cbranch_execz .LBB301_345
.LBB301_344:                            ;   in Loop: Header=BB301_299 Depth=1
	v_bfe_u32 v21, v18, 16, 3
	v_ffbh_u32_e32 v41, v21
	v_bfe_u32 v23, v18, 19, 4
	v_min_u32_e32 v41, 32, v41
	v_subrev_u32_e32 v42, 28, v41
	v_sub_u32_e32 v41, 29, v41
	v_cmp_eq_u32_e64 s[0:1], 0, v23
	v_lshlrev_b64 v[42:43], v42, v[8:9]
	v_and_b32_e32 v42, 7, v42
	v_cndmask_b32_e64 v23, v23, v41, s[0:1]
	v_lshlrev_b32_e32 v8, 8, v8
	v_lshl_add_u32 v23, v23, 10, v3
	v_cndmask_b32_e64 v21, v21, v42, s[0:1]
	v_and_or_b32 v8, v8, s21, v23
	v_lshl_or_b32 v8, v21, 7, v8
	v_cvt_f32_f16_e32 v21, v8
.LBB301_345:                            ;   in Loop: Header=BB301_299 Depth=1
	s_or_b64 exec, exec, s[10:11]
	v_lshrrev_b32_e32 v8, 24, v18
	v_cmp_lt_i16_e64 s[0:1], s19, v8
	s_mov_b64 s[10:11], 0
                                        ; implicit-def: $sgpr31
	s_and_saveexec_b64 s[12:13], s[0:1]
	s_xor_b64 s[12:13], exec, s[12:13]
	s_cbranch_execnz .LBB301_479
; %bb.346:                              ;   in Loop: Header=BB301_299 Depth=1
	s_or_saveexec_b64 s[12:13], s[12:13]
	v_mov_b32_e32 v23, s31
	s_xor_b64 exec, exec, s[12:13]
	s_cbranch_execnz .LBB301_482
.LBB301_347:                            ;   in Loop: Header=BB301_299 Depth=1
	s_or_b64 exec, exec, s[12:13]
	s_and_saveexec_b64 s[12:13], s[10:11]
	s_cbranch_execz .LBB301_349
.LBB301_348:                            ;   in Loop: Header=BB301_299 Depth=1
	v_bfe_u32 v23, v18, 24, 3
	v_ffbh_u32_e32 v41, v23
	v_bfe_u32 v18, v18, 27, 4
	v_min_u32_e32 v41, 32, v41
	v_subrev_u32_e32 v42, 28, v41
	v_sub_u32_e32 v41, 29, v41
	v_cmp_eq_u32_e64 s[0:1], 0, v18
	v_lshlrev_b64 v[42:43], v42, v[8:9]
	v_and_b32_e32 v42, 7, v42
	v_cndmask_b32_e64 v18, v18, v41, s[0:1]
	v_lshlrev_b32_e32 v8, 8, v8
	v_lshl_add_u32 v18, v18, 10, v3
	v_cndmask_b32_e64 v23, v23, v42, s[0:1]
	v_and_or_b32 v8, v8, s21, v18
	v_lshl_or_b32 v8, v23, 7, v8
	v_cvt_f32_f16_e32 v23, v8
.LBB301_349:                            ;   in Loop: Header=BB301_299 Depth=1
	s_or_b64 exec, exec, s[12:13]
	v_cmp_gt_i16_sdwa s[10:11], v19, s19 src0_sel:BYTE_0 src1_sel:DWORD
	s_mov_b64 s[0:1], 0
                                        ; implicit-def: $sgpr16
	s_and_saveexec_b64 s[12:13], s[10:11]
	s_xor_b64 s[10:11], exec, s[12:13]
	s_cbranch_execnz .LBB301_483
; %bb.350:                              ;   in Loop: Header=BB301_299 Depth=1
	s_or_saveexec_b64 s[10:11], s[10:11]
	v_mov_b32_e32 v18, s16
	s_xor_b64 exec, exec, s[10:11]
	s_cbranch_execnz .LBB301_486
.LBB301_351:                            ;   in Loop: Header=BB301_299 Depth=1
	s_or_b64 exec, exec, s[10:11]
	v_mov_b32_e32 v8, v19
	s_and_saveexec_b64 s[10:11], s[0:1]
	s_cbranch_execz .LBB301_353
.LBB301_352:                            ;   in Loop: Header=BB301_299 Depth=1
	v_and_b32_e32 v18, 7, v19
	v_ffbh_u32_e32 v18, v18
	v_bfe_u32 v41, v19, 3, 4
	v_min_u32_e32 v18, 32, v18
	v_subrev_u32_e32 v42, 28, v18
	v_sub_u32_e32 v18, 29, v18
	v_cmp_eq_u32_e64 s[0:1], 0, v41
	s_nop 1
	v_cndmask_b32_e64 v18, v41, v18, s[0:1]
	v_cndmask_b32_e64 v41, 0, v42, s[0:1]
	v_lshlrev_b64 v[42:43], v41, v[8:9]
	v_lshlrev_b32_e32 v41, 7, v42
	v_lshlrev_b32_e32 v42, 8, v19
	v_lshl_add_u32 v18, v18, 10, v3
	v_and_or_b32 v18, v42, s21, v18
	v_and_or_b32 v18, v41, s22, v18
	v_cvt_f32_f16_e32 v18, v18
.LBB301_353:                            ;   in Loop: Header=BB301_299 Depth=1
	s_or_b64 exec, exec, s[10:11]
	v_lshrrev_b16_e32 v8, 8, v8
	v_cmp_lt_i16_e64 s[0:1], s19, v8
	s_mov_b64 s[10:11], 0
                                        ; implicit-def: $sgpr31
	s_and_saveexec_b64 s[12:13], s[0:1]
	s_xor_b64 s[12:13], exec, s[12:13]
	s_cbranch_execnz .LBB301_487
; %bb.354:                              ;   in Loop: Header=BB301_299 Depth=1
	s_or_saveexec_b64 s[12:13], s[12:13]
	v_mov_b32_e32 v41, s31
	s_xor_b64 exec, exec, s[12:13]
	s_cbranch_execnz .LBB301_490
.LBB301_355:                            ;   in Loop: Header=BB301_299 Depth=1
	s_or_b64 exec, exec, s[12:13]
	s_and_saveexec_b64 s[12:13], s[10:11]
	s_cbranch_execz .LBB301_357
.LBB301_356:                            ;   in Loop: Header=BB301_299 Depth=1
	v_and_b32_e32 v41, 7, v8
	v_ffbh_u32_e32 v42, v41
	v_min_u32_e32 v45, 32, v42
	v_subrev_u32_e32 v42, 28, v45
	v_bfe_u32 v44, v8, 3, 4
	v_lshlrev_b64 v[42:43], v42, v[8:9]
	v_sub_u32_e32 v43, 29, v45
	v_cmp_eq_u32_e64 s[0:1], 0, v44
	v_and_b32_e32 v42, 7, v42
	v_lshlrev_b32_e32 v8, 8, v8
	v_cndmask_b32_e64 v43, v44, v43, s[0:1]
	v_cndmask_b32_e64 v41, v41, v42, s[0:1]
	v_lshl_add_u32 v42, v43, 10, v3
	v_and_or_b32 v8, v8, s21, v42
	v_lshl_or_b32 v8, v41, 7, v8
	v_cvt_f32_f16_e32 v41, v8
.LBB301_357:                            ;   in Loop: Header=BB301_299 Depth=1
	s_or_b64 exec, exec, s[12:13]
	v_lshrrev_b32_e32 v8, 16, v19
	v_cmp_gt_i16_sdwa s[10:11], v8, s19 src0_sel:BYTE_0 src1_sel:DWORD
	s_mov_b64 s[0:1], 0
                                        ; implicit-def: $sgpr16
	s_and_saveexec_b64 s[12:13], s[10:11]
	s_xor_b64 s[10:11], exec, s[12:13]
	s_cbranch_execnz .LBB301_491
; %bb.358:                              ;   in Loop: Header=BB301_299 Depth=1
	s_or_saveexec_b64 s[10:11], s[10:11]
	v_mov_b32_e32 v42, s16
	s_xor_b64 exec, exec, s[10:11]
	s_cbranch_execnz .LBB301_494
.LBB301_359:                            ;   in Loop: Header=BB301_299 Depth=1
	s_or_b64 exec, exec, s[10:11]
	s_and_saveexec_b64 s[10:11], s[0:1]
	s_cbranch_execz .LBB301_361
.LBB301_360:                            ;   in Loop: Header=BB301_299 Depth=1
	v_bfe_u32 v44, v19, 16, 3
	v_ffbh_u32_e32 v42, v44
	v_min_u32_e32 v46, 32, v42
	v_subrev_u32_e32 v42, 28, v46
	v_bfe_u32 v45, v19, 19, 4
	v_lshlrev_b64 v[42:43], v42, v[8:9]
	v_sub_u32_e32 v43, 29, v46
	v_cmp_eq_u32_e64 s[0:1], 0, v45
	v_and_b32_e32 v42, 7, v42
	v_lshlrev_b32_e32 v8, 8, v8
	v_cndmask_b32_e64 v43, v45, v43, s[0:1]
	v_lshl_add_u32 v43, v43, 10, v3
	v_cndmask_b32_e64 v42, v44, v42, s[0:1]
	v_and_or_b32 v8, v8, s21, v43
	v_lshl_or_b32 v8, v42, 7, v8
	v_cvt_f32_f16_e32 v42, v8
.LBB301_361:                            ;   in Loop: Header=BB301_299 Depth=1
	s_or_b64 exec, exec, s[10:11]
	v_lshrrev_b32_e32 v8, 24, v19
	v_cmp_lt_i16_e64 s[0:1], s19, v8
	s_mov_b64 s[10:11], 0
                                        ; implicit-def: $sgpr31
	s_and_saveexec_b64 s[12:13], s[0:1]
	s_xor_b64 s[12:13], exec, s[12:13]
	s_cbranch_execnz .LBB301_495
; %bb.362:                              ;   in Loop: Header=BB301_299 Depth=1
	s_or_saveexec_b64 s[12:13], s[12:13]
	v_mov_b32_e32 v43, s31
	s_xor_b64 exec, exec, s[12:13]
	s_cbranch_execnz .LBB301_498
.LBB301_363:                            ;   in Loop: Header=BB301_299 Depth=1
	s_or_b64 exec, exec, s[12:13]
	s_and_saveexec_b64 s[12:13], s[10:11]
	s_cbranch_execz .LBB301_365
.LBB301_364:                            ;   in Loop: Header=BB301_299 Depth=1
	v_bfe_u32 v43, v19, 24, 3
	v_ffbh_u32_e32 v44, v43
	v_min_u32_e32 v46, 32, v44
	v_subrev_u32_e32 v44, 28, v46
	v_bfe_u32 v19, v19, 27, 4
	v_lshlrev_b64 v[44:45], v44, v[8:9]
	v_sub_u32_e32 v45, 29, v46
	v_cmp_eq_u32_e64 s[0:1], 0, v19
	v_and_b32_e32 v44, 7, v44
	v_lshlrev_b32_e32 v8, 8, v8
	v_cndmask_b32_e64 v19, v19, v45, s[0:1]
	v_lshl_add_u32 v19, v19, 10, v3
	v_cndmask_b32_e64 v43, v43, v44, s[0:1]
	v_and_or_b32 v8, v8, s21, v19
	v_lshl_or_b32 v8, v43, 7, v8
	v_cvt_f32_f16_e32 v43, v8
.LBB301_365:                            ;   in Loop: Header=BB301_299 Depth=1
	s_or_b64 exec, exec, s[12:13]
	s_waitcnt vmcnt(0)
	v_pk_mul_f32 v[22:23], v[16:17], v[22:23] op_sel_hi:[0,1]
	v_pk_mul_f32 v[20:21], v[16:17], v[20:21] op_sel_hi:[0,1]
	v_cvt_f16_f32_e32 v8, v23
	v_cvt_f16_f32_e32 v19, v22
	;; [unrolled: 1-line block ×4, first 2 shown]
	v_fma_mixlo_f16 v18, v16, v18, 0
	v_pack_b32_f16 v19, v19, v8
	v_pack_b32_f16 v20, v20, v21
	v_perm_b32 v8, v20, v19, s23
	v_perm_b32 v19, v20, v19, s28
	v_fma_mixlo_f16 v20, v16, v41, 0
	v_lshlrev_b32_e32 v20, 16, v20
	v_or_b32_sdwa v18, v20, v18 dst_sel:DWORD dst_unused:UNUSED_PAD src0_sel:DWORD src1_sel:WORD_0
	v_fma_mixlo_f16 v20, v16, v42, 0
	v_fma_mixlo_f16 v16, v16, v43, 0
	v_lshlrev_b32_e32 v16, 16, v16
	v_or_b32_sdwa v16, v16, v20 dst_sel:DWORD dst_unused:UNUSED_PAD src0_sel:DWORD src1_sel:WORD_0
	s_and_saveexec_b64 s[10:11], vcc
	s_cbranch_execz .LBB301_367
; %bb.366:                              ;   in Loop: Header=BB301_299 Depth=1
	v_lshrrev_b32_e32 v21, 16, v19
	v_cmp_gt_i32_e64 s[0:1], s18, v34
	v_lshrrev_b32_e32 v16, 16, v16
	s_nop 0
	v_cndmask_b32_e64 v21, 0, v21, s[0:1]
	v_cmp_gt_i32_e64 s[0:1], s29, v26
	s_nop 1
	v_cndmask_b32_e64 v19, 0, v19, s[0:1]
	v_perm_b32 v19, v21, v19, s30
	v_lshrrev_b32_e32 v21, 16, v8
	v_cmp_gt_i32_e64 s[0:1], s18, v33
	s_nop 1
	v_cndmask_b32_e64 v21, 0, v21, s[0:1]
	v_cmp_gt_i32_e64 s[0:1], s29, v32
	s_nop 1
	v_cndmask_b32_e64 v8, 0, v8, s[0:1]
	v_perm_b32 v8, v21, v8, s30
	v_lshrrev_b32_e32 v21, 16, v18
	v_cmp_gt_i32_e64 s[0:1], s18, v31
	s_nop 1
	v_cndmask_b32_e64 v21, 0, v21, s[0:1]
	v_cmp_gt_i32_e64 s[0:1], s29, v30
	s_nop 1
	v_cndmask_b32_e64 v18, 0, v18, s[0:1]
	v_cmp_gt_i32_e64 s[0:1], s18, v29
	v_perm_b32 v18, v21, v18, s30
	s_nop 0
	v_cndmask_b32_e64 v16, 0, v16, s[0:1]
	v_cmp_gt_i32_e64 s[0:1], s29, v28
	s_nop 1
	v_cndmask_b32_e64 v20, 0, v20, s[0:1]
	v_perm_b32 v16, v16, v20, s30
.LBB301_367:                            ;   in Loop: Header=BB301_299 Depth=1
	s_or_b64 exec, exec, s[10:11]
	;;#ASMSTART
	v_pk_mul_f16 v19, v35, v19;

	;;#ASMEND
	;;#ASMSTART
	v_pk_mul_f16 v8, v36, v8;

	;;#ASMEND
	;; [unrolled: 4-line block ×4, first 2 shown]
	s_mov_b64 s[0:1], 0
	;;#ASMSTART
	v_pk_add_f16 v8, v19, v8;

	;;#ASMEND
                                        ; implicit-def: $sgpr16
	s_nop 0
	;;#ASMSTART
	v_pk_add_f16 v8, v8, v18;

	;;#ASMEND
	s_nop 0
	;;#ASMSTART
	v_pk_add_f16 v8, v8, v16;

	;;#ASMEND
	s_nop 0
	v_lshrrev_b32_e32 v16, 16, v8
	v_and_b32_e32 v8, 0xffff, v8
	;;#ASMSTART
	v_cvt_f32_f16 v41, v8;
	;;#ASMEND
	;;#ASMSTART
	v_cvt_f32_f16 v42, v16;
	;;#ASMEND
	global_load_dwordx2 v[18:19], v[14:15], off offset:1024
	global_load_dword v16, v9, s[14:15]
	s_waitcnt vmcnt(1)
	v_cmp_gt_i16_sdwa s[10:11], v18, s19 src0_sel:BYTE_0 src1_sel:DWORD
	s_and_saveexec_b64 s[12:13], s[10:11]
	s_xor_b64 s[10:11], exec, s[12:13]
	s_cbranch_execnz .LBB301_499
; %bb.368:                              ;   in Loop: Header=BB301_299 Depth=1
	s_or_saveexec_b64 s[10:11], s[10:11]
	v_mov_b32_e32 v20, s16
	s_xor_b64 exec, exec, s[10:11]
	s_cbranch_execnz .LBB301_502
.LBB301_369:                            ;   in Loop: Header=BB301_299 Depth=1
	s_or_b64 exec, exec, s[10:11]
	s_and_saveexec_b64 s[10:11], s[0:1]
	s_cbranch_execz .LBB301_371
.LBB301_370:                            ;   in Loop: Header=BB301_299 Depth=1
	v_and_b32_e32 v8, 7, v18
	v_ffbh_u32_e32 v8, v8
	v_bfe_u32 v20, v18, 3, 4
	v_min_u32_e32 v8, 32, v8
	v_subrev_u32_e32 v21, 28, v8
	v_sub_u32_e32 v8, 29, v8
	v_cmp_eq_u32_e64 s[0:1], 0, v20
	s_nop 1
	v_cndmask_b32_e64 v8, v20, v8, s[0:1]
	v_cndmask_b32_e64 v20, 0, v21, s[0:1]
	v_lshlrev_b64 v[20:21], v20, v[18:19]
	v_lshlrev_b32_e32 v21, 8, v18
	v_lshl_add_u32 v8, v8, 10, v3
	v_lshlrev_b32_e32 v20, 7, v20
	v_and_or_b32 v8, v21, s21, v8
	v_and_or_b32 v8, v20, s22, v8
	v_cvt_f32_f16_e32 v20, v8
.LBB301_371:                            ;   in Loop: Header=BB301_299 Depth=1
	s_or_b64 exec, exec, s[10:11]
	v_lshrrev_b16_e32 v8, 8, v18
	v_cmp_lt_i16_e64 s[0:1], s19, v8
	s_mov_b64 s[10:11], 0
                                        ; implicit-def: $sgpr31
	s_and_saveexec_b64 s[12:13], s[0:1]
	s_xor_b64 s[12:13], exec, s[12:13]
	s_cbranch_execnz .LBB301_503
; %bb.372:                              ;   in Loop: Header=BB301_299 Depth=1
	s_or_saveexec_b64 s[12:13], s[12:13]
	v_mov_b32_e32 v22, s31
	s_xor_b64 exec, exec, s[12:13]
	s_cbranch_execnz .LBB301_506
.LBB301_373:                            ;   in Loop: Header=BB301_299 Depth=1
	s_or_b64 exec, exec, s[12:13]
	s_and_saveexec_b64 s[12:13], s[10:11]
	s_cbranch_execz .LBB301_375
.LBB301_374:                            ;   in Loop: Header=BB301_299 Depth=1
	v_and_b32_e32 v21, 7, v8
	v_ffbh_u32_e32 v22, v21
	v_min_u32_e32 v44, 32, v22
	v_subrev_u32_e32 v22, 28, v44
	v_bfe_u32 v43, v8, 3, 4
	v_lshlrev_b64 v[22:23], v22, v[8:9]
	v_sub_u32_e32 v23, 29, v44
	v_cmp_eq_u32_e64 s[0:1], 0, v43
	v_and_b32_e32 v22, 7, v22
	v_lshlrev_b32_e32 v8, 8, v8
	v_cndmask_b32_e64 v23, v43, v23, s[0:1]
	v_cndmask_b32_e64 v21, v21, v22, s[0:1]
	v_lshl_add_u32 v22, v23, 10, v3
	v_and_or_b32 v8, v8, s21, v22
	v_lshl_or_b32 v8, v21, 7, v8
	v_cvt_f32_f16_e32 v22, v8
.LBB301_375:                            ;   in Loop: Header=BB301_299 Depth=1
	s_or_b64 exec, exec, s[12:13]
	v_lshrrev_b32_e32 v8, 16, v18
	v_cmp_gt_i16_sdwa s[10:11], v8, s19 src0_sel:BYTE_0 src1_sel:DWORD
	s_mov_b64 s[0:1], 0
                                        ; implicit-def: $sgpr16
	s_and_saveexec_b64 s[12:13], s[10:11]
	s_xor_b64 s[10:11], exec, s[12:13]
	s_cbranch_execnz .LBB301_507
; %bb.376:                              ;   in Loop: Header=BB301_299 Depth=1
	s_or_saveexec_b64 s[10:11], s[10:11]
	v_mov_b32_e32 v21, s16
	s_xor_b64 exec, exec, s[10:11]
	s_cbranch_execnz .LBB301_510
.LBB301_377:                            ;   in Loop: Header=BB301_299 Depth=1
	s_or_b64 exec, exec, s[10:11]
	s_and_saveexec_b64 s[10:11], s[0:1]
	s_cbranch_execz .LBB301_379
.LBB301_378:                            ;   in Loop: Header=BB301_299 Depth=1
	v_bfe_u32 v21, v18, 16, 3
	v_ffbh_u32_e32 v43, v21
	v_bfe_u32 v23, v18, 19, 4
	v_min_u32_e32 v43, 32, v43
	v_subrev_u32_e32 v44, 28, v43
	v_sub_u32_e32 v43, 29, v43
	v_cmp_eq_u32_e64 s[0:1], 0, v23
	v_lshlrev_b64 v[44:45], v44, v[8:9]
	v_and_b32_e32 v44, 7, v44
	v_cndmask_b32_e64 v23, v23, v43, s[0:1]
	v_lshlrev_b32_e32 v8, 8, v8
	v_lshl_add_u32 v23, v23, 10, v3
	v_cndmask_b32_e64 v21, v21, v44, s[0:1]
	v_and_or_b32 v8, v8, s21, v23
	v_lshl_or_b32 v8, v21, 7, v8
	v_cvt_f32_f16_e32 v21, v8
.LBB301_379:                            ;   in Loop: Header=BB301_299 Depth=1
	s_or_b64 exec, exec, s[10:11]
	v_lshrrev_b32_e32 v8, 24, v18
	v_cmp_lt_i16_e64 s[0:1], s19, v8
	s_mov_b64 s[10:11], 0
                                        ; implicit-def: $sgpr31
	s_and_saveexec_b64 s[12:13], s[0:1]
	s_xor_b64 s[12:13], exec, s[12:13]
	s_cbranch_execnz .LBB301_511
; %bb.380:                              ;   in Loop: Header=BB301_299 Depth=1
	s_or_saveexec_b64 s[12:13], s[12:13]
	v_mov_b32_e32 v23, s31
	s_xor_b64 exec, exec, s[12:13]
	s_cbranch_execnz .LBB301_514
.LBB301_381:                            ;   in Loop: Header=BB301_299 Depth=1
	s_or_b64 exec, exec, s[12:13]
	s_and_saveexec_b64 s[12:13], s[10:11]
	s_cbranch_execz .LBB301_383
.LBB301_382:                            ;   in Loop: Header=BB301_299 Depth=1
	v_bfe_u32 v23, v18, 24, 3
	v_ffbh_u32_e32 v43, v23
	v_bfe_u32 v18, v18, 27, 4
	v_min_u32_e32 v43, 32, v43
	v_subrev_u32_e32 v44, 28, v43
	v_sub_u32_e32 v43, 29, v43
	v_cmp_eq_u32_e64 s[0:1], 0, v18
	v_lshlrev_b64 v[44:45], v44, v[8:9]
	v_and_b32_e32 v44, 7, v44
	v_cndmask_b32_e64 v18, v18, v43, s[0:1]
	v_lshlrev_b32_e32 v8, 8, v8
	v_lshl_add_u32 v18, v18, 10, v3
	v_cndmask_b32_e64 v23, v23, v44, s[0:1]
	v_and_or_b32 v8, v8, s21, v18
	v_lshl_or_b32 v8, v23, 7, v8
	v_cvt_f32_f16_e32 v23, v8
.LBB301_383:                            ;   in Loop: Header=BB301_299 Depth=1
	s_or_b64 exec, exec, s[12:13]
	v_cmp_gt_i16_sdwa s[10:11], v19, s19 src0_sel:BYTE_0 src1_sel:DWORD
	s_mov_b64 s[0:1], 0
                                        ; implicit-def: $sgpr16
	s_and_saveexec_b64 s[12:13], s[10:11]
	s_xor_b64 s[10:11], exec, s[12:13]
	s_cbranch_execnz .LBB301_515
; %bb.384:                              ;   in Loop: Header=BB301_299 Depth=1
	s_or_saveexec_b64 s[10:11], s[10:11]
	v_mov_b32_e32 v18, s16
	s_xor_b64 exec, exec, s[10:11]
	s_cbranch_execnz .LBB301_518
.LBB301_385:                            ;   in Loop: Header=BB301_299 Depth=1
	s_or_b64 exec, exec, s[10:11]
	v_mov_b32_e32 v8, v19
	s_and_saveexec_b64 s[10:11], s[0:1]
	s_cbranch_execz .LBB301_387
.LBB301_386:                            ;   in Loop: Header=BB301_299 Depth=1
	v_and_b32_e32 v18, 7, v19
	v_ffbh_u32_e32 v18, v18
	v_bfe_u32 v43, v19, 3, 4
	v_min_u32_e32 v18, 32, v18
	v_subrev_u32_e32 v44, 28, v18
	v_sub_u32_e32 v18, 29, v18
	v_cmp_eq_u32_e64 s[0:1], 0, v43
	s_nop 1
	v_cndmask_b32_e64 v18, v43, v18, s[0:1]
	v_cndmask_b32_e64 v43, 0, v44, s[0:1]
	v_lshlrev_b64 v[44:45], v43, v[8:9]
	v_lshlrev_b32_e32 v43, 7, v44
	v_lshlrev_b32_e32 v44, 8, v19
	v_lshl_add_u32 v18, v18, 10, v3
	v_and_or_b32 v18, v44, s21, v18
	v_and_or_b32 v18, v43, s22, v18
	v_cvt_f32_f16_e32 v18, v18
.LBB301_387:                            ;   in Loop: Header=BB301_299 Depth=1
	s_or_b64 exec, exec, s[10:11]
	v_lshrrev_b16_e32 v8, 8, v8
	v_cmp_lt_i16_e64 s[0:1], s19, v8
	s_mov_b64 s[10:11], 0
                                        ; implicit-def: $sgpr31
	s_and_saveexec_b64 s[12:13], s[0:1]
	s_xor_b64 s[12:13], exec, s[12:13]
	s_cbranch_execnz .LBB301_519
; %bb.388:                              ;   in Loop: Header=BB301_299 Depth=1
	s_or_saveexec_b64 s[12:13], s[12:13]
	v_mov_b32_e32 v43, s31
	s_xor_b64 exec, exec, s[12:13]
	s_cbranch_execnz .LBB301_522
.LBB301_389:                            ;   in Loop: Header=BB301_299 Depth=1
	s_or_b64 exec, exec, s[12:13]
	s_and_saveexec_b64 s[12:13], s[10:11]
	s_cbranch_execz .LBB301_391
.LBB301_390:                            ;   in Loop: Header=BB301_299 Depth=1
	v_and_b32_e32 v43, 7, v8
	v_ffbh_u32_e32 v44, v43
	v_min_u32_e32 v47, 32, v44
	v_subrev_u32_e32 v44, 28, v47
	v_bfe_u32 v46, v8, 3, 4
	v_lshlrev_b64 v[44:45], v44, v[8:9]
	v_sub_u32_e32 v45, 29, v47
	v_cmp_eq_u32_e64 s[0:1], 0, v46
	v_and_b32_e32 v44, 7, v44
	v_lshlrev_b32_e32 v8, 8, v8
	v_cndmask_b32_e64 v45, v46, v45, s[0:1]
	v_cndmask_b32_e64 v43, v43, v44, s[0:1]
	v_lshl_add_u32 v44, v45, 10, v3
	v_and_or_b32 v8, v8, s21, v44
	v_lshl_or_b32 v8, v43, 7, v8
	v_cvt_f32_f16_e32 v43, v8
.LBB301_391:                            ;   in Loop: Header=BB301_299 Depth=1
	s_or_b64 exec, exec, s[12:13]
	v_lshrrev_b32_e32 v8, 16, v19
	v_cmp_gt_i16_sdwa s[10:11], v8, s19 src0_sel:BYTE_0 src1_sel:DWORD
	s_mov_b64 s[0:1], 0
                                        ; implicit-def: $sgpr16
	s_and_saveexec_b64 s[12:13], s[10:11]
	s_xor_b64 s[10:11], exec, s[12:13]
	s_cbranch_execnz .LBB301_523
; %bb.392:                              ;   in Loop: Header=BB301_299 Depth=1
	s_or_saveexec_b64 s[10:11], s[10:11]
	v_mov_b32_e32 v44, s16
	s_xor_b64 exec, exec, s[10:11]
	s_cbranch_execnz .LBB301_526
.LBB301_393:                            ;   in Loop: Header=BB301_299 Depth=1
	s_or_b64 exec, exec, s[10:11]
	s_and_saveexec_b64 s[10:11], s[0:1]
	s_cbranch_execz .LBB301_395
.LBB301_394:                            ;   in Loop: Header=BB301_299 Depth=1
	v_bfe_u32 v46, v19, 16, 3
	v_ffbh_u32_e32 v44, v46
	v_min_u32_e32 v48, 32, v44
	v_subrev_u32_e32 v44, 28, v48
	v_bfe_u32 v47, v19, 19, 4
	v_lshlrev_b64 v[44:45], v44, v[8:9]
	v_sub_u32_e32 v45, 29, v48
	v_cmp_eq_u32_e64 s[0:1], 0, v47
	v_and_b32_e32 v44, 7, v44
	v_lshlrev_b32_e32 v8, 8, v8
	v_cndmask_b32_e64 v45, v47, v45, s[0:1]
	v_lshl_add_u32 v45, v45, 10, v3
	v_cndmask_b32_e64 v44, v46, v44, s[0:1]
	v_and_or_b32 v8, v8, s21, v45
	v_lshl_or_b32 v8, v44, 7, v8
	v_cvt_f32_f16_e32 v44, v8
.LBB301_395:                            ;   in Loop: Header=BB301_299 Depth=1
	s_or_b64 exec, exec, s[10:11]
	v_lshrrev_b32_e32 v8, 24, v19
	v_cmp_lt_i16_e64 s[0:1], s19, v8
	s_mov_b64 s[10:11], 0
                                        ; implicit-def: $sgpr31
	s_and_saveexec_b64 s[12:13], s[0:1]
	s_xor_b64 s[12:13], exec, s[12:13]
	s_cbranch_execnz .LBB301_527
; %bb.396:                              ;   in Loop: Header=BB301_299 Depth=1
	s_or_saveexec_b64 s[12:13], s[12:13]
	v_mov_b32_e32 v45, s31
	s_xor_b64 exec, exec, s[12:13]
	s_cbranch_execnz .LBB301_530
.LBB301_397:                            ;   in Loop: Header=BB301_299 Depth=1
	s_or_b64 exec, exec, s[12:13]
	s_and_saveexec_b64 s[12:13], s[10:11]
	s_cbranch_execz .LBB301_399
.LBB301_398:                            ;   in Loop: Header=BB301_299 Depth=1
	v_bfe_u32 v45, v19, 24, 3
	v_ffbh_u32_e32 v46, v45
	v_min_u32_e32 v48, 32, v46
	v_subrev_u32_e32 v46, 28, v48
	v_bfe_u32 v19, v19, 27, 4
	v_lshlrev_b64 v[46:47], v46, v[8:9]
	v_sub_u32_e32 v47, 29, v48
	v_cmp_eq_u32_e64 s[0:1], 0, v19
	v_and_b32_e32 v46, 7, v46
	v_lshlrev_b32_e32 v8, 8, v8
	v_cndmask_b32_e64 v19, v19, v47, s[0:1]
	v_lshl_add_u32 v19, v19, 10, v3
	v_cndmask_b32_e64 v45, v45, v46, s[0:1]
	v_and_or_b32 v8, v8, s21, v19
	v_lshl_or_b32 v8, v45, 7, v8
	v_cvt_f32_f16_e32 v45, v8
.LBB301_399:                            ;   in Loop: Header=BB301_299 Depth=1
	s_or_b64 exec, exec, s[12:13]
	s_waitcnt vmcnt(0)
	v_pk_mul_f32 v[22:23], v[16:17], v[22:23] op_sel_hi:[0,1]
	v_pk_mul_f32 v[20:21], v[16:17], v[20:21] op_sel_hi:[0,1]
	v_cvt_f16_f32_e32 v8, v23
	v_cvt_f16_f32_e32 v19, v22
	;; [unrolled: 1-line block ×4, first 2 shown]
	v_fma_mixlo_f16 v18, v16, v18, 0
	v_pack_b32_f16 v19, v19, v8
	v_pack_b32_f16 v20, v20, v21
	v_perm_b32 v8, v20, v19, s23
	v_perm_b32 v19, v20, v19, s28
	v_fma_mixlo_f16 v20, v16, v43, 0
	v_lshlrev_b32_e32 v20, 16, v20
	v_or_b32_sdwa v18, v20, v18 dst_sel:DWORD dst_unused:UNUSED_PAD src0_sel:DWORD src1_sel:WORD_0
	v_fma_mixlo_f16 v20, v16, v44, 0
	v_fma_mixlo_f16 v16, v16, v45, 0
	v_lshlrev_b32_e32 v16, 16, v16
	v_or_b32_sdwa v16, v16, v20 dst_sel:DWORD dst_unused:UNUSED_PAD src0_sel:DWORD src1_sel:WORD_0
	s_and_saveexec_b64 s[10:11], vcc
	s_cbranch_execz .LBB301_401
; %bb.400:                              ;   in Loop: Header=BB301_299 Depth=1
	v_lshrrev_b32_e32 v21, 16, v19
	v_cmp_gt_i32_e64 s[0:1], s18, v34
	v_lshrrev_b32_e32 v16, 16, v16
	s_nop 0
	v_cndmask_b32_e64 v21, 0, v21, s[0:1]
	v_cmp_gt_i32_e64 s[0:1], s29, v26
	s_nop 1
	v_cndmask_b32_e64 v19, 0, v19, s[0:1]
	v_perm_b32 v19, v21, v19, s30
	v_lshrrev_b32_e32 v21, 16, v8
	v_cmp_gt_i32_e64 s[0:1], s18, v33
	s_nop 1
	v_cndmask_b32_e64 v21, 0, v21, s[0:1]
	v_cmp_gt_i32_e64 s[0:1], s29, v32
	s_nop 1
	v_cndmask_b32_e64 v8, 0, v8, s[0:1]
	v_perm_b32 v8, v21, v8, s30
	v_lshrrev_b32_e32 v21, 16, v18
	v_cmp_gt_i32_e64 s[0:1], s18, v31
	s_nop 1
	v_cndmask_b32_e64 v21, 0, v21, s[0:1]
	v_cmp_gt_i32_e64 s[0:1], s29, v30
	s_nop 1
	v_cndmask_b32_e64 v18, 0, v18, s[0:1]
	v_cmp_gt_i32_e64 s[0:1], s18, v29
	v_perm_b32 v18, v21, v18, s30
	s_nop 0
	v_cndmask_b32_e64 v16, 0, v16, s[0:1]
	v_cmp_gt_i32_e64 s[0:1], s29, v28
	s_nop 1
	v_cndmask_b32_e64 v20, 0, v20, s[0:1]
	v_perm_b32 v16, v16, v20, s30
.LBB301_401:                            ;   in Loop: Header=BB301_299 Depth=1
	s_or_b64 exec, exec, s[10:11]
	;;#ASMSTART
	v_pk_mul_f16 v19, v35, v19;

	;;#ASMEND
	;;#ASMSTART
	v_pk_mul_f16 v8, v36, v8;

	;;#ASMEND
	;; [unrolled: 4-line block ×4, first 2 shown]
	s_mov_b64 s[0:1], 0
	;;#ASMSTART
	v_pk_add_f16 v8, v19, v8;

	;;#ASMEND
                                        ; implicit-def: $sgpr16
	s_nop 0
	;;#ASMSTART
	v_pk_add_f16 v8, v8, v18;

	;;#ASMEND
	s_nop 0
	;;#ASMSTART
	v_pk_add_f16 v8, v8, v16;

	;;#ASMEND
	s_nop 0
	v_lshrrev_b32_e32 v16, 16, v8
	v_and_b32_e32 v8, 0xffff, v8
	;;#ASMSTART
	v_cvt_f32_f16 v22, v8;
	;;#ASMEND
	;;#ASMSTART
	v_cvt_f32_f16 v23, v16;
	;;#ASMEND
	global_load_dwordx2 v[18:19], v[14:15], off offset:1536
	global_load_dword v16, v9, s[14:15]
	s_waitcnt vmcnt(1)
	v_cmp_gt_i16_sdwa s[10:11], v18, s19 src0_sel:BYTE_0 src1_sel:DWORD
	s_and_saveexec_b64 s[12:13], s[10:11]
	s_xor_b64 s[10:11], exec, s[12:13]
	s_cbranch_execnz .LBB301_531
; %bb.402:                              ;   in Loop: Header=BB301_299 Depth=1
	s_or_saveexec_b64 s[10:11], s[10:11]
	v_mov_b32_e32 v14, s16
	s_xor_b64 exec, exec, s[10:11]
	s_cbranch_execnz .LBB301_534
.LBB301_403:                            ;   in Loop: Header=BB301_299 Depth=1
	s_or_b64 exec, exec, s[10:11]
	s_and_saveexec_b64 s[10:11], s[0:1]
	s_cbranch_execz .LBB301_405
.LBB301_404:                            ;   in Loop: Header=BB301_299 Depth=1
	v_and_b32_e32 v8, 7, v18
	v_ffbh_u32_e32 v8, v8
	v_bfe_u32 v14, v18, 3, 4
	v_min_u32_e32 v8, 32, v8
	v_subrev_u32_e32 v15, 28, v8
	v_sub_u32_e32 v8, 29, v8
	v_cmp_eq_u32_e64 s[0:1], 0, v14
	s_nop 1
	v_cndmask_b32_e64 v8, v14, v8, s[0:1]
	v_cndmask_b32_e64 v14, 0, v15, s[0:1]
	v_lshlrev_b64 v[14:15], v14, v[18:19]
	v_lshlrev_b32_e32 v15, 8, v18
	v_lshl_add_u32 v8, v8, 10, v3
	v_lshlrev_b32_e32 v14, 7, v14
	v_and_or_b32 v8, v15, s21, v8
	v_and_or_b32 v8, v14, s22, v8
	v_cvt_f32_f16_e32 v14, v8
.LBB301_405:                            ;   in Loop: Header=BB301_299 Depth=1
	s_or_b64 exec, exec, s[10:11]
	v_lshrrev_b16_e32 v8, 8, v18
	v_cmp_lt_i16_e64 s[0:1], s19, v8
	s_mov_b64 s[10:11], 0
                                        ; implicit-def: $sgpr31
	s_and_saveexec_b64 s[12:13], s[0:1]
	s_xor_b64 s[12:13], exec, s[12:13]
	s_cbranch_execnz .LBB301_535
; %bb.406:                              ;   in Loop: Header=BB301_299 Depth=1
	s_or_saveexec_b64 s[12:13], s[12:13]
	v_mov_b32_e32 v20, s31
	s_xor_b64 exec, exec, s[12:13]
	s_cbranch_execnz .LBB301_538
.LBB301_407:                            ;   in Loop: Header=BB301_299 Depth=1
	s_or_b64 exec, exec, s[12:13]
	s_and_saveexec_b64 s[12:13], s[10:11]
	s_cbranch_execz .LBB301_409
.LBB301_408:                            ;   in Loop: Header=BB301_299 Depth=1
	v_and_b32_e32 v15, 7, v8
	v_ffbh_u32_e32 v20, v15
	v_min_u32_e32 v44, 32, v20
	v_subrev_u32_e32 v20, 28, v44
	v_bfe_u32 v43, v8, 3, 4
	v_lshlrev_b64 v[20:21], v20, v[8:9]
	v_sub_u32_e32 v21, 29, v44
	v_cmp_eq_u32_e64 s[0:1], 0, v43
	v_and_b32_e32 v20, 7, v20
	v_lshlrev_b32_e32 v8, 8, v8
	v_cndmask_b32_e64 v21, v43, v21, s[0:1]
	v_cndmask_b32_e64 v15, v15, v20, s[0:1]
	v_lshl_add_u32 v20, v21, 10, v3
	v_and_or_b32 v8, v8, s21, v20
	v_lshl_or_b32 v8, v15, 7, v8
	v_cvt_f32_f16_e32 v20, v8
.LBB301_409:                            ;   in Loop: Header=BB301_299 Depth=1
	s_or_b64 exec, exec, s[12:13]
	v_lshrrev_b32_e32 v8, 16, v18
	v_cmp_gt_i16_sdwa s[10:11], v8, s19 src0_sel:BYTE_0 src1_sel:DWORD
	s_mov_b64 s[0:1], 0
                                        ; implicit-def: $sgpr16
	s_and_saveexec_b64 s[12:13], s[10:11]
	s_xor_b64 s[10:11], exec, s[12:13]
	s_cbranch_execnz .LBB301_539
; %bb.410:                              ;   in Loop: Header=BB301_299 Depth=1
	s_or_saveexec_b64 s[10:11], s[10:11]
	v_mov_b32_e32 v15, s16
	s_xor_b64 exec, exec, s[10:11]
	s_cbranch_execnz .LBB301_542
.LBB301_411:                            ;   in Loop: Header=BB301_299 Depth=1
	s_or_b64 exec, exec, s[10:11]
	s_and_saveexec_b64 s[10:11], s[0:1]
	s_cbranch_execz .LBB301_413
.LBB301_412:                            ;   in Loop: Header=BB301_299 Depth=1
	v_bfe_u32 v15, v18, 16, 3
	v_ffbh_u32_e32 v43, v15
	v_bfe_u32 v21, v18, 19, 4
	v_min_u32_e32 v43, 32, v43
	v_subrev_u32_e32 v44, 28, v43
	v_sub_u32_e32 v43, 29, v43
	v_cmp_eq_u32_e64 s[0:1], 0, v21
	v_lshlrev_b64 v[44:45], v44, v[8:9]
	v_and_b32_e32 v44, 7, v44
	v_cndmask_b32_e64 v21, v21, v43, s[0:1]
	v_lshlrev_b32_e32 v8, 8, v8
	v_lshl_add_u32 v21, v21, 10, v3
	v_cndmask_b32_e64 v15, v15, v44, s[0:1]
	v_and_or_b32 v8, v8, s21, v21
	v_lshl_or_b32 v8, v15, 7, v8
	v_cvt_f32_f16_e32 v15, v8
.LBB301_413:                            ;   in Loop: Header=BB301_299 Depth=1
	s_or_b64 exec, exec, s[10:11]
	v_lshrrev_b32_e32 v8, 24, v18
	v_cmp_lt_i16_e64 s[0:1], s19, v8
	s_mov_b64 s[10:11], 0
                                        ; implicit-def: $sgpr31
	s_and_saveexec_b64 s[12:13], s[0:1]
	s_xor_b64 s[12:13], exec, s[12:13]
	s_cbranch_execnz .LBB301_543
; %bb.414:                              ;   in Loop: Header=BB301_299 Depth=1
	s_or_saveexec_b64 s[12:13], s[12:13]
	v_mov_b32_e32 v21, s31
	s_xor_b64 exec, exec, s[12:13]
	s_cbranch_execnz .LBB301_546
.LBB301_415:                            ;   in Loop: Header=BB301_299 Depth=1
	s_or_b64 exec, exec, s[12:13]
	s_and_saveexec_b64 s[12:13], s[10:11]
	s_cbranch_execz .LBB301_417
.LBB301_416:                            ;   in Loop: Header=BB301_299 Depth=1
	v_bfe_u32 v21, v18, 24, 3
	v_ffbh_u32_e32 v43, v21
	v_bfe_u32 v18, v18, 27, 4
	v_min_u32_e32 v43, 32, v43
	v_subrev_u32_e32 v44, 28, v43
	v_sub_u32_e32 v43, 29, v43
	v_cmp_eq_u32_e64 s[0:1], 0, v18
	v_lshlrev_b64 v[44:45], v44, v[8:9]
	v_and_b32_e32 v44, 7, v44
	v_cndmask_b32_e64 v18, v18, v43, s[0:1]
	v_lshlrev_b32_e32 v8, 8, v8
	v_lshl_add_u32 v18, v18, 10, v3
	v_cndmask_b32_e64 v21, v21, v44, s[0:1]
	v_and_or_b32 v8, v8, s21, v18
	v_lshl_or_b32 v8, v21, 7, v8
	v_cvt_f32_f16_e32 v21, v8
.LBB301_417:                            ;   in Loop: Header=BB301_299 Depth=1
	s_or_b64 exec, exec, s[12:13]
	v_cmp_gt_i16_sdwa s[10:11], v19, s19 src0_sel:BYTE_0 src1_sel:DWORD
	s_mov_b64 s[0:1], 0
                                        ; implicit-def: $sgpr16
	s_and_saveexec_b64 s[12:13], s[10:11]
	s_xor_b64 s[10:11], exec, s[12:13]
	s_cbranch_execnz .LBB301_547
; %bb.418:                              ;   in Loop: Header=BB301_299 Depth=1
	s_or_saveexec_b64 s[10:11], s[10:11]
	v_mov_b32_e32 v18, s16
	s_xor_b64 exec, exec, s[10:11]
	s_cbranch_execnz .LBB301_550
.LBB301_419:                            ;   in Loop: Header=BB301_299 Depth=1
	s_or_b64 exec, exec, s[10:11]
	v_mov_b32_e32 v8, v19
	s_and_saveexec_b64 s[10:11], s[0:1]
	s_cbranch_execz .LBB301_421
.LBB301_420:                            ;   in Loop: Header=BB301_299 Depth=1
	v_and_b32_e32 v18, 7, v19
	v_ffbh_u32_e32 v18, v18
	v_bfe_u32 v43, v19, 3, 4
	v_min_u32_e32 v18, 32, v18
	v_subrev_u32_e32 v44, 28, v18
	v_sub_u32_e32 v18, 29, v18
	v_cmp_eq_u32_e64 s[0:1], 0, v43
	s_nop 1
	v_cndmask_b32_e64 v18, v43, v18, s[0:1]
	v_cndmask_b32_e64 v43, 0, v44, s[0:1]
	v_lshlrev_b64 v[44:45], v43, v[8:9]
	v_lshlrev_b32_e32 v43, 7, v44
	v_lshlrev_b32_e32 v44, 8, v19
	v_lshl_add_u32 v18, v18, 10, v3
	v_and_or_b32 v18, v44, s21, v18
	v_and_or_b32 v18, v43, s22, v18
	v_cvt_f32_f16_e32 v18, v18
.LBB301_421:                            ;   in Loop: Header=BB301_299 Depth=1
	s_or_b64 exec, exec, s[10:11]
	v_lshrrev_b16_e32 v8, 8, v8
	v_cmp_lt_i16_e64 s[0:1], s19, v8
	s_mov_b64 s[10:11], 0
                                        ; implicit-def: $sgpr31
	s_and_saveexec_b64 s[12:13], s[0:1]
	s_xor_b64 s[12:13], exec, s[12:13]
	s_cbranch_execnz .LBB301_551
; %bb.422:                              ;   in Loop: Header=BB301_299 Depth=1
	s_or_saveexec_b64 s[12:13], s[12:13]
	v_mov_b32_e32 v43, s31
	s_xor_b64 exec, exec, s[12:13]
	s_cbranch_execnz .LBB301_554
.LBB301_423:                            ;   in Loop: Header=BB301_299 Depth=1
	s_or_b64 exec, exec, s[12:13]
	s_and_saveexec_b64 s[12:13], s[10:11]
	s_cbranch_execz .LBB301_425
.LBB301_424:                            ;   in Loop: Header=BB301_299 Depth=1
	v_and_b32_e32 v43, 7, v8
	v_ffbh_u32_e32 v44, v43
	v_min_u32_e32 v47, 32, v44
	v_subrev_u32_e32 v44, 28, v47
	v_bfe_u32 v46, v8, 3, 4
	v_lshlrev_b64 v[44:45], v44, v[8:9]
	v_sub_u32_e32 v45, 29, v47
	v_cmp_eq_u32_e64 s[0:1], 0, v46
	v_and_b32_e32 v44, 7, v44
	v_lshlrev_b32_e32 v8, 8, v8
	v_cndmask_b32_e64 v45, v46, v45, s[0:1]
	v_cndmask_b32_e64 v43, v43, v44, s[0:1]
	v_lshl_add_u32 v44, v45, 10, v3
	v_and_or_b32 v8, v8, s21, v44
	v_lshl_or_b32 v8, v43, 7, v8
	v_cvt_f32_f16_e32 v43, v8
.LBB301_425:                            ;   in Loop: Header=BB301_299 Depth=1
	s_or_b64 exec, exec, s[12:13]
	v_lshrrev_b32_e32 v8, 16, v19
	v_cmp_gt_i16_sdwa s[10:11], v8, s19 src0_sel:BYTE_0 src1_sel:DWORD
	s_mov_b64 s[0:1], 0
                                        ; implicit-def: $sgpr16
	s_and_saveexec_b64 s[12:13], s[10:11]
	s_xor_b64 s[10:11], exec, s[12:13]
	s_cbranch_execnz .LBB301_555
; %bb.426:                              ;   in Loop: Header=BB301_299 Depth=1
	s_or_saveexec_b64 s[10:11], s[10:11]
	v_mov_b32_e32 v44, s16
	s_xor_b64 exec, exec, s[10:11]
	s_cbranch_execnz .LBB301_558
.LBB301_427:                            ;   in Loop: Header=BB301_299 Depth=1
	s_or_b64 exec, exec, s[10:11]
	s_and_saveexec_b64 s[10:11], s[0:1]
	s_cbranch_execz .LBB301_429
.LBB301_428:                            ;   in Loop: Header=BB301_299 Depth=1
	v_bfe_u32 v46, v19, 16, 3
	v_ffbh_u32_e32 v44, v46
	v_min_u32_e32 v48, 32, v44
	v_subrev_u32_e32 v44, 28, v48
	v_bfe_u32 v47, v19, 19, 4
	v_lshlrev_b64 v[44:45], v44, v[8:9]
	v_sub_u32_e32 v45, 29, v48
	v_cmp_eq_u32_e64 s[0:1], 0, v47
	v_and_b32_e32 v44, 7, v44
	v_lshlrev_b32_e32 v8, 8, v8
	v_cndmask_b32_e64 v45, v47, v45, s[0:1]
	v_lshl_add_u32 v45, v45, 10, v3
	v_cndmask_b32_e64 v44, v46, v44, s[0:1]
	v_and_or_b32 v8, v8, s21, v45
	v_lshl_or_b32 v8, v44, 7, v8
	v_cvt_f32_f16_e32 v44, v8
.LBB301_429:                            ;   in Loop: Header=BB301_299 Depth=1
	s_or_b64 exec, exec, s[10:11]
	v_lshrrev_b32_e32 v8, 24, v19
	v_cmp_lt_i16_e64 s[0:1], s19, v8
	s_mov_b64 s[10:11], 0
                                        ; implicit-def: $sgpr31
	s_and_saveexec_b64 s[12:13], s[0:1]
	s_xor_b64 s[12:13], exec, s[12:13]
	s_cbranch_execnz .LBB301_559
; %bb.430:                              ;   in Loop: Header=BB301_299 Depth=1
	s_or_saveexec_b64 s[12:13], s[12:13]
	v_mov_b32_e32 v45, s31
	s_xor_b64 exec, exec, s[12:13]
	s_cbranch_execnz .LBB301_562
.LBB301_431:                            ;   in Loop: Header=BB301_299 Depth=1
	s_or_b64 exec, exec, s[12:13]
	s_and_saveexec_b64 s[12:13], s[10:11]
	s_cbranch_execz .LBB301_433
.LBB301_432:                            ;   in Loop: Header=BB301_299 Depth=1
	v_bfe_u32 v45, v19, 24, 3
	v_ffbh_u32_e32 v46, v45
	v_min_u32_e32 v48, 32, v46
	v_subrev_u32_e32 v46, 28, v48
	v_bfe_u32 v19, v19, 27, 4
	v_lshlrev_b64 v[46:47], v46, v[8:9]
	v_sub_u32_e32 v47, 29, v48
	v_cmp_eq_u32_e64 s[0:1], 0, v19
	v_and_b32_e32 v46, 7, v46
	v_lshlrev_b32_e32 v8, 8, v8
	v_cndmask_b32_e64 v19, v19, v47, s[0:1]
	v_lshl_add_u32 v19, v19, 10, v3
	v_cndmask_b32_e64 v45, v45, v46, s[0:1]
	v_and_or_b32 v8, v8, s21, v19
	v_lshl_or_b32 v8, v45, 7, v8
	v_cvt_f32_f16_e32 v45, v8
.LBB301_433:                            ;   in Loop: Header=BB301_299 Depth=1
	s_or_b64 exec, exec, s[12:13]
	s_waitcnt vmcnt(0)
	v_pk_mul_f32 v[14:15], v[16:17], v[14:15] op_sel_hi:[0,1]
	v_cvt_f16_f32_e32 v15, v15
	v_cvt_f16_f32_e32 v14, v14
	v_pk_mul_f32 v[20:21], v[16:17], v[20:21] op_sel_hi:[0,1]
	v_cvt_f16_f32_e32 v8, v21
	v_cvt_f16_f32_e32 v19, v20
	v_pack_b32_f16 v14, v14, v15
	v_fma_mixlo_f16 v15, v16, v43, 0
	v_lshlrev_b32_e32 v15, 16, v15
	v_fma_mixlo_f16 v18, v16, v18, 0
	v_or_b32_sdwa v15, v15, v18 dst_sel:DWORD dst_unused:UNUSED_PAD src0_sel:DWORD src1_sel:WORD_0
	v_fma_mixlo_f16 v18, v16, v44, 0
	v_fma_mixlo_f16 v16, v16, v45, 0
	v_pack_b32_f16 v19, v19, v8
	v_lshlrev_b32_e32 v16, 16, v16
	v_perm_b32 v8, v14, v19, s23
	v_perm_b32 v14, v14, v19, s28
	v_or_b32_sdwa v16, v16, v18 dst_sel:DWORD dst_unused:UNUSED_PAD src0_sel:DWORD src1_sel:WORD_0
	s_and_saveexec_b64 s[0:1], vcc
	s_cbranch_execz .LBB301_298
; %bb.434:                              ;   in Loop: Header=BB301_299 Depth=1
	v_lshrrev_b32_e32 v19, 16, v14
	v_cmp_gt_i32_e32 vcc, s18, v34
	v_lshrrev_b32_e32 v16, 16, v16
	s_nop 0
	v_cndmask_b32_e32 v19, 0, v19, vcc
	v_cmp_gt_i32_e32 vcc, s29, v26
	s_nop 1
	v_cndmask_b32_e32 v14, 0, v14, vcc
	v_perm_b32 v14, v19, v14, s30
	v_lshrrev_b32_e32 v19, 16, v8
	v_cmp_gt_i32_e32 vcc, s18, v33
	s_nop 1
	v_cndmask_b32_e32 v19, 0, v19, vcc
	v_cmp_gt_i32_e32 vcc, s29, v32
	s_nop 1
	v_cndmask_b32_e32 v8, 0, v8, vcc
	v_perm_b32 v8, v19, v8, s30
	v_lshrrev_b32_e32 v19, 16, v15
	v_cmp_gt_i32_e32 vcc, s18, v31
	s_nop 1
	v_cndmask_b32_e32 v19, 0, v19, vcc
	v_cmp_gt_i32_e32 vcc, s29, v30
	s_nop 1
	v_cndmask_b32_e32 v15, 0, v15, vcc
	v_cmp_gt_i32_e32 vcc, s18, v29
	v_perm_b32 v15, v19, v15, s30
	s_nop 0
	v_cndmask_b32_e32 v16, 0, v16, vcc
	v_cmp_gt_i32_e32 vcc, s29, v28
	s_nop 1
	v_cndmask_b32_e32 v18, 0, v18, vcc
	v_perm_b32 v16, v16, v18, s30
	s_branch .LBB301_298
.LBB301_435:                            ;   in Loop: Header=BB301_299 Depth=1
	v_cmp_eq_u16_sdwa s[34:35], v18, s20 src0_sel:BYTE_0 src1_sel:DWORD
	s_mov_b64 s[0:1], -1
                                        ; implicit-def: $sgpr16
	s_and_saveexec_b64 s[12:13], s[34:35]
; %bb.436:                              ;   in Loop: Header=BB301_299 Depth=1
	s_mov_b32 s16, 0x7fc02000
	s_xor_b64 s[0:1], exec, -1
; %bb.437:                              ;   in Loop: Header=BB301_299 Depth=1
	s_or_b64 exec, exec, s[12:13]
	s_and_b64 s[0:1], s[0:1], exec
	s_or_saveexec_b64 s[10:11], s[10:11]
	v_mov_b32_e32 v20, s16
	s_xor_b64 exec, exec, s[10:11]
	s_cbranch_execz .LBB301_301
.LBB301_438:                            ;   in Loop: Header=BB301_299 Depth=1
	v_cmp_ne_u16_sdwa s[12:13], v18, v9 src0_sel:BYTE_0 src1_sel:DWORD
	s_andn2_b64 s[0:1], s[0:1], exec
	s_and_b64 s[12:13], s[12:13], exec
	v_mov_b32_e32 v20, 0
	s_or_b64 s[0:1], s[0:1], s[12:13]
	s_or_b64 exec, exec, s[10:11]
	s_and_saveexec_b64 s[10:11], s[0:1]
	s_cbranch_execnz .LBB301_302
	s_branch .LBB301_303
.LBB301_439:                            ;   in Loop: Header=BB301_299 Depth=1
	v_cmp_eq_u16_e32 vcc, s20, v8
	s_mov_b64 s[0:1], -1
                                        ; implicit-def: $sgpr16
	s_and_saveexec_b64 s[12:13], vcc
; %bb.440:                              ;   in Loop: Header=BB301_299 Depth=1
	s_mov_b32 s16, 0x7fc02000
	s_xor_b64 s[0:1], exec, -1
; %bb.441:                              ;   in Loop: Header=BB301_299 Depth=1
	s_or_b64 exec, exec, s[12:13]
	s_and_b64 s[0:1], s[0:1], exec
	s_or_saveexec_b64 s[10:11], s[10:11]
	v_mov_b32_e32 v22, s16
	s_xor_b64 exec, exec, s[10:11]
	s_cbranch_execz .LBB301_305
.LBB301_442:                            ;   in Loop: Header=BB301_299 Depth=1
	v_cmp_ne_u16_e32 vcc, 0, v8
	s_andn2_b64 s[0:1], s[0:1], exec
	s_and_b64 s[12:13], vcc, exec
	v_mov_b32_e32 v22, 0
	s_or_b64 s[0:1], s[0:1], s[12:13]
	s_or_b64 exec, exec, s[10:11]
	s_and_saveexec_b64 s[10:11], s[0:1]
	s_cbranch_execnz .LBB301_306
	s_branch .LBB301_307
.LBB301_443:                            ;   in Loop: Header=BB301_299 Depth=1
	v_cmp_eq_u16_sdwa s[34:35], v8, s20 src0_sel:BYTE_0 src1_sel:DWORD
	s_mov_b64 s[0:1], -1
                                        ; implicit-def: $sgpr16
	s_and_saveexec_b64 s[12:13], s[34:35]
; %bb.444:                              ;   in Loop: Header=BB301_299 Depth=1
	s_mov_b32 s16, 0x7fc02000
	s_xor_b64 s[0:1], exec, -1
; %bb.445:                              ;   in Loop: Header=BB301_299 Depth=1
	s_or_b64 exec, exec, s[12:13]
	s_and_b64 s[0:1], s[0:1], exec
	s_or_saveexec_b64 s[10:11], s[10:11]
	v_mov_b32_e32 v21, s16
	s_xor_b64 exec, exec, s[10:11]
	s_cbranch_execz .LBB301_309
.LBB301_446:                            ;   in Loop: Header=BB301_299 Depth=1
	v_cmp_ne_u16_sdwa s[12:13], v8, v9 src0_sel:BYTE_0 src1_sel:DWORD
	s_andn2_b64 s[0:1], s[0:1], exec
	s_and_b64 s[12:13], s[12:13], exec
	v_mov_b32_e32 v21, 0
	s_or_b64 s[0:1], s[0:1], s[12:13]
	s_or_b64 exec, exec, s[10:11]
	s_and_saveexec_b64 s[10:11], s[0:1]
	s_cbranch_execnz .LBB301_310
	s_branch .LBB301_311
.LBB301_447:                            ;   in Loop: Header=BB301_299 Depth=1
	v_cmp_eq_u16_e32 vcc, s20, v8
	s_mov_b64 s[0:1], -1
                                        ; implicit-def: $sgpr16
	s_and_saveexec_b64 s[12:13], vcc
; %bb.448:                              ;   in Loop: Header=BB301_299 Depth=1
	s_mov_b32 s16, 0x7fc02000
	s_xor_b64 s[0:1], exec, -1
; %bb.449:                              ;   in Loop: Header=BB301_299 Depth=1
	s_or_b64 exec, exec, s[12:13]
	s_and_b64 s[0:1], s[0:1], exec
	s_or_saveexec_b64 s[10:11], s[10:11]
	v_mov_b32_e32 v23, s16
	s_xor_b64 exec, exec, s[10:11]
	s_cbranch_execz .LBB301_313
.LBB301_450:                            ;   in Loop: Header=BB301_299 Depth=1
	v_cmp_ne_u16_e32 vcc, 0, v8
	s_andn2_b64 s[0:1], s[0:1], exec
	s_and_b64 s[12:13], vcc, exec
	v_mov_b32_e32 v23, 0
	s_or_b64 s[0:1], s[0:1], s[12:13]
	s_or_b64 exec, exec, s[10:11]
	s_and_saveexec_b64 s[10:11], s[0:1]
	s_cbranch_execnz .LBB301_314
	s_branch .LBB301_315
.LBB301_451:                            ;   in Loop: Header=BB301_299 Depth=1
	v_cmp_eq_u16_sdwa s[34:35], v19, s20 src0_sel:BYTE_0 src1_sel:DWORD
	s_mov_b64 s[0:1], -1
                                        ; implicit-def: $sgpr16
	s_and_saveexec_b64 s[12:13], s[34:35]
; %bb.452:                              ;   in Loop: Header=BB301_299 Depth=1
	s_mov_b32 s16, 0x7fc02000
	s_xor_b64 s[0:1], exec, -1
; %bb.453:                              ;   in Loop: Header=BB301_299 Depth=1
	s_or_b64 exec, exec, s[12:13]
	s_and_b64 s[0:1], s[0:1], exec
	s_or_saveexec_b64 s[10:11], s[10:11]
	v_mov_b32_e32 v18, s16
	s_xor_b64 exec, exec, s[10:11]
	s_cbranch_execz .LBB301_317
.LBB301_454:                            ;   in Loop: Header=BB301_299 Depth=1
	v_cmp_ne_u16_sdwa s[12:13], v19, v9 src0_sel:BYTE_0 src1_sel:DWORD
	s_andn2_b64 s[0:1], s[0:1], exec
	s_and_b64 s[12:13], s[12:13], exec
	v_mov_b32_e32 v18, 0
	s_or_b64 s[0:1], s[0:1], s[12:13]
	s_or_b64 exec, exec, s[10:11]
	v_mov_b32_e32 v8, v19
	s_and_saveexec_b64 s[10:11], s[0:1]
	s_cbranch_execnz .LBB301_318
	s_branch .LBB301_319
.LBB301_455:                            ;   in Loop: Header=BB301_299 Depth=1
	v_cmp_eq_u16_e32 vcc, s20, v8
	s_mov_b64 s[0:1], -1
                                        ; implicit-def: $sgpr16
	s_and_saveexec_b64 s[12:13], vcc
; %bb.456:                              ;   in Loop: Header=BB301_299 Depth=1
	s_mov_b32 s16, 0x7fc02000
	s_xor_b64 s[0:1], exec, -1
; %bb.457:                              ;   in Loop: Header=BB301_299 Depth=1
	s_or_b64 exec, exec, s[12:13]
	s_and_b64 s[0:1], s[0:1], exec
	s_or_saveexec_b64 s[10:11], s[10:11]
	v_mov_b32_e32 v28, s16
	s_xor_b64 exec, exec, s[10:11]
	s_cbranch_execz .LBB301_321
.LBB301_458:                            ;   in Loop: Header=BB301_299 Depth=1
	v_cmp_ne_u16_e32 vcc, 0, v8
	s_andn2_b64 s[0:1], s[0:1], exec
	s_and_b64 s[12:13], vcc, exec
	v_mov_b32_e32 v28, 0
	s_or_b64 s[0:1], s[0:1], s[12:13]
	s_or_b64 exec, exec, s[10:11]
	s_and_saveexec_b64 s[10:11], s[0:1]
	s_cbranch_execnz .LBB301_322
	s_branch .LBB301_323
.LBB301_459:                            ;   in Loop: Header=BB301_299 Depth=1
	v_cmp_eq_u16_sdwa s[34:35], v8, s20 src0_sel:BYTE_0 src1_sel:DWORD
	s_mov_b64 s[0:1], -1
                                        ; implicit-def: $sgpr16
	s_and_saveexec_b64 s[12:13], s[34:35]
; %bb.460:                              ;   in Loop: Header=BB301_299 Depth=1
	s_mov_b32 s16, 0x7fc02000
	s_xor_b64 s[0:1], exec, -1
; %bb.461:                              ;   in Loop: Header=BB301_299 Depth=1
	s_or_b64 exec, exec, s[12:13]
	s_and_b64 s[0:1], s[0:1], exec
	s_or_saveexec_b64 s[10:11], s[10:11]
	v_mov_b32_e32 v29, s16
	s_xor_b64 exec, exec, s[10:11]
	s_cbranch_execz .LBB301_325
.LBB301_462:                            ;   in Loop: Header=BB301_299 Depth=1
	v_cmp_ne_u16_sdwa s[12:13], v8, v9 src0_sel:BYTE_0 src1_sel:DWORD
	s_andn2_b64 s[0:1], s[0:1], exec
	s_and_b64 s[12:13], s[12:13], exec
	v_mov_b32_e32 v29, 0
	s_or_b64 s[0:1], s[0:1], s[12:13]
	s_or_b64 exec, exec, s[10:11]
	s_and_saveexec_b64 s[10:11], s[0:1]
	s_cbranch_execnz .LBB301_326
	s_branch .LBB301_327
.LBB301_463:                            ;   in Loop: Header=BB301_299 Depth=1
	v_cmp_eq_u16_e32 vcc, s20, v8
	s_mov_b64 s[0:1], -1
                                        ; implicit-def: $sgpr16
	s_and_saveexec_b64 s[12:13], vcc
; %bb.464:                              ;   in Loop: Header=BB301_299 Depth=1
	s_mov_b32 s16, 0x7fc02000
	s_xor_b64 s[0:1], exec, -1
; %bb.465:                              ;   in Loop: Header=BB301_299 Depth=1
	s_or_b64 exec, exec, s[12:13]
	s_and_b64 s[0:1], s[0:1], exec
	s_or_saveexec_b64 s[10:11], s[10:11]
	v_mov_b32_e32 v30, s16
	s_xor_b64 exec, exec, s[10:11]
	s_cbranch_execz .LBB301_329
.LBB301_466:                            ;   in Loop: Header=BB301_299 Depth=1
	v_cmp_ne_u16_e32 vcc, 0, v8
	s_andn2_b64 s[0:1], s[0:1], exec
	s_and_b64 s[12:13], vcc, exec
	v_mov_b32_e32 v30, 0
	s_or_b64 s[0:1], s[0:1], s[12:13]
	s_or_b64 exec, exec, s[10:11]
	s_and_saveexec_b64 s[10:11], s[0:1]
	s_cbranch_execnz .LBB301_330
	s_branch .LBB301_331
.LBB301_467:                            ;   in Loop: Header=BB301_299 Depth=1
	v_cmp_eq_u16_sdwa s[34:35], v18, s20 src0_sel:BYTE_0 src1_sel:DWORD
	s_mov_b64 s[0:1], -1
                                        ; implicit-def: $sgpr16
	s_and_saveexec_b64 s[12:13], s[34:35]
; %bb.468:                              ;   in Loop: Header=BB301_299 Depth=1
	s_mov_b32 s16, 0x7fc02000
	s_xor_b64 s[0:1], exec, -1
; %bb.469:                              ;   in Loop: Header=BB301_299 Depth=1
	s_or_b64 exec, exec, s[12:13]
	s_and_b64 s[0:1], s[0:1], exec
	s_or_saveexec_b64 s[10:11], s[10:11]
	v_mov_b32_e32 v20, s16
	s_xor_b64 exec, exec, s[10:11]
	s_cbranch_execz .LBB301_335
.LBB301_470:                            ;   in Loop: Header=BB301_299 Depth=1
	v_cmp_ne_u16_sdwa s[12:13], v18, v9 src0_sel:BYTE_0 src1_sel:DWORD
	s_andn2_b64 s[0:1], s[0:1], exec
	s_and_b64 s[12:13], s[12:13], exec
	v_mov_b32_e32 v20, 0
	s_or_b64 s[0:1], s[0:1], s[12:13]
	s_or_b64 exec, exec, s[10:11]
	s_and_saveexec_b64 s[10:11], s[0:1]
	s_cbranch_execnz .LBB301_336
	s_branch .LBB301_337
.LBB301_471:                            ;   in Loop: Header=BB301_299 Depth=1
	v_cmp_eq_u16_e64 s[0:1], s20, v8
	s_mov_b64 s[10:11], -1
                                        ; implicit-def: $sgpr31
	s_and_saveexec_b64 s[16:17], s[0:1]
; %bb.472:                              ;   in Loop: Header=BB301_299 Depth=1
	s_mov_b32 s31, 0x7fc02000
	s_xor_b64 s[10:11], exec, -1
; %bb.473:                              ;   in Loop: Header=BB301_299 Depth=1
	s_or_b64 exec, exec, s[16:17]
	s_and_b64 s[10:11], s[10:11], exec
	s_or_saveexec_b64 s[12:13], s[12:13]
	v_mov_b32_e32 v22, s31
	s_xor_b64 exec, exec, s[12:13]
	s_cbranch_execz .LBB301_339
.LBB301_474:                            ;   in Loop: Header=BB301_299 Depth=1
	v_cmp_ne_u16_e64 s[0:1], 0, v8
	s_andn2_b64 s[10:11], s[10:11], exec
	s_and_b64 s[0:1], s[0:1], exec
	v_mov_b32_e32 v22, 0
	s_or_b64 s[10:11], s[10:11], s[0:1]
	s_or_b64 exec, exec, s[12:13]
	s_and_saveexec_b64 s[12:13], s[10:11]
	s_cbranch_execnz .LBB301_340
	s_branch .LBB301_341
.LBB301_475:                            ;   in Loop: Header=BB301_299 Depth=1
	v_cmp_eq_u16_sdwa s[34:35], v8, s20 src0_sel:BYTE_0 src1_sel:DWORD
	s_mov_b64 s[0:1], -1
                                        ; implicit-def: $sgpr16
	s_and_saveexec_b64 s[12:13], s[34:35]
; %bb.476:                              ;   in Loop: Header=BB301_299 Depth=1
	s_mov_b32 s16, 0x7fc02000
	s_xor_b64 s[0:1], exec, -1
; %bb.477:                              ;   in Loop: Header=BB301_299 Depth=1
	s_or_b64 exec, exec, s[12:13]
	s_and_b64 s[0:1], s[0:1], exec
	s_or_saveexec_b64 s[10:11], s[10:11]
	v_mov_b32_e32 v21, s16
	s_xor_b64 exec, exec, s[10:11]
	s_cbranch_execz .LBB301_343
.LBB301_478:                            ;   in Loop: Header=BB301_299 Depth=1
	v_cmp_ne_u16_sdwa s[12:13], v8, v9 src0_sel:BYTE_0 src1_sel:DWORD
	s_andn2_b64 s[0:1], s[0:1], exec
	s_and_b64 s[12:13], s[12:13], exec
	v_mov_b32_e32 v21, 0
	s_or_b64 s[0:1], s[0:1], s[12:13]
	s_or_b64 exec, exec, s[10:11]
	s_and_saveexec_b64 s[10:11], s[0:1]
	s_cbranch_execnz .LBB301_344
	s_branch .LBB301_345
.LBB301_479:                            ;   in Loop: Header=BB301_299 Depth=1
	v_cmp_eq_u16_e64 s[0:1], s20, v8
	s_mov_b64 s[10:11], -1
                                        ; implicit-def: $sgpr31
	s_and_saveexec_b64 s[16:17], s[0:1]
; %bb.480:                              ;   in Loop: Header=BB301_299 Depth=1
	s_mov_b32 s31, 0x7fc02000
	s_xor_b64 s[10:11], exec, -1
; %bb.481:                              ;   in Loop: Header=BB301_299 Depth=1
	s_or_b64 exec, exec, s[16:17]
	s_and_b64 s[10:11], s[10:11], exec
	s_or_saveexec_b64 s[12:13], s[12:13]
	v_mov_b32_e32 v23, s31
	s_xor_b64 exec, exec, s[12:13]
	s_cbranch_execz .LBB301_347
.LBB301_482:                            ;   in Loop: Header=BB301_299 Depth=1
	v_cmp_ne_u16_e64 s[0:1], 0, v8
	s_andn2_b64 s[10:11], s[10:11], exec
	s_and_b64 s[0:1], s[0:1], exec
	v_mov_b32_e32 v23, 0
	s_or_b64 s[10:11], s[10:11], s[0:1]
	s_or_b64 exec, exec, s[12:13]
	s_and_saveexec_b64 s[12:13], s[10:11]
	s_cbranch_execnz .LBB301_348
	s_branch .LBB301_349
.LBB301_483:                            ;   in Loop: Header=BB301_299 Depth=1
	v_cmp_eq_u16_sdwa s[34:35], v19, s20 src0_sel:BYTE_0 src1_sel:DWORD
	s_mov_b64 s[0:1], -1
                                        ; implicit-def: $sgpr16
	s_and_saveexec_b64 s[12:13], s[34:35]
; %bb.484:                              ;   in Loop: Header=BB301_299 Depth=1
	s_mov_b32 s16, 0x7fc02000
	s_xor_b64 s[0:1], exec, -1
; %bb.485:                              ;   in Loop: Header=BB301_299 Depth=1
	s_or_b64 exec, exec, s[12:13]
	s_and_b64 s[0:1], s[0:1], exec
	s_or_saveexec_b64 s[10:11], s[10:11]
	v_mov_b32_e32 v18, s16
	s_xor_b64 exec, exec, s[10:11]
	s_cbranch_execz .LBB301_351
.LBB301_486:                            ;   in Loop: Header=BB301_299 Depth=1
	v_cmp_ne_u16_sdwa s[12:13], v19, v9 src0_sel:BYTE_0 src1_sel:DWORD
	s_andn2_b64 s[0:1], s[0:1], exec
	s_and_b64 s[12:13], s[12:13], exec
	v_mov_b32_e32 v18, 0
	s_or_b64 s[0:1], s[0:1], s[12:13]
	s_or_b64 exec, exec, s[10:11]
	v_mov_b32_e32 v8, v19
	s_and_saveexec_b64 s[10:11], s[0:1]
	s_cbranch_execnz .LBB301_352
	s_branch .LBB301_353
.LBB301_487:                            ;   in Loop: Header=BB301_299 Depth=1
	v_cmp_eq_u16_e64 s[0:1], s20, v8
	s_mov_b64 s[10:11], -1
                                        ; implicit-def: $sgpr31
	s_and_saveexec_b64 s[16:17], s[0:1]
; %bb.488:                              ;   in Loop: Header=BB301_299 Depth=1
	s_mov_b32 s31, 0x7fc02000
	s_xor_b64 s[10:11], exec, -1
; %bb.489:                              ;   in Loop: Header=BB301_299 Depth=1
	s_or_b64 exec, exec, s[16:17]
	s_and_b64 s[10:11], s[10:11], exec
	s_or_saveexec_b64 s[12:13], s[12:13]
	v_mov_b32_e32 v41, s31
	s_xor_b64 exec, exec, s[12:13]
	s_cbranch_execz .LBB301_355
.LBB301_490:                            ;   in Loop: Header=BB301_299 Depth=1
	v_cmp_ne_u16_e64 s[0:1], 0, v8
	s_andn2_b64 s[10:11], s[10:11], exec
	s_and_b64 s[0:1], s[0:1], exec
	v_mov_b32_e32 v41, 0
	s_or_b64 s[10:11], s[10:11], s[0:1]
	s_or_b64 exec, exec, s[12:13]
	s_and_saveexec_b64 s[12:13], s[10:11]
	s_cbranch_execnz .LBB301_356
	s_branch .LBB301_357
.LBB301_491:                            ;   in Loop: Header=BB301_299 Depth=1
	v_cmp_eq_u16_sdwa s[34:35], v8, s20 src0_sel:BYTE_0 src1_sel:DWORD
	s_mov_b64 s[0:1], -1
                                        ; implicit-def: $sgpr16
	s_and_saveexec_b64 s[12:13], s[34:35]
; %bb.492:                              ;   in Loop: Header=BB301_299 Depth=1
	s_mov_b32 s16, 0x7fc02000
	s_xor_b64 s[0:1], exec, -1
; %bb.493:                              ;   in Loop: Header=BB301_299 Depth=1
	s_or_b64 exec, exec, s[12:13]
	s_and_b64 s[0:1], s[0:1], exec
	s_or_saveexec_b64 s[10:11], s[10:11]
	v_mov_b32_e32 v42, s16
	s_xor_b64 exec, exec, s[10:11]
	s_cbranch_execz .LBB301_359
.LBB301_494:                            ;   in Loop: Header=BB301_299 Depth=1
	v_cmp_ne_u16_sdwa s[12:13], v8, v9 src0_sel:BYTE_0 src1_sel:DWORD
	s_andn2_b64 s[0:1], s[0:1], exec
	s_and_b64 s[12:13], s[12:13], exec
	v_mov_b32_e32 v42, 0
	s_or_b64 s[0:1], s[0:1], s[12:13]
	s_or_b64 exec, exec, s[10:11]
	s_and_saveexec_b64 s[10:11], s[0:1]
	s_cbranch_execnz .LBB301_360
	s_branch .LBB301_361
.LBB301_495:                            ;   in Loop: Header=BB301_299 Depth=1
	v_cmp_eq_u16_e64 s[0:1], s20, v8
	s_mov_b64 s[10:11], -1
                                        ; implicit-def: $sgpr31
	s_and_saveexec_b64 s[16:17], s[0:1]
; %bb.496:                              ;   in Loop: Header=BB301_299 Depth=1
	s_mov_b32 s31, 0x7fc02000
	s_xor_b64 s[10:11], exec, -1
; %bb.497:                              ;   in Loop: Header=BB301_299 Depth=1
	s_or_b64 exec, exec, s[16:17]
	s_and_b64 s[10:11], s[10:11], exec
	s_or_saveexec_b64 s[12:13], s[12:13]
	v_mov_b32_e32 v43, s31
	s_xor_b64 exec, exec, s[12:13]
	s_cbranch_execz .LBB301_363
.LBB301_498:                            ;   in Loop: Header=BB301_299 Depth=1
	v_cmp_ne_u16_e64 s[0:1], 0, v8
	s_andn2_b64 s[10:11], s[10:11], exec
	s_and_b64 s[0:1], s[0:1], exec
	v_mov_b32_e32 v43, 0
	s_or_b64 s[10:11], s[10:11], s[0:1]
	s_or_b64 exec, exec, s[12:13]
	s_and_saveexec_b64 s[12:13], s[10:11]
	s_cbranch_execnz .LBB301_364
	s_branch .LBB301_365
.LBB301_499:                            ;   in Loop: Header=BB301_299 Depth=1
	v_cmp_eq_u16_sdwa s[34:35], v18, s20 src0_sel:BYTE_0 src1_sel:DWORD
	s_mov_b64 s[0:1], -1
                                        ; implicit-def: $sgpr16
	s_and_saveexec_b64 s[12:13], s[34:35]
; %bb.500:                              ;   in Loop: Header=BB301_299 Depth=1
	s_mov_b32 s16, 0x7fc02000
	s_xor_b64 s[0:1], exec, -1
; %bb.501:                              ;   in Loop: Header=BB301_299 Depth=1
	s_or_b64 exec, exec, s[12:13]
	s_and_b64 s[0:1], s[0:1], exec
	s_or_saveexec_b64 s[10:11], s[10:11]
	v_mov_b32_e32 v20, s16
	s_xor_b64 exec, exec, s[10:11]
	s_cbranch_execz .LBB301_369
.LBB301_502:                            ;   in Loop: Header=BB301_299 Depth=1
	v_cmp_ne_u16_sdwa s[12:13], v18, v9 src0_sel:BYTE_0 src1_sel:DWORD
	s_andn2_b64 s[0:1], s[0:1], exec
	s_and_b64 s[12:13], s[12:13], exec
	v_mov_b32_e32 v20, 0
	s_or_b64 s[0:1], s[0:1], s[12:13]
	s_or_b64 exec, exec, s[10:11]
	s_and_saveexec_b64 s[10:11], s[0:1]
	s_cbranch_execnz .LBB301_370
	s_branch .LBB301_371
.LBB301_503:                            ;   in Loop: Header=BB301_299 Depth=1
	v_cmp_eq_u16_e64 s[0:1], s20, v8
	s_mov_b64 s[10:11], -1
                                        ; implicit-def: $sgpr31
	s_and_saveexec_b64 s[16:17], s[0:1]
; %bb.504:                              ;   in Loop: Header=BB301_299 Depth=1
	s_mov_b32 s31, 0x7fc02000
	s_xor_b64 s[10:11], exec, -1
; %bb.505:                              ;   in Loop: Header=BB301_299 Depth=1
	s_or_b64 exec, exec, s[16:17]
	s_and_b64 s[10:11], s[10:11], exec
	s_or_saveexec_b64 s[12:13], s[12:13]
	v_mov_b32_e32 v22, s31
	s_xor_b64 exec, exec, s[12:13]
	s_cbranch_execz .LBB301_373
.LBB301_506:                            ;   in Loop: Header=BB301_299 Depth=1
	v_cmp_ne_u16_e64 s[0:1], 0, v8
	s_andn2_b64 s[10:11], s[10:11], exec
	s_and_b64 s[0:1], s[0:1], exec
	v_mov_b32_e32 v22, 0
	s_or_b64 s[10:11], s[10:11], s[0:1]
	s_or_b64 exec, exec, s[12:13]
	s_and_saveexec_b64 s[12:13], s[10:11]
	s_cbranch_execnz .LBB301_374
	s_branch .LBB301_375
.LBB301_507:                            ;   in Loop: Header=BB301_299 Depth=1
	v_cmp_eq_u16_sdwa s[34:35], v8, s20 src0_sel:BYTE_0 src1_sel:DWORD
	s_mov_b64 s[0:1], -1
                                        ; implicit-def: $sgpr16
	s_and_saveexec_b64 s[12:13], s[34:35]
; %bb.508:                              ;   in Loop: Header=BB301_299 Depth=1
	s_mov_b32 s16, 0x7fc02000
	s_xor_b64 s[0:1], exec, -1
; %bb.509:                              ;   in Loop: Header=BB301_299 Depth=1
	s_or_b64 exec, exec, s[12:13]
	s_and_b64 s[0:1], s[0:1], exec
	s_or_saveexec_b64 s[10:11], s[10:11]
	v_mov_b32_e32 v21, s16
	s_xor_b64 exec, exec, s[10:11]
	s_cbranch_execz .LBB301_377
.LBB301_510:                            ;   in Loop: Header=BB301_299 Depth=1
	v_cmp_ne_u16_sdwa s[12:13], v8, v9 src0_sel:BYTE_0 src1_sel:DWORD
	s_andn2_b64 s[0:1], s[0:1], exec
	s_and_b64 s[12:13], s[12:13], exec
	v_mov_b32_e32 v21, 0
	s_or_b64 s[0:1], s[0:1], s[12:13]
	s_or_b64 exec, exec, s[10:11]
	s_and_saveexec_b64 s[10:11], s[0:1]
	s_cbranch_execnz .LBB301_378
	s_branch .LBB301_379
.LBB301_511:                            ;   in Loop: Header=BB301_299 Depth=1
	v_cmp_eq_u16_e64 s[0:1], s20, v8
	s_mov_b64 s[10:11], -1
                                        ; implicit-def: $sgpr31
	s_and_saveexec_b64 s[16:17], s[0:1]
; %bb.512:                              ;   in Loop: Header=BB301_299 Depth=1
	s_mov_b32 s31, 0x7fc02000
	s_xor_b64 s[10:11], exec, -1
; %bb.513:                              ;   in Loop: Header=BB301_299 Depth=1
	s_or_b64 exec, exec, s[16:17]
	s_and_b64 s[10:11], s[10:11], exec
	s_or_saveexec_b64 s[12:13], s[12:13]
	v_mov_b32_e32 v23, s31
	s_xor_b64 exec, exec, s[12:13]
	s_cbranch_execz .LBB301_381
.LBB301_514:                            ;   in Loop: Header=BB301_299 Depth=1
	v_cmp_ne_u16_e64 s[0:1], 0, v8
	s_andn2_b64 s[10:11], s[10:11], exec
	s_and_b64 s[0:1], s[0:1], exec
	v_mov_b32_e32 v23, 0
	s_or_b64 s[10:11], s[10:11], s[0:1]
	s_or_b64 exec, exec, s[12:13]
	s_and_saveexec_b64 s[12:13], s[10:11]
	s_cbranch_execnz .LBB301_382
	s_branch .LBB301_383
.LBB301_515:                            ;   in Loop: Header=BB301_299 Depth=1
	v_cmp_eq_u16_sdwa s[34:35], v19, s20 src0_sel:BYTE_0 src1_sel:DWORD
	s_mov_b64 s[0:1], -1
                                        ; implicit-def: $sgpr16
	s_and_saveexec_b64 s[12:13], s[34:35]
; %bb.516:                              ;   in Loop: Header=BB301_299 Depth=1
	s_mov_b32 s16, 0x7fc02000
	s_xor_b64 s[0:1], exec, -1
; %bb.517:                              ;   in Loop: Header=BB301_299 Depth=1
	s_or_b64 exec, exec, s[12:13]
	s_and_b64 s[0:1], s[0:1], exec
	s_or_saveexec_b64 s[10:11], s[10:11]
	v_mov_b32_e32 v18, s16
	s_xor_b64 exec, exec, s[10:11]
	s_cbranch_execz .LBB301_385
.LBB301_518:                            ;   in Loop: Header=BB301_299 Depth=1
	v_cmp_ne_u16_sdwa s[12:13], v19, v9 src0_sel:BYTE_0 src1_sel:DWORD
	s_andn2_b64 s[0:1], s[0:1], exec
	s_and_b64 s[12:13], s[12:13], exec
	v_mov_b32_e32 v18, 0
	s_or_b64 s[0:1], s[0:1], s[12:13]
	s_or_b64 exec, exec, s[10:11]
	v_mov_b32_e32 v8, v19
	s_and_saveexec_b64 s[10:11], s[0:1]
	s_cbranch_execnz .LBB301_386
	s_branch .LBB301_387
.LBB301_519:                            ;   in Loop: Header=BB301_299 Depth=1
	v_cmp_eq_u16_e64 s[0:1], s20, v8
	s_mov_b64 s[10:11], -1
                                        ; implicit-def: $sgpr31
	s_and_saveexec_b64 s[16:17], s[0:1]
; %bb.520:                              ;   in Loop: Header=BB301_299 Depth=1
	s_mov_b32 s31, 0x7fc02000
	s_xor_b64 s[10:11], exec, -1
; %bb.521:                              ;   in Loop: Header=BB301_299 Depth=1
	s_or_b64 exec, exec, s[16:17]
	s_and_b64 s[10:11], s[10:11], exec
	s_or_saveexec_b64 s[12:13], s[12:13]
	v_mov_b32_e32 v43, s31
	s_xor_b64 exec, exec, s[12:13]
	s_cbranch_execz .LBB301_389
.LBB301_522:                            ;   in Loop: Header=BB301_299 Depth=1
	v_cmp_ne_u16_e64 s[0:1], 0, v8
	s_andn2_b64 s[10:11], s[10:11], exec
	s_and_b64 s[0:1], s[0:1], exec
	v_mov_b32_e32 v43, 0
	s_or_b64 s[10:11], s[10:11], s[0:1]
	s_or_b64 exec, exec, s[12:13]
	s_and_saveexec_b64 s[12:13], s[10:11]
	s_cbranch_execnz .LBB301_390
	s_branch .LBB301_391
.LBB301_523:                            ;   in Loop: Header=BB301_299 Depth=1
	v_cmp_eq_u16_sdwa s[34:35], v8, s20 src0_sel:BYTE_0 src1_sel:DWORD
	s_mov_b64 s[0:1], -1
                                        ; implicit-def: $sgpr16
	s_and_saveexec_b64 s[12:13], s[34:35]
; %bb.524:                              ;   in Loop: Header=BB301_299 Depth=1
	s_mov_b32 s16, 0x7fc02000
	s_xor_b64 s[0:1], exec, -1
; %bb.525:                              ;   in Loop: Header=BB301_299 Depth=1
	s_or_b64 exec, exec, s[12:13]
	s_and_b64 s[0:1], s[0:1], exec
	s_or_saveexec_b64 s[10:11], s[10:11]
	v_mov_b32_e32 v44, s16
	s_xor_b64 exec, exec, s[10:11]
	s_cbranch_execz .LBB301_393
.LBB301_526:                            ;   in Loop: Header=BB301_299 Depth=1
	v_cmp_ne_u16_sdwa s[12:13], v8, v9 src0_sel:BYTE_0 src1_sel:DWORD
	s_andn2_b64 s[0:1], s[0:1], exec
	s_and_b64 s[12:13], s[12:13], exec
	v_mov_b32_e32 v44, 0
	s_or_b64 s[0:1], s[0:1], s[12:13]
	s_or_b64 exec, exec, s[10:11]
	s_and_saveexec_b64 s[10:11], s[0:1]
	s_cbranch_execnz .LBB301_394
	s_branch .LBB301_395
.LBB301_527:                            ;   in Loop: Header=BB301_299 Depth=1
	v_cmp_eq_u16_e64 s[0:1], s20, v8
	s_mov_b64 s[10:11], -1
                                        ; implicit-def: $sgpr31
	s_and_saveexec_b64 s[16:17], s[0:1]
; %bb.528:                              ;   in Loop: Header=BB301_299 Depth=1
	s_mov_b32 s31, 0x7fc02000
	s_xor_b64 s[10:11], exec, -1
; %bb.529:                              ;   in Loop: Header=BB301_299 Depth=1
	s_or_b64 exec, exec, s[16:17]
	s_and_b64 s[10:11], s[10:11], exec
	s_or_saveexec_b64 s[12:13], s[12:13]
	v_mov_b32_e32 v45, s31
	s_xor_b64 exec, exec, s[12:13]
	s_cbranch_execz .LBB301_397
.LBB301_530:                            ;   in Loop: Header=BB301_299 Depth=1
	v_cmp_ne_u16_e64 s[0:1], 0, v8
	s_andn2_b64 s[10:11], s[10:11], exec
	s_and_b64 s[0:1], s[0:1], exec
	v_mov_b32_e32 v45, 0
	s_or_b64 s[10:11], s[10:11], s[0:1]
	s_or_b64 exec, exec, s[12:13]
	s_and_saveexec_b64 s[12:13], s[10:11]
	s_cbranch_execnz .LBB301_398
	s_branch .LBB301_399
.LBB301_531:                            ;   in Loop: Header=BB301_299 Depth=1
	v_cmp_eq_u16_sdwa s[34:35], v18, s20 src0_sel:BYTE_0 src1_sel:DWORD
	s_mov_b64 s[0:1], -1
                                        ; implicit-def: $sgpr16
	s_and_saveexec_b64 s[12:13], s[34:35]
; %bb.532:                              ;   in Loop: Header=BB301_299 Depth=1
	s_mov_b32 s16, 0x7fc02000
	s_xor_b64 s[0:1], exec, -1
; %bb.533:                              ;   in Loop: Header=BB301_299 Depth=1
	s_or_b64 exec, exec, s[12:13]
	s_and_b64 s[0:1], s[0:1], exec
	s_or_saveexec_b64 s[10:11], s[10:11]
	v_mov_b32_e32 v14, s16
	s_xor_b64 exec, exec, s[10:11]
	s_cbranch_execz .LBB301_403
.LBB301_534:                            ;   in Loop: Header=BB301_299 Depth=1
	v_cmp_ne_u16_sdwa s[12:13], v18, v9 src0_sel:BYTE_0 src1_sel:DWORD
	s_andn2_b64 s[0:1], s[0:1], exec
	s_and_b64 s[12:13], s[12:13], exec
	v_mov_b32_e32 v14, 0
	s_or_b64 s[0:1], s[0:1], s[12:13]
	s_or_b64 exec, exec, s[10:11]
	s_and_saveexec_b64 s[10:11], s[0:1]
	s_cbranch_execnz .LBB301_404
	s_branch .LBB301_405
.LBB301_535:                            ;   in Loop: Header=BB301_299 Depth=1
	v_cmp_eq_u16_e64 s[0:1], s20, v8
	s_mov_b64 s[10:11], -1
                                        ; implicit-def: $sgpr31
	s_and_saveexec_b64 s[16:17], s[0:1]
; %bb.536:                              ;   in Loop: Header=BB301_299 Depth=1
	s_mov_b32 s31, 0x7fc02000
	s_xor_b64 s[10:11], exec, -1
; %bb.537:                              ;   in Loop: Header=BB301_299 Depth=1
	s_or_b64 exec, exec, s[16:17]
	s_and_b64 s[10:11], s[10:11], exec
	s_or_saveexec_b64 s[12:13], s[12:13]
	v_mov_b32_e32 v20, s31
	s_xor_b64 exec, exec, s[12:13]
	s_cbranch_execz .LBB301_407
.LBB301_538:                            ;   in Loop: Header=BB301_299 Depth=1
	v_cmp_ne_u16_e64 s[0:1], 0, v8
	s_andn2_b64 s[10:11], s[10:11], exec
	s_and_b64 s[0:1], s[0:1], exec
	v_mov_b32_e32 v20, 0
	s_or_b64 s[10:11], s[10:11], s[0:1]
	s_or_b64 exec, exec, s[12:13]
	s_and_saveexec_b64 s[12:13], s[10:11]
	s_cbranch_execnz .LBB301_408
	s_branch .LBB301_409
.LBB301_539:                            ;   in Loop: Header=BB301_299 Depth=1
	v_cmp_eq_u16_sdwa s[34:35], v8, s20 src0_sel:BYTE_0 src1_sel:DWORD
	s_mov_b64 s[0:1], -1
                                        ; implicit-def: $sgpr16
	s_and_saveexec_b64 s[12:13], s[34:35]
; %bb.540:                              ;   in Loop: Header=BB301_299 Depth=1
	s_mov_b32 s16, 0x7fc02000
	s_xor_b64 s[0:1], exec, -1
; %bb.541:                              ;   in Loop: Header=BB301_299 Depth=1
	s_or_b64 exec, exec, s[12:13]
	s_and_b64 s[0:1], s[0:1], exec
	s_or_saveexec_b64 s[10:11], s[10:11]
	v_mov_b32_e32 v15, s16
	s_xor_b64 exec, exec, s[10:11]
	s_cbranch_execz .LBB301_411
.LBB301_542:                            ;   in Loop: Header=BB301_299 Depth=1
	v_cmp_ne_u16_sdwa s[12:13], v8, v9 src0_sel:BYTE_0 src1_sel:DWORD
	s_andn2_b64 s[0:1], s[0:1], exec
	s_and_b64 s[12:13], s[12:13], exec
	v_mov_b32_e32 v15, 0
	s_or_b64 s[0:1], s[0:1], s[12:13]
	s_or_b64 exec, exec, s[10:11]
	s_and_saveexec_b64 s[10:11], s[0:1]
	s_cbranch_execnz .LBB301_412
	s_branch .LBB301_413
.LBB301_543:                            ;   in Loop: Header=BB301_299 Depth=1
	v_cmp_eq_u16_e64 s[0:1], s20, v8
	s_mov_b64 s[10:11], -1
                                        ; implicit-def: $sgpr31
	s_and_saveexec_b64 s[16:17], s[0:1]
; %bb.544:                              ;   in Loop: Header=BB301_299 Depth=1
	s_mov_b32 s31, 0x7fc02000
	s_xor_b64 s[10:11], exec, -1
; %bb.545:                              ;   in Loop: Header=BB301_299 Depth=1
	s_or_b64 exec, exec, s[16:17]
	s_and_b64 s[10:11], s[10:11], exec
	s_or_saveexec_b64 s[12:13], s[12:13]
	v_mov_b32_e32 v21, s31
	s_xor_b64 exec, exec, s[12:13]
	s_cbranch_execz .LBB301_415
.LBB301_546:                            ;   in Loop: Header=BB301_299 Depth=1
	v_cmp_ne_u16_e64 s[0:1], 0, v8
	s_andn2_b64 s[10:11], s[10:11], exec
	s_and_b64 s[0:1], s[0:1], exec
	v_mov_b32_e32 v21, 0
	s_or_b64 s[10:11], s[10:11], s[0:1]
	s_or_b64 exec, exec, s[12:13]
	s_and_saveexec_b64 s[12:13], s[10:11]
	s_cbranch_execnz .LBB301_416
	s_branch .LBB301_417
.LBB301_547:                            ;   in Loop: Header=BB301_299 Depth=1
	v_cmp_eq_u16_sdwa s[34:35], v19, s20 src0_sel:BYTE_0 src1_sel:DWORD
	s_mov_b64 s[0:1], -1
                                        ; implicit-def: $sgpr16
	s_and_saveexec_b64 s[12:13], s[34:35]
; %bb.548:                              ;   in Loop: Header=BB301_299 Depth=1
	s_mov_b32 s16, 0x7fc02000
	s_xor_b64 s[0:1], exec, -1
; %bb.549:                              ;   in Loop: Header=BB301_299 Depth=1
	s_or_b64 exec, exec, s[12:13]
	s_and_b64 s[0:1], s[0:1], exec
	s_or_saveexec_b64 s[10:11], s[10:11]
	v_mov_b32_e32 v18, s16
	s_xor_b64 exec, exec, s[10:11]
	s_cbranch_execz .LBB301_419
.LBB301_550:                            ;   in Loop: Header=BB301_299 Depth=1
	v_cmp_ne_u16_sdwa s[12:13], v19, v9 src0_sel:BYTE_0 src1_sel:DWORD
	s_andn2_b64 s[0:1], s[0:1], exec
	s_and_b64 s[12:13], s[12:13], exec
	v_mov_b32_e32 v18, 0
	s_or_b64 s[0:1], s[0:1], s[12:13]
	s_or_b64 exec, exec, s[10:11]
	v_mov_b32_e32 v8, v19
	s_and_saveexec_b64 s[10:11], s[0:1]
	s_cbranch_execnz .LBB301_420
	s_branch .LBB301_421
.LBB301_551:                            ;   in Loop: Header=BB301_299 Depth=1
	v_cmp_eq_u16_e64 s[0:1], s20, v8
	s_mov_b64 s[10:11], -1
                                        ; implicit-def: $sgpr31
	s_and_saveexec_b64 s[16:17], s[0:1]
; %bb.552:                              ;   in Loop: Header=BB301_299 Depth=1
	s_mov_b32 s31, 0x7fc02000
	s_xor_b64 s[10:11], exec, -1
; %bb.553:                              ;   in Loop: Header=BB301_299 Depth=1
	s_or_b64 exec, exec, s[16:17]
	s_and_b64 s[10:11], s[10:11], exec
	s_or_saveexec_b64 s[12:13], s[12:13]
	v_mov_b32_e32 v43, s31
	s_xor_b64 exec, exec, s[12:13]
	s_cbranch_execz .LBB301_423
.LBB301_554:                            ;   in Loop: Header=BB301_299 Depth=1
	v_cmp_ne_u16_e64 s[0:1], 0, v8
	s_andn2_b64 s[10:11], s[10:11], exec
	s_and_b64 s[0:1], s[0:1], exec
	v_mov_b32_e32 v43, 0
	s_or_b64 s[10:11], s[10:11], s[0:1]
	s_or_b64 exec, exec, s[12:13]
	s_and_saveexec_b64 s[12:13], s[10:11]
	s_cbranch_execnz .LBB301_424
	s_branch .LBB301_425
.LBB301_555:                            ;   in Loop: Header=BB301_299 Depth=1
	v_cmp_eq_u16_sdwa s[34:35], v8, s20 src0_sel:BYTE_0 src1_sel:DWORD
	s_mov_b64 s[0:1], -1
                                        ; implicit-def: $sgpr16
	s_and_saveexec_b64 s[12:13], s[34:35]
; %bb.556:                              ;   in Loop: Header=BB301_299 Depth=1
	s_mov_b32 s16, 0x7fc02000
	s_xor_b64 s[0:1], exec, -1
; %bb.557:                              ;   in Loop: Header=BB301_299 Depth=1
	s_or_b64 exec, exec, s[12:13]
	s_and_b64 s[0:1], s[0:1], exec
	s_or_saveexec_b64 s[10:11], s[10:11]
	v_mov_b32_e32 v44, s16
	s_xor_b64 exec, exec, s[10:11]
	s_cbranch_execz .LBB301_427
.LBB301_558:                            ;   in Loop: Header=BB301_299 Depth=1
	v_cmp_ne_u16_sdwa s[12:13], v8, v9 src0_sel:BYTE_0 src1_sel:DWORD
	s_andn2_b64 s[0:1], s[0:1], exec
	s_and_b64 s[12:13], s[12:13], exec
	v_mov_b32_e32 v44, 0
	s_or_b64 s[0:1], s[0:1], s[12:13]
	s_or_b64 exec, exec, s[10:11]
	s_and_saveexec_b64 s[10:11], s[0:1]
	s_cbranch_execnz .LBB301_428
	s_branch .LBB301_429
.LBB301_559:                            ;   in Loop: Header=BB301_299 Depth=1
	v_cmp_eq_u16_e64 s[0:1], s20, v8
	s_mov_b64 s[10:11], -1
                                        ; implicit-def: $sgpr31
	s_and_saveexec_b64 s[16:17], s[0:1]
; %bb.560:                              ;   in Loop: Header=BB301_299 Depth=1
	s_mov_b32 s31, 0x7fc02000
	s_xor_b64 s[10:11], exec, -1
; %bb.561:                              ;   in Loop: Header=BB301_299 Depth=1
	s_or_b64 exec, exec, s[16:17]
	s_and_b64 s[10:11], s[10:11], exec
	s_or_saveexec_b64 s[12:13], s[12:13]
	v_mov_b32_e32 v45, s31
	s_xor_b64 exec, exec, s[12:13]
	s_cbranch_execz .LBB301_431
.LBB301_562:                            ;   in Loop: Header=BB301_299 Depth=1
	v_cmp_ne_u16_e64 s[0:1], 0, v8
	s_andn2_b64 s[10:11], s[10:11], exec
	s_and_b64 s[0:1], s[0:1], exec
	v_mov_b32_e32 v45, 0
	s_or_b64 s[10:11], s[10:11], s[0:1]
	s_or_b64 exec, exec, s[12:13]
	s_and_saveexec_b64 s[12:13], s[10:11]
	s_cbranch_execnz .LBB301_432
	s_branch .LBB301_433
.LBB301_563:
	s_or_b64 exec, exec, s[8:9]
.LBB301_564:
	s_or_b64 exec, exec, s[2:3]
	ds_bpermute_b32 v2, v17, v6
	ds_bpermute_b32 v3, v17, v7
	;; [unrolled: 1-line block ×4, first 2 shown]
	s_waitcnt lgkmcnt(0)
	s_barrier
	v_pk_add_f32 v[2:3], v[6:7], v[2:3]
	ds_bpermute_b32 v6, v24, v2
	ds_bpermute_b32 v7, v24, v3
	v_pk_add_f32 v[8:9], v[4:5], v[8:9]
	ds_bpermute_b32 v10, v24, v8
	ds_bpermute_b32 v11, v24, v9
	s_waitcnt lgkmcnt(0)
	v_pk_add_f32 v[4:5], v[2:3], v[6:7]
	v_and_b32_e32 v6, 0x3c3, v0
	v_cmp_eq_u32_e32 vcc, 64, v6
	v_pk_add_f32 v[2:3], v[8:9], v[10:11]
	s_and_saveexec_b64 s[0:1], vcc
	s_cbranch_execz .LBB301_566
; %bb.565:
	v_add_u32_e32 v1, 0x90, v1
	ds_write2_b32 v1, v4, v5 offset1:16
	ds_write2_b32 v1, v2, v3 offset0:32 offset1:48
.LBB301_566:
	s_or_b64 exec, exec, s[0:1]
	v_cmp_gt_u32_e32 vcc, 64, v0
	s_waitcnt lgkmcnt(0)
	s_barrier
	s_and_saveexec_b64 s[0:1], vcc
	s_cbranch_execz .LBB301_573
; %bb.567:
	v_cmp_eq_u32_e32 vcc, 0, v25
	v_lshrrev_b32_e32 v1, 2, v0
	s_and_saveexec_b64 s[2:3], vcc
	s_cbranch_execnz .LBB301_576
; %bb.568:
	s_or_b64 exec, exec, s[2:3]
	s_and_saveexec_b64 s[2:3], vcc
	s_cbranch_execnz .LBB301_577
.LBB301_569:
	s_or_b64 exec, exec, s[2:3]
	s_and_saveexec_b64 s[2:3], vcc
	s_cbranch_execnz .LBB301_578
.LBB301_570:
	s_or_b64 exec, exec, s[2:3]
	s_and_saveexec_b64 s[2:3], vcc
	s_cbranch_execz .LBB301_572
.LBB301_571:
	v_mov_b32_e32 v7, 0x90
	v_lshl_add_u32 v1, v1, 2, v7
	ds_read_b32 v1, v1 offset:192
	s_waitcnt lgkmcnt(0)
	v_add_f32_e32 v3, v3, v1
.LBB301_572:
	s_or_b64 exec, exec, s[2:3]
.LBB301_573:
	s_or_b64 exec, exec, s[0:1]
	v_cmp_eq_u32_e32 vcc, 0, v6
	s_barrier
	s_and_saveexec_b64 s[0:1], vcc
	s_cbranch_execz .LBB301_575
; %bb.574:
	s_lshl_b32 s0, s6, 6
	s_ashr_i32 s1, s0, 31
	s_lshl_b64 s[0:1], s[0:1], 1
	s_add_u32 s2, s26, s0
	s_mul_i32 s0, s25, s24
	s_addc_u32 s3, s27, s1
	s_ashr_i32 s1, s0, 31
	s_lshl_b64 s[0:1], s[0:1], 1
	s_add_u32 s2, s2, s0
	s_addc_u32 s3, s3, s1
	s_lshl_b32 s0, s4, 6
	s_ashr_i32 s1, s0, 31
	s_lshl_b64 s[0:1], s[0:1], 1
	s_add_u32 s0, s2, s0
	s_addc_u32 s1, s3, s1
	v_lshrrev_b32_e32 v0, 1, v0
	;;#ASMSTART
	v_cvt_f16_f32 v1, v4;

	;;#ASMEND
	global_store_short v0, v1, s[0:1]
	;;#ASMSTART
	v_cvt_f16_f32 v1, v5;

	;;#ASMEND
	global_store_short v0, v1, s[0:1] offset:32
	;;#ASMSTART
	v_cvt_f16_f32 v1, v2;

	;;#ASMEND
	global_store_short v0, v1, s[0:1] offset:64
	;; [unrolled: 5-line block ×3, first 2 shown]
.LBB301_575:
	s_endpgm
.LBB301_576:
	v_mov_b32_e32 v7, 0x90
	v_lshl_add_u32 v7, v1, 2, v7
	ds_read_b32 v7, v7
	s_waitcnt lgkmcnt(0)
	v_add_f32_e32 v4, v4, v7
	s_or_b64 exec, exec, s[2:3]
	s_and_saveexec_b64 s[2:3], vcc
	s_cbranch_execz .LBB301_569
.LBB301_577:
	v_mov_b32_e32 v7, 0x90
	v_lshl_add_u32 v7, v1, 2, v7
	ds_read_b32 v7, v7 offset:64
	s_waitcnt lgkmcnt(0)
	v_add_f32_e32 v5, v5, v7
	s_or_b64 exec, exec, s[2:3]
	s_and_saveexec_b64 s[2:3], vcc
	s_cbranch_execz .LBB301_570
.LBB301_578:
	v_mov_b32_e32 v7, 0x90
	v_lshl_add_u32 v7, v1, 2, v7
	ds_read_b32 v7, v7 offset:128
	s_waitcnt lgkmcnt(0)
	v_add_f32_e32 v2, v2, v7
	s_or_b64 exec, exec, s[2:3]
	s_and_saveexec_b64 s[2:3], vcc
	s_cbranch_execnz .LBB301_571
	s_branch .LBB301_572
	.section	.rodata,"a",@progbits
	.p2align	6, 0x0
	.amdhsa_kernel _ZN4vllm25paged_attention_v2_kernelIthLi64ELi32ELi128ELNS_18Fp8KVCacheDataTypeE1ELb0ELi512EEEvPfS2_PT_PKS3_PKT0_S9_ifPKiSB_iPKfiiiSD_SD_iiiii
		.amdhsa_group_segment_fixed_size 144
		.amdhsa_private_segment_fixed_size 0
		.amdhsa_kernarg_size 400
		.amdhsa_user_sgpr_count 2
		.amdhsa_user_sgpr_dispatch_ptr 0
		.amdhsa_user_sgpr_queue_ptr 0
		.amdhsa_user_sgpr_kernarg_segment_ptr 1
		.amdhsa_user_sgpr_dispatch_id 0
		.amdhsa_user_sgpr_kernarg_preload_length 0
		.amdhsa_user_sgpr_kernarg_preload_offset 0
		.amdhsa_user_sgpr_private_segment_size 0
		.amdhsa_uses_dynamic_stack 0
		.amdhsa_enable_private_segment 0
		.amdhsa_system_sgpr_workgroup_id_x 1
		.amdhsa_system_sgpr_workgroup_id_y 1
		.amdhsa_system_sgpr_workgroup_id_z 1
		.amdhsa_system_sgpr_workgroup_info 0
		.amdhsa_system_vgpr_workitem_id 0
		.amdhsa_next_free_vgpr 60
		.amdhsa_next_free_sgpr 56
		.amdhsa_accum_offset 60
		.amdhsa_reserve_vcc 1
		.amdhsa_float_round_mode_32 0
		.amdhsa_float_round_mode_16_64 0
		.amdhsa_float_denorm_mode_32 3
		.amdhsa_float_denorm_mode_16_64 3
		.amdhsa_dx10_clamp 1
		.amdhsa_ieee_mode 1
		.amdhsa_fp16_overflow 0
		.amdhsa_tg_split 0
		.amdhsa_exception_fp_ieee_invalid_op 0
		.amdhsa_exception_fp_denorm_src 0
		.amdhsa_exception_fp_ieee_div_zero 0
		.amdhsa_exception_fp_ieee_overflow 0
		.amdhsa_exception_fp_ieee_underflow 0
		.amdhsa_exception_fp_ieee_inexact 0
		.amdhsa_exception_int_div_zero 0
	.end_amdhsa_kernel
	.section	.text._ZN4vllm25paged_attention_v2_kernelIthLi64ELi32ELi128ELNS_18Fp8KVCacheDataTypeE1ELb0ELi512EEEvPfS2_PT_PKS3_PKT0_S9_ifPKiSB_iPKfiiiSD_SD_iiiii,"axG",@progbits,_ZN4vllm25paged_attention_v2_kernelIthLi64ELi32ELi128ELNS_18Fp8KVCacheDataTypeE1ELb0ELi512EEEvPfS2_PT_PKS3_PKT0_S9_ifPKiSB_iPKfiiiSD_SD_iiiii,comdat
.Lfunc_end301:
	.size	_ZN4vllm25paged_attention_v2_kernelIthLi64ELi32ELi128ELNS_18Fp8KVCacheDataTypeE1ELb0ELi512EEEvPfS2_PT_PKS3_PKT0_S9_ifPKiSB_iPKfiiiSD_SD_iiiii, .Lfunc_end301-_ZN4vllm25paged_attention_v2_kernelIthLi64ELi32ELi128ELNS_18Fp8KVCacheDataTypeE1ELb0ELi512EEEvPfS2_PT_PKS3_PKT0_S9_ifPKiSB_iPKfiiiSD_SD_iiiii
                                        ; -- End function
	.section	.AMDGPU.csdata,"",@progbits
; Kernel info:
; codeLenInByte = 22788
; NumSgprs: 62
; NumVgprs: 60
; NumAgprs: 0
; TotalNumVgprs: 60
; ScratchSize: 0
; MemoryBound: 0
; FloatMode: 240
; IeeeMode: 1
; LDSByteSize: 144 bytes/workgroup (compile time only)
; SGPRBlocks: 7
; VGPRBlocks: 7
; NumSGPRsForWavesPerEU: 62
; NumVGPRsForWavesPerEU: 60
; AccumOffset: 60
; Occupancy: 8
; WaveLimiterHint : 1
; COMPUTE_PGM_RSRC2:SCRATCH_EN: 0
; COMPUTE_PGM_RSRC2:USER_SGPR: 2
; COMPUTE_PGM_RSRC2:TRAP_HANDLER: 0
; COMPUTE_PGM_RSRC2:TGID_X_EN: 1
; COMPUTE_PGM_RSRC2:TGID_Y_EN: 1
; COMPUTE_PGM_RSRC2:TGID_Z_EN: 1
; COMPUTE_PGM_RSRC2:TIDIG_COMP_CNT: 0
; COMPUTE_PGM_RSRC3_GFX90A:ACCUM_OFFSET: 14
; COMPUTE_PGM_RSRC3_GFX90A:TG_SPLIT: 0
	.section	.text._ZN4vllm25paged_attention_v2_kernelIthLi80ELi32ELi128ELNS_18Fp8KVCacheDataTypeE1ELb0ELi512EEEvPfS2_PT_PKS3_PKT0_S9_ifPKiSB_iPKfiiiSD_SD_iiiii,"axG",@progbits,_ZN4vllm25paged_attention_v2_kernelIthLi80ELi32ELi128ELNS_18Fp8KVCacheDataTypeE1ELb0ELi512EEEvPfS2_PT_PKS3_PKT0_S9_ifPKiSB_iPKfiiiSD_SD_iiiii,comdat
	.protected	_ZN4vllm25paged_attention_v2_kernelIthLi80ELi32ELi128ELNS_18Fp8KVCacheDataTypeE1ELb0ELi512EEEvPfS2_PT_PKS3_PKT0_S9_ifPKiSB_iPKfiiiSD_SD_iiiii ; -- Begin function _ZN4vllm25paged_attention_v2_kernelIthLi80ELi32ELi128ELNS_18Fp8KVCacheDataTypeE1ELb0ELi512EEEvPfS2_PT_PKS3_PKT0_S9_ifPKiSB_iPKfiiiSD_SD_iiiii
	.globl	_ZN4vllm25paged_attention_v2_kernelIthLi80ELi32ELi128ELNS_18Fp8KVCacheDataTypeE1ELb0ELi512EEEvPfS2_PT_PKS3_PKT0_S9_ifPKiSB_iPKfiiiSD_SD_iiiii
	.p2align	8
	.type	_ZN4vllm25paged_attention_v2_kernelIthLi80ELi32ELi128ELNS_18Fp8KVCacheDataTypeE1ELb0ELi512EEEvPfS2_PT_PKS3_PKT0_S9_ifPKiSB_iPKfiiiSD_SD_iiiii,@function
_ZN4vllm25paged_attention_v2_kernelIthLi80ELi32ELi128ELNS_18Fp8KVCacheDataTypeE1ELb0ELi512EEEvPfS2_PT_PKS3_PKT0_S9_ifPKiSB_iPKfiiiSD_SD_iiiii: ; @_ZN4vllm25paged_attention_v2_kernelIthLi80ELi32ELi128ELNS_18Fp8KVCacheDataTypeE1ELb0ELi512EEEvPfS2_PT_PKS3_PKT0_S9_ifPKiSB_iPKfiiiSD_SD_iiiii
; %bb.0:
	s_load_dwordx2 s[6:7], s[0:1], 0x40
	s_mov_b32 s28, s3
	s_ashr_i32 s29, s3, 31
	s_lshl_b64 s[8:9], s[28:29], 2
	s_waitcnt lgkmcnt(0)
	s_add_u32 s6, s6, s8
	s_addc_u32 s7, s7, s9
	s_load_dword s29, s[6:7], 0x0
	s_lshl_b32 s46, s4, 9
	s_waitcnt lgkmcnt(0)
	s_cmp_ge_i32 s46, s29
	s_cbranch_scc1 .LBB302_706
; %bb.1:
	s_load_dword s5, s[0:1], 0x90
	s_load_dwordx2 s[10:11], s[0:1], 0x30
	s_waitcnt lgkmcnt(0)
	s_abs_i32 s7, s5
	s_abs_i32 s3, s10
	v_cvt_f32_u32_e32 v1, s3
	s_sub_i32 s8, 0, s3
	s_xor_b32 s6, s5, s10
	s_ashr_i32 s6, s6, 31
	v_rcp_iflag_f32_e32 v1, v1
	s_nop 0
	v_mul_f32_e32 v1, 0x4f7ffffe, v1
	v_cvt_u32_f32_e32 v1, v1
	s_nop 0
	v_readfirstlane_b32 s9, v1
	s_mul_i32 s8, s8, s9
	s_mul_hi_u32 s8, s9, s8
	s_add_i32 s9, s9, s8
	s_mul_hi_u32 s8, s7, s9
	s_mul_i32 s9, s8, s3
	s_sub_i32 s7, s7, s9
	s_add_i32 s10, s8, 1
	s_sub_i32 s9, s7, s3
	s_cmp_ge_u32 s7, s3
	s_cselect_b32 s8, s10, s8
	s_cselect_b32 s7, s9, s7
	s_add_i32 s9, s8, 1
	s_cmp_ge_u32 s7, s3
	s_cselect_b32 s3, s9, s8
	s_xor_b32 s3, s3, s6
	s_sub_i32 s14, s3, s6
	s_abs_i32 s8, s14
	v_cvt_f32_u32_e32 v1, s8
	s_load_dwordx2 s[6:7], s[0:1], 0x50
	s_sub_i32 s3, 0, s8
	s_abs_i32 s9, s2
	v_rcp_iflag_f32_e32 v1, v1
	s_mov_b32 s10, 0
	v_mul_f32_e32 v1, 0x4f7ffffe, v1
	v_cvt_u32_f32_e32 v1, v1
	s_nop 0
	v_readfirstlane_b32 s12, v1
	s_mul_i32 s3, s3, s12
	s_mul_hi_u32 s3, s12, s3
	s_add_i32 s12, s12, s3
	s_waitcnt lgkmcnt(0)
	s_cmp_eq_u64 s[6:7], 0
	s_mul_hi_u32 s12, s9, s12
	s_cbranch_scc1 .LBB302_3
; %bb.2:
	s_ashr_i32 s3, s2, 31
	s_lshl_b64 s[16:17], s[2:3], 2
	s_add_u32 s6, s6, s16
	s_addc_u32 s7, s7, s17
	s_load_dword s10, s[6:7], 0x0
.LBB302_3:
	s_load_dwordx4 s[16:19], s[0:1], 0x58
	s_ashr_i32 s13, s2, 31
	s_ashr_i32 s14, s14, 31
	v_and_b32_e32 v9, 1, v0
	s_movk_i32 s3, 0x50
	s_mul_i32 s24, s2, 0x50
	v_cmp_gt_u32_e32 vcc, 20, v0
	v_lshlrev_b32_e32 v15, 3, v0
	s_and_saveexec_b64 s[6:7], vcc
	s_cbranch_execz .LBB302_5
; %bb.4:
	s_load_dwordx2 s[20:21], s[0:1], 0x18
	s_waitcnt lgkmcnt(0)
	s_mul_i32 s22, s28, s16
	s_ashr_i32 s23, s22, 31
	s_lshl_b64 s[22:23], s[22:23], 1
	v_lshlrev_b32_e32 v1, 2, v0
	s_add_u32 s15, s20, s22
	s_addc_u32 s16, s21, s23
	s_ashr_i32 s25, s24, 31
	s_lshl_b64 s[20:21], s[24:25], 1
	s_add_u32 s20, s15, s20
	s_addc_u32 s21, s16, s21
	global_load_dwordx2 v[2:3], v15, s[20:21]
	v_and_b32_e32 v1, 0xff8, v1
	v_mad_u32_u24 v1, v9, s3, v1
	s_waitcnt vmcnt(0)
	ds_write_b64 v1, v[2:3]
.LBB302_5:
	s_or_b64 exec, exec, s[6:7]
	s_add_i32 s3, s29, 31
	s_ashr_i32 s6, s3, 31
	s_lshr_b32 s6, s6, 27
	s_add_i32 s3, s3, s6
	s_waitcnt lgkmcnt(0)
	s_ashr_i32 s16, s3, 5
	s_lshl_b32 s3, s4, 4
	s_mul_i32 s7, s12, s8
	s_add_i32 s6, s3, 16
	s_sub_i32 s7, s9, s7
	s_min_i32 s33, s6, s16
	s_xor_b32 s6, s13, s14
	s_add_i32 s9, s12, 1
	s_sub_i32 s13, s7, s8
	s_cmp_ge_u32 s7, s8
	s_cselect_b32 s9, s9, s12
	s_cselect_b32 s7, s13, s7
	s_add_i32 s12, s9, 1
	s_cmp_ge_u32 s7, s8
	s_load_dwordx2 s[30:31], s[0:1], 0x38
	s_load_dword s8, s[0:1], 0x48
	v_lshrrev_b32_e32 v16, 6, v0
	s_cselect_b32 s7, s12, s9
	s_xor_b32 s7, s7, s6
	v_or_b32_e32 v2, s3, v16
	s_waitcnt lgkmcnt(0)
	s_mul_i32 s34, s28, s8
	s_sub_i32 s47, s7, s6
	s_ashr_i32 s35, s34, 31
	v_cmp_gt_i32_e64 s[8:9], s33, v2
	v_cmp_le_i32_e32 vcc, s33, v2
	v_mbcnt_lo_u32_b32 v12, -1, 0
	s_barrier
	s_waitcnt lgkmcnt(0)
                                        ; implicit-def: $sgpr19
                                        ; implicit-def: $vgpr19
                                        ; implicit-def: $vgpr4
	s_and_saveexec_b64 s[6:7], vcc
	s_xor_b64 s[6:7], exec, s[6:7]
; %bb.6:
	v_mbcnt_hi_u32_b32 v19, -1, v12
	v_and_b32_e32 v1, 64, v19
	v_add_u32_e32 v4, 64, v1
	s_mov_b32 s19, 0xff7fffff
                                        ; implicit-def: $vgpr9
                                        ; implicit-def: $vgpr12
; %bb.7:
	s_or_saveexec_b64 s[38:39], s[6:7]
	s_load_dwordx4 s[20:23], s[0:1], 0x0
	s_load_dwordx2 s[26:27], s[0:1], 0x10
	s_load_dword s25, s[0:1], 0x98
	s_load_dwordx2 s[36:37], s[0:1], 0x28
	s_load_dwordx4 s[12:15], s[0:1], 0x68
	v_mov_b32_e32 v1, s19
	s_mul_i32 s47, s47, s18
	v_ashrrev_i32_e32 v3, 31, v2
	v_lshlrev_b32_e32 v18, 5, v16
	s_xor_b64 exec, exec, s[38:39]
	s_cbranch_execz .LBB302_333
; %bb.8:
	s_load_dwordx2 s[0:1], s[0:1], 0x20
	s_ashr_i32 s6, s47, 31
	v_bfe_u32 v1, v0, 1, 5
	v_lshlrev_b32_e32 v4, 4, v1
	v_mov_b32_e32 v5, 0
	s_waitcnt lgkmcnt(0)
	s_add_u32 s0, s0, s47
	s_addc_u32 s1, s1, s6
	v_lshl_add_u64 v[6:7], s[0:1], 0, v[4:5]
	s_sub_i32 s49, 1, s29
	s_lshl_b64 s[0:1], s[34:35], 2
	v_add3_u32 v20, s46, v18, v1
	v_lshlrev_b32_e32 v1, 2, v1
	s_add_u32 s0, s30, s0
	v_lshl_or_b32 v1, v16, 7, v1
	s_addc_u32 s1, s31, s1
	s_mov_b32 s48, s17
	v_lshlrev_b32_e32 v8, 2, v9
	v_mul_u32_u24_e32 v17, 0x50, v9
	v_cmp_eq_u32_e32 vcc, 0, v9
	v_cmp_neq_f32_e64 s[6:7], s10, 0
	v_mov_b32_e32 v9, v5
	v_add_u32_e32 v21, 0xb0, v1
	v_lshl_add_u64 v[10:11], v[2:3], 2, s[0:1]
	s_mov_b64 s[18:19], 0
	v_mov_b32_e32 v1, 0xff7fffff
	s_movk_i32 s50, 0x7f
	s_movk_i32 s51, 0x80
	s_mov_b32 s52, 0x8000
	v_mbcnt_hi_u32_b32 v19, -1, v12
	v_mov_b32_e32 v22, 0x1c00
	v_mov_b32_e32 v23, v2
	s_branch .LBB302_10
.LBB302_9:                              ;   in Loop: Header=BB302_10 Depth=1
	s_or_b64 exec, exec, s[40:41]
	v_add_u32_e32 v23, 2, v23
	v_cmp_le_i32_e64 s[0:1], s33, v23
	v_add_u32_e32 v20, 64, v20
	v_add_u32_e32 v21, 0x100, v21
	s_or_b64 s[18:19], s[0:1], s[18:19]
	v_lshl_add_u64 v[10:11], v[10:11], 0, 8
	s_andn2_b64 exec, exec, s[18:19]
	s_cbranch_execz .LBB302_332
.LBB302_10:                             ; =>This Inner Loop Header: Depth=1
	global_load_dword v4, v[10:11], off
                                        ; implicit-def: $sgpr44
	s_waitcnt vmcnt(0) lgkmcnt(0)
	v_mad_i64_i32 v[12:13], s[0:1], v4, s48, v[6:7]
	v_lshl_add_u64 v[12:13], v[12:13], 0, v[8:9]
	global_load_dword v14, v[12:13], off
	global_load_dword v24, v5, s[12:13]
	s_mov_b64 s[0:1], 0
	s_waitcnt vmcnt(1)
	v_cmp_gt_i16_sdwa s[40:41], v14, s50 src0_sel:BYTE_0 src1_sel:DWORD
	s_and_saveexec_b64 s[42:43], s[40:41]
	s_xor_b64 s[40:41], exec, s[42:43]
	s_cbranch_execnz .LBB302_172
; %bb.11:                               ;   in Loop: Header=BB302_10 Depth=1
	s_or_saveexec_b64 s[40:41], s[40:41]
	v_mov_b32_e32 v25, s44
	s_xor_b64 exec, exec, s[40:41]
	s_cbranch_execnz .LBB302_175
.LBB302_12:                             ;   in Loop: Header=BB302_10 Depth=1
	s_or_b64 exec, exec, s[40:41]
	s_and_saveexec_b64 s[40:41], s[0:1]
	s_cbranch_execz .LBB302_14
.LBB302_13:                             ;   in Loop: Header=BB302_10 Depth=1
	v_and_b32_e32 v4, 7, v14
	v_ffbh_u32_e32 v26, v4
	v_min_u32_e32 v28, 32, v26
	v_subrev_u32_e32 v26, 28, v28
	v_bfe_u32 v25, v14, 3, 4
	v_lshlrev_b64 v[26:27], v26, v[14:15]
	v_sub_u32_e32 v27, 29, v28
	v_cmp_eq_u32_e64 s[0:1], 0, v25
	v_and_b32_e32 v26, 7, v26
	s_nop 0
	v_cndmask_b32_e64 v25, v25, v27, s[0:1]
	v_cndmask_b32_e64 v4, v4, v26, s[0:1]
	v_lshlrev_b32_e32 v26, 8, v14
	v_lshl_add_u32 v25, v25, 10, v22
	v_and_or_b32 v25, v26, s52, v25
	v_lshl_or_b32 v4, v4, 7, v25
	v_cvt_f32_f16_e32 v25, v4
.LBB302_14:                             ;   in Loop: Header=BB302_10 Depth=1
	s_or_b64 exec, exec, s[40:41]
	v_lshrrev_b16_e32 v4, 8, v14
	v_cmp_lt_i16_e64 s[0:1], s50, v4
	s_mov_b64 s[40:41], 0
                                        ; implicit-def: $sgpr53
	s_and_saveexec_b64 s[42:43], s[0:1]
	s_xor_b64 s[42:43], exec, s[42:43]
	s_cbranch_execnz .LBB302_176
; %bb.15:                               ;   in Loop: Header=BB302_10 Depth=1
	s_or_saveexec_b64 s[42:43], s[42:43]
	v_mov_b32_e32 v26, s53
	s_xor_b64 exec, exec, s[42:43]
	s_cbranch_execnz .LBB302_179
.LBB302_16:                             ;   in Loop: Header=BB302_10 Depth=1
	s_or_b64 exec, exec, s[42:43]
	s_and_saveexec_b64 s[42:43], s[40:41]
	s_cbranch_execz .LBB302_18
.LBB302_17:                             ;   in Loop: Header=BB302_10 Depth=1
	v_and_b32_e32 v28, 7, v4
	v_ffbh_u32_e32 v26, v28
	v_min_u32_e32 v30, 32, v26
	v_subrev_u32_e32 v26, 28, v30
	v_bfe_u32 v29, v4, 3, 4
	v_lshlrev_b64 v[26:27], v26, v[4:5]
	v_sub_u32_e32 v27, 29, v30
	v_cmp_eq_u32_e64 s[0:1], 0, v29
	v_and_b32_e32 v26, 7, v26
	v_lshlrev_b32_e32 v4, 8, v4
	v_cndmask_b32_e64 v27, v29, v27, s[0:1]
	v_lshl_add_u32 v27, v27, 10, v22
	v_cndmask_b32_e64 v26, v28, v26, s[0:1]
	v_and_or_b32 v4, v4, s52, v27
	v_lshl_or_b32 v4, v26, 7, v4
	v_cvt_f32_f16_e32 v26, v4
.LBB302_18:                             ;   in Loop: Header=BB302_10 Depth=1
	s_or_b64 exec, exec, s[42:43]
	v_lshrrev_b32_e32 v4, 16, v14
	v_cmp_gt_i16_sdwa s[40:41], v4, s50 src0_sel:BYTE_0 src1_sel:DWORD
	s_mov_b64 s[0:1], 0
                                        ; implicit-def: $sgpr44
	s_and_saveexec_b64 s[42:43], s[40:41]
	s_xor_b64 s[40:41], exec, s[42:43]
	s_cbranch_execnz .LBB302_180
; %bb.19:                               ;   in Loop: Header=BB302_10 Depth=1
	s_or_saveexec_b64 s[40:41], s[40:41]
	v_mov_b32_e32 v27, s44
	s_xor_b64 exec, exec, s[40:41]
	s_cbranch_execnz .LBB302_183
.LBB302_20:                             ;   in Loop: Header=BB302_10 Depth=1
	s_or_b64 exec, exec, s[40:41]
	s_and_saveexec_b64 s[40:41], s[0:1]
	s_cbranch_execz .LBB302_22
.LBB302_21:                             ;   in Loop: Header=BB302_10 Depth=1
	v_bfe_u32 v27, v14, 16, 3
	v_ffbh_u32_e32 v28, v27
	v_min_u32_e32 v31, 32, v28
	v_subrev_u32_e32 v28, 28, v31
	v_bfe_u32 v30, v14, 19, 4
	v_lshlrev_b64 v[28:29], v28, v[4:5]
	v_sub_u32_e32 v29, 29, v31
	v_cmp_eq_u32_e64 s[0:1], 0, v30
	v_and_b32_e32 v28, 7, v28
	v_lshlrev_b32_e32 v4, 8, v4
	v_cndmask_b32_e64 v29, v30, v29, s[0:1]
	v_cndmask_b32_e64 v27, v27, v28, s[0:1]
	v_lshl_add_u32 v28, v29, 10, v22
	v_and_or_b32 v4, v4, s52, v28
	v_lshl_or_b32 v4, v27, 7, v4
	v_cvt_f32_f16_e32 v27, v4
.LBB302_22:                             ;   in Loop: Header=BB302_10 Depth=1
	s_or_b64 exec, exec, s[40:41]
	v_lshrrev_b32_e32 v4, 24, v14
	v_cmp_lt_i16_e64 s[0:1], s50, v4
	s_mov_b64 s[40:41], 0
                                        ; implicit-def: $sgpr53
	s_and_saveexec_b64 s[42:43], s[0:1]
	s_xor_b64 s[42:43], exec, s[42:43]
	s_cbranch_execnz .LBB302_184
; %bb.23:                               ;   in Loop: Header=BB302_10 Depth=1
	s_or_saveexec_b64 s[42:43], s[42:43]
	v_mov_b32_e32 v28, s53
	s_xor_b64 exec, exec, s[42:43]
	s_cbranch_execnz .LBB302_187
.LBB302_24:                             ;   in Loop: Header=BB302_10 Depth=1
	s_or_b64 exec, exec, s[42:43]
	s_and_saveexec_b64 s[42:43], s[40:41]
	s_cbranch_execz .LBB302_26
.LBB302_25:                             ;   in Loop: Header=BB302_10 Depth=1
	v_bfe_u32 v30, v14, 24, 3
	v_ffbh_u32_e32 v28, v30
	v_min_u32_e32 v31, 32, v28
	v_subrev_u32_e32 v28, 28, v31
	v_bfe_u32 v14, v14, 27, 4
	v_lshlrev_b64 v[28:29], v28, v[4:5]
	v_sub_u32_e32 v29, 29, v31
	v_cmp_eq_u32_e64 s[0:1], 0, v14
	v_and_b32_e32 v28, 7, v28
	v_lshlrev_b32_e32 v4, 8, v4
	v_cndmask_b32_e64 v14, v14, v29, s[0:1]
	v_lshl_add_u32 v14, v14, 10, v22
	v_cndmask_b32_e64 v28, v30, v28, s[0:1]
	v_and_or_b32 v4, v4, s52, v14
	v_lshl_or_b32 v4, v28, 7, v4
	v_cvt_f32_f16_e32 v28, v4
.LBB302_26:                             ;   in Loop: Header=BB302_10 Depth=1
	s_or_b64 exec, exec, s[42:43]
	global_load_dword v14, v[12:13], off offset:8
	s_mov_b64 s[0:1], 0
                                        ; implicit-def: $sgpr44
	s_waitcnt vmcnt(0)
	v_cmp_gt_i16_sdwa s[40:41], v14, s50 src0_sel:BYTE_0 src1_sel:DWORD
	s_and_saveexec_b64 s[42:43], s[40:41]
	s_xor_b64 s[40:41], exec, s[42:43]
	s_cbranch_execnz .LBB302_188
; %bb.27:                               ;   in Loop: Header=BB302_10 Depth=1
	s_or_saveexec_b64 s[40:41], s[40:41]
	v_mov_b32_e32 v29, s44
	s_xor_b64 exec, exec, s[40:41]
	s_cbranch_execnz .LBB302_191
.LBB302_28:                             ;   in Loop: Header=BB302_10 Depth=1
	s_or_b64 exec, exec, s[40:41]
	s_and_saveexec_b64 s[40:41], s[0:1]
	s_cbranch_execz .LBB302_30
.LBB302_29:                             ;   in Loop: Header=BB302_10 Depth=1
	v_and_b32_e32 v4, 7, v14
	v_ffbh_u32_e32 v30, v4
	v_min_u32_e32 v32, 32, v30
	v_subrev_u32_e32 v30, 28, v32
	v_bfe_u32 v29, v14, 3, 4
	v_lshlrev_b64 v[30:31], v30, v[14:15]
	v_sub_u32_e32 v31, 29, v32
	v_cmp_eq_u32_e64 s[0:1], 0, v29
	v_and_b32_e32 v30, 7, v30
	s_nop 0
	v_cndmask_b32_e64 v29, v29, v31, s[0:1]
	v_cndmask_b32_e64 v4, v4, v30, s[0:1]
	v_lshlrev_b32_e32 v30, 8, v14
	v_lshl_add_u32 v29, v29, 10, v22
	v_and_or_b32 v29, v30, s52, v29
	v_lshl_or_b32 v4, v4, 7, v29
	v_cvt_f32_f16_e32 v29, v4
.LBB302_30:                             ;   in Loop: Header=BB302_10 Depth=1
	s_or_b64 exec, exec, s[40:41]
	v_lshrrev_b16_e32 v4, 8, v14
	v_cmp_lt_i16_e64 s[0:1], s50, v4
	s_mov_b64 s[40:41], 0
                                        ; implicit-def: $sgpr53
	s_and_saveexec_b64 s[42:43], s[0:1]
	s_xor_b64 s[42:43], exec, s[42:43]
	s_cbranch_execnz .LBB302_192
; %bb.31:                               ;   in Loop: Header=BB302_10 Depth=1
	s_or_saveexec_b64 s[42:43], s[42:43]
	v_mov_b32_e32 v30, s53
	s_xor_b64 exec, exec, s[42:43]
	s_cbranch_execnz .LBB302_195
.LBB302_32:                             ;   in Loop: Header=BB302_10 Depth=1
	s_or_b64 exec, exec, s[42:43]
	s_and_saveexec_b64 s[42:43], s[40:41]
	s_cbranch_execz .LBB302_34
.LBB302_33:                             ;   in Loop: Header=BB302_10 Depth=1
	v_and_b32_e32 v32, 7, v4
	v_ffbh_u32_e32 v30, v32
	v_min_u32_e32 v34, 32, v30
	v_subrev_u32_e32 v30, 28, v34
	v_bfe_u32 v33, v4, 3, 4
	v_lshlrev_b64 v[30:31], v30, v[4:5]
	v_sub_u32_e32 v31, 29, v34
	v_cmp_eq_u32_e64 s[0:1], 0, v33
	v_and_b32_e32 v30, 7, v30
	v_lshlrev_b32_e32 v4, 8, v4
	v_cndmask_b32_e64 v31, v33, v31, s[0:1]
	v_lshl_add_u32 v31, v31, 10, v22
	v_cndmask_b32_e64 v30, v32, v30, s[0:1]
	v_and_or_b32 v4, v4, s52, v31
	v_lshl_or_b32 v4, v30, 7, v4
	v_cvt_f32_f16_e32 v30, v4
.LBB302_34:                             ;   in Loop: Header=BB302_10 Depth=1
	s_or_b64 exec, exec, s[42:43]
	v_lshrrev_b32_e32 v4, 16, v14
	v_cmp_gt_i16_sdwa s[40:41], v4, s50 src0_sel:BYTE_0 src1_sel:DWORD
	s_mov_b64 s[0:1], 0
                                        ; implicit-def: $sgpr44
	s_and_saveexec_b64 s[42:43], s[40:41]
	s_xor_b64 s[40:41], exec, s[42:43]
	s_cbranch_execnz .LBB302_196
; %bb.35:                               ;   in Loop: Header=BB302_10 Depth=1
	s_or_saveexec_b64 s[40:41], s[40:41]
	v_mov_b32_e32 v31, s44
	s_xor_b64 exec, exec, s[40:41]
	s_cbranch_execnz .LBB302_199
.LBB302_36:                             ;   in Loop: Header=BB302_10 Depth=1
	s_or_b64 exec, exec, s[40:41]
	s_and_saveexec_b64 s[40:41], s[0:1]
	s_cbranch_execz .LBB302_38
.LBB302_37:                             ;   in Loop: Header=BB302_10 Depth=1
	v_bfe_u32 v31, v14, 16, 3
	v_ffbh_u32_e32 v32, v31
	v_min_u32_e32 v35, 32, v32
	v_subrev_u32_e32 v32, 28, v35
	v_bfe_u32 v34, v14, 19, 4
	v_lshlrev_b64 v[32:33], v32, v[4:5]
	v_sub_u32_e32 v33, 29, v35
	v_cmp_eq_u32_e64 s[0:1], 0, v34
	v_and_b32_e32 v32, 7, v32
	v_lshlrev_b32_e32 v4, 8, v4
	v_cndmask_b32_e64 v33, v34, v33, s[0:1]
	v_cndmask_b32_e64 v31, v31, v32, s[0:1]
	v_lshl_add_u32 v32, v33, 10, v22
	v_and_or_b32 v4, v4, s52, v32
	v_lshl_or_b32 v4, v31, 7, v4
	v_cvt_f32_f16_e32 v31, v4
.LBB302_38:                             ;   in Loop: Header=BB302_10 Depth=1
	s_or_b64 exec, exec, s[40:41]
	v_lshrrev_b32_e32 v4, 24, v14
	v_cmp_lt_i16_e64 s[0:1], s50, v4
	s_mov_b64 s[40:41], 0
                                        ; implicit-def: $sgpr53
	s_and_saveexec_b64 s[42:43], s[0:1]
	s_xor_b64 s[42:43], exec, s[42:43]
	s_cbranch_execnz .LBB302_200
; %bb.39:                               ;   in Loop: Header=BB302_10 Depth=1
	s_or_saveexec_b64 s[42:43], s[42:43]
	v_mov_b32_e32 v32, s53
	s_xor_b64 exec, exec, s[42:43]
	s_cbranch_execnz .LBB302_203
.LBB302_40:                             ;   in Loop: Header=BB302_10 Depth=1
	s_or_b64 exec, exec, s[42:43]
	s_and_saveexec_b64 s[42:43], s[40:41]
	s_cbranch_execz .LBB302_42
.LBB302_41:                             ;   in Loop: Header=BB302_10 Depth=1
	v_bfe_u32 v34, v14, 24, 3
	v_ffbh_u32_e32 v32, v34
	v_min_u32_e32 v35, 32, v32
	v_subrev_u32_e32 v32, 28, v35
	v_bfe_u32 v14, v14, 27, 4
	v_lshlrev_b64 v[32:33], v32, v[4:5]
	v_sub_u32_e32 v33, 29, v35
	v_cmp_eq_u32_e64 s[0:1], 0, v14
	v_and_b32_e32 v32, 7, v32
	v_lshlrev_b32_e32 v4, 8, v4
	v_cndmask_b32_e64 v14, v14, v33, s[0:1]
	v_lshl_add_u32 v14, v14, 10, v22
	v_cndmask_b32_e64 v32, v34, v32, s[0:1]
	v_and_or_b32 v4, v4, s52, v14
	v_lshl_or_b32 v4, v32, 7, v4
	v_cvt_f32_f16_e32 v32, v4
.LBB302_42:                             ;   in Loop: Header=BB302_10 Depth=1
	s_or_b64 exec, exec, s[42:43]
	global_load_dword v14, v[12:13], off offset:512
	s_mov_b64 s[0:1], 0
                                        ; implicit-def: $sgpr44
	s_waitcnt vmcnt(0)
	v_cmp_gt_i16_sdwa s[40:41], v14, s50 src0_sel:BYTE_0 src1_sel:DWORD
	s_and_saveexec_b64 s[42:43], s[40:41]
	s_xor_b64 s[40:41], exec, s[42:43]
	s_cbranch_execnz .LBB302_204
; %bb.43:                               ;   in Loop: Header=BB302_10 Depth=1
	s_or_saveexec_b64 s[40:41], s[40:41]
	v_mov_b32_e32 v33, s44
	s_xor_b64 exec, exec, s[40:41]
	s_cbranch_execnz .LBB302_207
.LBB302_44:                             ;   in Loop: Header=BB302_10 Depth=1
	s_or_b64 exec, exec, s[40:41]
	s_and_saveexec_b64 s[40:41], s[0:1]
	s_cbranch_execz .LBB302_46
.LBB302_45:                             ;   in Loop: Header=BB302_10 Depth=1
	v_and_b32_e32 v4, 7, v14
	v_ffbh_u32_e32 v34, v4
	v_min_u32_e32 v36, 32, v34
	v_subrev_u32_e32 v34, 28, v36
	v_bfe_u32 v33, v14, 3, 4
	v_lshlrev_b64 v[34:35], v34, v[14:15]
	v_sub_u32_e32 v35, 29, v36
	v_cmp_eq_u32_e64 s[0:1], 0, v33
	v_and_b32_e32 v34, 7, v34
	s_nop 0
	v_cndmask_b32_e64 v33, v33, v35, s[0:1]
	v_cndmask_b32_e64 v4, v4, v34, s[0:1]
	v_lshlrev_b32_e32 v34, 8, v14
	v_lshl_add_u32 v33, v33, 10, v22
	v_and_or_b32 v33, v34, s52, v33
	v_lshl_or_b32 v4, v4, 7, v33
	v_cvt_f32_f16_e32 v33, v4
.LBB302_46:                             ;   in Loop: Header=BB302_10 Depth=1
	s_or_b64 exec, exec, s[40:41]
	v_lshrrev_b16_e32 v4, 8, v14
	v_cmp_lt_i16_e64 s[0:1], s50, v4
	s_mov_b64 s[40:41], 0
                                        ; implicit-def: $sgpr53
	s_and_saveexec_b64 s[42:43], s[0:1]
	s_xor_b64 s[42:43], exec, s[42:43]
	s_cbranch_execnz .LBB302_208
; %bb.47:                               ;   in Loop: Header=BB302_10 Depth=1
	s_or_saveexec_b64 s[42:43], s[42:43]
	v_mov_b32_e32 v34, s53
	s_xor_b64 exec, exec, s[42:43]
	s_cbranch_execnz .LBB302_211
.LBB302_48:                             ;   in Loop: Header=BB302_10 Depth=1
	s_or_b64 exec, exec, s[42:43]
	s_and_saveexec_b64 s[42:43], s[40:41]
	s_cbranch_execz .LBB302_50
.LBB302_49:                             ;   in Loop: Header=BB302_10 Depth=1
	v_and_b32_e32 v36, 7, v4
	v_ffbh_u32_e32 v34, v36
	v_min_u32_e32 v38, 32, v34
	v_subrev_u32_e32 v34, 28, v38
	v_bfe_u32 v37, v4, 3, 4
	v_lshlrev_b64 v[34:35], v34, v[4:5]
	v_sub_u32_e32 v35, 29, v38
	v_cmp_eq_u32_e64 s[0:1], 0, v37
	v_and_b32_e32 v34, 7, v34
	v_lshlrev_b32_e32 v4, 8, v4
	v_cndmask_b32_e64 v35, v37, v35, s[0:1]
	v_lshl_add_u32 v35, v35, 10, v22
	v_cndmask_b32_e64 v34, v36, v34, s[0:1]
	v_and_or_b32 v4, v4, s52, v35
	v_lshl_or_b32 v4, v34, 7, v4
	v_cvt_f32_f16_e32 v34, v4
.LBB302_50:                             ;   in Loop: Header=BB302_10 Depth=1
	s_or_b64 exec, exec, s[42:43]
	v_lshrrev_b32_e32 v4, 16, v14
	v_cmp_gt_i16_sdwa s[40:41], v4, s50 src0_sel:BYTE_0 src1_sel:DWORD
	s_mov_b64 s[0:1], 0
                                        ; implicit-def: $sgpr44
	s_and_saveexec_b64 s[42:43], s[40:41]
	s_xor_b64 s[40:41], exec, s[42:43]
	s_cbranch_execnz .LBB302_212
; %bb.51:                               ;   in Loop: Header=BB302_10 Depth=1
	s_or_saveexec_b64 s[40:41], s[40:41]
	v_mov_b32_e32 v35, s44
	s_xor_b64 exec, exec, s[40:41]
	s_cbranch_execnz .LBB302_215
.LBB302_52:                             ;   in Loop: Header=BB302_10 Depth=1
	s_or_b64 exec, exec, s[40:41]
	s_and_saveexec_b64 s[40:41], s[0:1]
	s_cbranch_execz .LBB302_54
.LBB302_53:                             ;   in Loop: Header=BB302_10 Depth=1
	v_bfe_u32 v35, v14, 16, 3
	v_ffbh_u32_e32 v36, v35
	v_min_u32_e32 v39, 32, v36
	v_subrev_u32_e32 v36, 28, v39
	v_bfe_u32 v38, v14, 19, 4
	v_lshlrev_b64 v[36:37], v36, v[4:5]
	v_sub_u32_e32 v37, 29, v39
	v_cmp_eq_u32_e64 s[0:1], 0, v38
	v_and_b32_e32 v36, 7, v36
	v_lshlrev_b32_e32 v4, 8, v4
	v_cndmask_b32_e64 v37, v38, v37, s[0:1]
	v_cndmask_b32_e64 v35, v35, v36, s[0:1]
	v_lshl_add_u32 v36, v37, 10, v22
	v_and_or_b32 v4, v4, s52, v36
	v_lshl_or_b32 v4, v35, 7, v4
	v_cvt_f32_f16_e32 v35, v4
.LBB302_54:                             ;   in Loop: Header=BB302_10 Depth=1
	s_or_b64 exec, exec, s[40:41]
	v_lshrrev_b32_e32 v4, 24, v14
	v_cmp_lt_i16_e64 s[0:1], s50, v4
	s_mov_b64 s[40:41], 0
                                        ; implicit-def: $sgpr53
	s_and_saveexec_b64 s[42:43], s[0:1]
	s_xor_b64 s[42:43], exec, s[42:43]
	s_cbranch_execnz .LBB302_216
; %bb.55:                               ;   in Loop: Header=BB302_10 Depth=1
	s_or_saveexec_b64 s[42:43], s[42:43]
	v_mov_b32_e32 v36, s53
	s_xor_b64 exec, exec, s[42:43]
	s_cbranch_execnz .LBB302_219
.LBB302_56:                             ;   in Loop: Header=BB302_10 Depth=1
	s_or_b64 exec, exec, s[42:43]
	s_and_saveexec_b64 s[42:43], s[40:41]
	s_cbranch_execz .LBB302_58
.LBB302_57:                             ;   in Loop: Header=BB302_10 Depth=1
	v_bfe_u32 v38, v14, 24, 3
	v_ffbh_u32_e32 v36, v38
	v_min_u32_e32 v39, 32, v36
	v_subrev_u32_e32 v36, 28, v39
	v_bfe_u32 v14, v14, 27, 4
	v_lshlrev_b64 v[36:37], v36, v[4:5]
	v_sub_u32_e32 v37, 29, v39
	v_cmp_eq_u32_e64 s[0:1], 0, v14
	v_and_b32_e32 v36, 7, v36
	v_lshlrev_b32_e32 v4, 8, v4
	v_cndmask_b32_e64 v14, v14, v37, s[0:1]
	v_lshl_add_u32 v14, v14, 10, v22
	v_cndmask_b32_e64 v36, v38, v36, s[0:1]
	v_and_or_b32 v4, v4, s52, v14
	v_lshl_or_b32 v4, v36, 7, v4
	v_cvt_f32_f16_e32 v36, v4
.LBB302_58:                             ;   in Loop: Header=BB302_10 Depth=1
	s_or_b64 exec, exec, s[42:43]
	global_load_dword v14, v[12:13], off offset:520
	s_mov_b64 s[0:1], 0
                                        ; implicit-def: $sgpr44
	s_waitcnt vmcnt(0)
	v_cmp_gt_i16_sdwa s[40:41], v14, s50 src0_sel:BYTE_0 src1_sel:DWORD
	s_and_saveexec_b64 s[42:43], s[40:41]
	s_xor_b64 s[40:41], exec, s[42:43]
	s_cbranch_execnz .LBB302_220
; %bb.59:                               ;   in Loop: Header=BB302_10 Depth=1
	s_or_saveexec_b64 s[40:41], s[40:41]
	v_mov_b32_e32 v37, s44
	s_xor_b64 exec, exec, s[40:41]
	s_cbranch_execnz .LBB302_223
.LBB302_60:                             ;   in Loop: Header=BB302_10 Depth=1
	s_or_b64 exec, exec, s[40:41]
	s_and_saveexec_b64 s[40:41], s[0:1]
	s_cbranch_execz .LBB302_62
.LBB302_61:                             ;   in Loop: Header=BB302_10 Depth=1
	v_and_b32_e32 v4, 7, v14
	v_ffbh_u32_e32 v38, v4
	v_min_u32_e32 v40, 32, v38
	v_subrev_u32_e32 v38, 28, v40
	v_bfe_u32 v37, v14, 3, 4
	v_lshlrev_b64 v[38:39], v38, v[14:15]
	v_sub_u32_e32 v39, 29, v40
	v_cmp_eq_u32_e64 s[0:1], 0, v37
	v_and_b32_e32 v38, 7, v38
	s_nop 0
	v_cndmask_b32_e64 v37, v37, v39, s[0:1]
	v_cndmask_b32_e64 v4, v4, v38, s[0:1]
	v_lshlrev_b32_e32 v38, 8, v14
	v_lshl_add_u32 v37, v37, 10, v22
	v_and_or_b32 v37, v38, s52, v37
	v_lshl_or_b32 v4, v4, 7, v37
	v_cvt_f32_f16_e32 v37, v4
.LBB302_62:                             ;   in Loop: Header=BB302_10 Depth=1
	s_or_b64 exec, exec, s[40:41]
	v_lshrrev_b16_e32 v4, 8, v14
	v_cmp_lt_i16_e64 s[0:1], s50, v4
	s_mov_b64 s[40:41], 0
                                        ; implicit-def: $sgpr53
	s_and_saveexec_b64 s[42:43], s[0:1]
	s_xor_b64 s[42:43], exec, s[42:43]
	s_cbranch_execnz .LBB302_224
; %bb.63:                               ;   in Loop: Header=BB302_10 Depth=1
	s_or_saveexec_b64 s[42:43], s[42:43]
	v_mov_b32_e32 v38, s53
	s_xor_b64 exec, exec, s[42:43]
	s_cbranch_execnz .LBB302_227
.LBB302_64:                             ;   in Loop: Header=BB302_10 Depth=1
	s_or_b64 exec, exec, s[42:43]
	s_and_saveexec_b64 s[42:43], s[40:41]
	s_cbranch_execz .LBB302_66
.LBB302_65:                             ;   in Loop: Header=BB302_10 Depth=1
	v_and_b32_e32 v40, 7, v4
	v_ffbh_u32_e32 v38, v40
	v_min_u32_e32 v42, 32, v38
	v_subrev_u32_e32 v38, 28, v42
	v_bfe_u32 v41, v4, 3, 4
	v_lshlrev_b64 v[38:39], v38, v[4:5]
	v_sub_u32_e32 v39, 29, v42
	v_cmp_eq_u32_e64 s[0:1], 0, v41
	v_and_b32_e32 v38, 7, v38
	v_lshlrev_b32_e32 v4, 8, v4
	v_cndmask_b32_e64 v39, v41, v39, s[0:1]
	v_lshl_add_u32 v39, v39, 10, v22
	v_cndmask_b32_e64 v38, v40, v38, s[0:1]
	v_and_or_b32 v4, v4, s52, v39
	v_lshl_or_b32 v4, v38, 7, v4
	v_cvt_f32_f16_e32 v38, v4
.LBB302_66:                             ;   in Loop: Header=BB302_10 Depth=1
	s_or_b64 exec, exec, s[42:43]
	v_lshrrev_b32_e32 v4, 16, v14
	v_cmp_gt_i16_sdwa s[40:41], v4, s50 src0_sel:BYTE_0 src1_sel:DWORD
	s_mov_b64 s[0:1], 0
                                        ; implicit-def: $sgpr44
	s_and_saveexec_b64 s[42:43], s[40:41]
	s_xor_b64 s[40:41], exec, s[42:43]
	s_cbranch_execnz .LBB302_228
; %bb.67:                               ;   in Loop: Header=BB302_10 Depth=1
	s_or_saveexec_b64 s[40:41], s[40:41]
	v_mov_b32_e32 v39, s44
	s_xor_b64 exec, exec, s[40:41]
	s_cbranch_execnz .LBB302_231
.LBB302_68:                             ;   in Loop: Header=BB302_10 Depth=1
	s_or_b64 exec, exec, s[40:41]
	s_and_saveexec_b64 s[40:41], s[0:1]
	s_cbranch_execz .LBB302_70
.LBB302_69:                             ;   in Loop: Header=BB302_10 Depth=1
	v_bfe_u32 v39, v14, 16, 3
	v_ffbh_u32_e32 v40, v39
	v_min_u32_e32 v43, 32, v40
	v_subrev_u32_e32 v40, 28, v43
	v_bfe_u32 v42, v14, 19, 4
	v_lshlrev_b64 v[40:41], v40, v[4:5]
	v_sub_u32_e32 v41, 29, v43
	v_cmp_eq_u32_e64 s[0:1], 0, v42
	v_and_b32_e32 v40, 7, v40
	v_lshlrev_b32_e32 v4, 8, v4
	v_cndmask_b32_e64 v41, v42, v41, s[0:1]
	v_cndmask_b32_e64 v39, v39, v40, s[0:1]
	v_lshl_add_u32 v40, v41, 10, v22
	v_and_or_b32 v4, v4, s52, v40
	v_lshl_or_b32 v4, v39, 7, v4
	v_cvt_f32_f16_e32 v39, v4
.LBB302_70:                             ;   in Loop: Header=BB302_10 Depth=1
	s_or_b64 exec, exec, s[40:41]
	v_lshrrev_b32_e32 v4, 24, v14
	v_cmp_lt_i16_e64 s[0:1], s50, v4
	s_mov_b64 s[40:41], 0
                                        ; implicit-def: $sgpr53
	s_and_saveexec_b64 s[42:43], s[0:1]
	s_xor_b64 s[42:43], exec, s[42:43]
	s_cbranch_execnz .LBB302_232
; %bb.71:                               ;   in Loop: Header=BB302_10 Depth=1
	s_or_saveexec_b64 s[42:43], s[42:43]
	v_mov_b32_e32 v40, s53
	s_xor_b64 exec, exec, s[42:43]
	s_cbranch_execnz .LBB302_235
.LBB302_72:                             ;   in Loop: Header=BB302_10 Depth=1
	s_or_b64 exec, exec, s[42:43]
	s_and_saveexec_b64 s[42:43], s[40:41]
	s_cbranch_execz .LBB302_74
.LBB302_73:                             ;   in Loop: Header=BB302_10 Depth=1
	v_bfe_u32 v42, v14, 24, 3
	v_ffbh_u32_e32 v40, v42
	v_min_u32_e32 v43, 32, v40
	v_subrev_u32_e32 v40, 28, v43
	v_bfe_u32 v14, v14, 27, 4
	v_lshlrev_b64 v[40:41], v40, v[4:5]
	v_sub_u32_e32 v41, 29, v43
	v_cmp_eq_u32_e64 s[0:1], 0, v14
	v_and_b32_e32 v40, 7, v40
	v_lshlrev_b32_e32 v4, 8, v4
	v_cndmask_b32_e64 v14, v14, v41, s[0:1]
	v_lshl_add_u32 v14, v14, 10, v22
	v_cndmask_b32_e64 v40, v42, v40, s[0:1]
	v_and_or_b32 v4, v4, s52, v14
	v_lshl_or_b32 v4, v40, 7, v4
	v_cvt_f32_f16_e32 v40, v4
.LBB302_74:                             ;   in Loop: Header=BB302_10 Depth=1
	s_or_b64 exec, exec, s[42:43]
	global_load_dword v14, v[12:13], off offset:1024
	s_mov_b64 s[0:1], 0
                                        ; implicit-def: $sgpr44
	s_waitcnt vmcnt(0)
	v_cmp_gt_i16_sdwa s[40:41], v14, s50 src0_sel:BYTE_0 src1_sel:DWORD
	s_and_saveexec_b64 s[42:43], s[40:41]
	s_xor_b64 s[40:41], exec, s[42:43]
	s_cbranch_execnz .LBB302_236
; %bb.75:                               ;   in Loop: Header=BB302_10 Depth=1
	s_or_saveexec_b64 s[40:41], s[40:41]
	v_mov_b32_e32 v41, s44
	s_xor_b64 exec, exec, s[40:41]
	s_cbranch_execnz .LBB302_239
.LBB302_76:                             ;   in Loop: Header=BB302_10 Depth=1
	s_or_b64 exec, exec, s[40:41]
	s_and_saveexec_b64 s[40:41], s[0:1]
	s_cbranch_execz .LBB302_78
.LBB302_77:                             ;   in Loop: Header=BB302_10 Depth=1
	v_and_b32_e32 v4, 7, v14
	v_ffbh_u32_e32 v42, v4
	v_min_u32_e32 v44, 32, v42
	v_subrev_u32_e32 v42, 28, v44
	v_bfe_u32 v41, v14, 3, 4
	v_lshlrev_b64 v[42:43], v42, v[14:15]
	v_sub_u32_e32 v43, 29, v44
	v_cmp_eq_u32_e64 s[0:1], 0, v41
	v_and_b32_e32 v42, 7, v42
	s_nop 0
	v_cndmask_b32_e64 v41, v41, v43, s[0:1]
	v_cndmask_b32_e64 v4, v4, v42, s[0:1]
	v_lshlrev_b32_e32 v42, 8, v14
	v_lshl_add_u32 v41, v41, 10, v22
	v_and_or_b32 v41, v42, s52, v41
	v_lshl_or_b32 v4, v4, 7, v41
	v_cvt_f32_f16_e32 v41, v4
.LBB302_78:                             ;   in Loop: Header=BB302_10 Depth=1
	s_or_b64 exec, exec, s[40:41]
	v_lshrrev_b16_e32 v4, 8, v14
	v_cmp_lt_i16_e64 s[0:1], s50, v4
	s_mov_b64 s[40:41], 0
                                        ; implicit-def: $sgpr53
	s_and_saveexec_b64 s[42:43], s[0:1]
	s_xor_b64 s[42:43], exec, s[42:43]
	s_cbranch_execnz .LBB302_240
; %bb.79:                               ;   in Loop: Header=BB302_10 Depth=1
	s_or_saveexec_b64 s[42:43], s[42:43]
	v_mov_b32_e32 v42, s53
	s_xor_b64 exec, exec, s[42:43]
	s_cbranch_execnz .LBB302_243
.LBB302_80:                             ;   in Loop: Header=BB302_10 Depth=1
	s_or_b64 exec, exec, s[42:43]
	s_and_saveexec_b64 s[42:43], s[40:41]
	s_cbranch_execz .LBB302_82
.LBB302_81:                             ;   in Loop: Header=BB302_10 Depth=1
	v_and_b32_e32 v44, 7, v4
	v_ffbh_u32_e32 v42, v44
	v_min_u32_e32 v46, 32, v42
	v_subrev_u32_e32 v42, 28, v46
	v_bfe_u32 v45, v4, 3, 4
	v_lshlrev_b64 v[42:43], v42, v[4:5]
	v_sub_u32_e32 v43, 29, v46
	v_cmp_eq_u32_e64 s[0:1], 0, v45
	v_and_b32_e32 v42, 7, v42
	v_lshlrev_b32_e32 v4, 8, v4
	v_cndmask_b32_e64 v43, v45, v43, s[0:1]
	v_lshl_add_u32 v43, v43, 10, v22
	v_cndmask_b32_e64 v42, v44, v42, s[0:1]
	v_and_or_b32 v4, v4, s52, v43
	v_lshl_or_b32 v4, v42, 7, v4
	v_cvt_f32_f16_e32 v42, v4
.LBB302_82:                             ;   in Loop: Header=BB302_10 Depth=1
	s_or_b64 exec, exec, s[42:43]
	v_lshrrev_b32_e32 v4, 16, v14
	v_cmp_gt_i16_sdwa s[40:41], v4, s50 src0_sel:BYTE_0 src1_sel:DWORD
	s_mov_b64 s[0:1], 0
                                        ; implicit-def: $sgpr44
	s_and_saveexec_b64 s[42:43], s[40:41]
	s_xor_b64 s[40:41], exec, s[42:43]
	s_cbranch_execnz .LBB302_244
; %bb.83:                               ;   in Loop: Header=BB302_10 Depth=1
	s_or_saveexec_b64 s[40:41], s[40:41]
	v_mov_b32_e32 v43, s44
	s_xor_b64 exec, exec, s[40:41]
	s_cbranch_execnz .LBB302_247
.LBB302_84:                             ;   in Loop: Header=BB302_10 Depth=1
	s_or_b64 exec, exec, s[40:41]
	s_and_saveexec_b64 s[40:41], s[0:1]
	s_cbranch_execz .LBB302_86
.LBB302_85:                             ;   in Loop: Header=BB302_10 Depth=1
	v_bfe_u32 v43, v14, 16, 3
	v_ffbh_u32_e32 v44, v43
	v_min_u32_e32 v47, 32, v44
	v_subrev_u32_e32 v44, 28, v47
	v_bfe_u32 v46, v14, 19, 4
	v_lshlrev_b64 v[44:45], v44, v[4:5]
	v_sub_u32_e32 v45, 29, v47
	v_cmp_eq_u32_e64 s[0:1], 0, v46
	v_and_b32_e32 v44, 7, v44
	v_lshlrev_b32_e32 v4, 8, v4
	v_cndmask_b32_e64 v45, v46, v45, s[0:1]
	v_cndmask_b32_e64 v43, v43, v44, s[0:1]
	v_lshl_add_u32 v44, v45, 10, v22
	v_and_or_b32 v4, v4, s52, v44
	v_lshl_or_b32 v4, v43, 7, v4
	v_cvt_f32_f16_e32 v43, v4
.LBB302_86:                             ;   in Loop: Header=BB302_10 Depth=1
	s_or_b64 exec, exec, s[40:41]
	v_lshrrev_b32_e32 v4, 24, v14
	v_cmp_lt_i16_e64 s[0:1], s50, v4
	s_mov_b64 s[40:41], 0
                                        ; implicit-def: $sgpr53
	s_and_saveexec_b64 s[42:43], s[0:1]
	s_xor_b64 s[42:43], exec, s[42:43]
	s_cbranch_execnz .LBB302_248
; %bb.87:                               ;   in Loop: Header=BB302_10 Depth=1
	s_or_saveexec_b64 s[42:43], s[42:43]
	v_mov_b32_e32 v44, s53
	s_xor_b64 exec, exec, s[42:43]
	s_cbranch_execnz .LBB302_251
.LBB302_88:                             ;   in Loop: Header=BB302_10 Depth=1
	s_or_b64 exec, exec, s[42:43]
	s_and_saveexec_b64 s[42:43], s[40:41]
	s_cbranch_execz .LBB302_90
.LBB302_89:                             ;   in Loop: Header=BB302_10 Depth=1
	v_bfe_u32 v46, v14, 24, 3
	v_ffbh_u32_e32 v44, v46
	v_min_u32_e32 v47, 32, v44
	v_subrev_u32_e32 v44, 28, v47
	v_bfe_u32 v14, v14, 27, 4
	v_lshlrev_b64 v[44:45], v44, v[4:5]
	v_sub_u32_e32 v45, 29, v47
	v_cmp_eq_u32_e64 s[0:1], 0, v14
	v_and_b32_e32 v44, 7, v44
	v_lshlrev_b32_e32 v4, 8, v4
	v_cndmask_b32_e64 v14, v14, v45, s[0:1]
	v_lshl_add_u32 v14, v14, 10, v22
	v_cndmask_b32_e64 v44, v46, v44, s[0:1]
	v_and_or_b32 v4, v4, s52, v14
	v_lshl_or_b32 v4, v44, 7, v4
	v_cvt_f32_f16_e32 v44, v4
.LBB302_90:                             ;   in Loop: Header=BB302_10 Depth=1
	s_or_b64 exec, exec, s[42:43]
	global_load_dword v14, v[12:13], off offset:1032
	s_mov_b64 s[0:1], 0
                                        ; implicit-def: $sgpr44
	s_waitcnt vmcnt(0)
	v_cmp_gt_i16_sdwa s[40:41], v14, s50 src0_sel:BYTE_0 src1_sel:DWORD
	s_and_saveexec_b64 s[42:43], s[40:41]
	s_xor_b64 s[40:41], exec, s[42:43]
	s_cbranch_execnz .LBB302_252
; %bb.91:                               ;   in Loop: Header=BB302_10 Depth=1
	s_or_saveexec_b64 s[40:41], s[40:41]
	v_mov_b32_e32 v45, s44
	s_xor_b64 exec, exec, s[40:41]
	s_cbranch_execnz .LBB302_255
.LBB302_92:                             ;   in Loop: Header=BB302_10 Depth=1
	s_or_b64 exec, exec, s[40:41]
	s_and_saveexec_b64 s[40:41], s[0:1]
	s_cbranch_execz .LBB302_94
.LBB302_93:                             ;   in Loop: Header=BB302_10 Depth=1
	v_and_b32_e32 v4, 7, v14
	v_ffbh_u32_e32 v46, v4
	v_min_u32_e32 v48, 32, v46
	v_subrev_u32_e32 v46, 28, v48
	v_bfe_u32 v45, v14, 3, 4
	v_lshlrev_b64 v[46:47], v46, v[14:15]
	v_sub_u32_e32 v47, 29, v48
	v_cmp_eq_u32_e64 s[0:1], 0, v45
	v_and_b32_e32 v46, 7, v46
	s_nop 0
	v_cndmask_b32_e64 v45, v45, v47, s[0:1]
	v_cndmask_b32_e64 v4, v4, v46, s[0:1]
	v_lshlrev_b32_e32 v46, 8, v14
	v_lshl_add_u32 v45, v45, 10, v22
	v_and_or_b32 v45, v46, s52, v45
	v_lshl_or_b32 v4, v4, 7, v45
	v_cvt_f32_f16_e32 v45, v4
.LBB302_94:                             ;   in Loop: Header=BB302_10 Depth=1
	s_or_b64 exec, exec, s[40:41]
	v_lshrrev_b16_e32 v4, 8, v14
	v_cmp_lt_i16_e64 s[0:1], s50, v4
	s_mov_b64 s[40:41], 0
                                        ; implicit-def: $sgpr53
	s_and_saveexec_b64 s[42:43], s[0:1]
	s_xor_b64 s[42:43], exec, s[42:43]
	s_cbranch_execnz .LBB302_256
; %bb.95:                               ;   in Loop: Header=BB302_10 Depth=1
	s_or_saveexec_b64 s[42:43], s[42:43]
	v_mov_b32_e32 v46, s53
	s_xor_b64 exec, exec, s[42:43]
	s_cbranch_execnz .LBB302_259
.LBB302_96:                             ;   in Loop: Header=BB302_10 Depth=1
	s_or_b64 exec, exec, s[42:43]
	s_and_saveexec_b64 s[42:43], s[40:41]
	s_cbranch_execz .LBB302_98
.LBB302_97:                             ;   in Loop: Header=BB302_10 Depth=1
	v_and_b32_e32 v48, 7, v4
	v_ffbh_u32_e32 v46, v48
	v_min_u32_e32 v50, 32, v46
	v_subrev_u32_e32 v46, 28, v50
	v_bfe_u32 v49, v4, 3, 4
	v_lshlrev_b64 v[46:47], v46, v[4:5]
	v_sub_u32_e32 v47, 29, v50
	v_cmp_eq_u32_e64 s[0:1], 0, v49
	v_and_b32_e32 v46, 7, v46
	v_lshlrev_b32_e32 v4, 8, v4
	v_cndmask_b32_e64 v47, v49, v47, s[0:1]
	v_lshl_add_u32 v47, v47, 10, v22
	v_cndmask_b32_e64 v46, v48, v46, s[0:1]
	v_and_or_b32 v4, v4, s52, v47
	v_lshl_or_b32 v4, v46, 7, v4
	v_cvt_f32_f16_e32 v46, v4
.LBB302_98:                             ;   in Loop: Header=BB302_10 Depth=1
	s_or_b64 exec, exec, s[42:43]
	v_lshrrev_b32_e32 v4, 16, v14
	v_cmp_gt_i16_sdwa s[40:41], v4, s50 src0_sel:BYTE_0 src1_sel:DWORD
	s_mov_b64 s[0:1], 0
                                        ; implicit-def: $sgpr44
	s_and_saveexec_b64 s[42:43], s[40:41]
	s_xor_b64 s[40:41], exec, s[42:43]
	s_cbranch_execnz .LBB302_260
; %bb.99:                               ;   in Loop: Header=BB302_10 Depth=1
	s_or_saveexec_b64 s[40:41], s[40:41]
	v_mov_b32_e32 v47, s44
	s_xor_b64 exec, exec, s[40:41]
	s_cbranch_execnz .LBB302_263
.LBB302_100:                            ;   in Loop: Header=BB302_10 Depth=1
	s_or_b64 exec, exec, s[40:41]
	s_and_saveexec_b64 s[40:41], s[0:1]
	s_cbranch_execz .LBB302_102
.LBB302_101:                            ;   in Loop: Header=BB302_10 Depth=1
	v_bfe_u32 v47, v14, 16, 3
	v_ffbh_u32_e32 v48, v47
	v_min_u32_e32 v51, 32, v48
	v_subrev_u32_e32 v48, 28, v51
	v_bfe_u32 v50, v14, 19, 4
	v_lshlrev_b64 v[48:49], v48, v[4:5]
	v_sub_u32_e32 v49, 29, v51
	v_cmp_eq_u32_e64 s[0:1], 0, v50
	v_and_b32_e32 v48, 7, v48
	v_lshlrev_b32_e32 v4, 8, v4
	v_cndmask_b32_e64 v49, v50, v49, s[0:1]
	v_cndmask_b32_e64 v47, v47, v48, s[0:1]
	v_lshl_add_u32 v48, v49, 10, v22
	v_and_or_b32 v4, v4, s52, v48
	v_lshl_or_b32 v4, v47, 7, v4
	v_cvt_f32_f16_e32 v47, v4
.LBB302_102:                            ;   in Loop: Header=BB302_10 Depth=1
	s_or_b64 exec, exec, s[40:41]
	v_lshrrev_b32_e32 v4, 24, v14
	v_cmp_lt_i16_e64 s[0:1], s50, v4
	s_mov_b64 s[40:41], 0
                                        ; implicit-def: $sgpr53
	s_and_saveexec_b64 s[42:43], s[0:1]
	s_xor_b64 s[42:43], exec, s[42:43]
	s_cbranch_execnz .LBB302_264
; %bb.103:                              ;   in Loop: Header=BB302_10 Depth=1
	s_or_saveexec_b64 s[42:43], s[42:43]
	v_mov_b32_e32 v48, s53
	s_xor_b64 exec, exec, s[42:43]
	s_cbranch_execnz .LBB302_267
.LBB302_104:                            ;   in Loop: Header=BB302_10 Depth=1
	s_or_b64 exec, exec, s[42:43]
	s_and_saveexec_b64 s[42:43], s[40:41]
	s_cbranch_execz .LBB302_106
.LBB302_105:                            ;   in Loop: Header=BB302_10 Depth=1
	v_bfe_u32 v50, v14, 24, 3
	v_ffbh_u32_e32 v48, v50
	v_min_u32_e32 v51, 32, v48
	v_subrev_u32_e32 v48, 28, v51
	v_bfe_u32 v14, v14, 27, 4
	v_lshlrev_b64 v[48:49], v48, v[4:5]
	v_sub_u32_e32 v49, 29, v51
	v_cmp_eq_u32_e64 s[0:1], 0, v14
	v_and_b32_e32 v48, 7, v48
	v_lshlrev_b32_e32 v4, 8, v4
	v_cndmask_b32_e64 v14, v14, v49, s[0:1]
	v_lshl_add_u32 v14, v14, 10, v22
	v_cndmask_b32_e64 v48, v50, v48, s[0:1]
	v_and_or_b32 v4, v4, s52, v14
	v_lshl_or_b32 v4, v48, 7, v4
	v_cvt_f32_f16_e32 v48, v4
.LBB302_106:                            ;   in Loop: Header=BB302_10 Depth=1
	s_or_b64 exec, exec, s[42:43]
	global_load_dword v14, v[12:13], off offset:1536
	s_mov_b64 s[0:1], 0
                                        ; implicit-def: $sgpr44
	s_waitcnt vmcnt(0)
	v_cmp_gt_i16_sdwa s[40:41], v14, s50 src0_sel:BYTE_0 src1_sel:DWORD
	s_and_saveexec_b64 s[42:43], s[40:41]
	s_xor_b64 s[40:41], exec, s[42:43]
	s_cbranch_execnz .LBB302_268
; %bb.107:                              ;   in Loop: Header=BB302_10 Depth=1
	s_or_saveexec_b64 s[40:41], s[40:41]
	v_mov_b32_e32 v49, s44
	s_xor_b64 exec, exec, s[40:41]
	s_cbranch_execnz .LBB302_271
.LBB302_108:                            ;   in Loop: Header=BB302_10 Depth=1
	s_or_b64 exec, exec, s[40:41]
	s_and_saveexec_b64 s[40:41], s[0:1]
	s_cbranch_execz .LBB302_110
.LBB302_109:                            ;   in Loop: Header=BB302_10 Depth=1
	v_and_b32_e32 v4, 7, v14
	v_ffbh_u32_e32 v50, v4
	v_min_u32_e32 v52, 32, v50
	v_subrev_u32_e32 v50, 28, v52
	v_bfe_u32 v49, v14, 3, 4
	v_lshlrev_b64 v[50:51], v50, v[14:15]
	v_sub_u32_e32 v51, 29, v52
	v_cmp_eq_u32_e64 s[0:1], 0, v49
	v_and_b32_e32 v50, 7, v50
	s_nop 0
	v_cndmask_b32_e64 v49, v49, v51, s[0:1]
	v_cndmask_b32_e64 v4, v4, v50, s[0:1]
	v_lshlrev_b32_e32 v50, 8, v14
	v_lshl_add_u32 v49, v49, 10, v22
	v_and_or_b32 v49, v50, s52, v49
	v_lshl_or_b32 v4, v4, 7, v49
	v_cvt_f32_f16_e32 v49, v4
.LBB302_110:                            ;   in Loop: Header=BB302_10 Depth=1
	s_or_b64 exec, exec, s[40:41]
	v_lshrrev_b16_e32 v4, 8, v14
	v_cmp_lt_i16_e64 s[0:1], s50, v4
	s_mov_b64 s[40:41], 0
                                        ; implicit-def: $sgpr53
	s_and_saveexec_b64 s[42:43], s[0:1]
	s_xor_b64 s[42:43], exec, s[42:43]
	s_cbranch_execnz .LBB302_272
; %bb.111:                              ;   in Loop: Header=BB302_10 Depth=1
	s_or_saveexec_b64 s[42:43], s[42:43]
	v_mov_b32_e32 v50, s53
	s_xor_b64 exec, exec, s[42:43]
	s_cbranch_execnz .LBB302_275
.LBB302_112:                            ;   in Loop: Header=BB302_10 Depth=1
	s_or_b64 exec, exec, s[42:43]
	s_and_saveexec_b64 s[42:43], s[40:41]
	s_cbranch_execz .LBB302_114
.LBB302_113:                            ;   in Loop: Header=BB302_10 Depth=1
	v_and_b32_e32 v52, 7, v4
	v_ffbh_u32_e32 v50, v52
	v_min_u32_e32 v54, 32, v50
	v_subrev_u32_e32 v50, 28, v54
	v_bfe_u32 v53, v4, 3, 4
	v_lshlrev_b64 v[50:51], v50, v[4:5]
	v_sub_u32_e32 v51, 29, v54
	v_cmp_eq_u32_e64 s[0:1], 0, v53
	v_and_b32_e32 v50, 7, v50
	v_lshlrev_b32_e32 v4, 8, v4
	v_cndmask_b32_e64 v51, v53, v51, s[0:1]
	v_lshl_add_u32 v51, v51, 10, v22
	v_cndmask_b32_e64 v50, v52, v50, s[0:1]
	v_and_or_b32 v4, v4, s52, v51
	v_lshl_or_b32 v4, v50, 7, v4
	v_cvt_f32_f16_e32 v50, v4
.LBB302_114:                            ;   in Loop: Header=BB302_10 Depth=1
	s_or_b64 exec, exec, s[42:43]
	v_lshrrev_b32_e32 v4, 16, v14
	v_cmp_gt_i16_sdwa s[40:41], v4, s50 src0_sel:BYTE_0 src1_sel:DWORD
	s_mov_b64 s[0:1], 0
                                        ; implicit-def: $sgpr44
	s_and_saveexec_b64 s[42:43], s[40:41]
	s_xor_b64 s[40:41], exec, s[42:43]
	s_cbranch_execnz .LBB302_276
; %bb.115:                              ;   in Loop: Header=BB302_10 Depth=1
	s_or_saveexec_b64 s[40:41], s[40:41]
	v_mov_b32_e32 v51, s44
	s_xor_b64 exec, exec, s[40:41]
	s_cbranch_execnz .LBB302_279
.LBB302_116:                            ;   in Loop: Header=BB302_10 Depth=1
	s_or_b64 exec, exec, s[40:41]
	s_and_saveexec_b64 s[40:41], s[0:1]
	s_cbranch_execz .LBB302_118
.LBB302_117:                            ;   in Loop: Header=BB302_10 Depth=1
	v_bfe_u32 v51, v14, 16, 3
	v_ffbh_u32_e32 v52, v51
	v_min_u32_e32 v55, 32, v52
	v_subrev_u32_e32 v52, 28, v55
	v_bfe_u32 v54, v14, 19, 4
	v_lshlrev_b64 v[52:53], v52, v[4:5]
	v_sub_u32_e32 v53, 29, v55
	v_cmp_eq_u32_e64 s[0:1], 0, v54
	v_and_b32_e32 v52, 7, v52
	v_lshlrev_b32_e32 v4, 8, v4
	v_cndmask_b32_e64 v53, v54, v53, s[0:1]
	v_cndmask_b32_e64 v51, v51, v52, s[0:1]
	v_lshl_add_u32 v52, v53, 10, v22
	v_and_or_b32 v4, v4, s52, v52
	v_lshl_or_b32 v4, v51, 7, v4
	v_cvt_f32_f16_e32 v51, v4
.LBB302_118:                            ;   in Loop: Header=BB302_10 Depth=1
	s_or_b64 exec, exec, s[40:41]
	v_lshrrev_b32_e32 v4, 24, v14
	v_cmp_lt_i16_e64 s[0:1], s50, v4
	s_mov_b64 s[40:41], 0
                                        ; implicit-def: $sgpr53
	s_and_saveexec_b64 s[42:43], s[0:1]
	s_xor_b64 s[42:43], exec, s[42:43]
	s_cbranch_execnz .LBB302_280
; %bb.119:                              ;   in Loop: Header=BB302_10 Depth=1
	s_or_saveexec_b64 s[42:43], s[42:43]
	v_mov_b32_e32 v52, s53
	s_xor_b64 exec, exec, s[42:43]
	s_cbranch_execnz .LBB302_283
.LBB302_120:                            ;   in Loop: Header=BB302_10 Depth=1
	s_or_b64 exec, exec, s[42:43]
	s_and_saveexec_b64 s[42:43], s[40:41]
	s_cbranch_execz .LBB302_122
.LBB302_121:                            ;   in Loop: Header=BB302_10 Depth=1
	v_bfe_u32 v54, v14, 24, 3
	v_ffbh_u32_e32 v52, v54
	v_min_u32_e32 v55, 32, v52
	v_subrev_u32_e32 v52, 28, v55
	v_bfe_u32 v14, v14, 27, 4
	v_lshlrev_b64 v[52:53], v52, v[4:5]
	v_sub_u32_e32 v53, 29, v55
	v_cmp_eq_u32_e64 s[0:1], 0, v14
	v_and_b32_e32 v52, 7, v52
	v_lshlrev_b32_e32 v4, 8, v4
	v_cndmask_b32_e64 v14, v14, v53, s[0:1]
	v_lshl_add_u32 v14, v14, 10, v22
	v_cndmask_b32_e64 v52, v54, v52, s[0:1]
	v_and_or_b32 v4, v4, s52, v14
	v_lshl_or_b32 v4, v52, 7, v4
	v_cvt_f32_f16_e32 v52, v4
.LBB302_122:                            ;   in Loop: Header=BB302_10 Depth=1
	s_or_b64 exec, exec, s[42:43]
	global_load_dword v14, v[12:13], off offset:1544
	s_mov_b64 s[0:1], 0
                                        ; implicit-def: $sgpr44
	s_waitcnt vmcnt(0)
	v_cmp_gt_i16_sdwa s[40:41], v14, s50 src0_sel:BYTE_0 src1_sel:DWORD
	s_and_saveexec_b64 s[42:43], s[40:41]
	s_xor_b64 s[40:41], exec, s[42:43]
	s_cbranch_execnz .LBB302_284
; %bb.123:                              ;   in Loop: Header=BB302_10 Depth=1
	s_or_saveexec_b64 s[40:41], s[40:41]
	v_mov_b32_e32 v53, s44
	s_xor_b64 exec, exec, s[40:41]
	s_cbranch_execnz .LBB302_287
.LBB302_124:                            ;   in Loop: Header=BB302_10 Depth=1
	s_or_b64 exec, exec, s[40:41]
	s_and_saveexec_b64 s[40:41], s[0:1]
	s_cbranch_execz .LBB302_126
.LBB302_125:                            ;   in Loop: Header=BB302_10 Depth=1
	v_and_b32_e32 v4, 7, v14
	v_ffbh_u32_e32 v54, v4
	v_min_u32_e32 v56, 32, v54
	v_subrev_u32_e32 v54, 28, v56
	v_bfe_u32 v53, v14, 3, 4
	v_lshlrev_b64 v[54:55], v54, v[14:15]
	v_sub_u32_e32 v55, 29, v56
	v_cmp_eq_u32_e64 s[0:1], 0, v53
	v_and_b32_e32 v54, 7, v54
	s_nop 0
	v_cndmask_b32_e64 v53, v53, v55, s[0:1]
	v_cndmask_b32_e64 v4, v4, v54, s[0:1]
	v_lshlrev_b32_e32 v54, 8, v14
	v_lshl_add_u32 v53, v53, 10, v22
	v_and_or_b32 v53, v54, s52, v53
	v_lshl_or_b32 v4, v4, 7, v53
	v_cvt_f32_f16_e32 v53, v4
.LBB302_126:                            ;   in Loop: Header=BB302_10 Depth=1
	s_or_b64 exec, exec, s[40:41]
	v_lshrrev_b16_e32 v4, 8, v14
	v_cmp_lt_i16_e64 s[0:1], s50, v4
	s_mov_b64 s[40:41], 0
                                        ; implicit-def: $sgpr53
	s_and_saveexec_b64 s[42:43], s[0:1]
	s_xor_b64 s[42:43], exec, s[42:43]
	s_cbranch_execnz .LBB302_288
; %bb.127:                              ;   in Loop: Header=BB302_10 Depth=1
	s_or_saveexec_b64 s[42:43], s[42:43]
	v_mov_b32_e32 v54, s53
	s_xor_b64 exec, exec, s[42:43]
	s_cbranch_execnz .LBB302_291
.LBB302_128:                            ;   in Loop: Header=BB302_10 Depth=1
	s_or_b64 exec, exec, s[42:43]
	s_and_saveexec_b64 s[42:43], s[40:41]
	s_cbranch_execz .LBB302_130
.LBB302_129:                            ;   in Loop: Header=BB302_10 Depth=1
	v_and_b32_e32 v56, 7, v4
	v_ffbh_u32_e32 v54, v56
	v_min_u32_e32 v58, 32, v54
	v_subrev_u32_e32 v54, 28, v58
	v_bfe_u32 v57, v4, 3, 4
	v_lshlrev_b64 v[54:55], v54, v[4:5]
	v_sub_u32_e32 v55, 29, v58
	v_cmp_eq_u32_e64 s[0:1], 0, v57
	v_and_b32_e32 v54, 7, v54
	v_lshlrev_b32_e32 v4, 8, v4
	v_cndmask_b32_e64 v55, v57, v55, s[0:1]
	v_lshl_add_u32 v55, v55, 10, v22
	v_cndmask_b32_e64 v54, v56, v54, s[0:1]
	v_and_or_b32 v4, v4, s52, v55
	v_lshl_or_b32 v4, v54, 7, v4
	v_cvt_f32_f16_e32 v54, v4
.LBB302_130:                            ;   in Loop: Header=BB302_10 Depth=1
	s_or_b64 exec, exec, s[42:43]
	v_lshrrev_b32_e32 v4, 16, v14
	v_cmp_gt_i16_sdwa s[40:41], v4, s50 src0_sel:BYTE_0 src1_sel:DWORD
	s_mov_b64 s[0:1], 0
                                        ; implicit-def: $sgpr44
	s_and_saveexec_b64 s[42:43], s[40:41]
	s_xor_b64 s[40:41], exec, s[42:43]
	s_cbranch_execnz .LBB302_292
; %bb.131:                              ;   in Loop: Header=BB302_10 Depth=1
	s_or_saveexec_b64 s[40:41], s[40:41]
	v_mov_b32_e32 v55, s44
	s_xor_b64 exec, exec, s[40:41]
	s_cbranch_execnz .LBB302_295
.LBB302_132:                            ;   in Loop: Header=BB302_10 Depth=1
	s_or_b64 exec, exec, s[40:41]
	s_and_saveexec_b64 s[40:41], s[0:1]
	s_cbranch_execz .LBB302_134
.LBB302_133:                            ;   in Loop: Header=BB302_10 Depth=1
	v_bfe_u32 v55, v14, 16, 3
	v_ffbh_u32_e32 v56, v55
	v_min_u32_e32 v59, 32, v56
	v_subrev_u32_e32 v56, 28, v59
	v_bfe_u32 v58, v14, 19, 4
	v_lshlrev_b64 v[56:57], v56, v[4:5]
	v_sub_u32_e32 v57, 29, v59
	v_cmp_eq_u32_e64 s[0:1], 0, v58
	v_and_b32_e32 v56, 7, v56
	v_lshlrev_b32_e32 v4, 8, v4
	v_cndmask_b32_e64 v57, v58, v57, s[0:1]
	v_cndmask_b32_e64 v55, v55, v56, s[0:1]
	v_lshl_add_u32 v56, v57, 10, v22
	v_and_or_b32 v4, v4, s52, v56
	v_lshl_or_b32 v4, v55, 7, v4
	v_cvt_f32_f16_e32 v55, v4
.LBB302_134:                            ;   in Loop: Header=BB302_10 Depth=1
	s_or_b64 exec, exec, s[40:41]
	v_lshrrev_b32_e32 v4, 24, v14
	v_cmp_lt_i16_e64 s[0:1], s50, v4
	s_mov_b64 s[40:41], 0
                                        ; implicit-def: $sgpr53
	s_and_saveexec_b64 s[42:43], s[0:1]
	s_xor_b64 s[42:43], exec, s[42:43]
	s_cbranch_execnz .LBB302_296
; %bb.135:                              ;   in Loop: Header=BB302_10 Depth=1
	s_or_saveexec_b64 s[42:43], s[42:43]
	v_mov_b32_e32 v56, s53
	s_xor_b64 exec, exec, s[42:43]
	s_cbranch_execnz .LBB302_299
.LBB302_136:                            ;   in Loop: Header=BB302_10 Depth=1
	s_or_b64 exec, exec, s[42:43]
	s_and_saveexec_b64 s[42:43], s[40:41]
	s_cbranch_execz .LBB302_138
.LBB302_137:                            ;   in Loop: Header=BB302_10 Depth=1
	v_bfe_u32 v58, v14, 24, 3
	v_ffbh_u32_e32 v56, v58
	v_min_u32_e32 v59, 32, v56
	v_subrev_u32_e32 v56, 28, v59
	v_bfe_u32 v14, v14, 27, 4
	v_lshlrev_b64 v[56:57], v56, v[4:5]
	v_sub_u32_e32 v57, 29, v59
	v_cmp_eq_u32_e64 s[0:1], 0, v14
	v_and_b32_e32 v56, 7, v56
	v_lshlrev_b32_e32 v4, 8, v4
	v_cndmask_b32_e64 v14, v14, v57, s[0:1]
	v_lshl_add_u32 v14, v14, 10, v22
	v_cndmask_b32_e64 v56, v58, v56, s[0:1]
	v_and_or_b32 v4, v4, s52, v14
	v_lshl_or_b32 v4, v56, 7, v4
	v_cvt_f32_f16_e32 v56, v4
.LBB302_138:                            ;   in Loop: Header=BB302_10 Depth=1
	s_or_b64 exec, exec, s[42:43]
	global_load_dword v14, v[12:13], off offset:2048
	s_mov_b64 s[0:1], 0
                                        ; implicit-def: $sgpr44
	s_waitcnt vmcnt(0)
	v_cmp_gt_i16_sdwa s[40:41], v14, s50 src0_sel:BYTE_0 src1_sel:DWORD
	s_and_saveexec_b64 s[42:43], s[40:41]
	s_xor_b64 s[40:41], exec, s[42:43]
	s_cbranch_execnz .LBB302_300
; %bb.139:                              ;   in Loop: Header=BB302_10 Depth=1
	s_or_saveexec_b64 s[40:41], s[40:41]
	v_mov_b32_e32 v57, s44
	s_xor_b64 exec, exec, s[40:41]
	s_cbranch_execnz .LBB302_303
.LBB302_140:                            ;   in Loop: Header=BB302_10 Depth=1
	s_or_b64 exec, exec, s[40:41]
	s_and_saveexec_b64 s[40:41], s[0:1]
	s_cbranch_execz .LBB302_142
.LBB302_141:                            ;   in Loop: Header=BB302_10 Depth=1
	v_and_b32_e32 v4, 7, v14
	v_ffbh_u32_e32 v58, v4
	v_min_u32_e32 v60, 32, v58
	v_subrev_u32_e32 v58, 28, v60
	v_bfe_u32 v57, v14, 3, 4
	v_lshlrev_b64 v[58:59], v58, v[14:15]
	v_sub_u32_e32 v59, 29, v60
	v_cmp_eq_u32_e64 s[0:1], 0, v57
	v_and_b32_e32 v58, 7, v58
	s_nop 0
	v_cndmask_b32_e64 v57, v57, v59, s[0:1]
	v_cndmask_b32_e64 v4, v4, v58, s[0:1]
	v_lshlrev_b32_e32 v58, 8, v14
	v_lshl_add_u32 v57, v57, 10, v22
	v_and_or_b32 v57, v58, s52, v57
	v_lshl_or_b32 v4, v4, 7, v57
	v_cvt_f32_f16_e32 v57, v4
.LBB302_142:                            ;   in Loop: Header=BB302_10 Depth=1
	s_or_b64 exec, exec, s[40:41]
	v_lshrrev_b16_e32 v4, 8, v14
	v_cmp_lt_i16_e64 s[0:1], s50, v4
	s_mov_b64 s[40:41], 0
                                        ; implicit-def: $sgpr53
	s_and_saveexec_b64 s[42:43], s[0:1]
	s_xor_b64 s[42:43], exec, s[42:43]
	s_cbranch_execnz .LBB302_304
; %bb.143:                              ;   in Loop: Header=BB302_10 Depth=1
	s_or_saveexec_b64 s[42:43], s[42:43]
	v_mov_b32_e32 v58, s53
	s_xor_b64 exec, exec, s[42:43]
	s_cbranch_execnz .LBB302_307
.LBB302_144:                            ;   in Loop: Header=BB302_10 Depth=1
	s_or_b64 exec, exec, s[42:43]
	s_and_saveexec_b64 s[42:43], s[40:41]
	s_cbranch_execz .LBB302_146
.LBB302_145:                            ;   in Loop: Header=BB302_10 Depth=1
	v_and_b32_e32 v60, 7, v4
	v_ffbh_u32_e32 v58, v60
	v_min_u32_e32 v62, 32, v58
	v_subrev_u32_e32 v58, 28, v62
	v_bfe_u32 v61, v4, 3, 4
	v_lshlrev_b64 v[58:59], v58, v[4:5]
	v_sub_u32_e32 v59, 29, v62
	v_cmp_eq_u32_e64 s[0:1], 0, v61
	v_and_b32_e32 v58, 7, v58
	v_lshlrev_b32_e32 v4, 8, v4
	v_cndmask_b32_e64 v59, v61, v59, s[0:1]
	v_lshl_add_u32 v59, v59, 10, v22
	v_cndmask_b32_e64 v58, v60, v58, s[0:1]
	v_and_or_b32 v4, v4, s52, v59
	v_lshl_or_b32 v4, v58, 7, v4
	v_cvt_f32_f16_e32 v58, v4
.LBB302_146:                            ;   in Loop: Header=BB302_10 Depth=1
	s_or_b64 exec, exec, s[42:43]
	v_lshrrev_b32_e32 v4, 16, v14
	v_cmp_gt_i16_sdwa s[40:41], v4, s50 src0_sel:BYTE_0 src1_sel:DWORD
	s_mov_b64 s[0:1], 0
                                        ; implicit-def: $sgpr44
	s_and_saveexec_b64 s[42:43], s[40:41]
	s_xor_b64 s[40:41], exec, s[42:43]
	s_cbranch_execnz .LBB302_308
; %bb.147:                              ;   in Loop: Header=BB302_10 Depth=1
	s_or_saveexec_b64 s[40:41], s[40:41]
	v_mov_b32_e32 v59, s44
	s_xor_b64 exec, exec, s[40:41]
	s_cbranch_execnz .LBB302_311
.LBB302_148:                            ;   in Loop: Header=BB302_10 Depth=1
	s_or_b64 exec, exec, s[40:41]
	s_and_saveexec_b64 s[40:41], s[0:1]
	s_cbranch_execz .LBB302_150
.LBB302_149:                            ;   in Loop: Header=BB302_10 Depth=1
	v_bfe_u32 v59, v14, 16, 3
	v_ffbh_u32_e32 v60, v59
	v_min_u32_e32 v63, 32, v60
	v_subrev_u32_e32 v60, 28, v63
	v_bfe_u32 v62, v14, 19, 4
	v_lshlrev_b64 v[60:61], v60, v[4:5]
	v_sub_u32_e32 v61, 29, v63
	v_cmp_eq_u32_e64 s[0:1], 0, v62
	v_and_b32_e32 v60, 7, v60
	v_lshlrev_b32_e32 v4, 8, v4
	v_cndmask_b32_e64 v61, v62, v61, s[0:1]
	v_cndmask_b32_e64 v59, v59, v60, s[0:1]
	v_lshl_add_u32 v60, v61, 10, v22
	v_and_or_b32 v4, v4, s52, v60
	v_lshl_or_b32 v4, v59, 7, v4
	v_cvt_f32_f16_e32 v59, v4
.LBB302_150:                            ;   in Loop: Header=BB302_10 Depth=1
	s_or_b64 exec, exec, s[40:41]
	v_lshrrev_b32_e32 v4, 24, v14
	v_cmp_lt_i16_e64 s[0:1], s50, v4
	s_mov_b64 s[40:41], 0
                                        ; implicit-def: $sgpr53
	s_and_saveexec_b64 s[42:43], s[0:1]
	s_xor_b64 s[42:43], exec, s[42:43]
	s_cbranch_execnz .LBB302_312
; %bb.151:                              ;   in Loop: Header=BB302_10 Depth=1
	s_or_saveexec_b64 s[42:43], s[42:43]
	v_mov_b32_e32 v60, s53
	s_xor_b64 exec, exec, s[42:43]
	s_cbranch_execnz .LBB302_315
.LBB302_152:                            ;   in Loop: Header=BB302_10 Depth=1
	s_or_b64 exec, exec, s[42:43]
	s_and_saveexec_b64 s[42:43], s[40:41]
	s_cbranch_execz .LBB302_154
.LBB302_153:                            ;   in Loop: Header=BB302_10 Depth=1
	v_bfe_u32 v62, v14, 24, 3
	v_ffbh_u32_e32 v60, v62
	v_min_u32_e32 v63, 32, v60
	v_subrev_u32_e32 v60, 28, v63
	v_bfe_u32 v14, v14, 27, 4
	v_lshlrev_b64 v[60:61], v60, v[4:5]
	v_sub_u32_e32 v61, 29, v63
	v_cmp_eq_u32_e64 s[0:1], 0, v14
	v_and_b32_e32 v60, 7, v60
	v_lshlrev_b32_e32 v4, 8, v4
	v_cndmask_b32_e64 v14, v14, v61, s[0:1]
	v_lshl_add_u32 v14, v14, 10, v22
	v_cndmask_b32_e64 v60, v62, v60, s[0:1]
	v_and_or_b32 v4, v4, s52, v14
	v_lshl_or_b32 v4, v60, 7, v4
	v_cvt_f32_f16_e32 v60, v4
.LBB302_154:                            ;   in Loop: Header=BB302_10 Depth=1
	s_or_b64 exec, exec, s[42:43]
	global_load_dword v12, v[12:13], off offset:2056
	s_mov_b64 s[0:1], 0
                                        ; implicit-def: $sgpr44
	s_waitcnt vmcnt(0)
	v_cmp_gt_i16_sdwa s[40:41], v12, s50 src0_sel:BYTE_0 src1_sel:DWORD
	s_and_saveexec_b64 s[42:43], s[40:41]
	s_xor_b64 s[40:41], exec, s[42:43]
	s_cbranch_execnz .LBB302_316
; %bb.155:                              ;   in Loop: Header=BB302_10 Depth=1
	s_or_saveexec_b64 s[40:41], s[40:41]
	v_mov_b32_e32 v13, s44
	s_xor_b64 exec, exec, s[40:41]
	s_cbranch_execnz .LBB302_319
.LBB302_156:                            ;   in Loop: Header=BB302_10 Depth=1
	s_or_b64 exec, exec, s[40:41]
	s_and_saveexec_b64 s[40:41], s[0:1]
	s_cbranch_execz .LBB302_158
.LBB302_157:                            ;   in Loop: Header=BB302_10 Depth=1
	v_and_b32_e32 v4, 7, v12
	v_ffbh_u32_e32 v14, v4
	v_bfe_u32 v13, v12, 3, 4
	v_min_u32_e32 v14, 32, v14
	v_subrev_u32_e32 v61, 28, v14
	v_sub_u32_e32 v14, 29, v14
	v_cmp_eq_u32_e64 s[0:1], 0, v13
	v_lshlrev_b64 v[62:63], v61, v[12:13]
	v_and_b32_e32 v61, 7, v62
	v_cndmask_b32_e64 v13, v13, v14, s[0:1]
	v_lshlrev_b32_e32 v14, 8, v12
	v_lshl_add_u32 v13, v13, 10, v22
	v_cndmask_b32_e64 v4, v4, v61, s[0:1]
	v_and_or_b32 v13, v14, s52, v13
	v_lshl_or_b32 v4, v4, 7, v13
	v_cvt_f32_f16_e32 v13, v4
.LBB302_158:                            ;   in Loop: Header=BB302_10 Depth=1
	s_or_b64 exec, exec, s[40:41]
	v_lshrrev_b16_e32 v4, 8, v12
	v_cmp_lt_i16_e64 s[0:1], s50, v4
	s_mov_b64 s[40:41], 0
                                        ; implicit-def: $sgpr53
	s_and_saveexec_b64 s[42:43], s[0:1]
	s_xor_b64 s[42:43], exec, s[42:43]
	s_cbranch_execnz .LBB302_320
; %bb.159:                              ;   in Loop: Header=BB302_10 Depth=1
	s_or_saveexec_b64 s[42:43], s[42:43]
	v_mov_b32_e32 v61, s53
	s_xor_b64 exec, exec, s[42:43]
	s_cbranch_execnz .LBB302_323
.LBB302_160:                            ;   in Loop: Header=BB302_10 Depth=1
	s_or_b64 exec, exec, s[42:43]
	s_and_saveexec_b64 s[42:43], s[40:41]
	s_cbranch_execz .LBB302_162
.LBB302_161:                            ;   in Loop: Header=BB302_10 Depth=1
	v_and_b32_e32 v14, 7, v4
	v_ffbh_u32_e32 v62, v14
	v_min_u32_e32 v64, 32, v62
	v_subrev_u32_e32 v62, 28, v64
	v_bfe_u32 v61, v4, 3, 4
	v_lshlrev_b64 v[62:63], v62, v[4:5]
	v_sub_u32_e32 v63, 29, v64
	v_cmp_eq_u32_e64 s[0:1], 0, v61
	v_and_b32_e32 v62, 7, v62
	v_lshlrev_b32_e32 v4, 8, v4
	v_cndmask_b32_e64 v61, v61, v63, s[0:1]
	v_lshl_add_u32 v61, v61, 10, v22
	v_cndmask_b32_e64 v14, v14, v62, s[0:1]
	v_and_or_b32 v4, v4, s52, v61
	v_lshl_or_b32 v4, v14, 7, v4
	v_cvt_f32_f16_e32 v61, v4
.LBB302_162:                            ;   in Loop: Header=BB302_10 Depth=1
	s_or_b64 exec, exec, s[42:43]
	v_lshrrev_b32_e32 v4, 16, v12
	v_cmp_gt_i16_sdwa s[40:41], v4, s50 src0_sel:BYTE_0 src1_sel:DWORD
	s_mov_b64 s[0:1], 0
                                        ; implicit-def: $sgpr44
	s_and_saveexec_b64 s[42:43], s[40:41]
	s_xor_b64 s[40:41], exec, s[42:43]
	s_cbranch_execnz .LBB302_324
; %bb.163:                              ;   in Loop: Header=BB302_10 Depth=1
	s_or_saveexec_b64 s[40:41], s[40:41]
	v_mov_b32_e32 v62, s44
	s_xor_b64 exec, exec, s[40:41]
	s_cbranch_execnz .LBB302_327
.LBB302_164:                            ;   in Loop: Header=BB302_10 Depth=1
	s_or_b64 exec, exec, s[40:41]
	s_and_saveexec_b64 s[40:41], s[0:1]
	s_cbranch_execz .LBB302_166
.LBB302_165:                            ;   in Loop: Header=BB302_10 Depth=1
	v_bfe_u32 v14, v12, 16, 3
	v_ffbh_u32_e32 v62, v14
	v_min_u32_e32 v65, 32, v62
	v_subrev_u32_e32 v62, 28, v65
	v_bfe_u32 v64, v12, 19, 4
	v_lshlrev_b64 v[62:63], v62, v[4:5]
	v_sub_u32_e32 v63, 29, v65
	v_cmp_eq_u32_e64 s[0:1], 0, v64
	v_and_b32_e32 v62, 7, v62
	v_lshlrev_b32_e32 v4, 8, v4
	v_cndmask_b32_e64 v63, v64, v63, s[0:1]
	v_cndmask_b32_e64 v14, v14, v62, s[0:1]
	v_lshl_add_u32 v62, v63, 10, v22
	v_and_or_b32 v4, v4, s52, v62
	v_lshl_or_b32 v4, v14, 7, v4
	v_cvt_f32_f16_e32 v62, v4
.LBB302_166:                            ;   in Loop: Header=BB302_10 Depth=1
	s_or_b64 exec, exec, s[40:41]
	v_lshrrev_b32_e32 v4, 24, v12
	v_cmp_lt_i16_e64 s[0:1], s50, v4
	s_mov_b64 s[40:41], 0
                                        ; implicit-def: $sgpr53
	s_and_saveexec_b64 s[42:43], s[0:1]
	s_xor_b64 s[42:43], exec, s[42:43]
	s_cbranch_execnz .LBB302_328
; %bb.167:                              ;   in Loop: Header=BB302_10 Depth=1
	s_or_saveexec_b64 s[42:43], s[42:43]
	v_mov_b32_e32 v63, s53
	s_xor_b64 exec, exec, s[42:43]
	s_cbranch_execnz .LBB302_331
.LBB302_168:                            ;   in Loop: Header=BB302_10 Depth=1
	s_or_b64 exec, exec, s[42:43]
	s_and_saveexec_b64 s[42:43], s[40:41]
	s_cbranch_execz .LBB302_170
.LBB302_169:                            ;   in Loop: Header=BB302_10 Depth=1
	v_bfe_u32 v14, v12, 24, 3
	v_ffbh_u32_e32 v63, v14
	v_bfe_u32 v12, v12, 27, 4
	v_min_u32_e32 v63, 32, v63
	v_subrev_u32_e32 v64, 28, v63
	v_sub_u32_e32 v63, 29, v63
	v_cmp_eq_u32_e64 s[0:1], 0, v12
	v_lshlrev_b64 v[64:65], v64, v[4:5]
	v_and_b32_e32 v64, 7, v64
	v_cndmask_b32_e64 v12, v12, v63, s[0:1]
	v_lshlrev_b32_e32 v4, 8, v4
	v_lshl_add_u32 v12, v12, 10, v22
	v_cndmask_b32_e64 v14, v14, v64, s[0:1]
	v_and_or_b32 v4, v4, s52, v12
	v_lshl_or_b32 v4, v14, 7, v4
	v_cvt_f32_f16_e32 v63, v4
.LBB302_170:                            ;   in Loop: Header=BB302_10 Depth=1
	s_or_b64 exec, exec, s[42:43]
	v_fma_mixlo_f16 v14, v24, v58, 0
	v_fma_mixlo_f16 v12, v24, v59, 0
	;; [unrolled: 1-line block ×4, first 2 shown]
	ds_read_b64 v[30:31], v17
	v_fma_mixlo_f16 v26, v24, v26, 0
	v_fma_mixlo_f16 v25, v24, v25, 0
	;; [unrolled: 1-line block ×3, first 2 shown]
	v_and_b32_e32 v25, 0xffff, v25
	s_waitcnt lgkmcnt(0)
	v_lshrrev_b32_e32 v60, 16, v30
	v_and_b32_e32 v30, 0xffff, v30
	v_and_b32_e32 v26, 0xffff, v26
	v_fma_mixlo_f16 v27, v24, v27, 0
	;;#ASMSTART
	v_cvt_f32_f16 v30, v30;
	;;#ASMEND
	;;#ASMSTART
	v_cvt_f32_f16 v60, v60;
	;;#ASMEND
	;; [unrolled: 3-line block ×4, first 2 shown]
	v_lshrrev_b32_e32 v26, 16, v31
	v_and_b32_e32 v31, 0xffff, v31
	v_fma_mixlo_f16 v28, v24, v28, 0
	;;#ASMSTART
	v_cvt_f32_f16 v31, v31;
	;;#ASMEND
	;;#ASMSTART
	v_cvt_f32_f16 v65, v26;
	;;#ASMEND
	v_and_b32_e32 v26, 0xffff, v27
	;;#ASMSTART
	v_cvt_f32_f16 v66, v26;
	;;#ASMEND
	v_and_b32_e32 v26, 0xffff, v28
	;;#ASMSTART
	v_cvt_f32_f16 v28, v26;
	;;#ASMEND
	ds_read_b64 v[26:27], v17 offset:8
	v_fma_mixlo_f16 v29, v24, v29, 0
	v_fma_mixlo_f16 v57, v24, v57, 0
	;; [unrolled: 1-line block ×31, first 2 shown]
	s_waitcnt lgkmcnt(0)
	v_lshrrev_b32_e32 v13, 16, v26
	v_and_b32_e32 v24, 0xffff, v26
	v_and_b32_e32 v26, 0xffff, v29
	;;#ASMSTART
	v_cvt_f32_f16 v24, v24;
	;;#ASMEND
	;;#ASMSTART
	v_cvt_f32_f16 v13, v13;
	;;#ASMEND
	;; [unrolled: 3-line block ×3, first 2 shown]
	v_and_b32_e32 v29, 0xffff, v58
	;;#ASMSTART
	v_cvt_f32_f16 v29, v29;
	;;#ASMEND
	v_mul_f32_e32 v26, v24, v26
	v_and_b32_e32 v24, 0xffff, v27
	v_mul_f32_e32 v29, v13, v29
	v_lshrrev_b32_e32 v13, 16, v27
	;;#ASMSTART
	v_cvt_f32_f16 v27, v24;
	;;#ASMEND
	v_and_b32_e32 v24, 0xffff, v59
	v_fmac_f32_e32 v26, v30, v25
	;;#ASMSTART
	v_cvt_f32_f16 v13, v13;
	;;#ASMEND
	;;#ASMSTART
	v_cvt_f32_f16 v30, v24;
	;;#ASMEND
	v_and_b32_e32 v24, 0xffff, v32
	;;#ASMSTART
	v_cvt_f32_f16 v32, v24;
	;;#ASMEND
	ds_read_b64 v[24:25], v17 offset:16
	v_mul_f32_e32 v27, v27, v30
	v_mul_f32_e32 v30, v13, v32
	v_fmac_f32_e32 v30, v65, v28
	v_fmac_f32_e32 v27, v31, v66
	s_waitcnt lgkmcnt(0)
	v_lshrrev_b32_e32 v13, 16, v24
	v_and_b32_e32 v24, 0xffff, v24
	;;#ASMSTART
	v_cvt_f32_f16 v28, v24;
	;;#ASMEND
	v_and_b32_e32 v24, 0xffff, v33
	;;#ASMSTART
	v_cvt_f32_f16 v13, v13;
	;;#ASMEND
	;;#ASMSTART
	v_cvt_f32_f16 v31, v24;
	;;#ASMEND
	v_and_b32_e32 v24, 0xffff, v34
	;;#ASMSTART
	v_cvt_f32_f16 v32, v24;
	;;#ASMEND
	v_lshrrev_b32_e32 v24, 16, v25
	v_and_b32_e32 v25, 0xffff, v25
	;;#ASMSTART
	v_cvt_f32_f16 v33, v25;
	;;#ASMEND
	;;#ASMSTART
	v_cvt_f32_f16 v34, v24;
	;;#ASMEND
	v_and_b32_e32 v24, 0xffff, v35
	;;#ASMSTART
	v_cvt_f32_f16 v35, v24;
	;;#ASMEND
	v_and_b32_e32 v24, 0xffff, v36
	;;#ASMSTART
	v_cvt_f32_f16 v36, v24;
	;;#ASMEND
	ds_read_b64 v[24:25], v17 offset:24
	v_fmac_f32_e32 v29, v60, v64
	v_fmac_f32_e32 v29, v13, v32
	v_fmac_f32_e32 v26, v28, v31
	v_fmac_f32_e32 v27, v33, v35
	s_waitcnt lgkmcnt(0)
	v_lshrrev_b32_e32 v13, 16, v24
	v_and_b32_e32 v24, 0xffff, v24
	;;#ASMSTART
	v_cvt_f32_f16 v28, v24;
	;;#ASMEND
	v_and_b32_e32 v24, 0xffff, v37
	;;#ASMSTART
	v_cvt_f32_f16 v13, v13;
	;;#ASMEND
	;;#ASMSTART
	v_cvt_f32_f16 v31, v24;
	;;#ASMEND
	v_and_b32_e32 v24, 0xffff, v38
	;;#ASMSTART
	v_cvt_f32_f16 v32, v24;
	;;#ASMEND
	v_lshrrev_b32_e32 v24, 16, v25
	v_fmac_f32_e32 v30, v34, v36
	v_and_b32_e32 v25, 0xffff, v25
	;;#ASMSTART
	v_cvt_f32_f16 v33, v25;
	;;#ASMEND
	;;#ASMSTART
	v_cvt_f32_f16 v34, v24;
	;;#ASMEND
	v_and_b32_e32 v24, 0xffff, v39
	;;#ASMSTART
	v_cvt_f32_f16 v35, v24;
	;;#ASMEND
	v_and_b32_e32 v24, 0xffff, v40
	;;#ASMSTART
	v_cvt_f32_f16 v36, v24;
	;;#ASMEND
	ds_read_b64 v[24:25], v17 offset:32
	v_fmac_f32_e32 v29, v13, v32
	v_fmac_f32_e32 v26, v28, v31
	v_fmac_f32_e32 v27, v33, v35
	v_fmac_f32_e32 v30, v34, v36
	s_waitcnt lgkmcnt(0)
	v_lshrrev_b32_e32 v13, 16, v24
	v_and_b32_e32 v24, 0xffff, v24
	;;#ASMSTART
	v_cvt_f32_f16 v28, v24;
	;;#ASMEND
	v_and_b32_e32 v24, 0xffff, v41
	;;#ASMSTART
	v_cvt_f32_f16 v13, v13;
	;;#ASMEND
	;;#ASMSTART
	v_cvt_f32_f16 v31, v24;
	;;#ASMEND
	v_and_b32_e32 v24, 0xffff, v42
	;;#ASMSTART
	v_cvt_f32_f16 v32, v24;
	;;#ASMEND
	v_lshrrev_b32_e32 v24, 16, v25
	v_and_b32_e32 v25, 0xffff, v25
	;;#ASMSTART
	v_cvt_f32_f16 v33, v25;
	;;#ASMEND
	;;#ASMSTART
	v_cvt_f32_f16 v34, v24;
	;;#ASMEND
	v_and_b32_e32 v24, 0xffff, v43
	;;#ASMSTART
	v_cvt_f32_f16 v35, v24;
	;;#ASMEND
	v_and_b32_e32 v24, 0xffff, v44
	;;#ASMSTART
	v_cvt_f32_f16 v36, v24;
	;;#ASMEND
	ds_read_b64 v[24:25], v17 offset:40
	v_fmac_f32_e32 v29, v13, v32
	v_fmac_f32_e32 v26, v28, v31
	v_fmac_f32_e32 v27, v33, v35
	v_fmac_f32_e32 v30, v34, v36
	s_waitcnt lgkmcnt(0)
	v_lshrrev_b32_e32 v13, 16, v24
	v_and_b32_e32 v24, 0xffff, v24
	;;#ASMSTART
	v_cvt_f32_f16 v28, v24;
	;;#ASMEND
	v_and_b32_e32 v24, 0xffff, v45
	;;#ASMSTART
	v_cvt_f32_f16 v13, v13;
	;;#ASMEND
	;;#ASMSTART
	v_cvt_f32_f16 v31, v24;
	;;#ASMEND
	v_and_b32_e32 v24, 0xffff, v46
	;;#ASMSTART
	v_cvt_f32_f16 v32, v24;
	;;#ASMEND
	v_lshrrev_b32_e32 v24, 16, v25
	v_and_b32_e32 v25, 0xffff, v25
	;;#ASMSTART
	v_cvt_f32_f16 v33, v25;
	;;#ASMEND
	;;#ASMSTART
	v_cvt_f32_f16 v34, v24;
	;;#ASMEND
	v_and_b32_e32 v24, 0xffff, v47
	;;#ASMSTART
	v_cvt_f32_f16 v35, v24;
	;;#ASMEND
	v_and_b32_e32 v24, 0xffff, v48
	;;#ASMSTART
	v_cvt_f32_f16 v36, v24;
	;;#ASMEND
	ds_read_b64 v[24:25], v17 offset:48
	v_fmac_f32_e32 v29, v13, v32
	v_fmac_f32_e32 v26, v28, v31
	v_fmac_f32_e32 v27, v33, v35
	v_fmac_f32_e32 v30, v34, v36
	s_waitcnt lgkmcnt(0)
	v_lshrrev_b32_e32 v13, 16, v24
	v_and_b32_e32 v24, 0xffff, v24
	;;#ASMSTART
	v_cvt_f32_f16 v28, v24;
	;;#ASMEND
	v_and_b32_e32 v24, 0xffff, v49
	;;#ASMSTART
	v_cvt_f32_f16 v13, v13;
	;;#ASMEND
	;;#ASMSTART
	v_cvt_f32_f16 v31, v24;
	;;#ASMEND
	v_and_b32_e32 v24, 0xffff, v50
	;;#ASMSTART
	v_cvt_f32_f16 v32, v24;
	;;#ASMEND
	v_lshrrev_b32_e32 v24, 16, v25
	v_and_b32_e32 v25, 0xffff, v25
	;;#ASMSTART
	v_cvt_f32_f16 v33, v25;
	;;#ASMEND
	;;#ASMSTART
	v_cvt_f32_f16 v34, v24;
	;;#ASMEND
	v_and_b32_e32 v24, 0xffff, v51
	;;#ASMSTART
	v_cvt_f32_f16 v35, v24;
	;;#ASMEND
	v_and_b32_e32 v24, 0xffff, v52
	;;#ASMSTART
	v_cvt_f32_f16 v36, v24;
	;;#ASMEND
	ds_read_b64 v[24:25], v17 offset:56
	v_fmac_f32_e32 v29, v13, v32
	v_fmac_f32_e32 v26, v28, v31
	v_fmac_f32_e32 v27, v33, v35
	v_fmac_f32_e32 v30, v34, v36
	s_waitcnt lgkmcnt(0)
	v_lshrrev_b32_e32 v13, 16, v24
	v_and_b32_e32 v24, 0xffff, v24
	;;#ASMSTART
	v_cvt_f32_f16 v28, v24;
	;;#ASMEND
	v_and_b32_e32 v24, 0xffff, v53
	;;#ASMSTART
	v_cvt_f32_f16 v13, v13;
	;;#ASMEND
	;;#ASMSTART
	v_cvt_f32_f16 v31, v24;
	;;#ASMEND
	v_and_b32_e32 v24, 0xffff, v54
	;;#ASMSTART
	v_cvt_f32_f16 v32, v24;
	;;#ASMEND
	v_lshrrev_b32_e32 v24, 16, v25
	v_and_b32_e32 v25, 0xffff, v25
	;;#ASMSTART
	v_cvt_f32_f16 v33, v25;
	;;#ASMEND
	;;#ASMSTART
	v_cvt_f32_f16 v34, v24;
	;;#ASMEND
	v_and_b32_e32 v24, 0xffff, v55
	;;#ASMSTART
	v_cvt_f32_f16 v35, v24;
	;;#ASMEND
	v_and_b32_e32 v24, 0xffff, v56
	;;#ASMSTART
	v_cvt_f32_f16 v36, v24;
	;;#ASMEND
	ds_read_b64 v[24:25], v17 offset:64
	v_fmac_f32_e32 v29, v13, v32
	v_fmac_f32_e32 v26, v28, v31
	v_and_b32_e32 v12, 0xffff, v12
	v_and_b32_e32 v4, 0xffff, v4
	s_waitcnt lgkmcnt(0)
	v_lshrrev_b32_e32 v13, 16, v24
	v_and_b32_e32 v24, 0xffff, v24
	;;#ASMSTART
	v_cvt_f32_f16 v24, v24;
	;;#ASMEND
	;;#ASMSTART
	v_cvt_f32_f16 v28, v13;
	;;#ASMEND
	v_and_b32_e32 v13, 0xffff, v57
	;;#ASMSTART
	v_cvt_f32_f16 v31, v13;
	;;#ASMEND
	v_and_b32_e32 v13, 0xffff, v14
	;;#ASMSTART
	v_cvt_f32_f16 v14, v13;
	;;#ASMEND
	v_lshrrev_b32_e32 v13, 16, v25
	v_and_b32_e32 v25, 0xffff, v25
	v_fmac_f32_e32 v27, v33, v35
	;;#ASMSTART
	v_cvt_f32_f16 v25, v25;
	;;#ASMEND
	;;#ASMSTART
	v_cvt_f32_f16 v32, v13;
	;;#ASMEND
	;; [unrolled: 3-line block ×4, first 2 shown]
	ds_read_b64 v[12:13], v17 offset:72
	v_fmac_f32_e32 v30, v34, v36
	v_fmac_f32_e32 v30, v32, v4
	v_fmac_f32_e32 v26, v24, v31
	v_fmac_f32_e32 v29, v28, v14
	s_waitcnt lgkmcnt(0)
	v_lshrrev_b32_e32 v4, 16, v12
	v_and_b32_e32 v12, 0xffff, v12
	;;#ASMSTART
	v_cvt_f32_f16 v12, v12;
	;;#ASMEND
	;;#ASMSTART
	v_cvt_f32_f16 v4, v4;
	;;#ASMEND
	v_and_b32_e32 v14, 0xffff, v67
	v_and_b32_e32 v24, 0xffff, v61
	;;#ASMSTART
	v_cvt_f32_f16 v14, v14;
	;;#ASMEND
	;;#ASMSTART
	v_cvt_f32_f16 v24, v24;
	;;#ASMEND
	v_fmac_f32_e32 v27, v25, v33
	v_fmac_f32_e32 v26, v12, v14
	;; [unrolled: 1-line block ×3, first 2 shown]
	v_lshrrev_b32_e32 v4, 16, v13
	v_and_b32_e32 v12, 0xffff, v13
	;;#ASMSTART
	v_cvt_f32_f16 v12, v12;
	;;#ASMEND
	;;#ASMSTART
	v_cvt_f32_f16 v4, v4;
	;;#ASMEND
	v_and_b32_e32 v13, 0xffff, v62
	v_and_b32_e32 v14, 0xffff, v63
	;;#ASMSTART
	v_cvt_f32_f16 v13, v13;
	;;#ASMEND
	;;#ASMSTART
	v_cvt_f32_f16 v14, v14;
	;;#ASMEND
	s_nop 0
	v_fmac_f32_e32 v27, v12, v13
	v_fmac_f32_e32 v30, v4, v14
	v_add_f32_e32 v4, v26, v29
	v_add_f32_e32 v4, v4, v27
	;; [unrolled: 1-line block ×3, first 2 shown]
	v_and_b32_e32 v4, 64, v19
	v_xor_b32_e32 v13, 1, v19
	v_add_u32_e32 v4, 64, v4
	v_cmp_lt_i32_e64 s[0:1], v13, v4
	s_nop 1
	v_cndmask_b32_e64 v13, v19, v13, s[0:1]
	v_lshlrev_b32_e32 v13, 2, v13
	ds_bpermute_b32 v13, v13, v12
	s_and_saveexec_b64 s[40:41], vcc
	s_cbranch_execz .LBB302_9
; %bb.171:                              ;   in Loop: Header=BB302_10 Depth=1
	v_add_u32_e32 v14, s49, v20
	v_cvt_f32_i32_e32 v14, v14
	s_waitcnt lgkmcnt(0)
	v_add_f32_e32 v12, v12, v13
	v_cmp_gt_i32_e64 s[0:1], s29, v20
	v_max_f32_e32 v13, v1, v1
	v_mul_f32_e32 v14, s10, v14
	v_cndmask_b32_e64 v14, 0, v14, s[6:7]
	v_fmac_f32_e32 v14, s11, v12
	v_cndmask_b32_e64 v12, 0, v14, s[0:1]
	ds_write_b32 v21, v12
	v_max_f32_e32 v12, v13, v14
	v_cndmask_b32_e64 v1, v1, v12, s[0:1]
	s_branch .LBB302_9
.LBB302_172:                            ;   in Loop: Header=BB302_10 Depth=1
	v_cmp_eq_u16_sdwa s[54:55], v14, s51 src0_sel:BYTE_0 src1_sel:DWORD
	s_mov_b64 s[0:1], -1
                                        ; implicit-def: $sgpr44
	s_and_saveexec_b64 s[42:43], s[54:55]
; %bb.173:                              ;   in Loop: Header=BB302_10 Depth=1
	s_mov_b32 s44, 0x7fc02000
	s_xor_b64 s[0:1], exec, -1
; %bb.174:                              ;   in Loop: Header=BB302_10 Depth=1
	s_or_b64 exec, exec, s[42:43]
	s_and_b64 s[0:1], s[0:1], exec
	s_or_saveexec_b64 s[40:41], s[40:41]
	v_mov_b32_e32 v25, s44
	s_xor_b64 exec, exec, s[40:41]
	s_cbranch_execz .LBB302_12
.LBB302_175:                            ;   in Loop: Header=BB302_10 Depth=1
	v_cmp_ne_u16_sdwa s[42:43], v14, v5 src0_sel:BYTE_0 src1_sel:DWORD
	s_andn2_b64 s[0:1], s[0:1], exec
	s_and_b64 s[42:43], s[42:43], exec
	v_mov_b32_e32 v25, 0
	s_or_b64 s[0:1], s[0:1], s[42:43]
	s_or_b64 exec, exec, s[40:41]
	s_and_saveexec_b64 s[40:41], s[0:1]
	s_cbranch_execnz .LBB302_13
	s_branch .LBB302_14
.LBB302_176:                            ;   in Loop: Header=BB302_10 Depth=1
	v_cmp_eq_u16_e64 s[0:1], s51, v4
	s_mov_b64 s[40:41], -1
                                        ; implicit-def: $sgpr53
	s_and_saveexec_b64 s[44:45], s[0:1]
; %bb.177:                              ;   in Loop: Header=BB302_10 Depth=1
	s_mov_b32 s53, 0x7fc02000
	s_xor_b64 s[40:41], exec, -1
; %bb.178:                              ;   in Loop: Header=BB302_10 Depth=1
	s_or_b64 exec, exec, s[44:45]
	s_and_b64 s[40:41], s[40:41], exec
	s_or_saveexec_b64 s[42:43], s[42:43]
	v_mov_b32_e32 v26, s53
	s_xor_b64 exec, exec, s[42:43]
	s_cbranch_execz .LBB302_16
.LBB302_179:                            ;   in Loop: Header=BB302_10 Depth=1
	v_cmp_ne_u16_e64 s[0:1], 0, v4
	s_andn2_b64 s[40:41], s[40:41], exec
	s_and_b64 s[0:1], s[0:1], exec
	v_mov_b32_e32 v26, 0
	s_or_b64 s[40:41], s[40:41], s[0:1]
	s_or_b64 exec, exec, s[42:43]
	s_and_saveexec_b64 s[42:43], s[40:41]
	s_cbranch_execnz .LBB302_17
	s_branch .LBB302_18
.LBB302_180:                            ;   in Loop: Header=BB302_10 Depth=1
	v_cmp_eq_u16_sdwa s[54:55], v4, s51 src0_sel:BYTE_0 src1_sel:DWORD
	s_mov_b64 s[0:1], -1
                                        ; implicit-def: $sgpr44
	s_and_saveexec_b64 s[42:43], s[54:55]
; %bb.181:                              ;   in Loop: Header=BB302_10 Depth=1
	s_mov_b32 s44, 0x7fc02000
	s_xor_b64 s[0:1], exec, -1
; %bb.182:                              ;   in Loop: Header=BB302_10 Depth=1
	s_or_b64 exec, exec, s[42:43]
	s_and_b64 s[0:1], s[0:1], exec
	s_or_saveexec_b64 s[40:41], s[40:41]
	v_mov_b32_e32 v27, s44
	s_xor_b64 exec, exec, s[40:41]
	s_cbranch_execz .LBB302_20
.LBB302_183:                            ;   in Loop: Header=BB302_10 Depth=1
	v_cmp_ne_u16_sdwa s[42:43], v4, v5 src0_sel:BYTE_0 src1_sel:DWORD
	s_andn2_b64 s[0:1], s[0:1], exec
	s_and_b64 s[42:43], s[42:43], exec
	v_mov_b32_e32 v27, 0
	s_or_b64 s[0:1], s[0:1], s[42:43]
	s_or_b64 exec, exec, s[40:41]
	s_and_saveexec_b64 s[40:41], s[0:1]
	s_cbranch_execnz .LBB302_21
	s_branch .LBB302_22
.LBB302_184:                            ;   in Loop: Header=BB302_10 Depth=1
	v_cmp_eq_u16_e64 s[0:1], s51, v4
	s_mov_b64 s[40:41], -1
                                        ; implicit-def: $sgpr53
	s_and_saveexec_b64 s[44:45], s[0:1]
; %bb.185:                              ;   in Loop: Header=BB302_10 Depth=1
	s_mov_b32 s53, 0x7fc02000
	s_xor_b64 s[40:41], exec, -1
; %bb.186:                              ;   in Loop: Header=BB302_10 Depth=1
	s_or_b64 exec, exec, s[44:45]
	s_and_b64 s[40:41], s[40:41], exec
	s_or_saveexec_b64 s[42:43], s[42:43]
	v_mov_b32_e32 v28, s53
	s_xor_b64 exec, exec, s[42:43]
	s_cbranch_execz .LBB302_24
.LBB302_187:                            ;   in Loop: Header=BB302_10 Depth=1
	v_cmp_ne_u16_e64 s[0:1], 0, v4
	s_andn2_b64 s[40:41], s[40:41], exec
	s_and_b64 s[0:1], s[0:1], exec
	v_mov_b32_e32 v28, 0
	s_or_b64 s[40:41], s[40:41], s[0:1]
	s_or_b64 exec, exec, s[42:43]
	s_and_saveexec_b64 s[42:43], s[40:41]
	s_cbranch_execnz .LBB302_25
	s_branch .LBB302_26
.LBB302_188:                            ;   in Loop: Header=BB302_10 Depth=1
	v_cmp_eq_u16_sdwa s[54:55], v14, s51 src0_sel:BYTE_0 src1_sel:DWORD
	s_mov_b64 s[0:1], -1
                                        ; implicit-def: $sgpr44
	s_and_saveexec_b64 s[42:43], s[54:55]
; %bb.189:                              ;   in Loop: Header=BB302_10 Depth=1
	s_mov_b32 s44, 0x7fc02000
	s_xor_b64 s[0:1], exec, -1
; %bb.190:                              ;   in Loop: Header=BB302_10 Depth=1
	s_or_b64 exec, exec, s[42:43]
	s_and_b64 s[0:1], s[0:1], exec
	s_or_saveexec_b64 s[40:41], s[40:41]
	v_mov_b32_e32 v29, s44
	s_xor_b64 exec, exec, s[40:41]
	s_cbranch_execz .LBB302_28
.LBB302_191:                            ;   in Loop: Header=BB302_10 Depth=1
	v_cmp_ne_u16_sdwa s[42:43], v14, v5 src0_sel:BYTE_0 src1_sel:DWORD
	s_andn2_b64 s[0:1], s[0:1], exec
	s_and_b64 s[42:43], s[42:43], exec
	v_mov_b32_e32 v29, 0
	s_or_b64 s[0:1], s[0:1], s[42:43]
	s_or_b64 exec, exec, s[40:41]
	s_and_saveexec_b64 s[40:41], s[0:1]
	s_cbranch_execnz .LBB302_29
	s_branch .LBB302_30
.LBB302_192:                            ;   in Loop: Header=BB302_10 Depth=1
	v_cmp_eq_u16_e64 s[0:1], s51, v4
	s_mov_b64 s[40:41], -1
                                        ; implicit-def: $sgpr53
	s_and_saveexec_b64 s[44:45], s[0:1]
; %bb.193:                              ;   in Loop: Header=BB302_10 Depth=1
	s_mov_b32 s53, 0x7fc02000
	s_xor_b64 s[40:41], exec, -1
; %bb.194:                              ;   in Loop: Header=BB302_10 Depth=1
	s_or_b64 exec, exec, s[44:45]
	s_and_b64 s[40:41], s[40:41], exec
	s_or_saveexec_b64 s[42:43], s[42:43]
	v_mov_b32_e32 v30, s53
	s_xor_b64 exec, exec, s[42:43]
	s_cbranch_execz .LBB302_32
.LBB302_195:                            ;   in Loop: Header=BB302_10 Depth=1
	v_cmp_ne_u16_e64 s[0:1], 0, v4
	s_andn2_b64 s[40:41], s[40:41], exec
	s_and_b64 s[0:1], s[0:1], exec
	v_mov_b32_e32 v30, 0
	s_or_b64 s[40:41], s[40:41], s[0:1]
	s_or_b64 exec, exec, s[42:43]
	s_and_saveexec_b64 s[42:43], s[40:41]
	s_cbranch_execnz .LBB302_33
	s_branch .LBB302_34
.LBB302_196:                            ;   in Loop: Header=BB302_10 Depth=1
	v_cmp_eq_u16_sdwa s[54:55], v4, s51 src0_sel:BYTE_0 src1_sel:DWORD
	s_mov_b64 s[0:1], -1
                                        ; implicit-def: $sgpr44
	s_and_saveexec_b64 s[42:43], s[54:55]
; %bb.197:                              ;   in Loop: Header=BB302_10 Depth=1
	s_mov_b32 s44, 0x7fc02000
	s_xor_b64 s[0:1], exec, -1
; %bb.198:                              ;   in Loop: Header=BB302_10 Depth=1
	s_or_b64 exec, exec, s[42:43]
	s_and_b64 s[0:1], s[0:1], exec
	s_or_saveexec_b64 s[40:41], s[40:41]
	v_mov_b32_e32 v31, s44
	s_xor_b64 exec, exec, s[40:41]
	s_cbranch_execz .LBB302_36
.LBB302_199:                            ;   in Loop: Header=BB302_10 Depth=1
	v_cmp_ne_u16_sdwa s[42:43], v4, v5 src0_sel:BYTE_0 src1_sel:DWORD
	s_andn2_b64 s[0:1], s[0:1], exec
	s_and_b64 s[42:43], s[42:43], exec
	v_mov_b32_e32 v31, 0
	s_or_b64 s[0:1], s[0:1], s[42:43]
	s_or_b64 exec, exec, s[40:41]
	s_and_saveexec_b64 s[40:41], s[0:1]
	s_cbranch_execnz .LBB302_37
	s_branch .LBB302_38
.LBB302_200:                            ;   in Loop: Header=BB302_10 Depth=1
	v_cmp_eq_u16_e64 s[0:1], s51, v4
	s_mov_b64 s[40:41], -1
                                        ; implicit-def: $sgpr53
	s_and_saveexec_b64 s[44:45], s[0:1]
; %bb.201:                              ;   in Loop: Header=BB302_10 Depth=1
	s_mov_b32 s53, 0x7fc02000
	s_xor_b64 s[40:41], exec, -1
; %bb.202:                              ;   in Loop: Header=BB302_10 Depth=1
	s_or_b64 exec, exec, s[44:45]
	s_and_b64 s[40:41], s[40:41], exec
	s_or_saveexec_b64 s[42:43], s[42:43]
	v_mov_b32_e32 v32, s53
	s_xor_b64 exec, exec, s[42:43]
	s_cbranch_execz .LBB302_40
.LBB302_203:                            ;   in Loop: Header=BB302_10 Depth=1
	v_cmp_ne_u16_e64 s[0:1], 0, v4
	s_andn2_b64 s[40:41], s[40:41], exec
	s_and_b64 s[0:1], s[0:1], exec
	v_mov_b32_e32 v32, 0
	s_or_b64 s[40:41], s[40:41], s[0:1]
	s_or_b64 exec, exec, s[42:43]
	s_and_saveexec_b64 s[42:43], s[40:41]
	s_cbranch_execnz .LBB302_41
	s_branch .LBB302_42
.LBB302_204:                            ;   in Loop: Header=BB302_10 Depth=1
	v_cmp_eq_u16_sdwa s[54:55], v14, s51 src0_sel:BYTE_0 src1_sel:DWORD
	s_mov_b64 s[0:1], -1
                                        ; implicit-def: $sgpr44
	s_and_saveexec_b64 s[42:43], s[54:55]
; %bb.205:                              ;   in Loop: Header=BB302_10 Depth=1
	s_mov_b32 s44, 0x7fc02000
	s_xor_b64 s[0:1], exec, -1
; %bb.206:                              ;   in Loop: Header=BB302_10 Depth=1
	s_or_b64 exec, exec, s[42:43]
	s_and_b64 s[0:1], s[0:1], exec
	s_or_saveexec_b64 s[40:41], s[40:41]
	v_mov_b32_e32 v33, s44
	s_xor_b64 exec, exec, s[40:41]
	s_cbranch_execz .LBB302_44
.LBB302_207:                            ;   in Loop: Header=BB302_10 Depth=1
	v_cmp_ne_u16_sdwa s[42:43], v14, v5 src0_sel:BYTE_0 src1_sel:DWORD
	s_andn2_b64 s[0:1], s[0:1], exec
	s_and_b64 s[42:43], s[42:43], exec
	v_mov_b32_e32 v33, 0
	s_or_b64 s[0:1], s[0:1], s[42:43]
	s_or_b64 exec, exec, s[40:41]
	s_and_saveexec_b64 s[40:41], s[0:1]
	s_cbranch_execnz .LBB302_45
	s_branch .LBB302_46
.LBB302_208:                            ;   in Loop: Header=BB302_10 Depth=1
	v_cmp_eq_u16_e64 s[0:1], s51, v4
	s_mov_b64 s[40:41], -1
                                        ; implicit-def: $sgpr53
	s_and_saveexec_b64 s[44:45], s[0:1]
; %bb.209:                              ;   in Loop: Header=BB302_10 Depth=1
	s_mov_b32 s53, 0x7fc02000
	s_xor_b64 s[40:41], exec, -1
; %bb.210:                              ;   in Loop: Header=BB302_10 Depth=1
	s_or_b64 exec, exec, s[44:45]
	s_and_b64 s[40:41], s[40:41], exec
	s_or_saveexec_b64 s[42:43], s[42:43]
	v_mov_b32_e32 v34, s53
	s_xor_b64 exec, exec, s[42:43]
	s_cbranch_execz .LBB302_48
.LBB302_211:                            ;   in Loop: Header=BB302_10 Depth=1
	v_cmp_ne_u16_e64 s[0:1], 0, v4
	s_andn2_b64 s[40:41], s[40:41], exec
	s_and_b64 s[0:1], s[0:1], exec
	v_mov_b32_e32 v34, 0
	s_or_b64 s[40:41], s[40:41], s[0:1]
	s_or_b64 exec, exec, s[42:43]
	s_and_saveexec_b64 s[42:43], s[40:41]
	s_cbranch_execnz .LBB302_49
	s_branch .LBB302_50
.LBB302_212:                            ;   in Loop: Header=BB302_10 Depth=1
	v_cmp_eq_u16_sdwa s[54:55], v4, s51 src0_sel:BYTE_0 src1_sel:DWORD
	s_mov_b64 s[0:1], -1
                                        ; implicit-def: $sgpr44
	s_and_saveexec_b64 s[42:43], s[54:55]
; %bb.213:                              ;   in Loop: Header=BB302_10 Depth=1
	s_mov_b32 s44, 0x7fc02000
	s_xor_b64 s[0:1], exec, -1
; %bb.214:                              ;   in Loop: Header=BB302_10 Depth=1
	s_or_b64 exec, exec, s[42:43]
	s_and_b64 s[0:1], s[0:1], exec
	s_or_saveexec_b64 s[40:41], s[40:41]
	v_mov_b32_e32 v35, s44
	s_xor_b64 exec, exec, s[40:41]
	s_cbranch_execz .LBB302_52
.LBB302_215:                            ;   in Loop: Header=BB302_10 Depth=1
	v_cmp_ne_u16_sdwa s[42:43], v4, v5 src0_sel:BYTE_0 src1_sel:DWORD
	s_andn2_b64 s[0:1], s[0:1], exec
	s_and_b64 s[42:43], s[42:43], exec
	v_mov_b32_e32 v35, 0
	s_or_b64 s[0:1], s[0:1], s[42:43]
	s_or_b64 exec, exec, s[40:41]
	s_and_saveexec_b64 s[40:41], s[0:1]
	s_cbranch_execnz .LBB302_53
	s_branch .LBB302_54
.LBB302_216:                            ;   in Loop: Header=BB302_10 Depth=1
	v_cmp_eq_u16_e64 s[0:1], s51, v4
	s_mov_b64 s[40:41], -1
                                        ; implicit-def: $sgpr53
	s_and_saveexec_b64 s[44:45], s[0:1]
; %bb.217:                              ;   in Loop: Header=BB302_10 Depth=1
	s_mov_b32 s53, 0x7fc02000
	s_xor_b64 s[40:41], exec, -1
; %bb.218:                              ;   in Loop: Header=BB302_10 Depth=1
	s_or_b64 exec, exec, s[44:45]
	s_and_b64 s[40:41], s[40:41], exec
	s_or_saveexec_b64 s[42:43], s[42:43]
	v_mov_b32_e32 v36, s53
	s_xor_b64 exec, exec, s[42:43]
	s_cbranch_execz .LBB302_56
.LBB302_219:                            ;   in Loop: Header=BB302_10 Depth=1
	v_cmp_ne_u16_e64 s[0:1], 0, v4
	s_andn2_b64 s[40:41], s[40:41], exec
	s_and_b64 s[0:1], s[0:1], exec
	v_mov_b32_e32 v36, 0
	s_or_b64 s[40:41], s[40:41], s[0:1]
	s_or_b64 exec, exec, s[42:43]
	s_and_saveexec_b64 s[42:43], s[40:41]
	s_cbranch_execnz .LBB302_57
	s_branch .LBB302_58
.LBB302_220:                            ;   in Loop: Header=BB302_10 Depth=1
	v_cmp_eq_u16_sdwa s[54:55], v14, s51 src0_sel:BYTE_0 src1_sel:DWORD
	s_mov_b64 s[0:1], -1
                                        ; implicit-def: $sgpr44
	s_and_saveexec_b64 s[42:43], s[54:55]
; %bb.221:                              ;   in Loop: Header=BB302_10 Depth=1
	s_mov_b32 s44, 0x7fc02000
	s_xor_b64 s[0:1], exec, -1
; %bb.222:                              ;   in Loop: Header=BB302_10 Depth=1
	s_or_b64 exec, exec, s[42:43]
	s_and_b64 s[0:1], s[0:1], exec
	s_or_saveexec_b64 s[40:41], s[40:41]
	v_mov_b32_e32 v37, s44
	s_xor_b64 exec, exec, s[40:41]
	s_cbranch_execz .LBB302_60
.LBB302_223:                            ;   in Loop: Header=BB302_10 Depth=1
	v_cmp_ne_u16_sdwa s[42:43], v14, v5 src0_sel:BYTE_0 src1_sel:DWORD
	s_andn2_b64 s[0:1], s[0:1], exec
	s_and_b64 s[42:43], s[42:43], exec
	v_mov_b32_e32 v37, 0
	s_or_b64 s[0:1], s[0:1], s[42:43]
	s_or_b64 exec, exec, s[40:41]
	s_and_saveexec_b64 s[40:41], s[0:1]
	s_cbranch_execnz .LBB302_61
	s_branch .LBB302_62
.LBB302_224:                            ;   in Loop: Header=BB302_10 Depth=1
	v_cmp_eq_u16_e64 s[0:1], s51, v4
	s_mov_b64 s[40:41], -1
                                        ; implicit-def: $sgpr53
	s_and_saveexec_b64 s[44:45], s[0:1]
; %bb.225:                              ;   in Loop: Header=BB302_10 Depth=1
	s_mov_b32 s53, 0x7fc02000
	s_xor_b64 s[40:41], exec, -1
; %bb.226:                              ;   in Loop: Header=BB302_10 Depth=1
	s_or_b64 exec, exec, s[44:45]
	s_and_b64 s[40:41], s[40:41], exec
	s_or_saveexec_b64 s[42:43], s[42:43]
	v_mov_b32_e32 v38, s53
	s_xor_b64 exec, exec, s[42:43]
	s_cbranch_execz .LBB302_64
.LBB302_227:                            ;   in Loop: Header=BB302_10 Depth=1
	v_cmp_ne_u16_e64 s[0:1], 0, v4
	s_andn2_b64 s[40:41], s[40:41], exec
	s_and_b64 s[0:1], s[0:1], exec
	v_mov_b32_e32 v38, 0
	s_or_b64 s[40:41], s[40:41], s[0:1]
	s_or_b64 exec, exec, s[42:43]
	s_and_saveexec_b64 s[42:43], s[40:41]
	s_cbranch_execnz .LBB302_65
	s_branch .LBB302_66
.LBB302_228:                            ;   in Loop: Header=BB302_10 Depth=1
	v_cmp_eq_u16_sdwa s[54:55], v4, s51 src0_sel:BYTE_0 src1_sel:DWORD
	s_mov_b64 s[0:1], -1
                                        ; implicit-def: $sgpr44
	s_and_saveexec_b64 s[42:43], s[54:55]
; %bb.229:                              ;   in Loop: Header=BB302_10 Depth=1
	s_mov_b32 s44, 0x7fc02000
	s_xor_b64 s[0:1], exec, -1
; %bb.230:                              ;   in Loop: Header=BB302_10 Depth=1
	s_or_b64 exec, exec, s[42:43]
	s_and_b64 s[0:1], s[0:1], exec
	s_or_saveexec_b64 s[40:41], s[40:41]
	v_mov_b32_e32 v39, s44
	s_xor_b64 exec, exec, s[40:41]
	s_cbranch_execz .LBB302_68
.LBB302_231:                            ;   in Loop: Header=BB302_10 Depth=1
	v_cmp_ne_u16_sdwa s[42:43], v4, v5 src0_sel:BYTE_0 src1_sel:DWORD
	s_andn2_b64 s[0:1], s[0:1], exec
	s_and_b64 s[42:43], s[42:43], exec
	v_mov_b32_e32 v39, 0
	s_or_b64 s[0:1], s[0:1], s[42:43]
	s_or_b64 exec, exec, s[40:41]
	s_and_saveexec_b64 s[40:41], s[0:1]
	s_cbranch_execnz .LBB302_69
	s_branch .LBB302_70
.LBB302_232:                            ;   in Loop: Header=BB302_10 Depth=1
	v_cmp_eq_u16_e64 s[0:1], s51, v4
	s_mov_b64 s[40:41], -1
                                        ; implicit-def: $sgpr53
	s_and_saveexec_b64 s[44:45], s[0:1]
; %bb.233:                              ;   in Loop: Header=BB302_10 Depth=1
	s_mov_b32 s53, 0x7fc02000
	s_xor_b64 s[40:41], exec, -1
; %bb.234:                              ;   in Loop: Header=BB302_10 Depth=1
	s_or_b64 exec, exec, s[44:45]
	s_and_b64 s[40:41], s[40:41], exec
	s_or_saveexec_b64 s[42:43], s[42:43]
	v_mov_b32_e32 v40, s53
	s_xor_b64 exec, exec, s[42:43]
	s_cbranch_execz .LBB302_72
.LBB302_235:                            ;   in Loop: Header=BB302_10 Depth=1
	v_cmp_ne_u16_e64 s[0:1], 0, v4
	s_andn2_b64 s[40:41], s[40:41], exec
	s_and_b64 s[0:1], s[0:1], exec
	v_mov_b32_e32 v40, 0
	s_or_b64 s[40:41], s[40:41], s[0:1]
	s_or_b64 exec, exec, s[42:43]
	s_and_saveexec_b64 s[42:43], s[40:41]
	s_cbranch_execnz .LBB302_73
	s_branch .LBB302_74
.LBB302_236:                            ;   in Loop: Header=BB302_10 Depth=1
	v_cmp_eq_u16_sdwa s[54:55], v14, s51 src0_sel:BYTE_0 src1_sel:DWORD
	s_mov_b64 s[0:1], -1
                                        ; implicit-def: $sgpr44
	s_and_saveexec_b64 s[42:43], s[54:55]
; %bb.237:                              ;   in Loop: Header=BB302_10 Depth=1
	s_mov_b32 s44, 0x7fc02000
	s_xor_b64 s[0:1], exec, -1
; %bb.238:                              ;   in Loop: Header=BB302_10 Depth=1
	s_or_b64 exec, exec, s[42:43]
	s_and_b64 s[0:1], s[0:1], exec
	s_or_saveexec_b64 s[40:41], s[40:41]
	v_mov_b32_e32 v41, s44
	s_xor_b64 exec, exec, s[40:41]
	s_cbranch_execz .LBB302_76
.LBB302_239:                            ;   in Loop: Header=BB302_10 Depth=1
	v_cmp_ne_u16_sdwa s[42:43], v14, v5 src0_sel:BYTE_0 src1_sel:DWORD
	s_andn2_b64 s[0:1], s[0:1], exec
	s_and_b64 s[42:43], s[42:43], exec
	v_mov_b32_e32 v41, 0
	s_or_b64 s[0:1], s[0:1], s[42:43]
	s_or_b64 exec, exec, s[40:41]
	s_and_saveexec_b64 s[40:41], s[0:1]
	s_cbranch_execnz .LBB302_77
	s_branch .LBB302_78
.LBB302_240:                            ;   in Loop: Header=BB302_10 Depth=1
	v_cmp_eq_u16_e64 s[0:1], s51, v4
	s_mov_b64 s[40:41], -1
                                        ; implicit-def: $sgpr53
	s_and_saveexec_b64 s[44:45], s[0:1]
; %bb.241:                              ;   in Loop: Header=BB302_10 Depth=1
	s_mov_b32 s53, 0x7fc02000
	s_xor_b64 s[40:41], exec, -1
; %bb.242:                              ;   in Loop: Header=BB302_10 Depth=1
	s_or_b64 exec, exec, s[44:45]
	s_and_b64 s[40:41], s[40:41], exec
	s_or_saveexec_b64 s[42:43], s[42:43]
	v_mov_b32_e32 v42, s53
	s_xor_b64 exec, exec, s[42:43]
	s_cbranch_execz .LBB302_80
.LBB302_243:                            ;   in Loop: Header=BB302_10 Depth=1
	v_cmp_ne_u16_e64 s[0:1], 0, v4
	s_andn2_b64 s[40:41], s[40:41], exec
	s_and_b64 s[0:1], s[0:1], exec
	v_mov_b32_e32 v42, 0
	s_or_b64 s[40:41], s[40:41], s[0:1]
	s_or_b64 exec, exec, s[42:43]
	s_and_saveexec_b64 s[42:43], s[40:41]
	s_cbranch_execnz .LBB302_81
	s_branch .LBB302_82
.LBB302_244:                            ;   in Loop: Header=BB302_10 Depth=1
	v_cmp_eq_u16_sdwa s[54:55], v4, s51 src0_sel:BYTE_0 src1_sel:DWORD
	s_mov_b64 s[0:1], -1
                                        ; implicit-def: $sgpr44
	s_and_saveexec_b64 s[42:43], s[54:55]
; %bb.245:                              ;   in Loop: Header=BB302_10 Depth=1
	s_mov_b32 s44, 0x7fc02000
	s_xor_b64 s[0:1], exec, -1
; %bb.246:                              ;   in Loop: Header=BB302_10 Depth=1
	s_or_b64 exec, exec, s[42:43]
	s_and_b64 s[0:1], s[0:1], exec
	s_or_saveexec_b64 s[40:41], s[40:41]
	v_mov_b32_e32 v43, s44
	s_xor_b64 exec, exec, s[40:41]
	s_cbranch_execz .LBB302_84
.LBB302_247:                            ;   in Loop: Header=BB302_10 Depth=1
	v_cmp_ne_u16_sdwa s[42:43], v4, v5 src0_sel:BYTE_0 src1_sel:DWORD
	s_andn2_b64 s[0:1], s[0:1], exec
	s_and_b64 s[42:43], s[42:43], exec
	v_mov_b32_e32 v43, 0
	s_or_b64 s[0:1], s[0:1], s[42:43]
	s_or_b64 exec, exec, s[40:41]
	s_and_saveexec_b64 s[40:41], s[0:1]
	s_cbranch_execnz .LBB302_85
	s_branch .LBB302_86
.LBB302_248:                            ;   in Loop: Header=BB302_10 Depth=1
	v_cmp_eq_u16_e64 s[0:1], s51, v4
	s_mov_b64 s[40:41], -1
                                        ; implicit-def: $sgpr53
	s_and_saveexec_b64 s[44:45], s[0:1]
; %bb.249:                              ;   in Loop: Header=BB302_10 Depth=1
	s_mov_b32 s53, 0x7fc02000
	s_xor_b64 s[40:41], exec, -1
; %bb.250:                              ;   in Loop: Header=BB302_10 Depth=1
	s_or_b64 exec, exec, s[44:45]
	s_and_b64 s[40:41], s[40:41], exec
	s_or_saveexec_b64 s[42:43], s[42:43]
	v_mov_b32_e32 v44, s53
	s_xor_b64 exec, exec, s[42:43]
	s_cbranch_execz .LBB302_88
.LBB302_251:                            ;   in Loop: Header=BB302_10 Depth=1
	v_cmp_ne_u16_e64 s[0:1], 0, v4
	s_andn2_b64 s[40:41], s[40:41], exec
	s_and_b64 s[0:1], s[0:1], exec
	v_mov_b32_e32 v44, 0
	s_or_b64 s[40:41], s[40:41], s[0:1]
	s_or_b64 exec, exec, s[42:43]
	s_and_saveexec_b64 s[42:43], s[40:41]
	s_cbranch_execnz .LBB302_89
	s_branch .LBB302_90
.LBB302_252:                            ;   in Loop: Header=BB302_10 Depth=1
	v_cmp_eq_u16_sdwa s[54:55], v14, s51 src0_sel:BYTE_0 src1_sel:DWORD
	s_mov_b64 s[0:1], -1
                                        ; implicit-def: $sgpr44
	s_and_saveexec_b64 s[42:43], s[54:55]
; %bb.253:                              ;   in Loop: Header=BB302_10 Depth=1
	s_mov_b32 s44, 0x7fc02000
	s_xor_b64 s[0:1], exec, -1
; %bb.254:                              ;   in Loop: Header=BB302_10 Depth=1
	s_or_b64 exec, exec, s[42:43]
	s_and_b64 s[0:1], s[0:1], exec
	s_or_saveexec_b64 s[40:41], s[40:41]
	v_mov_b32_e32 v45, s44
	s_xor_b64 exec, exec, s[40:41]
	s_cbranch_execz .LBB302_92
.LBB302_255:                            ;   in Loop: Header=BB302_10 Depth=1
	v_cmp_ne_u16_sdwa s[42:43], v14, v5 src0_sel:BYTE_0 src1_sel:DWORD
	s_andn2_b64 s[0:1], s[0:1], exec
	s_and_b64 s[42:43], s[42:43], exec
	v_mov_b32_e32 v45, 0
	s_or_b64 s[0:1], s[0:1], s[42:43]
	s_or_b64 exec, exec, s[40:41]
	s_and_saveexec_b64 s[40:41], s[0:1]
	s_cbranch_execnz .LBB302_93
	s_branch .LBB302_94
.LBB302_256:                            ;   in Loop: Header=BB302_10 Depth=1
	v_cmp_eq_u16_e64 s[0:1], s51, v4
	s_mov_b64 s[40:41], -1
                                        ; implicit-def: $sgpr53
	s_and_saveexec_b64 s[44:45], s[0:1]
; %bb.257:                              ;   in Loop: Header=BB302_10 Depth=1
	s_mov_b32 s53, 0x7fc02000
	s_xor_b64 s[40:41], exec, -1
; %bb.258:                              ;   in Loop: Header=BB302_10 Depth=1
	s_or_b64 exec, exec, s[44:45]
	s_and_b64 s[40:41], s[40:41], exec
	s_or_saveexec_b64 s[42:43], s[42:43]
	v_mov_b32_e32 v46, s53
	s_xor_b64 exec, exec, s[42:43]
	s_cbranch_execz .LBB302_96
.LBB302_259:                            ;   in Loop: Header=BB302_10 Depth=1
	v_cmp_ne_u16_e64 s[0:1], 0, v4
	s_andn2_b64 s[40:41], s[40:41], exec
	s_and_b64 s[0:1], s[0:1], exec
	v_mov_b32_e32 v46, 0
	s_or_b64 s[40:41], s[40:41], s[0:1]
	s_or_b64 exec, exec, s[42:43]
	s_and_saveexec_b64 s[42:43], s[40:41]
	s_cbranch_execnz .LBB302_97
	s_branch .LBB302_98
.LBB302_260:                            ;   in Loop: Header=BB302_10 Depth=1
	v_cmp_eq_u16_sdwa s[54:55], v4, s51 src0_sel:BYTE_0 src1_sel:DWORD
	s_mov_b64 s[0:1], -1
                                        ; implicit-def: $sgpr44
	s_and_saveexec_b64 s[42:43], s[54:55]
; %bb.261:                              ;   in Loop: Header=BB302_10 Depth=1
	s_mov_b32 s44, 0x7fc02000
	s_xor_b64 s[0:1], exec, -1
; %bb.262:                              ;   in Loop: Header=BB302_10 Depth=1
	s_or_b64 exec, exec, s[42:43]
	s_and_b64 s[0:1], s[0:1], exec
	s_or_saveexec_b64 s[40:41], s[40:41]
	v_mov_b32_e32 v47, s44
	s_xor_b64 exec, exec, s[40:41]
	s_cbranch_execz .LBB302_100
.LBB302_263:                            ;   in Loop: Header=BB302_10 Depth=1
	v_cmp_ne_u16_sdwa s[42:43], v4, v5 src0_sel:BYTE_0 src1_sel:DWORD
	s_andn2_b64 s[0:1], s[0:1], exec
	s_and_b64 s[42:43], s[42:43], exec
	v_mov_b32_e32 v47, 0
	s_or_b64 s[0:1], s[0:1], s[42:43]
	s_or_b64 exec, exec, s[40:41]
	s_and_saveexec_b64 s[40:41], s[0:1]
	s_cbranch_execnz .LBB302_101
	s_branch .LBB302_102
.LBB302_264:                            ;   in Loop: Header=BB302_10 Depth=1
	v_cmp_eq_u16_e64 s[0:1], s51, v4
	s_mov_b64 s[40:41], -1
                                        ; implicit-def: $sgpr53
	s_and_saveexec_b64 s[44:45], s[0:1]
; %bb.265:                              ;   in Loop: Header=BB302_10 Depth=1
	s_mov_b32 s53, 0x7fc02000
	s_xor_b64 s[40:41], exec, -1
; %bb.266:                              ;   in Loop: Header=BB302_10 Depth=1
	s_or_b64 exec, exec, s[44:45]
	s_and_b64 s[40:41], s[40:41], exec
	s_or_saveexec_b64 s[42:43], s[42:43]
	v_mov_b32_e32 v48, s53
	s_xor_b64 exec, exec, s[42:43]
	s_cbranch_execz .LBB302_104
.LBB302_267:                            ;   in Loop: Header=BB302_10 Depth=1
	v_cmp_ne_u16_e64 s[0:1], 0, v4
	s_andn2_b64 s[40:41], s[40:41], exec
	s_and_b64 s[0:1], s[0:1], exec
	v_mov_b32_e32 v48, 0
	s_or_b64 s[40:41], s[40:41], s[0:1]
	s_or_b64 exec, exec, s[42:43]
	s_and_saveexec_b64 s[42:43], s[40:41]
	s_cbranch_execnz .LBB302_105
	s_branch .LBB302_106
.LBB302_268:                            ;   in Loop: Header=BB302_10 Depth=1
	v_cmp_eq_u16_sdwa s[54:55], v14, s51 src0_sel:BYTE_0 src1_sel:DWORD
	s_mov_b64 s[0:1], -1
                                        ; implicit-def: $sgpr44
	s_and_saveexec_b64 s[42:43], s[54:55]
; %bb.269:                              ;   in Loop: Header=BB302_10 Depth=1
	s_mov_b32 s44, 0x7fc02000
	s_xor_b64 s[0:1], exec, -1
; %bb.270:                              ;   in Loop: Header=BB302_10 Depth=1
	s_or_b64 exec, exec, s[42:43]
	s_and_b64 s[0:1], s[0:1], exec
	s_or_saveexec_b64 s[40:41], s[40:41]
	v_mov_b32_e32 v49, s44
	s_xor_b64 exec, exec, s[40:41]
	s_cbranch_execz .LBB302_108
.LBB302_271:                            ;   in Loop: Header=BB302_10 Depth=1
	v_cmp_ne_u16_sdwa s[42:43], v14, v5 src0_sel:BYTE_0 src1_sel:DWORD
	s_andn2_b64 s[0:1], s[0:1], exec
	s_and_b64 s[42:43], s[42:43], exec
	v_mov_b32_e32 v49, 0
	s_or_b64 s[0:1], s[0:1], s[42:43]
	s_or_b64 exec, exec, s[40:41]
	s_and_saveexec_b64 s[40:41], s[0:1]
	s_cbranch_execnz .LBB302_109
	s_branch .LBB302_110
.LBB302_272:                            ;   in Loop: Header=BB302_10 Depth=1
	v_cmp_eq_u16_e64 s[0:1], s51, v4
	s_mov_b64 s[40:41], -1
                                        ; implicit-def: $sgpr53
	s_and_saveexec_b64 s[44:45], s[0:1]
; %bb.273:                              ;   in Loop: Header=BB302_10 Depth=1
	s_mov_b32 s53, 0x7fc02000
	s_xor_b64 s[40:41], exec, -1
; %bb.274:                              ;   in Loop: Header=BB302_10 Depth=1
	s_or_b64 exec, exec, s[44:45]
	s_and_b64 s[40:41], s[40:41], exec
	s_or_saveexec_b64 s[42:43], s[42:43]
	v_mov_b32_e32 v50, s53
	s_xor_b64 exec, exec, s[42:43]
	s_cbranch_execz .LBB302_112
.LBB302_275:                            ;   in Loop: Header=BB302_10 Depth=1
	v_cmp_ne_u16_e64 s[0:1], 0, v4
	s_andn2_b64 s[40:41], s[40:41], exec
	s_and_b64 s[0:1], s[0:1], exec
	v_mov_b32_e32 v50, 0
	s_or_b64 s[40:41], s[40:41], s[0:1]
	s_or_b64 exec, exec, s[42:43]
	s_and_saveexec_b64 s[42:43], s[40:41]
	s_cbranch_execnz .LBB302_113
	s_branch .LBB302_114
.LBB302_276:                            ;   in Loop: Header=BB302_10 Depth=1
	v_cmp_eq_u16_sdwa s[54:55], v4, s51 src0_sel:BYTE_0 src1_sel:DWORD
	s_mov_b64 s[0:1], -1
                                        ; implicit-def: $sgpr44
	s_and_saveexec_b64 s[42:43], s[54:55]
; %bb.277:                              ;   in Loop: Header=BB302_10 Depth=1
	s_mov_b32 s44, 0x7fc02000
	s_xor_b64 s[0:1], exec, -1
; %bb.278:                              ;   in Loop: Header=BB302_10 Depth=1
	s_or_b64 exec, exec, s[42:43]
	s_and_b64 s[0:1], s[0:1], exec
	s_or_saveexec_b64 s[40:41], s[40:41]
	v_mov_b32_e32 v51, s44
	s_xor_b64 exec, exec, s[40:41]
	s_cbranch_execz .LBB302_116
.LBB302_279:                            ;   in Loop: Header=BB302_10 Depth=1
	v_cmp_ne_u16_sdwa s[42:43], v4, v5 src0_sel:BYTE_0 src1_sel:DWORD
	s_andn2_b64 s[0:1], s[0:1], exec
	s_and_b64 s[42:43], s[42:43], exec
	v_mov_b32_e32 v51, 0
	s_or_b64 s[0:1], s[0:1], s[42:43]
	s_or_b64 exec, exec, s[40:41]
	s_and_saveexec_b64 s[40:41], s[0:1]
	s_cbranch_execnz .LBB302_117
	s_branch .LBB302_118
.LBB302_280:                            ;   in Loop: Header=BB302_10 Depth=1
	v_cmp_eq_u16_e64 s[0:1], s51, v4
	s_mov_b64 s[40:41], -1
                                        ; implicit-def: $sgpr53
	s_and_saveexec_b64 s[44:45], s[0:1]
; %bb.281:                              ;   in Loop: Header=BB302_10 Depth=1
	s_mov_b32 s53, 0x7fc02000
	s_xor_b64 s[40:41], exec, -1
; %bb.282:                              ;   in Loop: Header=BB302_10 Depth=1
	s_or_b64 exec, exec, s[44:45]
	s_and_b64 s[40:41], s[40:41], exec
	s_or_saveexec_b64 s[42:43], s[42:43]
	v_mov_b32_e32 v52, s53
	s_xor_b64 exec, exec, s[42:43]
	s_cbranch_execz .LBB302_120
.LBB302_283:                            ;   in Loop: Header=BB302_10 Depth=1
	v_cmp_ne_u16_e64 s[0:1], 0, v4
	s_andn2_b64 s[40:41], s[40:41], exec
	s_and_b64 s[0:1], s[0:1], exec
	v_mov_b32_e32 v52, 0
	s_or_b64 s[40:41], s[40:41], s[0:1]
	s_or_b64 exec, exec, s[42:43]
	s_and_saveexec_b64 s[42:43], s[40:41]
	s_cbranch_execnz .LBB302_121
	s_branch .LBB302_122
.LBB302_284:                            ;   in Loop: Header=BB302_10 Depth=1
	v_cmp_eq_u16_sdwa s[54:55], v14, s51 src0_sel:BYTE_0 src1_sel:DWORD
	s_mov_b64 s[0:1], -1
                                        ; implicit-def: $sgpr44
	s_and_saveexec_b64 s[42:43], s[54:55]
; %bb.285:                              ;   in Loop: Header=BB302_10 Depth=1
	s_mov_b32 s44, 0x7fc02000
	s_xor_b64 s[0:1], exec, -1
; %bb.286:                              ;   in Loop: Header=BB302_10 Depth=1
	s_or_b64 exec, exec, s[42:43]
	s_and_b64 s[0:1], s[0:1], exec
	s_or_saveexec_b64 s[40:41], s[40:41]
	v_mov_b32_e32 v53, s44
	s_xor_b64 exec, exec, s[40:41]
	s_cbranch_execz .LBB302_124
.LBB302_287:                            ;   in Loop: Header=BB302_10 Depth=1
	v_cmp_ne_u16_sdwa s[42:43], v14, v5 src0_sel:BYTE_0 src1_sel:DWORD
	s_andn2_b64 s[0:1], s[0:1], exec
	s_and_b64 s[42:43], s[42:43], exec
	v_mov_b32_e32 v53, 0
	s_or_b64 s[0:1], s[0:1], s[42:43]
	s_or_b64 exec, exec, s[40:41]
	s_and_saveexec_b64 s[40:41], s[0:1]
	s_cbranch_execnz .LBB302_125
	s_branch .LBB302_126
.LBB302_288:                            ;   in Loop: Header=BB302_10 Depth=1
	v_cmp_eq_u16_e64 s[0:1], s51, v4
	s_mov_b64 s[40:41], -1
                                        ; implicit-def: $sgpr53
	s_and_saveexec_b64 s[44:45], s[0:1]
; %bb.289:                              ;   in Loop: Header=BB302_10 Depth=1
	s_mov_b32 s53, 0x7fc02000
	s_xor_b64 s[40:41], exec, -1
; %bb.290:                              ;   in Loop: Header=BB302_10 Depth=1
	s_or_b64 exec, exec, s[44:45]
	s_and_b64 s[40:41], s[40:41], exec
	s_or_saveexec_b64 s[42:43], s[42:43]
	v_mov_b32_e32 v54, s53
	s_xor_b64 exec, exec, s[42:43]
	s_cbranch_execz .LBB302_128
.LBB302_291:                            ;   in Loop: Header=BB302_10 Depth=1
	v_cmp_ne_u16_e64 s[0:1], 0, v4
	s_andn2_b64 s[40:41], s[40:41], exec
	s_and_b64 s[0:1], s[0:1], exec
	v_mov_b32_e32 v54, 0
	s_or_b64 s[40:41], s[40:41], s[0:1]
	s_or_b64 exec, exec, s[42:43]
	s_and_saveexec_b64 s[42:43], s[40:41]
	s_cbranch_execnz .LBB302_129
	s_branch .LBB302_130
.LBB302_292:                            ;   in Loop: Header=BB302_10 Depth=1
	v_cmp_eq_u16_sdwa s[54:55], v4, s51 src0_sel:BYTE_0 src1_sel:DWORD
	s_mov_b64 s[0:1], -1
                                        ; implicit-def: $sgpr44
	s_and_saveexec_b64 s[42:43], s[54:55]
; %bb.293:                              ;   in Loop: Header=BB302_10 Depth=1
	s_mov_b32 s44, 0x7fc02000
	s_xor_b64 s[0:1], exec, -1
; %bb.294:                              ;   in Loop: Header=BB302_10 Depth=1
	s_or_b64 exec, exec, s[42:43]
	s_and_b64 s[0:1], s[0:1], exec
	s_or_saveexec_b64 s[40:41], s[40:41]
	v_mov_b32_e32 v55, s44
	s_xor_b64 exec, exec, s[40:41]
	s_cbranch_execz .LBB302_132
.LBB302_295:                            ;   in Loop: Header=BB302_10 Depth=1
	v_cmp_ne_u16_sdwa s[42:43], v4, v5 src0_sel:BYTE_0 src1_sel:DWORD
	s_andn2_b64 s[0:1], s[0:1], exec
	s_and_b64 s[42:43], s[42:43], exec
	v_mov_b32_e32 v55, 0
	s_or_b64 s[0:1], s[0:1], s[42:43]
	s_or_b64 exec, exec, s[40:41]
	s_and_saveexec_b64 s[40:41], s[0:1]
	s_cbranch_execnz .LBB302_133
	s_branch .LBB302_134
.LBB302_296:                            ;   in Loop: Header=BB302_10 Depth=1
	v_cmp_eq_u16_e64 s[0:1], s51, v4
	s_mov_b64 s[40:41], -1
                                        ; implicit-def: $sgpr53
	s_and_saveexec_b64 s[44:45], s[0:1]
; %bb.297:                              ;   in Loop: Header=BB302_10 Depth=1
	s_mov_b32 s53, 0x7fc02000
	s_xor_b64 s[40:41], exec, -1
; %bb.298:                              ;   in Loop: Header=BB302_10 Depth=1
	s_or_b64 exec, exec, s[44:45]
	s_and_b64 s[40:41], s[40:41], exec
	s_or_saveexec_b64 s[42:43], s[42:43]
	v_mov_b32_e32 v56, s53
	s_xor_b64 exec, exec, s[42:43]
	s_cbranch_execz .LBB302_136
.LBB302_299:                            ;   in Loop: Header=BB302_10 Depth=1
	v_cmp_ne_u16_e64 s[0:1], 0, v4
	s_andn2_b64 s[40:41], s[40:41], exec
	s_and_b64 s[0:1], s[0:1], exec
	v_mov_b32_e32 v56, 0
	s_or_b64 s[40:41], s[40:41], s[0:1]
	s_or_b64 exec, exec, s[42:43]
	s_and_saveexec_b64 s[42:43], s[40:41]
	s_cbranch_execnz .LBB302_137
	s_branch .LBB302_138
.LBB302_300:                            ;   in Loop: Header=BB302_10 Depth=1
	v_cmp_eq_u16_sdwa s[54:55], v14, s51 src0_sel:BYTE_0 src1_sel:DWORD
	s_mov_b64 s[0:1], -1
                                        ; implicit-def: $sgpr44
	s_and_saveexec_b64 s[42:43], s[54:55]
; %bb.301:                              ;   in Loop: Header=BB302_10 Depth=1
	s_mov_b32 s44, 0x7fc02000
	s_xor_b64 s[0:1], exec, -1
; %bb.302:                              ;   in Loop: Header=BB302_10 Depth=1
	s_or_b64 exec, exec, s[42:43]
	s_and_b64 s[0:1], s[0:1], exec
	s_or_saveexec_b64 s[40:41], s[40:41]
	v_mov_b32_e32 v57, s44
	s_xor_b64 exec, exec, s[40:41]
	s_cbranch_execz .LBB302_140
.LBB302_303:                            ;   in Loop: Header=BB302_10 Depth=1
	v_cmp_ne_u16_sdwa s[42:43], v14, v5 src0_sel:BYTE_0 src1_sel:DWORD
	s_andn2_b64 s[0:1], s[0:1], exec
	s_and_b64 s[42:43], s[42:43], exec
	v_mov_b32_e32 v57, 0
	s_or_b64 s[0:1], s[0:1], s[42:43]
	s_or_b64 exec, exec, s[40:41]
	s_and_saveexec_b64 s[40:41], s[0:1]
	s_cbranch_execnz .LBB302_141
	s_branch .LBB302_142
.LBB302_304:                            ;   in Loop: Header=BB302_10 Depth=1
	v_cmp_eq_u16_e64 s[0:1], s51, v4
	s_mov_b64 s[40:41], -1
                                        ; implicit-def: $sgpr53
	s_and_saveexec_b64 s[44:45], s[0:1]
; %bb.305:                              ;   in Loop: Header=BB302_10 Depth=1
	s_mov_b32 s53, 0x7fc02000
	s_xor_b64 s[40:41], exec, -1
; %bb.306:                              ;   in Loop: Header=BB302_10 Depth=1
	s_or_b64 exec, exec, s[44:45]
	s_and_b64 s[40:41], s[40:41], exec
	s_or_saveexec_b64 s[42:43], s[42:43]
	v_mov_b32_e32 v58, s53
	s_xor_b64 exec, exec, s[42:43]
	s_cbranch_execz .LBB302_144
.LBB302_307:                            ;   in Loop: Header=BB302_10 Depth=1
	v_cmp_ne_u16_e64 s[0:1], 0, v4
	s_andn2_b64 s[40:41], s[40:41], exec
	s_and_b64 s[0:1], s[0:1], exec
	v_mov_b32_e32 v58, 0
	s_or_b64 s[40:41], s[40:41], s[0:1]
	s_or_b64 exec, exec, s[42:43]
	s_and_saveexec_b64 s[42:43], s[40:41]
	s_cbranch_execnz .LBB302_145
	s_branch .LBB302_146
.LBB302_308:                            ;   in Loop: Header=BB302_10 Depth=1
	v_cmp_eq_u16_sdwa s[54:55], v4, s51 src0_sel:BYTE_0 src1_sel:DWORD
	s_mov_b64 s[0:1], -1
                                        ; implicit-def: $sgpr44
	s_and_saveexec_b64 s[42:43], s[54:55]
; %bb.309:                              ;   in Loop: Header=BB302_10 Depth=1
	s_mov_b32 s44, 0x7fc02000
	s_xor_b64 s[0:1], exec, -1
; %bb.310:                              ;   in Loop: Header=BB302_10 Depth=1
	s_or_b64 exec, exec, s[42:43]
	s_and_b64 s[0:1], s[0:1], exec
	s_or_saveexec_b64 s[40:41], s[40:41]
	v_mov_b32_e32 v59, s44
	s_xor_b64 exec, exec, s[40:41]
	s_cbranch_execz .LBB302_148
.LBB302_311:                            ;   in Loop: Header=BB302_10 Depth=1
	v_cmp_ne_u16_sdwa s[42:43], v4, v5 src0_sel:BYTE_0 src1_sel:DWORD
	s_andn2_b64 s[0:1], s[0:1], exec
	s_and_b64 s[42:43], s[42:43], exec
	v_mov_b32_e32 v59, 0
	s_or_b64 s[0:1], s[0:1], s[42:43]
	s_or_b64 exec, exec, s[40:41]
	s_and_saveexec_b64 s[40:41], s[0:1]
	s_cbranch_execnz .LBB302_149
	s_branch .LBB302_150
.LBB302_312:                            ;   in Loop: Header=BB302_10 Depth=1
	v_cmp_eq_u16_e64 s[0:1], s51, v4
	s_mov_b64 s[40:41], -1
                                        ; implicit-def: $sgpr53
	s_and_saveexec_b64 s[44:45], s[0:1]
; %bb.313:                              ;   in Loop: Header=BB302_10 Depth=1
	s_mov_b32 s53, 0x7fc02000
	s_xor_b64 s[40:41], exec, -1
; %bb.314:                              ;   in Loop: Header=BB302_10 Depth=1
	s_or_b64 exec, exec, s[44:45]
	s_and_b64 s[40:41], s[40:41], exec
	s_or_saveexec_b64 s[42:43], s[42:43]
	v_mov_b32_e32 v60, s53
	s_xor_b64 exec, exec, s[42:43]
	s_cbranch_execz .LBB302_152
.LBB302_315:                            ;   in Loop: Header=BB302_10 Depth=1
	v_cmp_ne_u16_e64 s[0:1], 0, v4
	s_andn2_b64 s[40:41], s[40:41], exec
	s_and_b64 s[0:1], s[0:1], exec
	v_mov_b32_e32 v60, 0
	s_or_b64 s[40:41], s[40:41], s[0:1]
	s_or_b64 exec, exec, s[42:43]
	s_and_saveexec_b64 s[42:43], s[40:41]
	s_cbranch_execnz .LBB302_153
	s_branch .LBB302_154
.LBB302_316:                            ;   in Loop: Header=BB302_10 Depth=1
	v_cmp_eq_u16_sdwa s[54:55], v12, s51 src0_sel:BYTE_0 src1_sel:DWORD
	s_mov_b64 s[0:1], -1
                                        ; implicit-def: $sgpr44
	s_and_saveexec_b64 s[42:43], s[54:55]
; %bb.317:                              ;   in Loop: Header=BB302_10 Depth=1
	s_mov_b32 s44, 0x7fc02000
	s_xor_b64 s[0:1], exec, -1
; %bb.318:                              ;   in Loop: Header=BB302_10 Depth=1
	s_or_b64 exec, exec, s[42:43]
	s_and_b64 s[0:1], s[0:1], exec
	s_or_saveexec_b64 s[40:41], s[40:41]
	v_mov_b32_e32 v13, s44
	s_xor_b64 exec, exec, s[40:41]
	s_cbranch_execz .LBB302_156
.LBB302_319:                            ;   in Loop: Header=BB302_10 Depth=1
	v_cmp_ne_u16_sdwa s[42:43], v12, v5 src0_sel:BYTE_0 src1_sel:DWORD
	s_andn2_b64 s[0:1], s[0:1], exec
	s_and_b64 s[42:43], s[42:43], exec
	v_mov_b32_e32 v13, 0
	s_or_b64 s[0:1], s[0:1], s[42:43]
	s_or_b64 exec, exec, s[40:41]
	s_and_saveexec_b64 s[40:41], s[0:1]
	s_cbranch_execnz .LBB302_157
	s_branch .LBB302_158
.LBB302_320:                            ;   in Loop: Header=BB302_10 Depth=1
	v_cmp_eq_u16_e64 s[0:1], s51, v4
	s_mov_b64 s[40:41], -1
                                        ; implicit-def: $sgpr53
	s_and_saveexec_b64 s[44:45], s[0:1]
; %bb.321:                              ;   in Loop: Header=BB302_10 Depth=1
	s_mov_b32 s53, 0x7fc02000
	s_xor_b64 s[40:41], exec, -1
; %bb.322:                              ;   in Loop: Header=BB302_10 Depth=1
	s_or_b64 exec, exec, s[44:45]
	s_and_b64 s[40:41], s[40:41], exec
	s_or_saveexec_b64 s[42:43], s[42:43]
	v_mov_b32_e32 v61, s53
	s_xor_b64 exec, exec, s[42:43]
	s_cbranch_execz .LBB302_160
.LBB302_323:                            ;   in Loop: Header=BB302_10 Depth=1
	v_cmp_ne_u16_e64 s[0:1], 0, v4
	s_andn2_b64 s[40:41], s[40:41], exec
	s_and_b64 s[0:1], s[0:1], exec
	v_mov_b32_e32 v61, 0
	s_or_b64 s[40:41], s[40:41], s[0:1]
	s_or_b64 exec, exec, s[42:43]
	s_and_saveexec_b64 s[42:43], s[40:41]
	s_cbranch_execnz .LBB302_161
	s_branch .LBB302_162
.LBB302_324:                            ;   in Loop: Header=BB302_10 Depth=1
	v_cmp_eq_u16_sdwa s[54:55], v4, s51 src0_sel:BYTE_0 src1_sel:DWORD
	s_mov_b64 s[0:1], -1
                                        ; implicit-def: $sgpr44
	s_and_saveexec_b64 s[42:43], s[54:55]
; %bb.325:                              ;   in Loop: Header=BB302_10 Depth=1
	s_mov_b32 s44, 0x7fc02000
	s_xor_b64 s[0:1], exec, -1
; %bb.326:                              ;   in Loop: Header=BB302_10 Depth=1
	s_or_b64 exec, exec, s[42:43]
	s_and_b64 s[0:1], s[0:1], exec
	s_or_saveexec_b64 s[40:41], s[40:41]
	v_mov_b32_e32 v62, s44
	s_xor_b64 exec, exec, s[40:41]
	s_cbranch_execz .LBB302_164
.LBB302_327:                            ;   in Loop: Header=BB302_10 Depth=1
	v_cmp_ne_u16_sdwa s[42:43], v4, v5 src0_sel:BYTE_0 src1_sel:DWORD
	s_andn2_b64 s[0:1], s[0:1], exec
	s_and_b64 s[42:43], s[42:43], exec
	v_mov_b32_e32 v62, 0
	s_or_b64 s[0:1], s[0:1], s[42:43]
	s_or_b64 exec, exec, s[40:41]
	s_and_saveexec_b64 s[40:41], s[0:1]
	s_cbranch_execnz .LBB302_165
	s_branch .LBB302_166
.LBB302_328:                            ;   in Loop: Header=BB302_10 Depth=1
	v_cmp_eq_u16_e64 s[0:1], s51, v4
	s_mov_b64 s[40:41], -1
                                        ; implicit-def: $sgpr53
	s_and_saveexec_b64 s[44:45], s[0:1]
; %bb.329:                              ;   in Loop: Header=BB302_10 Depth=1
	s_mov_b32 s53, 0x7fc02000
	s_xor_b64 s[40:41], exec, -1
; %bb.330:                              ;   in Loop: Header=BB302_10 Depth=1
	s_or_b64 exec, exec, s[44:45]
	s_and_b64 s[40:41], s[40:41], exec
	s_or_saveexec_b64 s[42:43], s[42:43]
	v_mov_b32_e32 v63, s53
	s_xor_b64 exec, exec, s[42:43]
	s_cbranch_execz .LBB302_168
.LBB302_331:                            ;   in Loop: Header=BB302_10 Depth=1
	v_cmp_ne_u16_e64 s[0:1], 0, v4
	s_andn2_b64 s[40:41], s[40:41], exec
	s_and_b64 s[0:1], s[0:1], exec
	v_mov_b32_e32 v63, 0
	s_or_b64 s[40:41], s[40:41], s[0:1]
	s_or_b64 exec, exec, s[42:43]
	s_and_saveexec_b64 s[42:43], s[40:41]
	s_cbranch_execnz .LBB302_169
	s_branch .LBB302_170
.LBB302_332:
	s_or_b64 exec, exec, s[18:19]
.LBB302_333:
	s_or_b64 exec, exec, s[38:39]
	v_xor_b32_e32 v5, 32, v19
	v_cmp_lt_i32_e32 vcc, v5, v4
	v_xor_b32_e32 v7, 16, v19
	v_xor_b32_e32 v8, 8, v19
	v_cndmask_b32_e32 v5, v19, v5, vcc
	v_lshlrev_b32_e32 v5, 2, v5
	ds_bpermute_b32 v6, v5, v1
	v_max_f32_e32 v1, v1, v1
	v_cmp_lt_i32_e32 vcc, v7, v4
	v_xor_b32_e32 v9, 4, v19
	v_xor_b32_e32 v10, 2, v19
	s_waitcnt lgkmcnt(0)
	v_max_f32_e32 v6, v6, v6
	v_max_f32_e32 v1, v1, v6
	v_cndmask_b32_e32 v6, v19, v7, vcc
	v_lshlrev_b32_e32 v7, 2, v6
	ds_bpermute_b32 v6, v7, v1
	v_cmp_lt_i32_e32 vcc, v8, v4
	s_waitcnt lgkmcnt(0)
	v_max_f32_e32 v6, v6, v6
	v_max_f32_e32 v1, v1, v6
	v_cndmask_b32_e32 v6, v19, v8, vcc
	v_lshlrev_b32_e32 v8, 2, v6
	ds_bpermute_b32 v6, v8, v1
	v_cmp_lt_i32_e32 vcc, v9, v4
	;; [unrolled: 7-line block ×3, first 2 shown]
	s_waitcnt lgkmcnt(0)
	v_max_f32_e32 v6, v6, v6
	v_max_f32_e32 v6, v1, v6
	v_cndmask_b32_e32 v1, v19, v10, vcc
	v_lshlrev_b32_e32 v17, 2, v1
	ds_bpermute_b32 v11, v17, v6
	v_and_b32_e32 v1, 63, v0
	v_cmp_eq_u32_e32 vcc, 0, v1
	v_lshlrev_b32_e32 v10, 2, v16
	s_and_saveexec_b64 s[0:1], vcc
	s_cbranch_execz .LBB302_335
; %bb.334:
	s_waitcnt lgkmcnt(0)
	v_max_f32_e32 v11, v11, v11
	v_max_f32_e32 v6, v6, v6
	;; [unrolled: 1-line block ×3, first 2 shown]
	ds_write_b32 v10, v6 offset:160
.LBB302_335:
	s_or_b64 exec, exec, s[0:1]
	v_cmp_gt_u32_e64 s[0:1], 2, v1
	v_mov_b32_e32 v6, 0xff7fffff
	s_waitcnt lgkmcnt(0)
	v_lshlrev_b32_e32 v11, 2, v1
	s_barrier
	s_and_saveexec_b64 s[6:7], s[0:1]
	s_cbranch_execz .LBB302_337
; %bb.336:
	ds_read_b32 v6, v11 offset:160
.LBB302_337:
	s_or_b64 exec, exec, s[6:7]
	v_xor_b32_e32 v12, 1, v19
	v_cmp_lt_i32_e64 s[6:7], v12, v4
	s_sub_i32 s3, s33, s3
	s_lshl_b32 s3, s3, 5
	v_cndmask_b32_e64 v4, v19, v12, s[6:7]
	v_lshlrev_b32_e32 v24, 2, v4
	s_waitcnt lgkmcnt(0)
	ds_bpermute_b32 v4, v24, v6
	v_max_f32_e32 v6, v6, v6
	s_add_i32 s3, s3, s46
	s_min_i32 s38, s3, s29
	s_sub_i32 s3, s38, s46
	s_waitcnt lgkmcnt(0)
	v_max_f32_e32 v4, v4, v4
	v_max_f32_e32 v6, v6, v4
	v_lshlrev_b32_e32 v4, 2, v19
	v_and_b32_e32 v4, 0xffffff00, v4
	ds_bpermute_b32 v6, v4, v6
	v_cmp_gt_i32_e64 s[6:7], s3, v0
	v_mov_b32_e32 v12, 0
	s_and_saveexec_b64 s[12:13], s[6:7]
	s_cbranch_execz .LBB302_341
; %bb.338:
	v_mov_b32_e32 v12, 0xb0
	v_lshl_add_u32 v13, v0, 2, v12
	s_mov_b64 s[18:19], 0
	v_mov_b32_e32 v12, 0
	v_mov_b32_e32 v14, v0
.LBB302_339:                            ; =>This Inner Loop Header: Depth=1
	ds_read_b32 v19, v13
	v_add_u32_e32 v14, 0x80, v14
	v_cmp_le_i32_e64 s[10:11], s3, v14
	s_or_b64 s[18:19], s[10:11], s[18:19]
	s_waitcnt lgkmcnt(0)
	v_sub_f32_e32 v19, v19, v6
	v_mul_f32_e32 v19, 0x3fb8aa3b, v19
	v_exp_f32_e32 v19, v19
	ds_write_b32 v13, v19
	v_add_f32_e32 v12, v12, v19
	v_add_u32_e32 v13, 0x200, v13
	s_andn2_b64 exec, exec, s[18:19]
	s_cbranch_execnz .LBB302_339
; %bb.340:
	s_or_b64 exec, exec, s[18:19]
.LBB302_341:
	s_or_b64 exec, exec, s[12:13]
	ds_bpermute_b32 v5, v5, v12
	s_waitcnt lgkmcnt(0)
	v_add_f32_e32 v5, v12, v5
	ds_bpermute_b32 v7, v7, v5
	s_waitcnt lgkmcnt(0)
	v_add_f32_e32 v5, v5, v7
	;; [unrolled: 3-line block ×6, first 2 shown]
	s_and_saveexec_b64 s[10:11], vcc
	s_cbranch_execz .LBB302_343
; %bb.342:
	ds_write_b32 v10, v5 offset:168
.LBB302_343:
	s_or_b64 exec, exec, s[10:11]
	s_waitcnt lgkmcnt(0)
	s_barrier
	s_and_saveexec_b64 s[10:11], s[0:1]
	s_cbranch_execz .LBB302_345
; %bb.344:
	ds_read_b32 v5, v11 offset:168
.LBB302_345:
	s_or_b64 exec, exec, s[10:11]
	s_waitcnt lgkmcnt(0)
	ds_bpermute_b32 v7, v24, v5
	s_waitcnt lgkmcnt(0)
	v_add_f32_e32 v5, v5, v7
	ds_bpermute_b32 v7, v4, v5
	s_and_saveexec_b64 s[0:1], s[6:7]
	s_cbranch_execz .LBB302_358
; %bb.346:
	s_waitcnt lgkmcnt(0)
	v_add_f32_e32 v4, 0x358637bd, v7
	v_div_scale_f32 v5, s[6:7], v4, v4, 1.0
	v_rcp_f32_e32 v8, v5
	v_div_scale_f32 v9, vcc, 1.0, v4, 1.0
	s_movk_i32 s6, 0x7f
	v_fma_f32 v10, -v5, v8, 1.0
	v_fmac_f32_e32 v8, v10, v8
	v_mul_f32_e32 v10, v9, v8
	v_fma_f32 v11, -v5, v10, v9
	v_fmac_f32_e32 v10, v11, v8
	v_fma_f32 v5, -v5, v10, v9
	v_div_fmas_f32 v5, v5, v8, v10
	v_div_fixup_f32 v4, v5, v4, 1.0
	v_xad_u32 v5, v0, -1, s38
	v_subrev_u32_e32 v8, s46, v5
	v_cmp_lt_u32_e32 vcc, s6, v8
	s_mov_b64 s[10:11], -1
	v_mov_b32_e32 v5, v0
	s_and_saveexec_b64 s[6:7], vcc
	s_cbranch_execz .LBB302_355
; %bb.347:
	v_lshrrev_b32_e32 v8, 7, v8
	v_add_u32_e32 v10, -1, v8
	v_lshrrev_b32_e32 v9, 1, v10
	v_mov_b32_e32 v5, v4
	v_add_u32_e32 v9, 1, v9
	v_cmp_lt_u32_e32 vcc, 13, v10
	v_mov_b32_e32 v12, 0
	s_and_saveexec_b64 s[10:11], vcc
	s_cbranch_execz .LBB302_351
; %bb.348:
	v_mov_b32_e32 v11, 0xb0
	v_and_b32_e32 v10, -8, v9
	v_lshl_add_u32 v11, v0, 2, v11
	s_mov_b32 s18, 0
	s_mov_b64 s[12:13], 0
.LBB302_349:                            ; =>This Inner Loop Header: Depth=1
	ds_read2st64_b32 v[12:13], v11 offset1:2
	ds_read2st64_b32 v[20:21], v11 offset0:4 offset1:6
	ds_read2st64_b32 v[22:23], v11 offset0:8 offset1:10
	;; [unrolled: 1-line block ×3, first 2 shown]
	v_add_u32_e32 v10, -8, v10
	s_waitcnt lgkmcnt(3)
	v_pk_mul_f32 v[12:13], v[4:5], v[12:13]
	s_waitcnt lgkmcnt(2)
	v_pk_mul_f32 v[20:21], v[4:5], v[20:21]
	ds_write2st64_b32 v11, v12, v13 offset1:2
	ds_write2st64_b32 v11, v20, v21 offset0:4 offset1:6
	ds_read2st64_b32 v[20:21], v11 offset0:16 offset1:18
	s_waitcnt lgkmcnt(4)
	v_pk_mul_f32 v[12:13], v[4:5], v[22:23]
	ds_write2st64_b32 v11, v12, v13 offset0:8 offset1:10
	s_waitcnt lgkmcnt(4)
	v_pk_mul_f32 v[12:13], v[4:5], v[26:27]
	ds_write2st64_b32 v11, v12, v13 offset0:12 offset1:14
	ds_read2st64_b32 v[12:13], v11 offset0:20 offset1:22
	s_waitcnt lgkmcnt(3)
	v_pk_mul_f32 v[20:21], v[4:5], v[20:21]
	ds_read2st64_b32 v[22:23], v11 offset0:24 offset1:26
	ds_write2st64_b32 v11, v20, v21 offset0:16 offset1:18
	ds_read2st64_b32 v[20:21], v11 offset0:28 offset1:30
	s_waitcnt lgkmcnt(3)
	v_pk_mul_f32 v[12:13], v[4:5], v[12:13]
	ds_write2st64_b32 v11, v12, v13 offset0:20 offset1:22
	s_waitcnt lgkmcnt(3)
	v_pk_mul_f32 v[12:13], v[4:5], v[22:23]
	ds_write2st64_b32 v11, v12, v13 offset0:24 offset1:26
	s_waitcnt lgkmcnt(2)
	v_pk_mul_f32 v[12:13], v[4:5], v[20:21]
	s_add_i32 s18, s18, 16
	v_cmp_eq_u32_e32 vcc, 0, v10
	ds_write2st64_b32 v11, v12, v13 offset0:28 offset1:30
	v_add_u32_e32 v11, 0x2000, v11
	s_or_b64 s[12:13], vcc, s[12:13]
	v_mov_b32_e32 v12, s18
	s_andn2_b64 exec, exec, s[12:13]
	s_cbranch_execnz .LBB302_349
; %bb.350:
	s_or_b64 exec, exec, s[12:13]
.LBB302_351:
	s_or_b64 exec, exec, s[10:11]
	v_and_b32_e32 v9, 7, v9
	v_cmp_ne_u32_e32 vcc, 0, v9
	s_and_saveexec_b64 s[10:11], vcc
	s_cbranch_execz .LBB302_354
; %bb.352:
	v_lshlrev_b32_e32 v10, 9, v12
	v_lshlrev_b32_e32 v11, 2, v0
	s_movk_i32 s12, 0xb0
	v_add3_u32 v10, v10, v11, s12
	s_mov_b64 s[12:13], 0
.LBB302_353:                            ; =>This Inner Loop Header: Depth=1
	ds_read2st64_b32 v[12:13], v10 offset1:2
	v_add_u32_e32 v9, -1, v9
	v_cmp_eq_u32_e32 vcc, 0, v9
	s_or_b64 s[12:13], vcc, s[12:13]
	s_waitcnt lgkmcnt(0)
	v_pk_mul_f32 v[12:13], v[4:5], v[12:13]
	ds_write2st64_b32 v10, v12, v13 offset1:2
	v_add_u32_e32 v10, 0x400, v10
	s_andn2_b64 exec, exec, s[12:13]
	s_cbranch_execnz .LBB302_353
.LBB302_354:
	s_or_b64 exec, exec, s[10:11]
	v_add_u32_e32 v8, 1, v8
	v_and_b32_e32 v9, 0x3fffffe, v8
	v_cmp_ne_u32_e32 vcc, v8, v9
	v_lshl_add_u32 v5, v9, 7, v0
	s_orn2_b64 s[10:11], vcc, exec
.LBB302_355:
	s_or_b64 exec, exec, s[6:7]
	s_and_b64 exec, exec, s[10:11]
	s_cbranch_execz .LBB302_358
; %bb.356:
	v_mov_b32_e32 v8, 0xb0
	v_lshl_add_u32 v8, v5, 2, v8
	s_mov_b64 s[6:7], 0
.LBB302_357:                            ; =>This Inner Loop Header: Depth=1
	ds_read_b32 v9, v8
	v_add_u32_e32 v5, 0x80, v5
	v_cmp_le_i32_e32 vcc, s3, v5
	s_or_b64 s[6:7], vcc, s[6:7]
	s_waitcnt lgkmcnt(0)
	v_mul_f32_e32 v9, v4, v9
	ds_write_b32 v8, v9
	v_add_u32_e32 v8, 0x200, v8
	s_andn2_b64 exec, exec, s[6:7]
	s_cbranch_execnz .LBB302_357
.LBB302_358:
	s_or_b64 exec, exec, s[0:1]
	s_mul_i32 s0, s25, s28
	v_cmp_eq_u32_e32 vcc, 0, v0
	s_mul_i32 s6, s0, s5
	s_waitcnt lgkmcnt(0)
	s_barrier
	s_and_saveexec_b64 s[0:1], vcc
	s_cbranch_execz .LBB302_360
; %bb.359:
	s_ashr_i32 s7, s6, 31
	s_lshl_b64 s[10:11], s[6:7], 2
	s_add_u32 s5, s22, s10
	s_mul_i32 s2, s25, s2
	s_addc_u32 s7, s23, s11
	s_ashr_i32 s3, s2, 31
	s_lshl_b64 s[2:3], s[2:3], 2
	s_add_u32 s18, s5, s2
	s_addc_u32 s7, s7, s3
	s_ashr_i32 s5, s4, 31
	s_lshl_b64 s[12:13], s[4:5], 2
	s_add_u32 s18, s18, s12
	s_addc_u32 s19, s7, s13
	s_add_u32 s5, s20, s10
	s_addc_u32 s7, s21, s11
	;; [unrolled: 2-line block ×3, first 2 shown]
	s_add_u32 s2, s2, s12
	v_mov_b32_e32 v4, 0
	s_addc_u32 s3, s3, s13
	global_store_dword v4, v6, s[18:19]
	global_store_dword v4, v7, s[2:3]
.LBB302_360:
	s_or_b64 exec, exec, s[0:1]
	v_mov_b32_e32 v26, 0
	v_and_b32_e32 v25, 3, v0
	v_mov_b32_e32 v5, 0
	v_mov_b32_e32 v4, 0
	;; [unrolled: 1-line block ×4, first 2 shown]
	s_and_saveexec_b64 s[2:3], s[8:9]
	s_cbranch_execz .LBB302_694
; %bb.361:
	s_ashr_i32 s1, s47, 31
	s_add_u32 s0, s36, s47
	s_addc_u32 s1, s37, s1
	v_and_b32_e32 v8, 0x1f8, v15
	v_mov_b32_e32 v9, 0
	v_and_b32_e32 v4, 24, v15
	s_add_i32 s7, s16, -1
	v_lshl_add_u64 v[10:11], s[0:1], 0, v[8:9]
	s_lshl_b64 s[0:1], s[34:35], 2
	v_add3_u32 v27, s46, v18, v4
	v_lshlrev_b32_e32 v4, 5, v25
	s_add_u32 s0, s30, s0
	v_lshl_or_b32 v4, v16, 7, v4
	s_addc_u32 s1, s31, s1
	s_mov_b32 s5, s17
	s_mov_b32 s18, s29
	v_add_u32_e32 v28, 0xb0, v4
	v_lshl_add_u64 v[12:13], v[2:3], 2, s[0:1]
	s_mov_b64 s[8:9], 0
	s_movk_i32 s19, 0x7f
	s_movk_i32 s20, 0x80
	s_mov_b32 s21, 0x8000
	s_movk_i32 s22, 0x380
	s_mov_b32 s23, 0x3020706
	s_mov_b32 s28, 0x1000504
	;; [unrolled: 1-line block ×3, first 2 shown]
	v_mov_b32_e32 v3, 0x1c00
	v_mov_b32_e32 v6, 0
	;; [unrolled: 1-line block ×6, first 2 shown]
	s_branch .LBB302_363
.LBB302_362:                            ;   in Loop: Header=BB302_363 Depth=1
	s_or_b64 exec, exec, s[0:1]
	;;#ASMSTART
	v_pk_mul_f16 v14, v36, v14;

	;;#ASMEND
	;;#ASMSTART
	v_pk_mul_f16 v8, v37, v8;

	;;#ASMEND
	;; [unrolled: 4-line block ×4, first 2 shown]
	v_add_f32_e32 v18, v40, v41
	;;#ASMSTART
	v_pk_add_f16 v8, v14, v8;

	;;#ASMEND
	v_add_f32_e32 v6, v6, v18
	;;#ASMSTART
	v_pk_add_f16 v8, v8, v15;

	;;#ASMEND
	;; [unrolled: 5-line block ×3, first 2 shown]
	v_add_f32_e32 v7, v7, v18
	v_lshrrev_b32_e32 v14, 16, v8
	v_and_b32_e32 v8, 0xffff, v8
	v_add_f32_e32 v18, v44, v45
	;;#ASMSTART
	v_cvt_f32_f16 v8, v8;
	;;#ASMEND
	v_add_u32_e32 v2, 2, v2
	v_add_f32_e32 v4, v4, v18
	v_add_f32_e32 v18, v22, v23
	;;#ASMSTART
	v_cvt_f32_f16 v14, v14;
	;;#ASMEND
	v_cmp_le_i32_e32 vcc, s33, v2
	v_add_f32_e32 v8, v8, v14
	v_add_f32_e32 v5, v5, v18
	;; [unrolled: 1-line block ×3, first 2 shown]
	v_add_u32_e32 v27, 64, v27
	v_add_u32_e32 v28, 0x100, v28
	s_or_b64 s[8:9], vcc, s[8:9]
	v_lshl_add_u64 v[12:13], v[12:13], 0, 8
	s_andn2_b64 exec, exec, s[8:9]
	s_cbranch_execz .LBB302_693
.LBB302_363:                            ; =>This Inner Loop Header: Depth=1
	ds_read2_b64 v[18:21], v28 offset1:1
	ds_read2_b64 v[30:33], v28 offset0:2 offset1:3
                                        ; implicit-def: $sgpr16
	s_waitcnt lgkmcnt(1)
	;;#ASMSTART
	v_cvt_f16_f32 v36, v18;

	;;#ASMEND
	;;#ASMSTART
	v_cvt_f16_f32 v37, v19;

	;;#ASMEND
	;; [unrolled: 4-line block ×4, first 2 shown]
	s_waitcnt lgkmcnt(0)
	;;#ASMSTART
	v_cvt_f16_f32 v40, v30;

	;;#ASMEND
	;;#ASMSTART
	v_cvt_f16_f32 v41, v31;

	;;#ASMEND
	;; [unrolled: 4-line block ×4, first 2 shown]
	global_load_dword v8, v[12:13], off
	s_waitcnt vmcnt(0)
	v_mad_i64_i32 v[14:15], s[0:1], v8, s5, v[10:11]
	global_load_dwordx2 v[18:19], v[14:15], off
	global_load_dword v16, v9, s[14:15]
	s_mov_b64 s[0:1], 0
	s_waitcnt vmcnt(1)
	v_cmp_gt_i16_sdwa s[10:11], v18, s19 src0_sel:BYTE_0 src1_sel:DWORD
	s_and_saveexec_b64 s[12:13], s[10:11]
	s_xor_b64 s[10:11], exec, s[12:13]
	s_cbranch_execnz .LBB302_533
; %bb.364:                              ;   in Loop: Header=BB302_363 Depth=1
	s_or_saveexec_b64 s[10:11], s[10:11]
	v_mov_b32_e32 v20, s16
	s_xor_b64 exec, exec, s[10:11]
	s_cbranch_execnz .LBB302_536
.LBB302_365:                            ;   in Loop: Header=BB302_363 Depth=1
	s_or_b64 exec, exec, s[10:11]
	s_and_saveexec_b64 s[10:11], s[0:1]
	s_cbranch_execz .LBB302_367
.LBB302_366:                            ;   in Loop: Header=BB302_363 Depth=1
	v_and_b32_e32 v8, 7, v18
	v_ffbh_u32_e32 v8, v8
	v_bfe_u32 v20, v18, 3, 4
	v_min_u32_e32 v8, 32, v8
	v_subrev_u32_e32 v21, 28, v8
	v_sub_u32_e32 v8, 29, v8
	v_cmp_eq_u32_e32 vcc, 0, v20
	s_nop 1
	v_cndmask_b32_e32 v8, v20, v8, vcc
	v_cndmask_b32_e32 v20, 0, v21, vcc
	v_lshlrev_b64 v[20:21], v20, v[18:19]
	v_lshlrev_b32_e32 v21, 8, v18
	v_lshl_add_u32 v8, v8, 10, v3
	v_lshlrev_b32_e32 v20, 7, v20
	v_and_or_b32 v8, v21, s21, v8
	v_and_or_b32 v8, v20, s22, v8
	v_cvt_f32_f16_e32 v20, v8
.LBB302_367:                            ;   in Loop: Header=BB302_363 Depth=1
	s_or_b64 exec, exec, s[10:11]
	v_lshrrev_b16_e32 v8, 8, v18
	v_cmp_lt_i16_e32 vcc, s19, v8
	s_mov_b64 s[0:1], 0
                                        ; implicit-def: $sgpr16
	s_and_saveexec_b64 s[10:11], vcc
	s_xor_b64 s[10:11], exec, s[10:11]
	s_cbranch_execnz .LBB302_537
; %bb.368:                              ;   in Loop: Header=BB302_363 Depth=1
	s_or_saveexec_b64 s[10:11], s[10:11]
	v_mov_b32_e32 v22, s16
	s_xor_b64 exec, exec, s[10:11]
	s_cbranch_execnz .LBB302_540
.LBB302_369:                            ;   in Loop: Header=BB302_363 Depth=1
	s_or_b64 exec, exec, s[10:11]
	s_and_saveexec_b64 s[10:11], s[0:1]
	s_cbranch_execz .LBB302_371
.LBB302_370:                            ;   in Loop: Header=BB302_363 Depth=1
	v_and_b32_e32 v21, 7, v8
	v_ffbh_u32_e32 v22, v21
	v_min_u32_e32 v30, 32, v22
	v_subrev_u32_e32 v22, 28, v30
	v_bfe_u32 v29, v8, 3, 4
	v_lshlrev_b64 v[22:23], v22, v[8:9]
	v_sub_u32_e32 v23, 29, v30
	v_cmp_eq_u32_e32 vcc, 0, v29
	v_and_b32_e32 v22, 7, v22
	v_lshlrev_b32_e32 v8, 8, v8
	v_cndmask_b32_e32 v23, v29, v23, vcc
	v_cndmask_b32_e32 v21, v21, v22, vcc
	v_lshl_add_u32 v22, v23, 10, v3
	v_and_or_b32 v8, v8, s21, v22
	v_lshl_or_b32 v8, v21, 7, v8
	v_cvt_f32_f16_e32 v22, v8
.LBB302_371:                            ;   in Loop: Header=BB302_363 Depth=1
	s_or_b64 exec, exec, s[10:11]
	v_lshrrev_b32_e32 v8, 16, v18
	v_cmp_gt_i16_sdwa s[10:11], v8, s19 src0_sel:BYTE_0 src1_sel:DWORD
	s_mov_b64 s[0:1], 0
                                        ; implicit-def: $sgpr16
	s_and_saveexec_b64 s[12:13], s[10:11]
	s_xor_b64 s[10:11], exec, s[12:13]
	s_cbranch_execnz .LBB302_541
; %bb.372:                              ;   in Loop: Header=BB302_363 Depth=1
	s_or_saveexec_b64 s[10:11], s[10:11]
	v_mov_b32_e32 v21, s16
	s_xor_b64 exec, exec, s[10:11]
	s_cbranch_execnz .LBB302_544
.LBB302_373:                            ;   in Loop: Header=BB302_363 Depth=1
	s_or_b64 exec, exec, s[10:11]
	s_and_saveexec_b64 s[10:11], s[0:1]
	s_cbranch_execz .LBB302_375
.LBB302_374:                            ;   in Loop: Header=BB302_363 Depth=1
	v_bfe_u32 v21, v18, 16, 3
	v_ffbh_u32_e32 v29, v21
	v_bfe_u32 v23, v18, 19, 4
	v_min_u32_e32 v29, 32, v29
	v_subrev_u32_e32 v30, 28, v29
	v_sub_u32_e32 v29, 29, v29
	v_cmp_eq_u32_e32 vcc, 0, v23
	v_lshlrev_b64 v[30:31], v30, v[8:9]
	v_and_b32_e32 v30, 7, v30
	v_cndmask_b32_e32 v23, v23, v29, vcc
	v_lshlrev_b32_e32 v8, 8, v8
	v_lshl_add_u32 v23, v23, 10, v3
	v_cndmask_b32_e32 v21, v21, v30, vcc
	v_and_or_b32 v8, v8, s21, v23
	v_lshl_or_b32 v8, v21, 7, v8
	v_cvt_f32_f16_e32 v21, v8
.LBB302_375:                            ;   in Loop: Header=BB302_363 Depth=1
	s_or_b64 exec, exec, s[10:11]
	v_lshrrev_b32_e32 v8, 24, v18
	v_cmp_lt_i16_e32 vcc, s19, v8
	s_mov_b64 s[0:1], 0
                                        ; implicit-def: $sgpr16
	s_and_saveexec_b64 s[10:11], vcc
	s_xor_b64 s[10:11], exec, s[10:11]
	s_cbranch_execnz .LBB302_545
; %bb.376:                              ;   in Loop: Header=BB302_363 Depth=1
	s_or_saveexec_b64 s[10:11], s[10:11]
	v_mov_b32_e32 v23, s16
	s_xor_b64 exec, exec, s[10:11]
	s_cbranch_execnz .LBB302_548
.LBB302_377:                            ;   in Loop: Header=BB302_363 Depth=1
	s_or_b64 exec, exec, s[10:11]
	s_and_saveexec_b64 s[10:11], s[0:1]
	s_cbranch_execz .LBB302_379
.LBB302_378:                            ;   in Loop: Header=BB302_363 Depth=1
	v_bfe_u32 v23, v18, 24, 3
	v_ffbh_u32_e32 v29, v23
	v_bfe_u32 v18, v18, 27, 4
	v_min_u32_e32 v29, 32, v29
	v_subrev_u32_e32 v30, 28, v29
	v_sub_u32_e32 v29, 29, v29
	v_cmp_eq_u32_e32 vcc, 0, v18
	v_lshlrev_b64 v[30:31], v30, v[8:9]
	v_and_b32_e32 v30, 7, v30
	v_cndmask_b32_e32 v18, v18, v29, vcc
	v_lshlrev_b32_e32 v8, 8, v8
	v_lshl_add_u32 v18, v18, 10, v3
	v_cndmask_b32_e32 v23, v23, v30, vcc
	v_and_or_b32 v8, v8, s21, v18
	v_lshl_or_b32 v8, v23, 7, v8
	v_cvt_f32_f16_e32 v23, v8
.LBB302_379:                            ;   in Loop: Header=BB302_363 Depth=1
	s_or_b64 exec, exec, s[10:11]
	v_cmp_gt_i16_sdwa s[10:11], v19, s19 src0_sel:BYTE_0 src1_sel:DWORD
	s_mov_b64 s[0:1], 0
                                        ; implicit-def: $sgpr16
	s_and_saveexec_b64 s[12:13], s[10:11]
	s_xor_b64 s[10:11], exec, s[12:13]
	s_cbranch_execnz .LBB302_549
; %bb.380:                              ;   in Loop: Header=BB302_363 Depth=1
	s_or_saveexec_b64 s[10:11], s[10:11]
	v_mov_b32_e32 v18, s16
	s_xor_b64 exec, exec, s[10:11]
	s_cbranch_execnz .LBB302_552
.LBB302_381:                            ;   in Loop: Header=BB302_363 Depth=1
	s_or_b64 exec, exec, s[10:11]
	v_mov_b32_e32 v8, v19
	s_and_saveexec_b64 s[10:11], s[0:1]
	s_cbranch_execz .LBB302_383
.LBB302_382:                            ;   in Loop: Header=BB302_363 Depth=1
	v_and_b32_e32 v18, 7, v19
	v_ffbh_u32_e32 v18, v18
	v_bfe_u32 v29, v19, 3, 4
	v_min_u32_e32 v18, 32, v18
	v_subrev_u32_e32 v30, 28, v18
	v_sub_u32_e32 v18, 29, v18
	v_cmp_eq_u32_e32 vcc, 0, v29
	s_nop 1
	v_cndmask_b32_e32 v18, v29, v18, vcc
	v_cndmask_b32_e32 v29, 0, v30, vcc
	v_lshlrev_b64 v[30:31], v29, v[8:9]
	v_lshlrev_b32_e32 v29, 7, v30
	v_lshlrev_b32_e32 v30, 8, v19
	v_lshl_add_u32 v18, v18, 10, v3
	v_and_or_b32 v18, v30, s21, v18
	v_and_or_b32 v18, v29, s22, v18
	v_cvt_f32_f16_e32 v18, v18
.LBB302_383:                            ;   in Loop: Header=BB302_363 Depth=1
	s_or_b64 exec, exec, s[10:11]
	v_lshrrev_b16_e32 v8, 8, v8
	v_cmp_lt_i16_e32 vcc, s19, v8
	s_mov_b64 s[0:1], 0
                                        ; implicit-def: $sgpr16
	s_and_saveexec_b64 s[10:11], vcc
	s_xor_b64 s[10:11], exec, s[10:11]
	s_cbranch_execnz .LBB302_553
; %bb.384:                              ;   in Loop: Header=BB302_363 Depth=1
	s_or_saveexec_b64 s[10:11], s[10:11]
	v_mov_b32_e32 v29, s16
	s_xor_b64 exec, exec, s[10:11]
	s_cbranch_execnz .LBB302_556
.LBB302_385:                            ;   in Loop: Header=BB302_363 Depth=1
	s_or_b64 exec, exec, s[10:11]
	s_and_saveexec_b64 s[10:11], s[0:1]
	s_cbranch_execz .LBB302_387
.LBB302_386:                            ;   in Loop: Header=BB302_363 Depth=1
	v_and_b32_e32 v29, 7, v8
	v_ffbh_u32_e32 v30, v29
	v_min_u32_e32 v33, 32, v30
	v_subrev_u32_e32 v30, 28, v33
	v_bfe_u32 v32, v8, 3, 4
	v_lshlrev_b64 v[30:31], v30, v[8:9]
	v_sub_u32_e32 v31, 29, v33
	v_cmp_eq_u32_e32 vcc, 0, v32
	v_and_b32_e32 v30, 7, v30
	v_lshlrev_b32_e32 v8, 8, v8
	v_cndmask_b32_e32 v31, v32, v31, vcc
	v_cndmask_b32_e32 v29, v29, v30, vcc
	v_lshl_add_u32 v30, v31, 10, v3
	v_and_or_b32 v8, v8, s21, v30
	v_lshl_or_b32 v8, v29, 7, v8
	v_cvt_f32_f16_e32 v29, v8
.LBB302_387:                            ;   in Loop: Header=BB302_363 Depth=1
	s_or_b64 exec, exec, s[10:11]
	v_lshrrev_b32_e32 v8, 16, v19
	v_cmp_gt_i16_sdwa s[10:11], v8, s19 src0_sel:BYTE_0 src1_sel:DWORD
	s_mov_b64 s[0:1], 0
                                        ; implicit-def: $sgpr16
	s_and_saveexec_b64 s[12:13], s[10:11]
	s_xor_b64 s[10:11], exec, s[12:13]
	s_cbranch_execnz .LBB302_557
; %bb.388:                              ;   in Loop: Header=BB302_363 Depth=1
	s_or_saveexec_b64 s[10:11], s[10:11]
	v_mov_b32_e32 v30, s16
	s_xor_b64 exec, exec, s[10:11]
	s_cbranch_execnz .LBB302_560
.LBB302_389:                            ;   in Loop: Header=BB302_363 Depth=1
	s_or_b64 exec, exec, s[10:11]
	s_and_saveexec_b64 s[10:11], s[0:1]
	s_cbranch_execz .LBB302_391
.LBB302_390:                            ;   in Loop: Header=BB302_363 Depth=1
	v_bfe_u32 v32, v19, 16, 3
	v_ffbh_u32_e32 v30, v32
	v_min_u32_e32 v34, 32, v30
	v_subrev_u32_e32 v30, 28, v34
	v_bfe_u32 v33, v19, 19, 4
	v_lshlrev_b64 v[30:31], v30, v[8:9]
	v_sub_u32_e32 v31, 29, v34
	v_cmp_eq_u32_e32 vcc, 0, v33
	v_and_b32_e32 v30, 7, v30
	v_lshlrev_b32_e32 v8, 8, v8
	v_cndmask_b32_e32 v31, v33, v31, vcc
	v_lshl_add_u32 v31, v31, 10, v3
	v_cndmask_b32_e32 v30, v32, v30, vcc
	v_and_or_b32 v8, v8, s21, v31
	v_lshl_or_b32 v8, v30, 7, v8
	v_cvt_f32_f16_e32 v30, v8
.LBB302_391:                            ;   in Loop: Header=BB302_363 Depth=1
	s_or_b64 exec, exec, s[10:11]
	v_lshrrev_b32_e32 v8, 24, v19
	v_cmp_lt_i16_e32 vcc, s19, v8
	s_mov_b64 s[0:1], 0
                                        ; implicit-def: $sgpr16
	s_and_saveexec_b64 s[10:11], vcc
	s_xor_b64 s[10:11], exec, s[10:11]
	s_cbranch_execnz .LBB302_561
; %bb.392:                              ;   in Loop: Header=BB302_363 Depth=1
	s_or_saveexec_b64 s[10:11], s[10:11]
	v_mov_b32_e32 v31, s16
	s_xor_b64 exec, exec, s[10:11]
	s_cbranch_execnz .LBB302_564
.LBB302_393:                            ;   in Loop: Header=BB302_363 Depth=1
	s_or_b64 exec, exec, s[10:11]
	s_and_saveexec_b64 s[10:11], s[0:1]
	s_cbranch_execz .LBB302_395
.LBB302_394:                            ;   in Loop: Header=BB302_363 Depth=1
	v_bfe_u32 v31, v19, 24, 3
	v_ffbh_u32_e32 v32, v31
	v_min_u32_e32 v34, 32, v32
	v_subrev_u32_e32 v32, 28, v34
	v_bfe_u32 v19, v19, 27, 4
	v_lshlrev_b64 v[32:33], v32, v[8:9]
	v_sub_u32_e32 v33, 29, v34
	v_cmp_eq_u32_e32 vcc, 0, v19
	v_and_b32_e32 v32, 7, v32
	v_lshlrev_b32_e32 v8, 8, v8
	v_cndmask_b32_e32 v19, v19, v33, vcc
	v_lshl_add_u32 v19, v19, 10, v3
	v_cndmask_b32_e32 v31, v31, v32, vcc
	v_and_or_b32 v8, v8, s21, v19
	v_lshl_or_b32 v8, v31, 7, v8
	v_cvt_f32_f16_e32 v31, v8
.LBB302_395:                            ;   in Loop: Header=BB302_363 Depth=1
	s_or_b64 exec, exec, s[10:11]
	s_waitcnt vmcnt(0)
	v_pk_mul_f32 v[22:23], v[16:17], v[22:23] op_sel_hi:[0,1]
	v_pk_mul_f32 v[20:21], v[16:17], v[20:21] op_sel_hi:[0,1]
	v_cvt_f16_f32_e32 v8, v23
	v_cvt_f16_f32_e32 v19, v22
	;; [unrolled: 1-line block ×4, first 2 shown]
	v_fma_mixlo_f16 v18, v16, v18, 0
	v_pack_b32_f16 v19, v19, v8
	v_cmp_eq_u32_e32 vcc, s7, v2
	v_pack_b32_f16 v20, v20, v21
	v_perm_b32 v8, v20, v19, s23
	v_perm_b32 v19, v20, v19, s28
	v_fma_mixlo_f16 v20, v16, v29, 0
	v_lshlrev_b32_e32 v20, 16, v20
	v_or_b32_sdwa v18, v20, v18 dst_sel:DWORD dst_unused:UNUSED_PAD src0_sel:DWORD src1_sel:WORD_0
	v_fma_mixlo_f16 v20, v16, v30, 0
	v_fma_mixlo_f16 v16, v16, v31, 0
	v_lshlrev_b32_e32 v16, 16, v16
	v_or_b32_sdwa v16, v16, v20 dst_sel:DWORD dst_unused:UNUSED_PAD src0_sel:DWORD src1_sel:WORD_0
	v_add_u32_e32 v35, 1, v27
	v_or_b32_e32 v34, 3, v27
	v_or_b32_e32 v33, 2, v27
	;; [unrolled: 1-line block ×6, first 2 shown]
	s_and_saveexec_b64 s[10:11], vcc
	s_cbranch_execz .LBB302_397
; %bb.396:                              ;   in Loop: Header=BB302_363 Depth=1
	v_lshrrev_b32_e32 v21, 16, v19
	v_cmp_gt_i32_e64 s[0:1], s18, v35
	v_lshrrev_b32_e32 v16, 16, v16
	s_nop 0
	v_cndmask_b32_e64 v21, 0, v21, s[0:1]
	v_cmp_gt_i32_e64 s[0:1], s29, v27
	s_nop 1
	v_cndmask_b32_e64 v19, 0, v19, s[0:1]
	v_perm_b32 v19, v21, v19, s30
	v_lshrrev_b32_e32 v21, 16, v8
	v_cmp_gt_i32_e64 s[0:1], s18, v34
	s_nop 1
	v_cndmask_b32_e64 v21, 0, v21, s[0:1]
	v_cmp_gt_i32_e64 s[0:1], s29, v33
	s_nop 1
	v_cndmask_b32_e64 v8, 0, v8, s[0:1]
	v_perm_b32 v8, v21, v8, s30
	v_lshrrev_b32_e32 v21, 16, v18
	v_cmp_gt_i32_e64 s[0:1], s18, v32
	s_nop 1
	v_cndmask_b32_e64 v21, 0, v21, s[0:1]
	v_cmp_gt_i32_e64 s[0:1], s29, v31
	s_nop 1
	v_cndmask_b32_e64 v18, 0, v18, s[0:1]
	v_cmp_gt_i32_e64 s[0:1], s18, v30
	v_perm_b32 v18, v21, v18, s30
	s_nop 0
	v_cndmask_b32_e64 v16, 0, v16, s[0:1]
	v_cmp_gt_i32_e64 s[0:1], s29, v29
	s_nop 1
	v_cndmask_b32_e64 v20, 0, v20, s[0:1]
	v_perm_b32 v16, v16, v20, s30
.LBB302_397:                            ;   in Loop: Header=BB302_363 Depth=1
	s_or_b64 exec, exec, s[10:11]
	v_and_b32_e32 v20, 0xffff, v36
	v_lshl_or_b32 v36, v37, 16, v20
	v_and_b32_e32 v20, 0xffff, v38
	v_lshl_or_b32 v37, v39, 16, v20
	;; [unrolled: 2-line block ×3, first 2 shown]
	v_and_b32_e32 v20, 0xffff, v42
	;;#ASMSTART
	v_pk_mul_f16 v19, v36, v19;

	;;#ASMEND
	;;#ASMSTART
	v_pk_mul_f16 v8, v37, v8;

	;;#ASMEND
	v_lshl_or_b32 v39, v43, 16, v20
	;;#ASMSTART
	v_pk_mul_f16 v18, v38, v18;

	;;#ASMEND
	;;#ASMSTART
	v_pk_mul_f16 v16, v39, v16;

	;;#ASMEND
	;;#ASMSTART
	v_pk_add_f16 v8, v19, v8;

	;;#ASMEND
	s_mov_b64 s[0:1], 0
	;;#ASMSTART
	v_pk_add_f16 v8, v8, v18;

	;;#ASMEND
                                        ; implicit-def: $sgpr16
	s_nop 0
	;;#ASMSTART
	v_pk_add_f16 v8, v8, v16;

	;;#ASMEND
	s_nop 0
	v_lshrrev_b32_e32 v16, 16, v8
	v_and_b32_e32 v8, 0xffff, v8
	;;#ASMSTART
	v_cvt_f32_f16 v40, v8;
	;;#ASMEND
	;;#ASMSTART
	v_cvt_f32_f16 v41, v16;
	;;#ASMEND
	global_load_dwordx2 v[18:19], v[14:15], off offset:512
	global_load_dword v16, v9, s[14:15]
	s_waitcnt vmcnt(1)
	v_cmp_gt_i16_sdwa s[10:11], v18, s19 src0_sel:BYTE_0 src1_sel:DWORD
	s_and_saveexec_b64 s[12:13], s[10:11]
	s_xor_b64 s[10:11], exec, s[12:13]
	s_cbranch_execnz .LBB302_565
; %bb.398:                              ;   in Loop: Header=BB302_363 Depth=1
	s_or_saveexec_b64 s[10:11], s[10:11]
	v_mov_b32_e32 v20, s16
	s_xor_b64 exec, exec, s[10:11]
	s_cbranch_execnz .LBB302_568
.LBB302_399:                            ;   in Loop: Header=BB302_363 Depth=1
	s_or_b64 exec, exec, s[10:11]
	s_and_saveexec_b64 s[10:11], s[0:1]
	s_cbranch_execz .LBB302_401
.LBB302_400:                            ;   in Loop: Header=BB302_363 Depth=1
	v_and_b32_e32 v8, 7, v18
	v_ffbh_u32_e32 v8, v8
	v_bfe_u32 v20, v18, 3, 4
	v_min_u32_e32 v8, 32, v8
	v_subrev_u32_e32 v21, 28, v8
	v_sub_u32_e32 v8, 29, v8
	v_cmp_eq_u32_e64 s[0:1], 0, v20
	s_nop 1
	v_cndmask_b32_e64 v8, v20, v8, s[0:1]
	v_cndmask_b32_e64 v20, 0, v21, s[0:1]
	v_lshlrev_b64 v[20:21], v20, v[18:19]
	v_lshlrev_b32_e32 v21, 8, v18
	v_lshl_add_u32 v8, v8, 10, v3
	v_lshlrev_b32_e32 v20, 7, v20
	v_and_or_b32 v8, v21, s21, v8
	v_and_or_b32 v8, v20, s22, v8
	v_cvt_f32_f16_e32 v20, v8
.LBB302_401:                            ;   in Loop: Header=BB302_363 Depth=1
	s_or_b64 exec, exec, s[10:11]
	v_lshrrev_b16_e32 v8, 8, v18
	v_cmp_lt_i16_e64 s[0:1], s19, v8
	s_mov_b64 s[10:11], 0
                                        ; implicit-def: $sgpr31
	s_and_saveexec_b64 s[12:13], s[0:1]
	s_xor_b64 s[12:13], exec, s[12:13]
	s_cbranch_execnz .LBB302_569
; %bb.402:                              ;   in Loop: Header=BB302_363 Depth=1
	s_or_saveexec_b64 s[12:13], s[12:13]
	v_mov_b32_e32 v22, s31
	s_xor_b64 exec, exec, s[12:13]
	s_cbranch_execnz .LBB302_572
.LBB302_403:                            ;   in Loop: Header=BB302_363 Depth=1
	s_or_b64 exec, exec, s[12:13]
	s_and_saveexec_b64 s[12:13], s[10:11]
	s_cbranch_execz .LBB302_405
.LBB302_404:                            ;   in Loop: Header=BB302_363 Depth=1
	v_and_b32_e32 v21, 7, v8
	v_ffbh_u32_e32 v22, v21
	v_min_u32_e32 v43, 32, v22
	v_subrev_u32_e32 v22, 28, v43
	v_bfe_u32 v42, v8, 3, 4
	v_lshlrev_b64 v[22:23], v22, v[8:9]
	v_sub_u32_e32 v23, 29, v43
	v_cmp_eq_u32_e64 s[0:1], 0, v42
	v_and_b32_e32 v22, 7, v22
	v_lshlrev_b32_e32 v8, 8, v8
	v_cndmask_b32_e64 v23, v42, v23, s[0:1]
	v_cndmask_b32_e64 v21, v21, v22, s[0:1]
	v_lshl_add_u32 v22, v23, 10, v3
	v_and_or_b32 v8, v8, s21, v22
	v_lshl_or_b32 v8, v21, 7, v8
	v_cvt_f32_f16_e32 v22, v8
.LBB302_405:                            ;   in Loop: Header=BB302_363 Depth=1
	s_or_b64 exec, exec, s[12:13]
	v_lshrrev_b32_e32 v8, 16, v18
	v_cmp_gt_i16_sdwa s[10:11], v8, s19 src0_sel:BYTE_0 src1_sel:DWORD
	s_mov_b64 s[0:1], 0
                                        ; implicit-def: $sgpr16
	s_and_saveexec_b64 s[12:13], s[10:11]
	s_xor_b64 s[10:11], exec, s[12:13]
	s_cbranch_execnz .LBB302_573
; %bb.406:                              ;   in Loop: Header=BB302_363 Depth=1
	s_or_saveexec_b64 s[10:11], s[10:11]
	v_mov_b32_e32 v21, s16
	s_xor_b64 exec, exec, s[10:11]
	s_cbranch_execnz .LBB302_576
.LBB302_407:                            ;   in Loop: Header=BB302_363 Depth=1
	s_or_b64 exec, exec, s[10:11]
	s_and_saveexec_b64 s[10:11], s[0:1]
	s_cbranch_execz .LBB302_409
.LBB302_408:                            ;   in Loop: Header=BB302_363 Depth=1
	v_bfe_u32 v21, v18, 16, 3
	v_ffbh_u32_e32 v42, v21
	v_min_u32_e32 v44, 32, v42
	v_subrev_u32_e32 v42, 28, v44
	v_bfe_u32 v23, v18, 19, 4
	v_lshlrev_b64 v[42:43], v42, v[8:9]
	v_sub_u32_e32 v43, 29, v44
	v_cmp_eq_u32_e64 s[0:1], 0, v23
	v_and_b32_e32 v42, 7, v42
	v_lshlrev_b32_e32 v8, 8, v8
	v_cndmask_b32_e64 v23, v23, v43, s[0:1]
	v_lshl_add_u32 v23, v23, 10, v3
	v_cndmask_b32_e64 v21, v21, v42, s[0:1]
	v_and_or_b32 v8, v8, s21, v23
	v_lshl_or_b32 v8, v21, 7, v8
	v_cvt_f32_f16_e32 v21, v8
.LBB302_409:                            ;   in Loop: Header=BB302_363 Depth=1
	s_or_b64 exec, exec, s[10:11]
	v_lshrrev_b32_e32 v8, 24, v18
	v_cmp_lt_i16_e64 s[0:1], s19, v8
	s_mov_b64 s[10:11], 0
                                        ; implicit-def: $sgpr31
	s_and_saveexec_b64 s[12:13], s[0:1]
	s_xor_b64 s[12:13], exec, s[12:13]
	s_cbranch_execnz .LBB302_577
; %bb.410:                              ;   in Loop: Header=BB302_363 Depth=1
	s_or_saveexec_b64 s[12:13], s[12:13]
	v_mov_b32_e32 v23, s31
	s_xor_b64 exec, exec, s[12:13]
	s_cbranch_execnz .LBB302_580
.LBB302_411:                            ;   in Loop: Header=BB302_363 Depth=1
	s_or_b64 exec, exec, s[12:13]
	s_and_saveexec_b64 s[12:13], s[10:11]
	s_cbranch_execz .LBB302_413
.LBB302_412:                            ;   in Loop: Header=BB302_363 Depth=1
	v_bfe_u32 v23, v18, 24, 3
	v_ffbh_u32_e32 v42, v23
	v_min_u32_e32 v44, 32, v42
	v_subrev_u32_e32 v42, 28, v44
	v_bfe_u32 v18, v18, 27, 4
	v_lshlrev_b64 v[42:43], v42, v[8:9]
	v_sub_u32_e32 v43, 29, v44
	v_cmp_eq_u32_e64 s[0:1], 0, v18
	v_and_b32_e32 v42, 7, v42
	v_lshlrev_b32_e32 v8, 8, v8
	v_cndmask_b32_e64 v18, v18, v43, s[0:1]
	v_lshl_add_u32 v18, v18, 10, v3
	v_cndmask_b32_e64 v23, v23, v42, s[0:1]
	v_and_or_b32 v8, v8, s21, v18
	v_lshl_or_b32 v8, v23, 7, v8
	v_cvt_f32_f16_e32 v23, v8
.LBB302_413:                            ;   in Loop: Header=BB302_363 Depth=1
	s_or_b64 exec, exec, s[12:13]
	v_cmp_gt_i16_sdwa s[10:11], v19, s19 src0_sel:BYTE_0 src1_sel:DWORD
	s_mov_b64 s[0:1], 0
                                        ; implicit-def: $sgpr16
	s_and_saveexec_b64 s[12:13], s[10:11]
	s_xor_b64 s[10:11], exec, s[12:13]
	s_cbranch_execnz .LBB302_581
; %bb.414:                              ;   in Loop: Header=BB302_363 Depth=1
	s_or_saveexec_b64 s[10:11], s[10:11]
	v_mov_b32_e32 v18, s16
	s_xor_b64 exec, exec, s[10:11]
	s_cbranch_execnz .LBB302_584
.LBB302_415:                            ;   in Loop: Header=BB302_363 Depth=1
	s_or_b64 exec, exec, s[10:11]
	v_mov_b32_e32 v8, v19
	s_and_saveexec_b64 s[10:11], s[0:1]
	s_cbranch_execz .LBB302_417
.LBB302_416:                            ;   in Loop: Header=BB302_363 Depth=1
	v_and_b32_e32 v18, 7, v19
	v_ffbh_u32_e32 v18, v18
	v_bfe_u32 v42, v19, 3, 4
	v_min_u32_e32 v18, 32, v18
	v_subrev_u32_e32 v43, 28, v18
	v_sub_u32_e32 v18, 29, v18
	v_cmp_eq_u32_e64 s[0:1], 0, v42
	s_nop 1
	v_cndmask_b32_e64 v18, v42, v18, s[0:1]
	v_cndmask_b32_e64 v42, 0, v43, s[0:1]
	v_lshlrev_b64 v[42:43], v42, v[8:9]
	v_lshlrev_b32_e32 v43, 8, v19
	v_lshl_add_u32 v18, v18, 10, v3
	v_lshlrev_b32_e32 v42, 7, v42
	v_and_or_b32 v18, v43, s21, v18
	v_and_or_b32 v18, v42, s22, v18
	v_cvt_f32_f16_e32 v18, v18
.LBB302_417:                            ;   in Loop: Header=BB302_363 Depth=1
	s_or_b64 exec, exec, s[10:11]
	v_lshrrev_b16_e32 v8, 8, v8
	v_cmp_lt_i16_e64 s[0:1], s19, v8
	s_mov_b64 s[10:11], 0
                                        ; implicit-def: $sgpr31
	s_and_saveexec_b64 s[12:13], s[0:1]
	s_xor_b64 s[12:13], exec, s[12:13]
	s_cbranch_execnz .LBB302_585
; %bb.418:                              ;   in Loop: Header=BB302_363 Depth=1
	s_or_saveexec_b64 s[12:13], s[12:13]
	v_mov_b32_e32 v42, s31
	s_xor_b64 exec, exec, s[12:13]
	s_cbranch_execnz .LBB302_588
.LBB302_419:                            ;   in Loop: Header=BB302_363 Depth=1
	s_or_b64 exec, exec, s[12:13]
	s_and_saveexec_b64 s[12:13], s[10:11]
	s_cbranch_execz .LBB302_421
.LBB302_420:                            ;   in Loop: Header=BB302_363 Depth=1
	v_and_b32_e32 v44, 7, v8
	v_ffbh_u32_e32 v42, v44
	v_min_u32_e32 v46, 32, v42
	v_subrev_u32_e32 v42, 28, v46
	v_bfe_u32 v45, v8, 3, 4
	v_lshlrev_b64 v[42:43], v42, v[8:9]
	v_sub_u32_e32 v43, 29, v46
	v_cmp_eq_u32_e64 s[0:1], 0, v45
	v_and_b32_e32 v42, 7, v42
	v_lshlrev_b32_e32 v8, 8, v8
	v_cndmask_b32_e64 v43, v45, v43, s[0:1]
	v_lshl_add_u32 v43, v43, 10, v3
	v_cndmask_b32_e64 v42, v44, v42, s[0:1]
	v_and_or_b32 v8, v8, s21, v43
	v_lshl_or_b32 v8, v42, 7, v8
	v_cvt_f32_f16_e32 v42, v8
.LBB302_421:                            ;   in Loop: Header=BB302_363 Depth=1
	s_or_b64 exec, exec, s[12:13]
	v_lshrrev_b32_e32 v8, 16, v19
	v_cmp_gt_i16_sdwa s[10:11], v8, s19 src0_sel:BYTE_0 src1_sel:DWORD
	s_mov_b64 s[0:1], 0
                                        ; implicit-def: $sgpr16
	s_and_saveexec_b64 s[12:13], s[10:11]
	s_xor_b64 s[10:11], exec, s[12:13]
	s_cbranch_execnz .LBB302_589
; %bb.422:                              ;   in Loop: Header=BB302_363 Depth=1
	s_or_saveexec_b64 s[10:11], s[10:11]
	v_mov_b32_e32 v43, s16
	s_xor_b64 exec, exec, s[10:11]
	s_cbranch_execnz .LBB302_592
.LBB302_423:                            ;   in Loop: Header=BB302_363 Depth=1
	s_or_b64 exec, exec, s[10:11]
	s_and_saveexec_b64 s[10:11], s[0:1]
	s_cbranch_execz .LBB302_425
.LBB302_424:                            ;   in Loop: Header=BB302_363 Depth=1
	v_bfe_u32 v43, v19, 16, 3
	v_ffbh_u32_e32 v44, v43
	v_min_u32_e32 v47, 32, v44
	v_subrev_u32_e32 v44, 28, v47
	v_bfe_u32 v46, v19, 19, 4
	v_lshlrev_b64 v[44:45], v44, v[8:9]
	v_sub_u32_e32 v45, 29, v47
	v_cmp_eq_u32_e64 s[0:1], 0, v46
	v_and_b32_e32 v44, 7, v44
	v_lshlrev_b32_e32 v8, 8, v8
	v_cndmask_b32_e64 v45, v46, v45, s[0:1]
	v_cndmask_b32_e64 v43, v43, v44, s[0:1]
	v_lshl_add_u32 v44, v45, 10, v3
	v_and_or_b32 v8, v8, s21, v44
	v_lshl_or_b32 v8, v43, 7, v8
	v_cvt_f32_f16_e32 v43, v8
.LBB302_425:                            ;   in Loop: Header=BB302_363 Depth=1
	s_or_b64 exec, exec, s[10:11]
	v_lshrrev_b32_e32 v8, 24, v19
	v_cmp_lt_i16_e64 s[0:1], s19, v8
	s_mov_b64 s[10:11], 0
                                        ; implicit-def: $sgpr31
	s_and_saveexec_b64 s[12:13], s[0:1]
	s_xor_b64 s[12:13], exec, s[12:13]
	s_cbranch_execnz .LBB302_593
; %bb.426:                              ;   in Loop: Header=BB302_363 Depth=1
	s_or_saveexec_b64 s[12:13], s[12:13]
	v_mov_b32_e32 v44, s31
	s_xor_b64 exec, exec, s[12:13]
	s_cbranch_execnz .LBB302_596
.LBB302_427:                            ;   in Loop: Header=BB302_363 Depth=1
	s_or_b64 exec, exec, s[12:13]
	s_and_saveexec_b64 s[12:13], s[10:11]
	s_cbranch_execz .LBB302_429
.LBB302_428:                            ;   in Loop: Header=BB302_363 Depth=1
	v_bfe_u32 v46, v19, 24, 3
	v_ffbh_u32_e32 v44, v46
	v_min_u32_e32 v47, 32, v44
	v_subrev_u32_e32 v44, 28, v47
	v_bfe_u32 v19, v19, 27, 4
	v_lshlrev_b64 v[44:45], v44, v[8:9]
	v_sub_u32_e32 v45, 29, v47
	v_cmp_eq_u32_e64 s[0:1], 0, v19
	v_and_b32_e32 v44, 7, v44
	v_lshlrev_b32_e32 v8, 8, v8
	v_cndmask_b32_e64 v19, v19, v45, s[0:1]
	v_lshl_add_u32 v19, v19, 10, v3
	v_cndmask_b32_e64 v44, v46, v44, s[0:1]
	v_and_or_b32 v8, v8, s21, v19
	v_lshl_or_b32 v8, v44, 7, v8
	v_cvt_f32_f16_e32 v44, v8
.LBB302_429:                            ;   in Loop: Header=BB302_363 Depth=1
	s_or_b64 exec, exec, s[12:13]
	s_waitcnt vmcnt(0)
	v_pk_mul_f32 v[22:23], v[16:17], v[22:23] op_sel_hi:[0,1]
	v_pk_mul_f32 v[20:21], v[16:17], v[20:21] op_sel_hi:[0,1]
	v_cvt_f16_f32_e32 v8, v23
	v_cvt_f16_f32_e32 v19, v22
	;; [unrolled: 1-line block ×4, first 2 shown]
	v_fma_mixlo_f16 v18, v16, v18, 0
	v_pack_b32_f16 v19, v19, v8
	v_pack_b32_f16 v20, v20, v21
	v_perm_b32 v8, v20, v19, s23
	v_perm_b32 v19, v20, v19, s28
	v_fma_mixlo_f16 v20, v16, v42, 0
	v_lshlrev_b32_e32 v20, 16, v20
	v_or_b32_sdwa v18, v20, v18 dst_sel:DWORD dst_unused:UNUSED_PAD src0_sel:DWORD src1_sel:WORD_0
	v_fma_mixlo_f16 v20, v16, v43, 0
	v_fma_mixlo_f16 v16, v16, v44, 0
	v_lshlrev_b32_e32 v16, 16, v16
	v_or_b32_sdwa v16, v16, v20 dst_sel:DWORD dst_unused:UNUSED_PAD src0_sel:DWORD src1_sel:WORD_0
	s_and_saveexec_b64 s[10:11], vcc
	s_cbranch_execz .LBB302_431
; %bb.430:                              ;   in Loop: Header=BB302_363 Depth=1
	v_lshrrev_b32_e32 v21, 16, v19
	v_cmp_gt_i32_e64 s[0:1], s18, v35
	v_lshrrev_b32_e32 v16, 16, v16
	s_nop 0
	v_cndmask_b32_e64 v21, 0, v21, s[0:1]
	v_cmp_gt_i32_e64 s[0:1], s29, v27
	s_nop 1
	v_cndmask_b32_e64 v19, 0, v19, s[0:1]
	v_perm_b32 v19, v21, v19, s30
	v_lshrrev_b32_e32 v21, 16, v8
	v_cmp_gt_i32_e64 s[0:1], s18, v34
	s_nop 1
	v_cndmask_b32_e64 v21, 0, v21, s[0:1]
	v_cmp_gt_i32_e64 s[0:1], s29, v33
	s_nop 1
	v_cndmask_b32_e64 v8, 0, v8, s[0:1]
	v_perm_b32 v8, v21, v8, s30
	v_lshrrev_b32_e32 v21, 16, v18
	v_cmp_gt_i32_e64 s[0:1], s18, v32
	s_nop 1
	v_cndmask_b32_e64 v21, 0, v21, s[0:1]
	v_cmp_gt_i32_e64 s[0:1], s29, v31
	s_nop 1
	v_cndmask_b32_e64 v18, 0, v18, s[0:1]
	v_cmp_gt_i32_e64 s[0:1], s18, v30
	v_perm_b32 v18, v21, v18, s30
	s_nop 0
	v_cndmask_b32_e64 v16, 0, v16, s[0:1]
	v_cmp_gt_i32_e64 s[0:1], s29, v29
	s_nop 1
	v_cndmask_b32_e64 v20, 0, v20, s[0:1]
	v_perm_b32 v16, v16, v20, s30
.LBB302_431:                            ;   in Loop: Header=BB302_363 Depth=1
	s_or_b64 exec, exec, s[10:11]
	;;#ASMSTART
	v_pk_mul_f16 v19, v36, v19;

	;;#ASMEND
	;;#ASMSTART
	v_pk_mul_f16 v8, v37, v8;

	;;#ASMEND
	;; [unrolled: 4-line block ×4, first 2 shown]
	s_mov_b64 s[0:1], 0
	;;#ASMSTART
	v_pk_add_f16 v8, v19, v8;

	;;#ASMEND
                                        ; implicit-def: $sgpr16
	s_nop 0
	;;#ASMSTART
	v_pk_add_f16 v8, v8, v18;

	;;#ASMEND
	s_nop 0
	;;#ASMSTART
	v_pk_add_f16 v8, v8, v16;

	;;#ASMEND
	s_nop 0
	v_lshrrev_b32_e32 v16, 16, v8
	v_and_b32_e32 v8, 0xffff, v8
	;;#ASMSTART
	v_cvt_f32_f16 v42, v8;
	;;#ASMEND
	;;#ASMSTART
	v_cvt_f32_f16 v43, v16;
	;;#ASMEND
	global_load_dwordx2 v[18:19], v[14:15], off offset:1024
	global_load_dword v16, v9, s[14:15]
	s_waitcnt vmcnt(1)
	v_cmp_gt_i16_sdwa s[10:11], v18, s19 src0_sel:BYTE_0 src1_sel:DWORD
	s_and_saveexec_b64 s[12:13], s[10:11]
	s_xor_b64 s[10:11], exec, s[12:13]
	s_cbranch_execnz .LBB302_597
; %bb.432:                              ;   in Loop: Header=BB302_363 Depth=1
	s_or_saveexec_b64 s[10:11], s[10:11]
	v_mov_b32_e32 v20, s16
	s_xor_b64 exec, exec, s[10:11]
	s_cbranch_execnz .LBB302_600
.LBB302_433:                            ;   in Loop: Header=BB302_363 Depth=1
	s_or_b64 exec, exec, s[10:11]
	s_and_saveexec_b64 s[10:11], s[0:1]
	s_cbranch_execz .LBB302_435
.LBB302_434:                            ;   in Loop: Header=BB302_363 Depth=1
	v_and_b32_e32 v8, 7, v18
	v_ffbh_u32_e32 v8, v8
	v_bfe_u32 v20, v18, 3, 4
	v_min_u32_e32 v8, 32, v8
	v_subrev_u32_e32 v21, 28, v8
	v_sub_u32_e32 v8, 29, v8
	v_cmp_eq_u32_e64 s[0:1], 0, v20
	s_nop 1
	v_cndmask_b32_e64 v8, v20, v8, s[0:1]
	v_cndmask_b32_e64 v20, 0, v21, s[0:1]
	v_lshlrev_b64 v[20:21], v20, v[18:19]
	v_lshlrev_b32_e32 v21, 8, v18
	v_lshl_add_u32 v8, v8, 10, v3
	v_lshlrev_b32_e32 v20, 7, v20
	v_and_or_b32 v8, v21, s21, v8
	v_and_or_b32 v8, v20, s22, v8
	v_cvt_f32_f16_e32 v20, v8
.LBB302_435:                            ;   in Loop: Header=BB302_363 Depth=1
	s_or_b64 exec, exec, s[10:11]
	v_lshrrev_b16_e32 v8, 8, v18
	v_cmp_lt_i16_e64 s[0:1], s19, v8
	s_mov_b64 s[10:11], 0
                                        ; implicit-def: $sgpr31
	s_and_saveexec_b64 s[12:13], s[0:1]
	s_xor_b64 s[12:13], exec, s[12:13]
	s_cbranch_execnz .LBB302_601
; %bb.436:                              ;   in Loop: Header=BB302_363 Depth=1
	s_or_saveexec_b64 s[12:13], s[12:13]
	v_mov_b32_e32 v22, s31
	s_xor_b64 exec, exec, s[12:13]
	s_cbranch_execnz .LBB302_604
.LBB302_437:                            ;   in Loop: Header=BB302_363 Depth=1
	s_or_b64 exec, exec, s[12:13]
	s_and_saveexec_b64 s[12:13], s[10:11]
	s_cbranch_execz .LBB302_439
.LBB302_438:                            ;   in Loop: Header=BB302_363 Depth=1
	v_and_b32_e32 v21, 7, v8
	v_ffbh_u32_e32 v22, v21
	v_min_u32_e32 v45, 32, v22
	v_subrev_u32_e32 v22, 28, v45
	v_bfe_u32 v44, v8, 3, 4
	v_lshlrev_b64 v[22:23], v22, v[8:9]
	v_sub_u32_e32 v23, 29, v45
	v_cmp_eq_u32_e64 s[0:1], 0, v44
	v_and_b32_e32 v22, 7, v22
	v_lshlrev_b32_e32 v8, 8, v8
	v_cndmask_b32_e64 v23, v44, v23, s[0:1]
	v_cndmask_b32_e64 v21, v21, v22, s[0:1]
	v_lshl_add_u32 v22, v23, 10, v3
	v_and_or_b32 v8, v8, s21, v22
	v_lshl_or_b32 v8, v21, 7, v8
	v_cvt_f32_f16_e32 v22, v8
.LBB302_439:                            ;   in Loop: Header=BB302_363 Depth=1
	s_or_b64 exec, exec, s[12:13]
	v_lshrrev_b32_e32 v8, 16, v18
	v_cmp_gt_i16_sdwa s[10:11], v8, s19 src0_sel:BYTE_0 src1_sel:DWORD
	s_mov_b64 s[0:1], 0
                                        ; implicit-def: $sgpr16
	s_and_saveexec_b64 s[12:13], s[10:11]
	s_xor_b64 s[10:11], exec, s[12:13]
	s_cbranch_execnz .LBB302_605
; %bb.440:                              ;   in Loop: Header=BB302_363 Depth=1
	s_or_saveexec_b64 s[10:11], s[10:11]
	v_mov_b32_e32 v21, s16
	s_xor_b64 exec, exec, s[10:11]
	s_cbranch_execnz .LBB302_608
.LBB302_441:                            ;   in Loop: Header=BB302_363 Depth=1
	s_or_b64 exec, exec, s[10:11]
	s_and_saveexec_b64 s[10:11], s[0:1]
	s_cbranch_execz .LBB302_443
.LBB302_442:                            ;   in Loop: Header=BB302_363 Depth=1
	v_bfe_u32 v21, v18, 16, 3
	v_ffbh_u32_e32 v44, v21
	v_min_u32_e32 v46, 32, v44
	v_subrev_u32_e32 v44, 28, v46
	v_bfe_u32 v23, v18, 19, 4
	v_lshlrev_b64 v[44:45], v44, v[8:9]
	v_sub_u32_e32 v45, 29, v46
	v_cmp_eq_u32_e64 s[0:1], 0, v23
	v_and_b32_e32 v44, 7, v44
	v_lshlrev_b32_e32 v8, 8, v8
	v_cndmask_b32_e64 v23, v23, v45, s[0:1]
	v_lshl_add_u32 v23, v23, 10, v3
	v_cndmask_b32_e64 v21, v21, v44, s[0:1]
	v_and_or_b32 v8, v8, s21, v23
	v_lshl_or_b32 v8, v21, 7, v8
	v_cvt_f32_f16_e32 v21, v8
.LBB302_443:                            ;   in Loop: Header=BB302_363 Depth=1
	s_or_b64 exec, exec, s[10:11]
	v_lshrrev_b32_e32 v8, 24, v18
	v_cmp_lt_i16_e64 s[0:1], s19, v8
	s_mov_b64 s[10:11], 0
                                        ; implicit-def: $sgpr31
	s_and_saveexec_b64 s[12:13], s[0:1]
	s_xor_b64 s[12:13], exec, s[12:13]
	s_cbranch_execnz .LBB302_609
; %bb.444:                              ;   in Loop: Header=BB302_363 Depth=1
	s_or_saveexec_b64 s[12:13], s[12:13]
	v_mov_b32_e32 v23, s31
	s_xor_b64 exec, exec, s[12:13]
	s_cbranch_execnz .LBB302_612
.LBB302_445:                            ;   in Loop: Header=BB302_363 Depth=1
	s_or_b64 exec, exec, s[12:13]
	s_and_saveexec_b64 s[12:13], s[10:11]
	s_cbranch_execz .LBB302_447
.LBB302_446:                            ;   in Loop: Header=BB302_363 Depth=1
	v_bfe_u32 v23, v18, 24, 3
	v_ffbh_u32_e32 v44, v23
	v_min_u32_e32 v46, 32, v44
	v_subrev_u32_e32 v44, 28, v46
	v_bfe_u32 v18, v18, 27, 4
	v_lshlrev_b64 v[44:45], v44, v[8:9]
	v_sub_u32_e32 v45, 29, v46
	v_cmp_eq_u32_e64 s[0:1], 0, v18
	v_and_b32_e32 v44, 7, v44
	v_lshlrev_b32_e32 v8, 8, v8
	v_cndmask_b32_e64 v18, v18, v45, s[0:1]
	v_lshl_add_u32 v18, v18, 10, v3
	v_cndmask_b32_e64 v23, v23, v44, s[0:1]
	v_and_or_b32 v8, v8, s21, v18
	v_lshl_or_b32 v8, v23, 7, v8
	v_cvt_f32_f16_e32 v23, v8
.LBB302_447:                            ;   in Loop: Header=BB302_363 Depth=1
	s_or_b64 exec, exec, s[12:13]
	v_cmp_gt_i16_sdwa s[10:11], v19, s19 src0_sel:BYTE_0 src1_sel:DWORD
	s_mov_b64 s[0:1], 0
                                        ; implicit-def: $sgpr16
	s_and_saveexec_b64 s[12:13], s[10:11]
	s_xor_b64 s[10:11], exec, s[12:13]
	s_cbranch_execnz .LBB302_613
; %bb.448:                              ;   in Loop: Header=BB302_363 Depth=1
	s_or_saveexec_b64 s[10:11], s[10:11]
	v_mov_b32_e32 v18, s16
	s_xor_b64 exec, exec, s[10:11]
	s_cbranch_execnz .LBB302_616
.LBB302_449:                            ;   in Loop: Header=BB302_363 Depth=1
	s_or_b64 exec, exec, s[10:11]
	v_mov_b32_e32 v8, v19
	s_and_saveexec_b64 s[10:11], s[0:1]
	s_cbranch_execz .LBB302_451
.LBB302_450:                            ;   in Loop: Header=BB302_363 Depth=1
	v_and_b32_e32 v18, 7, v19
	v_ffbh_u32_e32 v18, v18
	v_bfe_u32 v44, v19, 3, 4
	v_min_u32_e32 v18, 32, v18
	v_subrev_u32_e32 v45, 28, v18
	v_sub_u32_e32 v18, 29, v18
	v_cmp_eq_u32_e64 s[0:1], 0, v44
	s_nop 1
	v_cndmask_b32_e64 v18, v44, v18, s[0:1]
	v_cndmask_b32_e64 v44, 0, v45, s[0:1]
	v_lshlrev_b64 v[44:45], v44, v[8:9]
	v_lshlrev_b32_e32 v45, 8, v19
	v_lshl_add_u32 v18, v18, 10, v3
	v_lshlrev_b32_e32 v44, 7, v44
	v_and_or_b32 v18, v45, s21, v18
	v_and_or_b32 v18, v44, s22, v18
	v_cvt_f32_f16_e32 v18, v18
.LBB302_451:                            ;   in Loop: Header=BB302_363 Depth=1
	s_or_b64 exec, exec, s[10:11]
	v_lshrrev_b16_e32 v8, 8, v8
	v_cmp_lt_i16_e64 s[0:1], s19, v8
	s_mov_b64 s[10:11], 0
                                        ; implicit-def: $sgpr31
	s_and_saveexec_b64 s[12:13], s[0:1]
	s_xor_b64 s[12:13], exec, s[12:13]
	s_cbranch_execnz .LBB302_617
; %bb.452:                              ;   in Loop: Header=BB302_363 Depth=1
	s_or_saveexec_b64 s[12:13], s[12:13]
	v_mov_b32_e32 v44, s31
	s_xor_b64 exec, exec, s[12:13]
	s_cbranch_execnz .LBB302_620
.LBB302_453:                            ;   in Loop: Header=BB302_363 Depth=1
	s_or_b64 exec, exec, s[12:13]
	s_and_saveexec_b64 s[12:13], s[10:11]
	s_cbranch_execz .LBB302_455
.LBB302_454:                            ;   in Loop: Header=BB302_363 Depth=1
	v_and_b32_e32 v46, 7, v8
	v_ffbh_u32_e32 v44, v46
	v_min_u32_e32 v48, 32, v44
	v_subrev_u32_e32 v44, 28, v48
	v_bfe_u32 v47, v8, 3, 4
	v_lshlrev_b64 v[44:45], v44, v[8:9]
	v_sub_u32_e32 v45, 29, v48
	v_cmp_eq_u32_e64 s[0:1], 0, v47
	v_and_b32_e32 v44, 7, v44
	v_lshlrev_b32_e32 v8, 8, v8
	v_cndmask_b32_e64 v45, v47, v45, s[0:1]
	v_lshl_add_u32 v45, v45, 10, v3
	v_cndmask_b32_e64 v44, v46, v44, s[0:1]
	v_and_or_b32 v8, v8, s21, v45
	v_lshl_or_b32 v8, v44, 7, v8
	v_cvt_f32_f16_e32 v44, v8
.LBB302_455:                            ;   in Loop: Header=BB302_363 Depth=1
	s_or_b64 exec, exec, s[12:13]
	v_lshrrev_b32_e32 v8, 16, v19
	v_cmp_gt_i16_sdwa s[10:11], v8, s19 src0_sel:BYTE_0 src1_sel:DWORD
	s_mov_b64 s[0:1], 0
                                        ; implicit-def: $sgpr16
	s_and_saveexec_b64 s[12:13], s[10:11]
	s_xor_b64 s[10:11], exec, s[12:13]
	s_cbranch_execnz .LBB302_621
; %bb.456:                              ;   in Loop: Header=BB302_363 Depth=1
	s_or_saveexec_b64 s[10:11], s[10:11]
	v_mov_b32_e32 v45, s16
	s_xor_b64 exec, exec, s[10:11]
	s_cbranch_execnz .LBB302_624
.LBB302_457:                            ;   in Loop: Header=BB302_363 Depth=1
	s_or_b64 exec, exec, s[10:11]
	s_and_saveexec_b64 s[10:11], s[0:1]
	s_cbranch_execz .LBB302_459
.LBB302_458:                            ;   in Loop: Header=BB302_363 Depth=1
	v_bfe_u32 v45, v19, 16, 3
	v_ffbh_u32_e32 v46, v45
	v_min_u32_e32 v49, 32, v46
	v_subrev_u32_e32 v46, 28, v49
	v_bfe_u32 v48, v19, 19, 4
	v_lshlrev_b64 v[46:47], v46, v[8:9]
	v_sub_u32_e32 v47, 29, v49
	v_cmp_eq_u32_e64 s[0:1], 0, v48
	v_and_b32_e32 v46, 7, v46
	v_lshlrev_b32_e32 v8, 8, v8
	v_cndmask_b32_e64 v47, v48, v47, s[0:1]
	v_cndmask_b32_e64 v45, v45, v46, s[0:1]
	v_lshl_add_u32 v46, v47, 10, v3
	v_and_or_b32 v8, v8, s21, v46
	v_lshl_or_b32 v8, v45, 7, v8
	v_cvt_f32_f16_e32 v45, v8
.LBB302_459:                            ;   in Loop: Header=BB302_363 Depth=1
	s_or_b64 exec, exec, s[10:11]
	v_lshrrev_b32_e32 v8, 24, v19
	v_cmp_lt_i16_e64 s[0:1], s19, v8
	s_mov_b64 s[10:11], 0
                                        ; implicit-def: $sgpr31
	s_and_saveexec_b64 s[12:13], s[0:1]
	s_xor_b64 s[12:13], exec, s[12:13]
	s_cbranch_execnz .LBB302_625
; %bb.460:                              ;   in Loop: Header=BB302_363 Depth=1
	s_or_saveexec_b64 s[12:13], s[12:13]
	v_mov_b32_e32 v46, s31
	s_xor_b64 exec, exec, s[12:13]
	s_cbranch_execnz .LBB302_628
.LBB302_461:                            ;   in Loop: Header=BB302_363 Depth=1
	s_or_b64 exec, exec, s[12:13]
	s_and_saveexec_b64 s[12:13], s[10:11]
	s_cbranch_execz .LBB302_463
.LBB302_462:                            ;   in Loop: Header=BB302_363 Depth=1
	v_bfe_u32 v48, v19, 24, 3
	v_ffbh_u32_e32 v46, v48
	v_min_u32_e32 v49, 32, v46
	v_subrev_u32_e32 v46, 28, v49
	v_bfe_u32 v19, v19, 27, 4
	v_lshlrev_b64 v[46:47], v46, v[8:9]
	v_sub_u32_e32 v47, 29, v49
	v_cmp_eq_u32_e64 s[0:1], 0, v19
	v_and_b32_e32 v46, 7, v46
	v_lshlrev_b32_e32 v8, 8, v8
	v_cndmask_b32_e64 v19, v19, v47, s[0:1]
	v_lshl_add_u32 v19, v19, 10, v3
	v_cndmask_b32_e64 v46, v48, v46, s[0:1]
	v_and_or_b32 v8, v8, s21, v19
	v_lshl_or_b32 v8, v46, 7, v8
	v_cvt_f32_f16_e32 v46, v8
.LBB302_463:                            ;   in Loop: Header=BB302_363 Depth=1
	s_or_b64 exec, exec, s[12:13]
	s_waitcnt vmcnt(0)
	v_pk_mul_f32 v[22:23], v[16:17], v[22:23] op_sel_hi:[0,1]
	v_pk_mul_f32 v[20:21], v[16:17], v[20:21] op_sel_hi:[0,1]
	v_cvt_f16_f32_e32 v8, v23
	v_cvt_f16_f32_e32 v19, v22
	;; [unrolled: 1-line block ×4, first 2 shown]
	v_fma_mixlo_f16 v18, v16, v18, 0
	v_pack_b32_f16 v19, v19, v8
	v_pack_b32_f16 v20, v20, v21
	v_perm_b32 v8, v20, v19, s23
	v_perm_b32 v19, v20, v19, s28
	v_fma_mixlo_f16 v20, v16, v44, 0
	v_lshlrev_b32_e32 v20, 16, v20
	v_or_b32_sdwa v18, v20, v18 dst_sel:DWORD dst_unused:UNUSED_PAD src0_sel:DWORD src1_sel:WORD_0
	v_fma_mixlo_f16 v20, v16, v45, 0
	v_fma_mixlo_f16 v16, v16, v46, 0
	v_lshlrev_b32_e32 v16, 16, v16
	v_or_b32_sdwa v16, v16, v20 dst_sel:DWORD dst_unused:UNUSED_PAD src0_sel:DWORD src1_sel:WORD_0
	s_and_saveexec_b64 s[10:11], vcc
	s_cbranch_execz .LBB302_465
; %bb.464:                              ;   in Loop: Header=BB302_363 Depth=1
	v_lshrrev_b32_e32 v21, 16, v19
	v_cmp_gt_i32_e64 s[0:1], s18, v35
	v_lshrrev_b32_e32 v16, 16, v16
	s_nop 0
	v_cndmask_b32_e64 v21, 0, v21, s[0:1]
	v_cmp_gt_i32_e64 s[0:1], s29, v27
	s_nop 1
	v_cndmask_b32_e64 v19, 0, v19, s[0:1]
	v_perm_b32 v19, v21, v19, s30
	v_lshrrev_b32_e32 v21, 16, v8
	v_cmp_gt_i32_e64 s[0:1], s18, v34
	s_nop 1
	v_cndmask_b32_e64 v21, 0, v21, s[0:1]
	v_cmp_gt_i32_e64 s[0:1], s29, v33
	s_nop 1
	v_cndmask_b32_e64 v8, 0, v8, s[0:1]
	v_perm_b32 v8, v21, v8, s30
	v_lshrrev_b32_e32 v21, 16, v18
	v_cmp_gt_i32_e64 s[0:1], s18, v32
	s_nop 1
	v_cndmask_b32_e64 v21, 0, v21, s[0:1]
	v_cmp_gt_i32_e64 s[0:1], s29, v31
	s_nop 1
	v_cndmask_b32_e64 v18, 0, v18, s[0:1]
	v_cmp_gt_i32_e64 s[0:1], s18, v30
	v_perm_b32 v18, v21, v18, s30
	s_nop 0
	v_cndmask_b32_e64 v16, 0, v16, s[0:1]
	v_cmp_gt_i32_e64 s[0:1], s29, v29
	s_nop 1
	v_cndmask_b32_e64 v20, 0, v20, s[0:1]
	v_perm_b32 v16, v16, v20, s30
.LBB302_465:                            ;   in Loop: Header=BB302_363 Depth=1
	s_or_b64 exec, exec, s[10:11]
	;;#ASMSTART
	v_pk_mul_f16 v19, v36, v19;

	;;#ASMEND
	;;#ASMSTART
	v_pk_mul_f16 v8, v37, v8;

	;;#ASMEND
	;; [unrolled: 4-line block ×4, first 2 shown]
	s_mov_b64 s[0:1], 0
	;;#ASMSTART
	v_pk_add_f16 v8, v19, v8;

	;;#ASMEND
                                        ; implicit-def: $sgpr16
	s_nop 0
	;;#ASMSTART
	v_pk_add_f16 v8, v8, v18;

	;;#ASMEND
	s_nop 0
	;;#ASMSTART
	v_pk_add_f16 v8, v8, v16;

	;;#ASMEND
	s_nop 0
	v_lshrrev_b32_e32 v16, 16, v8
	v_and_b32_e32 v8, 0xffff, v8
	;;#ASMSTART
	v_cvt_f32_f16 v44, v8;
	;;#ASMEND
	;;#ASMSTART
	v_cvt_f32_f16 v45, v16;
	;;#ASMEND
	global_load_dwordx2 v[18:19], v[14:15], off offset:1536
	global_load_dword v16, v9, s[14:15]
	s_waitcnt vmcnt(1)
	v_cmp_gt_i16_sdwa s[10:11], v18, s19 src0_sel:BYTE_0 src1_sel:DWORD
	s_and_saveexec_b64 s[12:13], s[10:11]
	s_xor_b64 s[10:11], exec, s[12:13]
	s_cbranch_execnz .LBB302_629
; %bb.466:                              ;   in Loop: Header=BB302_363 Depth=1
	s_or_saveexec_b64 s[10:11], s[10:11]
	v_mov_b32_e32 v20, s16
	s_xor_b64 exec, exec, s[10:11]
	s_cbranch_execnz .LBB302_632
.LBB302_467:                            ;   in Loop: Header=BB302_363 Depth=1
	s_or_b64 exec, exec, s[10:11]
	s_and_saveexec_b64 s[10:11], s[0:1]
	s_cbranch_execz .LBB302_469
.LBB302_468:                            ;   in Loop: Header=BB302_363 Depth=1
	v_and_b32_e32 v8, 7, v18
	v_ffbh_u32_e32 v8, v8
	v_bfe_u32 v20, v18, 3, 4
	v_min_u32_e32 v8, 32, v8
	v_subrev_u32_e32 v21, 28, v8
	v_sub_u32_e32 v8, 29, v8
	v_cmp_eq_u32_e64 s[0:1], 0, v20
	s_nop 1
	v_cndmask_b32_e64 v8, v20, v8, s[0:1]
	v_cndmask_b32_e64 v20, 0, v21, s[0:1]
	v_lshlrev_b64 v[20:21], v20, v[18:19]
	v_lshlrev_b32_e32 v21, 8, v18
	v_lshl_add_u32 v8, v8, 10, v3
	v_lshlrev_b32_e32 v20, 7, v20
	v_and_or_b32 v8, v21, s21, v8
	v_and_or_b32 v8, v20, s22, v8
	v_cvt_f32_f16_e32 v20, v8
.LBB302_469:                            ;   in Loop: Header=BB302_363 Depth=1
	s_or_b64 exec, exec, s[10:11]
	v_lshrrev_b16_e32 v8, 8, v18
	v_cmp_lt_i16_e64 s[0:1], s19, v8
	s_mov_b64 s[10:11], 0
                                        ; implicit-def: $sgpr31
	s_and_saveexec_b64 s[12:13], s[0:1]
	s_xor_b64 s[12:13], exec, s[12:13]
	s_cbranch_execnz .LBB302_633
; %bb.470:                              ;   in Loop: Header=BB302_363 Depth=1
	s_or_saveexec_b64 s[12:13], s[12:13]
	v_mov_b32_e32 v22, s31
	s_xor_b64 exec, exec, s[12:13]
	s_cbranch_execnz .LBB302_636
.LBB302_471:                            ;   in Loop: Header=BB302_363 Depth=1
	s_or_b64 exec, exec, s[12:13]
	s_and_saveexec_b64 s[12:13], s[10:11]
	s_cbranch_execz .LBB302_473
.LBB302_472:                            ;   in Loop: Header=BB302_363 Depth=1
	v_and_b32_e32 v21, 7, v8
	v_ffbh_u32_e32 v22, v21
	v_min_u32_e32 v47, 32, v22
	v_subrev_u32_e32 v22, 28, v47
	v_bfe_u32 v46, v8, 3, 4
	v_lshlrev_b64 v[22:23], v22, v[8:9]
	v_sub_u32_e32 v23, 29, v47
	v_cmp_eq_u32_e64 s[0:1], 0, v46
	v_and_b32_e32 v22, 7, v22
	v_lshlrev_b32_e32 v8, 8, v8
	v_cndmask_b32_e64 v23, v46, v23, s[0:1]
	v_cndmask_b32_e64 v21, v21, v22, s[0:1]
	v_lshl_add_u32 v22, v23, 10, v3
	v_and_or_b32 v8, v8, s21, v22
	v_lshl_or_b32 v8, v21, 7, v8
	v_cvt_f32_f16_e32 v22, v8
.LBB302_473:                            ;   in Loop: Header=BB302_363 Depth=1
	s_or_b64 exec, exec, s[12:13]
	v_lshrrev_b32_e32 v8, 16, v18
	v_cmp_gt_i16_sdwa s[10:11], v8, s19 src0_sel:BYTE_0 src1_sel:DWORD
	s_mov_b64 s[0:1], 0
                                        ; implicit-def: $sgpr16
	s_and_saveexec_b64 s[12:13], s[10:11]
	s_xor_b64 s[10:11], exec, s[12:13]
	s_cbranch_execnz .LBB302_637
; %bb.474:                              ;   in Loop: Header=BB302_363 Depth=1
	s_or_saveexec_b64 s[10:11], s[10:11]
	v_mov_b32_e32 v21, s16
	s_xor_b64 exec, exec, s[10:11]
	s_cbranch_execnz .LBB302_640
.LBB302_475:                            ;   in Loop: Header=BB302_363 Depth=1
	s_or_b64 exec, exec, s[10:11]
	s_and_saveexec_b64 s[10:11], s[0:1]
	s_cbranch_execz .LBB302_477
.LBB302_476:                            ;   in Loop: Header=BB302_363 Depth=1
	v_bfe_u32 v21, v18, 16, 3
	v_ffbh_u32_e32 v46, v21
	v_min_u32_e32 v48, 32, v46
	v_subrev_u32_e32 v46, 28, v48
	v_bfe_u32 v23, v18, 19, 4
	v_lshlrev_b64 v[46:47], v46, v[8:9]
	v_sub_u32_e32 v47, 29, v48
	v_cmp_eq_u32_e64 s[0:1], 0, v23
	v_and_b32_e32 v46, 7, v46
	v_lshlrev_b32_e32 v8, 8, v8
	v_cndmask_b32_e64 v23, v23, v47, s[0:1]
	v_lshl_add_u32 v23, v23, 10, v3
	v_cndmask_b32_e64 v21, v21, v46, s[0:1]
	v_and_or_b32 v8, v8, s21, v23
	v_lshl_or_b32 v8, v21, 7, v8
	v_cvt_f32_f16_e32 v21, v8
.LBB302_477:                            ;   in Loop: Header=BB302_363 Depth=1
	s_or_b64 exec, exec, s[10:11]
	v_lshrrev_b32_e32 v8, 24, v18
	v_cmp_lt_i16_e64 s[0:1], s19, v8
	s_mov_b64 s[10:11], 0
                                        ; implicit-def: $sgpr31
	s_and_saveexec_b64 s[12:13], s[0:1]
	s_xor_b64 s[12:13], exec, s[12:13]
	s_cbranch_execnz .LBB302_641
; %bb.478:                              ;   in Loop: Header=BB302_363 Depth=1
	s_or_saveexec_b64 s[12:13], s[12:13]
	v_mov_b32_e32 v23, s31
	s_xor_b64 exec, exec, s[12:13]
	s_cbranch_execnz .LBB302_644
.LBB302_479:                            ;   in Loop: Header=BB302_363 Depth=1
	s_or_b64 exec, exec, s[12:13]
	s_and_saveexec_b64 s[12:13], s[10:11]
	s_cbranch_execz .LBB302_481
.LBB302_480:                            ;   in Loop: Header=BB302_363 Depth=1
	v_bfe_u32 v23, v18, 24, 3
	v_ffbh_u32_e32 v46, v23
	v_min_u32_e32 v48, 32, v46
	v_subrev_u32_e32 v46, 28, v48
	v_bfe_u32 v18, v18, 27, 4
	v_lshlrev_b64 v[46:47], v46, v[8:9]
	v_sub_u32_e32 v47, 29, v48
	v_cmp_eq_u32_e64 s[0:1], 0, v18
	v_and_b32_e32 v46, 7, v46
	v_lshlrev_b32_e32 v8, 8, v8
	v_cndmask_b32_e64 v18, v18, v47, s[0:1]
	v_lshl_add_u32 v18, v18, 10, v3
	v_cndmask_b32_e64 v23, v23, v46, s[0:1]
	v_and_or_b32 v8, v8, s21, v18
	v_lshl_or_b32 v8, v23, 7, v8
	v_cvt_f32_f16_e32 v23, v8
.LBB302_481:                            ;   in Loop: Header=BB302_363 Depth=1
	s_or_b64 exec, exec, s[12:13]
	v_cmp_gt_i16_sdwa s[10:11], v19, s19 src0_sel:BYTE_0 src1_sel:DWORD
	s_mov_b64 s[0:1], 0
                                        ; implicit-def: $sgpr16
	s_and_saveexec_b64 s[12:13], s[10:11]
	s_xor_b64 s[10:11], exec, s[12:13]
	s_cbranch_execnz .LBB302_645
; %bb.482:                              ;   in Loop: Header=BB302_363 Depth=1
	s_or_saveexec_b64 s[10:11], s[10:11]
	v_mov_b32_e32 v18, s16
	s_xor_b64 exec, exec, s[10:11]
	s_cbranch_execnz .LBB302_648
.LBB302_483:                            ;   in Loop: Header=BB302_363 Depth=1
	s_or_b64 exec, exec, s[10:11]
	v_mov_b32_e32 v8, v19
	s_and_saveexec_b64 s[10:11], s[0:1]
	s_cbranch_execz .LBB302_485
.LBB302_484:                            ;   in Loop: Header=BB302_363 Depth=1
	v_and_b32_e32 v18, 7, v19
	v_ffbh_u32_e32 v18, v18
	v_bfe_u32 v46, v19, 3, 4
	v_min_u32_e32 v18, 32, v18
	v_subrev_u32_e32 v47, 28, v18
	v_sub_u32_e32 v18, 29, v18
	v_cmp_eq_u32_e64 s[0:1], 0, v46
	s_nop 1
	v_cndmask_b32_e64 v18, v46, v18, s[0:1]
	v_cndmask_b32_e64 v46, 0, v47, s[0:1]
	v_lshlrev_b64 v[46:47], v46, v[8:9]
	v_lshlrev_b32_e32 v47, 8, v19
	v_lshl_add_u32 v18, v18, 10, v3
	v_lshlrev_b32_e32 v46, 7, v46
	v_and_or_b32 v18, v47, s21, v18
	v_and_or_b32 v18, v46, s22, v18
	v_cvt_f32_f16_e32 v18, v18
.LBB302_485:                            ;   in Loop: Header=BB302_363 Depth=1
	s_or_b64 exec, exec, s[10:11]
	v_lshrrev_b16_e32 v8, 8, v8
	v_cmp_lt_i16_e64 s[0:1], s19, v8
	s_mov_b64 s[10:11], 0
                                        ; implicit-def: $sgpr31
	s_and_saveexec_b64 s[12:13], s[0:1]
	s_xor_b64 s[12:13], exec, s[12:13]
	s_cbranch_execnz .LBB302_649
; %bb.486:                              ;   in Loop: Header=BB302_363 Depth=1
	s_or_saveexec_b64 s[12:13], s[12:13]
	v_mov_b32_e32 v46, s31
	s_xor_b64 exec, exec, s[12:13]
	s_cbranch_execnz .LBB302_652
.LBB302_487:                            ;   in Loop: Header=BB302_363 Depth=1
	s_or_b64 exec, exec, s[12:13]
	s_and_saveexec_b64 s[12:13], s[10:11]
	s_cbranch_execz .LBB302_489
.LBB302_488:                            ;   in Loop: Header=BB302_363 Depth=1
	v_and_b32_e32 v48, 7, v8
	v_ffbh_u32_e32 v46, v48
	v_min_u32_e32 v50, 32, v46
	v_subrev_u32_e32 v46, 28, v50
	v_bfe_u32 v49, v8, 3, 4
	v_lshlrev_b64 v[46:47], v46, v[8:9]
	v_sub_u32_e32 v47, 29, v50
	v_cmp_eq_u32_e64 s[0:1], 0, v49
	v_and_b32_e32 v46, 7, v46
	v_lshlrev_b32_e32 v8, 8, v8
	v_cndmask_b32_e64 v47, v49, v47, s[0:1]
	v_lshl_add_u32 v47, v47, 10, v3
	v_cndmask_b32_e64 v46, v48, v46, s[0:1]
	v_and_or_b32 v8, v8, s21, v47
	v_lshl_or_b32 v8, v46, 7, v8
	v_cvt_f32_f16_e32 v46, v8
.LBB302_489:                            ;   in Loop: Header=BB302_363 Depth=1
	s_or_b64 exec, exec, s[12:13]
	v_lshrrev_b32_e32 v8, 16, v19
	v_cmp_gt_i16_sdwa s[10:11], v8, s19 src0_sel:BYTE_0 src1_sel:DWORD
	s_mov_b64 s[0:1], 0
                                        ; implicit-def: $sgpr16
	s_and_saveexec_b64 s[12:13], s[10:11]
	s_xor_b64 s[10:11], exec, s[12:13]
	s_cbranch_execnz .LBB302_653
; %bb.490:                              ;   in Loop: Header=BB302_363 Depth=1
	s_or_saveexec_b64 s[10:11], s[10:11]
	v_mov_b32_e32 v47, s16
	s_xor_b64 exec, exec, s[10:11]
	s_cbranch_execnz .LBB302_656
.LBB302_491:                            ;   in Loop: Header=BB302_363 Depth=1
	s_or_b64 exec, exec, s[10:11]
	s_and_saveexec_b64 s[10:11], s[0:1]
	s_cbranch_execz .LBB302_493
.LBB302_492:                            ;   in Loop: Header=BB302_363 Depth=1
	v_bfe_u32 v47, v19, 16, 3
	v_ffbh_u32_e32 v48, v47
	v_min_u32_e32 v51, 32, v48
	v_subrev_u32_e32 v48, 28, v51
	v_bfe_u32 v50, v19, 19, 4
	v_lshlrev_b64 v[48:49], v48, v[8:9]
	v_sub_u32_e32 v49, 29, v51
	v_cmp_eq_u32_e64 s[0:1], 0, v50
	v_and_b32_e32 v48, 7, v48
	v_lshlrev_b32_e32 v8, 8, v8
	v_cndmask_b32_e64 v49, v50, v49, s[0:1]
	v_cndmask_b32_e64 v47, v47, v48, s[0:1]
	v_lshl_add_u32 v48, v49, 10, v3
	v_and_or_b32 v8, v8, s21, v48
	v_lshl_or_b32 v8, v47, 7, v8
	v_cvt_f32_f16_e32 v47, v8
.LBB302_493:                            ;   in Loop: Header=BB302_363 Depth=1
	s_or_b64 exec, exec, s[10:11]
	v_lshrrev_b32_e32 v8, 24, v19
	v_cmp_lt_i16_e64 s[0:1], s19, v8
	s_mov_b64 s[10:11], 0
                                        ; implicit-def: $sgpr31
	s_and_saveexec_b64 s[12:13], s[0:1]
	s_xor_b64 s[12:13], exec, s[12:13]
	s_cbranch_execnz .LBB302_657
; %bb.494:                              ;   in Loop: Header=BB302_363 Depth=1
	s_or_saveexec_b64 s[12:13], s[12:13]
	v_mov_b32_e32 v48, s31
	s_xor_b64 exec, exec, s[12:13]
	s_cbranch_execnz .LBB302_660
.LBB302_495:                            ;   in Loop: Header=BB302_363 Depth=1
	s_or_b64 exec, exec, s[12:13]
	s_and_saveexec_b64 s[12:13], s[10:11]
	s_cbranch_execz .LBB302_497
.LBB302_496:                            ;   in Loop: Header=BB302_363 Depth=1
	v_bfe_u32 v50, v19, 24, 3
	v_ffbh_u32_e32 v48, v50
	v_min_u32_e32 v51, 32, v48
	v_subrev_u32_e32 v48, 28, v51
	v_bfe_u32 v19, v19, 27, 4
	v_lshlrev_b64 v[48:49], v48, v[8:9]
	v_sub_u32_e32 v49, 29, v51
	v_cmp_eq_u32_e64 s[0:1], 0, v19
	v_and_b32_e32 v48, 7, v48
	v_lshlrev_b32_e32 v8, 8, v8
	v_cndmask_b32_e64 v19, v19, v49, s[0:1]
	v_lshl_add_u32 v19, v19, 10, v3
	v_cndmask_b32_e64 v48, v50, v48, s[0:1]
	v_and_or_b32 v8, v8, s21, v19
	v_lshl_or_b32 v8, v48, 7, v8
	v_cvt_f32_f16_e32 v48, v8
.LBB302_497:                            ;   in Loop: Header=BB302_363 Depth=1
	s_or_b64 exec, exec, s[12:13]
	s_waitcnt vmcnt(0)
	v_pk_mul_f32 v[22:23], v[16:17], v[22:23] op_sel_hi:[0,1]
	v_pk_mul_f32 v[20:21], v[16:17], v[20:21] op_sel_hi:[0,1]
	v_cvt_f16_f32_e32 v8, v23
	v_cvt_f16_f32_e32 v19, v22
	;; [unrolled: 1-line block ×4, first 2 shown]
	v_fma_mixlo_f16 v18, v16, v18, 0
	v_pack_b32_f16 v19, v19, v8
	v_pack_b32_f16 v20, v20, v21
	v_perm_b32 v8, v20, v19, s23
	v_perm_b32 v19, v20, v19, s28
	v_fma_mixlo_f16 v20, v16, v46, 0
	v_lshlrev_b32_e32 v20, 16, v20
	v_or_b32_sdwa v18, v20, v18 dst_sel:DWORD dst_unused:UNUSED_PAD src0_sel:DWORD src1_sel:WORD_0
	v_fma_mixlo_f16 v20, v16, v47, 0
	v_fma_mixlo_f16 v16, v16, v48, 0
	v_lshlrev_b32_e32 v16, 16, v16
	v_or_b32_sdwa v16, v16, v20 dst_sel:DWORD dst_unused:UNUSED_PAD src0_sel:DWORD src1_sel:WORD_0
	s_and_saveexec_b64 s[10:11], vcc
	s_cbranch_execz .LBB302_499
; %bb.498:                              ;   in Loop: Header=BB302_363 Depth=1
	v_lshrrev_b32_e32 v21, 16, v19
	v_cmp_gt_i32_e64 s[0:1], s18, v35
	v_lshrrev_b32_e32 v16, 16, v16
	s_nop 0
	v_cndmask_b32_e64 v21, 0, v21, s[0:1]
	v_cmp_gt_i32_e64 s[0:1], s29, v27
	s_nop 1
	v_cndmask_b32_e64 v19, 0, v19, s[0:1]
	v_perm_b32 v19, v21, v19, s30
	v_lshrrev_b32_e32 v21, 16, v8
	v_cmp_gt_i32_e64 s[0:1], s18, v34
	s_nop 1
	v_cndmask_b32_e64 v21, 0, v21, s[0:1]
	v_cmp_gt_i32_e64 s[0:1], s29, v33
	s_nop 1
	v_cndmask_b32_e64 v8, 0, v8, s[0:1]
	v_perm_b32 v8, v21, v8, s30
	v_lshrrev_b32_e32 v21, 16, v18
	v_cmp_gt_i32_e64 s[0:1], s18, v32
	s_nop 1
	v_cndmask_b32_e64 v21, 0, v21, s[0:1]
	v_cmp_gt_i32_e64 s[0:1], s29, v31
	s_nop 1
	v_cndmask_b32_e64 v18, 0, v18, s[0:1]
	v_cmp_gt_i32_e64 s[0:1], s18, v30
	v_perm_b32 v18, v21, v18, s30
	s_nop 0
	v_cndmask_b32_e64 v16, 0, v16, s[0:1]
	v_cmp_gt_i32_e64 s[0:1], s29, v29
	s_nop 1
	v_cndmask_b32_e64 v20, 0, v20, s[0:1]
	v_perm_b32 v16, v16, v20, s30
.LBB302_499:                            ;   in Loop: Header=BB302_363 Depth=1
	s_or_b64 exec, exec, s[10:11]
	;;#ASMSTART
	v_pk_mul_f16 v19, v36, v19;

	;;#ASMEND
	;;#ASMSTART
	v_pk_mul_f16 v8, v37, v8;

	;;#ASMEND
	;;#ASMSTART
	v_pk_mul_f16 v18, v38, v18;

	;;#ASMEND
	;;#ASMSTART
	v_pk_mul_f16 v16, v39, v16;

	;;#ASMEND
	s_mov_b64 s[0:1], 0
	;;#ASMSTART
	v_pk_add_f16 v8, v19, v8;

	;;#ASMEND
                                        ; implicit-def: $sgpr16
	s_nop 0
	;;#ASMSTART
	v_pk_add_f16 v8, v8, v18;

	;;#ASMEND
	s_nop 0
	;;#ASMSTART
	v_pk_add_f16 v8, v8, v16;

	;;#ASMEND
	s_nop 0
	v_lshrrev_b32_e32 v16, 16, v8
	v_and_b32_e32 v8, 0xffff, v8
	;;#ASMSTART
	v_cvt_f32_f16 v22, v8;
	;;#ASMEND
	;;#ASMSTART
	v_cvt_f32_f16 v23, v16;
	;;#ASMEND
	global_load_dwordx2 v[18:19], v[14:15], off offset:2048
	global_load_dword v16, v9, s[14:15]
	s_waitcnt vmcnt(1)
	v_cmp_gt_i16_sdwa s[10:11], v18, s19 src0_sel:BYTE_0 src1_sel:DWORD
	s_and_saveexec_b64 s[12:13], s[10:11]
	s_xor_b64 s[10:11], exec, s[12:13]
	s_cbranch_execnz .LBB302_661
; %bb.500:                              ;   in Loop: Header=BB302_363 Depth=1
	s_or_saveexec_b64 s[10:11], s[10:11]
	v_mov_b32_e32 v14, s16
	s_xor_b64 exec, exec, s[10:11]
	s_cbranch_execnz .LBB302_664
.LBB302_501:                            ;   in Loop: Header=BB302_363 Depth=1
	s_or_b64 exec, exec, s[10:11]
	s_and_saveexec_b64 s[10:11], s[0:1]
	s_cbranch_execz .LBB302_503
.LBB302_502:                            ;   in Loop: Header=BB302_363 Depth=1
	v_and_b32_e32 v8, 7, v18
	v_ffbh_u32_e32 v8, v8
	v_bfe_u32 v14, v18, 3, 4
	v_min_u32_e32 v8, 32, v8
	v_subrev_u32_e32 v15, 28, v8
	v_sub_u32_e32 v8, 29, v8
	v_cmp_eq_u32_e64 s[0:1], 0, v14
	s_nop 1
	v_cndmask_b32_e64 v8, v14, v8, s[0:1]
	v_cndmask_b32_e64 v14, 0, v15, s[0:1]
	v_lshlrev_b64 v[14:15], v14, v[18:19]
	v_lshlrev_b32_e32 v15, 8, v18
	v_lshl_add_u32 v8, v8, 10, v3
	v_lshlrev_b32_e32 v14, 7, v14
	v_and_or_b32 v8, v15, s21, v8
	v_and_or_b32 v8, v14, s22, v8
	v_cvt_f32_f16_e32 v14, v8
.LBB302_503:                            ;   in Loop: Header=BB302_363 Depth=1
	s_or_b64 exec, exec, s[10:11]
	v_lshrrev_b16_e32 v8, 8, v18
	v_cmp_lt_i16_e64 s[0:1], s19, v8
	s_mov_b64 s[10:11], 0
                                        ; implicit-def: $sgpr31
	s_and_saveexec_b64 s[12:13], s[0:1]
	s_xor_b64 s[12:13], exec, s[12:13]
	s_cbranch_execnz .LBB302_665
; %bb.504:                              ;   in Loop: Header=BB302_363 Depth=1
	s_or_saveexec_b64 s[12:13], s[12:13]
	v_mov_b32_e32 v20, s31
	s_xor_b64 exec, exec, s[12:13]
	s_cbranch_execnz .LBB302_668
.LBB302_505:                            ;   in Loop: Header=BB302_363 Depth=1
	s_or_b64 exec, exec, s[12:13]
	s_and_saveexec_b64 s[12:13], s[10:11]
	s_cbranch_execz .LBB302_507
.LBB302_506:                            ;   in Loop: Header=BB302_363 Depth=1
	v_and_b32_e32 v15, 7, v8
	v_ffbh_u32_e32 v20, v15
	v_min_u32_e32 v47, 32, v20
	v_subrev_u32_e32 v20, 28, v47
	v_bfe_u32 v46, v8, 3, 4
	v_lshlrev_b64 v[20:21], v20, v[8:9]
	v_sub_u32_e32 v21, 29, v47
	v_cmp_eq_u32_e64 s[0:1], 0, v46
	v_and_b32_e32 v20, 7, v20
	v_lshlrev_b32_e32 v8, 8, v8
	v_cndmask_b32_e64 v21, v46, v21, s[0:1]
	v_cndmask_b32_e64 v15, v15, v20, s[0:1]
	v_lshl_add_u32 v20, v21, 10, v3
	v_and_or_b32 v8, v8, s21, v20
	v_lshl_or_b32 v8, v15, 7, v8
	v_cvt_f32_f16_e32 v20, v8
.LBB302_507:                            ;   in Loop: Header=BB302_363 Depth=1
	s_or_b64 exec, exec, s[12:13]
	v_lshrrev_b32_e32 v8, 16, v18
	v_cmp_gt_i16_sdwa s[10:11], v8, s19 src0_sel:BYTE_0 src1_sel:DWORD
	s_mov_b64 s[0:1], 0
                                        ; implicit-def: $sgpr16
	s_and_saveexec_b64 s[12:13], s[10:11]
	s_xor_b64 s[10:11], exec, s[12:13]
	s_cbranch_execnz .LBB302_669
; %bb.508:                              ;   in Loop: Header=BB302_363 Depth=1
	s_or_saveexec_b64 s[10:11], s[10:11]
	v_mov_b32_e32 v15, s16
	s_xor_b64 exec, exec, s[10:11]
	s_cbranch_execnz .LBB302_672
.LBB302_509:                            ;   in Loop: Header=BB302_363 Depth=1
	s_or_b64 exec, exec, s[10:11]
	s_and_saveexec_b64 s[10:11], s[0:1]
	s_cbranch_execz .LBB302_511
.LBB302_510:                            ;   in Loop: Header=BB302_363 Depth=1
	v_bfe_u32 v15, v18, 16, 3
	v_ffbh_u32_e32 v46, v15
	v_min_u32_e32 v48, 32, v46
	v_subrev_u32_e32 v46, 28, v48
	v_bfe_u32 v21, v18, 19, 4
	v_lshlrev_b64 v[46:47], v46, v[8:9]
	v_sub_u32_e32 v47, 29, v48
	v_cmp_eq_u32_e64 s[0:1], 0, v21
	v_and_b32_e32 v46, 7, v46
	v_lshlrev_b32_e32 v8, 8, v8
	v_cndmask_b32_e64 v21, v21, v47, s[0:1]
	v_lshl_add_u32 v21, v21, 10, v3
	v_cndmask_b32_e64 v15, v15, v46, s[0:1]
	v_and_or_b32 v8, v8, s21, v21
	v_lshl_or_b32 v8, v15, 7, v8
	v_cvt_f32_f16_e32 v15, v8
.LBB302_511:                            ;   in Loop: Header=BB302_363 Depth=1
	s_or_b64 exec, exec, s[10:11]
	v_lshrrev_b32_e32 v8, 24, v18
	v_cmp_lt_i16_e64 s[0:1], s19, v8
	s_mov_b64 s[10:11], 0
                                        ; implicit-def: $sgpr31
	s_and_saveexec_b64 s[12:13], s[0:1]
	s_xor_b64 s[12:13], exec, s[12:13]
	s_cbranch_execnz .LBB302_673
; %bb.512:                              ;   in Loop: Header=BB302_363 Depth=1
	s_or_saveexec_b64 s[12:13], s[12:13]
	v_mov_b32_e32 v21, s31
	s_xor_b64 exec, exec, s[12:13]
	s_cbranch_execnz .LBB302_676
.LBB302_513:                            ;   in Loop: Header=BB302_363 Depth=1
	s_or_b64 exec, exec, s[12:13]
	s_and_saveexec_b64 s[12:13], s[10:11]
	s_cbranch_execz .LBB302_515
.LBB302_514:                            ;   in Loop: Header=BB302_363 Depth=1
	v_bfe_u32 v21, v18, 24, 3
	v_ffbh_u32_e32 v46, v21
	v_min_u32_e32 v48, 32, v46
	v_subrev_u32_e32 v46, 28, v48
	v_bfe_u32 v18, v18, 27, 4
	v_lshlrev_b64 v[46:47], v46, v[8:9]
	v_sub_u32_e32 v47, 29, v48
	v_cmp_eq_u32_e64 s[0:1], 0, v18
	v_and_b32_e32 v46, 7, v46
	v_lshlrev_b32_e32 v8, 8, v8
	v_cndmask_b32_e64 v18, v18, v47, s[0:1]
	v_lshl_add_u32 v18, v18, 10, v3
	v_cndmask_b32_e64 v21, v21, v46, s[0:1]
	v_and_or_b32 v8, v8, s21, v18
	v_lshl_or_b32 v8, v21, 7, v8
	v_cvt_f32_f16_e32 v21, v8
.LBB302_515:                            ;   in Loop: Header=BB302_363 Depth=1
	s_or_b64 exec, exec, s[12:13]
	v_cmp_gt_i16_sdwa s[10:11], v19, s19 src0_sel:BYTE_0 src1_sel:DWORD
	s_mov_b64 s[0:1], 0
                                        ; implicit-def: $sgpr16
	s_and_saveexec_b64 s[12:13], s[10:11]
	s_xor_b64 s[10:11], exec, s[12:13]
	s_cbranch_execnz .LBB302_677
; %bb.516:                              ;   in Loop: Header=BB302_363 Depth=1
	s_or_saveexec_b64 s[10:11], s[10:11]
	v_mov_b32_e32 v18, s16
	s_xor_b64 exec, exec, s[10:11]
	s_cbranch_execnz .LBB302_680
.LBB302_517:                            ;   in Loop: Header=BB302_363 Depth=1
	s_or_b64 exec, exec, s[10:11]
	v_mov_b32_e32 v8, v19
	s_and_saveexec_b64 s[10:11], s[0:1]
	s_cbranch_execz .LBB302_519
.LBB302_518:                            ;   in Loop: Header=BB302_363 Depth=1
	v_and_b32_e32 v18, 7, v19
	v_ffbh_u32_e32 v18, v18
	v_bfe_u32 v46, v19, 3, 4
	v_min_u32_e32 v18, 32, v18
	v_subrev_u32_e32 v47, 28, v18
	v_sub_u32_e32 v18, 29, v18
	v_cmp_eq_u32_e64 s[0:1], 0, v46
	s_nop 1
	v_cndmask_b32_e64 v18, v46, v18, s[0:1]
	v_cndmask_b32_e64 v46, 0, v47, s[0:1]
	v_lshlrev_b64 v[46:47], v46, v[8:9]
	v_lshlrev_b32_e32 v47, 8, v19
	v_lshl_add_u32 v18, v18, 10, v3
	v_lshlrev_b32_e32 v46, 7, v46
	v_and_or_b32 v18, v47, s21, v18
	v_and_or_b32 v18, v46, s22, v18
	v_cvt_f32_f16_e32 v18, v18
.LBB302_519:                            ;   in Loop: Header=BB302_363 Depth=1
	s_or_b64 exec, exec, s[10:11]
	v_lshrrev_b16_e32 v8, 8, v8
	v_cmp_lt_i16_e64 s[0:1], s19, v8
	s_mov_b64 s[10:11], 0
                                        ; implicit-def: $sgpr31
	s_and_saveexec_b64 s[12:13], s[0:1]
	s_xor_b64 s[12:13], exec, s[12:13]
	s_cbranch_execnz .LBB302_681
; %bb.520:                              ;   in Loop: Header=BB302_363 Depth=1
	s_or_saveexec_b64 s[12:13], s[12:13]
	v_mov_b32_e32 v46, s31
	s_xor_b64 exec, exec, s[12:13]
	s_cbranch_execnz .LBB302_684
.LBB302_521:                            ;   in Loop: Header=BB302_363 Depth=1
	s_or_b64 exec, exec, s[12:13]
	s_and_saveexec_b64 s[12:13], s[10:11]
	s_cbranch_execz .LBB302_523
.LBB302_522:                            ;   in Loop: Header=BB302_363 Depth=1
	v_and_b32_e32 v48, 7, v8
	v_ffbh_u32_e32 v46, v48
	v_min_u32_e32 v50, 32, v46
	v_subrev_u32_e32 v46, 28, v50
	v_bfe_u32 v49, v8, 3, 4
	v_lshlrev_b64 v[46:47], v46, v[8:9]
	v_sub_u32_e32 v47, 29, v50
	v_cmp_eq_u32_e64 s[0:1], 0, v49
	v_and_b32_e32 v46, 7, v46
	v_lshlrev_b32_e32 v8, 8, v8
	v_cndmask_b32_e64 v47, v49, v47, s[0:1]
	v_lshl_add_u32 v47, v47, 10, v3
	v_cndmask_b32_e64 v46, v48, v46, s[0:1]
	v_and_or_b32 v8, v8, s21, v47
	v_lshl_or_b32 v8, v46, 7, v8
	v_cvt_f32_f16_e32 v46, v8
.LBB302_523:                            ;   in Loop: Header=BB302_363 Depth=1
	s_or_b64 exec, exec, s[12:13]
	v_lshrrev_b32_e32 v8, 16, v19
	v_cmp_gt_i16_sdwa s[10:11], v8, s19 src0_sel:BYTE_0 src1_sel:DWORD
	s_mov_b64 s[0:1], 0
                                        ; implicit-def: $sgpr16
	s_and_saveexec_b64 s[12:13], s[10:11]
	s_xor_b64 s[10:11], exec, s[12:13]
	s_cbranch_execnz .LBB302_685
; %bb.524:                              ;   in Loop: Header=BB302_363 Depth=1
	s_or_saveexec_b64 s[10:11], s[10:11]
	v_mov_b32_e32 v47, s16
	s_xor_b64 exec, exec, s[10:11]
	s_cbranch_execnz .LBB302_688
.LBB302_525:                            ;   in Loop: Header=BB302_363 Depth=1
	s_or_b64 exec, exec, s[10:11]
	s_and_saveexec_b64 s[10:11], s[0:1]
	s_cbranch_execz .LBB302_527
.LBB302_526:                            ;   in Loop: Header=BB302_363 Depth=1
	v_bfe_u32 v47, v19, 16, 3
	v_ffbh_u32_e32 v48, v47
	v_min_u32_e32 v51, 32, v48
	v_subrev_u32_e32 v48, 28, v51
	v_bfe_u32 v50, v19, 19, 4
	v_lshlrev_b64 v[48:49], v48, v[8:9]
	v_sub_u32_e32 v49, 29, v51
	v_cmp_eq_u32_e64 s[0:1], 0, v50
	v_and_b32_e32 v48, 7, v48
	v_lshlrev_b32_e32 v8, 8, v8
	v_cndmask_b32_e64 v49, v50, v49, s[0:1]
	v_cndmask_b32_e64 v47, v47, v48, s[0:1]
	v_lshl_add_u32 v48, v49, 10, v3
	v_and_or_b32 v8, v8, s21, v48
	v_lshl_or_b32 v8, v47, 7, v8
	v_cvt_f32_f16_e32 v47, v8
.LBB302_527:                            ;   in Loop: Header=BB302_363 Depth=1
	s_or_b64 exec, exec, s[10:11]
	v_lshrrev_b32_e32 v8, 24, v19
	v_cmp_lt_i16_e64 s[0:1], s19, v8
	s_mov_b64 s[10:11], 0
                                        ; implicit-def: $sgpr31
	s_and_saveexec_b64 s[12:13], s[0:1]
	s_xor_b64 s[12:13], exec, s[12:13]
	s_cbranch_execnz .LBB302_689
; %bb.528:                              ;   in Loop: Header=BB302_363 Depth=1
	s_or_saveexec_b64 s[12:13], s[12:13]
	v_mov_b32_e32 v48, s31
	s_xor_b64 exec, exec, s[12:13]
	s_cbranch_execnz .LBB302_692
.LBB302_529:                            ;   in Loop: Header=BB302_363 Depth=1
	s_or_b64 exec, exec, s[12:13]
	s_and_saveexec_b64 s[12:13], s[10:11]
	s_cbranch_execz .LBB302_531
.LBB302_530:                            ;   in Loop: Header=BB302_363 Depth=1
	v_bfe_u32 v50, v19, 24, 3
	v_ffbh_u32_e32 v48, v50
	v_min_u32_e32 v51, 32, v48
	v_subrev_u32_e32 v48, 28, v51
	v_bfe_u32 v19, v19, 27, 4
	v_lshlrev_b64 v[48:49], v48, v[8:9]
	v_sub_u32_e32 v49, 29, v51
	v_cmp_eq_u32_e64 s[0:1], 0, v19
	v_and_b32_e32 v48, 7, v48
	v_lshlrev_b32_e32 v8, 8, v8
	v_cndmask_b32_e64 v19, v19, v49, s[0:1]
	v_lshl_add_u32 v19, v19, 10, v3
	v_cndmask_b32_e64 v48, v50, v48, s[0:1]
	v_and_or_b32 v8, v8, s21, v19
	v_lshl_or_b32 v8, v48, 7, v8
	v_cvt_f32_f16_e32 v48, v8
.LBB302_531:                            ;   in Loop: Header=BB302_363 Depth=1
	s_or_b64 exec, exec, s[12:13]
	s_waitcnt vmcnt(0)
	v_pk_mul_f32 v[14:15], v[16:17], v[14:15] op_sel_hi:[0,1]
	v_cvt_f16_f32_e32 v15, v15
	v_cvt_f16_f32_e32 v14, v14
	v_pk_mul_f32 v[20:21], v[16:17], v[20:21] op_sel_hi:[0,1]
	v_cvt_f16_f32_e32 v8, v21
	v_cvt_f16_f32_e32 v19, v20
	v_pack_b32_f16 v14, v14, v15
	v_fma_mixlo_f16 v15, v16, v46, 0
	v_lshlrev_b32_e32 v15, 16, v15
	v_fma_mixlo_f16 v18, v16, v18, 0
	v_or_b32_sdwa v15, v15, v18 dst_sel:DWORD dst_unused:UNUSED_PAD src0_sel:DWORD src1_sel:WORD_0
	v_fma_mixlo_f16 v18, v16, v47, 0
	v_fma_mixlo_f16 v16, v16, v48, 0
	v_pack_b32_f16 v19, v19, v8
	v_lshlrev_b32_e32 v16, 16, v16
	v_perm_b32 v8, v14, v19, s23
	v_perm_b32 v14, v14, v19, s28
	v_or_b32_sdwa v16, v16, v18 dst_sel:DWORD dst_unused:UNUSED_PAD src0_sel:DWORD src1_sel:WORD_0
	s_and_saveexec_b64 s[0:1], vcc
	s_cbranch_execz .LBB302_362
; %bb.532:                              ;   in Loop: Header=BB302_363 Depth=1
	v_lshrrev_b32_e32 v19, 16, v14
	v_cmp_gt_i32_e32 vcc, s18, v35
	v_lshrrev_b32_e32 v16, 16, v16
	s_nop 0
	v_cndmask_b32_e32 v19, 0, v19, vcc
	v_cmp_gt_i32_e32 vcc, s29, v27
	s_nop 1
	v_cndmask_b32_e32 v14, 0, v14, vcc
	v_perm_b32 v14, v19, v14, s30
	v_lshrrev_b32_e32 v19, 16, v8
	v_cmp_gt_i32_e32 vcc, s18, v34
	s_nop 1
	v_cndmask_b32_e32 v19, 0, v19, vcc
	v_cmp_gt_i32_e32 vcc, s29, v33
	s_nop 1
	v_cndmask_b32_e32 v8, 0, v8, vcc
	v_perm_b32 v8, v19, v8, s30
	v_lshrrev_b32_e32 v19, 16, v15
	v_cmp_gt_i32_e32 vcc, s18, v32
	s_nop 1
	v_cndmask_b32_e32 v19, 0, v19, vcc
	v_cmp_gt_i32_e32 vcc, s29, v31
	s_nop 1
	v_cndmask_b32_e32 v15, 0, v15, vcc
	v_cmp_gt_i32_e32 vcc, s18, v30
	v_perm_b32 v15, v19, v15, s30
	s_nop 0
	v_cndmask_b32_e32 v16, 0, v16, vcc
	v_cmp_gt_i32_e32 vcc, s29, v29
	s_nop 1
	v_cndmask_b32_e32 v18, 0, v18, vcc
	v_perm_b32 v16, v16, v18, s30
	s_branch .LBB302_362
.LBB302_533:                            ;   in Loop: Header=BB302_363 Depth=1
	v_cmp_eq_u16_sdwa s[34:35], v18, s20 src0_sel:BYTE_0 src1_sel:DWORD
	s_mov_b64 s[0:1], -1
                                        ; implicit-def: $sgpr16
	s_and_saveexec_b64 s[12:13], s[34:35]
; %bb.534:                              ;   in Loop: Header=BB302_363 Depth=1
	s_mov_b32 s16, 0x7fc02000
	s_xor_b64 s[0:1], exec, -1
; %bb.535:                              ;   in Loop: Header=BB302_363 Depth=1
	s_or_b64 exec, exec, s[12:13]
	s_and_b64 s[0:1], s[0:1], exec
	s_or_saveexec_b64 s[10:11], s[10:11]
	v_mov_b32_e32 v20, s16
	s_xor_b64 exec, exec, s[10:11]
	s_cbranch_execz .LBB302_365
.LBB302_536:                            ;   in Loop: Header=BB302_363 Depth=1
	v_cmp_ne_u16_sdwa s[12:13], v18, v9 src0_sel:BYTE_0 src1_sel:DWORD
	s_andn2_b64 s[0:1], s[0:1], exec
	s_and_b64 s[12:13], s[12:13], exec
	v_mov_b32_e32 v20, 0
	s_or_b64 s[0:1], s[0:1], s[12:13]
	s_or_b64 exec, exec, s[10:11]
	s_and_saveexec_b64 s[10:11], s[0:1]
	s_cbranch_execnz .LBB302_366
	s_branch .LBB302_367
.LBB302_537:                            ;   in Loop: Header=BB302_363 Depth=1
	v_cmp_eq_u16_e32 vcc, s20, v8
	s_mov_b64 s[0:1], -1
                                        ; implicit-def: $sgpr16
	s_and_saveexec_b64 s[12:13], vcc
; %bb.538:                              ;   in Loop: Header=BB302_363 Depth=1
	s_mov_b32 s16, 0x7fc02000
	s_xor_b64 s[0:1], exec, -1
; %bb.539:                              ;   in Loop: Header=BB302_363 Depth=1
	s_or_b64 exec, exec, s[12:13]
	s_and_b64 s[0:1], s[0:1], exec
	s_or_saveexec_b64 s[10:11], s[10:11]
	v_mov_b32_e32 v22, s16
	s_xor_b64 exec, exec, s[10:11]
	s_cbranch_execz .LBB302_369
.LBB302_540:                            ;   in Loop: Header=BB302_363 Depth=1
	v_cmp_ne_u16_e32 vcc, 0, v8
	s_andn2_b64 s[0:1], s[0:1], exec
	s_and_b64 s[12:13], vcc, exec
	v_mov_b32_e32 v22, 0
	s_or_b64 s[0:1], s[0:1], s[12:13]
	s_or_b64 exec, exec, s[10:11]
	s_and_saveexec_b64 s[10:11], s[0:1]
	s_cbranch_execnz .LBB302_370
	s_branch .LBB302_371
.LBB302_541:                            ;   in Loop: Header=BB302_363 Depth=1
	v_cmp_eq_u16_sdwa s[34:35], v8, s20 src0_sel:BYTE_0 src1_sel:DWORD
	s_mov_b64 s[0:1], -1
                                        ; implicit-def: $sgpr16
	s_and_saveexec_b64 s[12:13], s[34:35]
; %bb.542:                              ;   in Loop: Header=BB302_363 Depth=1
	s_mov_b32 s16, 0x7fc02000
	s_xor_b64 s[0:1], exec, -1
; %bb.543:                              ;   in Loop: Header=BB302_363 Depth=1
	s_or_b64 exec, exec, s[12:13]
	s_and_b64 s[0:1], s[0:1], exec
	s_or_saveexec_b64 s[10:11], s[10:11]
	v_mov_b32_e32 v21, s16
	s_xor_b64 exec, exec, s[10:11]
	s_cbranch_execz .LBB302_373
.LBB302_544:                            ;   in Loop: Header=BB302_363 Depth=1
	v_cmp_ne_u16_sdwa s[12:13], v8, v9 src0_sel:BYTE_0 src1_sel:DWORD
	s_andn2_b64 s[0:1], s[0:1], exec
	s_and_b64 s[12:13], s[12:13], exec
	v_mov_b32_e32 v21, 0
	s_or_b64 s[0:1], s[0:1], s[12:13]
	s_or_b64 exec, exec, s[10:11]
	s_and_saveexec_b64 s[10:11], s[0:1]
	s_cbranch_execnz .LBB302_374
	s_branch .LBB302_375
.LBB302_545:                            ;   in Loop: Header=BB302_363 Depth=1
	v_cmp_eq_u16_e32 vcc, s20, v8
	s_mov_b64 s[0:1], -1
                                        ; implicit-def: $sgpr16
	s_and_saveexec_b64 s[12:13], vcc
; %bb.546:                              ;   in Loop: Header=BB302_363 Depth=1
	s_mov_b32 s16, 0x7fc02000
	s_xor_b64 s[0:1], exec, -1
; %bb.547:                              ;   in Loop: Header=BB302_363 Depth=1
	s_or_b64 exec, exec, s[12:13]
	s_and_b64 s[0:1], s[0:1], exec
	s_or_saveexec_b64 s[10:11], s[10:11]
	v_mov_b32_e32 v23, s16
	s_xor_b64 exec, exec, s[10:11]
	s_cbranch_execz .LBB302_377
.LBB302_548:                            ;   in Loop: Header=BB302_363 Depth=1
	v_cmp_ne_u16_e32 vcc, 0, v8
	s_andn2_b64 s[0:1], s[0:1], exec
	s_and_b64 s[12:13], vcc, exec
	v_mov_b32_e32 v23, 0
	s_or_b64 s[0:1], s[0:1], s[12:13]
	s_or_b64 exec, exec, s[10:11]
	s_and_saveexec_b64 s[10:11], s[0:1]
	s_cbranch_execnz .LBB302_378
	s_branch .LBB302_379
.LBB302_549:                            ;   in Loop: Header=BB302_363 Depth=1
	v_cmp_eq_u16_sdwa s[34:35], v19, s20 src0_sel:BYTE_0 src1_sel:DWORD
	s_mov_b64 s[0:1], -1
                                        ; implicit-def: $sgpr16
	s_and_saveexec_b64 s[12:13], s[34:35]
; %bb.550:                              ;   in Loop: Header=BB302_363 Depth=1
	s_mov_b32 s16, 0x7fc02000
	s_xor_b64 s[0:1], exec, -1
; %bb.551:                              ;   in Loop: Header=BB302_363 Depth=1
	s_or_b64 exec, exec, s[12:13]
	s_and_b64 s[0:1], s[0:1], exec
	s_or_saveexec_b64 s[10:11], s[10:11]
	v_mov_b32_e32 v18, s16
	s_xor_b64 exec, exec, s[10:11]
	s_cbranch_execz .LBB302_381
.LBB302_552:                            ;   in Loop: Header=BB302_363 Depth=1
	v_cmp_ne_u16_sdwa s[12:13], v19, v9 src0_sel:BYTE_0 src1_sel:DWORD
	s_andn2_b64 s[0:1], s[0:1], exec
	s_and_b64 s[12:13], s[12:13], exec
	v_mov_b32_e32 v18, 0
	s_or_b64 s[0:1], s[0:1], s[12:13]
	s_or_b64 exec, exec, s[10:11]
	v_mov_b32_e32 v8, v19
	s_and_saveexec_b64 s[10:11], s[0:1]
	s_cbranch_execnz .LBB302_382
	s_branch .LBB302_383
.LBB302_553:                            ;   in Loop: Header=BB302_363 Depth=1
	v_cmp_eq_u16_e32 vcc, s20, v8
	s_mov_b64 s[0:1], -1
                                        ; implicit-def: $sgpr16
	s_and_saveexec_b64 s[12:13], vcc
; %bb.554:                              ;   in Loop: Header=BB302_363 Depth=1
	s_mov_b32 s16, 0x7fc02000
	s_xor_b64 s[0:1], exec, -1
; %bb.555:                              ;   in Loop: Header=BB302_363 Depth=1
	s_or_b64 exec, exec, s[12:13]
	s_and_b64 s[0:1], s[0:1], exec
	s_or_saveexec_b64 s[10:11], s[10:11]
	v_mov_b32_e32 v29, s16
	s_xor_b64 exec, exec, s[10:11]
	s_cbranch_execz .LBB302_385
.LBB302_556:                            ;   in Loop: Header=BB302_363 Depth=1
	v_cmp_ne_u16_e32 vcc, 0, v8
	s_andn2_b64 s[0:1], s[0:1], exec
	s_and_b64 s[12:13], vcc, exec
	v_mov_b32_e32 v29, 0
	s_or_b64 s[0:1], s[0:1], s[12:13]
	s_or_b64 exec, exec, s[10:11]
	s_and_saveexec_b64 s[10:11], s[0:1]
	s_cbranch_execnz .LBB302_386
	s_branch .LBB302_387
.LBB302_557:                            ;   in Loop: Header=BB302_363 Depth=1
	v_cmp_eq_u16_sdwa s[34:35], v8, s20 src0_sel:BYTE_0 src1_sel:DWORD
	s_mov_b64 s[0:1], -1
                                        ; implicit-def: $sgpr16
	s_and_saveexec_b64 s[12:13], s[34:35]
; %bb.558:                              ;   in Loop: Header=BB302_363 Depth=1
	s_mov_b32 s16, 0x7fc02000
	s_xor_b64 s[0:1], exec, -1
; %bb.559:                              ;   in Loop: Header=BB302_363 Depth=1
	s_or_b64 exec, exec, s[12:13]
	s_and_b64 s[0:1], s[0:1], exec
	s_or_saveexec_b64 s[10:11], s[10:11]
	v_mov_b32_e32 v30, s16
	s_xor_b64 exec, exec, s[10:11]
	s_cbranch_execz .LBB302_389
.LBB302_560:                            ;   in Loop: Header=BB302_363 Depth=1
	v_cmp_ne_u16_sdwa s[12:13], v8, v9 src0_sel:BYTE_0 src1_sel:DWORD
	s_andn2_b64 s[0:1], s[0:1], exec
	s_and_b64 s[12:13], s[12:13], exec
	v_mov_b32_e32 v30, 0
	s_or_b64 s[0:1], s[0:1], s[12:13]
	s_or_b64 exec, exec, s[10:11]
	s_and_saveexec_b64 s[10:11], s[0:1]
	s_cbranch_execnz .LBB302_390
	s_branch .LBB302_391
.LBB302_561:                            ;   in Loop: Header=BB302_363 Depth=1
	v_cmp_eq_u16_e32 vcc, s20, v8
	s_mov_b64 s[0:1], -1
                                        ; implicit-def: $sgpr16
	s_and_saveexec_b64 s[12:13], vcc
; %bb.562:                              ;   in Loop: Header=BB302_363 Depth=1
	s_mov_b32 s16, 0x7fc02000
	s_xor_b64 s[0:1], exec, -1
; %bb.563:                              ;   in Loop: Header=BB302_363 Depth=1
	s_or_b64 exec, exec, s[12:13]
	s_and_b64 s[0:1], s[0:1], exec
	s_or_saveexec_b64 s[10:11], s[10:11]
	v_mov_b32_e32 v31, s16
	s_xor_b64 exec, exec, s[10:11]
	s_cbranch_execz .LBB302_393
.LBB302_564:                            ;   in Loop: Header=BB302_363 Depth=1
	v_cmp_ne_u16_e32 vcc, 0, v8
	s_andn2_b64 s[0:1], s[0:1], exec
	s_and_b64 s[12:13], vcc, exec
	v_mov_b32_e32 v31, 0
	s_or_b64 s[0:1], s[0:1], s[12:13]
	s_or_b64 exec, exec, s[10:11]
	s_and_saveexec_b64 s[10:11], s[0:1]
	s_cbranch_execnz .LBB302_394
	s_branch .LBB302_395
.LBB302_565:                            ;   in Loop: Header=BB302_363 Depth=1
	v_cmp_eq_u16_sdwa s[34:35], v18, s20 src0_sel:BYTE_0 src1_sel:DWORD
	s_mov_b64 s[0:1], -1
                                        ; implicit-def: $sgpr16
	s_and_saveexec_b64 s[12:13], s[34:35]
; %bb.566:                              ;   in Loop: Header=BB302_363 Depth=1
	s_mov_b32 s16, 0x7fc02000
	s_xor_b64 s[0:1], exec, -1
; %bb.567:                              ;   in Loop: Header=BB302_363 Depth=1
	s_or_b64 exec, exec, s[12:13]
	s_and_b64 s[0:1], s[0:1], exec
	s_or_saveexec_b64 s[10:11], s[10:11]
	v_mov_b32_e32 v20, s16
	s_xor_b64 exec, exec, s[10:11]
	s_cbranch_execz .LBB302_399
.LBB302_568:                            ;   in Loop: Header=BB302_363 Depth=1
	v_cmp_ne_u16_sdwa s[12:13], v18, v9 src0_sel:BYTE_0 src1_sel:DWORD
	s_andn2_b64 s[0:1], s[0:1], exec
	s_and_b64 s[12:13], s[12:13], exec
	v_mov_b32_e32 v20, 0
	s_or_b64 s[0:1], s[0:1], s[12:13]
	s_or_b64 exec, exec, s[10:11]
	s_and_saveexec_b64 s[10:11], s[0:1]
	s_cbranch_execnz .LBB302_400
	s_branch .LBB302_401
.LBB302_569:                            ;   in Loop: Header=BB302_363 Depth=1
	v_cmp_eq_u16_e64 s[0:1], s20, v8
	s_mov_b64 s[10:11], -1
                                        ; implicit-def: $sgpr31
	s_and_saveexec_b64 s[16:17], s[0:1]
; %bb.570:                              ;   in Loop: Header=BB302_363 Depth=1
	s_mov_b32 s31, 0x7fc02000
	s_xor_b64 s[10:11], exec, -1
; %bb.571:                              ;   in Loop: Header=BB302_363 Depth=1
	s_or_b64 exec, exec, s[16:17]
	s_and_b64 s[10:11], s[10:11], exec
	s_or_saveexec_b64 s[12:13], s[12:13]
	v_mov_b32_e32 v22, s31
	s_xor_b64 exec, exec, s[12:13]
	s_cbranch_execz .LBB302_403
.LBB302_572:                            ;   in Loop: Header=BB302_363 Depth=1
	v_cmp_ne_u16_e64 s[0:1], 0, v8
	s_andn2_b64 s[10:11], s[10:11], exec
	s_and_b64 s[0:1], s[0:1], exec
	v_mov_b32_e32 v22, 0
	s_or_b64 s[10:11], s[10:11], s[0:1]
	s_or_b64 exec, exec, s[12:13]
	s_and_saveexec_b64 s[12:13], s[10:11]
	s_cbranch_execnz .LBB302_404
	s_branch .LBB302_405
.LBB302_573:                            ;   in Loop: Header=BB302_363 Depth=1
	v_cmp_eq_u16_sdwa s[34:35], v8, s20 src0_sel:BYTE_0 src1_sel:DWORD
	s_mov_b64 s[0:1], -1
                                        ; implicit-def: $sgpr16
	s_and_saveexec_b64 s[12:13], s[34:35]
; %bb.574:                              ;   in Loop: Header=BB302_363 Depth=1
	s_mov_b32 s16, 0x7fc02000
	s_xor_b64 s[0:1], exec, -1
; %bb.575:                              ;   in Loop: Header=BB302_363 Depth=1
	s_or_b64 exec, exec, s[12:13]
	s_and_b64 s[0:1], s[0:1], exec
	s_or_saveexec_b64 s[10:11], s[10:11]
	v_mov_b32_e32 v21, s16
	s_xor_b64 exec, exec, s[10:11]
	s_cbranch_execz .LBB302_407
.LBB302_576:                            ;   in Loop: Header=BB302_363 Depth=1
	v_cmp_ne_u16_sdwa s[12:13], v8, v9 src0_sel:BYTE_0 src1_sel:DWORD
	s_andn2_b64 s[0:1], s[0:1], exec
	s_and_b64 s[12:13], s[12:13], exec
	v_mov_b32_e32 v21, 0
	s_or_b64 s[0:1], s[0:1], s[12:13]
	s_or_b64 exec, exec, s[10:11]
	s_and_saveexec_b64 s[10:11], s[0:1]
	s_cbranch_execnz .LBB302_408
	s_branch .LBB302_409
.LBB302_577:                            ;   in Loop: Header=BB302_363 Depth=1
	v_cmp_eq_u16_e64 s[0:1], s20, v8
	s_mov_b64 s[10:11], -1
                                        ; implicit-def: $sgpr31
	s_and_saveexec_b64 s[16:17], s[0:1]
; %bb.578:                              ;   in Loop: Header=BB302_363 Depth=1
	s_mov_b32 s31, 0x7fc02000
	s_xor_b64 s[10:11], exec, -1
; %bb.579:                              ;   in Loop: Header=BB302_363 Depth=1
	s_or_b64 exec, exec, s[16:17]
	s_and_b64 s[10:11], s[10:11], exec
	s_or_saveexec_b64 s[12:13], s[12:13]
	v_mov_b32_e32 v23, s31
	s_xor_b64 exec, exec, s[12:13]
	s_cbranch_execz .LBB302_411
.LBB302_580:                            ;   in Loop: Header=BB302_363 Depth=1
	v_cmp_ne_u16_e64 s[0:1], 0, v8
	s_andn2_b64 s[10:11], s[10:11], exec
	s_and_b64 s[0:1], s[0:1], exec
	v_mov_b32_e32 v23, 0
	s_or_b64 s[10:11], s[10:11], s[0:1]
	s_or_b64 exec, exec, s[12:13]
	s_and_saveexec_b64 s[12:13], s[10:11]
	s_cbranch_execnz .LBB302_412
	s_branch .LBB302_413
.LBB302_581:                            ;   in Loop: Header=BB302_363 Depth=1
	v_cmp_eq_u16_sdwa s[34:35], v19, s20 src0_sel:BYTE_0 src1_sel:DWORD
	s_mov_b64 s[0:1], -1
                                        ; implicit-def: $sgpr16
	s_and_saveexec_b64 s[12:13], s[34:35]
; %bb.582:                              ;   in Loop: Header=BB302_363 Depth=1
	s_mov_b32 s16, 0x7fc02000
	s_xor_b64 s[0:1], exec, -1
; %bb.583:                              ;   in Loop: Header=BB302_363 Depth=1
	s_or_b64 exec, exec, s[12:13]
	s_and_b64 s[0:1], s[0:1], exec
	s_or_saveexec_b64 s[10:11], s[10:11]
	v_mov_b32_e32 v18, s16
	s_xor_b64 exec, exec, s[10:11]
	s_cbranch_execz .LBB302_415
.LBB302_584:                            ;   in Loop: Header=BB302_363 Depth=1
	v_cmp_ne_u16_sdwa s[12:13], v19, v9 src0_sel:BYTE_0 src1_sel:DWORD
	s_andn2_b64 s[0:1], s[0:1], exec
	s_and_b64 s[12:13], s[12:13], exec
	v_mov_b32_e32 v18, 0
	s_or_b64 s[0:1], s[0:1], s[12:13]
	s_or_b64 exec, exec, s[10:11]
	v_mov_b32_e32 v8, v19
	s_and_saveexec_b64 s[10:11], s[0:1]
	s_cbranch_execnz .LBB302_416
	s_branch .LBB302_417
.LBB302_585:                            ;   in Loop: Header=BB302_363 Depth=1
	v_cmp_eq_u16_e64 s[0:1], s20, v8
	s_mov_b64 s[10:11], -1
                                        ; implicit-def: $sgpr31
	s_and_saveexec_b64 s[16:17], s[0:1]
; %bb.586:                              ;   in Loop: Header=BB302_363 Depth=1
	s_mov_b32 s31, 0x7fc02000
	s_xor_b64 s[10:11], exec, -1
; %bb.587:                              ;   in Loop: Header=BB302_363 Depth=1
	s_or_b64 exec, exec, s[16:17]
	s_and_b64 s[10:11], s[10:11], exec
	s_or_saveexec_b64 s[12:13], s[12:13]
	v_mov_b32_e32 v42, s31
	s_xor_b64 exec, exec, s[12:13]
	s_cbranch_execz .LBB302_419
.LBB302_588:                            ;   in Loop: Header=BB302_363 Depth=1
	v_cmp_ne_u16_e64 s[0:1], 0, v8
	s_andn2_b64 s[10:11], s[10:11], exec
	s_and_b64 s[0:1], s[0:1], exec
	v_mov_b32_e32 v42, 0
	s_or_b64 s[10:11], s[10:11], s[0:1]
	s_or_b64 exec, exec, s[12:13]
	s_and_saveexec_b64 s[12:13], s[10:11]
	s_cbranch_execnz .LBB302_420
	s_branch .LBB302_421
.LBB302_589:                            ;   in Loop: Header=BB302_363 Depth=1
	v_cmp_eq_u16_sdwa s[34:35], v8, s20 src0_sel:BYTE_0 src1_sel:DWORD
	s_mov_b64 s[0:1], -1
                                        ; implicit-def: $sgpr16
	s_and_saveexec_b64 s[12:13], s[34:35]
; %bb.590:                              ;   in Loop: Header=BB302_363 Depth=1
	s_mov_b32 s16, 0x7fc02000
	s_xor_b64 s[0:1], exec, -1
; %bb.591:                              ;   in Loop: Header=BB302_363 Depth=1
	s_or_b64 exec, exec, s[12:13]
	s_and_b64 s[0:1], s[0:1], exec
	s_or_saveexec_b64 s[10:11], s[10:11]
	v_mov_b32_e32 v43, s16
	s_xor_b64 exec, exec, s[10:11]
	s_cbranch_execz .LBB302_423
.LBB302_592:                            ;   in Loop: Header=BB302_363 Depth=1
	v_cmp_ne_u16_sdwa s[12:13], v8, v9 src0_sel:BYTE_0 src1_sel:DWORD
	s_andn2_b64 s[0:1], s[0:1], exec
	s_and_b64 s[12:13], s[12:13], exec
	v_mov_b32_e32 v43, 0
	s_or_b64 s[0:1], s[0:1], s[12:13]
	s_or_b64 exec, exec, s[10:11]
	s_and_saveexec_b64 s[10:11], s[0:1]
	s_cbranch_execnz .LBB302_424
	s_branch .LBB302_425
.LBB302_593:                            ;   in Loop: Header=BB302_363 Depth=1
	v_cmp_eq_u16_e64 s[0:1], s20, v8
	s_mov_b64 s[10:11], -1
                                        ; implicit-def: $sgpr31
	s_and_saveexec_b64 s[16:17], s[0:1]
; %bb.594:                              ;   in Loop: Header=BB302_363 Depth=1
	s_mov_b32 s31, 0x7fc02000
	s_xor_b64 s[10:11], exec, -1
; %bb.595:                              ;   in Loop: Header=BB302_363 Depth=1
	s_or_b64 exec, exec, s[16:17]
	s_and_b64 s[10:11], s[10:11], exec
	s_or_saveexec_b64 s[12:13], s[12:13]
	v_mov_b32_e32 v44, s31
	s_xor_b64 exec, exec, s[12:13]
	s_cbranch_execz .LBB302_427
.LBB302_596:                            ;   in Loop: Header=BB302_363 Depth=1
	v_cmp_ne_u16_e64 s[0:1], 0, v8
	s_andn2_b64 s[10:11], s[10:11], exec
	s_and_b64 s[0:1], s[0:1], exec
	v_mov_b32_e32 v44, 0
	s_or_b64 s[10:11], s[10:11], s[0:1]
	s_or_b64 exec, exec, s[12:13]
	s_and_saveexec_b64 s[12:13], s[10:11]
	s_cbranch_execnz .LBB302_428
	s_branch .LBB302_429
.LBB302_597:                            ;   in Loop: Header=BB302_363 Depth=1
	v_cmp_eq_u16_sdwa s[34:35], v18, s20 src0_sel:BYTE_0 src1_sel:DWORD
	s_mov_b64 s[0:1], -1
                                        ; implicit-def: $sgpr16
	s_and_saveexec_b64 s[12:13], s[34:35]
; %bb.598:                              ;   in Loop: Header=BB302_363 Depth=1
	s_mov_b32 s16, 0x7fc02000
	s_xor_b64 s[0:1], exec, -1
; %bb.599:                              ;   in Loop: Header=BB302_363 Depth=1
	s_or_b64 exec, exec, s[12:13]
	s_and_b64 s[0:1], s[0:1], exec
	s_or_saveexec_b64 s[10:11], s[10:11]
	v_mov_b32_e32 v20, s16
	s_xor_b64 exec, exec, s[10:11]
	s_cbranch_execz .LBB302_433
.LBB302_600:                            ;   in Loop: Header=BB302_363 Depth=1
	v_cmp_ne_u16_sdwa s[12:13], v18, v9 src0_sel:BYTE_0 src1_sel:DWORD
	s_andn2_b64 s[0:1], s[0:1], exec
	s_and_b64 s[12:13], s[12:13], exec
	v_mov_b32_e32 v20, 0
	s_or_b64 s[0:1], s[0:1], s[12:13]
	s_or_b64 exec, exec, s[10:11]
	s_and_saveexec_b64 s[10:11], s[0:1]
	s_cbranch_execnz .LBB302_434
	s_branch .LBB302_435
.LBB302_601:                            ;   in Loop: Header=BB302_363 Depth=1
	v_cmp_eq_u16_e64 s[0:1], s20, v8
	s_mov_b64 s[10:11], -1
                                        ; implicit-def: $sgpr31
	s_and_saveexec_b64 s[16:17], s[0:1]
; %bb.602:                              ;   in Loop: Header=BB302_363 Depth=1
	s_mov_b32 s31, 0x7fc02000
	s_xor_b64 s[10:11], exec, -1
; %bb.603:                              ;   in Loop: Header=BB302_363 Depth=1
	s_or_b64 exec, exec, s[16:17]
	s_and_b64 s[10:11], s[10:11], exec
	s_or_saveexec_b64 s[12:13], s[12:13]
	v_mov_b32_e32 v22, s31
	s_xor_b64 exec, exec, s[12:13]
	s_cbranch_execz .LBB302_437
.LBB302_604:                            ;   in Loop: Header=BB302_363 Depth=1
	v_cmp_ne_u16_e64 s[0:1], 0, v8
	s_andn2_b64 s[10:11], s[10:11], exec
	s_and_b64 s[0:1], s[0:1], exec
	v_mov_b32_e32 v22, 0
	s_or_b64 s[10:11], s[10:11], s[0:1]
	s_or_b64 exec, exec, s[12:13]
	s_and_saveexec_b64 s[12:13], s[10:11]
	s_cbranch_execnz .LBB302_438
	s_branch .LBB302_439
.LBB302_605:                            ;   in Loop: Header=BB302_363 Depth=1
	v_cmp_eq_u16_sdwa s[34:35], v8, s20 src0_sel:BYTE_0 src1_sel:DWORD
	s_mov_b64 s[0:1], -1
                                        ; implicit-def: $sgpr16
	s_and_saveexec_b64 s[12:13], s[34:35]
; %bb.606:                              ;   in Loop: Header=BB302_363 Depth=1
	s_mov_b32 s16, 0x7fc02000
	s_xor_b64 s[0:1], exec, -1
; %bb.607:                              ;   in Loop: Header=BB302_363 Depth=1
	s_or_b64 exec, exec, s[12:13]
	s_and_b64 s[0:1], s[0:1], exec
	s_or_saveexec_b64 s[10:11], s[10:11]
	v_mov_b32_e32 v21, s16
	s_xor_b64 exec, exec, s[10:11]
	s_cbranch_execz .LBB302_441
.LBB302_608:                            ;   in Loop: Header=BB302_363 Depth=1
	v_cmp_ne_u16_sdwa s[12:13], v8, v9 src0_sel:BYTE_0 src1_sel:DWORD
	s_andn2_b64 s[0:1], s[0:1], exec
	s_and_b64 s[12:13], s[12:13], exec
	v_mov_b32_e32 v21, 0
	s_or_b64 s[0:1], s[0:1], s[12:13]
	s_or_b64 exec, exec, s[10:11]
	s_and_saveexec_b64 s[10:11], s[0:1]
	s_cbranch_execnz .LBB302_442
	s_branch .LBB302_443
.LBB302_609:                            ;   in Loop: Header=BB302_363 Depth=1
	v_cmp_eq_u16_e64 s[0:1], s20, v8
	s_mov_b64 s[10:11], -1
                                        ; implicit-def: $sgpr31
	s_and_saveexec_b64 s[16:17], s[0:1]
; %bb.610:                              ;   in Loop: Header=BB302_363 Depth=1
	s_mov_b32 s31, 0x7fc02000
	s_xor_b64 s[10:11], exec, -1
; %bb.611:                              ;   in Loop: Header=BB302_363 Depth=1
	s_or_b64 exec, exec, s[16:17]
	s_and_b64 s[10:11], s[10:11], exec
	s_or_saveexec_b64 s[12:13], s[12:13]
	v_mov_b32_e32 v23, s31
	s_xor_b64 exec, exec, s[12:13]
	s_cbranch_execz .LBB302_445
.LBB302_612:                            ;   in Loop: Header=BB302_363 Depth=1
	v_cmp_ne_u16_e64 s[0:1], 0, v8
	s_andn2_b64 s[10:11], s[10:11], exec
	s_and_b64 s[0:1], s[0:1], exec
	v_mov_b32_e32 v23, 0
	s_or_b64 s[10:11], s[10:11], s[0:1]
	s_or_b64 exec, exec, s[12:13]
	s_and_saveexec_b64 s[12:13], s[10:11]
	s_cbranch_execnz .LBB302_446
	s_branch .LBB302_447
.LBB302_613:                            ;   in Loop: Header=BB302_363 Depth=1
	v_cmp_eq_u16_sdwa s[34:35], v19, s20 src0_sel:BYTE_0 src1_sel:DWORD
	s_mov_b64 s[0:1], -1
                                        ; implicit-def: $sgpr16
	s_and_saveexec_b64 s[12:13], s[34:35]
; %bb.614:                              ;   in Loop: Header=BB302_363 Depth=1
	s_mov_b32 s16, 0x7fc02000
	s_xor_b64 s[0:1], exec, -1
; %bb.615:                              ;   in Loop: Header=BB302_363 Depth=1
	s_or_b64 exec, exec, s[12:13]
	s_and_b64 s[0:1], s[0:1], exec
	s_or_saveexec_b64 s[10:11], s[10:11]
	v_mov_b32_e32 v18, s16
	s_xor_b64 exec, exec, s[10:11]
	s_cbranch_execz .LBB302_449
.LBB302_616:                            ;   in Loop: Header=BB302_363 Depth=1
	v_cmp_ne_u16_sdwa s[12:13], v19, v9 src0_sel:BYTE_0 src1_sel:DWORD
	s_andn2_b64 s[0:1], s[0:1], exec
	s_and_b64 s[12:13], s[12:13], exec
	v_mov_b32_e32 v18, 0
	s_or_b64 s[0:1], s[0:1], s[12:13]
	s_or_b64 exec, exec, s[10:11]
	v_mov_b32_e32 v8, v19
	s_and_saveexec_b64 s[10:11], s[0:1]
	s_cbranch_execnz .LBB302_450
	s_branch .LBB302_451
.LBB302_617:                            ;   in Loop: Header=BB302_363 Depth=1
	v_cmp_eq_u16_e64 s[0:1], s20, v8
	s_mov_b64 s[10:11], -1
                                        ; implicit-def: $sgpr31
	s_and_saveexec_b64 s[16:17], s[0:1]
; %bb.618:                              ;   in Loop: Header=BB302_363 Depth=1
	s_mov_b32 s31, 0x7fc02000
	s_xor_b64 s[10:11], exec, -1
; %bb.619:                              ;   in Loop: Header=BB302_363 Depth=1
	s_or_b64 exec, exec, s[16:17]
	s_and_b64 s[10:11], s[10:11], exec
	s_or_saveexec_b64 s[12:13], s[12:13]
	v_mov_b32_e32 v44, s31
	s_xor_b64 exec, exec, s[12:13]
	s_cbranch_execz .LBB302_453
.LBB302_620:                            ;   in Loop: Header=BB302_363 Depth=1
	v_cmp_ne_u16_e64 s[0:1], 0, v8
	s_andn2_b64 s[10:11], s[10:11], exec
	s_and_b64 s[0:1], s[0:1], exec
	v_mov_b32_e32 v44, 0
	s_or_b64 s[10:11], s[10:11], s[0:1]
	s_or_b64 exec, exec, s[12:13]
	s_and_saveexec_b64 s[12:13], s[10:11]
	s_cbranch_execnz .LBB302_454
	s_branch .LBB302_455
.LBB302_621:                            ;   in Loop: Header=BB302_363 Depth=1
	v_cmp_eq_u16_sdwa s[34:35], v8, s20 src0_sel:BYTE_0 src1_sel:DWORD
	s_mov_b64 s[0:1], -1
                                        ; implicit-def: $sgpr16
	s_and_saveexec_b64 s[12:13], s[34:35]
; %bb.622:                              ;   in Loop: Header=BB302_363 Depth=1
	s_mov_b32 s16, 0x7fc02000
	s_xor_b64 s[0:1], exec, -1
; %bb.623:                              ;   in Loop: Header=BB302_363 Depth=1
	s_or_b64 exec, exec, s[12:13]
	s_and_b64 s[0:1], s[0:1], exec
	s_or_saveexec_b64 s[10:11], s[10:11]
	v_mov_b32_e32 v45, s16
	s_xor_b64 exec, exec, s[10:11]
	s_cbranch_execz .LBB302_457
.LBB302_624:                            ;   in Loop: Header=BB302_363 Depth=1
	v_cmp_ne_u16_sdwa s[12:13], v8, v9 src0_sel:BYTE_0 src1_sel:DWORD
	s_andn2_b64 s[0:1], s[0:1], exec
	s_and_b64 s[12:13], s[12:13], exec
	v_mov_b32_e32 v45, 0
	s_or_b64 s[0:1], s[0:1], s[12:13]
	s_or_b64 exec, exec, s[10:11]
	s_and_saveexec_b64 s[10:11], s[0:1]
	s_cbranch_execnz .LBB302_458
	s_branch .LBB302_459
.LBB302_625:                            ;   in Loop: Header=BB302_363 Depth=1
	v_cmp_eq_u16_e64 s[0:1], s20, v8
	s_mov_b64 s[10:11], -1
                                        ; implicit-def: $sgpr31
	s_and_saveexec_b64 s[16:17], s[0:1]
; %bb.626:                              ;   in Loop: Header=BB302_363 Depth=1
	s_mov_b32 s31, 0x7fc02000
	s_xor_b64 s[10:11], exec, -1
; %bb.627:                              ;   in Loop: Header=BB302_363 Depth=1
	s_or_b64 exec, exec, s[16:17]
	s_and_b64 s[10:11], s[10:11], exec
	s_or_saveexec_b64 s[12:13], s[12:13]
	v_mov_b32_e32 v46, s31
	s_xor_b64 exec, exec, s[12:13]
	s_cbranch_execz .LBB302_461
.LBB302_628:                            ;   in Loop: Header=BB302_363 Depth=1
	v_cmp_ne_u16_e64 s[0:1], 0, v8
	s_andn2_b64 s[10:11], s[10:11], exec
	s_and_b64 s[0:1], s[0:1], exec
	v_mov_b32_e32 v46, 0
	s_or_b64 s[10:11], s[10:11], s[0:1]
	s_or_b64 exec, exec, s[12:13]
	s_and_saveexec_b64 s[12:13], s[10:11]
	s_cbranch_execnz .LBB302_462
	s_branch .LBB302_463
.LBB302_629:                            ;   in Loop: Header=BB302_363 Depth=1
	v_cmp_eq_u16_sdwa s[34:35], v18, s20 src0_sel:BYTE_0 src1_sel:DWORD
	s_mov_b64 s[0:1], -1
                                        ; implicit-def: $sgpr16
	s_and_saveexec_b64 s[12:13], s[34:35]
; %bb.630:                              ;   in Loop: Header=BB302_363 Depth=1
	s_mov_b32 s16, 0x7fc02000
	s_xor_b64 s[0:1], exec, -1
; %bb.631:                              ;   in Loop: Header=BB302_363 Depth=1
	s_or_b64 exec, exec, s[12:13]
	s_and_b64 s[0:1], s[0:1], exec
	s_or_saveexec_b64 s[10:11], s[10:11]
	v_mov_b32_e32 v20, s16
	s_xor_b64 exec, exec, s[10:11]
	s_cbranch_execz .LBB302_467
.LBB302_632:                            ;   in Loop: Header=BB302_363 Depth=1
	v_cmp_ne_u16_sdwa s[12:13], v18, v9 src0_sel:BYTE_0 src1_sel:DWORD
	s_andn2_b64 s[0:1], s[0:1], exec
	s_and_b64 s[12:13], s[12:13], exec
	v_mov_b32_e32 v20, 0
	s_or_b64 s[0:1], s[0:1], s[12:13]
	s_or_b64 exec, exec, s[10:11]
	s_and_saveexec_b64 s[10:11], s[0:1]
	s_cbranch_execnz .LBB302_468
	s_branch .LBB302_469
.LBB302_633:                            ;   in Loop: Header=BB302_363 Depth=1
	v_cmp_eq_u16_e64 s[0:1], s20, v8
	s_mov_b64 s[10:11], -1
                                        ; implicit-def: $sgpr31
	s_and_saveexec_b64 s[16:17], s[0:1]
; %bb.634:                              ;   in Loop: Header=BB302_363 Depth=1
	s_mov_b32 s31, 0x7fc02000
	s_xor_b64 s[10:11], exec, -1
; %bb.635:                              ;   in Loop: Header=BB302_363 Depth=1
	s_or_b64 exec, exec, s[16:17]
	s_and_b64 s[10:11], s[10:11], exec
	s_or_saveexec_b64 s[12:13], s[12:13]
	v_mov_b32_e32 v22, s31
	s_xor_b64 exec, exec, s[12:13]
	s_cbranch_execz .LBB302_471
.LBB302_636:                            ;   in Loop: Header=BB302_363 Depth=1
	v_cmp_ne_u16_e64 s[0:1], 0, v8
	s_andn2_b64 s[10:11], s[10:11], exec
	s_and_b64 s[0:1], s[0:1], exec
	v_mov_b32_e32 v22, 0
	s_or_b64 s[10:11], s[10:11], s[0:1]
	s_or_b64 exec, exec, s[12:13]
	s_and_saveexec_b64 s[12:13], s[10:11]
	s_cbranch_execnz .LBB302_472
	s_branch .LBB302_473
.LBB302_637:                            ;   in Loop: Header=BB302_363 Depth=1
	v_cmp_eq_u16_sdwa s[34:35], v8, s20 src0_sel:BYTE_0 src1_sel:DWORD
	s_mov_b64 s[0:1], -1
                                        ; implicit-def: $sgpr16
	s_and_saveexec_b64 s[12:13], s[34:35]
; %bb.638:                              ;   in Loop: Header=BB302_363 Depth=1
	s_mov_b32 s16, 0x7fc02000
	s_xor_b64 s[0:1], exec, -1
; %bb.639:                              ;   in Loop: Header=BB302_363 Depth=1
	s_or_b64 exec, exec, s[12:13]
	s_and_b64 s[0:1], s[0:1], exec
	s_or_saveexec_b64 s[10:11], s[10:11]
	v_mov_b32_e32 v21, s16
	s_xor_b64 exec, exec, s[10:11]
	s_cbranch_execz .LBB302_475
.LBB302_640:                            ;   in Loop: Header=BB302_363 Depth=1
	v_cmp_ne_u16_sdwa s[12:13], v8, v9 src0_sel:BYTE_0 src1_sel:DWORD
	s_andn2_b64 s[0:1], s[0:1], exec
	s_and_b64 s[12:13], s[12:13], exec
	v_mov_b32_e32 v21, 0
	s_or_b64 s[0:1], s[0:1], s[12:13]
	s_or_b64 exec, exec, s[10:11]
	s_and_saveexec_b64 s[10:11], s[0:1]
	s_cbranch_execnz .LBB302_476
	s_branch .LBB302_477
.LBB302_641:                            ;   in Loop: Header=BB302_363 Depth=1
	v_cmp_eq_u16_e64 s[0:1], s20, v8
	s_mov_b64 s[10:11], -1
                                        ; implicit-def: $sgpr31
	s_and_saveexec_b64 s[16:17], s[0:1]
; %bb.642:                              ;   in Loop: Header=BB302_363 Depth=1
	s_mov_b32 s31, 0x7fc02000
	s_xor_b64 s[10:11], exec, -1
; %bb.643:                              ;   in Loop: Header=BB302_363 Depth=1
	s_or_b64 exec, exec, s[16:17]
	s_and_b64 s[10:11], s[10:11], exec
	s_or_saveexec_b64 s[12:13], s[12:13]
	v_mov_b32_e32 v23, s31
	s_xor_b64 exec, exec, s[12:13]
	s_cbranch_execz .LBB302_479
.LBB302_644:                            ;   in Loop: Header=BB302_363 Depth=1
	v_cmp_ne_u16_e64 s[0:1], 0, v8
	s_andn2_b64 s[10:11], s[10:11], exec
	s_and_b64 s[0:1], s[0:1], exec
	v_mov_b32_e32 v23, 0
	s_or_b64 s[10:11], s[10:11], s[0:1]
	s_or_b64 exec, exec, s[12:13]
	s_and_saveexec_b64 s[12:13], s[10:11]
	s_cbranch_execnz .LBB302_480
	s_branch .LBB302_481
.LBB302_645:                            ;   in Loop: Header=BB302_363 Depth=1
	v_cmp_eq_u16_sdwa s[34:35], v19, s20 src0_sel:BYTE_0 src1_sel:DWORD
	s_mov_b64 s[0:1], -1
                                        ; implicit-def: $sgpr16
	s_and_saveexec_b64 s[12:13], s[34:35]
; %bb.646:                              ;   in Loop: Header=BB302_363 Depth=1
	s_mov_b32 s16, 0x7fc02000
	s_xor_b64 s[0:1], exec, -1
; %bb.647:                              ;   in Loop: Header=BB302_363 Depth=1
	s_or_b64 exec, exec, s[12:13]
	s_and_b64 s[0:1], s[0:1], exec
	s_or_saveexec_b64 s[10:11], s[10:11]
	v_mov_b32_e32 v18, s16
	s_xor_b64 exec, exec, s[10:11]
	s_cbranch_execz .LBB302_483
.LBB302_648:                            ;   in Loop: Header=BB302_363 Depth=1
	v_cmp_ne_u16_sdwa s[12:13], v19, v9 src0_sel:BYTE_0 src1_sel:DWORD
	s_andn2_b64 s[0:1], s[0:1], exec
	s_and_b64 s[12:13], s[12:13], exec
	v_mov_b32_e32 v18, 0
	s_or_b64 s[0:1], s[0:1], s[12:13]
	s_or_b64 exec, exec, s[10:11]
	v_mov_b32_e32 v8, v19
	s_and_saveexec_b64 s[10:11], s[0:1]
	s_cbranch_execnz .LBB302_484
	s_branch .LBB302_485
.LBB302_649:                            ;   in Loop: Header=BB302_363 Depth=1
	v_cmp_eq_u16_e64 s[0:1], s20, v8
	s_mov_b64 s[10:11], -1
                                        ; implicit-def: $sgpr31
	s_and_saveexec_b64 s[16:17], s[0:1]
; %bb.650:                              ;   in Loop: Header=BB302_363 Depth=1
	s_mov_b32 s31, 0x7fc02000
	s_xor_b64 s[10:11], exec, -1
; %bb.651:                              ;   in Loop: Header=BB302_363 Depth=1
	s_or_b64 exec, exec, s[16:17]
	s_and_b64 s[10:11], s[10:11], exec
	s_or_saveexec_b64 s[12:13], s[12:13]
	v_mov_b32_e32 v46, s31
	s_xor_b64 exec, exec, s[12:13]
	s_cbranch_execz .LBB302_487
.LBB302_652:                            ;   in Loop: Header=BB302_363 Depth=1
	v_cmp_ne_u16_e64 s[0:1], 0, v8
	s_andn2_b64 s[10:11], s[10:11], exec
	s_and_b64 s[0:1], s[0:1], exec
	v_mov_b32_e32 v46, 0
	s_or_b64 s[10:11], s[10:11], s[0:1]
	s_or_b64 exec, exec, s[12:13]
	s_and_saveexec_b64 s[12:13], s[10:11]
	s_cbranch_execnz .LBB302_488
	s_branch .LBB302_489
.LBB302_653:                            ;   in Loop: Header=BB302_363 Depth=1
	v_cmp_eq_u16_sdwa s[34:35], v8, s20 src0_sel:BYTE_0 src1_sel:DWORD
	s_mov_b64 s[0:1], -1
                                        ; implicit-def: $sgpr16
	s_and_saveexec_b64 s[12:13], s[34:35]
; %bb.654:                              ;   in Loop: Header=BB302_363 Depth=1
	s_mov_b32 s16, 0x7fc02000
	s_xor_b64 s[0:1], exec, -1
; %bb.655:                              ;   in Loop: Header=BB302_363 Depth=1
	s_or_b64 exec, exec, s[12:13]
	s_and_b64 s[0:1], s[0:1], exec
	s_or_saveexec_b64 s[10:11], s[10:11]
	v_mov_b32_e32 v47, s16
	s_xor_b64 exec, exec, s[10:11]
	s_cbranch_execz .LBB302_491
.LBB302_656:                            ;   in Loop: Header=BB302_363 Depth=1
	v_cmp_ne_u16_sdwa s[12:13], v8, v9 src0_sel:BYTE_0 src1_sel:DWORD
	s_andn2_b64 s[0:1], s[0:1], exec
	s_and_b64 s[12:13], s[12:13], exec
	v_mov_b32_e32 v47, 0
	s_or_b64 s[0:1], s[0:1], s[12:13]
	s_or_b64 exec, exec, s[10:11]
	s_and_saveexec_b64 s[10:11], s[0:1]
	s_cbranch_execnz .LBB302_492
	s_branch .LBB302_493
.LBB302_657:                            ;   in Loop: Header=BB302_363 Depth=1
	v_cmp_eq_u16_e64 s[0:1], s20, v8
	s_mov_b64 s[10:11], -1
                                        ; implicit-def: $sgpr31
	s_and_saveexec_b64 s[16:17], s[0:1]
; %bb.658:                              ;   in Loop: Header=BB302_363 Depth=1
	s_mov_b32 s31, 0x7fc02000
	s_xor_b64 s[10:11], exec, -1
; %bb.659:                              ;   in Loop: Header=BB302_363 Depth=1
	s_or_b64 exec, exec, s[16:17]
	s_and_b64 s[10:11], s[10:11], exec
	s_or_saveexec_b64 s[12:13], s[12:13]
	v_mov_b32_e32 v48, s31
	s_xor_b64 exec, exec, s[12:13]
	s_cbranch_execz .LBB302_495
.LBB302_660:                            ;   in Loop: Header=BB302_363 Depth=1
	v_cmp_ne_u16_e64 s[0:1], 0, v8
	s_andn2_b64 s[10:11], s[10:11], exec
	s_and_b64 s[0:1], s[0:1], exec
	v_mov_b32_e32 v48, 0
	s_or_b64 s[10:11], s[10:11], s[0:1]
	s_or_b64 exec, exec, s[12:13]
	s_and_saveexec_b64 s[12:13], s[10:11]
	s_cbranch_execnz .LBB302_496
	s_branch .LBB302_497
.LBB302_661:                            ;   in Loop: Header=BB302_363 Depth=1
	v_cmp_eq_u16_sdwa s[34:35], v18, s20 src0_sel:BYTE_0 src1_sel:DWORD
	s_mov_b64 s[0:1], -1
                                        ; implicit-def: $sgpr16
	s_and_saveexec_b64 s[12:13], s[34:35]
; %bb.662:                              ;   in Loop: Header=BB302_363 Depth=1
	s_mov_b32 s16, 0x7fc02000
	s_xor_b64 s[0:1], exec, -1
; %bb.663:                              ;   in Loop: Header=BB302_363 Depth=1
	s_or_b64 exec, exec, s[12:13]
	s_and_b64 s[0:1], s[0:1], exec
	s_or_saveexec_b64 s[10:11], s[10:11]
	v_mov_b32_e32 v14, s16
	s_xor_b64 exec, exec, s[10:11]
	s_cbranch_execz .LBB302_501
.LBB302_664:                            ;   in Loop: Header=BB302_363 Depth=1
	v_cmp_ne_u16_sdwa s[12:13], v18, v9 src0_sel:BYTE_0 src1_sel:DWORD
	s_andn2_b64 s[0:1], s[0:1], exec
	s_and_b64 s[12:13], s[12:13], exec
	v_mov_b32_e32 v14, 0
	s_or_b64 s[0:1], s[0:1], s[12:13]
	s_or_b64 exec, exec, s[10:11]
	s_and_saveexec_b64 s[10:11], s[0:1]
	s_cbranch_execnz .LBB302_502
	s_branch .LBB302_503
.LBB302_665:                            ;   in Loop: Header=BB302_363 Depth=1
	v_cmp_eq_u16_e64 s[0:1], s20, v8
	s_mov_b64 s[10:11], -1
                                        ; implicit-def: $sgpr31
	s_and_saveexec_b64 s[16:17], s[0:1]
; %bb.666:                              ;   in Loop: Header=BB302_363 Depth=1
	s_mov_b32 s31, 0x7fc02000
	s_xor_b64 s[10:11], exec, -1
; %bb.667:                              ;   in Loop: Header=BB302_363 Depth=1
	s_or_b64 exec, exec, s[16:17]
	s_and_b64 s[10:11], s[10:11], exec
	s_or_saveexec_b64 s[12:13], s[12:13]
	v_mov_b32_e32 v20, s31
	s_xor_b64 exec, exec, s[12:13]
	s_cbranch_execz .LBB302_505
.LBB302_668:                            ;   in Loop: Header=BB302_363 Depth=1
	v_cmp_ne_u16_e64 s[0:1], 0, v8
	s_andn2_b64 s[10:11], s[10:11], exec
	s_and_b64 s[0:1], s[0:1], exec
	v_mov_b32_e32 v20, 0
	s_or_b64 s[10:11], s[10:11], s[0:1]
	s_or_b64 exec, exec, s[12:13]
	s_and_saveexec_b64 s[12:13], s[10:11]
	s_cbranch_execnz .LBB302_506
	s_branch .LBB302_507
.LBB302_669:                            ;   in Loop: Header=BB302_363 Depth=1
	v_cmp_eq_u16_sdwa s[34:35], v8, s20 src0_sel:BYTE_0 src1_sel:DWORD
	s_mov_b64 s[0:1], -1
                                        ; implicit-def: $sgpr16
	s_and_saveexec_b64 s[12:13], s[34:35]
; %bb.670:                              ;   in Loop: Header=BB302_363 Depth=1
	s_mov_b32 s16, 0x7fc02000
	s_xor_b64 s[0:1], exec, -1
; %bb.671:                              ;   in Loop: Header=BB302_363 Depth=1
	s_or_b64 exec, exec, s[12:13]
	s_and_b64 s[0:1], s[0:1], exec
	s_or_saveexec_b64 s[10:11], s[10:11]
	v_mov_b32_e32 v15, s16
	s_xor_b64 exec, exec, s[10:11]
	s_cbranch_execz .LBB302_509
.LBB302_672:                            ;   in Loop: Header=BB302_363 Depth=1
	v_cmp_ne_u16_sdwa s[12:13], v8, v9 src0_sel:BYTE_0 src1_sel:DWORD
	s_andn2_b64 s[0:1], s[0:1], exec
	s_and_b64 s[12:13], s[12:13], exec
	v_mov_b32_e32 v15, 0
	s_or_b64 s[0:1], s[0:1], s[12:13]
	s_or_b64 exec, exec, s[10:11]
	s_and_saveexec_b64 s[10:11], s[0:1]
	s_cbranch_execnz .LBB302_510
	s_branch .LBB302_511
.LBB302_673:                            ;   in Loop: Header=BB302_363 Depth=1
	v_cmp_eq_u16_e64 s[0:1], s20, v8
	s_mov_b64 s[10:11], -1
                                        ; implicit-def: $sgpr31
	s_and_saveexec_b64 s[16:17], s[0:1]
; %bb.674:                              ;   in Loop: Header=BB302_363 Depth=1
	s_mov_b32 s31, 0x7fc02000
	s_xor_b64 s[10:11], exec, -1
; %bb.675:                              ;   in Loop: Header=BB302_363 Depth=1
	s_or_b64 exec, exec, s[16:17]
	s_and_b64 s[10:11], s[10:11], exec
	s_or_saveexec_b64 s[12:13], s[12:13]
	v_mov_b32_e32 v21, s31
	s_xor_b64 exec, exec, s[12:13]
	s_cbranch_execz .LBB302_513
.LBB302_676:                            ;   in Loop: Header=BB302_363 Depth=1
	v_cmp_ne_u16_e64 s[0:1], 0, v8
	s_andn2_b64 s[10:11], s[10:11], exec
	s_and_b64 s[0:1], s[0:1], exec
	v_mov_b32_e32 v21, 0
	s_or_b64 s[10:11], s[10:11], s[0:1]
	s_or_b64 exec, exec, s[12:13]
	s_and_saveexec_b64 s[12:13], s[10:11]
	s_cbranch_execnz .LBB302_514
	s_branch .LBB302_515
.LBB302_677:                            ;   in Loop: Header=BB302_363 Depth=1
	v_cmp_eq_u16_sdwa s[34:35], v19, s20 src0_sel:BYTE_0 src1_sel:DWORD
	s_mov_b64 s[0:1], -1
                                        ; implicit-def: $sgpr16
	s_and_saveexec_b64 s[12:13], s[34:35]
; %bb.678:                              ;   in Loop: Header=BB302_363 Depth=1
	s_mov_b32 s16, 0x7fc02000
	s_xor_b64 s[0:1], exec, -1
; %bb.679:                              ;   in Loop: Header=BB302_363 Depth=1
	s_or_b64 exec, exec, s[12:13]
	s_and_b64 s[0:1], s[0:1], exec
	s_or_saveexec_b64 s[10:11], s[10:11]
	v_mov_b32_e32 v18, s16
	s_xor_b64 exec, exec, s[10:11]
	s_cbranch_execz .LBB302_517
.LBB302_680:                            ;   in Loop: Header=BB302_363 Depth=1
	v_cmp_ne_u16_sdwa s[12:13], v19, v9 src0_sel:BYTE_0 src1_sel:DWORD
	s_andn2_b64 s[0:1], s[0:1], exec
	s_and_b64 s[12:13], s[12:13], exec
	v_mov_b32_e32 v18, 0
	s_or_b64 s[0:1], s[0:1], s[12:13]
	s_or_b64 exec, exec, s[10:11]
	v_mov_b32_e32 v8, v19
	s_and_saveexec_b64 s[10:11], s[0:1]
	s_cbranch_execnz .LBB302_518
	s_branch .LBB302_519
.LBB302_681:                            ;   in Loop: Header=BB302_363 Depth=1
	v_cmp_eq_u16_e64 s[0:1], s20, v8
	s_mov_b64 s[10:11], -1
                                        ; implicit-def: $sgpr31
	s_and_saveexec_b64 s[16:17], s[0:1]
; %bb.682:                              ;   in Loop: Header=BB302_363 Depth=1
	s_mov_b32 s31, 0x7fc02000
	s_xor_b64 s[10:11], exec, -1
; %bb.683:                              ;   in Loop: Header=BB302_363 Depth=1
	s_or_b64 exec, exec, s[16:17]
	s_and_b64 s[10:11], s[10:11], exec
	s_or_saveexec_b64 s[12:13], s[12:13]
	v_mov_b32_e32 v46, s31
	s_xor_b64 exec, exec, s[12:13]
	s_cbranch_execz .LBB302_521
.LBB302_684:                            ;   in Loop: Header=BB302_363 Depth=1
	v_cmp_ne_u16_e64 s[0:1], 0, v8
	s_andn2_b64 s[10:11], s[10:11], exec
	s_and_b64 s[0:1], s[0:1], exec
	v_mov_b32_e32 v46, 0
	s_or_b64 s[10:11], s[10:11], s[0:1]
	s_or_b64 exec, exec, s[12:13]
	s_and_saveexec_b64 s[12:13], s[10:11]
	s_cbranch_execnz .LBB302_522
	s_branch .LBB302_523
.LBB302_685:                            ;   in Loop: Header=BB302_363 Depth=1
	v_cmp_eq_u16_sdwa s[34:35], v8, s20 src0_sel:BYTE_0 src1_sel:DWORD
	s_mov_b64 s[0:1], -1
                                        ; implicit-def: $sgpr16
	s_and_saveexec_b64 s[12:13], s[34:35]
; %bb.686:                              ;   in Loop: Header=BB302_363 Depth=1
	s_mov_b32 s16, 0x7fc02000
	s_xor_b64 s[0:1], exec, -1
; %bb.687:                              ;   in Loop: Header=BB302_363 Depth=1
	s_or_b64 exec, exec, s[12:13]
	s_and_b64 s[0:1], s[0:1], exec
	s_or_saveexec_b64 s[10:11], s[10:11]
	v_mov_b32_e32 v47, s16
	s_xor_b64 exec, exec, s[10:11]
	s_cbranch_execz .LBB302_525
.LBB302_688:                            ;   in Loop: Header=BB302_363 Depth=1
	v_cmp_ne_u16_sdwa s[12:13], v8, v9 src0_sel:BYTE_0 src1_sel:DWORD
	s_andn2_b64 s[0:1], s[0:1], exec
	s_and_b64 s[12:13], s[12:13], exec
	v_mov_b32_e32 v47, 0
	s_or_b64 s[0:1], s[0:1], s[12:13]
	s_or_b64 exec, exec, s[10:11]
	s_and_saveexec_b64 s[10:11], s[0:1]
	s_cbranch_execnz .LBB302_526
	s_branch .LBB302_527
.LBB302_689:                            ;   in Loop: Header=BB302_363 Depth=1
	v_cmp_eq_u16_e64 s[0:1], s20, v8
	s_mov_b64 s[10:11], -1
                                        ; implicit-def: $sgpr31
	s_and_saveexec_b64 s[16:17], s[0:1]
; %bb.690:                              ;   in Loop: Header=BB302_363 Depth=1
	s_mov_b32 s31, 0x7fc02000
	s_xor_b64 s[10:11], exec, -1
; %bb.691:                              ;   in Loop: Header=BB302_363 Depth=1
	s_or_b64 exec, exec, s[16:17]
	s_and_b64 s[10:11], s[10:11], exec
	s_or_saveexec_b64 s[12:13], s[12:13]
	v_mov_b32_e32 v48, s31
	s_xor_b64 exec, exec, s[12:13]
	s_cbranch_execz .LBB302_529
.LBB302_692:                            ;   in Loop: Header=BB302_363 Depth=1
	v_cmp_ne_u16_e64 s[0:1], 0, v8
	s_andn2_b64 s[10:11], s[10:11], exec
	s_and_b64 s[0:1], s[0:1], exec
	v_mov_b32_e32 v48, 0
	s_or_b64 s[10:11], s[10:11], s[0:1]
	s_or_b64 exec, exec, s[12:13]
	s_and_saveexec_b64 s[12:13], s[10:11]
	s_cbranch_execnz .LBB302_530
	s_branch .LBB302_531
.LBB302_693:
	s_or_b64 exec, exec, s[8:9]
.LBB302_694:
	s_or_b64 exec, exec, s[2:3]
	ds_bpermute_b32 v2, v17, v6
	ds_bpermute_b32 v3, v17, v7
	;; [unrolled: 1-line block ×5, first 2 shown]
	s_waitcnt lgkmcnt(0)
	v_pk_add_f32 v[2:3], v[6:7], v[2:3]
	ds_bpermute_b32 v6, v24, v2
	v_pk_add_f32 v[4:5], v[4:5], v[8:9]
	ds_bpermute_b32 v7, v24, v3
	ds_bpermute_b32 v8, v24, v4
	;; [unrolled: 1-line block ×3, first 2 shown]
	v_add_f32_e32 v10, v26, v10
	ds_bpermute_b32 v11, v24, v10
	s_waitcnt lgkmcnt(3)
	v_pk_add_f32 v[6:7], v[2:3], v[6:7]
	s_barrier
	s_waitcnt lgkmcnt(1)
	v_pk_add_f32 v[2:3], v[4:5], v[8:9]
	v_and_b32_e32 v5, 0x3c3, v0
	s_waitcnt lgkmcnt(0)
	v_add_f32_e32 v4, v10, v11
	v_cmp_eq_u32_e32 vcc, 64, v5
	s_and_saveexec_b64 s[0:1], vcc
	s_cbranch_execz .LBB302_696
; %bb.695:
	v_add_u32_e32 v1, 0xb0, v1
	ds_write2_b32 v1, v6, v7 offset1:16
	ds_write2_b32 v1, v2, v3 offset0:32 offset1:48
	ds_write_b32 v1, v4 offset:256
.LBB302_696:
	s_or_b64 exec, exec, s[0:1]
	v_cmp_gt_u32_e32 vcc, 64, v0
	s_waitcnt lgkmcnt(0)
	s_barrier
	s_and_saveexec_b64 s[0:1], vcc
	s_cbranch_execz .LBB302_704
; %bb.697:
	v_cmp_eq_u32_e32 vcc, 0, v25
	v_lshrrev_b32_e32 v1, 2, v0
	s_and_saveexec_b64 s[2:3], vcc
	s_cbranch_execnz .LBB302_707
; %bb.698:
	s_or_b64 exec, exec, s[2:3]
	s_and_saveexec_b64 s[2:3], vcc
	s_cbranch_execnz .LBB302_708
.LBB302_699:
	s_or_b64 exec, exec, s[2:3]
	s_and_saveexec_b64 s[2:3], vcc
	s_cbranch_execnz .LBB302_709
.LBB302_700:
	s_or_b64 exec, exec, s[2:3]
	s_and_saveexec_b64 s[2:3], vcc
	s_cbranch_execnz .LBB302_710
.LBB302_701:
	s_or_b64 exec, exec, s[2:3]
	s_and_saveexec_b64 s[2:3], vcc
	s_cbranch_execz .LBB302_703
.LBB302_702:
	v_mov_b32_e32 v8, 0xb0
	v_lshl_add_u32 v1, v1, 2, v8
	ds_read_b32 v1, v1 offset:256
	s_waitcnt lgkmcnt(0)
	v_add_f32_e32 v4, v4, v1
.LBB302_703:
	s_or_b64 exec, exec, s[2:3]
.LBB302_704:
	s_or_b64 exec, exec, s[0:1]
	v_cmp_eq_u32_e32 vcc, 0, v5
	s_barrier
	s_and_saveexec_b64 s[0:1], vcc
	s_cbranch_execz .LBB302_706
; %bb.705:
	s_mul_i32 s0, s6, 0x50
	s_ashr_i32 s1, s0, 31
	s_lshl_b64 s[0:1], s[0:1], 1
	s_add_u32 s2, s26, s0
	s_mul_i32 s0, s25, s24
	s_addc_u32 s3, s27, s1
	s_ashr_i32 s1, s0, 31
	s_lshl_b64 s[0:1], s[0:1], 1
	s_add_u32 s2, s2, s0
	s_mul_i32 s0, s4, 0x50
	s_addc_u32 s3, s3, s1
	s_ashr_i32 s1, s0, 31
	s_lshl_b64 s[0:1], s[0:1], 1
	s_add_u32 s0, s2, s0
	s_addc_u32 s1, s3, s1
	v_lshrrev_b32_e32 v0, 1, v0
	;;#ASMSTART
	v_cvt_f16_f32 v1, v6;

	;;#ASMEND
	global_store_short v0, v1, s[0:1]
	;;#ASMSTART
	v_cvt_f16_f32 v1, v7;

	;;#ASMEND
	global_store_short v0, v1, s[0:1] offset:32
	;;#ASMSTART
	v_cvt_f16_f32 v1, v2;

	;;#ASMEND
	global_store_short v0, v1, s[0:1] offset:64
	;; [unrolled: 5-line block ×4, first 2 shown]
.LBB302_706:
	s_endpgm
.LBB302_707:
	v_mov_b32_e32 v8, 0xb0
	v_lshl_add_u32 v8, v1, 2, v8
	ds_read_b32 v8, v8
	s_waitcnt lgkmcnt(0)
	v_add_f32_e32 v6, v6, v8
	s_or_b64 exec, exec, s[2:3]
	s_and_saveexec_b64 s[2:3], vcc
	s_cbranch_execz .LBB302_699
.LBB302_708:
	v_mov_b32_e32 v8, 0xb0
	v_lshl_add_u32 v8, v1, 2, v8
	ds_read_b32 v8, v8 offset:64
	s_waitcnt lgkmcnt(0)
	v_add_f32_e32 v7, v7, v8
	s_or_b64 exec, exec, s[2:3]
	s_and_saveexec_b64 s[2:3], vcc
	s_cbranch_execz .LBB302_700
.LBB302_709:
	v_mov_b32_e32 v8, 0xb0
	v_lshl_add_u32 v8, v1, 2, v8
	ds_read_b32 v8, v8 offset:128
	s_waitcnt lgkmcnt(0)
	v_add_f32_e32 v2, v2, v8
	s_or_b64 exec, exec, s[2:3]
	s_and_saveexec_b64 s[2:3], vcc
	s_cbranch_execz .LBB302_701
.LBB302_710:
	v_mov_b32_e32 v8, 0xb0
	v_lshl_add_u32 v8, v1, 2, v8
	ds_read_b32 v8, v8 offset:192
	s_waitcnt lgkmcnt(0)
	v_add_f32_e32 v3, v3, v8
	s_or_b64 exec, exec, s[2:3]
	s_and_saveexec_b64 s[2:3], vcc
	s_cbranch_execnz .LBB302_702
	s_branch .LBB302_703
	.section	.rodata,"a",@progbits
	.p2align	6, 0x0
	.amdhsa_kernel _ZN4vllm25paged_attention_v2_kernelIthLi80ELi32ELi128ELNS_18Fp8KVCacheDataTypeE1ELb0ELi512EEEvPfS2_PT_PKS3_PKT0_S9_ifPKiSB_iPKfiiiSD_SD_iiiii
		.amdhsa_group_segment_fixed_size 176
		.amdhsa_private_segment_fixed_size 0
		.amdhsa_kernarg_size 400
		.amdhsa_user_sgpr_count 2
		.amdhsa_user_sgpr_dispatch_ptr 0
		.amdhsa_user_sgpr_queue_ptr 0
		.amdhsa_user_sgpr_kernarg_segment_ptr 1
		.amdhsa_user_sgpr_dispatch_id 0
		.amdhsa_user_sgpr_kernarg_preload_length 0
		.amdhsa_user_sgpr_kernarg_preload_offset 0
		.amdhsa_user_sgpr_private_segment_size 0
		.amdhsa_uses_dynamic_stack 0
		.amdhsa_enable_private_segment 0
		.amdhsa_system_sgpr_workgroup_id_x 1
		.amdhsa_system_sgpr_workgroup_id_y 1
		.amdhsa_system_sgpr_workgroup_id_z 1
		.amdhsa_system_sgpr_workgroup_info 0
		.amdhsa_system_vgpr_workitem_id 0
		.amdhsa_next_free_vgpr 68
		.amdhsa_next_free_sgpr 56
		.amdhsa_accum_offset 68
		.amdhsa_reserve_vcc 1
		.amdhsa_float_round_mode_32 0
		.amdhsa_float_round_mode_16_64 0
		.amdhsa_float_denorm_mode_32 3
		.amdhsa_float_denorm_mode_16_64 3
		.amdhsa_dx10_clamp 1
		.amdhsa_ieee_mode 1
		.amdhsa_fp16_overflow 0
		.amdhsa_tg_split 0
		.amdhsa_exception_fp_ieee_invalid_op 0
		.amdhsa_exception_fp_denorm_src 0
		.amdhsa_exception_fp_ieee_div_zero 0
		.amdhsa_exception_fp_ieee_overflow 0
		.amdhsa_exception_fp_ieee_underflow 0
		.amdhsa_exception_fp_ieee_inexact 0
		.amdhsa_exception_int_div_zero 0
	.end_amdhsa_kernel
	.section	.text._ZN4vllm25paged_attention_v2_kernelIthLi80ELi32ELi128ELNS_18Fp8KVCacheDataTypeE1ELb0ELi512EEEvPfS2_PT_PKS3_PKT0_S9_ifPKiSB_iPKfiiiSD_SD_iiiii,"axG",@progbits,_ZN4vllm25paged_attention_v2_kernelIthLi80ELi32ELi128ELNS_18Fp8KVCacheDataTypeE1ELb0ELi512EEEvPfS2_PT_PKS3_PKT0_S9_ifPKiSB_iPKfiiiSD_SD_iiiii,comdat
.Lfunc_end302:
	.size	_ZN4vllm25paged_attention_v2_kernelIthLi80ELi32ELi128ELNS_18Fp8KVCacheDataTypeE1ELb0ELi512EEEvPfS2_PT_PKS3_PKT0_S9_ifPKiSB_iPKfiiiSD_SD_iiiii, .Lfunc_end302-_ZN4vllm25paged_attention_v2_kernelIthLi80ELi32ELi128ELNS_18Fp8KVCacheDataTypeE1ELb0ELi512EEEvPfS2_PT_PKS3_PKT0_S9_ifPKiSB_iPKfiiiSD_SD_iiiii
                                        ; -- End function
	.section	.AMDGPU.csdata,"",@progbits
; Kernel info:
; codeLenInByte = 27788
; NumSgprs: 62
; NumVgprs: 68
; NumAgprs: 0
; TotalNumVgprs: 68
; ScratchSize: 0
; MemoryBound: 0
; FloatMode: 240
; IeeeMode: 1
; LDSByteSize: 176 bytes/workgroup (compile time only)
; SGPRBlocks: 7
; VGPRBlocks: 8
; NumSGPRsForWavesPerEU: 62
; NumVGPRsForWavesPerEU: 68
; AccumOffset: 68
; Occupancy: 7
; WaveLimiterHint : 1
; COMPUTE_PGM_RSRC2:SCRATCH_EN: 0
; COMPUTE_PGM_RSRC2:USER_SGPR: 2
; COMPUTE_PGM_RSRC2:TRAP_HANDLER: 0
; COMPUTE_PGM_RSRC2:TGID_X_EN: 1
; COMPUTE_PGM_RSRC2:TGID_Y_EN: 1
; COMPUTE_PGM_RSRC2:TGID_Z_EN: 1
; COMPUTE_PGM_RSRC2:TIDIG_COMP_CNT: 0
; COMPUTE_PGM_RSRC3_GFX90A:ACCUM_OFFSET: 16
; COMPUTE_PGM_RSRC3_GFX90A:TG_SPLIT: 0
	.text
	.p2align	2                               ; -- Begin function _ZN4vllm22paged_attention_kernelIthLi96ELi32ELi128ELNS_18Fp8KVCacheDataTypeE1ELb0ELi512EEEvPfS2_PT_PKS3_PKT0_S9_ifPKiSB_iPKfiiiSD_SD_iiiii
	.type	_ZN4vllm22paged_attention_kernelIthLi96ELi32ELi128ELNS_18Fp8KVCacheDataTypeE1ELb0ELi512EEEvPfS2_PT_PKS3_PKT0_S9_ifPKiSB_iPKfiiiSD_SD_iiiii,@function
_ZN4vllm22paged_attention_kernelIthLi96ELi32ELi128ELNS_18Fp8KVCacheDataTypeE1ELb0ELi512EEEvPfS2_PT_PKS3_PKT0_S9_ifPKiSB_iPKfiiiSD_SD_iiiii: ; @_ZN4vllm22paged_attention_kernelIthLi96ELi32ELi128ELNS_18Fp8KVCacheDataTypeE1ELb0ELi512EEEvPfS2_PT_PKS3_PKT0_S9_ifPKiSB_iPKfiiiSD_SD_iiiii
; %bb.0:
	s_waitcnt vmcnt(0) expcnt(0) lgkmcnt(0)
	s_or_saveexec_b64 s[0:1], -1
	scratch_store_dword off, v63, s32 offset:100 ; 4-byte Folded Spill
	s_mov_b64 exec, s[0:1]
	scratch_store_dword off, v40, s32 offset:88 ; 4-byte Folded Spill
	scratch_store_dword off, v41, s32 offset:84 ; 4-byte Folded Spill
	;; [unrolled: 1-line block ×22, first 2 shown]
	scratch_store_dword off, a39, s32       ; 4-byte Folded Spill
	v_writelane_b32 v63, s34, 0
	v_writelane_b32 v63, s35, 1
	;; [unrolled: 1-line block ×5, first 2 shown]
	s_nop 1
	v_writelane_b32 v63, s31, 5
	s_mov_b32 s20, s13
	v_accvgpr_write_b32 a4, v26
	s_ashr_i32 s21, s13, 31
	v_accvgpr_write_b32 a5, v27
	v_mov_b32_e32 v27, v1
	v_mov_b32_e32 v26, v0
	v_lshl_add_u64 v[0:1], s[20:21], 2, v[16:17]
	flat_load_dword v0, v[0:1]
	v_accvgpr_write_b32 a27, v25
	s_lshl_b32 s21, s14, 9
	v_accvgpr_write_b32 a26, v24
	v_accvgpr_write_b32 a6, v22
	v_mov_b32_e32 v29, v20
	v_mov_b32_e32 v28, v19
	;; [unrolled: 1-line block ×4, first 2 shown]
	v_accvgpr_write_b32 a28, v13
	v_mov_b32_e32 v35, v3
	v_mov_b32_e32 v34, v2
	s_waitcnt vmcnt(0) lgkmcnt(0)
	v_accvgpr_write_b32 a8, v0
	v_cmp_lt_i32_e32 vcc, s21, v0
	s_and_saveexec_b64 s[10:11], vcc
	s_cbranch_execz .LBB303_837
; %bb.1:
	v_sub_u32_e32 v0, 0, v12
	v_max_i32_e32 v0, v12, v0
	v_cvt_f32_u32_e32 v1, v0
	s_load_dword s0, s[8:9], 0x10
	s_load_dword s2, s[8:9], 0x0
	v_sub_u32_e32 v3, 0, v0
	s_mov_b32 s16, s15
	v_rcp_iflag_f32_e32 v1, v1
	s_waitcnt lgkmcnt(0)
	s_lshr_b32 s0, s0, 16
	s_cmp_lg_u32 s0, 0
	s_cselect_b64 s[0:1], -1, 0
	v_mul_f32_e32 v1, 0x4f7ffffe, v1
	v_cvt_u32_f32_e32 v1, v1
	s_cmp_lg_u64 s[0:1], 0
	s_addc_u32 s15, s2, 0
	s_abs_i32 s0, s15
	v_mul_lo_u32 v3, v3, v1
	v_mul_hi_u32 v3, v1, v3
	v_add_u32_e32 v1, v1, v3
	v_mul_hi_u32 v1, s0, v1
	v_mul_lo_u32 v3, v1, v0
	v_accvgpr_write_b32 a0, v4
	v_sub_u32_e32 v3, s0, v3
	v_accvgpr_write_b32 a1, v5
	v_add_u32_e32 v4, 1, v1
	v_cmp_ge_u32_e32 vcc, v3, v0
	v_xor_b32_e32 v2, s15, v12
	v_ashrrev_i32_e32 v2, 31, v2
	v_cndmask_b32_e32 v1, v1, v4, vcc
	v_sub_u32_e32 v4, v3, v0
	v_cndmask_b32_e32 v3, v3, v4, vcc
	v_add_u32_e32 v4, 1, v1
	v_cmp_ge_u32_e32 vcc, v3, v0
	s_abs_i32 s2, s12
	s_nop 0
	v_cndmask_b32_e32 v0, v1, v4, vcc
	v_xor_b32_e32 v0, v0, v2
	v_sub_u32_e32 v1, v0, v2
	v_sub_u32_e32 v0, 0, v1
	v_max_i32_e32 v0, v1, v0
	v_cvt_f32_u32_e32 v2, v0
	v_sub_u32_e32 v3, 0, v0
	v_cmp_ne_u64_e32 vcc, 0, v[28:29]
	v_rcp_iflag_f32_e32 v2, v2
	s_nop 0
	v_mul_f32_e32 v2, 0x4f7ffffe, v2
	v_cvt_u32_f32_e32 v2, v2
	v_mul_lo_u32 v3, v3, v2
	v_mul_hi_u32 v3, v2, v3
	v_add_u32_e32 v2, v2, v3
	v_mad_u64_u32 v[32:33], s[0:1], s2, v2, 0
	v_mov_b32_e32 v2, 0
	scratch_store_dword off, v2, s32 offset:96 ; 4-byte Folded Spill
	s_and_saveexec_b64 s[0:1], vcc
	s_cbranch_execz .LBB303_3
; %bb.2:
	s_ashr_i32 s13, s12, 31
	v_lshl_add_u64 v[2:3], s[12:13], 2, v[28:29]
	flat_load_dword v2, v[2:3]
	s_waitcnt vmcnt(0) lgkmcnt(0)
	scratch_store_dword off, v2, s32 offset:96 ; 4-byte Folded Spill
.LBB303_3:
	s_or_b64 exec, exec, s[0:1]
	v_and_b32_e32 v12, 0x3ff, v31
	s_ashr_i32 s3, s12, 31
	v_ashrrev_i32_e32 v2, 31, v1
	v_and_b32_e32 v1, 1, v12
	s_movk_i32 s4, 0x60
	s_mul_i32 s18, s12, 0x60
	v_cmp_gt_u32_e32 vcc, 24, v12
	v_lshlrev_b32_e32 v16, 3, v12
	s_and_saveexec_b64 s[0:1], vcc
	s_cbranch_execz .LBB303_5
; %bb.4:
	v_mul_lo_u32 v4, s20, v21
	v_ashrrev_i32_e32 v5, 31, v4
	v_lshl_add_u64 v[4:5], v[4:5], 1, v[6:7]
	s_ashr_i32 s19, s18, 31
	v_lshl_add_u64 v[4:5], s[18:19], 1, v[4:5]
	v_mov_b32_e32 v17, 0
	v_lshl_add_u64 v[4:5], v[4:5], 0, v[16:17]
	flat_load_dwordx2 v[4:5], v[4:5]
	v_lshlrev_b32_e32 v3, 2, v12
	v_and_b32_e32 v3, 0xff8, v3
	v_mad_u32_u24 v3, v1, s4, v3
	s_waitcnt vmcnt(0) lgkmcnt(0)
	ds_write_b64 v3, v[4:5]
.LBB303_5:
	s_or_b64 exec, exec, s[0:1]
	v_accvgpr_read_b32 v4, a8
	v_add_u32_e32 v3, 31, v4
	v_ashrrev_i32_e32 v4, 31, v3
	v_lshrrev_b32_e32 v4, 27, v4
	v_add_u32_e32 v3, v3, v4
	v_ashrrev_i32_e32 v22, 5, v3
	v_mul_lo_u32 v3, v33, v0
	v_sub_u32_e32 v3, s2, v3
	v_add_u32_e32 v4, 1, v33
	v_cmp_ge_u32_e32 vcc, v3, v0
	v_sub_u32_e32 v5, v3, v0
	s_lshl_b32 s19, s14, 4
	v_cndmask_b32_e32 v4, v33, v4, vcc
	v_cndmask_b32_e32 v3, v3, v5, vcc
	v_add_u32_e32 v5, 1, v4
	v_cmp_ge_u32_e32 vcc, v3, v0
	v_xor_b32_e32 v2, s3, v2
	s_add_i32 s0, s19, 16
	v_cndmask_b32_e32 v0, v4, v5, vcc
	v_lshrrev_b32_e32 v17, 6, v12
	v_xor_b32_e32 v0, v0, v2
	v_min_i32_e32 v6, s0, v22
	v_sub_u32_e32 v3, v0, v2
	v_mul_lo_u32 v28, s20, v18
	v_or_b32_e32 v0, s19, v17
	v_accvgpr_write_b32 a2, v12
	v_ashrrev_i32_e32 v29, 31, v28
	v_cmp_lt_i32_e64 s[0:1], v0, v6
	v_accvgpr_write_b32 a3, v6
	v_mov_b32_e32 v4, v0
	v_cmp_ge_i32_e32 vcc, v0, v6
	v_mbcnt_lo_u32_b32 v2, -1, 0
	s_waitcnt lgkmcnt(0)
	s_barrier
	s_waitcnt lgkmcnt(0)
                                        ; implicit-def: $sgpr4
                                        ; implicit-def: $agpr29
                                        ; implicit-def: $vgpr0
	s_and_saveexec_b64 s[2:3], vcc
	s_xor_b64 s[2:3], exec, s[2:3]
; %bb.6:
	v_mbcnt_hi_u32_b32 v0, -1, v2
	v_accvgpr_write_b32 a29, v0
	v_and_b32_e32 v0, 64, v0
	v_add_u32_e32 v0, 64, v0
	s_mov_b32 s4, 0xff7fffff
                                        ; implicit-def: $vgpr1
                                        ; kill: killed $vgpr1
                                        ; implicit-def: $agpr28
                                        ; implicit-def: $agpr26
                                        ; implicit-def: $vgpr8
                                        ; implicit-def: $vgpr1
                                        ; implicit-def: $vgpr2
; %bb.7:
	s_or_saveexec_b64 s[6:7], s[2:3]
	s_load_dword s30, s[8:9], 0x14
	s_load_dword s13, s[8:9], 0x8
	v_ashrrev_i32_e32 v5, 31, v4
	v_mul_lo_u32 v36, v3, v23
	v_accvgpr_write_b32 a11, v5
	v_mov_b32_e32 v7, s4
	v_accvgpr_write_b32 a10, v4
	v_ashrrev_i32_e32 v37, 31, v36
	v_lshlrev_b32_e32 v30, 5, v17
	s_xor_b64 exec, exec, s[6:7]
	s_cbranch_execz .LBB303_397
; %bb.8:
	v_accvgpr_read_b32 v0, a2
	v_bfe_u32 v3, v0, 1, 5
	v_mul_u32_u24_e32 v0, 0x60, v1
	v_accvgpr_write_b32 a34, v0
	scratch_load_dword v0, off, s32 offset:96 ; 4-byte Folded Reload
	v_lshl_add_u64 v[4:5], v[8:9], 0, v[36:37]
	v_lshlrev_b32_e32 v8, 4, v3
	v_mov_b32_e32 v9, 0
	v_lshl_add_u64 v[4:5], v[4:5], 0, v[8:9]
	v_accvgpr_write_b32 a31, v5
	v_accvgpr_write_b32 a30, v4
	v_mov_b32_e32 v5, v9
	v_lshlrev_b32_e32 v4, 2, v1
	v_accvgpr_write_b32 a33, v5
	v_accvgpr_write_b32 a32, v4
	v_accvgpr_read_b32 v4, a10
	v_accvgpr_read_b32 v5, a11
	v_cmp_eq_u32_e32 vcc, 0, v1
	s_ashr_i32 s17, s16, 31
	s_lshl_b64 s[4:5], s[16:17], 2
	s_getpc_b64 s[8:9]
	s_add_u32 s8, s8, llvm.amdgcn.dynlds.offset.table@rel32@lo+4
	s_addc_u32 s9, s9, llvm.amdgcn.dynlds.offset.table@rel32@hi+12
	v_accvgpr_write_b32 a18, v34
	v_accvgpr_write_b32 a16, v26
	;; [unrolled: 1-line block ×4, first 2 shown]
	s_add_u32 s8, s4, s8
	v_accvgpr_write_b32 a22, v28
	v_accvgpr_write_b32 a12, v24
	;; [unrolled: 1-line block ×8, first 2 shown]
	s_addc_u32 s9, s5, s9
	v_accvgpr_write_b32 a23, v29
	v_accvgpr_write_b32 a13, v25
	;; [unrolled: 1-line block ×4, first 2 shown]
	s_mov_b64 s[22:23], 0
	s_movk_i32 s17, 0x7f
	s_movk_i32 s31, 0x80
	s_mov_b32 s34, 0x8000
	v_mov_b32_e32 v55, 0x1c00
	v_mov_b32_e32 v40, v4
	s_waitcnt vmcnt(0)
	v_cmp_neq_f32_e64 s[2:3], 0, v0
	v_lshlrev_b64 v[0:1], 2, v[4:5]
	v_lshl_add_u64 v[0:1], v[28:29], 2, v[0:1]
	v_lshl_add_u64 v[0:1], v[24:25], 0, v[0:1]
	v_accvgpr_write_b32 a37, v1
	v_accvgpr_write_b32 a36, v0
	v_accvgpr_read_b32 v0, a8
	v_sub_u32_e32 v0, 1, v0
	v_accvgpr_write_b32 a35, v0
	v_add3_u32 v0, s21, v30, v3
	v_accvgpr_write_b32 a38, v0
	v_lshlrev_b32_e32 v0, 2, v3
	v_lshl_or_b32 v0, v17, 7, v0
	v_accvgpr_write_b32 a39, v0
	v_mov_b32_e32 v0, 0xff7fffff
	scratch_store_dword off, v0, s32 offset:92 ; 4-byte Folded Spill
	v_mbcnt_hi_u32_b32 v0, -1, v2
	v_accvgpr_write_b32 a29, v0
	s_branch .LBB303_10
.LBB303_9:                              ;   in Loop: Header=BB303_10 Depth=1
	s_or_b64 exec, exec, s[24:25]
	v_accvgpr_read_b32 v1, a38
	s_waitcnt lgkmcnt(0)
	v_accvgpr_read_b32 v2, a36
	v_add_u32_e32 v1, 64, v1
	v_add_u32_e32 v40, 2, v40
	v_accvgpr_read_b32 v3, a37
	v_accvgpr_write_b32 a38, v1
	v_accvgpr_read_b32 v1, a3
	v_lshl_add_u64 v[2:3], v[2:3], 0, 8
	v_cmp_ge_i32_e64 s[4:5], v40, v1
	v_accvgpr_read_b32 v1, a39
	v_accvgpr_write_b32 a37, v3
	v_add_u32_e32 v1, 0x100, v1
	v_accvgpr_write_b32 a36, v2
	s_or_b64 s[22:23], s[4:5], s[22:23]
	v_accvgpr_write_b32 a39, v1
	s_andn2_b64 exec, exec, s[22:23]
	s_cbranch_execz .LBB303_396
.LBB303_10:                             ; =>This Inner Loop Header: Depth=1
	v_accvgpr_read_b32 v0, a36
	v_accvgpr_read_b32 v1, a37
	flat_load_dword v0, v[0:1]
	v_accvgpr_read_b32 v4, a30
	v_accvgpr_read_b32 v2, a6
	;; [unrolled: 1-line block ×3, first 2 shown]
                                        ; implicit-def: $sgpr28
	s_waitcnt vmcnt(0) lgkmcnt(0)
	v_mad_i64_i32 v[0:1], s[4:5], v0, v2, v[4:5]
	v_accvgpr_read_b32 v2, a32
	v_accvgpr_read_b32 v3, a33
	v_lshl_add_u64 v[36:37], v[0:1], 0, v[2:3]
	v_accvgpr_read_b32 v0, a26
	flat_load_dword v12, v[36:37]
	v_accvgpr_read_b32 v1, a27
	flat_load_dword v41, v[0:1]
	s_mov_b64 s[4:5], 0
	s_waitcnt vmcnt(0) lgkmcnt(0)
	v_cmp_gt_i16_sdwa s[24:25], v12, s17 src0_sel:BYTE_0 src1_sel:DWORD
	s_and_saveexec_b64 s[26:27], s[24:25]
	s_xor_b64 s[24:25], exec, s[26:27]
	s_cbranch_execnz .LBB303_204
; %bb.11:                               ;   in Loop: Header=BB303_10 Depth=1
	s_or_saveexec_b64 s[24:25], s[24:25]
	v_mov_b32_e32 v6, s28
	s_xor_b64 exec, exec, s[24:25]
	s_cbranch_execnz .LBB303_207
.LBB303_12:                             ;   in Loop: Header=BB303_10 Depth=1
	s_or_b64 exec, exec, s[24:25]
	s_and_saveexec_b64 s[24:25], s[4:5]
	s_cbranch_execz .LBB303_14
.LBB303_13:                             ;   in Loop: Header=BB303_10 Depth=1
	v_and_b32_e32 v2, 7, v12
	v_ffbh_u32_e32 v0, v2
	v_min_u32_e32 v4, 32, v0
	v_subrev_u32_e32 v0, 28, v4
	v_bfe_u32 v3, v12, 3, 4
	v_lshlrev_b64 v[0:1], v0, v[12:13]
	v_sub_u32_e32 v1, 29, v4
	v_cmp_eq_u32_e64 s[4:5], 0, v3
	v_and_b32_e32 v0, 7, v0
	s_nop 0
	v_cndmask_b32_e64 v1, v3, v1, s[4:5]
	v_cndmask_b32_e64 v0, v2, v0, s[4:5]
	v_lshlrev_b32_e32 v2, 8, v12
	v_lshl_add_u32 v1, v1, 10, v55
	v_and_or_b32 v1, v2, s34, v1
	v_lshl_or_b32 v0, v0, 7, v1
	v_cvt_f32_f16_e32 v6, v0
.LBB303_14:                             ;   in Loop: Header=BB303_10 Depth=1
	s_or_b64 exec, exec, s[24:25]
	v_lshrrev_b16_e32 v8, 8, v12
	v_cmp_lt_i16_e64 s[4:5], s17, v8
	s_mov_b64 s[24:25], 0
                                        ; implicit-def: $sgpr35
	s_and_saveexec_b64 s[26:27], s[4:5]
	s_xor_b64 s[26:27], exec, s[26:27]
	s_cbranch_execnz .LBB303_208
; %bb.15:                               ;   in Loop: Header=BB303_10 Depth=1
	s_or_saveexec_b64 s[26:27], s[26:27]
	v_mov_b32_e32 v7, s35
	s_xor_b64 exec, exec, s[26:27]
	s_cbranch_execnz .LBB303_211
.LBB303_16:                             ;   in Loop: Header=BB303_10 Depth=1
	s_or_b64 exec, exec, s[26:27]
	s_and_saveexec_b64 s[26:27], s[24:25]
	s_cbranch_execz .LBB303_18
.LBB303_17:                             ;   in Loop: Header=BB303_10 Depth=1
	v_and_b32_e32 v2, 7, v8
	v_ffbh_u32_e32 v0, v2
	v_min_u32_e32 v4, 32, v0
	v_subrev_u32_e32 v0, 28, v4
	v_bfe_u32 v3, v8, 3, 4
	v_lshlrev_b64 v[0:1], v0, v[8:9]
	v_sub_u32_e32 v1, 29, v4
	v_cmp_eq_u32_e64 s[4:5], 0, v3
	v_and_b32_e32 v0, 7, v0
	s_nop 0
	v_cndmask_b32_e64 v1, v3, v1, s[4:5]
	v_cndmask_b32_e64 v0, v2, v0, s[4:5]
	v_lshlrev_b32_e32 v2, 8, v8
	v_lshl_add_u32 v1, v1, 10, v55
	v_and_or_b32 v1, v2, s34, v1
	v_lshl_or_b32 v0, v0, 7, v1
	v_cvt_f32_f16_e32 v7, v0
.LBB303_18:                             ;   in Loop: Header=BB303_10 Depth=1
	s_or_b64 exec, exec, s[26:27]
	v_lshrrev_b32_e32 v8, 16, v12
	v_cmp_gt_i16_sdwa s[24:25], v8, s17 src0_sel:BYTE_0 src1_sel:DWORD
	s_mov_b64 s[4:5], 0
                                        ; implicit-def: $sgpr28
	s_and_saveexec_b64 s[26:27], s[24:25]
	s_xor_b64 s[24:25], exec, s[26:27]
	s_cbranch_execnz .LBB303_212
; %bb.19:                               ;   in Loop: Header=BB303_10 Depth=1
	s_or_saveexec_b64 s[24:25], s[24:25]
	v_mov_b32_e32 v16, s28
	s_xor_b64 exec, exec, s[24:25]
	s_cbranch_execnz .LBB303_215
.LBB303_20:                             ;   in Loop: Header=BB303_10 Depth=1
	s_or_b64 exec, exec, s[24:25]
	s_and_saveexec_b64 s[24:25], s[4:5]
	s_cbranch_execz .LBB303_22
.LBB303_21:                             ;   in Loop: Header=BB303_10 Depth=1
	v_bfe_u32 v2, v12, 16, 3
	v_ffbh_u32_e32 v0, v2
	v_min_u32_e32 v4, 32, v0
	v_subrev_u32_e32 v0, 28, v4
	v_bfe_u32 v3, v12, 19, 4
	v_lshlrev_b64 v[0:1], v0, v[8:9]
	v_sub_u32_e32 v1, 29, v4
	v_cmp_eq_u32_e64 s[4:5], 0, v3
	v_and_b32_e32 v0, 7, v0
	s_nop 0
	v_cndmask_b32_e64 v1, v3, v1, s[4:5]
	v_cndmask_b32_e64 v0, v2, v0, s[4:5]
	v_lshlrev_b32_e32 v2, 8, v8
	v_lshl_add_u32 v1, v1, 10, v55
	v_and_or_b32 v1, v2, s34, v1
	v_lshl_or_b32 v0, v0, 7, v1
	v_cvt_f32_f16_e32 v16, v0
.LBB303_22:                             ;   in Loop: Header=BB303_10 Depth=1
	s_or_b64 exec, exec, s[24:25]
	v_lshrrev_b32_e32 v8, 24, v12
	v_cmp_lt_i16_e64 s[4:5], s17, v8
	s_mov_b64 s[24:25], 0
                                        ; implicit-def: $sgpr35
	s_and_saveexec_b64 s[26:27], s[4:5]
	s_xor_b64 s[26:27], exec, s[26:27]
	s_cbranch_execnz .LBB303_216
; %bb.23:                               ;   in Loop: Header=BB303_10 Depth=1
	s_or_saveexec_b64 s[26:27], s[26:27]
	v_mov_b32_e32 v23, s35
	s_xor_b64 exec, exec, s[26:27]
	s_cbranch_execnz .LBB303_219
.LBB303_24:                             ;   in Loop: Header=BB303_10 Depth=1
	s_or_b64 exec, exec, s[26:27]
	s_and_saveexec_b64 s[26:27], s[24:25]
	s_cbranch_execz .LBB303_26
.LBB303_25:                             ;   in Loop: Header=BB303_10 Depth=1
	v_bfe_u32 v2, v12, 24, 3
	v_ffbh_u32_e32 v0, v2
	v_min_u32_e32 v4, 32, v0
	v_subrev_u32_e32 v0, 28, v4
	v_bfe_u32 v3, v12, 27, 4
	v_lshlrev_b64 v[0:1], v0, v[8:9]
	v_sub_u32_e32 v1, 29, v4
	v_cmp_eq_u32_e64 s[4:5], 0, v3
	v_and_b32_e32 v0, 7, v0
	s_nop 0
	v_cndmask_b32_e64 v1, v3, v1, s[4:5]
	v_cndmask_b32_e64 v0, v2, v0, s[4:5]
	v_lshlrev_b32_e32 v2, 8, v8
	v_lshl_add_u32 v1, v1, 10, v55
	v_and_or_b32 v1, v2, s34, v1
	v_lshl_or_b32 v0, v0, 7, v1
	v_cvt_f32_f16_e32 v23, v0
.LBB303_26:                             ;   in Loop: Header=BB303_10 Depth=1
	s_or_b64 exec, exec, s[26:27]
	flat_load_dword v12, v[36:37] offset:8
	s_mov_b64 s[4:5], 0
                                        ; implicit-def: $sgpr28
	s_waitcnt vmcnt(0) lgkmcnt(0)
	v_cmp_gt_i16_sdwa s[24:25], v12, s17 src0_sel:BYTE_0 src1_sel:DWORD
	s_and_saveexec_b64 s[26:27], s[24:25]
	s_xor_b64 s[24:25], exec, s[26:27]
	s_cbranch_execnz .LBB303_220
; %bb.27:                               ;   in Loop: Header=BB303_10 Depth=1
	s_or_saveexec_b64 s[24:25], s[24:25]
	v_mov_b32_e32 v34, s28
	s_xor_b64 exec, exec, s[24:25]
	s_cbranch_execnz .LBB303_223
.LBB303_28:                             ;   in Loop: Header=BB303_10 Depth=1
	s_or_b64 exec, exec, s[24:25]
	s_and_saveexec_b64 s[24:25], s[4:5]
	s_cbranch_execz .LBB303_30
.LBB303_29:                             ;   in Loop: Header=BB303_10 Depth=1
	v_and_b32_e32 v2, 7, v12
	v_ffbh_u32_e32 v0, v2
	v_min_u32_e32 v4, 32, v0
	v_subrev_u32_e32 v0, 28, v4
	v_bfe_u32 v3, v12, 3, 4
	v_lshlrev_b64 v[0:1], v0, v[12:13]
	v_sub_u32_e32 v1, 29, v4
	v_cmp_eq_u32_e64 s[4:5], 0, v3
	v_and_b32_e32 v0, 7, v0
	s_nop 0
	v_cndmask_b32_e64 v1, v3, v1, s[4:5]
	v_cndmask_b32_e64 v0, v2, v0, s[4:5]
	v_lshlrev_b32_e32 v2, 8, v12
	v_lshl_add_u32 v1, v1, 10, v55
	v_and_or_b32 v1, v2, s34, v1
	v_lshl_or_b32 v0, v0, 7, v1
	v_cvt_f32_f16_e32 v34, v0
.LBB303_30:                             ;   in Loop: Header=BB303_10 Depth=1
	s_or_b64 exec, exec, s[24:25]
	v_lshrrev_b16_e32 v8, 8, v12
	v_cmp_lt_i16_e64 s[4:5], s17, v8
	s_mov_b64 s[24:25], 0
                                        ; implicit-def: $sgpr35
	s_and_saveexec_b64 s[26:27], s[4:5]
	s_xor_b64 s[26:27], exec, s[26:27]
	s_cbranch_execnz .LBB303_224
; %bb.31:                               ;   in Loop: Header=BB303_10 Depth=1
	s_or_saveexec_b64 s[26:27], s[26:27]
	v_mov_b32_e32 v35, s35
	s_xor_b64 exec, exec, s[26:27]
	s_cbranch_execnz .LBB303_227
.LBB303_32:                             ;   in Loop: Header=BB303_10 Depth=1
	s_or_b64 exec, exec, s[26:27]
	s_and_saveexec_b64 s[26:27], s[24:25]
	s_cbranch_execz .LBB303_34
.LBB303_33:                             ;   in Loop: Header=BB303_10 Depth=1
	v_and_b32_e32 v2, 7, v8
	v_ffbh_u32_e32 v0, v2
	v_min_u32_e32 v4, 32, v0
	v_subrev_u32_e32 v0, 28, v4
	v_bfe_u32 v3, v8, 3, 4
	v_lshlrev_b64 v[0:1], v0, v[8:9]
	v_sub_u32_e32 v1, 29, v4
	v_cmp_eq_u32_e64 s[4:5], 0, v3
	v_and_b32_e32 v0, 7, v0
	s_nop 0
	v_cndmask_b32_e64 v1, v3, v1, s[4:5]
	v_cndmask_b32_e64 v0, v2, v0, s[4:5]
	v_lshlrev_b32_e32 v2, 8, v8
	v_lshl_add_u32 v1, v1, 10, v55
	v_and_or_b32 v1, v2, s34, v1
	v_lshl_or_b32 v0, v0, 7, v1
	v_cvt_f32_f16_e32 v35, v0
.LBB303_34:                             ;   in Loop: Header=BB303_10 Depth=1
	s_or_b64 exec, exec, s[26:27]
	v_lshrrev_b32_e32 v8, 16, v12
	v_cmp_gt_i16_sdwa s[24:25], v8, s17 src0_sel:BYTE_0 src1_sel:DWORD
	s_mov_b64 s[4:5], 0
                                        ; implicit-def: $sgpr28
	s_and_saveexec_b64 s[26:27], s[24:25]
	s_xor_b64 s[24:25], exec, s[26:27]
	s_cbranch_execnz .LBB303_228
; %bb.35:                               ;   in Loop: Header=BB303_10 Depth=1
	s_or_saveexec_b64 s[24:25], s[24:25]
	v_mov_b32_e32 v56, s28
	s_xor_b64 exec, exec, s[24:25]
	s_cbranch_execnz .LBB303_231
.LBB303_36:                             ;   in Loop: Header=BB303_10 Depth=1
	s_or_b64 exec, exec, s[24:25]
	s_and_saveexec_b64 s[24:25], s[4:5]
	s_cbranch_execz .LBB303_38
.LBB303_37:                             ;   in Loop: Header=BB303_10 Depth=1
	v_bfe_u32 v2, v12, 16, 3
	v_ffbh_u32_e32 v0, v2
	v_min_u32_e32 v4, 32, v0
	v_subrev_u32_e32 v0, 28, v4
	v_bfe_u32 v3, v12, 19, 4
	v_lshlrev_b64 v[0:1], v0, v[8:9]
	v_sub_u32_e32 v1, 29, v4
	v_cmp_eq_u32_e64 s[4:5], 0, v3
	v_and_b32_e32 v0, 7, v0
	s_nop 0
	v_cndmask_b32_e64 v1, v3, v1, s[4:5]
	v_cndmask_b32_e64 v0, v2, v0, s[4:5]
	v_lshlrev_b32_e32 v2, 8, v8
	v_lshl_add_u32 v1, v1, 10, v55
	v_and_or_b32 v1, v2, s34, v1
	v_lshl_or_b32 v0, v0, 7, v1
	v_cvt_f32_f16_e32 v56, v0
.LBB303_38:                             ;   in Loop: Header=BB303_10 Depth=1
	s_or_b64 exec, exec, s[24:25]
	v_lshrrev_b32_e32 v8, 24, v12
	v_cmp_lt_i16_e64 s[4:5], s17, v8
	s_mov_b64 s[24:25], 0
                                        ; implicit-def: $sgpr35
	s_and_saveexec_b64 s[26:27], s[4:5]
	s_xor_b64 s[26:27], exec, s[26:27]
	s_cbranch_execnz .LBB303_232
; %bb.39:                               ;   in Loop: Header=BB303_10 Depth=1
	s_or_saveexec_b64 s[26:27], s[26:27]
	v_mov_b32_e32 v57, s35
	s_xor_b64 exec, exec, s[26:27]
	s_cbranch_execnz .LBB303_235
.LBB303_40:                             ;   in Loop: Header=BB303_10 Depth=1
	s_or_b64 exec, exec, s[26:27]
	s_and_saveexec_b64 s[26:27], s[24:25]
	s_cbranch_execz .LBB303_42
.LBB303_41:                             ;   in Loop: Header=BB303_10 Depth=1
	v_bfe_u32 v2, v12, 24, 3
	v_ffbh_u32_e32 v0, v2
	v_min_u32_e32 v4, 32, v0
	v_subrev_u32_e32 v0, 28, v4
	v_bfe_u32 v3, v12, 27, 4
	v_lshlrev_b64 v[0:1], v0, v[8:9]
	v_sub_u32_e32 v1, 29, v4
	v_cmp_eq_u32_e64 s[4:5], 0, v3
	v_and_b32_e32 v0, 7, v0
	s_nop 0
	v_cndmask_b32_e64 v1, v3, v1, s[4:5]
	v_cndmask_b32_e64 v0, v2, v0, s[4:5]
	v_lshlrev_b32_e32 v2, 8, v8
	v_lshl_add_u32 v1, v1, 10, v55
	v_and_or_b32 v1, v2, s34, v1
	v_lshl_or_b32 v0, v0, 7, v1
	v_cvt_f32_f16_e32 v57, v0
.LBB303_42:                             ;   in Loop: Header=BB303_10 Depth=1
	s_or_b64 exec, exec, s[26:27]
	flat_load_dword v12, v[36:37] offset:512
	s_mov_b64 s[4:5], 0
                                        ; implicit-def: $sgpr28
	s_waitcnt vmcnt(0) lgkmcnt(0)
	v_cmp_gt_i16_sdwa s[24:25], v12, s17 src0_sel:BYTE_0 src1_sel:DWORD
	s_and_saveexec_b64 s[26:27], s[24:25]
	s_xor_b64 s[24:25], exec, s[26:27]
	s_cbranch_execnz .LBB303_236
; %bb.43:                               ;   in Loop: Header=BB303_10 Depth=1
	s_or_saveexec_b64 s[24:25], s[24:25]
	v_mov_b32_e32 v58, s28
	s_xor_b64 exec, exec, s[24:25]
	s_cbranch_execnz .LBB303_239
.LBB303_44:                             ;   in Loop: Header=BB303_10 Depth=1
	s_or_b64 exec, exec, s[24:25]
	s_and_saveexec_b64 s[24:25], s[4:5]
	s_cbranch_execz .LBB303_46
.LBB303_45:                             ;   in Loop: Header=BB303_10 Depth=1
	v_and_b32_e32 v2, 7, v12
	v_ffbh_u32_e32 v0, v2
	v_min_u32_e32 v4, 32, v0
	v_subrev_u32_e32 v0, 28, v4
	v_bfe_u32 v3, v12, 3, 4
	v_lshlrev_b64 v[0:1], v0, v[12:13]
	v_sub_u32_e32 v1, 29, v4
	v_cmp_eq_u32_e64 s[4:5], 0, v3
	v_and_b32_e32 v0, 7, v0
	s_nop 0
	v_cndmask_b32_e64 v1, v3, v1, s[4:5]
	v_cndmask_b32_e64 v0, v2, v0, s[4:5]
	v_lshlrev_b32_e32 v2, 8, v12
	v_lshl_add_u32 v1, v1, 10, v55
	v_and_or_b32 v1, v2, s34, v1
	v_lshl_or_b32 v0, v0, 7, v1
	v_cvt_f32_f16_e32 v58, v0
.LBB303_46:                             ;   in Loop: Header=BB303_10 Depth=1
	s_or_b64 exec, exec, s[24:25]
	v_lshrrev_b16_e32 v8, 8, v12
	v_cmp_lt_i16_e64 s[4:5], s17, v8
	s_mov_b64 s[24:25], 0
                                        ; implicit-def: $sgpr35
	s_and_saveexec_b64 s[26:27], s[4:5]
	s_xor_b64 s[26:27], exec, s[26:27]
	s_cbranch_execnz .LBB303_240
; %bb.47:                               ;   in Loop: Header=BB303_10 Depth=1
	s_or_saveexec_b64 s[26:27], s[26:27]
	v_mov_b32_e32 v59, s35
	s_xor_b64 exec, exec, s[26:27]
	s_cbranch_execnz .LBB303_243
.LBB303_48:                             ;   in Loop: Header=BB303_10 Depth=1
	s_or_b64 exec, exec, s[26:27]
	s_and_saveexec_b64 s[26:27], s[24:25]
	s_cbranch_execz .LBB303_50
.LBB303_49:                             ;   in Loop: Header=BB303_10 Depth=1
	v_and_b32_e32 v2, 7, v8
	v_ffbh_u32_e32 v0, v2
	v_min_u32_e32 v4, 32, v0
	v_subrev_u32_e32 v0, 28, v4
	v_bfe_u32 v3, v8, 3, 4
	v_lshlrev_b64 v[0:1], v0, v[8:9]
	v_sub_u32_e32 v1, 29, v4
	v_cmp_eq_u32_e64 s[4:5], 0, v3
	v_and_b32_e32 v0, 7, v0
	s_nop 0
	v_cndmask_b32_e64 v1, v3, v1, s[4:5]
	v_cndmask_b32_e64 v0, v2, v0, s[4:5]
	v_lshlrev_b32_e32 v2, 8, v8
	v_lshl_add_u32 v1, v1, 10, v55
	v_and_or_b32 v1, v2, s34, v1
	v_lshl_or_b32 v0, v0, 7, v1
	v_cvt_f32_f16_e32 v59, v0
.LBB303_50:                             ;   in Loop: Header=BB303_10 Depth=1
	s_or_b64 exec, exec, s[26:27]
	v_lshrrev_b32_e32 v8, 16, v12
	v_cmp_gt_i16_sdwa s[24:25], v8, s17 src0_sel:BYTE_0 src1_sel:DWORD
	s_mov_b64 s[4:5], 0
                                        ; implicit-def: $sgpr28
	s_and_saveexec_b64 s[26:27], s[24:25]
	s_xor_b64 s[24:25], exec, s[26:27]
	s_cbranch_execnz .LBB303_244
; %bb.51:                               ;   in Loop: Header=BB303_10 Depth=1
	s_or_saveexec_b64 s[24:25], s[24:25]
	v_mov_b32_e32 v60, s28
	s_xor_b64 exec, exec, s[24:25]
	s_cbranch_execnz .LBB303_247
.LBB303_52:                             ;   in Loop: Header=BB303_10 Depth=1
	s_or_b64 exec, exec, s[24:25]
	s_and_saveexec_b64 s[24:25], s[4:5]
	s_cbranch_execz .LBB303_54
.LBB303_53:                             ;   in Loop: Header=BB303_10 Depth=1
	v_bfe_u32 v2, v12, 16, 3
	v_ffbh_u32_e32 v0, v2
	v_min_u32_e32 v4, 32, v0
	v_subrev_u32_e32 v0, 28, v4
	v_bfe_u32 v3, v12, 19, 4
	v_lshlrev_b64 v[0:1], v0, v[8:9]
	v_sub_u32_e32 v1, 29, v4
	v_cmp_eq_u32_e64 s[4:5], 0, v3
	v_and_b32_e32 v0, 7, v0
	s_nop 0
	v_cndmask_b32_e64 v1, v3, v1, s[4:5]
	v_cndmask_b32_e64 v0, v2, v0, s[4:5]
	v_lshlrev_b32_e32 v2, 8, v8
	v_lshl_add_u32 v1, v1, 10, v55
	v_and_or_b32 v1, v2, s34, v1
	v_lshl_or_b32 v0, v0, 7, v1
	v_cvt_f32_f16_e32 v60, v0
.LBB303_54:                             ;   in Loop: Header=BB303_10 Depth=1
	s_or_b64 exec, exec, s[24:25]
	v_lshrrev_b32_e32 v8, 24, v12
	v_cmp_lt_i16_e64 s[4:5], s17, v8
	s_mov_b64 s[24:25], 0
                                        ; implicit-def: $sgpr35
	s_and_saveexec_b64 s[26:27], s[4:5]
	s_xor_b64 s[26:27], exec, s[26:27]
	s_cbranch_execnz .LBB303_248
; %bb.55:                               ;   in Loop: Header=BB303_10 Depth=1
	s_or_saveexec_b64 s[26:27], s[26:27]
	v_mov_b32_e32 v61, s35
	s_xor_b64 exec, exec, s[26:27]
	s_cbranch_execnz .LBB303_251
.LBB303_56:                             ;   in Loop: Header=BB303_10 Depth=1
	s_or_b64 exec, exec, s[26:27]
	s_and_saveexec_b64 s[26:27], s[24:25]
	s_cbranch_execz .LBB303_58
.LBB303_57:                             ;   in Loop: Header=BB303_10 Depth=1
	v_bfe_u32 v2, v12, 24, 3
	v_ffbh_u32_e32 v0, v2
	v_min_u32_e32 v4, 32, v0
	v_subrev_u32_e32 v0, 28, v4
	v_bfe_u32 v3, v12, 27, 4
	v_lshlrev_b64 v[0:1], v0, v[8:9]
	v_sub_u32_e32 v1, 29, v4
	v_cmp_eq_u32_e64 s[4:5], 0, v3
	v_and_b32_e32 v0, 7, v0
	s_nop 0
	v_cndmask_b32_e64 v1, v3, v1, s[4:5]
	v_cndmask_b32_e64 v0, v2, v0, s[4:5]
	v_lshlrev_b32_e32 v2, 8, v8
	v_lshl_add_u32 v1, v1, 10, v55
	v_and_or_b32 v1, v2, s34, v1
	v_lshl_or_b32 v0, v0, 7, v1
	v_cvt_f32_f16_e32 v61, v0
.LBB303_58:                             ;   in Loop: Header=BB303_10 Depth=1
	s_or_b64 exec, exec, s[26:27]
	flat_load_dword v12, v[36:37] offset:520
	s_mov_b64 s[4:5], 0
                                        ; implicit-def: $sgpr28
	s_waitcnt vmcnt(0) lgkmcnt(0)
	v_cmp_gt_i16_sdwa s[24:25], v12, s17 src0_sel:BYTE_0 src1_sel:DWORD
	s_and_saveexec_b64 s[26:27], s[24:25]
	s_xor_b64 s[24:25], exec, s[26:27]
	s_cbranch_execnz .LBB303_252
; %bb.59:                               ;   in Loop: Header=BB303_10 Depth=1
	s_or_saveexec_b64 s[24:25], s[24:25]
	v_mov_b32_e32 v62, s28
	s_xor_b64 exec, exec, s[24:25]
	s_cbranch_execnz .LBB303_255
.LBB303_60:                             ;   in Loop: Header=BB303_10 Depth=1
	s_or_b64 exec, exec, s[24:25]
	s_and_saveexec_b64 s[24:25], s[4:5]
	s_cbranch_execz .LBB303_62
.LBB303_61:                             ;   in Loop: Header=BB303_10 Depth=1
	v_and_b32_e32 v2, 7, v12
	v_ffbh_u32_e32 v0, v2
	v_min_u32_e32 v4, 32, v0
	v_subrev_u32_e32 v0, 28, v4
	v_bfe_u32 v3, v12, 3, 4
	v_lshlrev_b64 v[0:1], v0, v[12:13]
	v_sub_u32_e32 v1, 29, v4
	v_cmp_eq_u32_e64 s[4:5], 0, v3
	v_and_b32_e32 v0, 7, v0
	s_nop 0
	v_cndmask_b32_e64 v1, v3, v1, s[4:5]
	v_cndmask_b32_e64 v0, v2, v0, s[4:5]
	v_lshlrev_b32_e32 v2, 8, v12
	v_lshl_add_u32 v1, v1, 10, v55
	v_and_or_b32 v1, v2, s34, v1
	v_lshl_or_b32 v0, v0, 7, v1
	v_cvt_f32_f16_e32 v62, v0
.LBB303_62:                             ;   in Loop: Header=BB303_10 Depth=1
	s_or_b64 exec, exec, s[24:25]
	v_lshrrev_b16_e32 v8, 8, v12
	v_cmp_lt_i16_e64 s[4:5], s17, v8
	s_mov_b64 s[24:25], 0
                                        ; implicit-def: $sgpr35
	s_and_saveexec_b64 s[26:27], s[4:5]
	s_xor_b64 s[26:27], exec, s[26:27]
	s_cbranch_execnz .LBB303_256
; %bb.63:                               ;   in Loop: Header=BB303_10 Depth=1
	s_or_saveexec_b64 s[26:27], s[26:27]
	v_mov_b32_e32 v48, s35
	s_xor_b64 exec, exec, s[26:27]
	s_cbranch_execnz .LBB303_259
.LBB303_64:                             ;   in Loop: Header=BB303_10 Depth=1
	s_or_b64 exec, exec, s[26:27]
	s_and_saveexec_b64 s[26:27], s[24:25]
	s_cbranch_execz .LBB303_66
.LBB303_65:                             ;   in Loop: Header=BB303_10 Depth=1
	v_and_b32_e32 v2, 7, v8
	v_ffbh_u32_e32 v0, v2
	v_min_u32_e32 v4, 32, v0
	v_subrev_u32_e32 v0, 28, v4
	v_bfe_u32 v3, v8, 3, 4
	v_lshlrev_b64 v[0:1], v0, v[8:9]
	v_sub_u32_e32 v1, 29, v4
	v_cmp_eq_u32_e64 s[4:5], 0, v3
	v_and_b32_e32 v0, 7, v0
	s_nop 0
	v_cndmask_b32_e64 v1, v3, v1, s[4:5]
	v_cndmask_b32_e64 v0, v2, v0, s[4:5]
	v_lshlrev_b32_e32 v2, 8, v8
	v_lshl_add_u32 v1, v1, 10, v55
	v_and_or_b32 v1, v2, s34, v1
	v_lshl_or_b32 v0, v0, 7, v1
	v_cvt_f32_f16_e32 v48, v0
.LBB303_66:                             ;   in Loop: Header=BB303_10 Depth=1
	s_or_b64 exec, exec, s[26:27]
	v_lshrrev_b32_e32 v8, 16, v12
	v_cmp_gt_i16_sdwa s[24:25], v8, s17 src0_sel:BYTE_0 src1_sel:DWORD
	s_mov_b64 s[4:5], 0
                                        ; implicit-def: $sgpr28
	s_and_saveexec_b64 s[26:27], s[24:25]
	s_xor_b64 s[24:25], exec, s[26:27]
	s_cbranch_execnz .LBB303_260
; %bb.67:                               ;   in Loop: Header=BB303_10 Depth=1
	s_or_saveexec_b64 s[24:25], s[24:25]
	v_mov_b32_e32 v21, s28
	s_xor_b64 exec, exec, s[24:25]
	s_cbranch_execnz .LBB303_263
.LBB303_68:                             ;   in Loop: Header=BB303_10 Depth=1
	s_or_b64 exec, exec, s[24:25]
	s_and_saveexec_b64 s[24:25], s[4:5]
	s_cbranch_execz .LBB303_70
.LBB303_69:                             ;   in Loop: Header=BB303_10 Depth=1
	v_bfe_u32 v2, v12, 16, 3
	v_ffbh_u32_e32 v0, v2
	v_min_u32_e32 v4, 32, v0
	v_subrev_u32_e32 v0, 28, v4
	v_bfe_u32 v3, v12, 19, 4
	v_lshlrev_b64 v[0:1], v0, v[8:9]
	v_sub_u32_e32 v1, 29, v4
	v_cmp_eq_u32_e64 s[4:5], 0, v3
	v_and_b32_e32 v0, 7, v0
	s_nop 0
	v_cndmask_b32_e64 v1, v3, v1, s[4:5]
	v_cndmask_b32_e64 v0, v2, v0, s[4:5]
	v_lshlrev_b32_e32 v2, 8, v8
	v_lshl_add_u32 v1, v1, 10, v55
	v_and_or_b32 v1, v2, s34, v1
	v_lshl_or_b32 v0, v0, 7, v1
	v_cvt_f32_f16_e32 v21, v0
.LBB303_70:                             ;   in Loop: Header=BB303_10 Depth=1
	s_or_b64 exec, exec, s[24:25]
	v_lshrrev_b32_e32 v8, 24, v12
	v_cmp_lt_i16_e64 s[4:5], s17, v8
	s_mov_b64 s[24:25], 0
                                        ; implicit-def: $sgpr35
	s_and_saveexec_b64 s[26:27], s[4:5]
	s_xor_b64 s[26:27], exec, s[26:27]
	s_cbranch_execnz .LBB303_264
; %bb.71:                               ;   in Loop: Header=BB303_10 Depth=1
	s_or_saveexec_b64 s[26:27], s[26:27]
	v_mov_b32_e32 v18, s35
	s_xor_b64 exec, exec, s[26:27]
	s_cbranch_execnz .LBB303_267
.LBB303_72:                             ;   in Loop: Header=BB303_10 Depth=1
	s_or_b64 exec, exec, s[26:27]
	s_and_saveexec_b64 s[26:27], s[24:25]
	s_cbranch_execz .LBB303_74
.LBB303_73:                             ;   in Loop: Header=BB303_10 Depth=1
	v_bfe_u32 v2, v12, 24, 3
	v_ffbh_u32_e32 v0, v2
	v_min_u32_e32 v4, 32, v0
	v_subrev_u32_e32 v0, 28, v4
	v_bfe_u32 v3, v12, 27, 4
	v_lshlrev_b64 v[0:1], v0, v[8:9]
	v_sub_u32_e32 v1, 29, v4
	v_cmp_eq_u32_e64 s[4:5], 0, v3
	v_and_b32_e32 v0, 7, v0
	s_nop 0
	v_cndmask_b32_e64 v1, v3, v1, s[4:5]
	v_cndmask_b32_e64 v0, v2, v0, s[4:5]
	v_lshlrev_b32_e32 v2, 8, v8
	v_lshl_add_u32 v1, v1, 10, v55
	v_and_or_b32 v1, v2, s34, v1
	v_lshl_or_b32 v0, v0, 7, v1
	v_cvt_f32_f16_e32 v18, v0
.LBB303_74:                             ;   in Loop: Header=BB303_10 Depth=1
	s_or_b64 exec, exec, s[26:27]
	flat_load_dword v12, v[36:37] offset:1024
	s_mov_b64 s[4:5], 0
                                        ; implicit-def: $sgpr28
	s_waitcnt vmcnt(0) lgkmcnt(0)
	v_cmp_gt_i16_sdwa s[24:25], v12, s17 src0_sel:BYTE_0 src1_sel:DWORD
	s_and_saveexec_b64 s[26:27], s[24:25]
	s_xor_b64 s[24:25], exec, s[26:27]
	s_cbranch_execnz .LBB303_268
; %bb.75:                               ;   in Loop: Header=BB303_10 Depth=1
	s_or_saveexec_b64 s[24:25], s[24:25]
	v_mov_b32_e32 v19, s28
	s_xor_b64 exec, exec, s[24:25]
	s_cbranch_execnz .LBB303_271
.LBB303_76:                             ;   in Loop: Header=BB303_10 Depth=1
	s_or_b64 exec, exec, s[24:25]
	s_and_saveexec_b64 s[24:25], s[4:5]
	s_cbranch_execz .LBB303_78
.LBB303_77:                             ;   in Loop: Header=BB303_10 Depth=1
	v_and_b32_e32 v2, 7, v12
	v_ffbh_u32_e32 v0, v2
	v_min_u32_e32 v4, 32, v0
	v_subrev_u32_e32 v0, 28, v4
	v_bfe_u32 v3, v12, 3, 4
	v_lshlrev_b64 v[0:1], v0, v[12:13]
	v_sub_u32_e32 v1, 29, v4
	v_cmp_eq_u32_e64 s[4:5], 0, v3
	v_and_b32_e32 v0, 7, v0
	s_nop 0
	v_cndmask_b32_e64 v1, v3, v1, s[4:5]
	v_cndmask_b32_e64 v0, v2, v0, s[4:5]
	v_lshlrev_b32_e32 v2, 8, v12
	v_lshl_add_u32 v1, v1, 10, v55
	v_and_or_b32 v1, v2, s34, v1
	v_lshl_or_b32 v0, v0, 7, v1
	v_cvt_f32_f16_e32 v19, v0
.LBB303_78:                             ;   in Loop: Header=BB303_10 Depth=1
	s_or_b64 exec, exec, s[24:25]
	v_lshrrev_b16_e32 v8, 8, v12
	v_cmp_lt_i16_e64 s[4:5], s17, v8
	s_mov_b64 s[24:25], 0
                                        ; implicit-def: $sgpr35
	s_and_saveexec_b64 s[26:27], s[4:5]
	s_xor_b64 s[26:27], exec, s[26:27]
	s_cbranch_execnz .LBB303_272
; %bb.79:                               ;   in Loop: Header=BB303_10 Depth=1
	s_or_saveexec_b64 s[26:27], s[26:27]
	v_mov_b32_e32 v39, s35
	s_xor_b64 exec, exec, s[26:27]
	s_cbranch_execnz .LBB303_275
.LBB303_80:                             ;   in Loop: Header=BB303_10 Depth=1
	s_or_b64 exec, exec, s[26:27]
	s_and_saveexec_b64 s[26:27], s[24:25]
	s_cbranch_execz .LBB303_82
.LBB303_81:                             ;   in Loop: Header=BB303_10 Depth=1
	v_and_b32_e32 v2, 7, v8
	v_ffbh_u32_e32 v0, v2
	v_min_u32_e32 v4, 32, v0
	v_subrev_u32_e32 v0, 28, v4
	v_bfe_u32 v3, v8, 3, 4
	v_lshlrev_b64 v[0:1], v0, v[8:9]
	v_sub_u32_e32 v1, 29, v4
	v_cmp_eq_u32_e64 s[4:5], 0, v3
	v_and_b32_e32 v0, 7, v0
	s_nop 0
	v_cndmask_b32_e64 v1, v3, v1, s[4:5]
	v_cndmask_b32_e64 v0, v2, v0, s[4:5]
	v_lshlrev_b32_e32 v2, 8, v8
	v_lshl_add_u32 v1, v1, 10, v55
	v_and_or_b32 v1, v2, s34, v1
	v_lshl_or_b32 v0, v0, 7, v1
	v_cvt_f32_f16_e32 v39, v0
.LBB303_82:                             ;   in Loop: Header=BB303_10 Depth=1
	s_or_b64 exec, exec, s[26:27]
	v_lshrrev_b32_e32 v8, 16, v12
	v_cmp_gt_i16_sdwa s[24:25], v8, s17 src0_sel:BYTE_0 src1_sel:DWORD
	s_mov_b64 s[4:5], 0
                                        ; implicit-def: $sgpr28
	s_and_saveexec_b64 s[26:27], s[24:25]
	s_xor_b64 s[24:25], exec, s[26:27]
	s_cbranch_execnz .LBB303_276
; %bb.83:                               ;   in Loop: Header=BB303_10 Depth=1
	s_or_saveexec_b64 s[24:25], s[24:25]
	v_mov_b32_e32 v20, s28
	s_xor_b64 exec, exec, s[24:25]
	s_cbranch_execnz .LBB303_279
.LBB303_84:                             ;   in Loop: Header=BB303_10 Depth=1
	s_or_b64 exec, exec, s[24:25]
	s_and_saveexec_b64 s[24:25], s[4:5]
	s_cbranch_execz .LBB303_86
.LBB303_85:                             ;   in Loop: Header=BB303_10 Depth=1
	v_bfe_u32 v2, v12, 16, 3
	v_ffbh_u32_e32 v0, v2
	v_min_u32_e32 v4, 32, v0
	v_subrev_u32_e32 v0, 28, v4
	v_bfe_u32 v3, v12, 19, 4
	v_lshlrev_b64 v[0:1], v0, v[8:9]
	v_sub_u32_e32 v1, 29, v4
	v_cmp_eq_u32_e64 s[4:5], 0, v3
	v_and_b32_e32 v0, 7, v0
	s_nop 0
	v_cndmask_b32_e64 v1, v3, v1, s[4:5]
	v_cndmask_b32_e64 v0, v2, v0, s[4:5]
	v_lshlrev_b32_e32 v2, 8, v8
	v_lshl_add_u32 v1, v1, 10, v55
	v_and_or_b32 v1, v2, s34, v1
	v_lshl_or_b32 v0, v0, 7, v1
	v_cvt_f32_f16_e32 v20, v0
.LBB303_86:                             ;   in Loop: Header=BB303_10 Depth=1
	s_or_b64 exec, exec, s[24:25]
	v_lshrrev_b32_e32 v8, 24, v12
	v_cmp_lt_i16_e64 s[4:5], s17, v8
	s_mov_b64 s[24:25], 0
                                        ; implicit-def: $sgpr35
	s_and_saveexec_b64 s[26:27], s[4:5]
	s_xor_b64 s[26:27], exec, s[26:27]
	s_cbranch_execnz .LBB303_280
; %bb.87:                               ;   in Loop: Header=BB303_10 Depth=1
	s_or_saveexec_b64 s[26:27], s[26:27]
	v_mov_b32_e32 v5, s35
	s_xor_b64 exec, exec, s[26:27]
	s_cbranch_execnz .LBB303_283
.LBB303_88:                             ;   in Loop: Header=BB303_10 Depth=1
	s_or_b64 exec, exec, s[26:27]
	s_and_saveexec_b64 s[26:27], s[24:25]
	s_cbranch_execz .LBB303_90
.LBB303_89:                             ;   in Loop: Header=BB303_10 Depth=1
	v_bfe_u32 v2, v12, 24, 3
	v_ffbh_u32_e32 v0, v2
	v_min_u32_e32 v4, 32, v0
	v_subrev_u32_e32 v0, 28, v4
	v_bfe_u32 v3, v12, 27, 4
	v_lshlrev_b64 v[0:1], v0, v[8:9]
	v_sub_u32_e32 v1, 29, v4
	v_cmp_eq_u32_e64 s[4:5], 0, v3
	v_and_b32_e32 v0, 7, v0
	s_nop 0
	v_cndmask_b32_e64 v1, v3, v1, s[4:5]
	v_cndmask_b32_e64 v0, v2, v0, s[4:5]
	v_lshlrev_b32_e32 v2, 8, v8
	v_lshl_add_u32 v1, v1, 10, v55
	v_and_or_b32 v1, v2, s34, v1
	v_lshl_or_b32 v0, v0, 7, v1
	v_cvt_f32_f16_e32 v5, v0
.LBB303_90:                             ;   in Loop: Header=BB303_10 Depth=1
	s_or_b64 exec, exec, s[26:27]
	flat_load_dword v12, v[36:37] offset:1032
	s_mov_b64 s[4:5], 0
                                        ; implicit-def: $sgpr28
	s_waitcnt vmcnt(0) lgkmcnt(0)
	v_cmp_gt_i16_sdwa s[24:25], v12, s17 src0_sel:BYTE_0 src1_sel:DWORD
	s_and_saveexec_b64 s[26:27], s[24:25]
	s_xor_b64 s[24:25], exec, s[26:27]
	s_cbranch_execnz .LBB303_284
; %bb.91:                               ;   in Loop: Header=BB303_10 Depth=1
	s_or_saveexec_b64 s[24:25], s[24:25]
	v_mov_b32_e32 v4, s28
	s_xor_b64 exec, exec, s[24:25]
	s_cbranch_execnz .LBB303_287
.LBB303_92:                             ;   in Loop: Header=BB303_10 Depth=1
	s_or_b64 exec, exec, s[24:25]
	s_and_saveexec_b64 s[24:25], s[4:5]
	s_cbranch_execz .LBB303_94
.LBB303_93:                             ;   in Loop: Header=BB303_10 Depth=1
	v_and_b32_e32 v2, 7, v12
	v_ffbh_u32_e32 v0, v2
	v_min_u32_e32 v4, 32, v0
	v_subrev_u32_e32 v0, 28, v4
	v_bfe_u32 v3, v12, 3, 4
	v_lshlrev_b64 v[0:1], v0, v[12:13]
	v_sub_u32_e32 v1, 29, v4
	v_cmp_eq_u32_e64 s[4:5], 0, v3
	v_and_b32_e32 v0, 7, v0
	s_nop 0
	v_cndmask_b32_e64 v1, v3, v1, s[4:5]
	v_cndmask_b32_e64 v0, v2, v0, s[4:5]
	v_lshlrev_b32_e32 v2, 8, v12
	v_lshl_add_u32 v1, v1, 10, v55
	v_and_or_b32 v1, v2, s34, v1
	v_lshl_or_b32 v0, v0, 7, v1
	v_cvt_f32_f16_e32 v4, v0
.LBB303_94:                             ;   in Loop: Header=BB303_10 Depth=1
	s_or_b64 exec, exec, s[24:25]
	v_lshrrev_b16_e32 v8, 8, v12
	v_cmp_lt_i16_e64 s[4:5], s17, v8
	s_mov_b64 s[24:25], 0
                                        ; implicit-def: $sgpr35
	s_and_saveexec_b64 s[26:27], s[4:5]
	s_xor_b64 s[26:27], exec, s[26:27]
	s_cbranch_execnz .LBB303_288
; %bb.95:                               ;   in Loop: Header=BB303_10 Depth=1
	s_or_saveexec_b64 s[26:27], s[26:27]
	v_mov_b32_e32 v17, s35
	s_xor_b64 exec, exec, s[26:27]
	s_cbranch_execnz .LBB303_291
.LBB303_96:                             ;   in Loop: Header=BB303_10 Depth=1
	s_or_b64 exec, exec, s[26:27]
	s_and_saveexec_b64 s[26:27], s[24:25]
	s_cbranch_execz .LBB303_98
.LBB303_97:                             ;   in Loop: Header=BB303_10 Depth=1
	v_and_b32_e32 v2, 7, v8
	v_ffbh_u32_e32 v0, v2
	v_min_u32_e32 v10, 32, v0
	v_subrev_u32_e32 v0, 28, v10
	v_bfe_u32 v3, v8, 3, 4
	v_lshlrev_b64 v[0:1], v0, v[8:9]
	v_sub_u32_e32 v1, 29, v10
	v_cmp_eq_u32_e64 s[4:5], 0, v3
	v_and_b32_e32 v0, 7, v0
	s_nop 0
	v_cndmask_b32_e64 v1, v3, v1, s[4:5]
	v_cndmask_b32_e64 v0, v2, v0, s[4:5]
	v_lshlrev_b32_e32 v2, 8, v8
	v_lshl_add_u32 v1, v1, 10, v55
	v_and_or_b32 v1, v2, s34, v1
	v_lshl_or_b32 v0, v0, 7, v1
	v_cvt_f32_f16_e32 v17, v0
.LBB303_98:                             ;   in Loop: Header=BB303_10 Depth=1
	s_or_b64 exec, exec, s[26:27]
	v_lshrrev_b32_e32 v8, 16, v12
	v_cmp_gt_i16_sdwa s[24:25], v8, s17 src0_sel:BYTE_0 src1_sel:DWORD
	s_mov_b64 s[4:5], 0
                                        ; implicit-def: $sgpr28
	s_and_saveexec_b64 s[26:27], s[24:25]
	s_xor_b64 s[24:25], exec, s[26:27]
	s_cbranch_execnz .LBB303_292
; %bb.99:                               ;   in Loop: Header=BB303_10 Depth=1
	s_or_saveexec_b64 s[24:25], s[24:25]
	v_mov_b32_e32 v28, s28
	s_xor_b64 exec, exec, s[24:25]
	s_cbranch_execnz .LBB303_295
.LBB303_100:                            ;   in Loop: Header=BB303_10 Depth=1
	s_or_b64 exec, exec, s[24:25]
	s_and_saveexec_b64 s[24:25], s[4:5]
	s_cbranch_execz .LBB303_102
.LBB303_101:                            ;   in Loop: Header=BB303_10 Depth=1
	v_bfe_u32 v2, v12, 16, 3
	v_ffbh_u32_e32 v0, v2
	v_min_u32_e32 v10, 32, v0
	v_subrev_u32_e32 v0, 28, v10
	v_bfe_u32 v3, v12, 19, 4
	v_lshlrev_b64 v[0:1], v0, v[8:9]
	v_sub_u32_e32 v1, 29, v10
	v_cmp_eq_u32_e64 s[4:5], 0, v3
	v_and_b32_e32 v0, 7, v0
	s_nop 0
	v_cndmask_b32_e64 v1, v3, v1, s[4:5]
	v_cndmask_b32_e64 v0, v2, v0, s[4:5]
	v_lshlrev_b32_e32 v2, 8, v8
	v_lshl_add_u32 v1, v1, 10, v55
	v_and_or_b32 v1, v2, s34, v1
	v_lshl_or_b32 v0, v0, 7, v1
	v_cvt_f32_f16_e32 v28, v0
.LBB303_102:                            ;   in Loop: Header=BB303_10 Depth=1
	s_or_b64 exec, exec, s[24:25]
	v_lshrrev_b32_e32 v8, 24, v12
	v_cmp_lt_i16_e64 s[4:5], s17, v8
	s_mov_b64 s[24:25], 0
                                        ; implicit-def: $sgpr35
	s_and_saveexec_b64 s[26:27], s[4:5]
	s_xor_b64 s[26:27], exec, s[26:27]
	s_cbranch_execnz .LBB303_296
; %bb.103:                              ;   in Loop: Header=BB303_10 Depth=1
	s_or_saveexec_b64 s[26:27], s[26:27]
	v_mov_b32_e32 v29, s35
	s_xor_b64 exec, exec, s[26:27]
	s_cbranch_execnz .LBB303_299
.LBB303_104:                            ;   in Loop: Header=BB303_10 Depth=1
	s_or_b64 exec, exec, s[26:27]
	s_and_saveexec_b64 s[26:27], s[24:25]
	s_cbranch_execz .LBB303_106
.LBB303_105:                            ;   in Loop: Header=BB303_10 Depth=1
	v_bfe_u32 v2, v12, 24, 3
	v_ffbh_u32_e32 v0, v2
	v_min_u32_e32 v10, 32, v0
	v_subrev_u32_e32 v0, 28, v10
	v_bfe_u32 v3, v12, 27, 4
	v_lshlrev_b64 v[0:1], v0, v[8:9]
	v_sub_u32_e32 v1, 29, v10
	v_cmp_eq_u32_e64 s[4:5], 0, v3
	v_and_b32_e32 v0, 7, v0
	s_nop 0
	v_cndmask_b32_e64 v1, v3, v1, s[4:5]
	v_cndmask_b32_e64 v0, v2, v0, s[4:5]
	v_lshlrev_b32_e32 v2, 8, v8
	v_lshl_add_u32 v1, v1, 10, v55
	v_and_or_b32 v1, v2, s34, v1
	v_lshl_or_b32 v0, v0, 7, v1
	v_cvt_f32_f16_e32 v29, v0
.LBB303_106:                            ;   in Loop: Header=BB303_10 Depth=1
	s_or_b64 exec, exec, s[26:27]
	flat_load_dword v12, v[36:37] offset:1536
	s_mov_b64 s[4:5], 0
                                        ; implicit-def: $sgpr28
	s_waitcnt vmcnt(0) lgkmcnt(0)
	v_cmp_gt_i16_sdwa s[24:25], v12, s17 src0_sel:BYTE_0 src1_sel:DWORD
	s_and_saveexec_b64 s[26:27], s[24:25]
	s_xor_b64 s[24:25], exec, s[26:27]
	s_cbranch_execnz .LBB303_300
; %bb.107:                              ;   in Loop: Header=BB303_10 Depth=1
	s_or_saveexec_b64 s[24:25], s[24:25]
	v_mov_b32_e32 v52, s28
	s_xor_b64 exec, exec, s[24:25]
	s_cbranch_execnz .LBB303_303
.LBB303_108:                            ;   in Loop: Header=BB303_10 Depth=1
	s_or_b64 exec, exec, s[24:25]
	s_and_saveexec_b64 s[24:25], s[4:5]
	s_cbranch_execz .LBB303_110
.LBB303_109:                            ;   in Loop: Header=BB303_10 Depth=1
	v_and_b32_e32 v2, 7, v12
	v_ffbh_u32_e32 v0, v2
	v_min_u32_e32 v8, 32, v0
	v_subrev_u32_e32 v0, 28, v8
	v_bfe_u32 v3, v12, 3, 4
	v_lshlrev_b64 v[0:1], v0, v[12:13]
	v_sub_u32_e32 v1, 29, v8
	v_cmp_eq_u32_e64 s[4:5], 0, v3
	v_and_b32_e32 v0, 7, v0
	s_nop 0
	v_cndmask_b32_e64 v1, v3, v1, s[4:5]
	v_cndmask_b32_e64 v0, v2, v0, s[4:5]
	v_lshlrev_b32_e32 v2, 8, v12
	v_lshl_add_u32 v1, v1, 10, v55
	v_and_or_b32 v1, v2, s34, v1
	v_lshl_or_b32 v0, v0, 7, v1
	v_cvt_f32_f16_e32 v52, v0
.LBB303_110:                            ;   in Loop: Header=BB303_10 Depth=1
	s_or_b64 exec, exec, s[24:25]
	v_lshrrev_b16_e32 v8, 8, v12
	v_cmp_lt_i16_e64 s[4:5], s17, v8
	s_mov_b64 s[24:25], 0
                                        ; implicit-def: $sgpr35
	s_and_saveexec_b64 s[26:27], s[4:5]
	s_xor_b64 s[26:27], exec, s[26:27]
	s_cbranch_execnz .LBB303_304
; %bb.111:                              ;   in Loop: Header=BB303_10 Depth=1
	s_or_saveexec_b64 s[26:27], s[26:27]
	v_mov_b32_e32 v38, s35
	s_xor_b64 exec, exec, s[26:27]
	s_cbranch_execnz .LBB303_307
.LBB303_112:                            ;   in Loop: Header=BB303_10 Depth=1
	s_or_b64 exec, exec, s[26:27]
	s_and_saveexec_b64 s[26:27], s[24:25]
	s_cbranch_execz .LBB303_114
.LBB303_113:                            ;   in Loop: Header=BB303_10 Depth=1
	v_and_b32_e32 v2, 7, v8
	v_ffbh_u32_e32 v0, v2
	v_min_u32_e32 v10, 32, v0
	v_subrev_u32_e32 v0, 28, v10
	v_bfe_u32 v3, v8, 3, 4
	v_lshlrev_b64 v[0:1], v0, v[8:9]
	v_sub_u32_e32 v1, 29, v10
	v_cmp_eq_u32_e64 s[4:5], 0, v3
	v_and_b32_e32 v0, 7, v0
	s_nop 0
	v_cndmask_b32_e64 v1, v3, v1, s[4:5]
	v_cndmask_b32_e64 v0, v2, v0, s[4:5]
	v_lshlrev_b32_e32 v2, 8, v8
	v_lshl_add_u32 v1, v1, 10, v55
	v_and_or_b32 v1, v2, s34, v1
	v_lshl_or_b32 v0, v0, 7, v1
	v_cvt_f32_f16_e32 v38, v0
.LBB303_114:                            ;   in Loop: Header=BB303_10 Depth=1
	s_or_b64 exec, exec, s[26:27]
	v_lshrrev_b32_e32 v8, 16, v12
	v_cmp_gt_i16_sdwa s[24:25], v8, s17 src0_sel:BYTE_0 src1_sel:DWORD
	s_mov_b64 s[4:5], 0
                                        ; implicit-def: $sgpr28
	s_and_saveexec_b64 s[26:27], s[24:25]
	s_xor_b64 s[24:25], exec, s[26:27]
	s_cbranch_execnz .LBB303_308
; %bb.115:                              ;   in Loop: Header=BB303_10 Depth=1
	s_or_saveexec_b64 s[24:25], s[24:25]
	v_mov_b32_e32 v49, s28
	s_xor_b64 exec, exec, s[24:25]
	s_cbranch_execnz .LBB303_311
.LBB303_116:                            ;   in Loop: Header=BB303_10 Depth=1
	s_or_b64 exec, exec, s[24:25]
	s_and_saveexec_b64 s[24:25], s[4:5]
	s_cbranch_execz .LBB303_118
.LBB303_117:                            ;   in Loop: Header=BB303_10 Depth=1
	v_bfe_u32 v2, v12, 16, 3
	v_ffbh_u32_e32 v0, v2
	v_min_u32_e32 v10, 32, v0
	v_subrev_u32_e32 v0, 28, v10
	v_bfe_u32 v3, v12, 19, 4
	v_lshlrev_b64 v[0:1], v0, v[8:9]
	v_sub_u32_e32 v1, 29, v10
	v_cmp_eq_u32_e64 s[4:5], 0, v3
	v_and_b32_e32 v0, 7, v0
	s_nop 0
	v_cndmask_b32_e64 v1, v3, v1, s[4:5]
	v_cndmask_b32_e64 v0, v2, v0, s[4:5]
	v_lshlrev_b32_e32 v2, 8, v8
	v_lshl_add_u32 v1, v1, 10, v55
	v_and_or_b32 v1, v2, s34, v1
	v_lshl_or_b32 v0, v0, 7, v1
	v_cvt_f32_f16_e32 v49, v0
.LBB303_118:                            ;   in Loop: Header=BB303_10 Depth=1
	s_or_b64 exec, exec, s[24:25]
	v_lshrrev_b32_e32 v8, 24, v12
	v_cmp_lt_i16_e64 s[4:5], s17, v8
	s_mov_b64 s[24:25], 0
                                        ; implicit-def: $sgpr35
	s_and_saveexec_b64 s[26:27], s[4:5]
	s_xor_b64 s[26:27], exec, s[26:27]
	s_cbranch_execnz .LBB303_312
; %bb.119:                              ;   in Loop: Header=BB303_10 Depth=1
	s_or_saveexec_b64 s[26:27], s[26:27]
	v_mov_b32_e32 v11, s35
	s_xor_b64 exec, exec, s[26:27]
	s_cbranch_execnz .LBB303_315
.LBB303_120:                            ;   in Loop: Header=BB303_10 Depth=1
	s_or_b64 exec, exec, s[26:27]
	s_and_saveexec_b64 s[26:27], s[24:25]
	s_cbranch_execz .LBB303_122
.LBB303_121:                            ;   in Loop: Header=BB303_10 Depth=1
	v_bfe_u32 v2, v12, 24, 3
	v_ffbh_u32_e32 v0, v2
	v_min_u32_e32 v10, 32, v0
	v_subrev_u32_e32 v0, 28, v10
	v_bfe_u32 v3, v12, 27, 4
	v_lshlrev_b64 v[0:1], v0, v[8:9]
	v_sub_u32_e32 v1, 29, v10
	v_cmp_eq_u32_e64 s[4:5], 0, v3
	v_and_b32_e32 v0, 7, v0
	s_nop 0
	v_cndmask_b32_e64 v1, v3, v1, s[4:5]
	v_cndmask_b32_e64 v0, v2, v0, s[4:5]
	v_lshlrev_b32_e32 v2, 8, v8
	v_lshl_add_u32 v1, v1, 10, v55
	v_and_or_b32 v1, v2, s34, v1
	v_lshl_or_b32 v0, v0, 7, v1
	v_cvt_f32_f16_e32 v11, v0
.LBB303_122:                            ;   in Loop: Header=BB303_10 Depth=1
	s_or_b64 exec, exec, s[26:27]
	flat_load_dword v12, v[36:37] offset:1544
	s_mov_b64 s[4:5], 0
                                        ; implicit-def: $sgpr28
	s_waitcnt vmcnt(0) lgkmcnt(0)
	v_cmp_gt_i16_sdwa s[24:25], v12, s17 src0_sel:BYTE_0 src1_sel:DWORD
	s_and_saveexec_b64 s[26:27], s[24:25]
	s_xor_b64 s[24:25], exec, s[26:27]
	s_cbranch_execnz .LBB303_316
; %bb.123:                              ;   in Loop: Header=BB303_10 Depth=1
	s_or_saveexec_b64 s[24:25], s[24:25]
	v_mov_b32_e32 v10, s28
	s_xor_b64 exec, exec, s[24:25]
	s_cbranch_execnz .LBB303_319
.LBB303_124:                            ;   in Loop: Header=BB303_10 Depth=1
	s_or_b64 exec, exec, s[24:25]
	s_and_saveexec_b64 s[24:25], s[4:5]
	s_cbranch_execz .LBB303_126
.LBB303_125:                            ;   in Loop: Header=BB303_10 Depth=1
	v_and_b32_e32 v2, 7, v12
	v_ffbh_u32_e32 v0, v2
	v_min_u32_e32 v8, 32, v0
	v_subrev_u32_e32 v0, 28, v8
	v_bfe_u32 v3, v12, 3, 4
	v_lshlrev_b64 v[0:1], v0, v[12:13]
	v_sub_u32_e32 v1, 29, v8
	v_cmp_eq_u32_e64 s[4:5], 0, v3
	v_and_b32_e32 v0, 7, v0
	s_nop 0
	v_cndmask_b32_e64 v1, v3, v1, s[4:5]
	v_cndmask_b32_e64 v0, v2, v0, s[4:5]
	v_lshlrev_b32_e32 v2, 8, v12
	v_lshl_add_u32 v1, v1, 10, v55
	v_and_or_b32 v1, v2, s34, v1
	v_lshl_or_b32 v0, v0, 7, v1
	v_cvt_f32_f16_e32 v10, v0
.LBB303_126:                            ;   in Loop: Header=BB303_10 Depth=1
	s_or_b64 exec, exec, s[24:25]
	v_lshrrev_b16_e32 v8, 8, v12
	v_cmp_lt_i16_e64 s[4:5], s17, v8
	s_mov_b64 s[24:25], 0
                                        ; implicit-def: $sgpr35
	s_and_saveexec_b64 s[26:27], s[4:5]
	s_xor_b64 s[26:27], exec, s[26:27]
	s_cbranch_execnz .LBB303_320
; %bb.127:                              ;   in Loop: Header=BB303_10 Depth=1
	s_or_saveexec_b64 s[26:27], s[26:27]
	v_mov_b32_e32 v1, s35
	s_xor_b64 exec, exec, s[26:27]
	s_cbranch_execnz .LBB303_323
.LBB303_128:                            ;   in Loop: Header=BB303_10 Depth=1
	s_or_b64 exec, exec, s[26:27]
	s_and_saveexec_b64 s[26:27], s[24:25]
	s_cbranch_execz .LBB303_130
.LBB303_129:                            ;   in Loop: Header=BB303_10 Depth=1
	v_and_b32_e32 v2, 7, v8
	v_ffbh_u32_e32 v0, v2
	v_min_u32_e32 v13, 32, v0
	v_subrev_u32_e32 v0, 28, v13
	v_bfe_u32 v3, v8, 3, 4
	v_lshlrev_b64 v[0:1], v0, v[8:9]
	v_sub_u32_e32 v1, 29, v13
	v_cmp_eq_u32_e64 s[4:5], 0, v3
	v_and_b32_e32 v0, 7, v0
	s_nop 0
	v_cndmask_b32_e64 v1, v3, v1, s[4:5]
	v_cndmask_b32_e64 v0, v2, v0, s[4:5]
	v_lshlrev_b32_e32 v2, 8, v8
	v_lshl_add_u32 v1, v1, 10, v55
	v_and_or_b32 v1, v2, s34, v1
	v_lshl_or_b32 v0, v0, 7, v1
	v_cvt_f32_f16_e32 v1, v0
.LBB303_130:                            ;   in Loop: Header=BB303_10 Depth=1
	s_or_b64 exec, exec, s[26:27]
	v_lshrrev_b32_e32 v8, 16, v12
	v_cmp_gt_i16_sdwa s[24:25], v8, s17 src0_sel:BYTE_0 src1_sel:DWORD
	s_mov_b64 s[4:5], 0
                                        ; implicit-def: $sgpr28
	s_and_saveexec_b64 s[26:27], s[24:25]
	s_xor_b64 s[24:25], exec, s[26:27]
	s_cbranch_execnz .LBB303_324
; %bb.131:                              ;   in Loop: Header=BB303_10 Depth=1
	s_or_saveexec_b64 s[24:25], s[24:25]
	v_mov_b32_e32 v0, s28
	s_xor_b64 exec, exec, s[24:25]
	s_cbranch_execnz .LBB303_327
.LBB303_132:                            ;   in Loop: Header=BB303_10 Depth=1
	s_or_b64 exec, exec, s[24:25]
	s_and_saveexec_b64 s[24:25], s[4:5]
	s_cbranch_execz .LBB303_134
.LBB303_133:                            ;   in Loop: Header=BB303_10 Depth=1
	v_bfe_u32 v0, v12, 16, 3
	v_ffbh_u32_e32 v2, v0
	v_min_u32_e32 v14, 32, v2
	v_subrev_u32_e32 v2, 28, v14
	v_bfe_u32 v13, v12, 19, 4
	v_lshlrev_b64 v[2:3], v2, v[8:9]
	v_sub_u32_e32 v3, 29, v14
	v_cmp_eq_u32_e64 s[4:5], 0, v13
	v_and_b32_e32 v2, 7, v2
	s_nop 0
	v_cndmask_b32_e64 v3, v13, v3, s[4:5]
	v_cndmask_b32_e64 v0, v0, v2, s[4:5]
	v_lshlrev_b32_e32 v2, 8, v8
	v_lshl_add_u32 v3, v3, 10, v55
	v_and_or_b32 v2, v2, s34, v3
	v_lshl_or_b32 v0, v0, 7, v2
	v_cvt_f32_f16_e32 v0, v0
.LBB303_134:                            ;   in Loop: Header=BB303_10 Depth=1
	s_or_b64 exec, exec, s[24:25]
	v_lshrrev_b32_e32 v8, 24, v12
	v_cmp_lt_i16_e64 s[4:5], s17, v8
	s_mov_b64 s[24:25], 0
                                        ; implicit-def: $sgpr35
	s_and_saveexec_b64 s[26:27], s[4:5]
	s_xor_b64 s[26:27], exec, s[26:27]
	s_cbranch_execnz .LBB303_328
; %bb.135:                              ;   in Loop: Header=BB303_10 Depth=1
	s_or_saveexec_b64 s[26:27], s[26:27]
	v_mov_b32_e32 v3, s35
	s_xor_b64 exec, exec, s[26:27]
	s_cbranch_execnz .LBB303_331
.LBB303_136:                            ;   in Loop: Header=BB303_10 Depth=1
	s_or_b64 exec, exec, s[26:27]
	s_and_saveexec_b64 s[26:27], s[24:25]
	s_cbranch_execz .LBB303_138
.LBB303_137:                            ;   in Loop: Header=BB303_10 Depth=1
	v_bfe_u32 v13, v12, 24, 3
	v_ffbh_u32_e32 v2, v13
	v_min_u32_e32 v14, 32, v2
	v_subrev_u32_e32 v2, 28, v14
	v_bfe_u32 v12, v12, 27, 4
	v_lshlrev_b64 v[2:3], v2, v[8:9]
	v_sub_u32_e32 v3, 29, v14
	v_cmp_eq_u32_e64 s[4:5], 0, v12
	v_and_b32_e32 v2, 7, v2
	v_lshlrev_b32_e32 v8, 8, v8
	v_cndmask_b32_e64 v3, v12, v3, s[4:5]
	v_lshl_add_u32 v3, v3, 10, v55
	v_cndmask_b32_e64 v2, v13, v2, s[4:5]
	v_and_or_b32 v3, v8, s34, v3
	v_lshl_or_b32 v2, v2, 7, v3
	v_cvt_f32_f16_e32 v3, v2
.LBB303_138:                            ;   in Loop: Header=BB303_10 Depth=1
	s_or_b64 exec, exec, s[26:27]
	flat_load_dword v12, v[36:37] offset:2048
	s_mov_b64 s[4:5], 0
                                        ; implicit-def: $sgpr28
	s_waitcnt vmcnt(0) lgkmcnt(0)
	v_cmp_gt_i16_sdwa s[24:25], v12, s17 src0_sel:BYTE_0 src1_sel:DWORD
	s_and_saveexec_b64 s[26:27], s[24:25]
	s_xor_b64 s[24:25], exec, s[26:27]
	s_cbranch_execnz .LBB303_332
; %bb.139:                              ;   in Loop: Header=BB303_10 Depth=1
	s_or_saveexec_b64 s[24:25], s[24:25]
	v_mov_b32_e32 v2, s28
	s_xor_b64 exec, exec, s[24:25]
	s_cbranch_execnz .LBB303_335
.LBB303_140:                            ;   in Loop: Header=BB303_10 Depth=1
	s_or_b64 exec, exec, s[24:25]
	s_and_saveexec_b64 s[24:25], s[4:5]
	s_cbranch_execz .LBB303_142
.LBB303_141:                            ;   in Loop: Header=BB303_10 Depth=1
	v_and_b32_e32 v2, 7, v12
	v_ffbh_u32_e32 v13, v2
	v_min_u32_e32 v13, 32, v13
	v_bfe_u32 v8, v12, 3, 4
	v_subrev_u32_e32 v14, 28, v13
	v_lshlrev_b64 v[14:15], v14, v[12:13]
	v_sub_u32_e32 v13, 29, v13
	v_cmp_eq_u32_e64 s[4:5], 0, v8
	v_and_b32_e32 v14, 7, v14
	s_nop 0
	v_cndmask_b32_e64 v8, v8, v13, s[4:5]
	v_lshlrev_b32_e32 v13, 8, v12
	v_lshl_add_u32 v8, v8, 10, v55
	v_cndmask_b32_e64 v2, v2, v14, s[4:5]
	v_and_or_b32 v8, v13, s34, v8
	v_lshl_or_b32 v2, v2, 7, v8
	v_cvt_f32_f16_e32 v2, v2
.LBB303_142:                            ;   in Loop: Header=BB303_10 Depth=1
	s_or_b64 exec, exec, s[24:25]
	v_lshrrev_b16_e32 v8, 8, v12
	v_cmp_lt_i16_e64 s[4:5], s17, v8
	s_mov_b64 s[24:25], 0
                                        ; implicit-def: $sgpr35
	s_and_saveexec_b64 s[26:27], s[4:5]
	s_xor_b64 s[26:27], exec, s[26:27]
	s_cbranch_execnz .LBB303_336
; %bb.143:                              ;   in Loop: Header=BB303_10 Depth=1
	s_or_saveexec_b64 s[26:27], s[26:27]
	v_mov_b32_e32 v15, s35
	s_xor_b64 exec, exec, s[26:27]
	s_cbranch_execnz .LBB303_339
.LBB303_144:                            ;   in Loop: Header=BB303_10 Depth=1
	s_or_b64 exec, exec, s[26:27]
	s_and_saveexec_b64 s[26:27], s[24:25]
	s_cbranch_execz .LBB303_146
.LBB303_145:                            ;   in Loop: Header=BB303_10 Depth=1
	v_and_b32_e32 v13, 7, v8
	v_ffbh_u32_e32 v14, v13
	v_min_u32_e32 v24, 32, v14
	v_subrev_u32_e32 v14, 28, v24
	v_bfe_u32 v22, v8, 3, 4
	v_lshlrev_b64 v[14:15], v14, v[8:9]
	v_sub_u32_e32 v15, 29, v24
	v_cmp_eq_u32_e64 s[4:5], 0, v22
	v_and_b32_e32 v14, 7, v14
	v_lshlrev_b32_e32 v8, 8, v8
	v_cndmask_b32_e64 v15, v22, v15, s[4:5]
	v_cndmask_b32_e64 v13, v13, v14, s[4:5]
	v_lshl_add_u32 v14, v15, 10, v55
	v_and_or_b32 v8, v8, s34, v14
	v_lshl_or_b32 v8, v13, 7, v8
	v_cvt_f32_f16_e32 v15, v8
.LBB303_146:                            ;   in Loop: Header=BB303_10 Depth=1
	s_or_b64 exec, exec, s[26:27]
	v_lshrrev_b32_e32 v8, 16, v12
	v_cmp_gt_i16_sdwa s[24:25], v8, s17 src0_sel:BYTE_0 src1_sel:DWORD
	s_mov_b64 s[4:5], 0
                                        ; implicit-def: $sgpr28
	s_and_saveexec_b64 s[26:27], s[24:25]
	s_xor_b64 s[24:25], exec, s[26:27]
	s_cbranch_execnz .LBB303_340
; %bb.147:                              ;   in Loop: Header=BB303_10 Depth=1
	s_or_saveexec_b64 s[24:25], s[24:25]
	v_mov_b32_e32 v14, s28
	s_xor_b64 exec, exec, s[24:25]
	s_cbranch_execnz .LBB303_343
.LBB303_148:                            ;   in Loop: Header=BB303_10 Depth=1
	s_or_b64 exec, exec, s[24:25]
	s_and_saveexec_b64 s[24:25], s[4:5]
	s_cbranch_execz .LBB303_150
.LBB303_149:                            ;   in Loop: Header=BB303_10 Depth=1
	v_bfe_u32 v13, v12, 16, 3
	v_ffbh_u32_e32 v22, v13
	v_bfe_u32 v14, v12, 19, 4
	v_min_u32_e32 v22, 32, v22
	v_subrev_u32_e32 v24, 28, v22
	v_sub_u32_e32 v22, 29, v22
	v_cmp_eq_u32_e64 s[4:5], 0, v14
	v_lshlrev_b64 v[24:25], v24, v[8:9]
	v_and_b32_e32 v24, 7, v24
	v_cndmask_b32_e64 v14, v14, v22, s[4:5]
	v_lshlrev_b32_e32 v8, 8, v8
	v_lshl_add_u32 v14, v14, 10, v55
	v_cndmask_b32_e64 v13, v13, v24, s[4:5]
	v_and_or_b32 v8, v8, s34, v14
	v_lshl_or_b32 v8, v13, 7, v8
	v_cvt_f32_f16_e32 v14, v8
.LBB303_150:                            ;   in Loop: Header=BB303_10 Depth=1
	s_or_b64 exec, exec, s[24:25]
	v_lshrrev_b32_e32 v8, 24, v12
	v_cmp_lt_i16_e64 s[4:5], s17, v8
	s_mov_b64 s[24:25], 0
                                        ; implicit-def: $sgpr35
	s_and_saveexec_b64 s[26:27], s[4:5]
	s_xor_b64 s[26:27], exec, s[26:27]
	s_cbranch_execnz .LBB303_344
; %bb.151:                              ;   in Loop: Header=BB303_10 Depth=1
	s_or_saveexec_b64 s[26:27], s[26:27]
	v_mov_b32_e32 v13, s35
	s_xor_b64 exec, exec, s[26:27]
	s_cbranch_execnz .LBB303_347
.LBB303_152:                            ;   in Loop: Header=BB303_10 Depth=1
	s_or_b64 exec, exec, s[26:27]
	s_and_saveexec_b64 s[26:27], s[24:25]
	s_cbranch_execz .LBB303_154
.LBB303_153:                            ;   in Loop: Header=BB303_10 Depth=1
	v_bfe_u32 v22, v12, 24, 3
	v_bfe_u32 v24, v12, 27, 4
	v_ffbh_u32_e32 v12, v22
	v_min_u32_e32 v25, 32, v12
	v_subrev_u32_e32 v12, 28, v25
	v_lshlrev_b64 v[12:13], v12, v[8:9]
	v_sub_u32_e32 v13, 29, v25
	v_cmp_eq_u32_e64 s[4:5], 0, v24
	v_and_b32_e32 v12, 7, v12
	v_lshlrev_b32_e32 v8, 8, v8
	v_cndmask_b32_e64 v13, v24, v13, s[4:5]
	v_lshl_add_u32 v13, v13, 10, v55
	v_cndmask_b32_e64 v12, v22, v12, s[4:5]
	v_and_or_b32 v8, v8, s34, v13
	v_lshl_or_b32 v8, v12, 7, v8
	v_cvt_f32_f16_e32 v13, v8
.LBB303_154:                            ;   in Loop: Header=BB303_10 Depth=1
	s_or_b64 exec, exec, s[26:27]
	flat_load_dword v12, v[36:37] offset:2056
	s_mov_b64 s[4:5], 0
                                        ; implicit-def: $sgpr28
	s_waitcnt vmcnt(0) lgkmcnt(0)
	v_cmp_gt_i16_sdwa s[24:25], v12, s17 src0_sel:BYTE_0 src1_sel:DWORD
	s_and_saveexec_b64 s[26:27], s[24:25]
	s_xor_b64 s[24:25], exec, s[26:27]
	s_cbranch_execnz .LBB303_348
; %bb.155:                              ;   in Loop: Header=BB303_10 Depth=1
	s_or_saveexec_b64 s[24:25], s[24:25]
	v_mov_b32_e32 v30, s28
	s_xor_b64 exec, exec, s[24:25]
	s_cbranch_execnz .LBB303_351
.LBB303_156:                            ;   in Loop: Header=BB303_10 Depth=1
	s_or_b64 exec, exec, s[24:25]
	s_and_saveexec_b64 s[24:25], s[4:5]
	s_cbranch_execz .LBB303_158
.LBB303_157:                            ;   in Loop: Header=BB303_10 Depth=1
	v_and_b32_e32 v8, 7, v12
	v_ffbh_u32_e32 v24, v8
	v_min_u32_e32 v26, 32, v24
	v_subrev_u32_e32 v24, 28, v26
	v_bfe_u32 v22, v12, 3, 4
	v_lshlrev_b64 v[24:25], v24, v[12:13]
	v_sub_u32_e32 v25, 29, v26
	v_cmp_eq_u32_e64 s[4:5], 0, v22
	v_and_b32_e32 v24, 7, v24
	s_nop 0
	v_cndmask_b32_e64 v22, v22, v25, s[4:5]
	v_cndmask_b32_e64 v8, v8, v24, s[4:5]
	v_lshlrev_b32_e32 v24, 8, v12
	v_lshl_add_u32 v22, v22, 10, v55
	v_and_or_b32 v22, v24, s34, v22
	v_lshl_or_b32 v8, v8, 7, v22
	v_cvt_f32_f16_e32 v30, v8
.LBB303_158:                            ;   in Loop: Header=BB303_10 Depth=1
	s_or_b64 exec, exec, s[24:25]
	v_lshrrev_b16_e32 v8, 8, v12
	v_cmp_lt_i16_e64 s[4:5], s17, v8
	s_mov_b64 s[24:25], 0
                                        ; implicit-def: $sgpr35
	s_and_saveexec_b64 s[26:27], s[4:5]
	s_xor_b64 s[26:27], exec, s[26:27]
	s_cbranch_execnz .LBB303_352
; %bb.159:                              ;   in Loop: Header=BB303_10 Depth=1
	s_or_saveexec_b64 s[26:27], s[26:27]
	v_mov_b32_e32 v31, s35
	s_xor_b64 exec, exec, s[26:27]
	s_cbranch_execnz .LBB303_355
.LBB303_160:                            ;   in Loop: Header=BB303_10 Depth=1
	s_or_b64 exec, exec, s[26:27]
	s_and_saveexec_b64 s[26:27], s[24:25]
	s_cbranch_execz .LBB303_162
.LBB303_161:                            ;   in Loop: Header=BB303_10 Depth=1
	v_and_b32_e32 v22, 7, v8
	v_ffbh_u32_e32 v24, v22
	v_min_u32_e32 v27, 32, v24
	v_subrev_u32_e32 v24, 28, v27
	v_bfe_u32 v26, v8, 3, 4
	v_lshlrev_b64 v[24:25], v24, v[8:9]
	v_sub_u32_e32 v25, 29, v27
	v_cmp_eq_u32_e64 s[4:5], 0, v26
	v_and_b32_e32 v24, 7, v24
	v_lshlrev_b32_e32 v8, 8, v8
	v_cndmask_b32_e64 v25, v26, v25, s[4:5]
	v_cndmask_b32_e64 v22, v22, v24, s[4:5]
	v_lshl_add_u32 v24, v25, 10, v55
	v_and_or_b32 v8, v8, s34, v24
	v_lshl_or_b32 v8, v22, 7, v8
	v_cvt_f32_f16_e32 v31, v8
.LBB303_162:                            ;   in Loop: Header=BB303_10 Depth=1
	s_or_b64 exec, exec, s[26:27]
	v_lshrrev_b32_e32 v8, 16, v12
	v_cmp_gt_i16_sdwa s[24:25], v8, s17 src0_sel:BYTE_0 src1_sel:DWORD
	s_mov_b64 s[4:5], 0
                                        ; implicit-def: $sgpr28
	s_and_saveexec_b64 s[26:27], s[24:25]
	s_xor_b64 s[24:25], exec, s[26:27]
	s_cbranch_execnz .LBB303_356
; %bb.163:                              ;   in Loop: Header=BB303_10 Depth=1
	s_or_saveexec_b64 s[24:25], s[24:25]
	v_mov_b32_e32 v32, s28
	s_xor_b64 exec, exec, s[24:25]
	s_cbranch_execnz .LBB303_359
.LBB303_164:                            ;   in Loop: Header=BB303_10 Depth=1
	s_or_b64 exec, exec, s[24:25]
	s_and_saveexec_b64 s[24:25], s[4:5]
	s_cbranch_execz .LBB303_166
.LBB303_165:                            ;   in Loop: Header=BB303_10 Depth=1
	v_bfe_u32 v22, v12, 16, 3
	v_ffbh_u32_e32 v24, v22
	v_min_u32_e32 v27, 32, v24
	v_subrev_u32_e32 v24, 28, v27
	v_bfe_u32 v26, v12, 19, 4
	v_lshlrev_b64 v[24:25], v24, v[8:9]
	v_sub_u32_e32 v25, 29, v27
	v_cmp_eq_u32_e64 s[4:5], 0, v26
	v_and_b32_e32 v24, 7, v24
	v_lshlrev_b32_e32 v8, 8, v8
	v_cndmask_b32_e64 v25, v26, v25, s[4:5]
	v_cndmask_b32_e64 v22, v22, v24, s[4:5]
	v_lshl_add_u32 v24, v25, 10, v55
	v_and_or_b32 v8, v8, s34, v24
	v_lshl_or_b32 v8, v22, 7, v8
	v_cvt_f32_f16_e32 v32, v8
.LBB303_166:                            ;   in Loop: Header=BB303_10 Depth=1
	s_or_b64 exec, exec, s[24:25]
	v_lshrrev_b32_e32 v8, 24, v12
	v_cmp_lt_i16_e64 s[4:5], s17, v8
	s_mov_b64 s[24:25], 0
                                        ; implicit-def: $sgpr35
	s_and_saveexec_b64 s[26:27], s[4:5]
	s_xor_b64 s[26:27], exec, s[26:27]
	s_cbranch_execnz .LBB303_360
; %bb.167:                              ;   in Loop: Header=BB303_10 Depth=1
	s_or_saveexec_b64 s[26:27], s[26:27]
	v_mov_b32_e32 v33, s35
	s_xor_b64 exec, exec, s[26:27]
	s_cbranch_execnz .LBB303_363
.LBB303_168:                            ;   in Loop: Header=BB303_10 Depth=1
	s_or_b64 exec, exec, s[26:27]
	s_and_saveexec_b64 s[26:27], s[24:25]
	s_cbranch_execz .LBB303_170
.LBB303_169:                            ;   in Loop: Header=BB303_10 Depth=1
	v_bfe_u32 v22, v12, 24, 3
	v_ffbh_u32_e32 v24, v22
	v_min_u32_e32 v26, 32, v24
	v_subrev_u32_e32 v24, 28, v26
	v_bfe_u32 v12, v12, 27, 4
	v_lshlrev_b64 v[24:25], v24, v[8:9]
	v_sub_u32_e32 v25, 29, v26
	v_cmp_eq_u32_e64 s[4:5], 0, v12
	v_and_b32_e32 v24, 7, v24
	v_lshlrev_b32_e32 v8, 8, v8
	v_cndmask_b32_e64 v12, v12, v25, s[4:5]
	v_lshl_add_u32 v12, v12, 10, v55
	v_cndmask_b32_e64 v22, v22, v24, s[4:5]
	v_and_or_b32 v8, v8, s34, v12
	v_lshl_or_b32 v8, v22, 7, v8
	v_cvt_f32_f16_e32 v33, v8
.LBB303_170:                            ;   in Loop: Header=BB303_10 Depth=1
	s_or_b64 exec, exec, s[26:27]
	flat_load_dword v12, v[36:37] offset:2560
	s_mov_b64 s[4:5], 0
                                        ; implicit-def: $sgpr28
	s_waitcnt vmcnt(0) lgkmcnt(0)
	v_cmp_gt_i16_sdwa s[24:25], v12, s17 src0_sel:BYTE_0 src1_sel:DWORD
	s_and_saveexec_b64 s[26:27], s[24:25]
	s_xor_b64 s[24:25], exec, s[26:27]
	s_cbranch_execnz .LBB303_364
; %bb.171:                              ;   in Loop: Header=BB303_10 Depth=1
	s_or_saveexec_b64 s[24:25], s[24:25]
	v_mov_b32_e32 v51, s28
	s_xor_b64 exec, exec, s[24:25]
	s_cbranch_execnz .LBB303_367
.LBB303_172:                            ;   in Loop: Header=BB303_10 Depth=1
	s_or_b64 exec, exec, s[24:25]
	s_and_saveexec_b64 s[24:25], s[4:5]
	s_cbranch_execz .LBB303_174
.LBB303_173:                            ;   in Loop: Header=BB303_10 Depth=1
	v_and_b32_e32 v8, 7, v12
	v_ffbh_u32_e32 v24, v8
	v_min_u32_e32 v26, 32, v24
	v_subrev_u32_e32 v24, 28, v26
	v_bfe_u32 v22, v12, 3, 4
	v_lshlrev_b64 v[24:25], v24, v[12:13]
	v_sub_u32_e32 v25, 29, v26
	v_cmp_eq_u32_e64 s[4:5], 0, v22
	v_and_b32_e32 v24, 7, v24
	s_nop 0
	v_cndmask_b32_e64 v22, v22, v25, s[4:5]
	v_cndmask_b32_e64 v8, v8, v24, s[4:5]
	v_lshlrev_b32_e32 v24, 8, v12
	v_lshl_add_u32 v22, v22, 10, v55
	v_and_or_b32 v22, v24, s34, v22
	v_lshl_or_b32 v8, v8, 7, v22
	v_cvt_f32_f16_e32 v51, v8
.LBB303_174:                            ;   in Loop: Header=BB303_10 Depth=1
	s_or_b64 exec, exec, s[24:25]
	v_lshrrev_b16_e32 v8, 8, v12
	v_cmp_lt_i16_e64 s[4:5], s17, v8
	s_mov_b64 s[24:25], 0
                                        ; implicit-def: $sgpr35
	s_and_saveexec_b64 s[26:27], s[4:5]
	s_xor_b64 s[26:27], exec, s[26:27]
	s_cbranch_execnz .LBB303_368
; %bb.175:                              ;   in Loop: Header=BB303_10 Depth=1
	s_or_saveexec_b64 s[26:27], s[26:27]
	v_mov_b32_e32 v22, s35
	s_xor_b64 exec, exec, s[26:27]
	s_cbranch_execnz .LBB303_371
.LBB303_176:                            ;   in Loop: Header=BB303_10 Depth=1
	s_or_b64 exec, exec, s[26:27]
	s_and_saveexec_b64 s[26:27], s[24:25]
	s_cbranch_execz .LBB303_178
.LBB303_177:                            ;   in Loop: Header=BB303_10 Depth=1
	v_and_b32_e32 v22, 7, v8
	v_ffbh_u32_e32 v24, v22
	v_min_u32_e32 v27, 32, v24
	v_subrev_u32_e32 v24, 28, v27
	v_bfe_u32 v26, v8, 3, 4
	v_lshlrev_b64 v[24:25], v24, v[8:9]
	v_sub_u32_e32 v25, 29, v27
	v_cmp_eq_u32_e64 s[4:5], 0, v26
	v_and_b32_e32 v24, 7, v24
	v_lshlrev_b32_e32 v8, 8, v8
	v_cndmask_b32_e64 v25, v26, v25, s[4:5]
	v_cndmask_b32_e64 v22, v22, v24, s[4:5]
	v_lshl_add_u32 v24, v25, 10, v55
	v_and_or_b32 v8, v8, s34, v24
	v_lshl_or_b32 v8, v22, 7, v8
	v_cvt_f32_f16_e32 v22, v8
.LBB303_178:                            ;   in Loop: Header=BB303_10 Depth=1
	s_or_b64 exec, exec, s[26:27]
	v_lshrrev_b32_e32 v8, 16, v12
	v_cmp_gt_i16_sdwa s[24:25], v8, s17 src0_sel:BYTE_0 src1_sel:DWORD
	s_mov_b64 s[4:5], 0
                                        ; implicit-def: $sgpr28
	s_and_saveexec_b64 s[26:27], s[24:25]
	s_xor_b64 s[24:25], exec, s[26:27]
	s_cbranch_execnz .LBB303_372
; %bb.179:                              ;   in Loop: Header=BB303_10 Depth=1
	s_or_saveexec_b64 s[24:25], s[24:25]
	v_mov_b32_e32 v25, s28
	s_xor_b64 exec, exec, s[24:25]
	s_cbranch_execnz .LBB303_375
.LBB303_180:                            ;   in Loop: Header=BB303_10 Depth=1
	s_or_b64 exec, exec, s[24:25]
	s_and_saveexec_b64 s[24:25], s[4:5]
	s_cbranch_execz .LBB303_182
.LBB303_181:                            ;   in Loop: Header=BB303_10 Depth=1
	v_bfe_u32 v26, v12, 16, 3
	v_ffbh_u32_e32 v24, v26
	v_min_u32_e32 v42, 32, v24
	v_subrev_u32_e32 v24, 28, v42
	v_bfe_u32 v27, v12, 19, 4
	v_lshlrev_b64 v[24:25], v24, v[8:9]
	v_sub_u32_e32 v25, 29, v42
	v_cmp_eq_u32_e64 s[4:5], 0, v27
	v_and_b32_e32 v24, 7, v24
	v_lshlrev_b32_e32 v8, 8, v8
	v_cndmask_b32_e64 v25, v27, v25, s[4:5]
	v_lshl_add_u32 v25, v25, 10, v55
	v_cndmask_b32_e64 v24, v26, v24, s[4:5]
	v_and_or_b32 v8, v8, s34, v25
	v_lshl_or_b32 v8, v24, 7, v8
	v_cvt_f32_f16_e32 v25, v8
.LBB303_182:                            ;   in Loop: Header=BB303_10 Depth=1
	s_or_b64 exec, exec, s[24:25]
	v_lshrrev_b32_e32 v8, 24, v12
	v_cmp_lt_i16_e64 s[4:5], s17, v8
	s_mov_b64 s[24:25], 0
                                        ; implicit-def: $sgpr35
	s_and_saveexec_b64 s[26:27], s[4:5]
	s_xor_b64 s[26:27], exec, s[26:27]
	s_cbranch_execnz .LBB303_376
; %bb.183:                              ;   in Loop: Header=BB303_10 Depth=1
	s_or_saveexec_b64 s[26:27], s[26:27]
	v_mov_b32_e32 v24, s35
	s_xor_b64 exec, exec, s[26:27]
	s_cbranch_execnz .LBB303_379
.LBB303_184:                            ;   in Loop: Header=BB303_10 Depth=1
	s_or_b64 exec, exec, s[26:27]
	s_and_saveexec_b64 s[26:27], s[24:25]
	s_cbranch_execz .LBB303_186
.LBB303_185:                            ;   in Loop: Header=BB303_10 Depth=1
	v_bfe_u32 v24, v12, 24, 3
	v_ffbh_u32_e32 v26, v24
	v_min_u32_e32 v42, 32, v26
	v_subrev_u32_e32 v26, 28, v42
	v_bfe_u32 v12, v12, 27, 4
	v_lshlrev_b64 v[26:27], v26, v[8:9]
	v_sub_u32_e32 v27, 29, v42
	v_cmp_eq_u32_e64 s[4:5], 0, v12
	v_and_b32_e32 v26, 7, v26
	v_lshlrev_b32_e32 v8, 8, v8
	v_cndmask_b32_e64 v12, v12, v27, s[4:5]
	v_lshl_add_u32 v12, v12, 10, v55
	v_cndmask_b32_e64 v24, v24, v26, s[4:5]
	v_and_or_b32 v8, v8, s34, v12
	v_lshl_or_b32 v8, v24, 7, v8
	v_cvt_f32_f16_e32 v24, v8
.LBB303_186:                            ;   in Loop: Header=BB303_10 Depth=1
	s_or_b64 exec, exec, s[26:27]
	flat_load_dword v12, v[36:37] offset:2568
	s_mov_b64 s[4:5], 0
                                        ; implicit-def: $sgpr28
	s_waitcnt vmcnt(0) lgkmcnt(0)
	v_cmp_gt_i16_sdwa s[24:25], v12, s17 src0_sel:BYTE_0 src1_sel:DWORD
	s_and_saveexec_b64 s[26:27], s[24:25]
	s_xor_b64 s[24:25], exec, s[26:27]
	s_cbranch_execnz .LBB303_380
; %bb.187:                              ;   in Loop: Header=BB303_10 Depth=1
	s_or_saveexec_b64 s[24:25], s[24:25]
	v_mov_b32_e32 v36, s28
	s_xor_b64 exec, exec, s[24:25]
	s_cbranch_execnz .LBB303_383
.LBB303_188:                            ;   in Loop: Header=BB303_10 Depth=1
	s_or_b64 exec, exec, s[24:25]
	s_and_saveexec_b64 s[24:25], s[4:5]
	s_cbranch_execz .LBB303_190
.LBB303_189:                            ;   in Loop: Header=BB303_10 Depth=1
	v_and_b32_e32 v8, 7, v12
	v_ffbh_u32_e32 v26, v8
	v_min_u32_e32 v37, 32, v26
	v_subrev_u32_e32 v26, 28, v37
	v_bfe_u32 v36, v12, 3, 4
	v_lshlrev_b64 v[26:27], v26, v[12:13]
	v_sub_u32_e32 v27, 29, v37
	v_cmp_eq_u32_e64 s[4:5], 0, v36
	v_and_b32_e32 v26, 7, v26
	s_nop 0
	v_cndmask_b32_e64 v27, v36, v27, s[4:5]
	v_cndmask_b32_e64 v8, v8, v26, s[4:5]
	v_lshlrev_b32_e32 v26, 8, v12
	v_lshl_add_u32 v27, v27, 10, v55
	v_and_or_b32 v26, v26, s34, v27
	v_lshl_or_b32 v8, v8, 7, v26
	v_cvt_f32_f16_e32 v36, v8
.LBB303_190:                            ;   in Loop: Header=BB303_10 Depth=1
	s_or_b64 exec, exec, s[24:25]
	v_lshrrev_b16_e32 v8, 8, v12
	v_cmp_lt_i16_e64 s[4:5], s17, v8
	s_mov_b64 s[24:25], 0
                                        ; implicit-def: $sgpr35
	s_and_saveexec_b64 s[26:27], s[4:5]
	s_xor_b64 s[26:27], exec, s[26:27]
	s_cbranch_execnz .LBB303_384
; %bb.191:                              ;   in Loop: Header=BB303_10 Depth=1
	s_or_saveexec_b64 s[26:27], s[26:27]
	v_mov_b32_e32 v42, s35
	s_xor_b64 exec, exec, s[26:27]
	s_cbranch_execnz .LBB303_387
.LBB303_192:                            ;   in Loop: Header=BB303_10 Depth=1
	s_or_b64 exec, exec, s[26:27]
	s_and_saveexec_b64 s[26:27], s[24:25]
	s_cbranch_execz .LBB303_194
.LBB303_193:                            ;   in Loop: Header=BB303_10 Depth=1
	v_and_b32_e32 v37, 7, v8
	v_ffbh_u32_e32 v26, v37
	v_min_u32_e32 v43, 32, v26
	v_subrev_u32_e32 v26, 28, v43
	v_bfe_u32 v42, v8, 3, 4
	v_lshlrev_b64 v[26:27], v26, v[8:9]
	v_sub_u32_e32 v27, 29, v43
	v_cmp_eq_u32_e64 s[4:5], 0, v42
	v_and_b32_e32 v26, 7, v26
	v_lshlrev_b32_e32 v8, 8, v8
	v_cndmask_b32_e64 v27, v42, v27, s[4:5]
	v_lshl_add_u32 v27, v27, 10, v55
	v_cndmask_b32_e64 v26, v37, v26, s[4:5]
	v_and_or_b32 v8, v8, s34, v27
	v_lshl_or_b32 v8, v26, 7, v8
	v_cvt_f32_f16_e32 v42, v8
.LBB303_194:                            ;   in Loop: Header=BB303_10 Depth=1
	s_or_b64 exec, exec, s[26:27]
	v_lshrrev_b32_e32 v8, 16, v12
	v_cmp_gt_i16_sdwa s[24:25], v8, s17 src0_sel:BYTE_0 src1_sel:DWORD
	s_mov_b64 s[4:5], 0
                                        ; implicit-def: $sgpr28
	s_and_saveexec_b64 s[26:27], s[24:25]
	s_xor_b64 s[24:25], exec, s[26:27]
	s_cbranch_execnz .LBB303_388
; %bb.195:                              ;   in Loop: Header=BB303_10 Depth=1
	s_or_saveexec_b64 s[24:25], s[24:25]
	v_mov_b32_e32 v44, s28
	s_xor_b64 exec, exec, s[24:25]
	s_cbranch_execnz .LBB303_391
.LBB303_196:                            ;   in Loop: Header=BB303_10 Depth=1
	s_or_b64 exec, exec, s[24:25]
	s_and_saveexec_b64 s[24:25], s[4:5]
	s_cbranch_execz .LBB303_198
.LBB303_197:                            ;   in Loop: Header=BB303_10 Depth=1
	v_bfe_u32 v37, v12, 16, 3
	v_ffbh_u32_e32 v26, v37
	v_min_u32_e32 v44, 32, v26
	v_subrev_u32_e32 v26, 28, v44
	v_bfe_u32 v43, v12, 19, 4
	v_lshlrev_b64 v[26:27], v26, v[8:9]
	v_sub_u32_e32 v27, 29, v44
	v_cmp_eq_u32_e64 s[4:5], 0, v43
	v_and_b32_e32 v26, 7, v26
	v_lshlrev_b32_e32 v8, 8, v8
	v_cndmask_b32_e64 v27, v43, v27, s[4:5]
	v_lshl_add_u32 v27, v27, 10, v55
	v_cndmask_b32_e64 v26, v37, v26, s[4:5]
	v_and_or_b32 v8, v8, s34, v27
	v_lshl_or_b32 v8, v26, 7, v8
	v_cvt_f32_f16_e32 v44, v8
.LBB303_198:                            ;   in Loop: Header=BB303_10 Depth=1
	s_or_b64 exec, exec, s[24:25]
	v_lshrrev_b32_e32 v8, 24, v12
	v_cmp_lt_i16_e64 s[4:5], s17, v8
	s_mov_b64 s[24:25], 0
                                        ; implicit-def: $sgpr35
	s_and_saveexec_b64 s[26:27], s[4:5]
	s_xor_b64 s[26:27], exec, s[26:27]
	s_cbranch_execnz .LBB303_392
; %bb.199:                              ;   in Loop: Header=BB303_10 Depth=1
	s_or_saveexec_b64 s[26:27], s[26:27]
	v_mov_b32_e32 v47, s35
	s_xor_b64 exec, exec, s[26:27]
	s_cbranch_execnz .LBB303_395
.LBB303_200:                            ;   in Loop: Header=BB303_10 Depth=1
	s_or_b64 exec, exec, s[26:27]
	s_and_saveexec_b64 s[26:27], s[24:25]
	s_cbranch_execz .LBB303_202
.LBB303_201:                            ;   in Loop: Header=BB303_10 Depth=1
	v_bfe_u32 v37, v12, 24, 3
	v_ffbh_u32_e32 v26, v37
	v_min_u32_e32 v43, 32, v26
	v_subrev_u32_e32 v26, 28, v43
	v_bfe_u32 v12, v12, 27, 4
	v_lshlrev_b64 v[26:27], v26, v[8:9]
	v_sub_u32_e32 v27, 29, v43
	v_cmp_eq_u32_e64 s[4:5], 0, v12
	v_and_b32_e32 v26, 7, v26
	v_lshlrev_b32_e32 v8, 8, v8
	v_cndmask_b32_e64 v12, v12, v27, s[4:5]
	v_lshl_add_u32 v12, v12, 10, v55
	v_cndmask_b32_e64 v26, v37, v26, s[4:5]
	v_and_or_b32 v8, v8, s34, v12
	v_lshl_or_b32 v8, v26, 7, v8
	v_cvt_f32_f16_e32 v47, v8
.LBB303_202:                            ;   in Loop: Header=BB303_10 Depth=1
	s_or_b64 exec, exec, s[26:27]
	v_accvgpr_read_b32 v53, a34
	v_fma_mixlo_f16 v37, v41, v51, 0
	v_fma_mixlo_f16 v8, v41, v24, 0
	;; [unrolled: 1-line block ×5, first 2 shown]
	ds_read_b64 v[0:1], v53
	v_fma_mixlo_f16 v45, v41, v17, 0
	v_fma_mixlo_f16 v17, v41, v29, 0
	;; [unrolled: 1-line block ×6, first 2 shown]
	s_waitcnt lgkmcnt(0)
	v_lshrrev_b32_e32 v50, 16, v0
	v_and_b32_e32 v0, 0xffff, v0
	v_fma_mixlo_f16 v46, v41, v4, 0
	v_fma_mixlo_f16 v4, v41, v7, 0
	;;#ASMSTART
	v_cvt_f32_f16 v6, v0;
	;;#ASMEND
	v_and_b32_e32 v0, 0xffff, v5
	;;#ASMSTART
	v_cvt_f32_f16 v7, v50;
	;;#ASMEND
	;;#ASMSTART
	v_cvt_f32_f16 v50, v0;
	;;#ASMEND
	v_and_b32_e32 v0, 0xffff, v4
	v_fma_mixlo_f16 v26, v41, v10, 0
	v_fma_mixlo_f16 v10, v41, v16, 0
	;;#ASMSTART
	v_cvt_f32_f16 v16, v0;
	;;#ASMEND
	v_lshrrev_b32_e32 v0, 16, v1
	v_fma_mixlo_f16 v43, v41, v38, 0
	v_fma_mixlo_f16 v38, v41, v11, 0
	v_fma_mixlo_f16 v11, v41, v23, 0
	v_and_b32_e32 v1, 0xffff, v1
	;;#ASMSTART
	v_cvt_f32_f16 v23, v1;
	;;#ASMEND
	;;#ASMSTART
	v_cvt_f32_f16 v54, v0;
	;;#ASMEND
	v_and_b32_e32 v0, 0xffff, v10
	v_fma_mixlo_f16 v12, v41, v25, 0
	v_fma_mixlo_f16 v25, v41, v32, 0
	;; [unrolled: 1-line block ×6, first 2 shown]
	;;#ASMSTART
	v_cvt_f32_f16 v34, v0;
	;;#ASMEND
	v_and_b32_e32 v0, 0xffff, v11
	;;#ASMSTART
	v_cvt_f32_f16 v35, v0;
	;;#ASMEND
	ds_read_b64 v[10:11], v53 offset:8
	v_fma_mixlo_f16 v5, v41, v36, 0
	v_and_b32_e32 v3, 0xffff, v3
	v_and_b32_e32 v2, 0xffff, v2
	v_fma_mixlo_f16 v22, v41, v22, 0
	s_waitcnt lgkmcnt(0)
	v_lshrrev_b32_e32 v36, 16, v10
	v_and_b32_e32 v10, 0xffff, v10
	;;#ASMSTART
	v_cvt_f32_f16 v10, v10;
	;;#ASMEND
	;;#ASMSTART
	v_cvt_f32_f16 v36, v36;
	;;#ASMEND
	;; [unrolled: 3-line block ×3, first 2 shown]
	v_fma_mixlo_f16 v31, v41, v31, 0
	v_fma_mixlo_f16 v30, v41, v30, 0
	;; [unrolled: 1-line block ×22, first 2 shown]
	;;#ASMSTART
	v_cvt_f32_f16 v41, v2;
	;;#ASMEND
	v_mul_f32_e32 v2, v10, v3
	v_mul_f32_e32 v3, v36, v41
	v_fmac_f32_e32 v2, v6, v50
	v_fmac_f32_e32 v3, v7, v16
	v_lshrrev_b32_e32 v6, 16, v11
	v_and_b32_e32 v7, 0xffff, v11
	v_and_b32_e32 v10, 0xffff, v56
	v_and_b32_e32 v11, 0xffff, v57
	;;#ASMSTART
	v_cvt_f32_f16 v7, v7;
	;;#ASMEND
	;;#ASMSTART
	v_cvt_f32_f16 v6, v6;
	;;#ASMEND
	;; [unrolled: 3-line block ×4, first 2 shown]
	ds_read_b64 v[56:57], v53 offset:16
	v_mul_f32_e32 v10, v7, v10
	v_mul_f32_e32 v11, v6, v11
	v_fmac_f32_e32 v10, v23, v34
	v_fmac_f32_e32 v11, v54, v35
	s_waitcnt lgkmcnt(0)
	v_lshrrev_b32_e32 v6, 16, v56
	v_and_b32_e32 v7, 0xffff, v56
	v_and_b32_e32 v16, 0xffff, v58
	;; [unrolled: 1-line block ×3, first 2 shown]
	v_lshrrev_b32_e32 v34, 16, v57
	v_and_b32_e32 v35, 0xffff, v57
	v_and_b32_e32 v36, 0xffff, v60
	;; [unrolled: 1-line block ×3, first 2 shown]
	;;#ASMSTART
	v_cvt_f32_f16 v7, v7;
	;;#ASMEND
	;;#ASMSTART
	v_cvt_f32_f16 v6, v6;
	;;#ASMEND
	;; [unrolled: 3-line block ×8, first 2 shown]
	ds_read_b64 v[56:57], v53 offset:24
	v_fmac_f32_e32 v2, v7, v16
	v_fmac_f32_e32 v3, v6, v23
	;; [unrolled: 1-line block ×4, first 2 shown]
	s_waitcnt lgkmcnt(0)
	v_lshrrev_b32_e32 v6, 16, v56
	v_and_b32_e32 v7, 0xffff, v56
	v_and_b32_e32 v16, 0xffff, v62
	;; [unrolled: 1-line block ×3, first 2 shown]
	v_lshrrev_b32_e32 v34, 16, v57
	v_and_b32_e32 v35, 0xffff, v57
	v_and_b32_e32 v21, 0xffff, v21
	;; [unrolled: 1-line block ×3, first 2 shown]
	;;#ASMSTART
	v_cvt_f32_f16 v7, v7;
	;;#ASMEND
	;;#ASMSTART
	v_cvt_f32_f16 v6, v6;
	;;#ASMEND
	;; [unrolled: 3-line block ×8, first 2 shown]
	ds_read_b64 v[56:57], v53 offset:32
	v_fmac_f32_e32 v2, v7, v16
	v_fmac_f32_e32 v3, v6, v23
	;; [unrolled: 1-line block ×3, first 2 shown]
	v_and_b32_e32 v16, 0xffff, v39
	s_waitcnt lgkmcnt(0)
	v_lshrrev_b32_e32 v6, 16, v56
	v_and_b32_e32 v7, 0xffff, v56
	v_and_b32_e32 v18, 0xffff, v29
	v_fmac_f32_e32 v10, v35, v21
	;;#ASMSTART
	v_cvt_f32_f16 v7, v7;
	;;#ASMEND
	;;#ASMSTART
	v_cvt_f32_f16 v6, v6;
	;;#ASMEND
	;; [unrolled: 3-line block ×4, first 2 shown]
	v_lshrrev_b32_e32 v18, 16, v57
	v_and_b32_e32 v23, 0xffff, v57
	;;#ASMSTART
	v_cvt_f32_f16 v23, v23;
	;;#ASMEND
	;;#ASMSTART
	v_cvt_f32_f16 v29, v18;
	;;#ASMEND
	v_and_b32_e32 v18, 0xffff, v20
	;;#ASMSTART
	v_cvt_f32_f16 v20, v18;
	;;#ASMEND
	v_and_b32_e32 v18, 0xffff, v19
	;;#ASMSTART
	v_cvt_f32_f16 v34, v18;
	;;#ASMEND
	ds_read_b64 v[18:19], v53 offset:40
	v_fmac_f32_e32 v2, v7, v16
	v_fmac_f32_e32 v3, v6, v21
	v_and_b32_e32 v16, 0xffff, v46
	v_fmac_f32_e32 v10, v23, v20
	s_waitcnt lgkmcnt(0)
	v_lshrrev_b32_e32 v6, 16, v18
	v_and_b32_e32 v7, 0xffff, v18
	v_and_b32_e32 v18, 0xffff, v45
	;;#ASMSTART
	v_cvt_f32_f16 v7, v7;
	;;#ASMEND
	;;#ASMSTART
	v_cvt_f32_f16 v6, v6;
	;;#ASMEND
	;; [unrolled: 3-line block ×4, first 2 shown]
	v_lshrrev_b32_e32 v18, 16, v19
	v_and_b32_e32 v19, 0xffff, v19
	;;#ASMSTART
	v_cvt_f32_f16 v21, v19;
	;;#ASMEND
	;;#ASMSTART
	v_cvt_f32_f16 v23, v18;
	;;#ASMEND
	v_and_b32_e32 v18, 0xffff, v28
	v_and_b32_e32 v17, 0xffff, v17
	;;#ASMSTART
	v_cvt_f32_f16 v28, v18;
	;;#ASMEND
	;;#ASMSTART
	v_cvt_f32_f16 v17, v17;
	;;#ASMEND
	ds_read_b64 v[18:19], v53 offset:48
	v_fmac_f32_e32 v11, v29, v34
	v_fmac_f32_e32 v2, v7, v16
	v_fmac_f32_e32 v3, v6, v20
	v_fmac_f32_e32 v11, v23, v17
	s_waitcnt lgkmcnt(0)
	v_lshrrev_b32_e32 v6, 16, v18
	v_and_b32_e32 v7, 0xffff, v18
	v_and_b32_e32 v16, 0xffff, v52
	;; [unrolled: 1-line block ×3, first 2 shown]
	v_lshrrev_b32_e32 v18, 16, v19
	v_fmac_f32_e32 v10, v21, v28
	;;#ASMSTART
	v_cvt_f32_f16 v7, v7;
	;;#ASMEND
	;;#ASMSTART
	v_cvt_f32_f16 v6, v6;
	;;#ASMEND
	;; [unrolled: 3-line block ×4, first 2 shown]
	v_and_b32_e32 v19, 0xffff, v19
	;;#ASMSTART
	v_cvt_f32_f16 v20, v19;
	;;#ASMEND
	;;#ASMSTART
	v_cvt_f32_f16 v21, v18;
	;;#ASMEND
	v_and_b32_e32 v18, 0xffff, v49
	;;#ASMSTART
	v_cvt_f32_f16 v23, v18;
	;;#ASMEND
	v_and_b32_e32 v18, 0xffff, v38
	;;#ASMSTART
	v_cvt_f32_f16 v28, v18;
	;;#ASMEND
	ds_read_b64 v[18:19], v53 offset:56
	v_fmac_f32_e32 v2, v7, v16
	v_fmac_f32_e32 v3, v6, v17
	v_and_b32_e32 v16, 0xffff, v26
	v_and_b32_e32 v17, 0xffff, v51
	s_waitcnt lgkmcnt(0)
	v_lshrrev_b32_e32 v6, 16, v18
	v_and_b32_e32 v7, 0xffff, v18
	v_lshrrev_b32_e32 v18, 16, v19
	v_fmac_f32_e32 v10, v20, v23
	v_fmac_f32_e32 v11, v21, v28
	;;#ASMSTART
	v_cvt_f32_f16 v7, v7;
	;;#ASMEND
	;;#ASMSTART
	v_cvt_f32_f16 v6, v6;
	;;#ASMEND
	;; [unrolled: 3-line block ×4, first 2 shown]
	v_and_b32_e32 v19, 0xffff, v19
	;;#ASMSTART
	v_cvt_f32_f16 v20, v19;
	;;#ASMEND
	;;#ASMSTART
	v_cvt_f32_f16 v21, v18;
	;;#ASMEND
	v_and_b32_e32 v18, 0xffff, v33
	;;#ASMSTART
	v_cvt_f32_f16 v23, v18;
	;;#ASMEND
	v_and_b32_e32 v18, 0xffff, v32
	;;#ASMSTART
	v_cvt_f32_f16 v26, v18;
	;;#ASMEND
	ds_read_b64 v[18:19], v53 offset:64
	v_fmac_f32_e32 v2, v7, v16
	v_fmac_f32_e32 v3, v6, v17
	v_and_b32_e32 v16, 0xffff, v27
	v_and_b32_e32 v15, 0xffff, v15
	s_waitcnt lgkmcnt(0)
	v_lshrrev_b32_e32 v6, 16, v18
	v_and_b32_e32 v7, 0xffff, v18
	;;#ASMSTART
	v_cvt_f32_f16 v7, v7;
	;;#ASMEND
	;;#ASMSTART
	v_cvt_f32_f16 v6, v6;
	;;#ASMEND
	;; [unrolled: 3-line block ×4, first 2 shown]
	v_lshrrev_b32_e32 v15, 16, v19
	v_and_b32_e32 v18, 0xffff, v19
	v_and_b32_e32 v14, 0xffff, v14
	v_and_b32_e32 v13, 0xffff, v13
	v_fmac_f32_e32 v10, v20, v23
	;;#ASMSTART
	v_cvt_f32_f16 v18, v18;
	;;#ASMEND
	;;#ASMSTART
	v_cvt_f32_f16 v19, v15;
	;;#ASMEND
	;; [unrolled: 3-line block ×4, first 2 shown]
	ds_read_b64 v[14:15], v53 offset:72
	v_fmac_f32_e32 v11, v21, v26
	v_fmac_f32_e32 v2, v7, v16
	;; [unrolled: 1-line block ×4, first 2 shown]
	s_waitcnt lgkmcnt(0)
	v_lshrrev_b32_e32 v6, 16, v14
	v_and_b32_e32 v7, 0xffff, v14
	v_and_b32_e32 v13, 0xffff, v30
	;; [unrolled: 1-line block ×3, first 2 shown]
	;;#ASMSTART
	v_cvt_f32_f16 v7, v7;
	;;#ASMEND
	;;#ASMSTART
	v_cvt_f32_f16 v6, v6;
	;;#ASMEND
	;; [unrolled: 3-line block ×4, first 2 shown]
	v_lshrrev_b32_e32 v14, 16, v15
	v_fmac_f32_e32 v10, v18, v20
	v_and_b32_e32 v15, 0xffff, v15
	;;#ASMSTART
	v_cvt_f32_f16 v17, v15;
	;;#ASMEND
	;;#ASMSTART
	v_cvt_f32_f16 v18, v14;
	;;#ASMEND
	v_and_b32_e32 v14, 0xffff, v25
	;;#ASMSTART
	v_cvt_f32_f16 v19, v14;
	;;#ASMEND
	v_and_b32_e32 v14, 0xffff, v24
	;;#ASMSTART
	v_cvt_f32_f16 v20, v14;
	;;#ASMEND
	ds_read_b64 v[14:15], v53 offset:80
	v_fmac_f32_e32 v2, v7, v13
	v_fmac_f32_e32 v3, v6, v16
	v_and_b32_e32 v13, 0xffff, v37
	v_and_b32_e32 v12, 0xffff, v12
	s_waitcnt lgkmcnt(0)
	v_lshrrev_b32_e32 v6, 16, v14
	v_and_b32_e32 v7, 0xffff, v14
	;;#ASMSTART
	v_cvt_f32_f16 v7, v7;
	;;#ASMEND
	;;#ASMSTART
	v_cvt_f32_f16 v6, v6;
	;;#ASMEND
	;; [unrolled: 3-line block ×3, first 2 shown]
	v_and_b32_e32 v13, 0xffff, v22
	;;#ASMSTART
	v_cvt_f32_f16 v16, v13;
	;;#ASMEND
	v_lshrrev_b32_e32 v13, 16, v15
	v_and_b32_e32 v15, 0xffff, v15
	v_and_b32_e32 v8, 0xffff, v8
	v_fmac_f32_e32 v10, v17, v19
	v_fmac_f32_e32 v11, v18, v20
	;;#ASMSTART
	v_cvt_f32_f16 v15, v15;
	;;#ASMEND
	;;#ASMSTART
	v_cvt_f32_f16 v17, v13;
	;;#ASMEND
	;; [unrolled: 3-line block ×4, first 2 shown]
	ds_read_b64 v[12:13], v53 offset:88
	v_fmac_f32_e32 v2, v7, v14
	v_fmac_f32_e32 v3, v6, v16
	v_and_b32_e32 v5, 0xffff, v5
	v_and_b32_e32 v4, 0xffff, v4
	s_waitcnt lgkmcnt(0)
	v_lshrrev_b32_e32 v6, 16, v12
	v_and_b32_e32 v7, 0xffff, v12
	;;#ASMSTART
	v_cvt_f32_f16 v7, v7;
	;;#ASMEND
	;;#ASMSTART
	v_cvt_f32_f16 v6, v6;
	;;#ASMEND
	;; [unrolled: 3-line block ×4, first 2 shown]
	v_and_b32_e32 v1, 0xffff, v1
	v_fmac_f32_e32 v2, v7, v5
	v_fmac_f32_e32 v3, v6, v4
	v_lshrrev_b32_e32 v4, 16, v13
	v_and_b32_e32 v5, 0xffff, v13
	v_and_b32_e32 v0, 0xffff, v0
	v_fmac_f32_e32 v10, v15, v18
	v_fmac_f32_e32 v11, v17, v8
	;;#ASMSTART
	v_cvt_f32_f16 v5, v5;
	;;#ASMEND
	;;#ASMSTART
	v_cvt_f32_f16 v4, v4;
	;;#ASMEND
	;; [unrolled: 3-line block ×4, first 2 shown]
	s_nop 0
	v_fmac_f32_e32 v10, v5, v1
	v_fmac_f32_e32 v11, v4, v0
	v_add_f32_e32 v0, v2, v3
	v_add_f32_e32 v0, v0, v10
	v_accvgpr_read_b32 v3, a29
	v_add_f32_e32 v1, v11, v0
	v_and_b32_e32 v0, 64, v3
	v_xor_b32_e32 v2, 1, v3
	v_add_u32_e32 v0, 64, v0
	v_cmp_lt_i32_e64 s[4:5], v2, v0
	s_nop 1
	v_cndmask_b32_e64 v2, v3, v2, s[4:5]
	v_lshlrev_b32_e32 v2, 2, v2
	ds_bpermute_b32 v2, v2, v1
	s_and_saveexec_b64 s[24:25], vcc
	s_cbranch_execz .LBB303_9
; %bb.203:                              ;   in Loop: Header=BB303_10 Depth=1
	s_waitcnt lgkmcnt(0)
	v_add_f32_e32 v1, v1, v2
	scratch_load_dword v2, off, s32 offset:96 ; 4-byte Folded Reload
	v_accvgpr_read_b32 v3, a35
	v_accvgpr_read_b32 v5, a38
	v_add_u32_e32 v3, v3, v5
	v_cvt_f32_i32_e32 v3, v3
	s_load_dword s4, s[8:9], 0x0
	v_accvgpr_read_b32 v4, a28
	s_waitcnt vmcnt(0)
	v_mul_f32_e32 v2, v2, v3
	v_cndmask_b32_e64 v2, 0, v2, s[2:3]
	v_accvgpr_read_b32 v3, a39
	v_fmac_f32_e32 v2, v1, v4
	v_accvgpr_read_b32 v4, a8
	s_waitcnt lgkmcnt(0)
	v_add_u32_e32 v3, s4, v3
	v_cmp_lt_i32_e64 s[4:5], v5, v4
	s_nop 1
	v_cndmask_b32_e64 v1, 0, v2, s[4:5]
	ds_write_b32 v3, v1
	scratch_load_dword v3, off, s32 offset:92 ; 4-byte Folded Reload
	s_waitcnt vmcnt(0)
	v_max_f32_e32 v1, v3, v3
	v_max_f32_e32 v1, v1, v2
	v_cndmask_b32_e64 v3, v3, v1, s[4:5]
	scratch_store_dword off, v3, s32 offset:92 ; 4-byte Folded Spill
	s_branch .LBB303_9
.LBB303_204:                            ;   in Loop: Header=BB303_10 Depth=1
	v_cmp_eq_u16_sdwa s[36:37], v12, s31 src0_sel:BYTE_0 src1_sel:DWORD
	s_mov_b64 s[4:5], -1
                                        ; implicit-def: $sgpr28
	s_and_saveexec_b64 s[26:27], s[36:37]
; %bb.205:                              ;   in Loop: Header=BB303_10 Depth=1
	s_mov_b32 s28, 0x7fc02000
	s_xor_b64 s[4:5], exec, -1
; %bb.206:                              ;   in Loop: Header=BB303_10 Depth=1
	s_or_b64 exec, exec, s[26:27]
	s_and_b64 s[4:5], s[4:5], exec
	s_or_saveexec_b64 s[24:25], s[24:25]
	v_mov_b32_e32 v6, s28
	s_xor_b64 exec, exec, s[24:25]
	s_cbranch_execz .LBB303_12
.LBB303_207:                            ;   in Loop: Header=BB303_10 Depth=1
	v_cmp_ne_u16_sdwa s[26:27], v12, v9 src0_sel:BYTE_0 src1_sel:DWORD
	s_andn2_b64 s[4:5], s[4:5], exec
	s_and_b64 s[26:27], s[26:27], exec
	v_mov_b32_e32 v6, 0
	s_or_b64 s[4:5], s[4:5], s[26:27]
	s_or_b64 exec, exec, s[24:25]
	s_and_saveexec_b64 s[24:25], s[4:5]
	s_cbranch_execnz .LBB303_13
	s_branch .LBB303_14
.LBB303_208:                            ;   in Loop: Header=BB303_10 Depth=1
	v_cmp_eq_u16_e64 s[4:5], s31, v8
	s_mov_b64 s[24:25], -1
                                        ; implicit-def: $sgpr35
	s_and_saveexec_b64 s[28:29], s[4:5]
; %bb.209:                              ;   in Loop: Header=BB303_10 Depth=1
	s_mov_b32 s35, 0x7fc02000
	s_xor_b64 s[24:25], exec, -1
; %bb.210:                              ;   in Loop: Header=BB303_10 Depth=1
	s_or_b64 exec, exec, s[28:29]
	s_and_b64 s[24:25], s[24:25], exec
	s_or_saveexec_b64 s[26:27], s[26:27]
	v_mov_b32_e32 v7, s35
	s_xor_b64 exec, exec, s[26:27]
	s_cbranch_execz .LBB303_16
.LBB303_211:                            ;   in Loop: Header=BB303_10 Depth=1
	v_cmp_ne_u16_e64 s[4:5], 0, v8
	s_andn2_b64 s[24:25], s[24:25], exec
	s_and_b64 s[4:5], s[4:5], exec
	v_mov_b32_e32 v7, 0
	s_or_b64 s[24:25], s[24:25], s[4:5]
	s_or_b64 exec, exec, s[26:27]
	s_and_saveexec_b64 s[26:27], s[24:25]
	s_cbranch_execnz .LBB303_17
	s_branch .LBB303_18
.LBB303_212:                            ;   in Loop: Header=BB303_10 Depth=1
	v_cmp_eq_u16_sdwa s[36:37], v8, s31 src0_sel:BYTE_0 src1_sel:DWORD
	s_mov_b64 s[4:5], -1
                                        ; implicit-def: $sgpr28
	s_and_saveexec_b64 s[26:27], s[36:37]
; %bb.213:                              ;   in Loop: Header=BB303_10 Depth=1
	s_mov_b32 s28, 0x7fc02000
	s_xor_b64 s[4:5], exec, -1
; %bb.214:                              ;   in Loop: Header=BB303_10 Depth=1
	s_or_b64 exec, exec, s[26:27]
	s_and_b64 s[4:5], s[4:5], exec
	s_or_saveexec_b64 s[24:25], s[24:25]
	v_mov_b32_e32 v16, s28
	s_xor_b64 exec, exec, s[24:25]
	s_cbranch_execz .LBB303_20
.LBB303_215:                            ;   in Loop: Header=BB303_10 Depth=1
	v_cmp_ne_u16_sdwa s[26:27], v8, v9 src0_sel:BYTE_0 src1_sel:DWORD
	s_andn2_b64 s[4:5], s[4:5], exec
	s_and_b64 s[26:27], s[26:27], exec
	v_mov_b32_e32 v16, 0
	s_or_b64 s[4:5], s[4:5], s[26:27]
	s_or_b64 exec, exec, s[24:25]
	s_and_saveexec_b64 s[24:25], s[4:5]
	s_cbranch_execnz .LBB303_21
	s_branch .LBB303_22
.LBB303_216:                            ;   in Loop: Header=BB303_10 Depth=1
	v_cmp_eq_u16_e64 s[4:5], s31, v8
	s_mov_b64 s[24:25], -1
                                        ; implicit-def: $sgpr35
	s_and_saveexec_b64 s[28:29], s[4:5]
; %bb.217:                              ;   in Loop: Header=BB303_10 Depth=1
	s_mov_b32 s35, 0x7fc02000
	s_xor_b64 s[24:25], exec, -1
; %bb.218:                              ;   in Loop: Header=BB303_10 Depth=1
	s_or_b64 exec, exec, s[28:29]
	s_and_b64 s[24:25], s[24:25], exec
	s_or_saveexec_b64 s[26:27], s[26:27]
	v_mov_b32_e32 v23, s35
	s_xor_b64 exec, exec, s[26:27]
	s_cbranch_execz .LBB303_24
.LBB303_219:                            ;   in Loop: Header=BB303_10 Depth=1
	v_cmp_ne_u16_e64 s[4:5], 0, v8
	s_andn2_b64 s[24:25], s[24:25], exec
	s_and_b64 s[4:5], s[4:5], exec
	v_mov_b32_e32 v23, 0
	s_or_b64 s[24:25], s[24:25], s[4:5]
	s_or_b64 exec, exec, s[26:27]
	s_and_saveexec_b64 s[26:27], s[24:25]
	s_cbranch_execnz .LBB303_25
	s_branch .LBB303_26
.LBB303_220:                            ;   in Loop: Header=BB303_10 Depth=1
	v_cmp_eq_u16_sdwa s[36:37], v12, s31 src0_sel:BYTE_0 src1_sel:DWORD
	s_mov_b64 s[4:5], -1
                                        ; implicit-def: $sgpr28
	s_and_saveexec_b64 s[26:27], s[36:37]
; %bb.221:                              ;   in Loop: Header=BB303_10 Depth=1
	s_mov_b32 s28, 0x7fc02000
	s_xor_b64 s[4:5], exec, -1
; %bb.222:                              ;   in Loop: Header=BB303_10 Depth=1
	s_or_b64 exec, exec, s[26:27]
	s_and_b64 s[4:5], s[4:5], exec
	s_or_saveexec_b64 s[24:25], s[24:25]
	v_mov_b32_e32 v34, s28
	s_xor_b64 exec, exec, s[24:25]
	s_cbranch_execz .LBB303_28
.LBB303_223:                            ;   in Loop: Header=BB303_10 Depth=1
	v_cmp_ne_u16_sdwa s[26:27], v12, v9 src0_sel:BYTE_0 src1_sel:DWORD
	s_andn2_b64 s[4:5], s[4:5], exec
	s_and_b64 s[26:27], s[26:27], exec
	v_mov_b32_e32 v34, 0
	s_or_b64 s[4:5], s[4:5], s[26:27]
	s_or_b64 exec, exec, s[24:25]
	s_and_saveexec_b64 s[24:25], s[4:5]
	s_cbranch_execnz .LBB303_29
	s_branch .LBB303_30
.LBB303_224:                            ;   in Loop: Header=BB303_10 Depth=1
	v_cmp_eq_u16_e64 s[4:5], s31, v8
	s_mov_b64 s[24:25], -1
                                        ; implicit-def: $sgpr35
	s_and_saveexec_b64 s[28:29], s[4:5]
; %bb.225:                              ;   in Loop: Header=BB303_10 Depth=1
	s_mov_b32 s35, 0x7fc02000
	s_xor_b64 s[24:25], exec, -1
; %bb.226:                              ;   in Loop: Header=BB303_10 Depth=1
	s_or_b64 exec, exec, s[28:29]
	s_and_b64 s[24:25], s[24:25], exec
	s_or_saveexec_b64 s[26:27], s[26:27]
	v_mov_b32_e32 v35, s35
	s_xor_b64 exec, exec, s[26:27]
	s_cbranch_execz .LBB303_32
.LBB303_227:                            ;   in Loop: Header=BB303_10 Depth=1
	v_cmp_ne_u16_e64 s[4:5], 0, v8
	s_andn2_b64 s[24:25], s[24:25], exec
	s_and_b64 s[4:5], s[4:5], exec
	v_mov_b32_e32 v35, 0
	s_or_b64 s[24:25], s[24:25], s[4:5]
	s_or_b64 exec, exec, s[26:27]
	s_and_saveexec_b64 s[26:27], s[24:25]
	s_cbranch_execnz .LBB303_33
	s_branch .LBB303_34
.LBB303_228:                            ;   in Loop: Header=BB303_10 Depth=1
	v_cmp_eq_u16_sdwa s[36:37], v8, s31 src0_sel:BYTE_0 src1_sel:DWORD
	s_mov_b64 s[4:5], -1
                                        ; implicit-def: $sgpr28
	s_and_saveexec_b64 s[26:27], s[36:37]
; %bb.229:                              ;   in Loop: Header=BB303_10 Depth=1
	s_mov_b32 s28, 0x7fc02000
	s_xor_b64 s[4:5], exec, -1
; %bb.230:                              ;   in Loop: Header=BB303_10 Depth=1
	s_or_b64 exec, exec, s[26:27]
	s_and_b64 s[4:5], s[4:5], exec
	s_or_saveexec_b64 s[24:25], s[24:25]
	v_mov_b32_e32 v56, s28
	s_xor_b64 exec, exec, s[24:25]
	s_cbranch_execz .LBB303_36
.LBB303_231:                            ;   in Loop: Header=BB303_10 Depth=1
	v_cmp_ne_u16_sdwa s[26:27], v8, v9 src0_sel:BYTE_0 src1_sel:DWORD
	s_andn2_b64 s[4:5], s[4:5], exec
	s_and_b64 s[26:27], s[26:27], exec
	v_mov_b32_e32 v56, 0
	s_or_b64 s[4:5], s[4:5], s[26:27]
	s_or_b64 exec, exec, s[24:25]
	s_and_saveexec_b64 s[24:25], s[4:5]
	s_cbranch_execnz .LBB303_37
	s_branch .LBB303_38
.LBB303_232:                            ;   in Loop: Header=BB303_10 Depth=1
	v_cmp_eq_u16_e64 s[4:5], s31, v8
	s_mov_b64 s[24:25], -1
                                        ; implicit-def: $sgpr35
	s_and_saveexec_b64 s[28:29], s[4:5]
; %bb.233:                              ;   in Loop: Header=BB303_10 Depth=1
	s_mov_b32 s35, 0x7fc02000
	s_xor_b64 s[24:25], exec, -1
; %bb.234:                              ;   in Loop: Header=BB303_10 Depth=1
	s_or_b64 exec, exec, s[28:29]
	s_and_b64 s[24:25], s[24:25], exec
	s_or_saveexec_b64 s[26:27], s[26:27]
	v_mov_b32_e32 v57, s35
	s_xor_b64 exec, exec, s[26:27]
	s_cbranch_execz .LBB303_40
.LBB303_235:                            ;   in Loop: Header=BB303_10 Depth=1
	v_cmp_ne_u16_e64 s[4:5], 0, v8
	s_andn2_b64 s[24:25], s[24:25], exec
	s_and_b64 s[4:5], s[4:5], exec
	v_mov_b32_e32 v57, 0
	s_or_b64 s[24:25], s[24:25], s[4:5]
	s_or_b64 exec, exec, s[26:27]
	s_and_saveexec_b64 s[26:27], s[24:25]
	s_cbranch_execnz .LBB303_41
	s_branch .LBB303_42
.LBB303_236:                            ;   in Loop: Header=BB303_10 Depth=1
	v_cmp_eq_u16_sdwa s[36:37], v12, s31 src0_sel:BYTE_0 src1_sel:DWORD
	s_mov_b64 s[4:5], -1
                                        ; implicit-def: $sgpr28
	s_and_saveexec_b64 s[26:27], s[36:37]
; %bb.237:                              ;   in Loop: Header=BB303_10 Depth=1
	s_mov_b32 s28, 0x7fc02000
	s_xor_b64 s[4:5], exec, -1
; %bb.238:                              ;   in Loop: Header=BB303_10 Depth=1
	s_or_b64 exec, exec, s[26:27]
	s_and_b64 s[4:5], s[4:5], exec
	s_or_saveexec_b64 s[24:25], s[24:25]
	v_mov_b32_e32 v58, s28
	s_xor_b64 exec, exec, s[24:25]
	s_cbranch_execz .LBB303_44
.LBB303_239:                            ;   in Loop: Header=BB303_10 Depth=1
	v_cmp_ne_u16_sdwa s[26:27], v12, v9 src0_sel:BYTE_0 src1_sel:DWORD
	s_andn2_b64 s[4:5], s[4:5], exec
	s_and_b64 s[26:27], s[26:27], exec
	v_mov_b32_e32 v58, 0
	s_or_b64 s[4:5], s[4:5], s[26:27]
	s_or_b64 exec, exec, s[24:25]
	s_and_saveexec_b64 s[24:25], s[4:5]
	s_cbranch_execnz .LBB303_45
	s_branch .LBB303_46
.LBB303_240:                            ;   in Loop: Header=BB303_10 Depth=1
	v_cmp_eq_u16_e64 s[4:5], s31, v8
	s_mov_b64 s[24:25], -1
                                        ; implicit-def: $sgpr35
	s_and_saveexec_b64 s[28:29], s[4:5]
; %bb.241:                              ;   in Loop: Header=BB303_10 Depth=1
	s_mov_b32 s35, 0x7fc02000
	s_xor_b64 s[24:25], exec, -1
; %bb.242:                              ;   in Loop: Header=BB303_10 Depth=1
	s_or_b64 exec, exec, s[28:29]
	s_and_b64 s[24:25], s[24:25], exec
	s_or_saveexec_b64 s[26:27], s[26:27]
	v_mov_b32_e32 v59, s35
	s_xor_b64 exec, exec, s[26:27]
	s_cbranch_execz .LBB303_48
.LBB303_243:                            ;   in Loop: Header=BB303_10 Depth=1
	v_cmp_ne_u16_e64 s[4:5], 0, v8
	s_andn2_b64 s[24:25], s[24:25], exec
	s_and_b64 s[4:5], s[4:5], exec
	v_mov_b32_e32 v59, 0
	s_or_b64 s[24:25], s[24:25], s[4:5]
	s_or_b64 exec, exec, s[26:27]
	s_and_saveexec_b64 s[26:27], s[24:25]
	s_cbranch_execnz .LBB303_49
	s_branch .LBB303_50
.LBB303_244:                            ;   in Loop: Header=BB303_10 Depth=1
	v_cmp_eq_u16_sdwa s[36:37], v8, s31 src0_sel:BYTE_0 src1_sel:DWORD
	s_mov_b64 s[4:5], -1
                                        ; implicit-def: $sgpr28
	s_and_saveexec_b64 s[26:27], s[36:37]
; %bb.245:                              ;   in Loop: Header=BB303_10 Depth=1
	s_mov_b32 s28, 0x7fc02000
	s_xor_b64 s[4:5], exec, -1
; %bb.246:                              ;   in Loop: Header=BB303_10 Depth=1
	s_or_b64 exec, exec, s[26:27]
	s_and_b64 s[4:5], s[4:5], exec
	s_or_saveexec_b64 s[24:25], s[24:25]
	v_mov_b32_e32 v60, s28
	s_xor_b64 exec, exec, s[24:25]
	s_cbranch_execz .LBB303_52
.LBB303_247:                            ;   in Loop: Header=BB303_10 Depth=1
	v_cmp_ne_u16_sdwa s[26:27], v8, v9 src0_sel:BYTE_0 src1_sel:DWORD
	s_andn2_b64 s[4:5], s[4:5], exec
	s_and_b64 s[26:27], s[26:27], exec
	v_mov_b32_e32 v60, 0
	s_or_b64 s[4:5], s[4:5], s[26:27]
	s_or_b64 exec, exec, s[24:25]
	s_and_saveexec_b64 s[24:25], s[4:5]
	s_cbranch_execnz .LBB303_53
	s_branch .LBB303_54
.LBB303_248:                            ;   in Loop: Header=BB303_10 Depth=1
	v_cmp_eq_u16_e64 s[4:5], s31, v8
	s_mov_b64 s[24:25], -1
                                        ; implicit-def: $sgpr35
	s_and_saveexec_b64 s[28:29], s[4:5]
; %bb.249:                              ;   in Loop: Header=BB303_10 Depth=1
	s_mov_b32 s35, 0x7fc02000
	s_xor_b64 s[24:25], exec, -1
; %bb.250:                              ;   in Loop: Header=BB303_10 Depth=1
	s_or_b64 exec, exec, s[28:29]
	s_and_b64 s[24:25], s[24:25], exec
	s_or_saveexec_b64 s[26:27], s[26:27]
	v_mov_b32_e32 v61, s35
	s_xor_b64 exec, exec, s[26:27]
	s_cbranch_execz .LBB303_56
.LBB303_251:                            ;   in Loop: Header=BB303_10 Depth=1
	v_cmp_ne_u16_e64 s[4:5], 0, v8
	s_andn2_b64 s[24:25], s[24:25], exec
	s_and_b64 s[4:5], s[4:5], exec
	v_mov_b32_e32 v61, 0
	s_or_b64 s[24:25], s[24:25], s[4:5]
	s_or_b64 exec, exec, s[26:27]
	s_and_saveexec_b64 s[26:27], s[24:25]
	s_cbranch_execnz .LBB303_57
	s_branch .LBB303_58
.LBB303_252:                            ;   in Loop: Header=BB303_10 Depth=1
	v_cmp_eq_u16_sdwa s[36:37], v12, s31 src0_sel:BYTE_0 src1_sel:DWORD
	s_mov_b64 s[4:5], -1
                                        ; implicit-def: $sgpr28
	s_and_saveexec_b64 s[26:27], s[36:37]
; %bb.253:                              ;   in Loop: Header=BB303_10 Depth=1
	s_mov_b32 s28, 0x7fc02000
	s_xor_b64 s[4:5], exec, -1
; %bb.254:                              ;   in Loop: Header=BB303_10 Depth=1
	s_or_b64 exec, exec, s[26:27]
	s_and_b64 s[4:5], s[4:5], exec
	s_or_saveexec_b64 s[24:25], s[24:25]
	v_mov_b32_e32 v62, s28
	s_xor_b64 exec, exec, s[24:25]
	s_cbranch_execz .LBB303_60
.LBB303_255:                            ;   in Loop: Header=BB303_10 Depth=1
	v_cmp_ne_u16_sdwa s[26:27], v12, v9 src0_sel:BYTE_0 src1_sel:DWORD
	s_andn2_b64 s[4:5], s[4:5], exec
	s_and_b64 s[26:27], s[26:27], exec
	v_mov_b32_e32 v62, 0
	s_or_b64 s[4:5], s[4:5], s[26:27]
	s_or_b64 exec, exec, s[24:25]
	s_and_saveexec_b64 s[24:25], s[4:5]
	s_cbranch_execnz .LBB303_61
	s_branch .LBB303_62
.LBB303_256:                            ;   in Loop: Header=BB303_10 Depth=1
	v_cmp_eq_u16_e64 s[4:5], s31, v8
	s_mov_b64 s[24:25], -1
                                        ; implicit-def: $sgpr35
	s_and_saveexec_b64 s[28:29], s[4:5]
; %bb.257:                              ;   in Loop: Header=BB303_10 Depth=1
	s_mov_b32 s35, 0x7fc02000
	s_xor_b64 s[24:25], exec, -1
; %bb.258:                              ;   in Loop: Header=BB303_10 Depth=1
	s_or_b64 exec, exec, s[28:29]
	s_and_b64 s[24:25], s[24:25], exec
	s_or_saveexec_b64 s[26:27], s[26:27]
	v_mov_b32_e32 v48, s35
	s_xor_b64 exec, exec, s[26:27]
	s_cbranch_execz .LBB303_64
.LBB303_259:                            ;   in Loop: Header=BB303_10 Depth=1
	v_cmp_ne_u16_e64 s[4:5], 0, v8
	s_andn2_b64 s[24:25], s[24:25], exec
	s_and_b64 s[4:5], s[4:5], exec
	v_mov_b32_e32 v48, 0
	s_or_b64 s[24:25], s[24:25], s[4:5]
	s_or_b64 exec, exec, s[26:27]
	s_and_saveexec_b64 s[26:27], s[24:25]
	s_cbranch_execnz .LBB303_65
	s_branch .LBB303_66
.LBB303_260:                            ;   in Loop: Header=BB303_10 Depth=1
	v_cmp_eq_u16_sdwa s[36:37], v8, s31 src0_sel:BYTE_0 src1_sel:DWORD
	s_mov_b64 s[4:5], -1
                                        ; implicit-def: $sgpr28
	s_and_saveexec_b64 s[26:27], s[36:37]
; %bb.261:                              ;   in Loop: Header=BB303_10 Depth=1
	s_mov_b32 s28, 0x7fc02000
	s_xor_b64 s[4:5], exec, -1
; %bb.262:                              ;   in Loop: Header=BB303_10 Depth=1
	s_or_b64 exec, exec, s[26:27]
	s_and_b64 s[4:5], s[4:5], exec
	s_or_saveexec_b64 s[24:25], s[24:25]
	v_mov_b32_e32 v21, s28
	s_xor_b64 exec, exec, s[24:25]
	s_cbranch_execz .LBB303_68
.LBB303_263:                            ;   in Loop: Header=BB303_10 Depth=1
	v_cmp_ne_u16_sdwa s[26:27], v8, v9 src0_sel:BYTE_0 src1_sel:DWORD
	s_andn2_b64 s[4:5], s[4:5], exec
	s_and_b64 s[26:27], s[26:27], exec
	v_mov_b32_e32 v21, 0
	s_or_b64 s[4:5], s[4:5], s[26:27]
	s_or_b64 exec, exec, s[24:25]
	s_and_saveexec_b64 s[24:25], s[4:5]
	s_cbranch_execnz .LBB303_69
	s_branch .LBB303_70
.LBB303_264:                            ;   in Loop: Header=BB303_10 Depth=1
	v_cmp_eq_u16_e64 s[4:5], s31, v8
	s_mov_b64 s[24:25], -1
                                        ; implicit-def: $sgpr35
	s_and_saveexec_b64 s[28:29], s[4:5]
; %bb.265:                              ;   in Loop: Header=BB303_10 Depth=1
	s_mov_b32 s35, 0x7fc02000
	s_xor_b64 s[24:25], exec, -1
; %bb.266:                              ;   in Loop: Header=BB303_10 Depth=1
	s_or_b64 exec, exec, s[28:29]
	s_and_b64 s[24:25], s[24:25], exec
	s_or_saveexec_b64 s[26:27], s[26:27]
	v_mov_b32_e32 v18, s35
	s_xor_b64 exec, exec, s[26:27]
	s_cbranch_execz .LBB303_72
.LBB303_267:                            ;   in Loop: Header=BB303_10 Depth=1
	v_cmp_ne_u16_e64 s[4:5], 0, v8
	s_andn2_b64 s[24:25], s[24:25], exec
	s_and_b64 s[4:5], s[4:5], exec
	v_mov_b32_e32 v18, 0
	s_or_b64 s[24:25], s[24:25], s[4:5]
	s_or_b64 exec, exec, s[26:27]
	s_and_saveexec_b64 s[26:27], s[24:25]
	s_cbranch_execnz .LBB303_73
	s_branch .LBB303_74
.LBB303_268:                            ;   in Loop: Header=BB303_10 Depth=1
	v_cmp_eq_u16_sdwa s[36:37], v12, s31 src0_sel:BYTE_0 src1_sel:DWORD
	s_mov_b64 s[4:5], -1
                                        ; implicit-def: $sgpr28
	s_and_saveexec_b64 s[26:27], s[36:37]
; %bb.269:                              ;   in Loop: Header=BB303_10 Depth=1
	s_mov_b32 s28, 0x7fc02000
	s_xor_b64 s[4:5], exec, -1
; %bb.270:                              ;   in Loop: Header=BB303_10 Depth=1
	s_or_b64 exec, exec, s[26:27]
	s_and_b64 s[4:5], s[4:5], exec
	s_or_saveexec_b64 s[24:25], s[24:25]
	v_mov_b32_e32 v19, s28
	s_xor_b64 exec, exec, s[24:25]
	s_cbranch_execz .LBB303_76
.LBB303_271:                            ;   in Loop: Header=BB303_10 Depth=1
	v_cmp_ne_u16_sdwa s[26:27], v12, v9 src0_sel:BYTE_0 src1_sel:DWORD
	s_andn2_b64 s[4:5], s[4:5], exec
	s_and_b64 s[26:27], s[26:27], exec
	v_mov_b32_e32 v19, 0
	s_or_b64 s[4:5], s[4:5], s[26:27]
	s_or_b64 exec, exec, s[24:25]
	s_and_saveexec_b64 s[24:25], s[4:5]
	s_cbranch_execnz .LBB303_77
	s_branch .LBB303_78
.LBB303_272:                            ;   in Loop: Header=BB303_10 Depth=1
	v_cmp_eq_u16_e64 s[4:5], s31, v8
	s_mov_b64 s[24:25], -1
                                        ; implicit-def: $sgpr35
	s_and_saveexec_b64 s[28:29], s[4:5]
; %bb.273:                              ;   in Loop: Header=BB303_10 Depth=1
	s_mov_b32 s35, 0x7fc02000
	s_xor_b64 s[24:25], exec, -1
; %bb.274:                              ;   in Loop: Header=BB303_10 Depth=1
	s_or_b64 exec, exec, s[28:29]
	s_and_b64 s[24:25], s[24:25], exec
	s_or_saveexec_b64 s[26:27], s[26:27]
	v_mov_b32_e32 v39, s35
	s_xor_b64 exec, exec, s[26:27]
	s_cbranch_execz .LBB303_80
.LBB303_275:                            ;   in Loop: Header=BB303_10 Depth=1
	v_cmp_ne_u16_e64 s[4:5], 0, v8
	s_andn2_b64 s[24:25], s[24:25], exec
	s_and_b64 s[4:5], s[4:5], exec
	v_mov_b32_e32 v39, 0
	s_or_b64 s[24:25], s[24:25], s[4:5]
	s_or_b64 exec, exec, s[26:27]
	s_and_saveexec_b64 s[26:27], s[24:25]
	s_cbranch_execnz .LBB303_81
	s_branch .LBB303_82
.LBB303_276:                            ;   in Loop: Header=BB303_10 Depth=1
	v_cmp_eq_u16_sdwa s[36:37], v8, s31 src0_sel:BYTE_0 src1_sel:DWORD
	s_mov_b64 s[4:5], -1
                                        ; implicit-def: $sgpr28
	s_and_saveexec_b64 s[26:27], s[36:37]
; %bb.277:                              ;   in Loop: Header=BB303_10 Depth=1
	s_mov_b32 s28, 0x7fc02000
	s_xor_b64 s[4:5], exec, -1
; %bb.278:                              ;   in Loop: Header=BB303_10 Depth=1
	s_or_b64 exec, exec, s[26:27]
	s_and_b64 s[4:5], s[4:5], exec
	s_or_saveexec_b64 s[24:25], s[24:25]
	v_mov_b32_e32 v20, s28
	s_xor_b64 exec, exec, s[24:25]
	s_cbranch_execz .LBB303_84
.LBB303_279:                            ;   in Loop: Header=BB303_10 Depth=1
	v_cmp_ne_u16_sdwa s[26:27], v8, v9 src0_sel:BYTE_0 src1_sel:DWORD
	s_andn2_b64 s[4:5], s[4:5], exec
	s_and_b64 s[26:27], s[26:27], exec
	v_mov_b32_e32 v20, 0
	s_or_b64 s[4:5], s[4:5], s[26:27]
	s_or_b64 exec, exec, s[24:25]
	s_and_saveexec_b64 s[24:25], s[4:5]
	s_cbranch_execnz .LBB303_85
	s_branch .LBB303_86
.LBB303_280:                            ;   in Loop: Header=BB303_10 Depth=1
	v_cmp_eq_u16_e64 s[4:5], s31, v8
	s_mov_b64 s[24:25], -1
                                        ; implicit-def: $sgpr35
	s_and_saveexec_b64 s[28:29], s[4:5]
; %bb.281:                              ;   in Loop: Header=BB303_10 Depth=1
	s_mov_b32 s35, 0x7fc02000
	s_xor_b64 s[24:25], exec, -1
; %bb.282:                              ;   in Loop: Header=BB303_10 Depth=1
	s_or_b64 exec, exec, s[28:29]
	s_and_b64 s[24:25], s[24:25], exec
	s_or_saveexec_b64 s[26:27], s[26:27]
	v_mov_b32_e32 v5, s35
	s_xor_b64 exec, exec, s[26:27]
	s_cbranch_execz .LBB303_88
.LBB303_283:                            ;   in Loop: Header=BB303_10 Depth=1
	v_cmp_ne_u16_e64 s[4:5], 0, v8
	s_andn2_b64 s[24:25], s[24:25], exec
	s_and_b64 s[4:5], s[4:5], exec
	v_mov_b32_e32 v5, 0
	s_or_b64 s[24:25], s[24:25], s[4:5]
	s_or_b64 exec, exec, s[26:27]
	s_and_saveexec_b64 s[26:27], s[24:25]
	s_cbranch_execnz .LBB303_89
	s_branch .LBB303_90
.LBB303_284:                            ;   in Loop: Header=BB303_10 Depth=1
	v_cmp_eq_u16_sdwa s[36:37], v12, s31 src0_sel:BYTE_0 src1_sel:DWORD
	s_mov_b64 s[4:5], -1
                                        ; implicit-def: $sgpr28
	s_and_saveexec_b64 s[26:27], s[36:37]
; %bb.285:                              ;   in Loop: Header=BB303_10 Depth=1
	s_mov_b32 s28, 0x7fc02000
	s_xor_b64 s[4:5], exec, -1
; %bb.286:                              ;   in Loop: Header=BB303_10 Depth=1
	s_or_b64 exec, exec, s[26:27]
	s_and_b64 s[4:5], s[4:5], exec
	s_or_saveexec_b64 s[24:25], s[24:25]
	v_mov_b32_e32 v4, s28
	s_xor_b64 exec, exec, s[24:25]
	s_cbranch_execz .LBB303_92
.LBB303_287:                            ;   in Loop: Header=BB303_10 Depth=1
	v_cmp_ne_u16_sdwa s[26:27], v12, v9 src0_sel:BYTE_0 src1_sel:DWORD
	s_andn2_b64 s[4:5], s[4:5], exec
	s_and_b64 s[26:27], s[26:27], exec
	v_mov_b32_e32 v4, 0
	s_or_b64 s[4:5], s[4:5], s[26:27]
	s_or_b64 exec, exec, s[24:25]
	s_and_saveexec_b64 s[24:25], s[4:5]
	s_cbranch_execnz .LBB303_93
	s_branch .LBB303_94
.LBB303_288:                            ;   in Loop: Header=BB303_10 Depth=1
	v_cmp_eq_u16_e64 s[4:5], s31, v8
	s_mov_b64 s[24:25], -1
                                        ; implicit-def: $sgpr35
	s_and_saveexec_b64 s[28:29], s[4:5]
; %bb.289:                              ;   in Loop: Header=BB303_10 Depth=1
	s_mov_b32 s35, 0x7fc02000
	s_xor_b64 s[24:25], exec, -1
; %bb.290:                              ;   in Loop: Header=BB303_10 Depth=1
	s_or_b64 exec, exec, s[28:29]
	s_and_b64 s[24:25], s[24:25], exec
	s_or_saveexec_b64 s[26:27], s[26:27]
	v_mov_b32_e32 v17, s35
	s_xor_b64 exec, exec, s[26:27]
	s_cbranch_execz .LBB303_96
.LBB303_291:                            ;   in Loop: Header=BB303_10 Depth=1
	v_cmp_ne_u16_e64 s[4:5], 0, v8
	s_andn2_b64 s[24:25], s[24:25], exec
	s_and_b64 s[4:5], s[4:5], exec
	v_mov_b32_e32 v17, 0
	s_or_b64 s[24:25], s[24:25], s[4:5]
	s_or_b64 exec, exec, s[26:27]
	s_and_saveexec_b64 s[26:27], s[24:25]
	s_cbranch_execnz .LBB303_97
	s_branch .LBB303_98
.LBB303_292:                            ;   in Loop: Header=BB303_10 Depth=1
	v_cmp_eq_u16_sdwa s[36:37], v8, s31 src0_sel:BYTE_0 src1_sel:DWORD
	s_mov_b64 s[4:5], -1
                                        ; implicit-def: $sgpr28
	s_and_saveexec_b64 s[26:27], s[36:37]
; %bb.293:                              ;   in Loop: Header=BB303_10 Depth=1
	s_mov_b32 s28, 0x7fc02000
	s_xor_b64 s[4:5], exec, -1
; %bb.294:                              ;   in Loop: Header=BB303_10 Depth=1
	s_or_b64 exec, exec, s[26:27]
	s_and_b64 s[4:5], s[4:5], exec
	s_or_saveexec_b64 s[24:25], s[24:25]
	v_mov_b32_e32 v28, s28
	s_xor_b64 exec, exec, s[24:25]
	s_cbranch_execz .LBB303_100
.LBB303_295:                            ;   in Loop: Header=BB303_10 Depth=1
	v_cmp_ne_u16_sdwa s[26:27], v8, v9 src0_sel:BYTE_0 src1_sel:DWORD
	s_andn2_b64 s[4:5], s[4:5], exec
	s_and_b64 s[26:27], s[26:27], exec
	v_mov_b32_e32 v28, 0
	s_or_b64 s[4:5], s[4:5], s[26:27]
	s_or_b64 exec, exec, s[24:25]
	s_and_saveexec_b64 s[24:25], s[4:5]
	s_cbranch_execnz .LBB303_101
	s_branch .LBB303_102
.LBB303_296:                            ;   in Loop: Header=BB303_10 Depth=1
	v_cmp_eq_u16_e64 s[4:5], s31, v8
	s_mov_b64 s[24:25], -1
                                        ; implicit-def: $sgpr35
	s_and_saveexec_b64 s[28:29], s[4:5]
; %bb.297:                              ;   in Loop: Header=BB303_10 Depth=1
	s_mov_b32 s35, 0x7fc02000
	s_xor_b64 s[24:25], exec, -1
; %bb.298:                              ;   in Loop: Header=BB303_10 Depth=1
	s_or_b64 exec, exec, s[28:29]
	s_and_b64 s[24:25], s[24:25], exec
	s_or_saveexec_b64 s[26:27], s[26:27]
	v_mov_b32_e32 v29, s35
	s_xor_b64 exec, exec, s[26:27]
	s_cbranch_execz .LBB303_104
.LBB303_299:                            ;   in Loop: Header=BB303_10 Depth=1
	v_cmp_ne_u16_e64 s[4:5], 0, v8
	s_andn2_b64 s[24:25], s[24:25], exec
	s_and_b64 s[4:5], s[4:5], exec
	v_mov_b32_e32 v29, 0
	s_or_b64 s[24:25], s[24:25], s[4:5]
	s_or_b64 exec, exec, s[26:27]
	s_and_saveexec_b64 s[26:27], s[24:25]
	s_cbranch_execnz .LBB303_105
	s_branch .LBB303_106
.LBB303_300:                            ;   in Loop: Header=BB303_10 Depth=1
	v_cmp_eq_u16_sdwa s[36:37], v12, s31 src0_sel:BYTE_0 src1_sel:DWORD
	s_mov_b64 s[4:5], -1
                                        ; implicit-def: $sgpr28
	s_and_saveexec_b64 s[26:27], s[36:37]
; %bb.301:                              ;   in Loop: Header=BB303_10 Depth=1
	s_mov_b32 s28, 0x7fc02000
	s_xor_b64 s[4:5], exec, -1
; %bb.302:                              ;   in Loop: Header=BB303_10 Depth=1
	s_or_b64 exec, exec, s[26:27]
	s_and_b64 s[4:5], s[4:5], exec
	s_or_saveexec_b64 s[24:25], s[24:25]
	v_mov_b32_e32 v52, s28
	s_xor_b64 exec, exec, s[24:25]
	s_cbranch_execz .LBB303_108
.LBB303_303:                            ;   in Loop: Header=BB303_10 Depth=1
	v_cmp_ne_u16_sdwa s[26:27], v12, v9 src0_sel:BYTE_0 src1_sel:DWORD
	s_andn2_b64 s[4:5], s[4:5], exec
	s_and_b64 s[26:27], s[26:27], exec
	v_mov_b32_e32 v52, 0
	s_or_b64 s[4:5], s[4:5], s[26:27]
	s_or_b64 exec, exec, s[24:25]
	s_and_saveexec_b64 s[24:25], s[4:5]
	s_cbranch_execnz .LBB303_109
	s_branch .LBB303_110
.LBB303_304:                            ;   in Loop: Header=BB303_10 Depth=1
	v_cmp_eq_u16_e64 s[4:5], s31, v8
	s_mov_b64 s[24:25], -1
                                        ; implicit-def: $sgpr35
	s_and_saveexec_b64 s[28:29], s[4:5]
; %bb.305:                              ;   in Loop: Header=BB303_10 Depth=1
	s_mov_b32 s35, 0x7fc02000
	s_xor_b64 s[24:25], exec, -1
; %bb.306:                              ;   in Loop: Header=BB303_10 Depth=1
	s_or_b64 exec, exec, s[28:29]
	s_and_b64 s[24:25], s[24:25], exec
	s_or_saveexec_b64 s[26:27], s[26:27]
	v_mov_b32_e32 v38, s35
	s_xor_b64 exec, exec, s[26:27]
	s_cbranch_execz .LBB303_112
.LBB303_307:                            ;   in Loop: Header=BB303_10 Depth=1
	v_cmp_ne_u16_e64 s[4:5], 0, v8
	s_andn2_b64 s[24:25], s[24:25], exec
	s_and_b64 s[4:5], s[4:5], exec
	v_mov_b32_e32 v38, 0
	s_or_b64 s[24:25], s[24:25], s[4:5]
	s_or_b64 exec, exec, s[26:27]
	s_and_saveexec_b64 s[26:27], s[24:25]
	s_cbranch_execnz .LBB303_113
	s_branch .LBB303_114
.LBB303_308:                            ;   in Loop: Header=BB303_10 Depth=1
	v_cmp_eq_u16_sdwa s[36:37], v8, s31 src0_sel:BYTE_0 src1_sel:DWORD
	s_mov_b64 s[4:5], -1
                                        ; implicit-def: $sgpr28
	s_and_saveexec_b64 s[26:27], s[36:37]
; %bb.309:                              ;   in Loop: Header=BB303_10 Depth=1
	s_mov_b32 s28, 0x7fc02000
	s_xor_b64 s[4:5], exec, -1
; %bb.310:                              ;   in Loop: Header=BB303_10 Depth=1
	s_or_b64 exec, exec, s[26:27]
	s_and_b64 s[4:5], s[4:5], exec
	s_or_saveexec_b64 s[24:25], s[24:25]
	v_mov_b32_e32 v49, s28
	s_xor_b64 exec, exec, s[24:25]
	s_cbranch_execz .LBB303_116
.LBB303_311:                            ;   in Loop: Header=BB303_10 Depth=1
	v_cmp_ne_u16_sdwa s[26:27], v8, v9 src0_sel:BYTE_0 src1_sel:DWORD
	s_andn2_b64 s[4:5], s[4:5], exec
	s_and_b64 s[26:27], s[26:27], exec
	v_mov_b32_e32 v49, 0
	s_or_b64 s[4:5], s[4:5], s[26:27]
	s_or_b64 exec, exec, s[24:25]
	s_and_saveexec_b64 s[24:25], s[4:5]
	s_cbranch_execnz .LBB303_117
	s_branch .LBB303_118
.LBB303_312:                            ;   in Loop: Header=BB303_10 Depth=1
	v_cmp_eq_u16_e64 s[4:5], s31, v8
	s_mov_b64 s[24:25], -1
                                        ; implicit-def: $sgpr35
	s_and_saveexec_b64 s[28:29], s[4:5]
; %bb.313:                              ;   in Loop: Header=BB303_10 Depth=1
	s_mov_b32 s35, 0x7fc02000
	s_xor_b64 s[24:25], exec, -1
; %bb.314:                              ;   in Loop: Header=BB303_10 Depth=1
	s_or_b64 exec, exec, s[28:29]
	s_and_b64 s[24:25], s[24:25], exec
	s_or_saveexec_b64 s[26:27], s[26:27]
	v_mov_b32_e32 v11, s35
	s_xor_b64 exec, exec, s[26:27]
	s_cbranch_execz .LBB303_120
.LBB303_315:                            ;   in Loop: Header=BB303_10 Depth=1
	v_cmp_ne_u16_e64 s[4:5], 0, v8
	s_andn2_b64 s[24:25], s[24:25], exec
	s_and_b64 s[4:5], s[4:5], exec
	v_mov_b32_e32 v11, 0
	s_or_b64 s[24:25], s[24:25], s[4:5]
	s_or_b64 exec, exec, s[26:27]
	s_and_saveexec_b64 s[26:27], s[24:25]
	s_cbranch_execnz .LBB303_121
	s_branch .LBB303_122
.LBB303_316:                            ;   in Loop: Header=BB303_10 Depth=1
	v_cmp_eq_u16_sdwa s[36:37], v12, s31 src0_sel:BYTE_0 src1_sel:DWORD
	s_mov_b64 s[4:5], -1
                                        ; implicit-def: $sgpr28
	s_and_saveexec_b64 s[26:27], s[36:37]
; %bb.317:                              ;   in Loop: Header=BB303_10 Depth=1
	s_mov_b32 s28, 0x7fc02000
	s_xor_b64 s[4:5], exec, -1
; %bb.318:                              ;   in Loop: Header=BB303_10 Depth=1
	s_or_b64 exec, exec, s[26:27]
	s_and_b64 s[4:5], s[4:5], exec
	s_or_saveexec_b64 s[24:25], s[24:25]
	v_mov_b32_e32 v10, s28
	s_xor_b64 exec, exec, s[24:25]
	s_cbranch_execz .LBB303_124
.LBB303_319:                            ;   in Loop: Header=BB303_10 Depth=1
	v_cmp_ne_u16_sdwa s[26:27], v12, v9 src0_sel:BYTE_0 src1_sel:DWORD
	s_andn2_b64 s[4:5], s[4:5], exec
	s_and_b64 s[26:27], s[26:27], exec
	v_mov_b32_e32 v10, 0
	s_or_b64 s[4:5], s[4:5], s[26:27]
	s_or_b64 exec, exec, s[24:25]
	s_and_saveexec_b64 s[24:25], s[4:5]
	s_cbranch_execnz .LBB303_125
	s_branch .LBB303_126
.LBB303_320:                            ;   in Loop: Header=BB303_10 Depth=1
	v_cmp_eq_u16_e64 s[4:5], s31, v8
	s_mov_b64 s[24:25], -1
                                        ; implicit-def: $sgpr35
	s_and_saveexec_b64 s[28:29], s[4:5]
; %bb.321:                              ;   in Loop: Header=BB303_10 Depth=1
	s_mov_b32 s35, 0x7fc02000
	s_xor_b64 s[24:25], exec, -1
; %bb.322:                              ;   in Loop: Header=BB303_10 Depth=1
	s_or_b64 exec, exec, s[28:29]
	s_and_b64 s[24:25], s[24:25], exec
	s_or_saveexec_b64 s[26:27], s[26:27]
	v_mov_b32_e32 v1, s35
	s_xor_b64 exec, exec, s[26:27]
	s_cbranch_execz .LBB303_128
.LBB303_323:                            ;   in Loop: Header=BB303_10 Depth=1
	v_cmp_ne_u16_e64 s[4:5], 0, v8
	s_andn2_b64 s[24:25], s[24:25], exec
	s_and_b64 s[4:5], s[4:5], exec
	v_mov_b32_e32 v1, 0
	s_or_b64 s[24:25], s[24:25], s[4:5]
	s_or_b64 exec, exec, s[26:27]
	s_and_saveexec_b64 s[26:27], s[24:25]
	s_cbranch_execnz .LBB303_129
	s_branch .LBB303_130
.LBB303_324:                            ;   in Loop: Header=BB303_10 Depth=1
	v_cmp_eq_u16_sdwa s[36:37], v8, s31 src0_sel:BYTE_0 src1_sel:DWORD
	s_mov_b64 s[4:5], -1
                                        ; implicit-def: $sgpr28
	s_and_saveexec_b64 s[26:27], s[36:37]
; %bb.325:                              ;   in Loop: Header=BB303_10 Depth=1
	s_mov_b32 s28, 0x7fc02000
	s_xor_b64 s[4:5], exec, -1
; %bb.326:                              ;   in Loop: Header=BB303_10 Depth=1
	s_or_b64 exec, exec, s[26:27]
	s_and_b64 s[4:5], s[4:5], exec
	s_or_saveexec_b64 s[24:25], s[24:25]
	v_mov_b32_e32 v0, s28
	s_xor_b64 exec, exec, s[24:25]
	s_cbranch_execz .LBB303_132
.LBB303_327:                            ;   in Loop: Header=BB303_10 Depth=1
	v_cmp_ne_u16_sdwa s[26:27], v8, v9 src0_sel:BYTE_0 src1_sel:DWORD
	s_andn2_b64 s[4:5], s[4:5], exec
	s_and_b64 s[26:27], s[26:27], exec
	v_mov_b32_e32 v0, 0
	s_or_b64 s[4:5], s[4:5], s[26:27]
	s_or_b64 exec, exec, s[24:25]
	s_and_saveexec_b64 s[24:25], s[4:5]
	s_cbranch_execnz .LBB303_133
	s_branch .LBB303_134
.LBB303_328:                            ;   in Loop: Header=BB303_10 Depth=1
	v_cmp_eq_u16_e64 s[4:5], s31, v8
	s_mov_b64 s[24:25], -1
                                        ; implicit-def: $sgpr35
	s_and_saveexec_b64 s[28:29], s[4:5]
; %bb.329:                              ;   in Loop: Header=BB303_10 Depth=1
	s_mov_b32 s35, 0x7fc02000
	s_xor_b64 s[24:25], exec, -1
; %bb.330:                              ;   in Loop: Header=BB303_10 Depth=1
	s_or_b64 exec, exec, s[28:29]
	s_and_b64 s[24:25], s[24:25], exec
	s_or_saveexec_b64 s[26:27], s[26:27]
	v_mov_b32_e32 v3, s35
	s_xor_b64 exec, exec, s[26:27]
	s_cbranch_execz .LBB303_136
.LBB303_331:                            ;   in Loop: Header=BB303_10 Depth=1
	v_cmp_ne_u16_e64 s[4:5], 0, v8
	s_andn2_b64 s[24:25], s[24:25], exec
	s_and_b64 s[4:5], s[4:5], exec
	v_mov_b32_e32 v3, 0
	s_or_b64 s[24:25], s[24:25], s[4:5]
	s_or_b64 exec, exec, s[26:27]
	s_and_saveexec_b64 s[26:27], s[24:25]
	s_cbranch_execnz .LBB303_137
	s_branch .LBB303_138
.LBB303_332:                            ;   in Loop: Header=BB303_10 Depth=1
	v_cmp_eq_u16_sdwa s[36:37], v12, s31 src0_sel:BYTE_0 src1_sel:DWORD
	s_mov_b64 s[4:5], -1
                                        ; implicit-def: $sgpr28
	s_and_saveexec_b64 s[26:27], s[36:37]
; %bb.333:                              ;   in Loop: Header=BB303_10 Depth=1
	s_mov_b32 s28, 0x7fc02000
	s_xor_b64 s[4:5], exec, -1
; %bb.334:                              ;   in Loop: Header=BB303_10 Depth=1
	s_or_b64 exec, exec, s[26:27]
	s_and_b64 s[4:5], s[4:5], exec
	s_or_saveexec_b64 s[24:25], s[24:25]
	v_mov_b32_e32 v2, s28
	s_xor_b64 exec, exec, s[24:25]
	s_cbranch_execz .LBB303_140
.LBB303_335:                            ;   in Loop: Header=BB303_10 Depth=1
	v_cmp_ne_u16_sdwa s[26:27], v12, v9 src0_sel:BYTE_0 src1_sel:DWORD
	s_andn2_b64 s[4:5], s[4:5], exec
	s_and_b64 s[26:27], s[26:27], exec
	v_mov_b32_e32 v2, 0
	s_or_b64 s[4:5], s[4:5], s[26:27]
	s_or_b64 exec, exec, s[24:25]
	s_and_saveexec_b64 s[24:25], s[4:5]
	s_cbranch_execnz .LBB303_141
	s_branch .LBB303_142
.LBB303_336:                            ;   in Loop: Header=BB303_10 Depth=1
	v_cmp_eq_u16_e64 s[4:5], s31, v8
	s_mov_b64 s[24:25], -1
                                        ; implicit-def: $sgpr35
	s_and_saveexec_b64 s[28:29], s[4:5]
; %bb.337:                              ;   in Loop: Header=BB303_10 Depth=1
	s_mov_b32 s35, 0x7fc02000
	s_xor_b64 s[24:25], exec, -1
; %bb.338:                              ;   in Loop: Header=BB303_10 Depth=1
	s_or_b64 exec, exec, s[28:29]
	s_and_b64 s[24:25], s[24:25], exec
	s_or_saveexec_b64 s[26:27], s[26:27]
	v_mov_b32_e32 v15, s35
	s_xor_b64 exec, exec, s[26:27]
	s_cbranch_execz .LBB303_144
.LBB303_339:                            ;   in Loop: Header=BB303_10 Depth=1
	v_cmp_ne_u16_e64 s[4:5], 0, v8
	s_andn2_b64 s[24:25], s[24:25], exec
	s_and_b64 s[4:5], s[4:5], exec
	v_mov_b32_e32 v15, 0
	s_or_b64 s[24:25], s[24:25], s[4:5]
	s_or_b64 exec, exec, s[26:27]
	s_and_saveexec_b64 s[26:27], s[24:25]
	s_cbranch_execnz .LBB303_145
	s_branch .LBB303_146
.LBB303_340:                            ;   in Loop: Header=BB303_10 Depth=1
	v_cmp_eq_u16_sdwa s[36:37], v8, s31 src0_sel:BYTE_0 src1_sel:DWORD
	s_mov_b64 s[4:5], -1
                                        ; implicit-def: $sgpr28
	s_and_saveexec_b64 s[26:27], s[36:37]
; %bb.341:                              ;   in Loop: Header=BB303_10 Depth=1
	s_mov_b32 s28, 0x7fc02000
	s_xor_b64 s[4:5], exec, -1
; %bb.342:                              ;   in Loop: Header=BB303_10 Depth=1
	s_or_b64 exec, exec, s[26:27]
	s_and_b64 s[4:5], s[4:5], exec
	s_or_saveexec_b64 s[24:25], s[24:25]
	v_mov_b32_e32 v14, s28
	s_xor_b64 exec, exec, s[24:25]
	s_cbranch_execz .LBB303_148
.LBB303_343:                            ;   in Loop: Header=BB303_10 Depth=1
	v_cmp_ne_u16_sdwa s[26:27], v8, v9 src0_sel:BYTE_0 src1_sel:DWORD
	s_andn2_b64 s[4:5], s[4:5], exec
	s_and_b64 s[26:27], s[26:27], exec
	v_mov_b32_e32 v14, 0
	s_or_b64 s[4:5], s[4:5], s[26:27]
	s_or_b64 exec, exec, s[24:25]
	s_and_saveexec_b64 s[24:25], s[4:5]
	s_cbranch_execnz .LBB303_149
	s_branch .LBB303_150
.LBB303_344:                            ;   in Loop: Header=BB303_10 Depth=1
	v_cmp_eq_u16_e64 s[4:5], s31, v8
	s_mov_b64 s[24:25], -1
                                        ; implicit-def: $sgpr35
	s_and_saveexec_b64 s[28:29], s[4:5]
; %bb.345:                              ;   in Loop: Header=BB303_10 Depth=1
	s_mov_b32 s35, 0x7fc02000
	s_xor_b64 s[24:25], exec, -1
; %bb.346:                              ;   in Loop: Header=BB303_10 Depth=1
	s_or_b64 exec, exec, s[28:29]
	s_and_b64 s[24:25], s[24:25], exec
	s_or_saveexec_b64 s[26:27], s[26:27]
	v_mov_b32_e32 v13, s35
	s_xor_b64 exec, exec, s[26:27]
	s_cbranch_execz .LBB303_152
.LBB303_347:                            ;   in Loop: Header=BB303_10 Depth=1
	v_cmp_ne_u16_e64 s[4:5], 0, v8
	s_andn2_b64 s[24:25], s[24:25], exec
	s_and_b64 s[4:5], s[4:5], exec
	v_mov_b32_e32 v13, 0
	s_or_b64 s[24:25], s[24:25], s[4:5]
	s_or_b64 exec, exec, s[26:27]
	s_and_saveexec_b64 s[26:27], s[24:25]
	s_cbranch_execnz .LBB303_153
	s_branch .LBB303_154
.LBB303_348:                            ;   in Loop: Header=BB303_10 Depth=1
	v_cmp_eq_u16_sdwa s[36:37], v12, s31 src0_sel:BYTE_0 src1_sel:DWORD
	s_mov_b64 s[4:5], -1
                                        ; implicit-def: $sgpr28
	s_and_saveexec_b64 s[26:27], s[36:37]
; %bb.349:                              ;   in Loop: Header=BB303_10 Depth=1
	s_mov_b32 s28, 0x7fc02000
	s_xor_b64 s[4:5], exec, -1
; %bb.350:                              ;   in Loop: Header=BB303_10 Depth=1
	s_or_b64 exec, exec, s[26:27]
	s_and_b64 s[4:5], s[4:5], exec
	s_or_saveexec_b64 s[24:25], s[24:25]
	v_mov_b32_e32 v30, s28
	s_xor_b64 exec, exec, s[24:25]
	s_cbranch_execz .LBB303_156
.LBB303_351:                            ;   in Loop: Header=BB303_10 Depth=1
	v_cmp_ne_u16_sdwa s[26:27], v12, v9 src0_sel:BYTE_0 src1_sel:DWORD
	s_andn2_b64 s[4:5], s[4:5], exec
	s_and_b64 s[26:27], s[26:27], exec
	v_mov_b32_e32 v30, 0
	s_or_b64 s[4:5], s[4:5], s[26:27]
	s_or_b64 exec, exec, s[24:25]
	s_and_saveexec_b64 s[24:25], s[4:5]
	s_cbranch_execnz .LBB303_157
	s_branch .LBB303_158
.LBB303_352:                            ;   in Loop: Header=BB303_10 Depth=1
	v_cmp_eq_u16_e64 s[4:5], s31, v8
	s_mov_b64 s[24:25], -1
                                        ; implicit-def: $sgpr35
	s_and_saveexec_b64 s[28:29], s[4:5]
; %bb.353:                              ;   in Loop: Header=BB303_10 Depth=1
	s_mov_b32 s35, 0x7fc02000
	s_xor_b64 s[24:25], exec, -1
; %bb.354:                              ;   in Loop: Header=BB303_10 Depth=1
	s_or_b64 exec, exec, s[28:29]
	s_and_b64 s[24:25], s[24:25], exec
	s_or_saveexec_b64 s[26:27], s[26:27]
	v_mov_b32_e32 v31, s35
	s_xor_b64 exec, exec, s[26:27]
	s_cbranch_execz .LBB303_160
.LBB303_355:                            ;   in Loop: Header=BB303_10 Depth=1
	v_cmp_ne_u16_e64 s[4:5], 0, v8
	s_andn2_b64 s[24:25], s[24:25], exec
	s_and_b64 s[4:5], s[4:5], exec
	v_mov_b32_e32 v31, 0
	s_or_b64 s[24:25], s[24:25], s[4:5]
	s_or_b64 exec, exec, s[26:27]
	s_and_saveexec_b64 s[26:27], s[24:25]
	s_cbranch_execnz .LBB303_161
	s_branch .LBB303_162
.LBB303_356:                            ;   in Loop: Header=BB303_10 Depth=1
	v_cmp_eq_u16_sdwa s[36:37], v8, s31 src0_sel:BYTE_0 src1_sel:DWORD
	s_mov_b64 s[4:5], -1
                                        ; implicit-def: $sgpr28
	s_and_saveexec_b64 s[26:27], s[36:37]
; %bb.357:                              ;   in Loop: Header=BB303_10 Depth=1
	s_mov_b32 s28, 0x7fc02000
	s_xor_b64 s[4:5], exec, -1
; %bb.358:                              ;   in Loop: Header=BB303_10 Depth=1
	s_or_b64 exec, exec, s[26:27]
	s_and_b64 s[4:5], s[4:5], exec
	s_or_saveexec_b64 s[24:25], s[24:25]
	v_mov_b32_e32 v32, s28
	s_xor_b64 exec, exec, s[24:25]
	s_cbranch_execz .LBB303_164
.LBB303_359:                            ;   in Loop: Header=BB303_10 Depth=1
	v_cmp_ne_u16_sdwa s[26:27], v8, v9 src0_sel:BYTE_0 src1_sel:DWORD
	s_andn2_b64 s[4:5], s[4:5], exec
	s_and_b64 s[26:27], s[26:27], exec
	v_mov_b32_e32 v32, 0
	s_or_b64 s[4:5], s[4:5], s[26:27]
	s_or_b64 exec, exec, s[24:25]
	s_and_saveexec_b64 s[24:25], s[4:5]
	s_cbranch_execnz .LBB303_165
	s_branch .LBB303_166
.LBB303_360:                            ;   in Loop: Header=BB303_10 Depth=1
	v_cmp_eq_u16_e64 s[4:5], s31, v8
	s_mov_b64 s[24:25], -1
                                        ; implicit-def: $sgpr35
	s_and_saveexec_b64 s[28:29], s[4:5]
; %bb.361:                              ;   in Loop: Header=BB303_10 Depth=1
	s_mov_b32 s35, 0x7fc02000
	s_xor_b64 s[24:25], exec, -1
; %bb.362:                              ;   in Loop: Header=BB303_10 Depth=1
	s_or_b64 exec, exec, s[28:29]
	s_and_b64 s[24:25], s[24:25], exec
	s_or_saveexec_b64 s[26:27], s[26:27]
	v_mov_b32_e32 v33, s35
	s_xor_b64 exec, exec, s[26:27]
	s_cbranch_execz .LBB303_168
.LBB303_363:                            ;   in Loop: Header=BB303_10 Depth=1
	v_cmp_ne_u16_e64 s[4:5], 0, v8
	s_andn2_b64 s[24:25], s[24:25], exec
	s_and_b64 s[4:5], s[4:5], exec
	v_mov_b32_e32 v33, 0
	s_or_b64 s[24:25], s[24:25], s[4:5]
	s_or_b64 exec, exec, s[26:27]
	s_and_saveexec_b64 s[26:27], s[24:25]
	s_cbranch_execnz .LBB303_169
	s_branch .LBB303_170
.LBB303_364:                            ;   in Loop: Header=BB303_10 Depth=1
	v_cmp_eq_u16_sdwa s[36:37], v12, s31 src0_sel:BYTE_0 src1_sel:DWORD
	s_mov_b64 s[4:5], -1
                                        ; implicit-def: $sgpr28
	s_and_saveexec_b64 s[26:27], s[36:37]
; %bb.365:                              ;   in Loop: Header=BB303_10 Depth=1
	s_mov_b32 s28, 0x7fc02000
	s_xor_b64 s[4:5], exec, -1
; %bb.366:                              ;   in Loop: Header=BB303_10 Depth=1
	s_or_b64 exec, exec, s[26:27]
	s_and_b64 s[4:5], s[4:5], exec
	s_or_saveexec_b64 s[24:25], s[24:25]
	v_mov_b32_e32 v51, s28
	s_xor_b64 exec, exec, s[24:25]
	s_cbranch_execz .LBB303_172
.LBB303_367:                            ;   in Loop: Header=BB303_10 Depth=1
	v_cmp_ne_u16_sdwa s[26:27], v12, v9 src0_sel:BYTE_0 src1_sel:DWORD
	s_andn2_b64 s[4:5], s[4:5], exec
	s_and_b64 s[26:27], s[26:27], exec
	v_mov_b32_e32 v51, 0
	s_or_b64 s[4:5], s[4:5], s[26:27]
	s_or_b64 exec, exec, s[24:25]
	s_and_saveexec_b64 s[24:25], s[4:5]
	s_cbranch_execnz .LBB303_173
	s_branch .LBB303_174
.LBB303_368:                            ;   in Loop: Header=BB303_10 Depth=1
	v_cmp_eq_u16_e64 s[4:5], s31, v8
	s_mov_b64 s[24:25], -1
                                        ; implicit-def: $sgpr35
	s_and_saveexec_b64 s[28:29], s[4:5]
; %bb.369:                              ;   in Loop: Header=BB303_10 Depth=1
	s_mov_b32 s35, 0x7fc02000
	s_xor_b64 s[24:25], exec, -1
; %bb.370:                              ;   in Loop: Header=BB303_10 Depth=1
	s_or_b64 exec, exec, s[28:29]
	s_and_b64 s[24:25], s[24:25], exec
	s_or_saveexec_b64 s[26:27], s[26:27]
	v_mov_b32_e32 v22, s35
	s_xor_b64 exec, exec, s[26:27]
	s_cbranch_execz .LBB303_176
.LBB303_371:                            ;   in Loop: Header=BB303_10 Depth=1
	v_cmp_ne_u16_e64 s[4:5], 0, v8
	s_andn2_b64 s[24:25], s[24:25], exec
	s_and_b64 s[4:5], s[4:5], exec
	v_mov_b32_e32 v22, 0
	s_or_b64 s[24:25], s[24:25], s[4:5]
	s_or_b64 exec, exec, s[26:27]
	s_and_saveexec_b64 s[26:27], s[24:25]
	s_cbranch_execnz .LBB303_177
	s_branch .LBB303_178
.LBB303_372:                            ;   in Loop: Header=BB303_10 Depth=1
	v_cmp_eq_u16_sdwa s[36:37], v8, s31 src0_sel:BYTE_0 src1_sel:DWORD
	s_mov_b64 s[4:5], -1
                                        ; implicit-def: $sgpr28
	s_and_saveexec_b64 s[26:27], s[36:37]
; %bb.373:                              ;   in Loop: Header=BB303_10 Depth=1
	s_mov_b32 s28, 0x7fc02000
	s_xor_b64 s[4:5], exec, -1
; %bb.374:                              ;   in Loop: Header=BB303_10 Depth=1
	s_or_b64 exec, exec, s[26:27]
	s_and_b64 s[4:5], s[4:5], exec
	s_or_saveexec_b64 s[24:25], s[24:25]
	v_mov_b32_e32 v25, s28
	s_xor_b64 exec, exec, s[24:25]
	s_cbranch_execz .LBB303_180
.LBB303_375:                            ;   in Loop: Header=BB303_10 Depth=1
	v_cmp_ne_u16_sdwa s[26:27], v8, v9 src0_sel:BYTE_0 src1_sel:DWORD
	s_andn2_b64 s[4:5], s[4:5], exec
	s_and_b64 s[26:27], s[26:27], exec
	v_mov_b32_e32 v25, 0
	s_or_b64 s[4:5], s[4:5], s[26:27]
	s_or_b64 exec, exec, s[24:25]
	s_and_saveexec_b64 s[24:25], s[4:5]
	s_cbranch_execnz .LBB303_181
	s_branch .LBB303_182
.LBB303_376:                            ;   in Loop: Header=BB303_10 Depth=1
	v_cmp_eq_u16_e64 s[4:5], s31, v8
	s_mov_b64 s[24:25], -1
                                        ; implicit-def: $sgpr35
	s_and_saveexec_b64 s[28:29], s[4:5]
; %bb.377:                              ;   in Loop: Header=BB303_10 Depth=1
	s_mov_b32 s35, 0x7fc02000
	s_xor_b64 s[24:25], exec, -1
; %bb.378:                              ;   in Loop: Header=BB303_10 Depth=1
	s_or_b64 exec, exec, s[28:29]
	s_and_b64 s[24:25], s[24:25], exec
	s_or_saveexec_b64 s[26:27], s[26:27]
	v_mov_b32_e32 v24, s35
	s_xor_b64 exec, exec, s[26:27]
	s_cbranch_execz .LBB303_184
.LBB303_379:                            ;   in Loop: Header=BB303_10 Depth=1
	v_cmp_ne_u16_e64 s[4:5], 0, v8
	s_andn2_b64 s[24:25], s[24:25], exec
	s_and_b64 s[4:5], s[4:5], exec
	v_mov_b32_e32 v24, 0
	s_or_b64 s[24:25], s[24:25], s[4:5]
	s_or_b64 exec, exec, s[26:27]
	s_and_saveexec_b64 s[26:27], s[24:25]
	s_cbranch_execnz .LBB303_185
	s_branch .LBB303_186
.LBB303_380:                            ;   in Loop: Header=BB303_10 Depth=1
	v_cmp_eq_u16_sdwa s[36:37], v12, s31 src0_sel:BYTE_0 src1_sel:DWORD
	s_mov_b64 s[4:5], -1
                                        ; implicit-def: $sgpr28
	s_and_saveexec_b64 s[26:27], s[36:37]
; %bb.381:                              ;   in Loop: Header=BB303_10 Depth=1
	s_mov_b32 s28, 0x7fc02000
	s_xor_b64 s[4:5], exec, -1
; %bb.382:                              ;   in Loop: Header=BB303_10 Depth=1
	s_or_b64 exec, exec, s[26:27]
	s_and_b64 s[4:5], s[4:5], exec
	s_or_saveexec_b64 s[24:25], s[24:25]
	v_mov_b32_e32 v36, s28
	s_xor_b64 exec, exec, s[24:25]
	s_cbranch_execz .LBB303_188
.LBB303_383:                            ;   in Loop: Header=BB303_10 Depth=1
	v_cmp_ne_u16_sdwa s[26:27], v12, v9 src0_sel:BYTE_0 src1_sel:DWORD
	s_andn2_b64 s[4:5], s[4:5], exec
	s_and_b64 s[26:27], s[26:27], exec
	v_mov_b32_e32 v36, 0
	s_or_b64 s[4:5], s[4:5], s[26:27]
	s_or_b64 exec, exec, s[24:25]
	s_and_saveexec_b64 s[24:25], s[4:5]
	s_cbranch_execnz .LBB303_189
	s_branch .LBB303_190
.LBB303_384:                            ;   in Loop: Header=BB303_10 Depth=1
	v_cmp_eq_u16_e64 s[4:5], s31, v8
	s_mov_b64 s[24:25], -1
                                        ; implicit-def: $sgpr35
	s_and_saveexec_b64 s[28:29], s[4:5]
; %bb.385:                              ;   in Loop: Header=BB303_10 Depth=1
	s_mov_b32 s35, 0x7fc02000
	s_xor_b64 s[24:25], exec, -1
; %bb.386:                              ;   in Loop: Header=BB303_10 Depth=1
	s_or_b64 exec, exec, s[28:29]
	s_and_b64 s[24:25], s[24:25], exec
	s_or_saveexec_b64 s[26:27], s[26:27]
	v_mov_b32_e32 v42, s35
	s_xor_b64 exec, exec, s[26:27]
	s_cbranch_execz .LBB303_192
.LBB303_387:                            ;   in Loop: Header=BB303_10 Depth=1
	v_cmp_ne_u16_e64 s[4:5], 0, v8
	s_andn2_b64 s[24:25], s[24:25], exec
	s_and_b64 s[4:5], s[4:5], exec
	v_mov_b32_e32 v42, 0
	s_or_b64 s[24:25], s[24:25], s[4:5]
	s_or_b64 exec, exec, s[26:27]
	s_and_saveexec_b64 s[26:27], s[24:25]
	s_cbranch_execnz .LBB303_193
	s_branch .LBB303_194
.LBB303_388:                            ;   in Loop: Header=BB303_10 Depth=1
	v_cmp_eq_u16_sdwa s[36:37], v8, s31 src0_sel:BYTE_0 src1_sel:DWORD
	s_mov_b64 s[4:5], -1
                                        ; implicit-def: $sgpr28
	s_and_saveexec_b64 s[26:27], s[36:37]
; %bb.389:                              ;   in Loop: Header=BB303_10 Depth=1
	s_mov_b32 s28, 0x7fc02000
	s_xor_b64 s[4:5], exec, -1
; %bb.390:                              ;   in Loop: Header=BB303_10 Depth=1
	s_or_b64 exec, exec, s[26:27]
	s_and_b64 s[4:5], s[4:5], exec
	s_or_saveexec_b64 s[24:25], s[24:25]
	v_mov_b32_e32 v44, s28
	s_xor_b64 exec, exec, s[24:25]
	s_cbranch_execz .LBB303_196
.LBB303_391:                            ;   in Loop: Header=BB303_10 Depth=1
	v_cmp_ne_u16_sdwa s[26:27], v8, v9 src0_sel:BYTE_0 src1_sel:DWORD
	s_andn2_b64 s[4:5], s[4:5], exec
	s_and_b64 s[26:27], s[26:27], exec
	v_mov_b32_e32 v44, 0
	s_or_b64 s[4:5], s[4:5], s[26:27]
	s_or_b64 exec, exec, s[24:25]
	s_and_saveexec_b64 s[24:25], s[4:5]
	s_cbranch_execnz .LBB303_197
	s_branch .LBB303_198
.LBB303_392:                            ;   in Loop: Header=BB303_10 Depth=1
	v_cmp_eq_u16_e64 s[4:5], s31, v8
	s_mov_b64 s[24:25], -1
                                        ; implicit-def: $sgpr35
	s_and_saveexec_b64 s[28:29], s[4:5]
; %bb.393:                              ;   in Loop: Header=BB303_10 Depth=1
	s_mov_b32 s35, 0x7fc02000
	s_xor_b64 s[24:25], exec, -1
; %bb.394:                              ;   in Loop: Header=BB303_10 Depth=1
	s_or_b64 exec, exec, s[28:29]
	s_and_b64 s[24:25], s[24:25], exec
	s_or_saveexec_b64 s[26:27], s[26:27]
	v_mov_b32_e32 v47, s35
	s_xor_b64 exec, exec, s[26:27]
	s_cbranch_execz .LBB303_200
.LBB303_395:                            ;   in Loop: Header=BB303_10 Depth=1
	v_cmp_ne_u16_e64 s[4:5], 0, v8
	s_andn2_b64 s[24:25], s[24:25], exec
	s_and_b64 s[4:5], s[4:5], exec
	v_mov_b32_e32 v47, 0
	s_or_b64 s[24:25], s[24:25], s[4:5]
	s_or_b64 exec, exec, s[26:27]
	s_and_saveexec_b64 s[26:27], s[24:25]
	s_cbranch_execnz .LBB303_201
	s_branch .LBB303_202
.LBB303_396:
	s_or_b64 exec, exec, s[22:23]
	scratch_load_dword v7, off, s32 offset:92 ; 4-byte Folded Reload
	v_accvgpr_read_b32 v25, a13
	v_accvgpr_read_b32 v10, a14
	;; [unrolled: 1-line block ×16, first 2 shown]
.LBB303_397:
	s_or_b64 exec, exec, s[6:7]
	v_accvgpr_read_b32 v6, a29
	v_xor_b32_e32 v1, 32, v6
	v_cmp_lt_i32_e32 vcc, v1, v0
	v_xor_b32_e32 v4, 16, v6
	s_waitcnt vmcnt(0)
	v_max_f32_e32 v3, v7, v7
	v_cndmask_b32_e32 v1, v6, v1, vcc
	v_lshlrev_b32_e32 v2, 2, v1
	ds_bpermute_b32 v1, v2, v7
	v_cmp_lt_i32_e32 vcc, v4, v0
	v_xor_b32_e32 v5, 8, v6
	v_xor_b32_e32 v8, 4, v6
	;; [unrolled: 1-line block ×3, first 2 shown]
	s_waitcnt lgkmcnt(0)
	v_max_f32_e32 v1, v1, v1
	v_max_f32_e32 v1, v3, v1
	v_cndmask_b32_e32 v3, v6, v4, vcc
	v_lshlrev_b32_e32 v3, 2, v3
	ds_bpermute_b32 v4, v3, v1
	v_cmp_lt_i32_e32 vcc, v5, v0
	s_lshr_b32 s24, s30, 16
	s_waitcnt lgkmcnt(0)
	v_max_f32_e32 v4, v4, v4
	v_max_f32_e32 v1, v1, v4
	v_cndmask_b32_e32 v4, v6, v5, vcc
	v_lshlrev_b32_e32 v4, 2, v4
	ds_bpermute_b32 v5, v4, v1
	v_cmp_lt_i32_e32 vcc, v8, v0
	s_waitcnt lgkmcnt(0)
	v_max_f32_e32 v5, v5, v5
	v_max_f32_e32 v1, v1, v5
	v_cndmask_b32_e32 v5, v6, v8, vcc
	v_lshlrev_b32_e32 v5, 2, v5
	ds_bpermute_b32 v8, v5, v1
	v_cmp_lt_i32_e32 vcc, v9, v0
	s_waitcnt lgkmcnt(0)
	v_max_f32_e32 v8, v8, v8
	v_max_f32_e32 v1, v1, v8
	v_cndmask_b32_e32 v8, v6, v9, vcc
	v_lshlrev_b32_e32 v32, 2, v8
	ds_bpermute_b32 v9, v32, v1
	v_accvgpr_read_b32 v6, a2
	v_and_b32_e32 v23, 63, v6
	v_cmp_eq_u32_e32 vcc, 0, v23
	v_lshlrev_b32_e32 v8, 2, v17
	s_and_saveexec_b64 s[2:3], vcc
	s_cbranch_execz .LBB303_399
; %bb.398:
	s_waitcnt lgkmcnt(0)
	v_max_f32_e32 v6, v9, v9
	v_max_f32_e32 v1, v1, v1
	;; [unrolled: 1-line block ×3, first 2 shown]
	ds_write_b32 v8, v1 offset:192
.LBB303_399:
	s_or_b64 exec, exec, s[2:3]
	v_cmp_gt_u32_e64 s[2:3], 2, v23
	v_mov_b32_e32 v1, 0xff7fffff
	s_waitcnt lgkmcnt(0)
	v_lshlrev_b32_e32 v9, 2, v23
	s_barrier
	s_and_saveexec_b64 s[4:5], s[2:3]
	s_cbranch_execz .LBB303_401
; %bb.400:
	ds_read_b32 v1, v9 offset:192
.LBB303_401:
	s_or_b64 exec, exec, s[4:5]
	v_accvgpr_read_b32 v7, a29
	v_xor_b32_e32 v6, 1, v7
	v_cmp_lt_i32_e64 s[4:5], v6, v0
	v_accvgpr_read_b32 v12, a8
	s_nop 0
	v_cndmask_b32_e64 v0, v7, v6, s[4:5]
	v_lshlrev_b32_e32 v33, 2, v0
	s_waitcnt lgkmcnt(0)
	ds_bpermute_b32 v0, v33, v1
	v_max_f32_e32 v1, v1, v1
	v_accvgpr_read_b32 v6, a3
	v_subrev_u32_e32 v6, s19, v6
	v_lshl_add_u32 v6, v6, 5, s21
	s_waitcnt lgkmcnt(0)
	v_max_f32_e32 v0, v0, v0
	v_max_f32_e32 v0, v1, v0
	v_lshlrev_b32_e32 v1, 2, v7
	v_and_b32_e32 v7, 0xffffff00, v1
	ds_bpermute_b32 v0, v7, v0
	v_min_i32_e32 v15, v6, v12
	v_subrev_u32_e32 v1, s21, v15
	v_accvgpr_read_b32 v6, a2
	v_cmp_lt_i32_e64 s[4:5], v6, v1
	v_mov_b32_e32 v12, 0
	s_and_saveexec_b64 s[8:9], s[4:5]
	s_cbranch_execz .LBB303_405
; %bb.402:
	s_ashr_i32 s17, s16, 31
	s_lshl_b64 s[6:7], s[16:17], 2
	s_getpc_b64 s[22:23]
	s_add_u32 s22, s22, llvm.amdgcn.dynlds.offset.table@rel32@lo+4
	s_addc_u32 s23, s23, llvm.amdgcn.dynlds.offset.table@rel32@hi+12
	s_add_u32 s6, s6, s22
	s_addc_u32 s7, s7, s23
	s_load_dword s6, s[6:7], 0x0
	v_accvgpr_read_b32 v14, a2
	s_mov_b64 s[22:23], 0
	v_mov_b32_e32 v12, 0
	s_waitcnt lgkmcnt(0)
	v_lshl_add_u32 v13, v14, 2, s6
.LBB303_403:                            ; =>This Inner Loop Header: Depth=1
	ds_read_b32 v6, v13
	v_add_u32_e32 v14, 0x80, v14
	v_cmp_ge_i32_e64 s[6:7], v14, v1
	s_or_b64 s[22:23], s[6:7], s[22:23]
	s_waitcnt lgkmcnt(0)
	v_sub_f32_e32 v6, v6, v0
	v_mul_f32_e32 v6, 0x3fb8aa3b, v6
	v_exp_f32_e32 v6, v6
	ds_write_b32 v13, v6
	v_add_f32_e32 v12, v12, v6
	v_add_u32_e32 v13, 0x200, v13
	s_andn2_b64 exec, exec, s[22:23]
	s_cbranch_execnz .LBB303_403
; %bb.404:
	s_or_b64 exec, exec, s[22:23]
.LBB303_405:
	s_or_b64 exec, exec, s[8:9]
	ds_bpermute_b32 v2, v2, v12
	s_waitcnt lgkmcnt(0)
	v_add_f32_e32 v2, v12, v2
	ds_bpermute_b32 v3, v3, v2
	s_waitcnt lgkmcnt(0)
	v_add_f32_e32 v2, v2, v3
	;; [unrolled: 3-line block ×6, first 2 shown]
	s_and_saveexec_b64 s[6:7], vcc
	s_cbranch_execz .LBB303_407
; %bb.406:
	ds_write_b32 v8, v2 offset:200
.LBB303_407:
	s_or_b64 exec, exec, s[6:7]
	s_waitcnt lgkmcnt(0)
	s_barrier
	s_and_saveexec_b64 s[6:7], s[2:3]
	s_cbranch_execz .LBB303_409
; %bb.408:
	ds_read_b32 v2, v9 offset:200
.LBB303_409:
	s_or_b64 exec, exec, s[6:7]
	s_waitcnt lgkmcnt(0)
	ds_bpermute_b32 v3, v33, v2
	s_waitcnt lgkmcnt(0)
	v_add_f32_e32 v2, v2, v3
	ds_bpermute_b32 v2, v7, v2
	s_and_saveexec_b64 s[2:3], s[4:5]
	s_cbranch_execz .LBB303_422
; %bb.410:
	s_waitcnt lgkmcnt(0)
	v_add_f32_e32 v3, 0x358637bd, v2
	v_div_scale_f32 v4, s[4:5], v3, v3, 1.0
	v_rcp_f32_e32 v5, v4
	v_div_scale_f32 v6, vcc, 1.0, v3, 1.0
	s_movk_i32 s4, 0x7f
	v_fma_f32 v7, -v4, v5, 1.0
	v_fmac_f32_e32 v5, v7, v5
	v_mul_f32_e32 v7, v6, v5
	v_fma_f32 v8, -v4, v7, v6
	v_fmac_f32_e32 v7, v8, v5
	v_fma_f32 v4, -v4, v7, v6
	v_div_fmas_f32 v4, v4, v5, v7
	v_accvgpr_read_b32 v5, a2
	v_div_fixup_f32 v8, v4, v3, 1.0
	v_xad_u32 v3, v5, -1, v15
	v_subrev_u32_e32 v4, s21, v3
	v_cmp_lt_u32_e32 vcc, s4, v4
	s_mov_b64 s[6:7], -1
	v_accvgpr_read_b32 v3, a2
	s_and_saveexec_b64 s[4:5], vcc
	s_cbranch_execz .LBB303_419
; %bb.411:
	v_lshrrev_b32_e32 v3, 7, v4
	v_add_u32_e32 v5, -1, v3
	v_lshrrev_b32_e32 v4, 1, v5
	v_mov_b32_e32 v9, v8
	v_add_u32_e32 v4, 1, v4
	v_cmp_lt_u32_e32 vcc, 13, v5
	v_mov_b32_e32 v7, 0
	s_and_saveexec_b64 s[6:7], vcc
	s_cbranch_execz .LBB303_415
; %bb.412:
	s_ashr_i32 s17, s16, 31
	s_lshl_b64 s[8:9], s[16:17], 2
	s_getpc_b64 s[22:23]
	s_add_u32 s22, s22, llvm.amdgcn.dynlds.offset.table@rel32@lo+4
	s_addc_u32 s23, s23, llvm.amdgcn.dynlds.offset.table@rel32@hi+12
	s_add_u32 s8, s8, s22
	s_addc_u32 s9, s9, s23
	s_load_dword s8, s[8:9], 0x0
	v_accvgpr_read_b32 v6, a2
	v_and_b32_e32 v5, -8, v4
	s_mov_b32 s17, 0
	s_waitcnt lgkmcnt(0)
	v_lshl_add_u32 v6, v6, 2, s8
	s_mov_b64 s[8:9], 0
.LBB303_413:                            ; =>This Inner Loop Header: Depth=1
	ds_read2st64_b32 v[12:13], v6 offset1:2
	ds_read2st64_b32 v[14:15], v6 offset0:4 offset1:6
	ds_read2st64_b32 v[18:19], v6 offset0:8 offset1:10
	;; [unrolled: 1-line block ×3, first 2 shown]
	v_add_u32_e32 v5, -8, v5
	s_waitcnt lgkmcnt(3)
	v_pk_mul_f32 v[12:13], v[8:9], v[12:13]
	s_waitcnt lgkmcnt(2)
	v_pk_mul_f32 v[14:15], v[8:9], v[14:15]
	ds_write2st64_b32 v6, v12, v13 offset1:2
	ds_write2st64_b32 v6, v14, v15 offset0:4 offset1:6
	ds_read2st64_b32 v[14:15], v6 offset0:16 offset1:18
	s_waitcnt lgkmcnt(4)
	v_pk_mul_f32 v[12:13], v[8:9], v[18:19]
	ds_write2st64_b32 v6, v12, v13 offset0:8 offset1:10
	s_waitcnt lgkmcnt(4)
	v_pk_mul_f32 v[12:13], v[8:9], v[20:21]
	ds_write2st64_b32 v6, v12, v13 offset0:12 offset1:14
	ds_read2st64_b32 v[12:13], v6 offset0:20 offset1:22
	s_waitcnt lgkmcnt(3)
	v_pk_mul_f32 v[14:15], v[8:9], v[14:15]
	ds_read2st64_b32 v[18:19], v6 offset0:24 offset1:26
	ds_write2st64_b32 v6, v14, v15 offset0:16 offset1:18
	ds_read2st64_b32 v[14:15], v6 offset0:28 offset1:30
	s_waitcnt lgkmcnt(3)
	v_pk_mul_f32 v[12:13], v[8:9], v[12:13]
	ds_write2st64_b32 v6, v12, v13 offset0:20 offset1:22
	s_waitcnt lgkmcnt(3)
	v_pk_mul_f32 v[12:13], v[8:9], v[18:19]
	ds_write2st64_b32 v6, v12, v13 offset0:24 offset1:26
	s_waitcnt lgkmcnt(2)
	v_pk_mul_f32 v[12:13], v[8:9], v[14:15]
	s_add_i32 s17, s17, 16
	v_cmp_eq_u32_e32 vcc, 0, v5
	ds_write2st64_b32 v6, v12, v13 offset0:28 offset1:30
	v_add_u32_e32 v6, 0x2000, v6
	s_or_b64 s[8:9], vcc, s[8:9]
	v_mov_b32_e32 v7, s17
	s_andn2_b64 exec, exec, s[8:9]
	s_cbranch_execnz .LBB303_413
; %bb.414:
	s_or_b64 exec, exec, s[8:9]
.LBB303_415:
	s_or_b64 exec, exec, s[6:7]
	v_and_b32_e32 v4, 7, v4
	v_cmp_ne_u32_e32 vcc, 0, v4
	s_and_saveexec_b64 s[6:7], vcc
	s_cbranch_execz .LBB303_418
; %bb.416:
	s_ashr_i32 s17, s16, 31
	s_lshl_b64 s[8:9], s[16:17], 2
	s_getpc_b64 s[22:23]
	s_add_u32 s22, s22, llvm.amdgcn.dynlds.offset.table@rel32@lo+4
	s_addc_u32 s23, s23, llvm.amdgcn.dynlds.offset.table@rel32@hi+12
	s_add_u32 s8, s8, s22
	s_addc_u32 s9, s9, s23
	s_load_dword s8, s[8:9], 0x0
	v_accvgpr_read_b32 v6, a2
	v_lshlrev_b32_e32 v5, 9, v7
	v_lshlrev_b32_e32 v6, 2, v6
	s_waitcnt lgkmcnt(0)
	v_add3_u32 v5, v5, v6, s8
	s_mov_b64 s[8:9], 0
.LBB303_417:                            ; =>This Inner Loop Header: Depth=1
	ds_read2st64_b32 v[6:7], v5 offset1:2
	v_add_u32_e32 v4, -1, v4
	v_cmp_eq_u32_e32 vcc, 0, v4
	s_or_b64 s[8:9], vcc, s[8:9]
	s_waitcnt lgkmcnt(0)
	v_pk_mul_f32 v[6:7], v[8:9], v[6:7]
	ds_write2st64_b32 v5, v6, v7 offset1:2
	v_add_u32_e32 v5, 0x400, v5
	s_andn2_b64 exec, exec, s[8:9]
	s_cbranch_execnz .LBB303_417
.LBB303_418:
	s_or_b64 exec, exec, s[6:7]
	v_add_u32_e32 v4, 1, v3
	v_and_b32_e32 v5, 0x3fffffe, v4
	v_accvgpr_read_b32 v3, a2
	v_cmp_ne_u32_e32 vcc, v4, v5
	v_lshl_add_u32 v3, v5, 7, v3
	s_orn2_b64 s[6:7], vcc, exec
.LBB303_419:
	s_or_b64 exec, exec, s[4:5]
	s_and_b64 exec, exec, s[6:7]
	s_cbranch_execz .LBB303_422
; %bb.420:
	s_ashr_i32 s17, s16, 31
	s_lshl_b64 s[4:5], s[16:17], 2
	s_getpc_b64 s[6:7]
	s_add_u32 s6, s6, llvm.amdgcn.dynlds.offset.table@rel32@lo+4
	s_addc_u32 s7, s7, llvm.amdgcn.dynlds.offset.table@rel32@hi+12
	s_add_u32 s4, s4, s6
	s_addc_u32 s5, s5, s7
	s_load_dword s4, s[4:5], 0x0
	s_waitcnt lgkmcnt(0)
	v_lshl_add_u32 v4, v3, 2, s4
	s_mov_b64 s[4:5], 0
.LBB303_421:                            ; =>This Inner Loop Header: Depth=1
	ds_read_b32 v5, v4
	v_add_u32_e32 v3, 0x80, v3
	v_cmp_ge_i32_e32 vcc, v3, v1
	s_or_b64 s[4:5], vcc, s[4:5]
	s_waitcnt lgkmcnt(0)
	v_mul_f32_e32 v5, v8, v5
	ds_write_b32 v4, v5
	v_add_u32_e32 v4, 0x200, v4
	s_andn2_b64 exec, exec, s[4:5]
	s_cbranch_execnz .LBB303_421
.LBB303_422:
	s_or_b64 exec, exec, s[2:3]
	v_cmp_ne_u16_e64 s[2:3], s24, 0
	s_cmp_lg_u64 s[2:3], 0
	s_addc_u32 s19, s13, 0
	v_accvgpr_read_b32 v1, a2
	s_mul_i32 s2, s19, s20
	v_cmp_eq_u32_e32 vcc, 0, v1
	s_mul_i32 s2, s2, s15
	s_waitcnt lgkmcnt(0)
	s_barrier
	s_and_saveexec_b64 s[4:5], vcc
	s_cbranch_execz .LBB303_424
; %bb.423:
	s_mul_i32 s8, s19, s12
	s_ashr_i32 s3, s2, 31
	s_ashr_i32 s9, s8, 31
	;; [unrolled: 1-line block ×3, first 2 shown]
	s_lshl_b64 s[6:7], s[2:3], 2
	s_lshl_b64 s[8:9], s[8:9], 2
	;; [unrolled: 1-line block ×3, first 2 shown]
	s_add_u32 s3, s12, s8
	s_addc_u32 s8, s13, s9
	s_add_u32 s6, s3, s6
	s_addc_u32 s7, s8, s7
	v_lshl_add_u64 v[4:5], s[6:7], 0, v[34:35]
	flat_store_dword v[4:5], v0
	v_lshl_add_u64 v[0:1], s[6:7], 0, v[26:27]
	flat_store_dword v[0:1], v2
.LBB303_424:
	s_or_b64 exec, exec, s[4:5]
	v_accvgpr_read_b32 v0, a2
	v_mov_b32_e32 v1, 0
	v_and_b32_e32 v34, 3, v0
	v_mov_b32_e32 v0, 0
	v_mov_b32_e32 v3, 0
	;; [unrolled: 1-line block ×5, first 2 shown]
	s_and_saveexec_b64 s[4:5], s[0:1]
	s_cbranch_execz .LBB303_824
; %bb.425:
	s_ashr_i32 s17, s16, 31
	s_lshl_b64 s[0:1], s[16:17], 2
	s_getpc_b64 s[6:7]
	s_add_u32 s6, s6, llvm.amdgcn.dynlds.offset.table@rel32@lo+4
	s_addc_u32 s7, s7, llvm.amdgcn.dynlds.offset.table@rel32@hi+12
	s_add_u32 s0, s0, s6
	v_lshl_add_u64 v[0:1], v[10:11], 0, v[36:37]
	v_and_b32_e32 v10, 0x1f8, v16
	v_mov_b32_e32 v11, 0
	s_addc_u32 s1, s1, s7
	v_lshl_add_u64 v[20:21], v[0:1], 0, v[10:11]
	v_accvgpr_read_b32 v0, a10
	s_load_dword s0, s[0:1], 0x0
	v_accvgpr_read_b32 v1, a11
	v_lshlrev_b64 v[0:1], 2, v[0:1]
	v_lshl_add_u64 v[0:1], v[28:29], 2, v[0:1]
	v_lshl_add_u64 v[14:15], v[24:25], 0, v[0:1]
	v_lshlrev_b32_e32 v0, 5, v34
	v_and_b32_e32 v2, 24, v16
	v_lshl_or_b32 v0, v17, 7, v0
	v_add_u32_e32 v35, -1, v22
	v_accvgpr_read_b32 v13, a8
	v_add3_u32 v7, s21, v30, v2
	s_waitcnt lgkmcnt(0)
	v_add_u32_e32 v36, s0, v0
	s_mov_b64 s[6:7], 0
	s_movk_i32 s3, 0x7f
	s_movk_i32 s15, 0x80
	s_mov_b32 s17, 0x8000
	s_movk_i32 s22, 0x380
	s_mov_b32 s23, 0x3020706
	s_mov_b32 s24, 0x1000504
	;; [unrolled: 1-line block ×3, first 2 shown]
	v_mov_b32_e32 v37, 0x1c00
	v_mov_b32_e32 v8, 0
	;; [unrolled: 1-line block ×7, first 2 shown]
	s_branch .LBB303_427
.LBB303_426:                            ;   in Loop: Header=BB303_427 Depth=1
	s_or_b64 exec, exec, s[0:1]
	v_add_f32_e32 v4, v4, v5
	v_add_f32_e32 v2, v2, v4
	;; [unrolled: 1-line block ×9, first 2 shown]
	;;#ASMSTART
	v_pk_mul_f16 v4, v54, v19;

	;;#ASMEND
	v_add_f32_e32 v9, v9, v6
	;;#ASMSTART
	v_pk_mul_f16 v5, v55, v10;

	;;#ASMEND
	;;#ASMSTART
	v_pk_mul_f16 v6, v40, v18;

	;;#ASMEND
	;; [unrolled: 4-line block ×3, first 2 shown]
	v_lshl_add_u64 v[14:15], v[14:15], 0, 8
	;;#ASMSTART
	v_pk_add_f16 v4, v4, v5;

	;;#ASMEND
	v_add_u32_e32 v7, 64, v7
	;;#ASMSTART
	v_pk_add_f16 v4, v4, v6;

	;;#ASMEND
	v_accvgpr_read_b32 v6, a10
	;;#ASMSTART
	v_pk_add_f16 v4, v4, v10;

	;;#ASMEND
	v_add_u32_e32 v6, 2, v6
	v_lshrrev_b32_e32 v5, 16, v4
	v_and_b32_e32 v4, 0xffff, v4
	;;#ASMSTART
	v_cvt_f32_f16 v4, v4;
	;;#ASMEND
	;;#ASMSTART
	v_cvt_f32_f16 v5, v5;
	;;#ASMEND
	v_accvgpr_write_b32 a10, v6
	v_add_f32_e32 v4, v4, v5
	v_add_f32_e32 v1, v1, v4
	v_accvgpr_read_b32 v4, a3
	v_cmp_ge_i32_e32 vcc, v6, v4
	s_or_b64 s[6:7], vcc, s[6:7]
	v_add_u32_e32 v36, 0x100, v36
	s_andn2_b64 exec, exec, s[6:7]
	s_cbranch_execz .LBB303_823
.LBB303_427:                            ; =>This Inner Loop Header: Depth=1
	ds_read2_b64 v[24:27], v36 offset1:1
	ds_read2_b64 v[28:31], v36 offset0:2 offset1:3
	v_accvgpr_read_b32 v10, a6
                                        ; implicit-def: $sgpr20
	s_waitcnt lgkmcnt(0)
	;;#ASMSTART
	v_cvt_f16_f32 v4, v24;

	;;#ASMEND
	;;#ASMSTART
	v_cvt_f16_f32 v5, v25;

	;;#ASMEND
	;; [unrolled: 4-line block ×8, first 2 shown]
	flat_load_dword v6, v[14:15]
	v_accvgpr_read_b32 v27, a5
	v_accvgpr_read_b32 v26, a4
	flat_load_dword v12, v[26:27]
	s_waitcnt vmcnt(0) lgkmcnt(0)
	v_mad_i64_i32 v[18:19], s[0:1], v6, v10, v[20:21]
	flat_load_dwordx2 v[24:25], v[18:19]
	s_mov_b64 s[0:1], 0
	s_waitcnt vmcnt(0) lgkmcnt(0)
	v_cmp_gt_i16_sdwa s[8:9], v24, s3 src0_sel:BYTE_0 src1_sel:DWORD
	s_and_saveexec_b64 s[12:13], s[8:9]
	s_xor_b64 s[8:9], exec, s[12:13]
	s_cbranch_execnz .LBB303_631
; %bb.428:                              ;   in Loop: Header=BB303_427 Depth=1
	s_or_saveexec_b64 s[8:9], s[8:9]
	v_mov_b32_e32 v28, s20
	s_xor_b64 exec, exec, s[8:9]
	s_cbranch_execnz .LBB303_634
.LBB303_429:                            ;   in Loop: Header=BB303_427 Depth=1
	s_or_b64 exec, exec, s[8:9]
	s_and_saveexec_b64 s[8:9], s[0:1]
	s_cbranch_execz .LBB303_431
.LBB303_430:                            ;   in Loop: Header=BB303_427 Depth=1
	v_and_b32_e32 v6, 7, v24
	v_ffbh_u32_e32 v6, v6
	v_bfe_u32 v10, v24, 3, 4
	v_min_u32_e32 v6, 32, v6
	v_subrev_u32_e32 v16, 28, v6
	v_sub_u32_e32 v6, 29, v6
	v_cmp_eq_u32_e32 vcc, 0, v10
	s_nop 1
	v_cndmask_b32_e32 v6, v10, v6, vcc
	v_cndmask_b32_e32 v10, 0, v16, vcc
	v_lshlrev_b64 v[26:27], v10, v[24:25]
	v_lshlrev_b32_e32 v16, 8, v24
	v_lshl_add_u32 v6, v6, 10, v37
	v_lshlrev_b32_e32 v10, 7, v26
	v_and_or_b32 v6, v16, s17, v6
	v_and_or_b32 v6, v10, s22, v6
	v_cvt_f32_f16_e32 v28, v6
.LBB303_431:                            ;   in Loop: Header=BB303_427 Depth=1
	s_or_b64 exec, exec, s[8:9]
	v_lshrrev_b16_e32 v10, 8, v24
	v_cmp_lt_i16_e32 vcc, s3, v10
	s_mov_b64 s[0:1], 0
                                        ; implicit-def: $sgpr20
	s_and_saveexec_b64 s[8:9], vcc
	s_xor_b64 s[8:9], exec, s[8:9]
	s_cbranch_execnz .LBB303_635
; %bb.432:                              ;   in Loop: Header=BB303_427 Depth=1
	s_or_saveexec_b64 s[8:9], s[8:9]
	v_mov_b32_e32 v30, s20
	s_xor_b64 exec, exec, s[8:9]
	s_cbranch_execnz .LBB303_638
.LBB303_433:                            ;   in Loop: Header=BB303_427 Depth=1
	s_or_b64 exec, exec, s[8:9]
	s_and_saveexec_b64 s[8:9], s[0:1]
	s_cbranch_execz .LBB303_435
.LBB303_434:                            ;   in Loop: Header=BB303_427 Depth=1
	v_and_b32_e32 v6, 7, v10
	v_ffbh_u32_e32 v22, v6
	v_bfe_u32 v16, v10, 3, 4
	v_min_u32_e32 v22, 32, v22
	v_subrev_u32_e32 v26, 28, v22
	v_sub_u32_e32 v22, 29, v22
	v_cmp_eq_u32_e32 vcc, 0, v16
	v_lshlrev_b64 v[26:27], v26, v[10:11]
	v_and_b32_e32 v26, 7, v26
	v_cndmask_b32_e32 v16, v16, v22, vcc
	v_lshlrev_b32_e32 v10, 8, v10
	v_lshl_add_u32 v16, v16, 10, v37
	v_cndmask_b32_e32 v6, v6, v26, vcc
	v_and_or_b32 v10, v10, s17, v16
	v_lshl_or_b32 v6, v6, 7, v10
	v_cvt_f32_f16_e32 v30, v6
.LBB303_435:                            ;   in Loop: Header=BB303_427 Depth=1
	s_or_b64 exec, exec, s[8:9]
	v_lshrrev_b32_e32 v10, 16, v24
	v_cmp_gt_i16_sdwa s[8:9], v10, s3 src0_sel:BYTE_0 src1_sel:DWORD
	s_mov_b64 s[0:1], 0
                                        ; implicit-def: $sgpr20
	s_and_saveexec_b64 s[12:13], s[8:9]
	s_xor_b64 s[8:9], exec, s[12:13]
	s_cbranch_execnz .LBB303_639
; %bb.436:                              ;   in Loop: Header=BB303_427 Depth=1
	s_or_saveexec_b64 s[8:9], s[8:9]
	v_mov_b32_e32 v29, s20
	s_xor_b64 exec, exec, s[8:9]
	s_cbranch_execnz .LBB303_642
.LBB303_437:                            ;   in Loop: Header=BB303_427 Depth=1
	s_or_b64 exec, exec, s[8:9]
	s_and_saveexec_b64 s[8:9], s[0:1]
	s_cbranch_execz .LBB303_439
.LBB303_438:                            ;   in Loop: Header=BB303_427 Depth=1
	v_bfe_u32 v6, v24, 16, 3
	v_ffbh_u32_e32 v22, v6
	v_bfe_u32 v16, v24, 19, 4
	v_min_u32_e32 v22, 32, v22
	v_subrev_u32_e32 v26, 28, v22
	v_sub_u32_e32 v22, 29, v22
	v_cmp_eq_u32_e32 vcc, 0, v16
	v_lshlrev_b64 v[26:27], v26, v[10:11]
	v_and_b32_e32 v26, 7, v26
	v_cndmask_b32_e32 v16, v16, v22, vcc
	v_lshlrev_b32_e32 v10, 8, v10
	v_lshl_add_u32 v16, v16, 10, v37
	v_cndmask_b32_e32 v6, v6, v26, vcc
	v_and_or_b32 v10, v10, s17, v16
	v_lshl_or_b32 v6, v6, 7, v10
	v_cvt_f32_f16_e32 v29, v6
.LBB303_439:                            ;   in Loop: Header=BB303_427 Depth=1
	s_or_b64 exec, exec, s[8:9]
	v_lshrrev_b32_e32 v10, 24, v24
	v_cmp_lt_i16_e32 vcc, s3, v10
	s_mov_b64 s[0:1], 0
                                        ; implicit-def: $sgpr20
	s_and_saveexec_b64 s[8:9], vcc
	s_xor_b64 s[8:9], exec, s[8:9]
	s_cbranch_execnz .LBB303_643
; %bb.440:                              ;   in Loop: Header=BB303_427 Depth=1
	s_or_saveexec_b64 s[8:9], s[8:9]
	v_mov_b32_e32 v31, s20
	s_xor_b64 exec, exec, s[8:9]
	s_cbranch_execnz .LBB303_646
.LBB303_441:                            ;   in Loop: Header=BB303_427 Depth=1
	s_or_b64 exec, exec, s[8:9]
	s_and_saveexec_b64 s[8:9], s[0:1]
	s_cbranch_execz .LBB303_443
.LBB303_442:                            ;   in Loop: Header=BB303_427 Depth=1
	v_bfe_u32 v6, v24, 24, 3
	v_ffbh_u32_e32 v22, v6
	v_bfe_u32 v16, v24, 27, 4
	v_min_u32_e32 v22, 32, v22
	v_subrev_u32_e32 v24, 28, v22
	v_sub_u32_e32 v22, 29, v22
	v_cmp_eq_u32_e32 vcc, 0, v16
	v_lshlrev_b64 v[26:27], v24, v[10:11]
	v_and_b32_e32 v24, 7, v26
	v_cndmask_b32_e32 v16, v16, v22, vcc
	v_lshlrev_b32_e32 v10, 8, v10
	v_lshl_add_u32 v16, v16, 10, v37
	v_cndmask_b32_e32 v6, v6, v24, vcc
	v_and_or_b32 v10, v10, s17, v16
	v_lshl_or_b32 v6, v6, 7, v10
	v_cvt_f32_f16_e32 v31, v6
.LBB303_443:                            ;   in Loop: Header=BB303_427 Depth=1
	s_or_b64 exec, exec, s[8:9]
	v_cmp_gt_i16_sdwa s[8:9], v25, s3 src0_sel:BYTE_0 src1_sel:DWORD
	s_mov_b64 s[0:1], 0
                                        ; implicit-def: $sgpr20
	s_and_saveexec_b64 s[12:13], s[8:9]
	s_xor_b64 s[8:9], exec, s[12:13]
	s_cbranch_execnz .LBB303_647
; %bb.444:                              ;   in Loop: Header=BB303_427 Depth=1
	s_or_saveexec_b64 s[8:9], s[8:9]
	v_mov_b32_e32 v22, s20
	s_xor_b64 exec, exec, s[8:9]
	s_cbranch_execnz .LBB303_650
.LBB303_445:                            ;   in Loop: Header=BB303_427 Depth=1
	s_or_b64 exec, exec, s[8:9]
	v_mov_b32_e32 v10, v25
	s_and_saveexec_b64 s[8:9], s[0:1]
	s_cbranch_execz .LBB303_447
.LBB303_446:                            ;   in Loop: Header=BB303_427 Depth=1
	v_and_b32_e32 v6, 7, v25
	v_ffbh_u32_e32 v6, v6
	v_bfe_u32 v16, v25, 3, 4
	v_min_u32_e32 v6, 32, v6
	v_subrev_u32_e32 v22, 28, v6
	v_sub_u32_e32 v6, 29, v6
	v_cmp_eq_u32_e32 vcc, 0, v16
	s_nop 1
	v_cndmask_b32_e32 v6, v16, v6, vcc
	v_cndmask_b32_e32 v16, 0, v22, vcc
	v_lshlrev_b64 v[26:27], v16, v[10:11]
	v_lshlrev_b32_e32 v22, 8, v25
	v_lshl_add_u32 v6, v6, 10, v37
	v_lshlrev_b32_e32 v16, 7, v26
	v_and_or_b32 v6, v22, s17, v6
	v_and_or_b32 v6, v16, s22, v6
	v_cvt_f32_f16_e32 v22, v6
.LBB303_447:                            ;   in Loop: Header=BB303_427 Depth=1
	s_or_b64 exec, exec, s[8:9]
	v_lshrrev_b16_e32 v10, 8, v10
	v_cmp_lt_i16_e32 vcc, s3, v10
	s_mov_b64 s[0:1], 0
                                        ; implicit-def: $sgpr20
	s_and_saveexec_b64 s[8:9], vcc
	s_xor_b64 s[8:9], exec, s[8:9]
	s_cbranch_execnz .LBB303_651
; %bb.448:                              ;   in Loop: Header=BB303_427 Depth=1
	s_or_saveexec_b64 s[8:9], s[8:9]
	v_mov_b32_e32 v24, s20
	s_xor_b64 exec, exec, s[8:9]
	s_cbranch_execnz .LBB303_654
.LBB303_449:                            ;   in Loop: Header=BB303_427 Depth=1
	s_or_b64 exec, exec, s[8:9]
	s_and_saveexec_b64 s[8:9], s[0:1]
	s_cbranch_execz .LBB303_451
.LBB303_450:                            ;   in Loop: Header=BB303_427 Depth=1
	v_and_b32_e32 v6, 7, v10
	v_ffbh_u32_e32 v24, v6
	v_bfe_u32 v16, v10, 3, 4
	v_min_u32_e32 v24, 32, v24
	v_subrev_u32_e32 v26, 28, v24
	v_sub_u32_e32 v24, 29, v24
	v_cmp_eq_u32_e32 vcc, 0, v16
	v_lshlrev_b64 v[26:27], v26, v[10:11]
	v_and_b32_e32 v26, 7, v26
	v_cndmask_b32_e32 v16, v16, v24, vcc
	v_lshlrev_b32_e32 v10, 8, v10
	v_lshl_add_u32 v16, v16, 10, v37
	v_cndmask_b32_e32 v6, v6, v26, vcc
	v_and_or_b32 v10, v10, s17, v16
	v_lshl_or_b32 v6, v6, 7, v10
	v_cvt_f32_f16_e32 v24, v6
.LBB303_451:                            ;   in Loop: Header=BB303_427 Depth=1
	s_or_b64 exec, exec, s[8:9]
	v_lshrrev_b32_e32 v10, 16, v25
	v_cmp_gt_i16_sdwa s[8:9], v10, s3 src0_sel:BYTE_0 src1_sel:DWORD
	s_mov_b64 s[0:1], 0
                                        ; implicit-def: $sgpr20
	s_and_saveexec_b64 s[12:13], s[8:9]
	s_xor_b64 s[8:9], exec, s[12:13]
	s_cbranch_execnz .LBB303_655
; %bb.452:                              ;   in Loop: Header=BB303_427 Depth=1
	s_or_saveexec_b64 s[8:9], s[8:9]
	v_mov_b32_e32 v26, s20
	s_xor_b64 exec, exec, s[8:9]
	s_cbranch_execnz .LBB303_658
.LBB303_453:                            ;   in Loop: Header=BB303_427 Depth=1
	s_or_b64 exec, exec, s[8:9]
	s_and_saveexec_b64 s[8:9], s[0:1]
	s_cbranch_execz .LBB303_455
.LBB303_454:                            ;   in Loop: Header=BB303_427 Depth=1
	v_bfe_u32 v6, v25, 16, 3
	v_ffbh_u32_e32 v26, v6
	v_min_u32_e32 v39, 32, v26
	v_subrev_u32_e32 v26, 28, v39
	v_bfe_u32 v16, v25, 19, 4
	v_lshlrev_b64 v[26:27], v26, v[10:11]
	v_sub_u32_e32 v27, 29, v39
	v_cmp_eq_u32_e32 vcc, 0, v16
	v_and_b32_e32 v26, 7, v26
	v_lshlrev_b32_e32 v10, 8, v10
	v_cndmask_b32_e32 v16, v16, v27, vcc
	v_lshl_add_u32 v16, v16, 10, v37
	v_cndmask_b32_e32 v6, v6, v26, vcc
	v_and_or_b32 v10, v10, s17, v16
	v_lshl_or_b32 v6, v6, 7, v10
	v_cvt_f32_f16_e32 v26, v6
.LBB303_455:                            ;   in Loop: Header=BB303_427 Depth=1
	s_or_b64 exec, exec, s[8:9]
	v_lshrrev_b32_e32 v10, 24, v25
	v_cmp_lt_i16_e32 vcc, s3, v10
	s_mov_b64 s[0:1], 0
                                        ; implicit-def: $sgpr20
	s_and_saveexec_b64 s[8:9], vcc
	s_xor_b64 s[8:9], exec, s[8:9]
	s_cbranch_execnz .LBB303_659
; %bb.456:                              ;   in Loop: Header=BB303_427 Depth=1
	s_or_saveexec_b64 s[8:9], s[8:9]
	v_mov_b32_e32 v27, s20
	s_xor_b64 exec, exec, s[8:9]
	s_cbranch_execnz .LBB303_662
.LBB303_457:                            ;   in Loop: Header=BB303_427 Depth=1
	s_or_b64 exec, exec, s[8:9]
	s_and_saveexec_b64 s[8:9], s[0:1]
	s_cbranch_execz .LBB303_459
.LBB303_458:                            ;   in Loop: Header=BB303_427 Depth=1
	v_bfe_u32 v6, v25, 24, 3
	v_bfe_u32 v16, v25, 27, 4
	v_ffbh_u32_e32 v25, v6
	v_min_u32_e32 v25, 32, v25
	v_subrev_u32_e32 v27, 28, v25
	v_sub_u32_e32 v25, 29, v25
	v_cmp_eq_u32_e32 vcc, 0, v16
	v_lshlrev_b64 v[48:49], v27, v[10:11]
	v_and_b32_e32 v27, 7, v48
	v_cndmask_b32_e32 v16, v16, v25, vcc
	v_lshlrev_b32_e32 v10, 8, v10
	v_lshl_add_u32 v16, v16, 10, v37
	v_cndmask_b32_e32 v6, v6, v27, vcc
	v_and_or_b32 v10, v10, s17, v16
	v_lshl_or_b32 v6, v6, 7, v10
	v_cvt_f32_f16_e32 v27, v6
.LBB303_459:                            ;   in Loop: Header=BB303_427 Depth=1
	s_or_b64 exec, exec, s[8:9]
	v_pk_mul_f32 v[30:31], v[12:13], v[30:31] op_sel_hi:[0,1]
	v_pk_mul_f32 v[28:29], v[12:13], v[28:29] op_sel_hi:[0,1]
	v_cvt_f16_f32_e32 v6, v31
	v_cvt_f16_f32_e32 v10, v30
	;; [unrolled: 1-line block ×4, first 2 shown]
	v_accvgpr_read_b32 v28, a10
	v_pack_b32_f16 v6, v10, v6
	v_cmp_eq_u32_e32 vcc, v35, v28
	v_pack_b32_f16 v16, v25, v16
	v_perm_b32 v10, v16, v6, s23
	v_perm_b32 v25, v16, v6, s24
	v_fma_mixlo_f16 v6, v12, v24, 0
	v_lshlrev_b32_e32 v6, 16, v6
	v_fma_mixlo_f16 v16, v12, v22, 0
	v_or_b32_sdwa v22, v6, v16 dst_sel:DWORD dst_unused:UNUSED_PAD src0_sel:DWORD src1_sel:WORD_0
	v_fma_mixlo_f16 v6, v12, v27, 0
	v_fma_mixlo_f16 v24, v12, v26, 0
	v_lshlrev_b32_e32 v6, 16, v6
	v_or_b32_sdwa v12, v6, v24 dst_sel:DWORD dst_unused:UNUSED_PAD src0_sel:DWORD src1_sel:WORD_0
	v_add_u32_e32 v53, 1, v7
	v_or_b32_e32 v52, 3, v7
	v_or_b32_e32 v51, 2, v7
	;; [unrolled: 1-line block ×6, first 2 shown]
	s_and_saveexec_b64 s[8:9], vcc
	s_cbranch_execz .LBB303_461
; %bb.460:                              ;   in Loop: Header=BB303_427 Depth=1
	v_lshrrev_b32_e32 v6, 16, v25
	v_cmp_lt_i32_e64 s[0:1], v53, v13
	v_accvgpr_read_b32 v26, a8
	s_nop 0
	v_cndmask_b32_e64 v6, 0, v6, s[0:1]
	v_cmp_lt_i32_e64 s[0:1], v7, v26
	s_nop 1
	v_cndmask_b32_e64 v16, 0, v25, s[0:1]
	v_perm_b32 v25, v6, v16, s25
	v_lshrrev_b32_e32 v6, 16, v10
	v_cmp_lt_i32_e64 s[0:1], v52, v13
	s_nop 1
	v_cndmask_b32_e64 v6, 0, v6, s[0:1]
	v_cmp_lt_i32_e64 s[0:1], v51, v26
	s_nop 1
	v_cndmask_b32_e64 v10, 0, v10, s[0:1]
	v_perm_b32 v10, v6, v10, s25
	v_lshrrev_b32_e32 v6, 16, v22
	v_cmp_lt_i32_e64 s[0:1], v50, v13
	;; [unrolled: 8-line block ×3, first 2 shown]
	s_nop 1
	v_cndmask_b32_e64 v6, 0, v6, s[0:1]
	v_cmp_lt_i32_e64 s[0:1], v39, v26
	s_nop 1
	v_cndmask_b32_e64 v12, 0, v24, s[0:1]
	v_perm_b32 v12, v6, v12, s25
.LBB303_461:                            ;   in Loop: Header=BB303_427 Depth=1
	s_or_b64 exec, exec, s[8:9]
	v_and_b32_e32 v4, 0xffff, v4
	v_lshl_or_b32 v54, v5, 16, v4
	v_and_b32_e32 v4, 0xffff, v17
	v_lshl_or_b32 v55, v38, 16, v4
	;; [unrolled: 2-line block ×4, first 2 shown]
	;;#ASMSTART
	v_pk_mul_f16 v4, v54, v25;

	;;#ASMEND
	;;#ASMSTART
	v_pk_mul_f16 v5, v55, v10;

	;;#ASMEND
	;; [unrolled: 4-line block ×4, first 2 shown]
	s_mov_b64 s[0:1], 0
	;;#ASMSTART
	v_pk_add_f16 v4, v4, v5;

	;;#ASMEND
                                        ; implicit-def: $sgpr20
	s_nop 0
	;;#ASMSTART
	v_pk_add_f16 v4, v4, v6;

	;;#ASMEND
	s_nop 0
	;;#ASMSTART
	v_pk_add_f16 v4, v4, v10;

	;;#ASMEND
	s_nop 0
	v_lshrrev_b32_e32 v5, 16, v4
	v_and_b32_e32 v4, 0xffff, v4
	;;#ASMSTART
	v_cvt_f32_f16 v42, v4;
	;;#ASMEND
	;;#ASMSTART
	v_cvt_f32_f16 v43, v5;
	;;#ASMEND
	v_accvgpr_read_b32 v4, a4
	flat_load_dwordx2 v[24:25], v[18:19] offset:512
	v_accvgpr_read_b32 v5, a5
	flat_load_dword v12, v[4:5]
	s_waitcnt vmcnt(0) lgkmcnt(0)
	v_cmp_gt_i16_sdwa s[8:9], v24, s3 src0_sel:BYTE_0 src1_sel:DWORD
	s_and_saveexec_b64 s[12:13], s[8:9]
	s_xor_b64 s[8:9], exec, s[12:13]
	s_cbranch_execnz .LBB303_663
; %bb.462:                              ;   in Loop: Header=BB303_427 Depth=1
	s_or_saveexec_b64 s[8:9], s[8:9]
	v_mov_b32_e32 v28, s20
	s_xor_b64 exec, exec, s[8:9]
	s_cbranch_execnz .LBB303_666
.LBB303_463:                            ;   in Loop: Header=BB303_427 Depth=1
	s_or_b64 exec, exec, s[8:9]
	s_and_saveexec_b64 s[8:9], s[0:1]
	s_cbranch_execz .LBB303_465
.LBB303_464:                            ;   in Loop: Header=BB303_427 Depth=1
	v_and_b32_e32 v4, 7, v24
	v_ffbh_u32_e32 v4, v4
	v_bfe_u32 v5, v24, 3, 4
	v_min_u32_e32 v4, 32, v4
	v_subrev_u32_e32 v6, 28, v4
	v_sub_u32_e32 v4, 29, v4
	v_cmp_eq_u32_e64 s[0:1], 0, v5
	s_nop 1
	v_cndmask_b32_e64 v10, v5, v4, s[0:1]
	v_cndmask_b32_e64 v4, 0, v6, s[0:1]
	v_lshlrev_b64 v[4:5], v4, v[24:25]
	v_lshlrev_b32_e32 v5, 8, v24
	v_lshl_add_u32 v6, v10, 10, v37
	v_lshlrev_b32_e32 v4, 7, v4
	v_and_or_b32 v5, v5, s17, v6
	v_and_or_b32 v4, v4, s22, v5
	v_cvt_f32_f16_e32 v28, v4
.LBB303_465:                            ;   in Loop: Header=BB303_427 Depth=1
	s_or_b64 exec, exec, s[8:9]
	v_lshrrev_b16_e32 v10, 8, v24
	v_cmp_lt_i16_e64 s[0:1], s3, v10
	s_mov_b64 s[8:9], 0
                                        ; implicit-def: $sgpr26
	s_and_saveexec_b64 s[12:13], s[0:1]
	s_xor_b64 s[12:13], exec, s[12:13]
	s_cbranch_execnz .LBB303_667
; %bb.466:                              ;   in Loop: Header=BB303_427 Depth=1
	s_or_saveexec_b64 s[12:13], s[12:13]
	v_mov_b32_e32 v30, s26
	s_xor_b64 exec, exec, s[12:13]
	s_cbranch_execnz .LBB303_670
.LBB303_467:                            ;   in Loop: Header=BB303_427 Depth=1
	s_or_b64 exec, exec, s[12:13]
	s_and_saveexec_b64 s[12:13], s[8:9]
	s_cbranch_execz .LBB303_469
.LBB303_468:                            ;   in Loop: Header=BB303_427 Depth=1
	v_and_b32_e32 v6, 7, v10
	v_ffbh_u32_e32 v4, v6
	v_min_u32_e32 v17, 32, v4
	v_subrev_u32_e32 v4, 28, v17
	v_bfe_u32 v16, v10, 3, 4
	v_lshlrev_b64 v[4:5], v4, v[10:11]
	v_sub_u32_e32 v5, 29, v17
	v_cmp_eq_u32_e64 s[0:1], 0, v16
	v_and_b32_e32 v4, 7, v4
	s_nop 0
	v_cndmask_b32_e64 v5, v16, v5, s[0:1]
	v_cndmask_b32_e64 v4, v6, v4, s[0:1]
	v_lshlrev_b32_e32 v6, 8, v10
	v_lshl_add_u32 v5, v5, 10, v37
	v_and_or_b32 v5, v6, s17, v5
	v_lshl_or_b32 v4, v4, 7, v5
	v_cvt_f32_f16_e32 v30, v4
.LBB303_469:                            ;   in Loop: Header=BB303_427 Depth=1
	s_or_b64 exec, exec, s[12:13]
	v_lshrrev_b32_e32 v10, 16, v24
	v_cmp_gt_i16_sdwa s[8:9], v10, s3 src0_sel:BYTE_0 src1_sel:DWORD
	s_mov_b64 s[0:1], 0
                                        ; implicit-def: $sgpr20
	s_and_saveexec_b64 s[12:13], s[8:9]
	s_xor_b64 s[8:9], exec, s[12:13]
	s_cbranch_execnz .LBB303_671
; %bb.470:                              ;   in Loop: Header=BB303_427 Depth=1
	s_or_saveexec_b64 s[8:9], s[8:9]
	v_mov_b32_e32 v29, s20
	s_xor_b64 exec, exec, s[8:9]
	s_cbranch_execnz .LBB303_674
.LBB303_471:                            ;   in Loop: Header=BB303_427 Depth=1
	s_or_b64 exec, exec, s[8:9]
	s_and_saveexec_b64 s[8:9], s[0:1]
	s_cbranch_execz .LBB303_473
.LBB303_472:                            ;   in Loop: Header=BB303_427 Depth=1
	v_bfe_u32 v6, v24, 16, 3
	v_ffbh_u32_e32 v4, v6
	v_min_u32_e32 v17, 32, v4
	v_subrev_u32_e32 v4, 28, v17
	v_bfe_u32 v16, v24, 19, 4
	v_lshlrev_b64 v[4:5], v4, v[10:11]
	v_sub_u32_e32 v5, 29, v17
	v_cmp_eq_u32_e64 s[0:1], 0, v16
	v_and_b32_e32 v4, 7, v4
	s_nop 0
	v_cndmask_b32_e64 v5, v16, v5, s[0:1]
	v_cndmask_b32_e64 v4, v6, v4, s[0:1]
	v_lshlrev_b32_e32 v6, 8, v10
	v_lshl_add_u32 v5, v5, 10, v37
	v_and_or_b32 v5, v6, s17, v5
	v_lshl_or_b32 v4, v4, 7, v5
	v_cvt_f32_f16_e32 v29, v4
.LBB303_473:                            ;   in Loop: Header=BB303_427 Depth=1
	s_or_b64 exec, exec, s[8:9]
	v_lshrrev_b32_e32 v10, 24, v24
	v_cmp_lt_i16_e64 s[0:1], s3, v10
	s_mov_b64 s[8:9], 0
                                        ; implicit-def: $sgpr26
	s_and_saveexec_b64 s[12:13], s[0:1]
	s_xor_b64 s[12:13], exec, s[12:13]
	s_cbranch_execnz .LBB303_675
; %bb.474:                              ;   in Loop: Header=BB303_427 Depth=1
	s_or_saveexec_b64 s[12:13], s[12:13]
	v_mov_b32_e32 v31, s26
	s_xor_b64 exec, exec, s[12:13]
	s_cbranch_execnz .LBB303_678
.LBB303_475:                            ;   in Loop: Header=BB303_427 Depth=1
	s_or_b64 exec, exec, s[12:13]
	s_and_saveexec_b64 s[12:13], s[8:9]
	s_cbranch_execz .LBB303_477
.LBB303_476:                            ;   in Loop: Header=BB303_427 Depth=1
	v_bfe_u32 v6, v24, 24, 3
	v_ffbh_u32_e32 v4, v6
	v_min_u32_e32 v17, 32, v4
	v_subrev_u32_e32 v4, 28, v17
	v_bfe_u32 v16, v24, 27, 4
	v_lshlrev_b64 v[4:5], v4, v[10:11]
	v_sub_u32_e32 v5, 29, v17
	v_cmp_eq_u32_e64 s[0:1], 0, v16
	v_and_b32_e32 v4, 7, v4
	s_nop 0
	v_cndmask_b32_e64 v5, v16, v5, s[0:1]
	v_cndmask_b32_e64 v4, v6, v4, s[0:1]
	v_lshlrev_b32_e32 v6, 8, v10
	v_lshl_add_u32 v5, v5, 10, v37
	v_and_or_b32 v5, v6, s17, v5
	v_lshl_or_b32 v4, v4, 7, v5
	v_cvt_f32_f16_e32 v31, v4
.LBB303_477:                            ;   in Loop: Header=BB303_427 Depth=1
	s_or_b64 exec, exec, s[12:13]
	v_cmp_gt_i16_sdwa s[8:9], v25, s3 src0_sel:BYTE_0 src1_sel:DWORD
	s_mov_b64 s[0:1], 0
                                        ; implicit-def: $sgpr20
	s_and_saveexec_b64 s[12:13], s[8:9]
	s_xor_b64 s[8:9], exec, s[12:13]
	s_cbranch_execnz .LBB303_679
; %bb.478:                              ;   in Loop: Header=BB303_427 Depth=1
	s_or_saveexec_b64 s[8:9], s[8:9]
	v_mov_b32_e32 v4, s20
	s_xor_b64 exec, exec, s[8:9]
	s_cbranch_execnz .LBB303_682
.LBB303_479:                            ;   in Loop: Header=BB303_427 Depth=1
	s_or_b64 exec, exec, s[8:9]
	v_mov_b32_e32 v10, v25
	s_and_saveexec_b64 s[8:9], s[0:1]
	s_cbranch_execz .LBB303_481
.LBB303_480:                            ;   in Loop: Header=BB303_427 Depth=1
	v_and_b32_e32 v4, 7, v25
	v_ffbh_u32_e32 v4, v4
	v_bfe_u32 v5, v25, 3, 4
	v_min_u32_e32 v4, 32, v4
	v_subrev_u32_e32 v6, 28, v4
	v_sub_u32_e32 v4, 29, v4
	v_cmp_eq_u32_e64 s[0:1], 0, v5
	s_nop 1
	v_cndmask_b32_e64 v16, v5, v4, s[0:1]
	v_cndmask_b32_e64 v4, 0, v6, s[0:1]
	v_lshlrev_b64 v[4:5], v4, v[10:11]
	v_lshlrev_b32_e32 v5, 8, v25
	v_lshl_add_u32 v6, v16, 10, v37
	v_lshlrev_b32_e32 v4, 7, v4
	v_and_or_b32 v5, v5, s17, v6
	v_and_or_b32 v4, v4, s22, v5
	v_cvt_f32_f16_e32 v4, v4
.LBB303_481:                            ;   in Loop: Header=BB303_427 Depth=1
	s_or_b64 exec, exec, s[8:9]
	v_lshrrev_b16_e32 v10, 8, v10
	v_cmp_lt_i16_e64 s[0:1], s3, v10
	s_mov_b64 s[8:9], 0
                                        ; implicit-def: $sgpr26
	s_and_saveexec_b64 s[12:13], s[0:1]
	s_xor_b64 s[12:13], exec, s[12:13]
	s_cbranch_execnz .LBB303_683
; %bb.482:                              ;   in Loop: Header=BB303_427 Depth=1
	s_or_saveexec_b64 s[12:13], s[12:13]
	v_mov_b32_e32 v5, s26
	s_xor_b64 exec, exec, s[12:13]
	s_cbranch_execnz .LBB303_686
.LBB303_483:                            ;   in Loop: Header=BB303_427 Depth=1
	s_or_b64 exec, exec, s[12:13]
	s_and_saveexec_b64 s[12:13], s[8:9]
	s_cbranch_execz .LBB303_485
.LBB303_484:                            ;   in Loop: Header=BB303_427 Depth=1
	v_and_b32_e32 v5, 7, v10
	v_ffbh_u32_e32 v16, v5
	v_bfe_u32 v6, v10, 3, 4
	v_min_u32_e32 v16, 32, v16
	v_subrev_u32_e32 v17, 28, v16
	v_sub_u32_e32 v16, 29, v16
	v_cmp_eq_u32_e64 s[0:1], 0, v6
	v_lshlrev_b64 v[26:27], v17, v[10:11]
	v_and_b32_e32 v17, 7, v26
	v_cndmask_b32_e64 v6, v6, v16, s[0:1]
	v_lshlrev_b32_e32 v10, 8, v10
	v_lshl_add_u32 v6, v6, 10, v37
	v_cndmask_b32_e64 v5, v5, v17, s[0:1]
	v_and_or_b32 v6, v10, s17, v6
	v_lshl_or_b32 v5, v5, 7, v6
	v_cvt_f32_f16_e32 v5, v5
.LBB303_485:                            ;   in Loop: Header=BB303_427 Depth=1
	s_or_b64 exec, exec, s[12:13]
	v_lshrrev_b32_e32 v10, 16, v25
	v_cmp_gt_i16_sdwa s[8:9], v10, s3 src0_sel:BYTE_0 src1_sel:DWORD
	s_mov_b64 s[0:1], 0
                                        ; implicit-def: $sgpr20
	s_and_saveexec_b64 s[12:13], s[8:9]
	s_xor_b64 s[8:9], exec, s[12:13]
	s_cbranch_execnz .LBB303_687
; %bb.486:                              ;   in Loop: Header=BB303_427 Depth=1
	s_or_saveexec_b64 s[8:9], s[8:9]
	v_mov_b32_e32 v17, s20
	s_xor_b64 exec, exec, s[8:9]
	s_cbranch_execnz .LBB303_690
.LBB303_487:                            ;   in Loop: Header=BB303_427 Depth=1
	s_or_b64 exec, exec, s[8:9]
	s_and_saveexec_b64 s[8:9], s[0:1]
	s_cbranch_execz .LBB303_489
.LBB303_488:                            ;   in Loop: Header=BB303_427 Depth=1
	v_bfe_u32 v6, v25, 16, 3
	v_ffbh_u32_e32 v17, v6
	v_bfe_u32 v16, v25, 19, 4
	v_min_u32_e32 v17, 32, v17
	v_subrev_u32_e32 v22, 28, v17
	v_sub_u32_e32 v17, 29, v17
	v_cmp_eq_u32_e64 s[0:1], 0, v16
	v_lshlrev_b64 v[26:27], v22, v[10:11]
	v_and_b32_e32 v22, 7, v26
	v_cndmask_b32_e64 v16, v16, v17, s[0:1]
	v_lshlrev_b32_e32 v10, 8, v10
	v_lshl_add_u32 v16, v16, 10, v37
	v_cndmask_b32_e64 v6, v6, v22, s[0:1]
	v_and_or_b32 v10, v10, s17, v16
	v_lshl_or_b32 v6, v6, 7, v10
	v_cvt_f32_f16_e32 v17, v6
.LBB303_489:                            ;   in Loop: Header=BB303_427 Depth=1
	s_or_b64 exec, exec, s[8:9]
	v_lshrrev_b32_e32 v10, 24, v25
	v_cmp_lt_i16_e64 s[0:1], s3, v10
	s_mov_b64 s[8:9], 0
                                        ; implicit-def: $sgpr26
	s_and_saveexec_b64 s[12:13], s[0:1]
	s_xor_b64 s[12:13], exec, s[12:13]
	s_cbranch_execnz .LBB303_691
; %bb.490:                              ;   in Loop: Header=BB303_427 Depth=1
	s_or_saveexec_b64 s[12:13], s[12:13]
	v_mov_b32_e32 v24, s26
	s_xor_b64 exec, exec, s[12:13]
	s_cbranch_execnz .LBB303_694
.LBB303_491:                            ;   in Loop: Header=BB303_427 Depth=1
	s_or_b64 exec, exec, s[12:13]
	s_and_saveexec_b64 s[12:13], s[8:9]
	s_cbranch_execz .LBB303_493
.LBB303_492:                            ;   in Loop: Header=BB303_427 Depth=1
	v_bfe_u32 v6, v25, 24, 3
	v_ffbh_u32_e32 v22, v6
	v_bfe_u32 v16, v25, 27, 4
	v_min_u32_e32 v22, 32, v22
	v_subrev_u32_e32 v24, 28, v22
	v_sub_u32_e32 v22, 29, v22
	v_cmp_eq_u32_e64 s[0:1], 0, v16
	v_lshlrev_b64 v[24:25], v24, v[10:11]
	v_and_b32_e32 v24, 7, v24
	v_cndmask_b32_e64 v16, v16, v22, s[0:1]
	v_lshlrev_b32_e32 v10, 8, v10
	v_lshl_add_u32 v16, v16, 10, v37
	v_cndmask_b32_e64 v6, v6, v24, s[0:1]
	v_and_or_b32 v10, v10, s17, v16
	v_lshl_or_b32 v6, v6, 7, v10
	v_cvt_f32_f16_e32 v24, v6
.LBB303_493:                            ;   in Loop: Header=BB303_427 Depth=1
	s_or_b64 exec, exec, s[12:13]
	v_pk_mul_f32 v[26:27], v[12:13], v[30:31] op_sel_hi:[0,1]
	v_pk_mul_f32 v[28:29], v[12:13], v[28:29] op_sel_hi:[0,1]
	v_cvt_f16_f32_e32 v6, v27
	v_cvt_f16_f32_e32 v10, v26
	;; [unrolled: 1-line block ×4, first 2 shown]
	v_fma_mixlo_f16 v5, v12, v5, 0
	v_lshlrev_b32_e32 v5, 16, v5
	v_fma_mixlo_f16 v4, v12, v4, 0
	v_or_b32_sdwa v4, v5, v4 dst_sel:DWORD dst_unused:UNUSED_PAD src0_sel:DWORD src1_sel:WORD_0
	v_fma_mixlo_f16 v5, v12, v24, 0
	v_pack_b32_f16 v6, v10, v6
	v_pack_b32_f16 v16, v22, v16
	v_fma_mixlo_f16 v17, v12, v17, 0
	v_lshlrev_b32_e32 v5, 16, v5
	v_perm_b32 v10, v16, v6, s23
	v_perm_b32 v22, v16, v6, s24
	v_or_b32_sdwa v5, v5, v17 dst_sel:DWORD dst_unused:UNUSED_PAD src0_sel:DWORD src1_sel:WORD_0
	s_and_saveexec_b64 s[8:9], vcc
	s_cbranch_execz .LBB303_495
; %bb.494:                              ;   in Loop: Header=BB303_427 Depth=1
	v_lshrrev_b32_e32 v6, 16, v22
	v_cmp_lt_i32_e64 s[0:1], v53, v13
	v_accvgpr_read_b32 v16, a8
	v_lshrrev_b32_e32 v5, 16, v5
	v_cndmask_b32_e64 v6, 0, v6, s[0:1]
	v_cmp_lt_i32_e64 s[0:1], v7, v16
	s_nop 1
	v_cndmask_b32_e64 v12, 0, v22, s[0:1]
	v_perm_b32 v22, v6, v12, s25
	v_lshrrev_b32_e32 v6, 16, v10
	v_cmp_lt_i32_e64 s[0:1], v52, v13
	s_nop 1
	v_cndmask_b32_e64 v6, 0, v6, s[0:1]
	v_cmp_lt_i32_e64 s[0:1], v51, v16
	s_nop 1
	v_cndmask_b32_e64 v10, 0, v10, s[0:1]
	v_perm_b32 v10, v6, v10, s25
	v_lshrrev_b32_e32 v6, 16, v4
	v_cmp_lt_i32_e64 s[0:1], v50, v13
	s_nop 1
	v_cndmask_b32_e64 v6, 0, v6, s[0:1]
	v_cmp_lt_i32_e64 s[0:1], v49, v16
	s_nop 1
	v_cndmask_b32_e64 v4, 0, v4, s[0:1]
	v_cmp_lt_i32_e64 s[0:1], v48, v13
	v_perm_b32 v4, v6, v4, s25
	s_nop 0
	v_cndmask_b32_e64 v5, 0, v5, s[0:1]
	v_cmp_lt_i32_e64 s[0:1], v39, v16
	s_nop 1
	v_cndmask_b32_e64 v6, 0, v17, s[0:1]
	v_perm_b32 v5, v5, v6, s25
.LBB303_495:                            ;   in Loop: Header=BB303_427 Depth=1
	s_or_b64 exec, exec, s[8:9]
	;;#ASMSTART
	v_pk_mul_f16 v6, v54, v22;

	;;#ASMEND
	;;#ASMSTART
	v_pk_mul_f16 v10, v55, v10;

	;;#ASMEND
	;; [unrolled: 4-line block ×4, first 2 shown]
	s_mov_b64 s[0:1], 0
	;;#ASMSTART
	v_pk_add_f16 v6, v6, v10;

	;;#ASMEND
                                        ; implicit-def: $sgpr20
	s_nop 0
	;;#ASMSTART
	v_pk_add_f16 v4, v6, v4;

	;;#ASMEND
	s_nop 0
	;;#ASMSTART
	v_pk_add_f16 v4, v4, v5;

	;;#ASMEND
	s_nop 0
	v_lshrrev_b32_e32 v5, 16, v4
	v_and_b32_e32 v4, 0xffff, v4
	;;#ASMSTART
	v_cvt_f32_f16 v44, v4;
	;;#ASMEND
	;;#ASMSTART
	v_cvt_f32_f16 v45, v5;
	;;#ASMEND
	v_accvgpr_read_b32 v4, a4
	flat_load_dwordx2 v[24:25], v[18:19] offset:1024
	v_accvgpr_read_b32 v5, a5
	flat_load_dword v12, v[4:5]
	s_waitcnt vmcnt(0) lgkmcnt(0)
	v_cmp_gt_i16_sdwa s[8:9], v24, s3 src0_sel:BYTE_0 src1_sel:DWORD
	s_and_saveexec_b64 s[12:13], s[8:9]
	s_xor_b64 s[8:9], exec, s[12:13]
	s_cbranch_execnz .LBB303_695
; %bb.496:                              ;   in Loop: Header=BB303_427 Depth=1
	s_or_saveexec_b64 s[8:9], s[8:9]
	v_mov_b32_e32 v28, s20
	s_xor_b64 exec, exec, s[8:9]
	s_cbranch_execnz .LBB303_698
.LBB303_497:                            ;   in Loop: Header=BB303_427 Depth=1
	s_or_b64 exec, exec, s[8:9]
	s_and_saveexec_b64 s[8:9], s[0:1]
	s_cbranch_execz .LBB303_499
.LBB303_498:                            ;   in Loop: Header=BB303_427 Depth=1
	v_and_b32_e32 v4, 7, v24
	v_ffbh_u32_e32 v4, v4
	v_bfe_u32 v5, v24, 3, 4
	v_min_u32_e32 v4, 32, v4
	v_subrev_u32_e32 v6, 28, v4
	v_sub_u32_e32 v4, 29, v4
	v_cmp_eq_u32_e64 s[0:1], 0, v5
	s_nop 1
	v_cndmask_b32_e64 v10, v5, v4, s[0:1]
	v_cndmask_b32_e64 v4, 0, v6, s[0:1]
	v_lshlrev_b64 v[4:5], v4, v[24:25]
	v_lshlrev_b32_e32 v5, 8, v24
	v_lshl_add_u32 v6, v10, 10, v37
	v_lshlrev_b32_e32 v4, 7, v4
	v_and_or_b32 v5, v5, s17, v6
	v_and_or_b32 v4, v4, s22, v5
	v_cvt_f32_f16_e32 v28, v4
.LBB303_499:                            ;   in Loop: Header=BB303_427 Depth=1
	s_or_b64 exec, exec, s[8:9]
	v_lshrrev_b16_e32 v10, 8, v24
	v_cmp_lt_i16_e64 s[0:1], s3, v10
	s_mov_b64 s[8:9], 0
                                        ; implicit-def: $sgpr26
	s_and_saveexec_b64 s[12:13], s[0:1]
	s_xor_b64 s[12:13], exec, s[12:13]
	s_cbranch_execnz .LBB303_699
; %bb.500:                              ;   in Loop: Header=BB303_427 Depth=1
	s_or_saveexec_b64 s[12:13], s[12:13]
	v_mov_b32_e32 v30, s26
	s_xor_b64 exec, exec, s[12:13]
	s_cbranch_execnz .LBB303_702
.LBB303_501:                            ;   in Loop: Header=BB303_427 Depth=1
	s_or_b64 exec, exec, s[12:13]
	s_and_saveexec_b64 s[12:13], s[8:9]
	s_cbranch_execz .LBB303_503
.LBB303_502:                            ;   in Loop: Header=BB303_427 Depth=1
	v_and_b32_e32 v6, 7, v10
	v_ffbh_u32_e32 v4, v6
	v_min_u32_e32 v17, 32, v4
	v_subrev_u32_e32 v4, 28, v17
	v_bfe_u32 v16, v10, 3, 4
	v_lshlrev_b64 v[4:5], v4, v[10:11]
	v_sub_u32_e32 v5, 29, v17
	v_cmp_eq_u32_e64 s[0:1], 0, v16
	v_and_b32_e32 v4, 7, v4
	s_nop 0
	v_cndmask_b32_e64 v5, v16, v5, s[0:1]
	v_cndmask_b32_e64 v4, v6, v4, s[0:1]
	v_lshlrev_b32_e32 v6, 8, v10
	v_lshl_add_u32 v5, v5, 10, v37
	v_and_or_b32 v5, v6, s17, v5
	v_lshl_or_b32 v4, v4, 7, v5
	v_cvt_f32_f16_e32 v30, v4
.LBB303_503:                            ;   in Loop: Header=BB303_427 Depth=1
	s_or_b64 exec, exec, s[12:13]
	v_lshrrev_b32_e32 v10, 16, v24
	v_cmp_gt_i16_sdwa s[8:9], v10, s3 src0_sel:BYTE_0 src1_sel:DWORD
	s_mov_b64 s[0:1], 0
                                        ; implicit-def: $sgpr20
	s_and_saveexec_b64 s[12:13], s[8:9]
	s_xor_b64 s[8:9], exec, s[12:13]
	s_cbranch_execnz .LBB303_703
; %bb.504:                              ;   in Loop: Header=BB303_427 Depth=1
	s_or_saveexec_b64 s[8:9], s[8:9]
	v_mov_b32_e32 v29, s20
	s_xor_b64 exec, exec, s[8:9]
	s_cbranch_execnz .LBB303_706
.LBB303_505:                            ;   in Loop: Header=BB303_427 Depth=1
	s_or_b64 exec, exec, s[8:9]
	s_and_saveexec_b64 s[8:9], s[0:1]
	s_cbranch_execz .LBB303_507
.LBB303_506:                            ;   in Loop: Header=BB303_427 Depth=1
	v_bfe_u32 v6, v24, 16, 3
	v_ffbh_u32_e32 v4, v6
	v_min_u32_e32 v17, 32, v4
	v_subrev_u32_e32 v4, 28, v17
	v_bfe_u32 v16, v24, 19, 4
	v_lshlrev_b64 v[4:5], v4, v[10:11]
	v_sub_u32_e32 v5, 29, v17
	v_cmp_eq_u32_e64 s[0:1], 0, v16
	v_and_b32_e32 v4, 7, v4
	s_nop 0
	v_cndmask_b32_e64 v5, v16, v5, s[0:1]
	v_cndmask_b32_e64 v4, v6, v4, s[0:1]
	v_lshlrev_b32_e32 v6, 8, v10
	v_lshl_add_u32 v5, v5, 10, v37
	v_and_or_b32 v5, v6, s17, v5
	v_lshl_or_b32 v4, v4, 7, v5
	v_cvt_f32_f16_e32 v29, v4
.LBB303_507:                            ;   in Loop: Header=BB303_427 Depth=1
	s_or_b64 exec, exec, s[8:9]
	v_lshrrev_b32_e32 v10, 24, v24
	v_cmp_lt_i16_e64 s[0:1], s3, v10
	s_mov_b64 s[8:9], 0
                                        ; implicit-def: $sgpr26
	s_and_saveexec_b64 s[12:13], s[0:1]
	s_xor_b64 s[12:13], exec, s[12:13]
	s_cbranch_execnz .LBB303_707
; %bb.508:                              ;   in Loop: Header=BB303_427 Depth=1
	s_or_saveexec_b64 s[12:13], s[12:13]
	v_mov_b32_e32 v31, s26
	s_xor_b64 exec, exec, s[12:13]
	s_cbranch_execnz .LBB303_710
.LBB303_509:                            ;   in Loop: Header=BB303_427 Depth=1
	s_or_b64 exec, exec, s[12:13]
	s_and_saveexec_b64 s[12:13], s[8:9]
	s_cbranch_execz .LBB303_511
.LBB303_510:                            ;   in Loop: Header=BB303_427 Depth=1
	v_bfe_u32 v6, v24, 24, 3
	v_ffbh_u32_e32 v4, v6
	v_min_u32_e32 v17, 32, v4
	v_subrev_u32_e32 v4, 28, v17
	v_bfe_u32 v16, v24, 27, 4
	v_lshlrev_b64 v[4:5], v4, v[10:11]
	v_sub_u32_e32 v5, 29, v17
	v_cmp_eq_u32_e64 s[0:1], 0, v16
	v_and_b32_e32 v4, 7, v4
	s_nop 0
	v_cndmask_b32_e64 v5, v16, v5, s[0:1]
	v_cndmask_b32_e64 v4, v6, v4, s[0:1]
	v_lshlrev_b32_e32 v6, 8, v10
	v_lshl_add_u32 v5, v5, 10, v37
	v_and_or_b32 v5, v6, s17, v5
	v_lshl_or_b32 v4, v4, 7, v5
	v_cvt_f32_f16_e32 v31, v4
.LBB303_511:                            ;   in Loop: Header=BB303_427 Depth=1
	s_or_b64 exec, exec, s[12:13]
	v_cmp_gt_i16_sdwa s[8:9], v25, s3 src0_sel:BYTE_0 src1_sel:DWORD
	s_mov_b64 s[0:1], 0
                                        ; implicit-def: $sgpr20
	s_and_saveexec_b64 s[12:13], s[8:9]
	s_xor_b64 s[8:9], exec, s[12:13]
	s_cbranch_execnz .LBB303_711
; %bb.512:                              ;   in Loop: Header=BB303_427 Depth=1
	s_or_saveexec_b64 s[8:9], s[8:9]
	v_mov_b32_e32 v4, s20
	s_xor_b64 exec, exec, s[8:9]
	s_cbranch_execnz .LBB303_714
.LBB303_513:                            ;   in Loop: Header=BB303_427 Depth=1
	s_or_b64 exec, exec, s[8:9]
	v_mov_b32_e32 v10, v25
	s_and_saveexec_b64 s[8:9], s[0:1]
	s_cbranch_execz .LBB303_515
.LBB303_514:                            ;   in Loop: Header=BB303_427 Depth=1
	v_and_b32_e32 v4, 7, v25
	v_ffbh_u32_e32 v4, v4
	v_bfe_u32 v5, v25, 3, 4
	v_min_u32_e32 v4, 32, v4
	v_subrev_u32_e32 v6, 28, v4
	v_sub_u32_e32 v4, 29, v4
	v_cmp_eq_u32_e64 s[0:1], 0, v5
	s_nop 1
	v_cndmask_b32_e64 v16, v5, v4, s[0:1]
	v_cndmask_b32_e64 v4, 0, v6, s[0:1]
	v_lshlrev_b64 v[4:5], v4, v[10:11]
	v_lshlrev_b32_e32 v5, 8, v25
	v_lshl_add_u32 v6, v16, 10, v37
	v_lshlrev_b32_e32 v4, 7, v4
	v_and_or_b32 v5, v5, s17, v6
	v_and_or_b32 v4, v4, s22, v5
	v_cvt_f32_f16_e32 v4, v4
.LBB303_515:                            ;   in Loop: Header=BB303_427 Depth=1
	s_or_b64 exec, exec, s[8:9]
	v_lshrrev_b16_e32 v10, 8, v10
	v_cmp_lt_i16_e64 s[0:1], s3, v10
	s_mov_b64 s[8:9], 0
                                        ; implicit-def: $sgpr26
	s_and_saveexec_b64 s[12:13], s[0:1]
	s_xor_b64 s[12:13], exec, s[12:13]
	s_cbranch_execnz .LBB303_715
; %bb.516:                              ;   in Loop: Header=BB303_427 Depth=1
	s_or_saveexec_b64 s[12:13], s[12:13]
	v_mov_b32_e32 v5, s26
	s_xor_b64 exec, exec, s[12:13]
	s_cbranch_execnz .LBB303_718
.LBB303_517:                            ;   in Loop: Header=BB303_427 Depth=1
	s_or_b64 exec, exec, s[12:13]
	s_and_saveexec_b64 s[12:13], s[8:9]
	s_cbranch_execz .LBB303_519
.LBB303_518:                            ;   in Loop: Header=BB303_427 Depth=1
	v_and_b32_e32 v5, 7, v10
	v_ffbh_u32_e32 v16, v5
	v_bfe_u32 v6, v10, 3, 4
	v_min_u32_e32 v16, 32, v16
	v_subrev_u32_e32 v17, 28, v16
	v_sub_u32_e32 v16, 29, v16
	v_cmp_eq_u32_e64 s[0:1], 0, v6
	v_lshlrev_b64 v[26:27], v17, v[10:11]
	v_and_b32_e32 v17, 7, v26
	v_cndmask_b32_e64 v6, v6, v16, s[0:1]
	v_lshlrev_b32_e32 v10, 8, v10
	v_lshl_add_u32 v6, v6, 10, v37
	v_cndmask_b32_e64 v5, v5, v17, s[0:1]
	v_and_or_b32 v6, v10, s17, v6
	v_lshl_or_b32 v5, v5, 7, v6
	v_cvt_f32_f16_e32 v5, v5
.LBB303_519:                            ;   in Loop: Header=BB303_427 Depth=1
	s_or_b64 exec, exec, s[12:13]
	v_lshrrev_b32_e32 v10, 16, v25
	v_cmp_gt_i16_sdwa s[8:9], v10, s3 src0_sel:BYTE_0 src1_sel:DWORD
	s_mov_b64 s[0:1], 0
                                        ; implicit-def: $sgpr20
	s_and_saveexec_b64 s[12:13], s[8:9]
	s_xor_b64 s[8:9], exec, s[12:13]
	s_cbranch_execnz .LBB303_719
; %bb.520:                              ;   in Loop: Header=BB303_427 Depth=1
	s_or_saveexec_b64 s[8:9], s[8:9]
	v_mov_b32_e32 v17, s20
	s_xor_b64 exec, exec, s[8:9]
	s_cbranch_execnz .LBB303_722
.LBB303_521:                            ;   in Loop: Header=BB303_427 Depth=1
	s_or_b64 exec, exec, s[8:9]
	s_and_saveexec_b64 s[8:9], s[0:1]
	s_cbranch_execz .LBB303_523
.LBB303_522:                            ;   in Loop: Header=BB303_427 Depth=1
	v_bfe_u32 v6, v25, 16, 3
	v_ffbh_u32_e32 v17, v6
	v_bfe_u32 v16, v25, 19, 4
	v_min_u32_e32 v17, 32, v17
	v_subrev_u32_e32 v22, 28, v17
	v_sub_u32_e32 v17, 29, v17
	v_cmp_eq_u32_e64 s[0:1], 0, v16
	v_lshlrev_b64 v[26:27], v22, v[10:11]
	v_and_b32_e32 v22, 7, v26
	v_cndmask_b32_e64 v16, v16, v17, s[0:1]
	v_lshlrev_b32_e32 v10, 8, v10
	v_lshl_add_u32 v16, v16, 10, v37
	v_cndmask_b32_e64 v6, v6, v22, s[0:1]
	v_and_or_b32 v10, v10, s17, v16
	v_lshl_or_b32 v6, v6, 7, v10
	v_cvt_f32_f16_e32 v17, v6
.LBB303_523:                            ;   in Loop: Header=BB303_427 Depth=1
	s_or_b64 exec, exec, s[8:9]
	v_lshrrev_b32_e32 v10, 24, v25
	v_cmp_lt_i16_e64 s[0:1], s3, v10
	s_mov_b64 s[8:9], 0
                                        ; implicit-def: $sgpr26
	s_and_saveexec_b64 s[12:13], s[0:1]
	s_xor_b64 s[12:13], exec, s[12:13]
	s_cbranch_execnz .LBB303_723
; %bb.524:                              ;   in Loop: Header=BB303_427 Depth=1
	s_or_saveexec_b64 s[12:13], s[12:13]
	v_mov_b32_e32 v24, s26
	s_xor_b64 exec, exec, s[12:13]
	s_cbranch_execnz .LBB303_726
.LBB303_525:                            ;   in Loop: Header=BB303_427 Depth=1
	s_or_b64 exec, exec, s[12:13]
	s_and_saveexec_b64 s[12:13], s[8:9]
	s_cbranch_execz .LBB303_527
.LBB303_526:                            ;   in Loop: Header=BB303_427 Depth=1
	v_bfe_u32 v6, v25, 24, 3
	v_ffbh_u32_e32 v22, v6
	v_bfe_u32 v16, v25, 27, 4
	v_min_u32_e32 v22, 32, v22
	v_subrev_u32_e32 v24, 28, v22
	v_sub_u32_e32 v22, 29, v22
	v_cmp_eq_u32_e64 s[0:1], 0, v16
	v_lshlrev_b64 v[24:25], v24, v[10:11]
	v_and_b32_e32 v24, 7, v24
	v_cndmask_b32_e64 v16, v16, v22, s[0:1]
	v_lshlrev_b32_e32 v10, 8, v10
	v_lshl_add_u32 v16, v16, 10, v37
	v_cndmask_b32_e64 v6, v6, v24, s[0:1]
	v_and_or_b32 v10, v10, s17, v16
	v_lshl_or_b32 v6, v6, 7, v10
	v_cvt_f32_f16_e32 v24, v6
.LBB303_527:                            ;   in Loop: Header=BB303_427 Depth=1
	s_or_b64 exec, exec, s[12:13]
	v_pk_mul_f32 v[26:27], v[12:13], v[30:31] op_sel_hi:[0,1]
	v_pk_mul_f32 v[28:29], v[12:13], v[28:29] op_sel_hi:[0,1]
	v_cvt_f16_f32_e32 v6, v27
	v_cvt_f16_f32_e32 v10, v26
	;; [unrolled: 1-line block ×4, first 2 shown]
	v_fma_mixlo_f16 v5, v12, v5, 0
	v_lshlrev_b32_e32 v5, 16, v5
	v_fma_mixlo_f16 v4, v12, v4, 0
	v_or_b32_sdwa v4, v5, v4 dst_sel:DWORD dst_unused:UNUSED_PAD src0_sel:DWORD src1_sel:WORD_0
	v_fma_mixlo_f16 v5, v12, v24, 0
	v_pack_b32_f16 v6, v10, v6
	v_pack_b32_f16 v16, v22, v16
	v_fma_mixlo_f16 v17, v12, v17, 0
	v_lshlrev_b32_e32 v5, 16, v5
	v_perm_b32 v10, v16, v6, s23
	v_perm_b32 v22, v16, v6, s24
	v_or_b32_sdwa v5, v5, v17 dst_sel:DWORD dst_unused:UNUSED_PAD src0_sel:DWORD src1_sel:WORD_0
	s_and_saveexec_b64 s[8:9], vcc
	s_cbranch_execz .LBB303_529
; %bb.528:                              ;   in Loop: Header=BB303_427 Depth=1
	v_lshrrev_b32_e32 v6, 16, v22
	v_cmp_lt_i32_e64 s[0:1], v53, v13
	v_accvgpr_read_b32 v16, a8
	v_lshrrev_b32_e32 v5, 16, v5
	v_cndmask_b32_e64 v6, 0, v6, s[0:1]
	v_cmp_lt_i32_e64 s[0:1], v7, v16
	s_nop 1
	v_cndmask_b32_e64 v12, 0, v22, s[0:1]
	v_perm_b32 v22, v6, v12, s25
	v_lshrrev_b32_e32 v6, 16, v10
	v_cmp_lt_i32_e64 s[0:1], v52, v13
	s_nop 1
	v_cndmask_b32_e64 v6, 0, v6, s[0:1]
	v_cmp_lt_i32_e64 s[0:1], v51, v16
	s_nop 1
	v_cndmask_b32_e64 v10, 0, v10, s[0:1]
	v_perm_b32 v10, v6, v10, s25
	v_lshrrev_b32_e32 v6, 16, v4
	v_cmp_lt_i32_e64 s[0:1], v50, v13
	s_nop 1
	v_cndmask_b32_e64 v6, 0, v6, s[0:1]
	v_cmp_lt_i32_e64 s[0:1], v49, v16
	s_nop 1
	v_cndmask_b32_e64 v4, 0, v4, s[0:1]
	v_cmp_lt_i32_e64 s[0:1], v48, v13
	v_perm_b32 v4, v6, v4, s25
	s_nop 0
	v_cndmask_b32_e64 v5, 0, v5, s[0:1]
	v_cmp_lt_i32_e64 s[0:1], v39, v16
	s_nop 1
	v_cndmask_b32_e64 v6, 0, v17, s[0:1]
	v_perm_b32 v5, v5, v6, s25
.LBB303_529:                            ;   in Loop: Header=BB303_427 Depth=1
	s_or_b64 exec, exec, s[8:9]
	;;#ASMSTART
	v_pk_mul_f16 v6, v54, v22;

	;;#ASMEND
	;;#ASMSTART
	v_pk_mul_f16 v10, v55, v10;

	;;#ASMEND
	;; [unrolled: 4-line block ×4, first 2 shown]
	v_accvgpr_read_b32 v17, a5
	;;#ASMSTART
	v_pk_add_f16 v6, v6, v10;

	;;#ASMEND
	v_accvgpr_read_b32 v16, a4
	;;#ASMSTART
	v_pk_add_f16 v4, v6, v4;

	;;#ASMEND
	s_mov_b64 s[0:1], 0
	;;#ASMSTART
	v_pk_add_f16 v4, v4, v5;

	;;#ASMEND
                                        ; implicit-def: $sgpr20
	s_nop 0
	v_lshrrev_b32_e32 v5, 16, v4
	v_and_b32_e32 v4, 0xffff, v4
	;;#ASMSTART
	v_cvt_f32_f16 v4, v4;
	;;#ASMEND
	;;#ASMSTART
	v_cvt_f32_f16 v5, v5;
	;;#ASMEND
	flat_load_dwordx2 v[24:25], v[18:19] offset:1536
	flat_load_dword v12, v[16:17]
	s_waitcnt vmcnt(0) lgkmcnt(0)
	v_cmp_gt_i16_sdwa s[8:9], v24, s3 src0_sel:BYTE_0 src1_sel:DWORD
	s_and_saveexec_b64 s[12:13], s[8:9]
	s_xor_b64 s[8:9], exec, s[12:13]
	s_cbranch_execnz .LBB303_727
; %bb.530:                              ;   in Loop: Header=BB303_427 Depth=1
	s_or_saveexec_b64 s[8:9], s[8:9]
	v_mov_b32_e32 v28, s20
	s_xor_b64 exec, exec, s[8:9]
	s_cbranch_execnz .LBB303_730
.LBB303_531:                            ;   in Loop: Header=BB303_427 Depth=1
	s_or_b64 exec, exec, s[8:9]
	s_and_saveexec_b64 s[8:9], s[0:1]
	s_cbranch_execz .LBB303_533
.LBB303_532:                            ;   in Loop: Header=BB303_427 Depth=1
	v_and_b32_e32 v6, 7, v24
	v_ffbh_u32_e32 v6, v6
	v_bfe_u32 v10, v24, 3, 4
	v_min_u32_e32 v6, 32, v6
	v_subrev_u32_e32 v16, 28, v6
	v_sub_u32_e32 v6, 29, v6
	v_cmp_eq_u32_e64 s[0:1], 0, v10
	s_nop 1
	v_cndmask_b32_e64 v6, v10, v6, s[0:1]
	v_cndmask_b32_e64 v10, 0, v16, s[0:1]
	v_lshlrev_b64 v[26:27], v10, v[24:25]
	v_lshlrev_b32_e32 v16, 8, v24
	v_lshl_add_u32 v6, v6, 10, v37
	v_lshlrev_b32_e32 v10, 7, v26
	v_and_or_b32 v6, v16, s17, v6
	v_and_or_b32 v6, v10, s22, v6
	v_cvt_f32_f16_e32 v28, v6
.LBB303_533:                            ;   in Loop: Header=BB303_427 Depth=1
	s_or_b64 exec, exec, s[8:9]
	v_lshrrev_b16_e32 v10, 8, v24
	v_cmp_lt_i16_e64 s[0:1], s3, v10
	s_mov_b64 s[8:9], 0
                                        ; implicit-def: $sgpr26
	s_and_saveexec_b64 s[12:13], s[0:1]
	s_xor_b64 s[12:13], exec, s[12:13]
	s_cbranch_execnz .LBB303_731
; %bb.534:                              ;   in Loop: Header=BB303_427 Depth=1
	s_or_saveexec_b64 s[12:13], s[12:13]
	v_mov_b32_e32 v30, s26
	s_xor_b64 exec, exec, s[12:13]
	s_cbranch_execnz .LBB303_734
.LBB303_535:                            ;   in Loop: Header=BB303_427 Depth=1
	s_or_b64 exec, exec, s[12:13]
	s_and_saveexec_b64 s[12:13], s[8:9]
	s_cbranch_execz .LBB303_537
.LBB303_536:                            ;   in Loop: Header=BB303_427 Depth=1
	v_and_b32_e32 v6, 7, v10
	v_ffbh_u32_e32 v17, v6
	v_bfe_u32 v16, v10, 3, 4
	v_min_u32_e32 v17, 32, v17
	v_subrev_u32_e32 v22, 28, v17
	v_sub_u32_e32 v17, 29, v17
	v_cmp_eq_u32_e64 s[0:1], 0, v16
	v_lshlrev_b64 v[26:27], v22, v[10:11]
	v_and_b32_e32 v22, 7, v26
	v_cndmask_b32_e64 v16, v16, v17, s[0:1]
	v_lshlrev_b32_e32 v10, 8, v10
	v_lshl_add_u32 v16, v16, 10, v37
	v_cndmask_b32_e64 v6, v6, v22, s[0:1]
	v_and_or_b32 v10, v10, s17, v16
	v_lshl_or_b32 v6, v6, 7, v10
	v_cvt_f32_f16_e32 v30, v6
.LBB303_537:                            ;   in Loop: Header=BB303_427 Depth=1
	s_or_b64 exec, exec, s[12:13]
	v_lshrrev_b32_e32 v10, 16, v24
	v_cmp_gt_i16_sdwa s[8:9], v10, s3 src0_sel:BYTE_0 src1_sel:DWORD
	s_mov_b64 s[0:1], 0
                                        ; implicit-def: $sgpr20
	s_and_saveexec_b64 s[12:13], s[8:9]
	s_xor_b64 s[8:9], exec, s[12:13]
	s_cbranch_execnz .LBB303_735
; %bb.538:                              ;   in Loop: Header=BB303_427 Depth=1
	s_or_saveexec_b64 s[8:9], s[8:9]
	v_mov_b32_e32 v29, s20
	s_xor_b64 exec, exec, s[8:9]
	s_cbranch_execnz .LBB303_738
.LBB303_539:                            ;   in Loop: Header=BB303_427 Depth=1
	s_or_b64 exec, exec, s[8:9]
	s_and_saveexec_b64 s[8:9], s[0:1]
	s_cbranch_execz .LBB303_541
.LBB303_540:                            ;   in Loop: Header=BB303_427 Depth=1
	v_bfe_u32 v6, v24, 16, 3
	v_ffbh_u32_e32 v17, v6
	v_bfe_u32 v16, v24, 19, 4
	v_min_u32_e32 v17, 32, v17
	v_subrev_u32_e32 v22, 28, v17
	v_sub_u32_e32 v17, 29, v17
	v_cmp_eq_u32_e64 s[0:1], 0, v16
	v_lshlrev_b64 v[26:27], v22, v[10:11]
	v_and_b32_e32 v22, 7, v26
	v_cndmask_b32_e64 v16, v16, v17, s[0:1]
	v_lshlrev_b32_e32 v10, 8, v10
	v_lshl_add_u32 v16, v16, 10, v37
	v_cndmask_b32_e64 v6, v6, v22, s[0:1]
	v_and_or_b32 v10, v10, s17, v16
	v_lshl_or_b32 v6, v6, 7, v10
	v_cvt_f32_f16_e32 v29, v6
.LBB303_541:                            ;   in Loop: Header=BB303_427 Depth=1
	s_or_b64 exec, exec, s[8:9]
	v_lshrrev_b32_e32 v10, 24, v24
	v_cmp_lt_i16_e64 s[0:1], s3, v10
	s_mov_b64 s[8:9], 0
                                        ; implicit-def: $sgpr26
	s_and_saveexec_b64 s[12:13], s[0:1]
	s_xor_b64 s[12:13], exec, s[12:13]
	s_cbranch_execnz .LBB303_739
; %bb.542:                              ;   in Loop: Header=BB303_427 Depth=1
	s_or_saveexec_b64 s[12:13], s[12:13]
	v_mov_b32_e32 v31, s26
	s_xor_b64 exec, exec, s[12:13]
	s_cbranch_execnz .LBB303_742
.LBB303_543:                            ;   in Loop: Header=BB303_427 Depth=1
	s_or_b64 exec, exec, s[12:13]
	s_and_saveexec_b64 s[12:13], s[8:9]
	s_cbranch_execz .LBB303_545
.LBB303_544:                            ;   in Loop: Header=BB303_427 Depth=1
	v_bfe_u32 v6, v24, 24, 3
	v_ffbh_u32_e32 v17, v6
	v_bfe_u32 v16, v24, 27, 4
	v_min_u32_e32 v17, 32, v17
	v_subrev_u32_e32 v22, 28, v17
	v_sub_u32_e32 v17, 29, v17
	v_cmp_eq_u32_e64 s[0:1], 0, v16
	v_lshlrev_b64 v[26:27], v22, v[10:11]
	v_and_b32_e32 v22, 7, v26
	v_cndmask_b32_e64 v16, v16, v17, s[0:1]
	v_lshlrev_b32_e32 v10, 8, v10
	v_lshl_add_u32 v16, v16, 10, v37
	v_cndmask_b32_e64 v6, v6, v22, s[0:1]
	v_and_or_b32 v10, v10, s17, v16
	v_lshl_or_b32 v6, v6, 7, v10
	v_cvt_f32_f16_e32 v31, v6
.LBB303_545:                            ;   in Loop: Header=BB303_427 Depth=1
	s_or_b64 exec, exec, s[12:13]
	v_cmp_gt_i16_sdwa s[8:9], v25, s3 src0_sel:BYTE_0 src1_sel:DWORD
	s_mov_b64 s[0:1], 0
                                        ; implicit-def: $sgpr20
	s_and_saveexec_b64 s[12:13], s[8:9]
	s_xor_b64 s[8:9], exec, s[12:13]
	s_cbranch_execnz .LBB303_743
; %bb.546:                              ;   in Loop: Header=BB303_427 Depth=1
	s_or_saveexec_b64 s[8:9], s[8:9]
	v_mov_b32_e32 v17, s20
	s_xor_b64 exec, exec, s[8:9]
	s_cbranch_execnz .LBB303_746
.LBB303_547:                            ;   in Loop: Header=BB303_427 Depth=1
	s_or_b64 exec, exec, s[8:9]
	v_mov_b32_e32 v10, v25
	s_and_saveexec_b64 s[8:9], s[0:1]
	s_cbranch_execz .LBB303_549
.LBB303_548:                            ;   in Loop: Header=BB303_427 Depth=1
	v_and_b32_e32 v6, 7, v25
	v_ffbh_u32_e32 v6, v6
	v_bfe_u32 v16, v25, 3, 4
	v_min_u32_e32 v6, 32, v6
	v_subrev_u32_e32 v17, 28, v6
	v_sub_u32_e32 v6, 29, v6
	v_cmp_eq_u32_e64 s[0:1], 0, v16
	s_nop 1
	v_cndmask_b32_e64 v6, v16, v6, s[0:1]
	v_cndmask_b32_e64 v16, 0, v17, s[0:1]
	v_lshlrev_b64 v[26:27], v16, v[10:11]
	v_lshlrev_b32_e32 v17, 8, v25
	v_lshl_add_u32 v6, v6, 10, v37
	v_lshlrev_b32_e32 v16, 7, v26
	v_and_or_b32 v6, v17, s17, v6
	v_and_or_b32 v6, v16, s22, v6
	v_cvt_f32_f16_e32 v17, v6
.LBB303_549:                            ;   in Loop: Header=BB303_427 Depth=1
	s_or_b64 exec, exec, s[8:9]
	v_lshrrev_b16_e32 v10, 8, v10
	v_cmp_lt_i16_e64 s[0:1], s3, v10
	s_mov_b64 s[8:9], 0
                                        ; implicit-def: $sgpr26
	s_and_saveexec_b64 s[12:13], s[0:1]
	s_xor_b64 s[12:13], exec, s[12:13]
	s_cbranch_execnz .LBB303_747
; %bb.550:                              ;   in Loop: Header=BB303_427 Depth=1
	s_or_saveexec_b64 s[12:13], s[12:13]
	v_mov_b32_e32 v22, s26
	s_xor_b64 exec, exec, s[12:13]
	s_cbranch_execnz .LBB303_750
.LBB303_551:                            ;   in Loop: Header=BB303_427 Depth=1
	s_or_b64 exec, exec, s[12:13]
	s_and_saveexec_b64 s[12:13], s[8:9]
	s_cbranch_execz .LBB303_553
.LBB303_552:                            ;   in Loop: Header=BB303_427 Depth=1
	v_and_b32_e32 v6, 7, v10
	v_ffbh_u32_e32 v22, v6
	v_bfe_u32 v16, v10, 3, 4
	v_min_u32_e32 v22, 32, v22
	v_subrev_u32_e32 v24, 28, v22
	v_sub_u32_e32 v22, 29, v22
	v_cmp_eq_u32_e64 s[0:1], 0, v16
	v_lshlrev_b64 v[26:27], v24, v[10:11]
	v_and_b32_e32 v24, 7, v26
	v_cndmask_b32_e64 v16, v16, v22, s[0:1]
	v_lshlrev_b32_e32 v10, 8, v10
	v_lshl_add_u32 v16, v16, 10, v37
	v_cndmask_b32_e64 v6, v6, v24, s[0:1]
	v_and_or_b32 v10, v10, s17, v16
	v_lshl_or_b32 v6, v6, 7, v10
	v_cvt_f32_f16_e32 v22, v6
.LBB303_553:                            ;   in Loop: Header=BB303_427 Depth=1
	s_or_b64 exec, exec, s[12:13]
	v_lshrrev_b32_e32 v10, 16, v25
	v_cmp_gt_i16_sdwa s[8:9], v10, s3 src0_sel:BYTE_0 src1_sel:DWORD
	s_mov_b64 s[0:1], 0
                                        ; implicit-def: $sgpr20
	s_and_saveexec_b64 s[12:13], s[8:9]
	s_xor_b64 s[8:9], exec, s[12:13]
	s_cbranch_execnz .LBB303_751
; %bb.554:                              ;   in Loop: Header=BB303_427 Depth=1
	s_or_saveexec_b64 s[8:9], s[8:9]
	v_mov_b32_e32 v24, s20
	s_xor_b64 exec, exec, s[8:9]
	s_cbranch_execnz .LBB303_754
.LBB303_555:                            ;   in Loop: Header=BB303_427 Depth=1
	s_or_b64 exec, exec, s[8:9]
	s_and_saveexec_b64 s[8:9], s[0:1]
	s_cbranch_execz .LBB303_557
.LBB303_556:                            ;   in Loop: Header=BB303_427 Depth=1
	v_bfe_u32 v6, v25, 16, 3
	v_ffbh_u32_e32 v24, v6
	v_bfe_u32 v16, v25, 19, 4
	v_min_u32_e32 v24, 32, v24
	v_subrev_u32_e32 v26, 28, v24
	v_sub_u32_e32 v24, 29, v24
	v_cmp_eq_u32_e64 s[0:1], 0, v16
	v_lshlrev_b64 v[26:27], v26, v[10:11]
	v_and_b32_e32 v26, 7, v26
	v_cndmask_b32_e64 v16, v16, v24, s[0:1]
	v_lshlrev_b32_e32 v10, 8, v10
	v_lshl_add_u32 v16, v16, 10, v37
	v_cndmask_b32_e64 v6, v6, v26, s[0:1]
	v_and_or_b32 v10, v10, s17, v16
	v_lshl_or_b32 v6, v6, 7, v10
	v_cvt_f32_f16_e32 v24, v6
.LBB303_557:                            ;   in Loop: Header=BB303_427 Depth=1
	s_or_b64 exec, exec, s[8:9]
	v_lshrrev_b32_e32 v10, 24, v25
	v_cmp_lt_i16_e64 s[0:1], s3, v10
	s_mov_b64 s[8:9], 0
                                        ; implicit-def: $sgpr26
	s_and_saveexec_b64 s[12:13], s[0:1]
	s_xor_b64 s[12:13], exec, s[12:13]
	s_cbranch_execnz .LBB303_755
; %bb.558:                              ;   in Loop: Header=BB303_427 Depth=1
	s_or_saveexec_b64 s[12:13], s[12:13]
	v_mov_b32_e32 v26, s26
	s_xor_b64 exec, exec, s[12:13]
	s_cbranch_execnz .LBB303_758
.LBB303_559:                            ;   in Loop: Header=BB303_427 Depth=1
	s_or_b64 exec, exec, s[12:13]
	s_and_saveexec_b64 s[12:13], s[8:9]
	s_cbranch_execz .LBB303_561
.LBB303_560:                            ;   in Loop: Header=BB303_427 Depth=1
	v_bfe_u32 v6, v25, 24, 3
	v_bfe_u32 v16, v25, 27, 4
	v_ffbh_u32_e32 v25, v6
	v_min_u32_e32 v25, 32, v25
	v_subrev_u32_e32 v26, 28, v25
	v_sub_u32_e32 v25, 29, v25
	v_cmp_eq_u32_e64 s[0:1], 0, v16
	v_lshlrev_b64 v[26:27], v26, v[10:11]
	v_and_b32_e32 v26, 7, v26
	v_cndmask_b32_e64 v16, v16, v25, s[0:1]
	v_lshlrev_b32_e32 v10, 8, v10
	v_lshl_add_u32 v16, v16, 10, v37
	v_cndmask_b32_e64 v6, v6, v26, s[0:1]
	v_and_or_b32 v10, v10, s17, v16
	v_lshl_or_b32 v6, v6, 7, v10
	v_cvt_f32_f16_e32 v26, v6
.LBB303_561:                            ;   in Loop: Header=BB303_427 Depth=1
	s_or_b64 exec, exec, s[12:13]
	v_pk_mul_f32 v[30:31], v[12:13], v[30:31] op_sel_hi:[0,1]
	v_pk_mul_f32 v[28:29], v[12:13], v[28:29] op_sel_hi:[0,1]
	v_cvt_f16_f32_e32 v6, v31
	v_cvt_f16_f32_e32 v10, v30
	;; [unrolled: 1-line block ×4, first 2 shown]
	v_pack_b32_f16 v6, v10, v6
	v_pack_b32_f16 v16, v25, v16
	v_perm_b32 v10, v16, v6, s23
	v_perm_b32 v25, v16, v6, s24
	v_fma_mixlo_f16 v6, v12, v22, 0
	v_lshlrev_b32_e32 v6, 16, v6
	v_fma_mixlo_f16 v16, v12, v17, 0
	v_or_b32_sdwa v17, v6, v16 dst_sel:DWORD dst_unused:UNUSED_PAD src0_sel:DWORD src1_sel:WORD_0
	v_fma_mixlo_f16 v6, v12, v26, 0
	v_fma_mixlo_f16 v22, v12, v24, 0
	v_lshlrev_b32_e32 v6, 16, v6
	v_or_b32_sdwa v12, v6, v22 dst_sel:DWORD dst_unused:UNUSED_PAD src0_sel:DWORD src1_sel:WORD_0
	s_and_saveexec_b64 s[8:9], vcc
	s_cbranch_execz .LBB303_563
; %bb.562:                              ;   in Loop: Header=BB303_427 Depth=1
	v_lshrrev_b32_e32 v6, 16, v25
	v_cmp_lt_i32_e64 s[0:1], v53, v13
	v_accvgpr_read_b32 v24, a8
	s_nop 0
	v_cndmask_b32_e64 v6, 0, v6, s[0:1]
	v_cmp_lt_i32_e64 s[0:1], v7, v24
	s_nop 1
	v_cndmask_b32_e64 v16, 0, v25, s[0:1]
	v_perm_b32 v25, v6, v16, s25
	v_lshrrev_b32_e32 v6, 16, v10
	v_cmp_lt_i32_e64 s[0:1], v52, v13
	s_nop 1
	v_cndmask_b32_e64 v6, 0, v6, s[0:1]
	v_cmp_lt_i32_e64 s[0:1], v51, v24
	s_nop 1
	v_cndmask_b32_e64 v10, 0, v10, s[0:1]
	v_perm_b32 v10, v6, v10, s25
	v_lshrrev_b32_e32 v6, 16, v17
	v_cmp_lt_i32_e64 s[0:1], v50, v13
	;; [unrolled: 8-line block ×3, first 2 shown]
	s_nop 1
	v_cndmask_b32_e64 v6, 0, v6, s[0:1]
	v_cmp_lt_i32_e64 s[0:1], v39, v24
	s_nop 1
	v_cndmask_b32_e64 v12, 0, v22, s[0:1]
	v_perm_b32 v12, v6, v12, s25
.LBB303_563:                            ;   in Loop: Header=BB303_427 Depth=1
	s_or_b64 exec, exec, s[8:9]
	;;#ASMSTART
	v_pk_mul_f16 v6, v54, v25;

	;;#ASMEND
	;;#ASMSTART
	v_pk_mul_f16 v10, v55, v10;

	;;#ASMEND
	;; [unrolled: 4-line block ×4, first 2 shown]
	v_accvgpr_read_b32 v27, a5
	;;#ASMSTART
	v_pk_add_f16 v6, v6, v10;

	;;#ASMEND
	v_accvgpr_read_b32 v26, a4
	;;#ASMSTART
	v_pk_add_f16 v6, v6, v16;

	;;#ASMEND
	s_mov_b64 s[0:1], 0
	;;#ASMSTART
	v_pk_add_f16 v6, v6, v12;

	;;#ASMEND
                                        ; implicit-def: $sgpr20
	s_nop 0
	v_lshrrev_b32_e32 v10, 16, v6
	v_and_b32_e32 v6, 0xffff, v6
	;;#ASMSTART
	v_cvt_f32_f16 v17, v6;
	;;#ASMEND
	;;#ASMSTART
	v_cvt_f32_f16 v38, v10;
	;;#ASMEND
	flat_load_dwordx2 v[24:25], v[18:19] offset:2048
	flat_load_dword v12, v[26:27]
	s_waitcnt vmcnt(0) lgkmcnt(0)
	v_cmp_gt_i16_sdwa s[8:9], v24, s3 src0_sel:BYTE_0 src1_sel:DWORD
	s_and_saveexec_b64 s[12:13], s[8:9]
	s_xor_b64 s[8:9], exec, s[12:13]
	s_cbranch_execnz .LBB303_759
; %bb.564:                              ;   in Loop: Header=BB303_427 Depth=1
	s_or_saveexec_b64 s[8:9], s[8:9]
	v_mov_b32_e32 v28, s20
	s_xor_b64 exec, exec, s[8:9]
	s_cbranch_execnz .LBB303_762
.LBB303_565:                            ;   in Loop: Header=BB303_427 Depth=1
	s_or_b64 exec, exec, s[8:9]
	s_and_saveexec_b64 s[8:9], s[0:1]
	s_cbranch_execz .LBB303_567
.LBB303_566:                            ;   in Loop: Header=BB303_427 Depth=1
	v_and_b32_e32 v6, 7, v24
	v_ffbh_u32_e32 v6, v6
	v_bfe_u32 v10, v24, 3, 4
	v_min_u32_e32 v6, 32, v6
	v_subrev_u32_e32 v16, 28, v6
	v_sub_u32_e32 v6, 29, v6
	v_cmp_eq_u32_e64 s[0:1], 0, v10
	s_nop 1
	v_cndmask_b32_e64 v6, v10, v6, s[0:1]
	v_cndmask_b32_e64 v10, 0, v16, s[0:1]
	v_lshlrev_b64 v[26:27], v10, v[24:25]
	v_lshlrev_b32_e32 v16, 8, v24
	v_lshl_add_u32 v6, v6, 10, v37
	v_lshlrev_b32_e32 v10, 7, v26
	v_and_or_b32 v6, v16, s17, v6
	v_and_or_b32 v6, v10, s22, v6
	v_cvt_f32_f16_e32 v28, v6
.LBB303_567:                            ;   in Loop: Header=BB303_427 Depth=1
	s_or_b64 exec, exec, s[8:9]
	v_lshrrev_b16_e32 v10, 8, v24
	v_cmp_lt_i16_e64 s[0:1], s3, v10
	s_mov_b64 s[8:9], 0
                                        ; implicit-def: $sgpr26
	s_and_saveexec_b64 s[12:13], s[0:1]
	s_xor_b64 s[12:13], exec, s[12:13]
	s_cbranch_execnz .LBB303_763
; %bb.568:                              ;   in Loop: Header=BB303_427 Depth=1
	s_or_saveexec_b64 s[12:13], s[12:13]
	v_mov_b32_e32 v30, s26
	s_xor_b64 exec, exec, s[12:13]
	s_cbranch_execnz .LBB303_766
.LBB303_569:                            ;   in Loop: Header=BB303_427 Depth=1
	s_or_b64 exec, exec, s[12:13]
	s_and_saveexec_b64 s[12:13], s[8:9]
	s_cbranch_execz .LBB303_571
.LBB303_570:                            ;   in Loop: Header=BB303_427 Depth=1
	v_and_b32_e32 v6, 7, v10
	v_ffbh_u32_e32 v22, v6
	v_bfe_u32 v16, v10, 3, 4
	v_min_u32_e32 v22, 32, v22
	v_subrev_u32_e32 v26, 28, v22
	v_sub_u32_e32 v22, 29, v22
	v_cmp_eq_u32_e64 s[0:1], 0, v16
	v_lshlrev_b64 v[26:27], v26, v[10:11]
	v_and_b32_e32 v26, 7, v26
	v_cndmask_b32_e64 v16, v16, v22, s[0:1]
	v_lshlrev_b32_e32 v10, 8, v10
	v_lshl_add_u32 v16, v16, 10, v37
	v_cndmask_b32_e64 v6, v6, v26, s[0:1]
	v_and_or_b32 v10, v10, s17, v16
	v_lshl_or_b32 v6, v6, 7, v10
	v_cvt_f32_f16_e32 v30, v6
.LBB303_571:                            ;   in Loop: Header=BB303_427 Depth=1
	s_or_b64 exec, exec, s[12:13]
	v_lshrrev_b32_e32 v10, 16, v24
	v_cmp_gt_i16_sdwa s[8:9], v10, s3 src0_sel:BYTE_0 src1_sel:DWORD
	s_mov_b64 s[0:1], 0
                                        ; implicit-def: $sgpr20
	s_and_saveexec_b64 s[12:13], s[8:9]
	s_xor_b64 s[8:9], exec, s[12:13]
	s_cbranch_execnz .LBB303_767
; %bb.572:                              ;   in Loop: Header=BB303_427 Depth=1
	s_or_saveexec_b64 s[8:9], s[8:9]
	v_mov_b32_e32 v29, s20
	s_xor_b64 exec, exec, s[8:9]
	s_cbranch_execnz .LBB303_770
.LBB303_573:                            ;   in Loop: Header=BB303_427 Depth=1
	s_or_b64 exec, exec, s[8:9]
	s_and_saveexec_b64 s[8:9], s[0:1]
	s_cbranch_execz .LBB303_575
.LBB303_574:                            ;   in Loop: Header=BB303_427 Depth=1
	v_bfe_u32 v6, v24, 16, 3
	v_ffbh_u32_e32 v22, v6
	v_bfe_u32 v16, v24, 19, 4
	v_min_u32_e32 v22, 32, v22
	v_subrev_u32_e32 v26, 28, v22
	v_sub_u32_e32 v22, 29, v22
	v_cmp_eq_u32_e64 s[0:1], 0, v16
	v_lshlrev_b64 v[26:27], v26, v[10:11]
	v_and_b32_e32 v26, 7, v26
	v_cndmask_b32_e64 v16, v16, v22, s[0:1]
	v_lshlrev_b32_e32 v10, 8, v10
	v_lshl_add_u32 v16, v16, 10, v37
	v_cndmask_b32_e64 v6, v6, v26, s[0:1]
	v_and_or_b32 v10, v10, s17, v16
	v_lshl_or_b32 v6, v6, 7, v10
	v_cvt_f32_f16_e32 v29, v6
.LBB303_575:                            ;   in Loop: Header=BB303_427 Depth=1
	s_or_b64 exec, exec, s[8:9]
	v_lshrrev_b32_e32 v10, 24, v24
	v_cmp_lt_i16_e64 s[0:1], s3, v10
	s_mov_b64 s[8:9], 0
                                        ; implicit-def: $sgpr26
	s_and_saveexec_b64 s[12:13], s[0:1]
	s_xor_b64 s[12:13], exec, s[12:13]
	s_cbranch_execnz .LBB303_771
; %bb.576:                              ;   in Loop: Header=BB303_427 Depth=1
	s_or_saveexec_b64 s[12:13], s[12:13]
	v_mov_b32_e32 v31, s26
	s_xor_b64 exec, exec, s[12:13]
	s_cbranch_execnz .LBB303_774
.LBB303_577:                            ;   in Loop: Header=BB303_427 Depth=1
	s_or_b64 exec, exec, s[12:13]
	s_and_saveexec_b64 s[12:13], s[8:9]
	s_cbranch_execz .LBB303_579
.LBB303_578:                            ;   in Loop: Header=BB303_427 Depth=1
	v_bfe_u32 v6, v24, 24, 3
	v_ffbh_u32_e32 v22, v6
	v_bfe_u32 v16, v24, 27, 4
	v_min_u32_e32 v22, 32, v22
	v_subrev_u32_e32 v24, 28, v22
	v_sub_u32_e32 v22, 29, v22
	v_cmp_eq_u32_e64 s[0:1], 0, v16
	v_lshlrev_b64 v[26:27], v24, v[10:11]
	v_and_b32_e32 v24, 7, v26
	v_cndmask_b32_e64 v16, v16, v22, s[0:1]
	v_lshlrev_b32_e32 v10, 8, v10
	v_lshl_add_u32 v16, v16, 10, v37
	v_cndmask_b32_e64 v6, v6, v24, s[0:1]
	v_and_or_b32 v10, v10, s17, v16
	v_lshl_or_b32 v6, v6, 7, v10
	v_cvt_f32_f16_e32 v31, v6
.LBB303_579:                            ;   in Loop: Header=BB303_427 Depth=1
	s_or_b64 exec, exec, s[12:13]
	v_cmp_gt_i16_sdwa s[8:9], v25, s3 src0_sel:BYTE_0 src1_sel:DWORD
	s_mov_b64 s[0:1], 0
                                        ; implicit-def: $sgpr20
	s_and_saveexec_b64 s[12:13], s[8:9]
	s_xor_b64 s[8:9], exec, s[12:13]
	s_cbranch_execnz .LBB303_775
; %bb.580:                              ;   in Loop: Header=BB303_427 Depth=1
	s_or_saveexec_b64 s[8:9], s[8:9]
	v_mov_b32_e32 v22, s20
	s_xor_b64 exec, exec, s[8:9]
	s_cbranch_execnz .LBB303_778
.LBB303_581:                            ;   in Loop: Header=BB303_427 Depth=1
	s_or_b64 exec, exec, s[8:9]
	v_mov_b32_e32 v10, v25
	s_and_saveexec_b64 s[8:9], s[0:1]
	s_cbranch_execz .LBB303_583
.LBB303_582:                            ;   in Loop: Header=BB303_427 Depth=1
	v_and_b32_e32 v6, 7, v25
	v_ffbh_u32_e32 v6, v6
	v_bfe_u32 v16, v25, 3, 4
	v_min_u32_e32 v6, 32, v6
	v_subrev_u32_e32 v22, 28, v6
	v_sub_u32_e32 v6, 29, v6
	v_cmp_eq_u32_e64 s[0:1], 0, v16
	s_nop 1
	v_cndmask_b32_e64 v6, v16, v6, s[0:1]
	v_cndmask_b32_e64 v16, 0, v22, s[0:1]
	v_lshlrev_b64 v[26:27], v16, v[10:11]
	v_lshlrev_b32_e32 v22, 8, v25
	v_lshl_add_u32 v6, v6, 10, v37
	v_lshlrev_b32_e32 v16, 7, v26
	v_and_or_b32 v6, v22, s17, v6
	v_and_or_b32 v6, v16, s22, v6
	v_cvt_f32_f16_e32 v22, v6
.LBB303_583:                            ;   in Loop: Header=BB303_427 Depth=1
	s_or_b64 exec, exec, s[8:9]
	v_lshrrev_b16_e32 v10, 8, v10
	v_cmp_lt_i16_e64 s[0:1], s3, v10
	s_mov_b64 s[8:9], 0
                                        ; implicit-def: $sgpr26
	s_and_saveexec_b64 s[12:13], s[0:1]
	s_xor_b64 s[12:13], exec, s[12:13]
	s_cbranch_execnz .LBB303_779
; %bb.584:                              ;   in Loop: Header=BB303_427 Depth=1
	s_or_saveexec_b64 s[12:13], s[12:13]
	v_mov_b32_e32 v24, s26
	s_xor_b64 exec, exec, s[12:13]
	s_cbranch_execnz .LBB303_782
.LBB303_585:                            ;   in Loop: Header=BB303_427 Depth=1
	s_or_b64 exec, exec, s[12:13]
	s_and_saveexec_b64 s[12:13], s[8:9]
	s_cbranch_execz .LBB303_587
.LBB303_586:                            ;   in Loop: Header=BB303_427 Depth=1
	v_and_b32_e32 v6, 7, v10
	v_ffbh_u32_e32 v24, v6
	v_bfe_u32 v16, v10, 3, 4
	v_min_u32_e32 v24, 32, v24
	v_subrev_u32_e32 v26, 28, v24
	v_sub_u32_e32 v24, 29, v24
	v_cmp_eq_u32_e64 s[0:1], 0, v16
	v_lshlrev_b64 v[26:27], v26, v[10:11]
	v_and_b32_e32 v26, 7, v26
	v_cndmask_b32_e64 v16, v16, v24, s[0:1]
	v_lshlrev_b32_e32 v10, 8, v10
	v_lshl_add_u32 v16, v16, 10, v37
	v_cndmask_b32_e64 v6, v6, v26, s[0:1]
	v_and_or_b32 v10, v10, s17, v16
	v_lshl_or_b32 v6, v6, 7, v10
	v_cvt_f32_f16_e32 v24, v6
.LBB303_587:                            ;   in Loop: Header=BB303_427 Depth=1
	s_or_b64 exec, exec, s[12:13]
	v_lshrrev_b32_e32 v10, 16, v25
	v_cmp_gt_i16_sdwa s[8:9], v10, s3 src0_sel:BYTE_0 src1_sel:DWORD
	s_mov_b64 s[0:1], 0
                                        ; implicit-def: $sgpr20
	s_and_saveexec_b64 s[12:13], s[8:9]
	s_xor_b64 s[8:9], exec, s[12:13]
	s_cbranch_execnz .LBB303_783
; %bb.588:                              ;   in Loop: Header=BB303_427 Depth=1
	s_or_saveexec_b64 s[8:9], s[8:9]
	v_mov_b32_e32 v26, s20
	s_xor_b64 exec, exec, s[8:9]
	s_cbranch_execnz .LBB303_786
.LBB303_589:                            ;   in Loop: Header=BB303_427 Depth=1
	s_or_b64 exec, exec, s[8:9]
	s_and_saveexec_b64 s[8:9], s[0:1]
	s_cbranch_execz .LBB303_591
.LBB303_590:                            ;   in Loop: Header=BB303_427 Depth=1
	v_bfe_u32 v6, v25, 16, 3
	v_ffbh_u32_e32 v26, v6
	v_min_u32_e32 v46, 32, v26
	v_subrev_u32_e32 v26, 28, v46
	v_bfe_u32 v16, v25, 19, 4
	v_lshlrev_b64 v[26:27], v26, v[10:11]
	v_sub_u32_e32 v27, 29, v46
	v_cmp_eq_u32_e64 s[0:1], 0, v16
	v_and_b32_e32 v26, 7, v26
	v_lshlrev_b32_e32 v10, 8, v10
	v_cndmask_b32_e64 v16, v16, v27, s[0:1]
	v_lshl_add_u32 v16, v16, 10, v37
	v_cndmask_b32_e64 v6, v6, v26, s[0:1]
	v_and_or_b32 v10, v10, s17, v16
	v_lshl_or_b32 v6, v6, 7, v10
	v_cvt_f32_f16_e32 v26, v6
.LBB303_591:                            ;   in Loop: Header=BB303_427 Depth=1
	s_or_b64 exec, exec, s[8:9]
	v_lshrrev_b32_e32 v10, 24, v25
	v_cmp_lt_i16_e64 s[0:1], s3, v10
	s_mov_b64 s[8:9], 0
                                        ; implicit-def: $sgpr26
	s_and_saveexec_b64 s[12:13], s[0:1]
	s_xor_b64 s[12:13], exec, s[12:13]
	s_cbranch_execnz .LBB303_787
; %bb.592:                              ;   in Loop: Header=BB303_427 Depth=1
	s_or_saveexec_b64 s[12:13], s[12:13]
	v_mov_b32_e32 v27, s26
	s_xor_b64 exec, exec, s[12:13]
	s_cbranch_execnz .LBB303_790
.LBB303_593:                            ;   in Loop: Header=BB303_427 Depth=1
	s_or_b64 exec, exec, s[12:13]
	s_and_saveexec_b64 s[12:13], s[8:9]
	s_cbranch_execz .LBB303_595
.LBB303_594:                            ;   in Loop: Header=BB303_427 Depth=1
	v_bfe_u32 v6, v25, 24, 3
	v_bfe_u32 v16, v25, 27, 4
	v_ffbh_u32_e32 v25, v6
	v_min_u32_e32 v25, 32, v25
	v_subrev_u32_e32 v27, 28, v25
	v_sub_u32_e32 v25, 29, v25
	v_cmp_eq_u32_e64 s[0:1], 0, v16
	v_lshlrev_b64 v[46:47], v27, v[10:11]
	v_and_b32_e32 v27, 7, v46
	v_cndmask_b32_e64 v16, v16, v25, s[0:1]
	v_lshlrev_b32_e32 v10, 8, v10
	v_lshl_add_u32 v16, v16, 10, v37
	v_cndmask_b32_e64 v6, v6, v27, s[0:1]
	v_and_or_b32 v10, v10, s17, v16
	v_lshl_or_b32 v6, v6, 7, v10
	v_cvt_f32_f16_e32 v27, v6
.LBB303_595:                            ;   in Loop: Header=BB303_427 Depth=1
	s_or_b64 exec, exec, s[12:13]
	v_pk_mul_f32 v[30:31], v[12:13], v[30:31] op_sel_hi:[0,1]
	v_pk_mul_f32 v[28:29], v[12:13], v[28:29] op_sel_hi:[0,1]
	v_cvt_f16_f32_e32 v6, v31
	v_cvt_f16_f32_e32 v10, v30
	;; [unrolled: 1-line block ×4, first 2 shown]
	v_pack_b32_f16 v6, v10, v6
	v_pack_b32_f16 v16, v25, v16
	v_perm_b32 v10, v16, v6, s23
	v_perm_b32 v25, v16, v6, s24
	v_fma_mixlo_f16 v6, v12, v24, 0
	v_lshlrev_b32_e32 v6, 16, v6
	v_fma_mixlo_f16 v16, v12, v22, 0
	v_or_b32_sdwa v22, v6, v16 dst_sel:DWORD dst_unused:UNUSED_PAD src0_sel:DWORD src1_sel:WORD_0
	v_fma_mixlo_f16 v6, v12, v27, 0
	v_fma_mixlo_f16 v24, v12, v26, 0
	v_lshlrev_b32_e32 v6, 16, v6
	v_or_b32_sdwa v12, v6, v24 dst_sel:DWORD dst_unused:UNUSED_PAD src0_sel:DWORD src1_sel:WORD_0
	s_and_saveexec_b64 s[8:9], vcc
	s_cbranch_execz .LBB303_597
; %bb.596:                              ;   in Loop: Header=BB303_427 Depth=1
	v_lshrrev_b32_e32 v6, 16, v25
	v_cmp_lt_i32_e64 s[0:1], v53, v13
	v_accvgpr_read_b32 v26, a8
	s_nop 0
	v_cndmask_b32_e64 v6, 0, v6, s[0:1]
	v_cmp_lt_i32_e64 s[0:1], v7, v26
	s_nop 1
	v_cndmask_b32_e64 v16, 0, v25, s[0:1]
	v_perm_b32 v25, v6, v16, s25
	v_lshrrev_b32_e32 v6, 16, v10
	v_cmp_lt_i32_e64 s[0:1], v52, v13
	s_nop 1
	v_cndmask_b32_e64 v6, 0, v6, s[0:1]
	v_cmp_lt_i32_e64 s[0:1], v51, v26
	s_nop 1
	v_cndmask_b32_e64 v10, 0, v10, s[0:1]
	v_perm_b32 v10, v6, v10, s25
	v_lshrrev_b32_e32 v6, 16, v22
	v_cmp_lt_i32_e64 s[0:1], v50, v13
	s_nop 1
	v_cndmask_b32_e64 v6, 0, v6, s[0:1]
	v_cmp_lt_i32_e64 s[0:1], v49, v26
	s_nop 1
	v_cndmask_b32_e64 v16, 0, v22, s[0:1]
	v_perm_b32 v22, v6, v16, s25
	v_lshrrev_b32_e32 v6, 16, v12
	v_cmp_lt_i32_e64 s[0:1], v48, v13
	s_nop 1
	v_cndmask_b32_e64 v6, 0, v6, s[0:1]
	v_cmp_lt_i32_e64 s[0:1], v39, v26
	s_nop 1
	v_cndmask_b32_e64 v12, 0, v24, s[0:1]
	v_perm_b32 v12, v6, v12, s25
.LBB303_597:                            ;   in Loop: Header=BB303_427 Depth=1
	s_or_b64 exec, exec, s[8:9]
	;;#ASMSTART
	v_pk_mul_f16 v6, v54, v25;

	;;#ASMEND
	;;#ASMSTART
	v_pk_mul_f16 v10, v55, v10;

	;;#ASMEND
	;;#ASMSTART
	v_pk_mul_f16 v16, v40, v22;

	;;#ASMEND
	;;#ASMSTART
	v_pk_mul_f16 v12, v41, v12;

	;;#ASMEND
	v_accvgpr_read_b32 v25, a5
	;;#ASMSTART
	v_pk_add_f16 v6, v6, v10;

	;;#ASMEND
	v_accvgpr_read_b32 v24, a4
	;;#ASMSTART
	v_pk_add_f16 v6, v6, v16;

	;;#ASMEND
	s_mov_b64 s[0:1], 0
	;;#ASMSTART
	v_pk_add_f16 v6, v6, v12;

	;;#ASMEND
                                        ; implicit-def: $sgpr20
	s_nop 0
	v_lshrrev_b32_e32 v10, 16, v6
	v_and_b32_e32 v6, 0xffff, v6
	;;#ASMSTART
	v_cvt_f32_f16 v30, v6;
	;;#ASMEND
	;;#ASMSTART
	v_cvt_f32_f16 v31, v10;
	;;#ASMEND
	flat_load_dwordx2 v[18:19], v[18:19] offset:2560
	s_waitcnt vmcnt(0) lgkmcnt(0)
	v_cmp_gt_i16_sdwa s[8:9], v18, s3 src0_sel:BYTE_0 src1_sel:DWORD
	flat_load_dword v12, v[24:25]
	s_and_saveexec_b64 s[12:13], s[8:9]
	s_xor_b64 s[8:9], exec, s[12:13]
	s_cbranch_execnz .LBB303_791
; %bb.598:                              ;   in Loop: Header=BB303_427 Depth=1
	s_or_saveexec_b64 s[8:9], s[8:9]
	v_mov_b32_e32 v24, s20
	s_xor_b64 exec, exec, s[8:9]
	s_cbranch_execnz .LBB303_794
.LBB303_599:                            ;   in Loop: Header=BB303_427 Depth=1
	s_or_b64 exec, exec, s[8:9]
	s_and_saveexec_b64 s[8:9], s[0:1]
	s_cbranch_execz .LBB303_601
.LBB303_600:                            ;   in Loop: Header=BB303_427 Depth=1
	v_and_b32_e32 v6, 7, v18
	v_ffbh_u32_e32 v6, v6
	v_bfe_u32 v10, v18, 3, 4
	v_min_u32_e32 v6, 32, v6
	v_subrev_u32_e32 v16, 28, v6
	v_sub_u32_e32 v6, 29, v6
	v_cmp_eq_u32_e64 s[0:1], 0, v10
	s_nop 1
	v_cndmask_b32_e64 v6, v10, v6, s[0:1]
	v_cndmask_b32_e64 v10, 0, v16, s[0:1]
	v_lshlrev_b64 v[24:25], v10, v[18:19]
	v_lshlrev_b32_e32 v16, 8, v18
	v_lshl_add_u32 v6, v6, 10, v37
	v_lshlrev_b32_e32 v10, 7, v24
	v_and_or_b32 v6, v16, s17, v6
	v_and_or_b32 v6, v10, s22, v6
	v_cvt_f32_f16_e32 v24, v6
.LBB303_601:                            ;   in Loop: Header=BB303_427 Depth=1
	s_or_b64 exec, exec, s[8:9]
	v_lshrrev_b16_e32 v10, 8, v18
	v_cmp_lt_i16_e64 s[0:1], s3, v10
	s_mov_b64 s[8:9], 0
                                        ; implicit-def: $sgpr26
	s_and_saveexec_b64 s[12:13], s[0:1]
	s_xor_b64 s[12:13], exec, s[12:13]
	s_cbranch_execnz .LBB303_795
; %bb.602:                              ;   in Loop: Header=BB303_427 Depth=1
	s_or_saveexec_b64 s[12:13], s[12:13]
	v_mov_b32_e32 v28, s26
	s_xor_b64 exec, exec, s[12:13]
	s_cbranch_execnz .LBB303_798
.LBB303_603:                            ;   in Loop: Header=BB303_427 Depth=1
	s_or_b64 exec, exec, s[12:13]
	s_and_saveexec_b64 s[12:13], s[8:9]
	s_cbranch_execz .LBB303_605
.LBB303_604:                            ;   in Loop: Header=BB303_427 Depth=1
	v_and_b32_e32 v6, 7, v10
	v_ffbh_u32_e32 v22, v6
	v_bfe_u32 v16, v10, 3, 4
	v_min_u32_e32 v22, 32, v22
	v_subrev_u32_e32 v25, 28, v22
	v_sub_u32_e32 v22, 29, v22
	v_cmp_eq_u32_e64 s[0:1], 0, v16
	v_lshlrev_b64 v[26:27], v25, v[10:11]
	v_and_b32_e32 v25, 7, v26
	v_cndmask_b32_e64 v16, v16, v22, s[0:1]
	v_lshlrev_b32_e32 v10, 8, v10
	v_lshl_add_u32 v16, v16, 10, v37
	v_cndmask_b32_e64 v6, v6, v25, s[0:1]
	v_and_or_b32 v10, v10, s17, v16
	v_lshl_or_b32 v6, v6, 7, v10
	v_cvt_f32_f16_e32 v28, v6
.LBB303_605:                            ;   in Loop: Header=BB303_427 Depth=1
	s_or_b64 exec, exec, s[12:13]
	v_lshrrev_b32_e32 v10, 16, v18
	v_cmp_gt_i16_sdwa s[8:9], v10, s3 src0_sel:BYTE_0 src1_sel:DWORD
	s_mov_b64 s[0:1], 0
                                        ; implicit-def: $sgpr20
	s_and_saveexec_b64 s[12:13], s[8:9]
	s_xor_b64 s[8:9], exec, s[12:13]
	s_cbranch_execnz .LBB303_799
; %bb.606:                              ;   in Loop: Header=BB303_427 Depth=1
	s_or_saveexec_b64 s[8:9], s[8:9]
	v_mov_b32_e32 v25, s20
	s_xor_b64 exec, exec, s[8:9]
	s_cbranch_execnz .LBB303_802
.LBB303_607:                            ;   in Loop: Header=BB303_427 Depth=1
	s_or_b64 exec, exec, s[8:9]
	s_and_saveexec_b64 s[8:9], s[0:1]
	s_cbranch_execz .LBB303_609
.LBB303_608:                            ;   in Loop: Header=BB303_427 Depth=1
	v_bfe_u32 v6, v18, 16, 3
	v_ffbh_u32_e32 v22, v6
	v_bfe_u32 v16, v18, 19, 4
	v_min_u32_e32 v22, 32, v22
	v_subrev_u32_e32 v25, 28, v22
	v_sub_u32_e32 v22, 29, v22
	v_cmp_eq_u32_e64 s[0:1], 0, v16
	v_lshlrev_b64 v[26:27], v25, v[10:11]
	v_and_b32_e32 v25, 7, v26
	v_cndmask_b32_e64 v16, v16, v22, s[0:1]
	v_lshlrev_b32_e32 v10, 8, v10
	v_lshl_add_u32 v16, v16, 10, v37
	v_cndmask_b32_e64 v6, v6, v25, s[0:1]
	v_and_or_b32 v10, v10, s17, v16
	v_lshl_or_b32 v6, v6, 7, v10
	v_cvt_f32_f16_e32 v25, v6
.LBB303_609:                            ;   in Loop: Header=BB303_427 Depth=1
	s_or_b64 exec, exec, s[8:9]
	v_lshrrev_b32_e32 v10, 24, v18
	v_cmp_lt_i16_e64 s[0:1], s3, v10
	s_mov_b64 s[8:9], 0
                                        ; implicit-def: $sgpr26
	s_and_saveexec_b64 s[12:13], s[0:1]
	s_xor_b64 s[12:13], exec, s[12:13]
	s_cbranch_execnz .LBB303_803
; %bb.610:                              ;   in Loop: Header=BB303_427 Depth=1
	s_or_saveexec_b64 s[12:13], s[12:13]
	v_mov_b32_e32 v29, s26
	s_xor_b64 exec, exec, s[12:13]
	s_cbranch_execnz .LBB303_806
.LBB303_611:                            ;   in Loop: Header=BB303_427 Depth=1
	s_or_b64 exec, exec, s[12:13]
	s_and_saveexec_b64 s[12:13], s[8:9]
	s_cbranch_execz .LBB303_613
.LBB303_612:                            ;   in Loop: Header=BB303_427 Depth=1
	v_bfe_u32 v6, v18, 24, 3
	v_bfe_u32 v16, v18, 27, 4
	v_ffbh_u32_e32 v18, v6
	v_min_u32_e32 v18, 32, v18
	v_subrev_u32_e32 v22, 28, v18
	v_sub_u32_e32 v18, 29, v18
	v_cmp_eq_u32_e64 s[0:1], 0, v16
	v_lshlrev_b64 v[26:27], v22, v[10:11]
	v_and_b32_e32 v22, 7, v26
	v_cndmask_b32_e64 v16, v16, v18, s[0:1]
	v_lshlrev_b32_e32 v10, 8, v10
	v_lshl_add_u32 v16, v16, 10, v37
	v_cndmask_b32_e64 v6, v6, v22, s[0:1]
	v_and_or_b32 v10, v10, s17, v16
	v_lshl_or_b32 v6, v6, 7, v10
	v_cvt_f32_f16_e32 v29, v6
.LBB303_613:                            ;   in Loop: Header=BB303_427 Depth=1
	s_or_b64 exec, exec, s[12:13]
	v_cmp_gt_i16_sdwa s[8:9], v19, s3 src0_sel:BYTE_0 src1_sel:DWORD
	s_mov_b64 s[0:1], 0
                                        ; implicit-def: $sgpr20
	s_and_saveexec_b64 s[12:13], s[8:9]
	s_xor_b64 s[8:9], exec, s[12:13]
	s_cbranch_execnz .LBB303_807
; %bb.614:                              ;   in Loop: Header=BB303_427 Depth=1
	s_or_saveexec_b64 s[8:9], s[8:9]
	v_mov_b32_e32 v18, s20
	s_xor_b64 exec, exec, s[8:9]
	s_cbranch_execnz .LBB303_810
.LBB303_615:                            ;   in Loop: Header=BB303_427 Depth=1
	s_or_b64 exec, exec, s[8:9]
	v_mov_b32_e32 v10, v19
	s_and_saveexec_b64 s[8:9], s[0:1]
	s_cbranch_execz .LBB303_617
.LBB303_616:                            ;   in Loop: Header=BB303_427 Depth=1
	v_and_b32_e32 v6, 7, v19
	v_ffbh_u32_e32 v6, v6
	v_bfe_u32 v16, v19, 3, 4
	v_min_u32_e32 v6, 32, v6
	v_subrev_u32_e32 v18, 28, v6
	v_sub_u32_e32 v6, 29, v6
	v_cmp_eq_u32_e64 s[0:1], 0, v16
	s_nop 1
	v_cndmask_b32_e64 v6, v16, v6, s[0:1]
	v_cndmask_b32_e64 v16, 0, v18, s[0:1]
	v_lshlrev_b64 v[26:27], v16, v[10:11]
	v_lshlrev_b32_e32 v18, 8, v19
	v_lshl_add_u32 v6, v6, 10, v37
	v_lshlrev_b32_e32 v16, 7, v26
	v_and_or_b32 v6, v18, s17, v6
	v_and_or_b32 v6, v16, s22, v6
	v_cvt_f32_f16_e32 v18, v6
.LBB303_617:                            ;   in Loop: Header=BB303_427 Depth=1
	s_or_b64 exec, exec, s[8:9]
	v_lshrrev_b16_e32 v10, 8, v10
	v_cmp_lt_i16_e64 s[0:1], s3, v10
	s_mov_b64 s[8:9], 0
                                        ; implicit-def: $sgpr26
	s_and_saveexec_b64 s[12:13], s[0:1]
	s_xor_b64 s[12:13], exec, s[12:13]
	s_cbranch_execnz .LBB303_811
; %bb.618:                              ;   in Loop: Header=BB303_427 Depth=1
	s_or_saveexec_b64 s[12:13], s[12:13]
	v_mov_b32_e32 v22, s26
	s_xor_b64 exec, exec, s[12:13]
	s_cbranch_execnz .LBB303_814
.LBB303_619:                            ;   in Loop: Header=BB303_427 Depth=1
	s_or_b64 exec, exec, s[12:13]
	s_and_saveexec_b64 s[12:13], s[8:9]
	s_cbranch_execz .LBB303_621
.LBB303_620:                            ;   in Loop: Header=BB303_427 Depth=1
	v_and_b32_e32 v6, 7, v10
	v_ffbh_u32_e32 v22, v6
	v_bfe_u32 v16, v10, 3, 4
	v_min_u32_e32 v22, 32, v22
	v_subrev_u32_e32 v26, 28, v22
	v_sub_u32_e32 v22, 29, v22
	v_cmp_eq_u32_e64 s[0:1], 0, v16
	v_lshlrev_b64 v[26:27], v26, v[10:11]
	v_and_b32_e32 v26, 7, v26
	v_cndmask_b32_e64 v16, v16, v22, s[0:1]
	v_lshlrev_b32_e32 v10, 8, v10
	v_lshl_add_u32 v16, v16, 10, v37
	v_cndmask_b32_e64 v6, v6, v26, s[0:1]
	v_and_or_b32 v10, v10, s17, v16
	v_lshl_or_b32 v6, v6, 7, v10
	v_cvt_f32_f16_e32 v22, v6
.LBB303_621:                            ;   in Loop: Header=BB303_427 Depth=1
	s_or_b64 exec, exec, s[12:13]
	v_lshrrev_b32_e32 v10, 16, v19
	v_cmp_gt_i16_sdwa s[8:9], v10, s3 src0_sel:BYTE_0 src1_sel:DWORD
	s_mov_b64 s[0:1], 0
                                        ; implicit-def: $sgpr20
	s_and_saveexec_b64 s[12:13], s[8:9]
	s_xor_b64 s[8:9], exec, s[12:13]
	s_cbranch_execnz .LBB303_815
; %bb.622:                              ;   in Loop: Header=BB303_427 Depth=1
	s_or_saveexec_b64 s[8:9], s[8:9]
	v_mov_b32_e32 v26, s20
	s_xor_b64 exec, exec, s[8:9]
	s_cbranch_execnz .LBB303_818
.LBB303_623:                            ;   in Loop: Header=BB303_427 Depth=1
	s_or_b64 exec, exec, s[8:9]
	s_and_saveexec_b64 s[8:9], s[0:1]
	s_cbranch_execz .LBB303_625
.LBB303_624:                            ;   in Loop: Header=BB303_427 Depth=1
	v_bfe_u32 v6, v19, 16, 3
	v_ffbh_u32_e32 v26, v6
	v_min_u32_e32 v46, 32, v26
	v_subrev_u32_e32 v26, 28, v46
	v_bfe_u32 v16, v19, 19, 4
	v_lshlrev_b64 v[26:27], v26, v[10:11]
	v_sub_u32_e32 v27, 29, v46
	v_cmp_eq_u32_e64 s[0:1], 0, v16
	v_and_b32_e32 v26, 7, v26
	v_lshlrev_b32_e32 v10, 8, v10
	v_cndmask_b32_e64 v16, v16, v27, s[0:1]
	v_lshl_add_u32 v16, v16, 10, v37
	v_cndmask_b32_e64 v6, v6, v26, s[0:1]
	v_and_or_b32 v10, v10, s17, v16
	v_lshl_or_b32 v6, v6, 7, v10
	v_cvt_f32_f16_e32 v26, v6
.LBB303_625:                            ;   in Loop: Header=BB303_427 Depth=1
	s_or_b64 exec, exec, s[8:9]
	v_lshrrev_b32_e32 v10, 24, v19
	v_cmp_lt_i16_e64 s[0:1], s3, v10
	s_mov_b64 s[8:9], 0
                                        ; implicit-def: $sgpr26
	s_and_saveexec_b64 s[12:13], s[0:1]
	s_xor_b64 s[12:13], exec, s[12:13]
	s_cbranch_execnz .LBB303_819
; %bb.626:                              ;   in Loop: Header=BB303_427 Depth=1
	s_or_saveexec_b64 s[12:13], s[12:13]
	v_mov_b32_e32 v27, s26
	s_xor_b64 exec, exec, s[12:13]
	s_cbranch_execnz .LBB303_822
.LBB303_627:                            ;   in Loop: Header=BB303_427 Depth=1
	s_or_b64 exec, exec, s[12:13]
	s_and_saveexec_b64 s[12:13], s[8:9]
	s_cbranch_execz .LBB303_629
.LBB303_628:                            ;   in Loop: Header=BB303_427 Depth=1
	v_bfe_u32 v6, v19, 24, 3
	v_bfe_u32 v16, v19, 27, 4
	v_ffbh_u32_e32 v19, v6
	v_min_u32_e32 v19, 32, v19
	v_subrev_u32_e32 v27, 28, v19
	v_sub_u32_e32 v19, 29, v19
	v_cmp_eq_u32_e64 s[0:1], 0, v16
	v_lshlrev_b64 v[46:47], v27, v[10:11]
	v_and_b32_e32 v27, 7, v46
	v_cndmask_b32_e64 v16, v16, v19, s[0:1]
	v_lshlrev_b32_e32 v10, 8, v10
	v_lshl_add_u32 v16, v16, 10, v37
	v_cndmask_b32_e64 v6, v6, v27, s[0:1]
	v_and_or_b32 v10, v10, s17, v16
	v_lshl_or_b32 v6, v6, 7, v10
	v_cvt_f32_f16_e32 v27, v6
.LBB303_629:                            ;   in Loop: Header=BB303_427 Depth=1
	s_or_b64 exec, exec, s[12:13]
	s_waitcnt vmcnt(0) lgkmcnt(0)
	v_pk_mul_f32 v[28:29], v[12:13], v[28:29] op_sel_hi:[0,1]
	v_pk_mul_f32 v[24:25], v[12:13], v[24:25] op_sel_hi:[0,1]
	v_cvt_f16_f32_e32 v6, v29
	v_cvt_f16_f32_e32 v10, v28
	;; [unrolled: 1-line block ×4, first 2 shown]
	v_pack_b32_f16 v6, v10, v6
	v_pack_b32_f16 v16, v19, v16
	v_perm_b32 v10, v16, v6, s23
	v_perm_b32 v19, v16, v6, s24
	v_fma_mixlo_f16 v6, v12, v22, 0
	v_lshlrev_b32_e32 v6, 16, v6
	v_fma_mixlo_f16 v16, v12, v18, 0
	v_or_b32_sdwa v18, v6, v16 dst_sel:DWORD dst_unused:UNUSED_PAD src0_sel:DWORD src1_sel:WORD_0
	v_fma_mixlo_f16 v6, v12, v27, 0
	v_fma_mixlo_f16 v22, v12, v26, 0
	v_lshlrev_b32_e32 v6, 16, v6
	v_or_b32_sdwa v12, v6, v22 dst_sel:DWORD dst_unused:UNUSED_PAD src0_sel:DWORD src1_sel:WORD_0
	s_and_saveexec_b64 s[0:1], vcc
	s_cbranch_execz .LBB303_426
; %bb.630:                              ;   in Loop: Header=BB303_427 Depth=1
	v_lshrrev_b32_e32 v6, 16, v19
	v_cmp_lt_i32_e32 vcc, v53, v13
	v_accvgpr_read_b32 v24, a8
	s_nop 0
	v_cndmask_b32_e32 v6, 0, v6, vcc
	v_cmp_lt_i32_e32 vcc, v7, v24
	s_nop 1
	v_cndmask_b32_e32 v16, 0, v19, vcc
	v_perm_b32 v19, v6, v16, s25
	v_lshrrev_b32_e32 v6, 16, v10
	v_cmp_lt_i32_e32 vcc, v52, v13
	s_nop 1
	v_cndmask_b32_e32 v6, 0, v6, vcc
	v_cmp_lt_i32_e32 vcc, v51, v24
	s_nop 1
	v_cndmask_b32_e32 v10, 0, v10, vcc
	v_perm_b32 v10, v6, v10, s25
	v_lshrrev_b32_e32 v6, 16, v18
	v_cmp_lt_i32_e32 vcc, v50, v13
	;; [unrolled: 8-line block ×3, first 2 shown]
	s_nop 1
	v_cndmask_b32_e32 v6, 0, v6, vcc
	v_cmp_lt_i32_e32 vcc, v39, v24
	s_nop 1
	v_cndmask_b32_e32 v12, 0, v22, vcc
	v_perm_b32 v12, v6, v12, s25
	s_branch .LBB303_426
.LBB303_631:                            ;   in Loop: Header=BB303_427 Depth=1
	v_cmp_eq_u16_sdwa s[26:27], v24, s15 src0_sel:BYTE_0 src1_sel:DWORD
	s_mov_b64 s[0:1], -1
                                        ; implicit-def: $sgpr20
	s_and_saveexec_b64 s[12:13], s[26:27]
; %bb.632:                              ;   in Loop: Header=BB303_427 Depth=1
	s_mov_b32 s20, 0x7fc02000
	s_xor_b64 s[0:1], exec, -1
; %bb.633:                              ;   in Loop: Header=BB303_427 Depth=1
	s_or_b64 exec, exec, s[12:13]
	s_and_b64 s[0:1], s[0:1], exec
	s_or_saveexec_b64 s[8:9], s[8:9]
	v_mov_b32_e32 v28, s20
	s_xor_b64 exec, exec, s[8:9]
	s_cbranch_execz .LBB303_429
.LBB303_634:                            ;   in Loop: Header=BB303_427 Depth=1
	v_cmp_ne_u16_sdwa s[12:13], v24, v11 src0_sel:BYTE_0 src1_sel:DWORD
	s_andn2_b64 s[0:1], s[0:1], exec
	s_and_b64 s[12:13], s[12:13], exec
	v_mov_b32_e32 v28, 0
	s_or_b64 s[0:1], s[0:1], s[12:13]
	s_or_b64 exec, exec, s[8:9]
	s_and_saveexec_b64 s[8:9], s[0:1]
	s_cbranch_execnz .LBB303_430
	s_branch .LBB303_431
.LBB303_635:                            ;   in Loop: Header=BB303_427 Depth=1
	v_cmp_eq_u16_e32 vcc, s15, v10
	s_mov_b64 s[0:1], -1
                                        ; implicit-def: $sgpr20
	s_and_saveexec_b64 s[12:13], vcc
; %bb.636:                              ;   in Loop: Header=BB303_427 Depth=1
	s_mov_b32 s20, 0x7fc02000
	s_xor_b64 s[0:1], exec, -1
; %bb.637:                              ;   in Loop: Header=BB303_427 Depth=1
	s_or_b64 exec, exec, s[12:13]
	s_and_b64 s[0:1], s[0:1], exec
	s_or_saveexec_b64 s[8:9], s[8:9]
	v_mov_b32_e32 v30, s20
	s_xor_b64 exec, exec, s[8:9]
	s_cbranch_execz .LBB303_433
.LBB303_638:                            ;   in Loop: Header=BB303_427 Depth=1
	v_cmp_ne_u16_e32 vcc, 0, v10
	s_andn2_b64 s[0:1], s[0:1], exec
	s_and_b64 s[12:13], vcc, exec
	v_mov_b32_e32 v30, 0
	s_or_b64 s[0:1], s[0:1], s[12:13]
	s_or_b64 exec, exec, s[8:9]
	s_and_saveexec_b64 s[8:9], s[0:1]
	s_cbranch_execnz .LBB303_434
	s_branch .LBB303_435
.LBB303_639:                            ;   in Loop: Header=BB303_427 Depth=1
	v_cmp_eq_u16_sdwa s[26:27], v10, s15 src0_sel:BYTE_0 src1_sel:DWORD
	s_mov_b64 s[0:1], -1
                                        ; implicit-def: $sgpr20
	s_and_saveexec_b64 s[12:13], s[26:27]
; %bb.640:                              ;   in Loop: Header=BB303_427 Depth=1
	s_mov_b32 s20, 0x7fc02000
	s_xor_b64 s[0:1], exec, -1
; %bb.641:                              ;   in Loop: Header=BB303_427 Depth=1
	s_or_b64 exec, exec, s[12:13]
	s_and_b64 s[0:1], s[0:1], exec
	s_or_saveexec_b64 s[8:9], s[8:9]
	v_mov_b32_e32 v29, s20
	s_xor_b64 exec, exec, s[8:9]
	s_cbranch_execz .LBB303_437
.LBB303_642:                            ;   in Loop: Header=BB303_427 Depth=1
	v_cmp_ne_u16_sdwa s[12:13], v10, v11 src0_sel:BYTE_0 src1_sel:DWORD
	s_andn2_b64 s[0:1], s[0:1], exec
	s_and_b64 s[12:13], s[12:13], exec
	v_mov_b32_e32 v29, 0
	s_or_b64 s[0:1], s[0:1], s[12:13]
	s_or_b64 exec, exec, s[8:9]
	s_and_saveexec_b64 s[8:9], s[0:1]
	s_cbranch_execnz .LBB303_438
	s_branch .LBB303_439
.LBB303_643:                            ;   in Loop: Header=BB303_427 Depth=1
	v_cmp_eq_u16_e32 vcc, s15, v10
	s_mov_b64 s[0:1], -1
                                        ; implicit-def: $sgpr20
	s_and_saveexec_b64 s[12:13], vcc
; %bb.644:                              ;   in Loop: Header=BB303_427 Depth=1
	s_mov_b32 s20, 0x7fc02000
	s_xor_b64 s[0:1], exec, -1
; %bb.645:                              ;   in Loop: Header=BB303_427 Depth=1
	s_or_b64 exec, exec, s[12:13]
	s_and_b64 s[0:1], s[0:1], exec
	s_or_saveexec_b64 s[8:9], s[8:9]
	v_mov_b32_e32 v31, s20
	s_xor_b64 exec, exec, s[8:9]
	s_cbranch_execz .LBB303_441
.LBB303_646:                            ;   in Loop: Header=BB303_427 Depth=1
	v_cmp_ne_u16_e32 vcc, 0, v10
	s_andn2_b64 s[0:1], s[0:1], exec
	s_and_b64 s[12:13], vcc, exec
	v_mov_b32_e32 v31, 0
	s_or_b64 s[0:1], s[0:1], s[12:13]
	s_or_b64 exec, exec, s[8:9]
	s_and_saveexec_b64 s[8:9], s[0:1]
	s_cbranch_execnz .LBB303_442
	s_branch .LBB303_443
.LBB303_647:                            ;   in Loop: Header=BB303_427 Depth=1
	v_cmp_eq_u16_sdwa s[26:27], v25, s15 src0_sel:BYTE_0 src1_sel:DWORD
	s_mov_b64 s[0:1], -1
                                        ; implicit-def: $sgpr20
	s_and_saveexec_b64 s[12:13], s[26:27]
; %bb.648:                              ;   in Loop: Header=BB303_427 Depth=1
	s_mov_b32 s20, 0x7fc02000
	s_xor_b64 s[0:1], exec, -1
; %bb.649:                              ;   in Loop: Header=BB303_427 Depth=1
	s_or_b64 exec, exec, s[12:13]
	s_and_b64 s[0:1], s[0:1], exec
	s_or_saveexec_b64 s[8:9], s[8:9]
	v_mov_b32_e32 v22, s20
	s_xor_b64 exec, exec, s[8:9]
	s_cbranch_execz .LBB303_445
.LBB303_650:                            ;   in Loop: Header=BB303_427 Depth=1
	v_cmp_ne_u16_sdwa s[12:13], v25, v11 src0_sel:BYTE_0 src1_sel:DWORD
	s_andn2_b64 s[0:1], s[0:1], exec
	s_and_b64 s[12:13], s[12:13], exec
	v_mov_b32_e32 v22, 0
	s_or_b64 s[0:1], s[0:1], s[12:13]
	s_or_b64 exec, exec, s[8:9]
	v_mov_b32_e32 v10, v25
	s_and_saveexec_b64 s[8:9], s[0:1]
	s_cbranch_execnz .LBB303_446
	s_branch .LBB303_447
.LBB303_651:                            ;   in Loop: Header=BB303_427 Depth=1
	v_cmp_eq_u16_e32 vcc, s15, v10
	s_mov_b64 s[0:1], -1
                                        ; implicit-def: $sgpr20
	s_and_saveexec_b64 s[12:13], vcc
; %bb.652:                              ;   in Loop: Header=BB303_427 Depth=1
	s_mov_b32 s20, 0x7fc02000
	s_xor_b64 s[0:1], exec, -1
; %bb.653:                              ;   in Loop: Header=BB303_427 Depth=1
	s_or_b64 exec, exec, s[12:13]
	s_and_b64 s[0:1], s[0:1], exec
	s_or_saveexec_b64 s[8:9], s[8:9]
	v_mov_b32_e32 v24, s20
	s_xor_b64 exec, exec, s[8:9]
	s_cbranch_execz .LBB303_449
.LBB303_654:                            ;   in Loop: Header=BB303_427 Depth=1
	v_cmp_ne_u16_e32 vcc, 0, v10
	s_andn2_b64 s[0:1], s[0:1], exec
	s_and_b64 s[12:13], vcc, exec
	v_mov_b32_e32 v24, 0
	s_or_b64 s[0:1], s[0:1], s[12:13]
	s_or_b64 exec, exec, s[8:9]
	s_and_saveexec_b64 s[8:9], s[0:1]
	s_cbranch_execnz .LBB303_450
	s_branch .LBB303_451
.LBB303_655:                            ;   in Loop: Header=BB303_427 Depth=1
	v_cmp_eq_u16_sdwa s[26:27], v10, s15 src0_sel:BYTE_0 src1_sel:DWORD
	s_mov_b64 s[0:1], -1
                                        ; implicit-def: $sgpr20
	s_and_saveexec_b64 s[12:13], s[26:27]
; %bb.656:                              ;   in Loop: Header=BB303_427 Depth=1
	s_mov_b32 s20, 0x7fc02000
	s_xor_b64 s[0:1], exec, -1
; %bb.657:                              ;   in Loop: Header=BB303_427 Depth=1
	s_or_b64 exec, exec, s[12:13]
	s_and_b64 s[0:1], s[0:1], exec
	s_or_saveexec_b64 s[8:9], s[8:9]
	v_mov_b32_e32 v26, s20
	s_xor_b64 exec, exec, s[8:9]
	s_cbranch_execz .LBB303_453
.LBB303_658:                            ;   in Loop: Header=BB303_427 Depth=1
	v_cmp_ne_u16_sdwa s[12:13], v10, v11 src0_sel:BYTE_0 src1_sel:DWORD
	s_andn2_b64 s[0:1], s[0:1], exec
	s_and_b64 s[12:13], s[12:13], exec
	v_mov_b32_e32 v26, 0
	s_or_b64 s[0:1], s[0:1], s[12:13]
	s_or_b64 exec, exec, s[8:9]
	s_and_saveexec_b64 s[8:9], s[0:1]
	s_cbranch_execnz .LBB303_454
	s_branch .LBB303_455
.LBB303_659:                            ;   in Loop: Header=BB303_427 Depth=1
	v_cmp_eq_u16_e32 vcc, s15, v10
	s_mov_b64 s[0:1], -1
                                        ; implicit-def: $sgpr20
	s_and_saveexec_b64 s[12:13], vcc
; %bb.660:                              ;   in Loop: Header=BB303_427 Depth=1
	s_mov_b32 s20, 0x7fc02000
	s_xor_b64 s[0:1], exec, -1
; %bb.661:                              ;   in Loop: Header=BB303_427 Depth=1
	s_or_b64 exec, exec, s[12:13]
	s_and_b64 s[0:1], s[0:1], exec
	s_or_saveexec_b64 s[8:9], s[8:9]
	v_mov_b32_e32 v27, s20
	s_xor_b64 exec, exec, s[8:9]
	s_cbranch_execz .LBB303_457
.LBB303_662:                            ;   in Loop: Header=BB303_427 Depth=1
	v_cmp_ne_u16_e32 vcc, 0, v10
	s_andn2_b64 s[0:1], s[0:1], exec
	s_and_b64 s[12:13], vcc, exec
	v_mov_b32_e32 v27, 0
	s_or_b64 s[0:1], s[0:1], s[12:13]
	s_or_b64 exec, exec, s[8:9]
	s_and_saveexec_b64 s[8:9], s[0:1]
	s_cbranch_execnz .LBB303_458
	s_branch .LBB303_459
.LBB303_663:                            ;   in Loop: Header=BB303_427 Depth=1
	v_cmp_eq_u16_sdwa s[26:27], v24, s15 src0_sel:BYTE_0 src1_sel:DWORD
	s_mov_b64 s[0:1], -1
                                        ; implicit-def: $sgpr20
	s_and_saveexec_b64 s[12:13], s[26:27]
; %bb.664:                              ;   in Loop: Header=BB303_427 Depth=1
	s_mov_b32 s20, 0x7fc02000
	s_xor_b64 s[0:1], exec, -1
; %bb.665:                              ;   in Loop: Header=BB303_427 Depth=1
	s_or_b64 exec, exec, s[12:13]
	s_and_b64 s[0:1], s[0:1], exec
	s_or_saveexec_b64 s[8:9], s[8:9]
	v_mov_b32_e32 v28, s20
	s_xor_b64 exec, exec, s[8:9]
	s_cbranch_execz .LBB303_463
.LBB303_666:                            ;   in Loop: Header=BB303_427 Depth=1
	v_cmp_ne_u16_sdwa s[12:13], v24, v11 src0_sel:BYTE_0 src1_sel:DWORD
	s_andn2_b64 s[0:1], s[0:1], exec
	s_and_b64 s[12:13], s[12:13], exec
	v_mov_b32_e32 v28, 0
	s_or_b64 s[0:1], s[0:1], s[12:13]
	s_or_b64 exec, exec, s[8:9]
	s_and_saveexec_b64 s[8:9], s[0:1]
	s_cbranch_execnz .LBB303_464
	s_branch .LBB303_465
.LBB303_667:                            ;   in Loop: Header=BB303_427 Depth=1
	v_cmp_eq_u16_e64 s[0:1], s15, v10
	s_mov_b64 s[8:9], -1
                                        ; implicit-def: $sgpr26
	s_and_saveexec_b64 s[20:21], s[0:1]
; %bb.668:                              ;   in Loop: Header=BB303_427 Depth=1
	s_mov_b32 s26, 0x7fc02000
	s_xor_b64 s[8:9], exec, -1
; %bb.669:                              ;   in Loop: Header=BB303_427 Depth=1
	s_or_b64 exec, exec, s[20:21]
	s_and_b64 s[8:9], s[8:9], exec
	s_or_saveexec_b64 s[12:13], s[12:13]
	v_mov_b32_e32 v30, s26
	s_xor_b64 exec, exec, s[12:13]
	s_cbranch_execz .LBB303_467
.LBB303_670:                            ;   in Loop: Header=BB303_427 Depth=1
	v_cmp_ne_u16_e64 s[0:1], 0, v10
	s_andn2_b64 s[8:9], s[8:9], exec
	s_and_b64 s[0:1], s[0:1], exec
	v_mov_b32_e32 v30, 0
	s_or_b64 s[8:9], s[8:9], s[0:1]
	s_or_b64 exec, exec, s[12:13]
	s_and_saveexec_b64 s[12:13], s[8:9]
	s_cbranch_execnz .LBB303_468
	s_branch .LBB303_469
.LBB303_671:                            ;   in Loop: Header=BB303_427 Depth=1
	v_cmp_eq_u16_sdwa s[26:27], v10, s15 src0_sel:BYTE_0 src1_sel:DWORD
	s_mov_b64 s[0:1], -1
                                        ; implicit-def: $sgpr20
	s_and_saveexec_b64 s[12:13], s[26:27]
; %bb.672:                              ;   in Loop: Header=BB303_427 Depth=1
	s_mov_b32 s20, 0x7fc02000
	s_xor_b64 s[0:1], exec, -1
; %bb.673:                              ;   in Loop: Header=BB303_427 Depth=1
	s_or_b64 exec, exec, s[12:13]
	s_and_b64 s[0:1], s[0:1], exec
	s_or_saveexec_b64 s[8:9], s[8:9]
	v_mov_b32_e32 v29, s20
	s_xor_b64 exec, exec, s[8:9]
	s_cbranch_execz .LBB303_471
.LBB303_674:                            ;   in Loop: Header=BB303_427 Depth=1
	v_cmp_ne_u16_sdwa s[12:13], v10, v11 src0_sel:BYTE_0 src1_sel:DWORD
	s_andn2_b64 s[0:1], s[0:1], exec
	s_and_b64 s[12:13], s[12:13], exec
	v_mov_b32_e32 v29, 0
	s_or_b64 s[0:1], s[0:1], s[12:13]
	s_or_b64 exec, exec, s[8:9]
	s_and_saveexec_b64 s[8:9], s[0:1]
	s_cbranch_execnz .LBB303_472
	s_branch .LBB303_473
.LBB303_675:                            ;   in Loop: Header=BB303_427 Depth=1
	v_cmp_eq_u16_e64 s[0:1], s15, v10
	s_mov_b64 s[8:9], -1
                                        ; implicit-def: $sgpr26
	s_and_saveexec_b64 s[20:21], s[0:1]
; %bb.676:                              ;   in Loop: Header=BB303_427 Depth=1
	s_mov_b32 s26, 0x7fc02000
	s_xor_b64 s[8:9], exec, -1
; %bb.677:                              ;   in Loop: Header=BB303_427 Depth=1
	s_or_b64 exec, exec, s[20:21]
	s_and_b64 s[8:9], s[8:9], exec
	s_or_saveexec_b64 s[12:13], s[12:13]
	v_mov_b32_e32 v31, s26
	s_xor_b64 exec, exec, s[12:13]
	s_cbranch_execz .LBB303_475
.LBB303_678:                            ;   in Loop: Header=BB303_427 Depth=1
	v_cmp_ne_u16_e64 s[0:1], 0, v10
	s_andn2_b64 s[8:9], s[8:9], exec
	s_and_b64 s[0:1], s[0:1], exec
	v_mov_b32_e32 v31, 0
	s_or_b64 s[8:9], s[8:9], s[0:1]
	s_or_b64 exec, exec, s[12:13]
	s_and_saveexec_b64 s[12:13], s[8:9]
	s_cbranch_execnz .LBB303_476
	s_branch .LBB303_477
.LBB303_679:                            ;   in Loop: Header=BB303_427 Depth=1
	v_cmp_eq_u16_sdwa s[26:27], v25, s15 src0_sel:BYTE_0 src1_sel:DWORD
	s_mov_b64 s[0:1], -1
                                        ; implicit-def: $sgpr20
	s_and_saveexec_b64 s[12:13], s[26:27]
; %bb.680:                              ;   in Loop: Header=BB303_427 Depth=1
	s_mov_b32 s20, 0x7fc02000
	s_xor_b64 s[0:1], exec, -1
; %bb.681:                              ;   in Loop: Header=BB303_427 Depth=1
	s_or_b64 exec, exec, s[12:13]
	s_and_b64 s[0:1], s[0:1], exec
	s_or_saveexec_b64 s[8:9], s[8:9]
	v_mov_b32_e32 v4, s20
	s_xor_b64 exec, exec, s[8:9]
	s_cbranch_execz .LBB303_479
.LBB303_682:                            ;   in Loop: Header=BB303_427 Depth=1
	v_cmp_ne_u16_sdwa s[12:13], v25, v11 src0_sel:BYTE_0 src1_sel:DWORD
	s_andn2_b64 s[0:1], s[0:1], exec
	s_and_b64 s[12:13], s[12:13], exec
	v_mov_b32_e32 v4, 0
	s_or_b64 s[0:1], s[0:1], s[12:13]
	s_or_b64 exec, exec, s[8:9]
	v_mov_b32_e32 v10, v25
	s_and_saveexec_b64 s[8:9], s[0:1]
	s_cbranch_execnz .LBB303_480
	s_branch .LBB303_481
.LBB303_683:                            ;   in Loop: Header=BB303_427 Depth=1
	v_cmp_eq_u16_e64 s[0:1], s15, v10
	s_mov_b64 s[8:9], -1
                                        ; implicit-def: $sgpr26
	s_and_saveexec_b64 s[20:21], s[0:1]
; %bb.684:                              ;   in Loop: Header=BB303_427 Depth=1
	s_mov_b32 s26, 0x7fc02000
	s_xor_b64 s[8:9], exec, -1
; %bb.685:                              ;   in Loop: Header=BB303_427 Depth=1
	s_or_b64 exec, exec, s[20:21]
	s_and_b64 s[8:9], s[8:9], exec
	s_or_saveexec_b64 s[12:13], s[12:13]
	v_mov_b32_e32 v5, s26
	s_xor_b64 exec, exec, s[12:13]
	s_cbranch_execz .LBB303_483
.LBB303_686:                            ;   in Loop: Header=BB303_427 Depth=1
	v_cmp_ne_u16_e64 s[0:1], 0, v10
	s_andn2_b64 s[8:9], s[8:9], exec
	s_and_b64 s[0:1], s[0:1], exec
	v_mov_b32_e32 v5, 0
	s_or_b64 s[8:9], s[8:9], s[0:1]
	s_or_b64 exec, exec, s[12:13]
	s_and_saveexec_b64 s[12:13], s[8:9]
	s_cbranch_execnz .LBB303_484
	s_branch .LBB303_485
.LBB303_687:                            ;   in Loop: Header=BB303_427 Depth=1
	v_cmp_eq_u16_sdwa s[26:27], v10, s15 src0_sel:BYTE_0 src1_sel:DWORD
	s_mov_b64 s[0:1], -1
                                        ; implicit-def: $sgpr20
	s_and_saveexec_b64 s[12:13], s[26:27]
; %bb.688:                              ;   in Loop: Header=BB303_427 Depth=1
	s_mov_b32 s20, 0x7fc02000
	s_xor_b64 s[0:1], exec, -1
; %bb.689:                              ;   in Loop: Header=BB303_427 Depth=1
	s_or_b64 exec, exec, s[12:13]
	s_and_b64 s[0:1], s[0:1], exec
	s_or_saveexec_b64 s[8:9], s[8:9]
	v_mov_b32_e32 v17, s20
	s_xor_b64 exec, exec, s[8:9]
	s_cbranch_execz .LBB303_487
.LBB303_690:                            ;   in Loop: Header=BB303_427 Depth=1
	v_cmp_ne_u16_sdwa s[12:13], v10, v11 src0_sel:BYTE_0 src1_sel:DWORD
	s_andn2_b64 s[0:1], s[0:1], exec
	s_and_b64 s[12:13], s[12:13], exec
	v_mov_b32_e32 v17, 0
	s_or_b64 s[0:1], s[0:1], s[12:13]
	s_or_b64 exec, exec, s[8:9]
	s_and_saveexec_b64 s[8:9], s[0:1]
	s_cbranch_execnz .LBB303_488
	s_branch .LBB303_489
.LBB303_691:                            ;   in Loop: Header=BB303_427 Depth=1
	v_cmp_eq_u16_e64 s[0:1], s15, v10
	s_mov_b64 s[8:9], -1
                                        ; implicit-def: $sgpr26
	s_and_saveexec_b64 s[20:21], s[0:1]
; %bb.692:                              ;   in Loop: Header=BB303_427 Depth=1
	s_mov_b32 s26, 0x7fc02000
	s_xor_b64 s[8:9], exec, -1
; %bb.693:                              ;   in Loop: Header=BB303_427 Depth=1
	s_or_b64 exec, exec, s[20:21]
	s_and_b64 s[8:9], s[8:9], exec
	s_or_saveexec_b64 s[12:13], s[12:13]
	v_mov_b32_e32 v24, s26
	s_xor_b64 exec, exec, s[12:13]
	s_cbranch_execz .LBB303_491
.LBB303_694:                            ;   in Loop: Header=BB303_427 Depth=1
	v_cmp_ne_u16_e64 s[0:1], 0, v10
	s_andn2_b64 s[8:9], s[8:9], exec
	s_and_b64 s[0:1], s[0:1], exec
	v_mov_b32_e32 v24, 0
	s_or_b64 s[8:9], s[8:9], s[0:1]
	s_or_b64 exec, exec, s[12:13]
	s_and_saveexec_b64 s[12:13], s[8:9]
	s_cbranch_execnz .LBB303_492
	s_branch .LBB303_493
.LBB303_695:                            ;   in Loop: Header=BB303_427 Depth=1
	v_cmp_eq_u16_sdwa s[26:27], v24, s15 src0_sel:BYTE_0 src1_sel:DWORD
	s_mov_b64 s[0:1], -1
                                        ; implicit-def: $sgpr20
	s_and_saveexec_b64 s[12:13], s[26:27]
; %bb.696:                              ;   in Loop: Header=BB303_427 Depth=1
	s_mov_b32 s20, 0x7fc02000
	s_xor_b64 s[0:1], exec, -1
; %bb.697:                              ;   in Loop: Header=BB303_427 Depth=1
	s_or_b64 exec, exec, s[12:13]
	s_and_b64 s[0:1], s[0:1], exec
	s_or_saveexec_b64 s[8:9], s[8:9]
	v_mov_b32_e32 v28, s20
	s_xor_b64 exec, exec, s[8:9]
	s_cbranch_execz .LBB303_497
.LBB303_698:                            ;   in Loop: Header=BB303_427 Depth=1
	v_cmp_ne_u16_sdwa s[12:13], v24, v11 src0_sel:BYTE_0 src1_sel:DWORD
	s_andn2_b64 s[0:1], s[0:1], exec
	s_and_b64 s[12:13], s[12:13], exec
	v_mov_b32_e32 v28, 0
	s_or_b64 s[0:1], s[0:1], s[12:13]
	s_or_b64 exec, exec, s[8:9]
	s_and_saveexec_b64 s[8:9], s[0:1]
	s_cbranch_execnz .LBB303_498
	s_branch .LBB303_499
.LBB303_699:                            ;   in Loop: Header=BB303_427 Depth=1
	v_cmp_eq_u16_e64 s[0:1], s15, v10
	s_mov_b64 s[8:9], -1
                                        ; implicit-def: $sgpr26
	s_and_saveexec_b64 s[20:21], s[0:1]
; %bb.700:                              ;   in Loop: Header=BB303_427 Depth=1
	s_mov_b32 s26, 0x7fc02000
	s_xor_b64 s[8:9], exec, -1
; %bb.701:                              ;   in Loop: Header=BB303_427 Depth=1
	s_or_b64 exec, exec, s[20:21]
	s_and_b64 s[8:9], s[8:9], exec
	s_or_saveexec_b64 s[12:13], s[12:13]
	v_mov_b32_e32 v30, s26
	s_xor_b64 exec, exec, s[12:13]
	s_cbranch_execz .LBB303_501
.LBB303_702:                            ;   in Loop: Header=BB303_427 Depth=1
	v_cmp_ne_u16_e64 s[0:1], 0, v10
	s_andn2_b64 s[8:9], s[8:9], exec
	s_and_b64 s[0:1], s[0:1], exec
	v_mov_b32_e32 v30, 0
	s_or_b64 s[8:9], s[8:9], s[0:1]
	s_or_b64 exec, exec, s[12:13]
	s_and_saveexec_b64 s[12:13], s[8:9]
	s_cbranch_execnz .LBB303_502
	s_branch .LBB303_503
.LBB303_703:                            ;   in Loop: Header=BB303_427 Depth=1
	v_cmp_eq_u16_sdwa s[26:27], v10, s15 src0_sel:BYTE_0 src1_sel:DWORD
	s_mov_b64 s[0:1], -1
                                        ; implicit-def: $sgpr20
	s_and_saveexec_b64 s[12:13], s[26:27]
; %bb.704:                              ;   in Loop: Header=BB303_427 Depth=1
	s_mov_b32 s20, 0x7fc02000
	s_xor_b64 s[0:1], exec, -1
; %bb.705:                              ;   in Loop: Header=BB303_427 Depth=1
	s_or_b64 exec, exec, s[12:13]
	s_and_b64 s[0:1], s[0:1], exec
	s_or_saveexec_b64 s[8:9], s[8:9]
	v_mov_b32_e32 v29, s20
	s_xor_b64 exec, exec, s[8:9]
	s_cbranch_execz .LBB303_505
.LBB303_706:                            ;   in Loop: Header=BB303_427 Depth=1
	v_cmp_ne_u16_sdwa s[12:13], v10, v11 src0_sel:BYTE_0 src1_sel:DWORD
	s_andn2_b64 s[0:1], s[0:1], exec
	s_and_b64 s[12:13], s[12:13], exec
	v_mov_b32_e32 v29, 0
	s_or_b64 s[0:1], s[0:1], s[12:13]
	s_or_b64 exec, exec, s[8:9]
	s_and_saveexec_b64 s[8:9], s[0:1]
	s_cbranch_execnz .LBB303_506
	s_branch .LBB303_507
.LBB303_707:                            ;   in Loop: Header=BB303_427 Depth=1
	v_cmp_eq_u16_e64 s[0:1], s15, v10
	s_mov_b64 s[8:9], -1
                                        ; implicit-def: $sgpr26
	s_and_saveexec_b64 s[20:21], s[0:1]
; %bb.708:                              ;   in Loop: Header=BB303_427 Depth=1
	s_mov_b32 s26, 0x7fc02000
	s_xor_b64 s[8:9], exec, -1
; %bb.709:                              ;   in Loop: Header=BB303_427 Depth=1
	s_or_b64 exec, exec, s[20:21]
	s_and_b64 s[8:9], s[8:9], exec
	s_or_saveexec_b64 s[12:13], s[12:13]
	v_mov_b32_e32 v31, s26
	s_xor_b64 exec, exec, s[12:13]
	s_cbranch_execz .LBB303_509
.LBB303_710:                            ;   in Loop: Header=BB303_427 Depth=1
	v_cmp_ne_u16_e64 s[0:1], 0, v10
	s_andn2_b64 s[8:9], s[8:9], exec
	s_and_b64 s[0:1], s[0:1], exec
	v_mov_b32_e32 v31, 0
	s_or_b64 s[8:9], s[8:9], s[0:1]
	s_or_b64 exec, exec, s[12:13]
	s_and_saveexec_b64 s[12:13], s[8:9]
	s_cbranch_execnz .LBB303_510
	s_branch .LBB303_511
.LBB303_711:                            ;   in Loop: Header=BB303_427 Depth=1
	v_cmp_eq_u16_sdwa s[26:27], v25, s15 src0_sel:BYTE_0 src1_sel:DWORD
	s_mov_b64 s[0:1], -1
                                        ; implicit-def: $sgpr20
	s_and_saveexec_b64 s[12:13], s[26:27]
; %bb.712:                              ;   in Loop: Header=BB303_427 Depth=1
	s_mov_b32 s20, 0x7fc02000
	s_xor_b64 s[0:1], exec, -1
; %bb.713:                              ;   in Loop: Header=BB303_427 Depth=1
	s_or_b64 exec, exec, s[12:13]
	s_and_b64 s[0:1], s[0:1], exec
	s_or_saveexec_b64 s[8:9], s[8:9]
	v_mov_b32_e32 v4, s20
	s_xor_b64 exec, exec, s[8:9]
	s_cbranch_execz .LBB303_513
.LBB303_714:                            ;   in Loop: Header=BB303_427 Depth=1
	v_cmp_ne_u16_sdwa s[12:13], v25, v11 src0_sel:BYTE_0 src1_sel:DWORD
	s_andn2_b64 s[0:1], s[0:1], exec
	s_and_b64 s[12:13], s[12:13], exec
	v_mov_b32_e32 v4, 0
	s_or_b64 s[0:1], s[0:1], s[12:13]
	s_or_b64 exec, exec, s[8:9]
	v_mov_b32_e32 v10, v25
	s_and_saveexec_b64 s[8:9], s[0:1]
	s_cbranch_execnz .LBB303_514
	s_branch .LBB303_515
.LBB303_715:                            ;   in Loop: Header=BB303_427 Depth=1
	v_cmp_eq_u16_e64 s[0:1], s15, v10
	s_mov_b64 s[8:9], -1
                                        ; implicit-def: $sgpr26
	s_and_saveexec_b64 s[20:21], s[0:1]
; %bb.716:                              ;   in Loop: Header=BB303_427 Depth=1
	s_mov_b32 s26, 0x7fc02000
	s_xor_b64 s[8:9], exec, -1
; %bb.717:                              ;   in Loop: Header=BB303_427 Depth=1
	s_or_b64 exec, exec, s[20:21]
	s_and_b64 s[8:9], s[8:9], exec
	s_or_saveexec_b64 s[12:13], s[12:13]
	v_mov_b32_e32 v5, s26
	s_xor_b64 exec, exec, s[12:13]
	s_cbranch_execz .LBB303_517
.LBB303_718:                            ;   in Loop: Header=BB303_427 Depth=1
	v_cmp_ne_u16_e64 s[0:1], 0, v10
	s_andn2_b64 s[8:9], s[8:9], exec
	s_and_b64 s[0:1], s[0:1], exec
	v_mov_b32_e32 v5, 0
	s_or_b64 s[8:9], s[8:9], s[0:1]
	s_or_b64 exec, exec, s[12:13]
	s_and_saveexec_b64 s[12:13], s[8:9]
	s_cbranch_execnz .LBB303_518
	s_branch .LBB303_519
.LBB303_719:                            ;   in Loop: Header=BB303_427 Depth=1
	v_cmp_eq_u16_sdwa s[26:27], v10, s15 src0_sel:BYTE_0 src1_sel:DWORD
	s_mov_b64 s[0:1], -1
                                        ; implicit-def: $sgpr20
	s_and_saveexec_b64 s[12:13], s[26:27]
; %bb.720:                              ;   in Loop: Header=BB303_427 Depth=1
	s_mov_b32 s20, 0x7fc02000
	s_xor_b64 s[0:1], exec, -1
; %bb.721:                              ;   in Loop: Header=BB303_427 Depth=1
	s_or_b64 exec, exec, s[12:13]
	s_and_b64 s[0:1], s[0:1], exec
	s_or_saveexec_b64 s[8:9], s[8:9]
	v_mov_b32_e32 v17, s20
	s_xor_b64 exec, exec, s[8:9]
	s_cbranch_execz .LBB303_521
.LBB303_722:                            ;   in Loop: Header=BB303_427 Depth=1
	v_cmp_ne_u16_sdwa s[12:13], v10, v11 src0_sel:BYTE_0 src1_sel:DWORD
	s_andn2_b64 s[0:1], s[0:1], exec
	s_and_b64 s[12:13], s[12:13], exec
	v_mov_b32_e32 v17, 0
	s_or_b64 s[0:1], s[0:1], s[12:13]
	s_or_b64 exec, exec, s[8:9]
	s_and_saveexec_b64 s[8:9], s[0:1]
	s_cbranch_execnz .LBB303_522
	s_branch .LBB303_523
.LBB303_723:                            ;   in Loop: Header=BB303_427 Depth=1
	v_cmp_eq_u16_e64 s[0:1], s15, v10
	s_mov_b64 s[8:9], -1
                                        ; implicit-def: $sgpr26
	s_and_saveexec_b64 s[20:21], s[0:1]
; %bb.724:                              ;   in Loop: Header=BB303_427 Depth=1
	s_mov_b32 s26, 0x7fc02000
	s_xor_b64 s[8:9], exec, -1
; %bb.725:                              ;   in Loop: Header=BB303_427 Depth=1
	s_or_b64 exec, exec, s[20:21]
	s_and_b64 s[8:9], s[8:9], exec
	s_or_saveexec_b64 s[12:13], s[12:13]
	v_mov_b32_e32 v24, s26
	s_xor_b64 exec, exec, s[12:13]
	s_cbranch_execz .LBB303_525
.LBB303_726:                            ;   in Loop: Header=BB303_427 Depth=1
	v_cmp_ne_u16_e64 s[0:1], 0, v10
	s_andn2_b64 s[8:9], s[8:9], exec
	s_and_b64 s[0:1], s[0:1], exec
	v_mov_b32_e32 v24, 0
	s_or_b64 s[8:9], s[8:9], s[0:1]
	s_or_b64 exec, exec, s[12:13]
	s_and_saveexec_b64 s[12:13], s[8:9]
	s_cbranch_execnz .LBB303_526
	s_branch .LBB303_527
.LBB303_727:                            ;   in Loop: Header=BB303_427 Depth=1
	v_cmp_eq_u16_sdwa s[26:27], v24, s15 src0_sel:BYTE_0 src1_sel:DWORD
	s_mov_b64 s[0:1], -1
                                        ; implicit-def: $sgpr20
	s_and_saveexec_b64 s[12:13], s[26:27]
; %bb.728:                              ;   in Loop: Header=BB303_427 Depth=1
	s_mov_b32 s20, 0x7fc02000
	s_xor_b64 s[0:1], exec, -1
; %bb.729:                              ;   in Loop: Header=BB303_427 Depth=1
	s_or_b64 exec, exec, s[12:13]
	s_and_b64 s[0:1], s[0:1], exec
	s_or_saveexec_b64 s[8:9], s[8:9]
	v_mov_b32_e32 v28, s20
	s_xor_b64 exec, exec, s[8:9]
	s_cbranch_execz .LBB303_531
.LBB303_730:                            ;   in Loop: Header=BB303_427 Depth=1
	v_cmp_ne_u16_sdwa s[12:13], v24, v11 src0_sel:BYTE_0 src1_sel:DWORD
	s_andn2_b64 s[0:1], s[0:1], exec
	s_and_b64 s[12:13], s[12:13], exec
	v_mov_b32_e32 v28, 0
	s_or_b64 s[0:1], s[0:1], s[12:13]
	s_or_b64 exec, exec, s[8:9]
	s_and_saveexec_b64 s[8:9], s[0:1]
	s_cbranch_execnz .LBB303_532
	s_branch .LBB303_533
.LBB303_731:                            ;   in Loop: Header=BB303_427 Depth=1
	v_cmp_eq_u16_e64 s[0:1], s15, v10
	s_mov_b64 s[8:9], -1
                                        ; implicit-def: $sgpr26
	s_and_saveexec_b64 s[20:21], s[0:1]
; %bb.732:                              ;   in Loop: Header=BB303_427 Depth=1
	s_mov_b32 s26, 0x7fc02000
	s_xor_b64 s[8:9], exec, -1
; %bb.733:                              ;   in Loop: Header=BB303_427 Depth=1
	s_or_b64 exec, exec, s[20:21]
	s_and_b64 s[8:9], s[8:9], exec
	s_or_saveexec_b64 s[12:13], s[12:13]
	v_mov_b32_e32 v30, s26
	s_xor_b64 exec, exec, s[12:13]
	s_cbranch_execz .LBB303_535
.LBB303_734:                            ;   in Loop: Header=BB303_427 Depth=1
	v_cmp_ne_u16_e64 s[0:1], 0, v10
	s_andn2_b64 s[8:9], s[8:9], exec
	s_and_b64 s[0:1], s[0:1], exec
	v_mov_b32_e32 v30, 0
	s_or_b64 s[8:9], s[8:9], s[0:1]
	s_or_b64 exec, exec, s[12:13]
	s_and_saveexec_b64 s[12:13], s[8:9]
	s_cbranch_execnz .LBB303_536
	s_branch .LBB303_537
.LBB303_735:                            ;   in Loop: Header=BB303_427 Depth=1
	v_cmp_eq_u16_sdwa s[26:27], v10, s15 src0_sel:BYTE_0 src1_sel:DWORD
	s_mov_b64 s[0:1], -1
                                        ; implicit-def: $sgpr20
	s_and_saveexec_b64 s[12:13], s[26:27]
; %bb.736:                              ;   in Loop: Header=BB303_427 Depth=1
	s_mov_b32 s20, 0x7fc02000
	s_xor_b64 s[0:1], exec, -1
; %bb.737:                              ;   in Loop: Header=BB303_427 Depth=1
	s_or_b64 exec, exec, s[12:13]
	s_and_b64 s[0:1], s[0:1], exec
	s_or_saveexec_b64 s[8:9], s[8:9]
	v_mov_b32_e32 v29, s20
	s_xor_b64 exec, exec, s[8:9]
	s_cbranch_execz .LBB303_539
.LBB303_738:                            ;   in Loop: Header=BB303_427 Depth=1
	v_cmp_ne_u16_sdwa s[12:13], v10, v11 src0_sel:BYTE_0 src1_sel:DWORD
	s_andn2_b64 s[0:1], s[0:1], exec
	s_and_b64 s[12:13], s[12:13], exec
	v_mov_b32_e32 v29, 0
	s_or_b64 s[0:1], s[0:1], s[12:13]
	s_or_b64 exec, exec, s[8:9]
	s_and_saveexec_b64 s[8:9], s[0:1]
	s_cbranch_execnz .LBB303_540
	s_branch .LBB303_541
.LBB303_739:                            ;   in Loop: Header=BB303_427 Depth=1
	v_cmp_eq_u16_e64 s[0:1], s15, v10
	s_mov_b64 s[8:9], -1
                                        ; implicit-def: $sgpr26
	s_and_saveexec_b64 s[20:21], s[0:1]
; %bb.740:                              ;   in Loop: Header=BB303_427 Depth=1
	s_mov_b32 s26, 0x7fc02000
	s_xor_b64 s[8:9], exec, -1
; %bb.741:                              ;   in Loop: Header=BB303_427 Depth=1
	s_or_b64 exec, exec, s[20:21]
	s_and_b64 s[8:9], s[8:9], exec
	s_or_saveexec_b64 s[12:13], s[12:13]
	v_mov_b32_e32 v31, s26
	s_xor_b64 exec, exec, s[12:13]
	s_cbranch_execz .LBB303_543
.LBB303_742:                            ;   in Loop: Header=BB303_427 Depth=1
	v_cmp_ne_u16_e64 s[0:1], 0, v10
	s_andn2_b64 s[8:9], s[8:9], exec
	s_and_b64 s[0:1], s[0:1], exec
	v_mov_b32_e32 v31, 0
	s_or_b64 s[8:9], s[8:9], s[0:1]
	s_or_b64 exec, exec, s[12:13]
	s_and_saveexec_b64 s[12:13], s[8:9]
	s_cbranch_execnz .LBB303_544
	s_branch .LBB303_545
.LBB303_743:                            ;   in Loop: Header=BB303_427 Depth=1
	v_cmp_eq_u16_sdwa s[26:27], v25, s15 src0_sel:BYTE_0 src1_sel:DWORD
	s_mov_b64 s[0:1], -1
                                        ; implicit-def: $sgpr20
	s_and_saveexec_b64 s[12:13], s[26:27]
; %bb.744:                              ;   in Loop: Header=BB303_427 Depth=1
	s_mov_b32 s20, 0x7fc02000
	s_xor_b64 s[0:1], exec, -1
; %bb.745:                              ;   in Loop: Header=BB303_427 Depth=1
	s_or_b64 exec, exec, s[12:13]
	s_and_b64 s[0:1], s[0:1], exec
	s_or_saveexec_b64 s[8:9], s[8:9]
	v_mov_b32_e32 v17, s20
	s_xor_b64 exec, exec, s[8:9]
	s_cbranch_execz .LBB303_547
.LBB303_746:                            ;   in Loop: Header=BB303_427 Depth=1
	v_cmp_ne_u16_sdwa s[12:13], v25, v11 src0_sel:BYTE_0 src1_sel:DWORD
	s_andn2_b64 s[0:1], s[0:1], exec
	s_and_b64 s[12:13], s[12:13], exec
	v_mov_b32_e32 v17, 0
	s_or_b64 s[0:1], s[0:1], s[12:13]
	s_or_b64 exec, exec, s[8:9]
	v_mov_b32_e32 v10, v25
	s_and_saveexec_b64 s[8:9], s[0:1]
	s_cbranch_execnz .LBB303_548
	s_branch .LBB303_549
.LBB303_747:                            ;   in Loop: Header=BB303_427 Depth=1
	v_cmp_eq_u16_e64 s[0:1], s15, v10
	s_mov_b64 s[8:9], -1
                                        ; implicit-def: $sgpr26
	s_and_saveexec_b64 s[20:21], s[0:1]
; %bb.748:                              ;   in Loop: Header=BB303_427 Depth=1
	s_mov_b32 s26, 0x7fc02000
	s_xor_b64 s[8:9], exec, -1
; %bb.749:                              ;   in Loop: Header=BB303_427 Depth=1
	s_or_b64 exec, exec, s[20:21]
	s_and_b64 s[8:9], s[8:9], exec
	s_or_saveexec_b64 s[12:13], s[12:13]
	v_mov_b32_e32 v22, s26
	s_xor_b64 exec, exec, s[12:13]
	s_cbranch_execz .LBB303_551
.LBB303_750:                            ;   in Loop: Header=BB303_427 Depth=1
	v_cmp_ne_u16_e64 s[0:1], 0, v10
	s_andn2_b64 s[8:9], s[8:9], exec
	s_and_b64 s[0:1], s[0:1], exec
	v_mov_b32_e32 v22, 0
	s_or_b64 s[8:9], s[8:9], s[0:1]
	s_or_b64 exec, exec, s[12:13]
	s_and_saveexec_b64 s[12:13], s[8:9]
	s_cbranch_execnz .LBB303_552
	s_branch .LBB303_553
.LBB303_751:                            ;   in Loop: Header=BB303_427 Depth=1
	v_cmp_eq_u16_sdwa s[26:27], v10, s15 src0_sel:BYTE_0 src1_sel:DWORD
	s_mov_b64 s[0:1], -1
                                        ; implicit-def: $sgpr20
	s_and_saveexec_b64 s[12:13], s[26:27]
; %bb.752:                              ;   in Loop: Header=BB303_427 Depth=1
	s_mov_b32 s20, 0x7fc02000
	s_xor_b64 s[0:1], exec, -1
; %bb.753:                              ;   in Loop: Header=BB303_427 Depth=1
	s_or_b64 exec, exec, s[12:13]
	s_and_b64 s[0:1], s[0:1], exec
	s_or_saveexec_b64 s[8:9], s[8:9]
	v_mov_b32_e32 v24, s20
	s_xor_b64 exec, exec, s[8:9]
	s_cbranch_execz .LBB303_555
.LBB303_754:                            ;   in Loop: Header=BB303_427 Depth=1
	v_cmp_ne_u16_sdwa s[12:13], v10, v11 src0_sel:BYTE_0 src1_sel:DWORD
	s_andn2_b64 s[0:1], s[0:1], exec
	s_and_b64 s[12:13], s[12:13], exec
	v_mov_b32_e32 v24, 0
	s_or_b64 s[0:1], s[0:1], s[12:13]
	s_or_b64 exec, exec, s[8:9]
	s_and_saveexec_b64 s[8:9], s[0:1]
	s_cbranch_execnz .LBB303_556
	s_branch .LBB303_557
.LBB303_755:                            ;   in Loop: Header=BB303_427 Depth=1
	v_cmp_eq_u16_e64 s[0:1], s15, v10
	s_mov_b64 s[8:9], -1
                                        ; implicit-def: $sgpr26
	s_and_saveexec_b64 s[20:21], s[0:1]
; %bb.756:                              ;   in Loop: Header=BB303_427 Depth=1
	s_mov_b32 s26, 0x7fc02000
	s_xor_b64 s[8:9], exec, -1
; %bb.757:                              ;   in Loop: Header=BB303_427 Depth=1
	s_or_b64 exec, exec, s[20:21]
	s_and_b64 s[8:9], s[8:9], exec
	s_or_saveexec_b64 s[12:13], s[12:13]
	v_mov_b32_e32 v26, s26
	s_xor_b64 exec, exec, s[12:13]
	s_cbranch_execz .LBB303_559
.LBB303_758:                            ;   in Loop: Header=BB303_427 Depth=1
	v_cmp_ne_u16_e64 s[0:1], 0, v10
	s_andn2_b64 s[8:9], s[8:9], exec
	s_and_b64 s[0:1], s[0:1], exec
	v_mov_b32_e32 v26, 0
	s_or_b64 s[8:9], s[8:9], s[0:1]
	s_or_b64 exec, exec, s[12:13]
	s_and_saveexec_b64 s[12:13], s[8:9]
	s_cbranch_execnz .LBB303_560
	s_branch .LBB303_561
.LBB303_759:                            ;   in Loop: Header=BB303_427 Depth=1
	v_cmp_eq_u16_sdwa s[26:27], v24, s15 src0_sel:BYTE_0 src1_sel:DWORD
	s_mov_b64 s[0:1], -1
                                        ; implicit-def: $sgpr20
	s_and_saveexec_b64 s[12:13], s[26:27]
; %bb.760:                              ;   in Loop: Header=BB303_427 Depth=1
	s_mov_b32 s20, 0x7fc02000
	s_xor_b64 s[0:1], exec, -1
; %bb.761:                              ;   in Loop: Header=BB303_427 Depth=1
	s_or_b64 exec, exec, s[12:13]
	s_and_b64 s[0:1], s[0:1], exec
	s_or_saveexec_b64 s[8:9], s[8:9]
	v_mov_b32_e32 v28, s20
	s_xor_b64 exec, exec, s[8:9]
	s_cbranch_execz .LBB303_565
.LBB303_762:                            ;   in Loop: Header=BB303_427 Depth=1
	v_cmp_ne_u16_sdwa s[12:13], v24, v11 src0_sel:BYTE_0 src1_sel:DWORD
	s_andn2_b64 s[0:1], s[0:1], exec
	s_and_b64 s[12:13], s[12:13], exec
	v_mov_b32_e32 v28, 0
	s_or_b64 s[0:1], s[0:1], s[12:13]
	s_or_b64 exec, exec, s[8:9]
	s_and_saveexec_b64 s[8:9], s[0:1]
	s_cbranch_execnz .LBB303_566
	s_branch .LBB303_567
.LBB303_763:                            ;   in Loop: Header=BB303_427 Depth=1
	v_cmp_eq_u16_e64 s[0:1], s15, v10
	s_mov_b64 s[8:9], -1
                                        ; implicit-def: $sgpr26
	s_and_saveexec_b64 s[20:21], s[0:1]
; %bb.764:                              ;   in Loop: Header=BB303_427 Depth=1
	s_mov_b32 s26, 0x7fc02000
	s_xor_b64 s[8:9], exec, -1
; %bb.765:                              ;   in Loop: Header=BB303_427 Depth=1
	s_or_b64 exec, exec, s[20:21]
	s_and_b64 s[8:9], s[8:9], exec
	s_or_saveexec_b64 s[12:13], s[12:13]
	v_mov_b32_e32 v30, s26
	s_xor_b64 exec, exec, s[12:13]
	s_cbranch_execz .LBB303_569
.LBB303_766:                            ;   in Loop: Header=BB303_427 Depth=1
	v_cmp_ne_u16_e64 s[0:1], 0, v10
	s_andn2_b64 s[8:9], s[8:9], exec
	s_and_b64 s[0:1], s[0:1], exec
	v_mov_b32_e32 v30, 0
	s_or_b64 s[8:9], s[8:9], s[0:1]
	s_or_b64 exec, exec, s[12:13]
	s_and_saveexec_b64 s[12:13], s[8:9]
	s_cbranch_execnz .LBB303_570
	s_branch .LBB303_571
.LBB303_767:                            ;   in Loop: Header=BB303_427 Depth=1
	v_cmp_eq_u16_sdwa s[26:27], v10, s15 src0_sel:BYTE_0 src1_sel:DWORD
	s_mov_b64 s[0:1], -1
                                        ; implicit-def: $sgpr20
	s_and_saveexec_b64 s[12:13], s[26:27]
; %bb.768:                              ;   in Loop: Header=BB303_427 Depth=1
	s_mov_b32 s20, 0x7fc02000
	s_xor_b64 s[0:1], exec, -1
; %bb.769:                              ;   in Loop: Header=BB303_427 Depth=1
	s_or_b64 exec, exec, s[12:13]
	s_and_b64 s[0:1], s[0:1], exec
	s_or_saveexec_b64 s[8:9], s[8:9]
	v_mov_b32_e32 v29, s20
	s_xor_b64 exec, exec, s[8:9]
	s_cbranch_execz .LBB303_573
.LBB303_770:                            ;   in Loop: Header=BB303_427 Depth=1
	v_cmp_ne_u16_sdwa s[12:13], v10, v11 src0_sel:BYTE_0 src1_sel:DWORD
	s_andn2_b64 s[0:1], s[0:1], exec
	s_and_b64 s[12:13], s[12:13], exec
	v_mov_b32_e32 v29, 0
	s_or_b64 s[0:1], s[0:1], s[12:13]
	s_or_b64 exec, exec, s[8:9]
	s_and_saveexec_b64 s[8:9], s[0:1]
	s_cbranch_execnz .LBB303_574
	s_branch .LBB303_575
.LBB303_771:                            ;   in Loop: Header=BB303_427 Depth=1
	v_cmp_eq_u16_e64 s[0:1], s15, v10
	s_mov_b64 s[8:9], -1
                                        ; implicit-def: $sgpr26
	s_and_saveexec_b64 s[20:21], s[0:1]
; %bb.772:                              ;   in Loop: Header=BB303_427 Depth=1
	s_mov_b32 s26, 0x7fc02000
	s_xor_b64 s[8:9], exec, -1
; %bb.773:                              ;   in Loop: Header=BB303_427 Depth=1
	s_or_b64 exec, exec, s[20:21]
	s_and_b64 s[8:9], s[8:9], exec
	s_or_saveexec_b64 s[12:13], s[12:13]
	v_mov_b32_e32 v31, s26
	s_xor_b64 exec, exec, s[12:13]
	s_cbranch_execz .LBB303_577
.LBB303_774:                            ;   in Loop: Header=BB303_427 Depth=1
	v_cmp_ne_u16_e64 s[0:1], 0, v10
	s_andn2_b64 s[8:9], s[8:9], exec
	s_and_b64 s[0:1], s[0:1], exec
	v_mov_b32_e32 v31, 0
	s_or_b64 s[8:9], s[8:9], s[0:1]
	s_or_b64 exec, exec, s[12:13]
	s_and_saveexec_b64 s[12:13], s[8:9]
	s_cbranch_execnz .LBB303_578
	s_branch .LBB303_579
.LBB303_775:                            ;   in Loop: Header=BB303_427 Depth=1
	v_cmp_eq_u16_sdwa s[26:27], v25, s15 src0_sel:BYTE_0 src1_sel:DWORD
	s_mov_b64 s[0:1], -1
                                        ; implicit-def: $sgpr20
	s_and_saveexec_b64 s[12:13], s[26:27]
; %bb.776:                              ;   in Loop: Header=BB303_427 Depth=1
	s_mov_b32 s20, 0x7fc02000
	s_xor_b64 s[0:1], exec, -1
; %bb.777:                              ;   in Loop: Header=BB303_427 Depth=1
	s_or_b64 exec, exec, s[12:13]
	s_and_b64 s[0:1], s[0:1], exec
	s_or_saveexec_b64 s[8:9], s[8:9]
	v_mov_b32_e32 v22, s20
	s_xor_b64 exec, exec, s[8:9]
	s_cbranch_execz .LBB303_581
.LBB303_778:                            ;   in Loop: Header=BB303_427 Depth=1
	v_cmp_ne_u16_sdwa s[12:13], v25, v11 src0_sel:BYTE_0 src1_sel:DWORD
	s_andn2_b64 s[0:1], s[0:1], exec
	s_and_b64 s[12:13], s[12:13], exec
	v_mov_b32_e32 v22, 0
	s_or_b64 s[0:1], s[0:1], s[12:13]
	s_or_b64 exec, exec, s[8:9]
	v_mov_b32_e32 v10, v25
	s_and_saveexec_b64 s[8:9], s[0:1]
	s_cbranch_execnz .LBB303_582
	s_branch .LBB303_583
.LBB303_779:                            ;   in Loop: Header=BB303_427 Depth=1
	v_cmp_eq_u16_e64 s[0:1], s15, v10
	s_mov_b64 s[8:9], -1
                                        ; implicit-def: $sgpr26
	s_and_saveexec_b64 s[20:21], s[0:1]
; %bb.780:                              ;   in Loop: Header=BB303_427 Depth=1
	s_mov_b32 s26, 0x7fc02000
	s_xor_b64 s[8:9], exec, -1
; %bb.781:                              ;   in Loop: Header=BB303_427 Depth=1
	s_or_b64 exec, exec, s[20:21]
	s_and_b64 s[8:9], s[8:9], exec
	s_or_saveexec_b64 s[12:13], s[12:13]
	v_mov_b32_e32 v24, s26
	s_xor_b64 exec, exec, s[12:13]
	s_cbranch_execz .LBB303_585
.LBB303_782:                            ;   in Loop: Header=BB303_427 Depth=1
	v_cmp_ne_u16_e64 s[0:1], 0, v10
	s_andn2_b64 s[8:9], s[8:9], exec
	s_and_b64 s[0:1], s[0:1], exec
	v_mov_b32_e32 v24, 0
	s_or_b64 s[8:9], s[8:9], s[0:1]
	s_or_b64 exec, exec, s[12:13]
	s_and_saveexec_b64 s[12:13], s[8:9]
	s_cbranch_execnz .LBB303_586
	s_branch .LBB303_587
.LBB303_783:                            ;   in Loop: Header=BB303_427 Depth=1
	v_cmp_eq_u16_sdwa s[26:27], v10, s15 src0_sel:BYTE_0 src1_sel:DWORD
	s_mov_b64 s[0:1], -1
                                        ; implicit-def: $sgpr20
	s_and_saveexec_b64 s[12:13], s[26:27]
; %bb.784:                              ;   in Loop: Header=BB303_427 Depth=1
	s_mov_b32 s20, 0x7fc02000
	s_xor_b64 s[0:1], exec, -1
; %bb.785:                              ;   in Loop: Header=BB303_427 Depth=1
	s_or_b64 exec, exec, s[12:13]
	s_and_b64 s[0:1], s[0:1], exec
	s_or_saveexec_b64 s[8:9], s[8:9]
	v_mov_b32_e32 v26, s20
	s_xor_b64 exec, exec, s[8:9]
	s_cbranch_execz .LBB303_589
.LBB303_786:                            ;   in Loop: Header=BB303_427 Depth=1
	v_cmp_ne_u16_sdwa s[12:13], v10, v11 src0_sel:BYTE_0 src1_sel:DWORD
	s_andn2_b64 s[0:1], s[0:1], exec
	s_and_b64 s[12:13], s[12:13], exec
	v_mov_b32_e32 v26, 0
	s_or_b64 s[0:1], s[0:1], s[12:13]
	s_or_b64 exec, exec, s[8:9]
	s_and_saveexec_b64 s[8:9], s[0:1]
	s_cbranch_execnz .LBB303_590
	s_branch .LBB303_591
.LBB303_787:                            ;   in Loop: Header=BB303_427 Depth=1
	v_cmp_eq_u16_e64 s[0:1], s15, v10
	s_mov_b64 s[8:9], -1
                                        ; implicit-def: $sgpr26
	s_and_saveexec_b64 s[20:21], s[0:1]
; %bb.788:                              ;   in Loop: Header=BB303_427 Depth=1
	s_mov_b32 s26, 0x7fc02000
	s_xor_b64 s[8:9], exec, -1
; %bb.789:                              ;   in Loop: Header=BB303_427 Depth=1
	s_or_b64 exec, exec, s[20:21]
	s_and_b64 s[8:9], s[8:9], exec
	s_or_saveexec_b64 s[12:13], s[12:13]
	v_mov_b32_e32 v27, s26
	s_xor_b64 exec, exec, s[12:13]
	s_cbranch_execz .LBB303_593
.LBB303_790:                            ;   in Loop: Header=BB303_427 Depth=1
	v_cmp_ne_u16_e64 s[0:1], 0, v10
	s_andn2_b64 s[8:9], s[8:9], exec
	s_and_b64 s[0:1], s[0:1], exec
	v_mov_b32_e32 v27, 0
	s_or_b64 s[8:9], s[8:9], s[0:1]
	s_or_b64 exec, exec, s[12:13]
	s_and_saveexec_b64 s[12:13], s[8:9]
	s_cbranch_execnz .LBB303_594
	s_branch .LBB303_595
.LBB303_791:                            ;   in Loop: Header=BB303_427 Depth=1
	v_cmp_eq_u16_sdwa s[26:27], v18, s15 src0_sel:BYTE_0 src1_sel:DWORD
	s_mov_b64 s[0:1], -1
                                        ; implicit-def: $sgpr20
	s_and_saveexec_b64 s[12:13], s[26:27]
; %bb.792:                              ;   in Loop: Header=BB303_427 Depth=1
	s_mov_b32 s20, 0x7fc02000
	s_xor_b64 s[0:1], exec, -1
; %bb.793:                              ;   in Loop: Header=BB303_427 Depth=1
	s_or_b64 exec, exec, s[12:13]
	s_and_b64 s[0:1], s[0:1], exec
	s_or_saveexec_b64 s[8:9], s[8:9]
	v_mov_b32_e32 v24, s20
	s_xor_b64 exec, exec, s[8:9]
	s_cbranch_execz .LBB303_599
.LBB303_794:                            ;   in Loop: Header=BB303_427 Depth=1
	v_cmp_ne_u16_sdwa s[12:13], v18, v11 src0_sel:BYTE_0 src1_sel:DWORD
	s_andn2_b64 s[0:1], s[0:1], exec
	s_and_b64 s[12:13], s[12:13], exec
	v_mov_b32_e32 v24, 0
	s_or_b64 s[0:1], s[0:1], s[12:13]
	s_or_b64 exec, exec, s[8:9]
	s_and_saveexec_b64 s[8:9], s[0:1]
	s_cbranch_execnz .LBB303_600
	s_branch .LBB303_601
.LBB303_795:                            ;   in Loop: Header=BB303_427 Depth=1
	v_cmp_eq_u16_e64 s[0:1], s15, v10
	s_mov_b64 s[8:9], -1
                                        ; implicit-def: $sgpr26
	s_and_saveexec_b64 s[20:21], s[0:1]
; %bb.796:                              ;   in Loop: Header=BB303_427 Depth=1
	s_mov_b32 s26, 0x7fc02000
	s_xor_b64 s[8:9], exec, -1
; %bb.797:                              ;   in Loop: Header=BB303_427 Depth=1
	s_or_b64 exec, exec, s[20:21]
	s_and_b64 s[8:9], s[8:9], exec
	s_or_saveexec_b64 s[12:13], s[12:13]
	v_mov_b32_e32 v28, s26
	s_xor_b64 exec, exec, s[12:13]
	s_cbranch_execz .LBB303_603
.LBB303_798:                            ;   in Loop: Header=BB303_427 Depth=1
	v_cmp_ne_u16_e64 s[0:1], 0, v10
	s_andn2_b64 s[8:9], s[8:9], exec
	s_and_b64 s[0:1], s[0:1], exec
	v_mov_b32_e32 v28, 0
	s_or_b64 s[8:9], s[8:9], s[0:1]
	s_or_b64 exec, exec, s[12:13]
	s_and_saveexec_b64 s[12:13], s[8:9]
	s_cbranch_execnz .LBB303_604
	s_branch .LBB303_605
.LBB303_799:                            ;   in Loop: Header=BB303_427 Depth=1
	v_cmp_eq_u16_sdwa s[26:27], v10, s15 src0_sel:BYTE_0 src1_sel:DWORD
	s_mov_b64 s[0:1], -1
                                        ; implicit-def: $sgpr20
	s_and_saveexec_b64 s[12:13], s[26:27]
; %bb.800:                              ;   in Loop: Header=BB303_427 Depth=1
	s_mov_b32 s20, 0x7fc02000
	s_xor_b64 s[0:1], exec, -1
; %bb.801:                              ;   in Loop: Header=BB303_427 Depth=1
	s_or_b64 exec, exec, s[12:13]
	s_and_b64 s[0:1], s[0:1], exec
	s_or_saveexec_b64 s[8:9], s[8:9]
	v_mov_b32_e32 v25, s20
	s_xor_b64 exec, exec, s[8:9]
	s_cbranch_execz .LBB303_607
.LBB303_802:                            ;   in Loop: Header=BB303_427 Depth=1
	v_cmp_ne_u16_sdwa s[12:13], v10, v11 src0_sel:BYTE_0 src1_sel:DWORD
	s_andn2_b64 s[0:1], s[0:1], exec
	s_and_b64 s[12:13], s[12:13], exec
	v_mov_b32_e32 v25, 0
	s_or_b64 s[0:1], s[0:1], s[12:13]
	s_or_b64 exec, exec, s[8:9]
	s_and_saveexec_b64 s[8:9], s[0:1]
	s_cbranch_execnz .LBB303_608
	s_branch .LBB303_609
.LBB303_803:                            ;   in Loop: Header=BB303_427 Depth=1
	v_cmp_eq_u16_e64 s[0:1], s15, v10
	s_mov_b64 s[8:9], -1
                                        ; implicit-def: $sgpr26
	s_and_saveexec_b64 s[20:21], s[0:1]
; %bb.804:                              ;   in Loop: Header=BB303_427 Depth=1
	s_mov_b32 s26, 0x7fc02000
	s_xor_b64 s[8:9], exec, -1
; %bb.805:                              ;   in Loop: Header=BB303_427 Depth=1
	s_or_b64 exec, exec, s[20:21]
	s_and_b64 s[8:9], s[8:9], exec
	s_or_saveexec_b64 s[12:13], s[12:13]
	v_mov_b32_e32 v29, s26
	s_xor_b64 exec, exec, s[12:13]
	s_cbranch_execz .LBB303_611
.LBB303_806:                            ;   in Loop: Header=BB303_427 Depth=1
	v_cmp_ne_u16_e64 s[0:1], 0, v10
	s_andn2_b64 s[8:9], s[8:9], exec
	s_and_b64 s[0:1], s[0:1], exec
	v_mov_b32_e32 v29, 0
	s_or_b64 s[8:9], s[8:9], s[0:1]
	s_or_b64 exec, exec, s[12:13]
	s_and_saveexec_b64 s[12:13], s[8:9]
	s_cbranch_execnz .LBB303_612
	s_branch .LBB303_613
.LBB303_807:                            ;   in Loop: Header=BB303_427 Depth=1
	v_cmp_eq_u16_sdwa s[26:27], v19, s15 src0_sel:BYTE_0 src1_sel:DWORD
	s_mov_b64 s[0:1], -1
                                        ; implicit-def: $sgpr20
	s_and_saveexec_b64 s[12:13], s[26:27]
; %bb.808:                              ;   in Loop: Header=BB303_427 Depth=1
	s_mov_b32 s20, 0x7fc02000
	s_xor_b64 s[0:1], exec, -1
; %bb.809:                              ;   in Loop: Header=BB303_427 Depth=1
	s_or_b64 exec, exec, s[12:13]
	s_and_b64 s[0:1], s[0:1], exec
	s_or_saveexec_b64 s[8:9], s[8:9]
	v_mov_b32_e32 v18, s20
	s_xor_b64 exec, exec, s[8:9]
	s_cbranch_execz .LBB303_615
.LBB303_810:                            ;   in Loop: Header=BB303_427 Depth=1
	v_cmp_ne_u16_sdwa s[12:13], v19, v11 src0_sel:BYTE_0 src1_sel:DWORD
	s_andn2_b64 s[0:1], s[0:1], exec
	s_and_b64 s[12:13], s[12:13], exec
	v_mov_b32_e32 v18, 0
	s_or_b64 s[0:1], s[0:1], s[12:13]
	s_or_b64 exec, exec, s[8:9]
	v_mov_b32_e32 v10, v19
	s_and_saveexec_b64 s[8:9], s[0:1]
	s_cbranch_execnz .LBB303_616
	s_branch .LBB303_617
.LBB303_811:                            ;   in Loop: Header=BB303_427 Depth=1
	v_cmp_eq_u16_e64 s[0:1], s15, v10
	s_mov_b64 s[8:9], -1
                                        ; implicit-def: $sgpr26
	s_and_saveexec_b64 s[20:21], s[0:1]
; %bb.812:                              ;   in Loop: Header=BB303_427 Depth=1
	s_mov_b32 s26, 0x7fc02000
	s_xor_b64 s[8:9], exec, -1
; %bb.813:                              ;   in Loop: Header=BB303_427 Depth=1
	s_or_b64 exec, exec, s[20:21]
	s_and_b64 s[8:9], s[8:9], exec
	s_or_saveexec_b64 s[12:13], s[12:13]
	v_mov_b32_e32 v22, s26
	s_xor_b64 exec, exec, s[12:13]
	s_cbranch_execz .LBB303_619
.LBB303_814:                            ;   in Loop: Header=BB303_427 Depth=1
	v_cmp_ne_u16_e64 s[0:1], 0, v10
	s_andn2_b64 s[8:9], s[8:9], exec
	s_and_b64 s[0:1], s[0:1], exec
	v_mov_b32_e32 v22, 0
	s_or_b64 s[8:9], s[8:9], s[0:1]
	s_or_b64 exec, exec, s[12:13]
	s_and_saveexec_b64 s[12:13], s[8:9]
	s_cbranch_execnz .LBB303_620
	s_branch .LBB303_621
.LBB303_815:                            ;   in Loop: Header=BB303_427 Depth=1
	v_cmp_eq_u16_sdwa s[26:27], v10, s15 src0_sel:BYTE_0 src1_sel:DWORD
	s_mov_b64 s[0:1], -1
                                        ; implicit-def: $sgpr20
	s_and_saveexec_b64 s[12:13], s[26:27]
; %bb.816:                              ;   in Loop: Header=BB303_427 Depth=1
	s_mov_b32 s20, 0x7fc02000
	s_xor_b64 s[0:1], exec, -1
; %bb.817:                              ;   in Loop: Header=BB303_427 Depth=1
	s_or_b64 exec, exec, s[12:13]
	s_and_b64 s[0:1], s[0:1], exec
	s_or_saveexec_b64 s[8:9], s[8:9]
	v_mov_b32_e32 v26, s20
	s_xor_b64 exec, exec, s[8:9]
	s_cbranch_execz .LBB303_623
.LBB303_818:                            ;   in Loop: Header=BB303_427 Depth=1
	v_cmp_ne_u16_sdwa s[12:13], v10, v11 src0_sel:BYTE_0 src1_sel:DWORD
	s_andn2_b64 s[0:1], s[0:1], exec
	s_and_b64 s[12:13], s[12:13], exec
	v_mov_b32_e32 v26, 0
	s_or_b64 s[0:1], s[0:1], s[12:13]
	s_or_b64 exec, exec, s[8:9]
	s_and_saveexec_b64 s[8:9], s[0:1]
	s_cbranch_execnz .LBB303_624
	s_branch .LBB303_625
.LBB303_819:                            ;   in Loop: Header=BB303_427 Depth=1
	v_cmp_eq_u16_e64 s[0:1], s15, v10
	s_mov_b64 s[8:9], -1
                                        ; implicit-def: $sgpr26
	s_and_saveexec_b64 s[20:21], s[0:1]
; %bb.820:                              ;   in Loop: Header=BB303_427 Depth=1
	s_mov_b32 s26, 0x7fc02000
	s_xor_b64 s[8:9], exec, -1
; %bb.821:                              ;   in Loop: Header=BB303_427 Depth=1
	s_or_b64 exec, exec, s[20:21]
	s_and_b64 s[8:9], s[8:9], exec
	s_or_saveexec_b64 s[12:13], s[12:13]
	v_mov_b32_e32 v27, s26
	s_xor_b64 exec, exec, s[12:13]
	s_cbranch_execz .LBB303_627
.LBB303_822:                            ;   in Loop: Header=BB303_427 Depth=1
	v_cmp_ne_u16_e64 s[0:1], 0, v10
	s_andn2_b64 s[8:9], s[8:9], exec
	s_and_b64 s[0:1], s[0:1], exec
	v_mov_b32_e32 v27, 0
	s_or_b64 s[8:9], s[8:9], s[0:1]
	s_or_b64 exec, exec, s[12:13]
	s_and_saveexec_b64 s[12:13], s[8:9]
	s_cbranch_execnz .LBB303_628
	s_branch .LBB303_629
.LBB303_823:
	s_or_b64 exec, exec, s[6:7]
.LBB303_824:
	s_or_b64 exec, exec, s[4:5]
	ds_bpermute_b32 v4, v32, v8
	ds_bpermute_b32 v5, v32, v9
	ds_bpermute_b32 v6, v32, v2
	ds_bpermute_b32 v7, v32, v3
	ds_bpermute_b32 v10, v32, v0
	ds_bpermute_b32 v11, v32, v1
	s_waitcnt lgkmcnt(0)
	v_pk_add_f32 v[4:5], v[8:9], v[4:5]
	ds_bpermute_b32 v8, v33, v4
	ds_bpermute_b32 v9, v33, v5
	v_pk_add_f32 v[2:3], v[2:3], v[6:7]
	v_pk_add_f32 v[0:1], v[0:1], v[10:11]
	ds_bpermute_b32 v12, v33, v2
	ds_bpermute_b32 v13, v33, v3
	;; [unrolled: 1-line block ×4, first 2 shown]
	s_waitcnt lgkmcnt(0)
	v_pk_add_f32 v[6:7], v[4:5], v[8:9]
	v_accvgpr_read_b32 v4, a2
	v_and_b32_e32 v4, 0x3c3, v4
	v_pk_add_f32 v[2:3], v[2:3], v[12:13]
	v_pk_add_f32 v[0:1], v[0:1], v[10:11]
	v_cmp_eq_u32_e32 vcc, 64, v4
	s_barrier
	s_and_saveexec_b64 s[0:1], vcc
	s_cbranch_execz .LBB303_826
; %bb.825:
	s_ashr_i32 s17, s16, 31
	s_lshl_b64 s[4:5], s[16:17], 2
	s_getpc_b64 s[6:7]
	s_add_u32 s6, s6, llvm.amdgcn.dynlds.offset.table@rel32@lo+4
	s_addc_u32 s7, s7, llvm.amdgcn.dynlds.offset.table@rel32@hi+12
	s_add_u32 s4, s4, s6
	s_addc_u32 s5, s5, s7
	s_load_dword s3, s[4:5], 0x0
	s_waitcnt lgkmcnt(0)
	v_add_u32_e32 v5, s3, v23
	ds_write2_b32 v5, v6, v7 offset1:16
	ds_write2_b32 v5, v2, v3 offset0:32 offset1:48
	ds_write2_b32 v5, v0, v1 offset0:64 offset1:80
.LBB303_826:
	s_or_b64 exec, exec, s[0:1]
	v_accvgpr_read_b32 v5, a2
	s_waitcnt lgkmcnt(0)
	s_barrier
	v_cmp_gt_u32_e32 vcc, 64, v5
	s_mov_b64 s[0:1], exec
	v_accvgpr_read_b32 v11, a1
	s_and_b64 s[4:5], s[0:1], vcc
	v_accvgpr_read_b32 v10, a0
	s_mov_b64 exec, s[4:5]
	s_cbranch_execz .LBB303_835
; %bb.827:
	v_accvgpr_read_b32 v5, a2
	v_cmp_eq_u32_e32 vcc, 0, v34
	v_lshrrev_b32_e32 v5, 2, v5
	s_and_saveexec_b64 s[4:5], vcc
	s_cbranch_execnz .LBB303_838
; %bb.828:
	s_or_b64 exec, exec, s[4:5]
	s_and_saveexec_b64 s[4:5], vcc
	s_cbranch_execnz .LBB303_839
.LBB303_829:
	s_or_b64 exec, exec, s[4:5]
	s_and_saveexec_b64 s[4:5], vcc
	s_cbranch_execnz .LBB303_840
.LBB303_830:
	s_or_b64 exec, exec, s[4:5]
	s_and_saveexec_b64 s[4:5], vcc
	s_cbranch_execnz .LBB303_841
.LBB303_831:
	s_or_b64 exec, exec, s[4:5]
	s_and_saveexec_b64 s[4:5], vcc
	s_cbranch_execnz .LBB303_842
.LBB303_832:
	s_or_b64 exec, exec, s[4:5]
	s_and_saveexec_b64 s[4:5], vcc
	s_cbranch_execz .LBB303_834
.LBB303_833:
	s_ashr_i32 s17, s16, 31
	s_lshl_b64 s[6:7], s[16:17], 2
	s_getpc_b64 s[8:9]
	s_add_u32 s8, s8, llvm.amdgcn.dynlds.offset.table@rel32@lo+4
	s_addc_u32 s9, s9, llvm.amdgcn.dynlds.offset.table@rel32@hi+12
	s_add_u32 s6, s6, s8
	s_addc_u32 s7, s7, s9
	s_load_dword s3, s[6:7], 0x0
	s_waitcnt lgkmcnt(0)
	v_lshl_add_u32 v5, v5, 2, s3
	ds_read_b32 v5, v5 offset:320
	s_waitcnt lgkmcnt(0)
	v_add_f32_e32 v1, v1, v5
.LBB303_834:
	s_or_b64 exec, exec, s[4:5]
.LBB303_835:
	s_or_b64 exec, exec, s[0:1]
	v_cmp_eq_u32_e32 vcc, 0, v4
	s_barrier
	s_and_b64 exec, exec, vcc
	s_cbranch_execz .LBB303_837
; %bb.836:
	s_mul_i32 s0, s2, 0x60
	s_mul_i32 s2, s18, s19
	;; [unrolled: 1-line block ×3, first 2 shown]
	s_ashr_i32 s1, s0, 31
	s_ashr_i32 s3, s2, 31
	;; [unrolled: 1-line block ×3, first 2 shown]
	s_lshl_b64 s[0:1], s[0:1], 1
	s_lshl_b64 s[2:3], s[2:3], 1
	;; [unrolled: 1-line block ×3, first 2 shown]
	s_add_u32 s2, s4, s2
	s_addc_u32 s3, s5, s3
	s_add_u32 s0, s2, s0
	s_addc_u32 s1, s3, s1
	v_accvgpr_read_b32 v8, a2
	v_lshl_add_u64 v[4:5], s[0:1], 0, v[10:11]
	v_lshrrev_b32_e32 v8, 1, v8
	v_mov_b32_e32 v9, 0
	v_lshl_add_u64 v[4:5], v[4:5], 0, v[8:9]
	;;#ASMSTART
	v_cvt_f16_f32 v6, v6;

	;;#ASMEND
	flat_store_short v[4:5], v6
	;;#ASMSTART
	v_cvt_f16_f32 v6, v7;

	;;#ASMEND
	flat_store_short v[4:5], v6 offset:32
	;;#ASMSTART
	v_cvt_f16_f32 v2, v2;

	;;#ASMEND
	flat_store_short v[4:5], v2 offset:64
	;; [unrolled: 5-line block ×5, first 2 shown]
.LBB303_837:
	s_or_b64 exec, exec, s[10:11]
	scratch_load_dword a39, off, s32        ; 4-byte Folded Reload
	scratch_load_dword a38, off, s32 offset:4 ; 4-byte Folded Reload
	scratch_load_dword a37, off, s32 offset:8 ; 4-byte Folded Reload
	;; [unrolled: 1-line block ×22, first 2 shown]
	v_readlane_b32 s30, v63, 4
	v_readlane_b32 s31, v63, 5
	;; [unrolled: 1-line block ×6, first 2 shown]
	s_or_saveexec_b64 s[0:1], -1
	scratch_load_dword v63, off, s32 offset:100 ; 4-byte Folded Reload
	s_mov_b64 exec, s[0:1]
	s_waitcnt vmcnt(0) lgkmcnt(0)
	s_setpc_b64 s[30:31]
.LBB303_838:
	s_ashr_i32 s17, s16, 31
	s_lshl_b64 s[6:7], s[16:17], 2
	s_getpc_b64 s[8:9]
	s_add_u32 s8, s8, llvm.amdgcn.dynlds.offset.table@rel32@lo+4
	s_addc_u32 s9, s9, llvm.amdgcn.dynlds.offset.table@rel32@hi+12
	s_add_u32 s6, s6, s8
	s_addc_u32 s7, s7, s9
	s_load_dword s3, s[6:7], 0x0
	s_waitcnt lgkmcnt(0)
	v_lshl_add_u32 v8, v5, 2, s3
	ds_read_b32 v8, v8
	s_waitcnt lgkmcnt(0)
	v_add_f32_e32 v6, v6, v8
	s_or_b64 exec, exec, s[4:5]
	s_and_saveexec_b64 s[4:5], vcc
	s_cbranch_execz .LBB303_829
.LBB303_839:
	s_ashr_i32 s17, s16, 31
	s_lshl_b64 s[6:7], s[16:17], 2
	s_getpc_b64 s[8:9]
	s_add_u32 s8, s8, llvm.amdgcn.dynlds.offset.table@rel32@lo+4
	s_addc_u32 s9, s9, llvm.amdgcn.dynlds.offset.table@rel32@hi+12
	s_add_u32 s6, s6, s8
	s_addc_u32 s7, s7, s9
	s_load_dword s3, s[6:7], 0x0
	s_waitcnt lgkmcnt(0)
	v_lshl_add_u32 v8, v5, 2, s3
	ds_read_b32 v8, v8 offset:64
	s_waitcnt lgkmcnt(0)
	v_add_f32_e32 v7, v7, v8
	s_or_b64 exec, exec, s[4:5]
	s_and_saveexec_b64 s[4:5], vcc
	s_cbranch_execz .LBB303_830
.LBB303_840:
	s_ashr_i32 s17, s16, 31
	s_lshl_b64 s[6:7], s[16:17], 2
	s_getpc_b64 s[8:9]
	s_add_u32 s8, s8, llvm.amdgcn.dynlds.offset.table@rel32@lo+4
	s_addc_u32 s9, s9, llvm.amdgcn.dynlds.offset.table@rel32@hi+12
	s_add_u32 s6, s6, s8
	s_addc_u32 s7, s7, s9
	s_load_dword s3, s[6:7], 0x0
	s_waitcnt lgkmcnt(0)
	v_lshl_add_u32 v8, v5, 2, s3
	ds_read_b32 v8, v8 offset:128
	s_waitcnt lgkmcnt(0)
	v_add_f32_e32 v2, v2, v8
	s_or_b64 exec, exec, s[4:5]
	s_and_saveexec_b64 s[4:5], vcc
	s_cbranch_execz .LBB303_831
.LBB303_841:
	s_ashr_i32 s17, s16, 31
	s_lshl_b64 s[6:7], s[16:17], 2
	s_getpc_b64 s[8:9]
	s_add_u32 s8, s8, llvm.amdgcn.dynlds.offset.table@rel32@lo+4
	s_addc_u32 s9, s9, llvm.amdgcn.dynlds.offset.table@rel32@hi+12
	s_add_u32 s6, s6, s8
	s_addc_u32 s7, s7, s9
	s_load_dword s3, s[6:7], 0x0
	s_waitcnt lgkmcnt(0)
	v_lshl_add_u32 v8, v5, 2, s3
	ds_read_b32 v8, v8 offset:192
	s_waitcnt lgkmcnt(0)
	v_add_f32_e32 v3, v3, v8
	s_or_b64 exec, exec, s[4:5]
	s_and_saveexec_b64 s[4:5], vcc
	s_cbranch_execz .LBB303_832
.LBB303_842:
	s_ashr_i32 s17, s16, 31
	s_lshl_b64 s[6:7], s[16:17], 2
	s_getpc_b64 s[8:9]
	s_add_u32 s8, s8, llvm.amdgcn.dynlds.offset.table@rel32@lo+4
	s_addc_u32 s9, s9, llvm.amdgcn.dynlds.offset.table@rel32@hi+12
	s_add_u32 s6, s6, s8
	s_addc_u32 s7, s7, s9
	s_load_dword s3, s[6:7], 0x0
	s_waitcnt lgkmcnt(0)
	v_lshl_add_u32 v8, v5, 2, s3
	ds_read_b32 v8, v8 offset:256
	s_waitcnt lgkmcnt(0)
	v_add_f32_e32 v0, v0, v8
	s_or_b64 exec, exec, s[4:5]
	s_and_saveexec_b64 s[4:5], vcc
	s_cbranch_execnz .LBB303_833
	s_branch .LBB303_834
.Lfunc_end303:
	.size	_ZN4vllm22paged_attention_kernelIthLi96ELi32ELi128ELNS_18Fp8KVCacheDataTypeE1ELb0ELi512EEEvPfS2_PT_PKS3_PKT0_S9_ifPKiSB_iPKfiiiSD_SD_iiiii, .Lfunc_end303-_ZN4vllm22paged_attention_kernelIthLi96ELi32ELi128ELNS_18Fp8KVCacheDataTypeE1ELb0ELi512EEEvPfS2_PT_PKS3_PKT0_S9_ifPKiSB_iPKfiiiSD_SD_iiiii
                                        ; -- End function
	.section	.AMDGPU.csdata,"",@progbits
; Function info:
; codeLenInByte = 35040
; NumSgprs: 44
; NumVgprs: 64
; NumAgprs: 40
; TotalNumVgprs: 104
; ScratchSize: 108
; MemoryBound: 0
	.section	.text._ZN4vllm25paged_attention_v2_kernelIthLi96ELi32ELi128ELNS_18Fp8KVCacheDataTypeE1ELb0ELi512EEEvPfS2_PT_PKS3_PKT0_S9_ifPKiSB_iPKfiiiSD_SD_iiiii,"axG",@progbits,_ZN4vllm25paged_attention_v2_kernelIthLi96ELi32ELi128ELNS_18Fp8KVCacheDataTypeE1ELb0ELi512EEEvPfS2_PT_PKS3_PKT0_S9_ifPKiSB_iPKfiiiSD_SD_iiiii,comdat
	.protected	_ZN4vllm25paged_attention_v2_kernelIthLi96ELi32ELi128ELNS_18Fp8KVCacheDataTypeE1ELb0ELi512EEEvPfS2_PT_PKS3_PKT0_S9_ifPKiSB_iPKfiiiSD_SD_iiiii ; -- Begin function _ZN4vllm25paged_attention_v2_kernelIthLi96ELi32ELi128ELNS_18Fp8KVCacheDataTypeE1ELb0ELi512EEEvPfS2_PT_PKS3_PKT0_S9_ifPKiSB_iPKfiiiSD_SD_iiiii
	.globl	_ZN4vllm25paged_attention_v2_kernelIthLi96ELi32ELi128ELNS_18Fp8KVCacheDataTypeE1ELb0ELi512EEEvPfS2_PT_PKS3_PKT0_S9_ifPKiSB_iPKfiiiSD_SD_iiiii
	.p2align	8
	.type	_ZN4vllm25paged_attention_v2_kernelIthLi96ELi32ELi128ELNS_18Fp8KVCacheDataTypeE1ELb0ELi512EEEvPfS2_PT_PKS3_PKT0_S9_ifPKiSB_iPKfiiiSD_SD_iiiii,@function
_ZN4vllm25paged_attention_v2_kernelIthLi96ELi32ELi128ELNS_18Fp8KVCacheDataTypeE1ELb0ELi512EEEvPfS2_PT_PKS3_PKT0_S9_ifPKiSB_iPKfiiiSD_SD_iiiii: ; @_ZN4vllm25paged_attention_v2_kernelIthLi96ELi32ELi128ELNS_18Fp8KVCacheDataTypeE1ELb0ELi512EEEvPfS2_PT_PKS3_PKT0_S9_ifPKiSB_iPKfiiiSD_SD_iiiii
; %bb.0:
	s_load_dwordx8 s[24:31], s[0:1], 0x0
	s_load_dwordx8 s[16:23], s[0:1], 0x20
	s_load_dwordx2 s[6:7], s[0:1], 0x40
	s_load_dwordx2 s[10:11], s[0:1], 0x50
	s_load_dword s5, s[0:1], 0x48
	s_load_dwordx8 s[36:43], s[0:1], 0x58
	s_add_u32 s8, s0, 0x90
	s_addc_u32 s9, s1, 0
	s_mov_b32 s12, s2
	s_mov_b32 s13, s3
	;; [unrolled: 1-line block ×4, first 2 shown]
	v_mov_b32_e32 v31, v0
	s_waitcnt lgkmcnt(0)
	v_mov_b32_e32 v0, s24
	v_mov_b32_e32 v1, s25
	;; [unrolled: 1-line block ×28, first 2 shown]
	s_mov_b32 s32, 0
	s_getpc_b64 s[0:1]
	s_add_u32 s0, s0, _ZN4vllm22paged_attention_kernelIthLi96ELi32ELi128ELNS_18Fp8KVCacheDataTypeE1ELb0ELi512EEEvPfS2_PT_PKS3_PKT0_S9_ifPKiSB_iPKfiiiSD_SD_iiiii@rel32@lo+4
	s_addc_u32 s1, s1, _ZN4vllm22paged_attention_kernelIthLi96ELi32ELi128ELNS_18Fp8KVCacheDataTypeE1ELb0ELi512EEEvPfS2_PT_PKS3_PKT0_S9_ifPKiSB_iPKfiiiSD_SD_iiiii@rel32@hi+12
	s_swappc_b64 s[30:31], s[0:1]
	s_endpgm
	.section	.rodata,"a",@progbits
	.p2align	6, 0x0
	.amdhsa_kernel _ZN4vllm25paged_attention_v2_kernelIthLi96ELi32ELi128ELNS_18Fp8KVCacheDataTypeE1ELb0ELi512EEEvPfS2_PT_PKS3_PKT0_S9_ifPKiSB_iPKfiiiSD_SD_iiiii
		.amdhsa_group_segment_fixed_size 208
		.amdhsa_private_segment_fixed_size 108
		.amdhsa_kernarg_size 400
		.amdhsa_user_sgpr_count 2
		.amdhsa_user_sgpr_dispatch_ptr 0
		.amdhsa_user_sgpr_queue_ptr 0
		.amdhsa_user_sgpr_kernarg_segment_ptr 1
		.amdhsa_user_sgpr_dispatch_id 0
		.amdhsa_user_sgpr_kernarg_preload_length 0
		.amdhsa_user_sgpr_kernarg_preload_offset 0
		.amdhsa_user_sgpr_private_segment_size 0
		.amdhsa_uses_dynamic_stack 0
		.amdhsa_enable_private_segment 1
		.amdhsa_system_sgpr_workgroup_id_x 1
		.amdhsa_system_sgpr_workgroup_id_y 1
		.amdhsa_system_sgpr_workgroup_id_z 1
		.amdhsa_system_sgpr_workgroup_info 0
		.amdhsa_system_vgpr_workitem_id 0
		.amdhsa_next_free_vgpr 104
		.amdhsa_next_free_sgpr 44
		.amdhsa_accum_offset 64
		.amdhsa_reserve_vcc 1
		.amdhsa_float_round_mode_32 0
		.amdhsa_float_round_mode_16_64 0
		.amdhsa_float_denorm_mode_32 3
		.amdhsa_float_denorm_mode_16_64 3
		.amdhsa_dx10_clamp 1
		.amdhsa_ieee_mode 1
		.amdhsa_fp16_overflow 0
		.amdhsa_tg_split 0
		.amdhsa_exception_fp_ieee_invalid_op 0
		.amdhsa_exception_fp_denorm_src 0
		.amdhsa_exception_fp_ieee_div_zero 0
		.amdhsa_exception_fp_ieee_overflow 0
		.amdhsa_exception_fp_ieee_underflow 0
		.amdhsa_exception_fp_ieee_inexact 0
		.amdhsa_exception_int_div_zero 0
	.end_amdhsa_kernel
	.section	.text._ZN4vllm25paged_attention_v2_kernelIthLi96ELi32ELi128ELNS_18Fp8KVCacheDataTypeE1ELb0ELi512EEEvPfS2_PT_PKS3_PKT0_S9_ifPKiSB_iPKfiiiSD_SD_iiiii,"axG",@progbits,_ZN4vllm25paged_attention_v2_kernelIthLi96ELi32ELi128ELNS_18Fp8KVCacheDataTypeE1ELb0ELi512EEEvPfS2_PT_PKS3_PKT0_S9_ifPKiSB_iPKfiiiSD_SD_iiiii,comdat
.Lfunc_end304:
	.size	_ZN4vllm25paged_attention_v2_kernelIthLi96ELi32ELi128ELNS_18Fp8KVCacheDataTypeE1ELb0ELi512EEEvPfS2_PT_PKS3_PKT0_S9_ifPKiSB_iPKfiiiSD_SD_iiiii, .Lfunc_end304-_ZN4vllm25paged_attention_v2_kernelIthLi96ELi32ELi128ELNS_18Fp8KVCacheDataTypeE1ELb0ELi512EEEvPfS2_PT_PKS3_PKT0_S9_ifPKiSB_iPKfiiiSD_SD_iiiii
                                        ; -- End function
	.section	.AMDGPU.csdata,"",@progbits
; Kernel info:
; codeLenInByte = 228
; NumSgprs: 50
; NumVgprs: 64
; NumAgprs: 40
; TotalNumVgprs: 104
; ScratchSize: 108
; MemoryBound: 0
; FloatMode: 240
; IeeeMode: 1
; LDSByteSize: 208 bytes/workgroup (compile time only)
; SGPRBlocks: 6
; VGPRBlocks: 12
; NumSGPRsForWavesPerEU: 50
; NumVGPRsForWavesPerEU: 104
; AccumOffset: 64
; Occupancy: 4
; WaveLimiterHint : 1
; COMPUTE_PGM_RSRC2:SCRATCH_EN: 1
; COMPUTE_PGM_RSRC2:USER_SGPR: 2
; COMPUTE_PGM_RSRC2:TRAP_HANDLER: 0
; COMPUTE_PGM_RSRC2:TGID_X_EN: 1
; COMPUTE_PGM_RSRC2:TGID_Y_EN: 1
; COMPUTE_PGM_RSRC2:TGID_Z_EN: 1
; COMPUTE_PGM_RSRC2:TIDIG_COMP_CNT: 0
; COMPUTE_PGM_RSRC3_GFX90A:ACCUM_OFFSET: 15
; COMPUTE_PGM_RSRC3_GFX90A:TG_SPLIT: 0
	.text
	.p2align	2                               ; -- Begin function _ZN4vllm22paged_attention_kernelIthLi112ELi32ELi128ELNS_18Fp8KVCacheDataTypeE1ELb0ELi512EEEvPfS2_PT_PKS3_PKT0_S9_ifPKiSB_iPKfiiiSD_SD_iiiii
	.type	_ZN4vllm22paged_attention_kernelIthLi112ELi32ELi128ELNS_18Fp8KVCacheDataTypeE1ELb0ELi512EEEvPfS2_PT_PKS3_PKT0_S9_ifPKiSB_iPKfiiiSD_SD_iiiii,@function
_ZN4vllm22paged_attention_kernelIthLi112ELi32ELi128ELNS_18Fp8KVCacheDataTypeE1ELb0ELi512EEEvPfS2_PT_PKS3_PKT0_S9_ifPKiSB_iPKfiiiSD_SD_iiiii: ; @_ZN4vllm22paged_attention_kernelIthLi112ELi32ELi128ELNS_18Fp8KVCacheDataTypeE1ELb0ELi512EEEvPfS2_PT_PKS3_PKT0_S9_ifPKiSB_iPKfiiiSD_SD_iiiii
; %bb.0:
	s_waitcnt vmcnt(0) expcnt(0) lgkmcnt(0)
	s_or_saveexec_b64 s[0:1], -1
	scratch_store_dword off, v63, s32 offset:136 ; 4-byte Folded Spill
	s_mov_b64 exec, s[0:1]
	scratch_store_dword off, v40, s32 offset:124 ; 4-byte Folded Spill
	scratch_store_dword off, v41, s32 offset:120 ; 4-byte Folded Spill
	scratch_store_dword off, v42, s32 offset:116 ; 4-byte Folded Spill
	scratch_store_dword off, v43, s32 offset:112 ; 4-byte Folded Spill
	scratch_store_dword off, v44, s32 offset:108 ; 4-byte Folded Spill
	scratch_store_dword off, v45, s32 offset:104 ; 4-byte Folded Spill
	scratch_store_dword off, v46, s32 offset:100 ; 4-byte Folded Spill
	scratch_store_dword off, v47, s32 offset:96 ; 4-byte Folded Spill
	scratch_store_dword off, v56, s32 offset:92 ; 4-byte Folded Spill
	scratch_store_dword off, v57, s32 offset:88 ; 4-byte Folded Spill
	scratch_store_dword off, v58, s32 offset:84 ; 4-byte Folded Spill
	scratch_store_dword off, v59, s32 offset:80 ; 4-byte Folded Spill
	scratch_store_dword off, v60, s32 offset:76 ; 4-byte Folded Spill
	scratch_store_dword off, v61, s32 offset:72 ; 4-byte Folded Spill
	scratch_store_dword off, v62, s32 offset:68 ; 4-byte Folded Spill
	scratch_store_dword off, a32, s32 offset:64 ; 4-byte Folded Spill
	scratch_store_dword off, a33, s32 offset:60 ; 4-byte Folded Spill
	scratch_store_dword off, a34, s32 offset:56 ; 4-byte Folded Spill
	scratch_store_dword off, a35, s32 offset:52 ; 4-byte Folded Spill
	scratch_store_dword off, a36, s32 offset:48 ; 4-byte Folded Spill
	scratch_store_dword off, a37, s32 offset:44 ; 4-byte Folded Spill
	scratch_store_dword off, a38, s32 offset:40 ; 4-byte Folded Spill
	scratch_store_dword off, a39, s32 offset:36 ; 4-byte Folded Spill
	scratch_store_dword off, a40, s32 offset:32 ; 4-byte Folded Spill
	scratch_store_dword off, a41, s32 offset:28 ; 4-byte Folded Spill
	scratch_store_dword off, a42, s32 offset:24 ; 4-byte Folded Spill
	scratch_store_dword off, a43, s32 offset:20 ; 4-byte Folded Spill
	scratch_store_dword off, a44, s32 offset:16 ; 4-byte Folded Spill
	scratch_store_dword off, a45, s32 offset:12 ; 4-byte Folded Spill
	scratch_store_dword off, a46, s32 offset:8 ; 4-byte Folded Spill
	scratch_store_dword off, a47, s32 offset:4 ; 4-byte Folded Spill
	scratch_store_dword off, a48, s32       ; 4-byte Folded Spill
	v_writelane_b32 v63, s34, 0
	v_writelane_b32 v63, s35, 1
	;; [unrolled: 1-line block ×5, first 2 shown]
	s_nop 1
	v_writelane_b32 v63, s31, 5
	s_mov_b32 s20, s13
	v_accvgpr_write_b32 a12, v14
	s_ashr_i32 s21, s13, 31
	v_accvgpr_write_b32 a13, v15
	v_lshl_add_u64 v[14:15], s[20:21], 2, v[16:17]
	flat_load_dword v14, v[14:15]
	v_accvgpr_write_b32 a4, v26
	v_accvgpr_write_b32 a27, v25
	s_lshl_b32 s21, s14, 9
	v_accvgpr_write_b32 a5, v27
	v_accvgpr_write_b32 a26, v24
	;; [unrolled: 1-line block ×3, first 2 shown]
	v_mov_b32_e32 v29, v20
	v_mov_b32_e32 v28, v19
	v_accvgpr_write_b32 a28, v13
	s_waitcnt vmcnt(0) lgkmcnt(0)
	v_accvgpr_write_b32 a8, v14
	v_cmp_lt_i32_e32 vcc, s21, v14
	s_and_saveexec_b64 s[10:11], vcc
	s_cbranch_execz .LBB305_968
; %bb.1:
	v_accvgpr_write_b32 a17, v1
	v_accvgpr_write_b32 a16, v0
	v_sub_u32_e32 v0, 0, v12
	v_max_i32_e32 v0, v12, v0
	v_cvt_f32_u32_e32 v1, v0
	s_load_dword s0, s[8:9], 0x10
	s_load_dword s2, s[8:9], 0x0
	v_accvgpr_write_b32 a19, v3
	v_accvgpr_write_b32 a18, v2
	v_rcp_iflag_f32_e32 v1, v1
	s_waitcnt lgkmcnt(0)
	s_lshr_b32 s0, s0, 16
	s_cmp_lg_u32 s0, 0
	s_cselect_b64 s[0:1], -1, 0
	v_mul_f32_e32 v1, 0x4f7ffffe, v1
	v_cvt_u32_f32_e32 v1, v1
	v_sub_u32_e32 v3, 0, v0
	s_cmp_lg_u64 s[0:1], 0
	s_mov_b32 s16, s15
	v_mul_lo_u32 v3, v3, v1
	s_addc_u32 s15, s2, 0
	v_mul_hi_u32 v3, v1, v3
	s_abs_i32 s0, s15
	v_add_u32_e32 v1, v1, v3
	v_mul_hi_u32 v1, s0, v1
	v_mul_lo_u32 v3, v1, v0
	v_accvgpr_write_b32 a0, v4
	v_sub_u32_e32 v3, s0, v3
	v_accvgpr_write_b32 a1, v5
	v_add_u32_e32 v4, 1, v1
	v_cmp_ge_u32_e32 vcc, v3, v0
	v_xor_b32_e32 v2, s15, v12
	v_ashrrev_i32_e32 v2, 31, v2
	v_cndmask_b32_e32 v1, v1, v4, vcc
	v_sub_u32_e32 v4, v3, v0
	v_cndmask_b32_e32 v3, v3, v4, vcc
	v_add_u32_e32 v4, 1, v1
	v_cmp_ge_u32_e32 vcc, v3, v0
	v_accvgpr_write_b32 a15, v11
	s_abs_i32 s2, s12
	v_cndmask_b32_e32 v0, v1, v4, vcc
	v_xor_b32_e32 v0, v0, v2
	v_sub_u32_e32 v1, v0, v2
	v_sub_u32_e32 v0, 0, v1
	v_max_i32_e32 v0, v1, v0
	v_cvt_f32_u32_e32 v2, v0
	v_sub_u32_e32 v3, 0, v0
	v_accvgpr_write_b32 a14, v10
	v_cmp_ne_u64_e32 vcc, 0, v[28:29]
	v_rcp_iflag_f32_e32 v2, v2
	s_nop 0
	v_mul_f32_e32 v2, 0x4f7ffffe, v2
	v_cvt_u32_f32_e32 v2, v2
	v_mul_lo_u32 v3, v3, v2
	v_mul_hi_u32 v3, v2, v3
	v_add_u32_e32 v2, v2, v3
	v_mad_u64_u32 v[32:33], s[0:1], s2, v2, 0
	v_mov_b32_e32 v2, 0
	scratch_store_dword off, v2, s32 offset:132 ; 4-byte Folded Spill
	s_and_saveexec_b64 s[0:1], vcc
	s_cbranch_execz .LBB305_3
; %bb.2:
	s_ashr_i32 s13, s12, 31
	v_lshl_add_u64 v[2:3], s[12:13], 2, v[28:29]
	flat_load_dword v2, v[2:3]
	s_waitcnt vmcnt(0) lgkmcnt(0)
	scratch_store_dword off, v2, s32 offset:132 ; 4-byte Folded Spill
.LBB305_3:
	s_or_b64 exec, exec, s[0:1]
	v_and_b32_e32 v10, 0x3ff, v31
	v_lshlrev_b32_e32 v4, 3, v10
	s_ashr_i32 s3, s12, 31
	v_ashrrev_i32_e32 v2, 31, v1
	v_and_b32_e32 v1, 1, v10
	s_movk_i32 s4, 0x70
	s_mul_i32 s18, s12, 0x70
	v_cmp_gt_u32_e32 vcc, 28, v10
	v_accvgpr_write_b32 a20, v4
	s_and_saveexec_b64 s[0:1], vcc
	s_cbranch_execz .LBB305_5
; %bb.4:
	v_mul_lo_u32 v4, s20, v21
	v_ashrrev_i32_e32 v5, 31, v4
	v_lshl_add_u64 v[4:5], v[4:5], 1, v[6:7]
	s_ashr_i32 s19, s18, 31
	v_lshl_add_u64 v[4:5], s[18:19], 1, v[4:5]
	v_accvgpr_read_b32 v6, a20
	v_mov_b32_e32 v7, 0
	v_lshl_add_u64 v[4:5], v[4:5], 0, v[6:7]
	flat_load_dwordx2 v[4:5], v[4:5]
	v_lshlrev_b32_e32 v3, 2, v10
	v_and_b32_e32 v3, 0xff8, v3
	v_mad_u32_u24 v3, v1, s4, v3
	s_waitcnt vmcnt(0) lgkmcnt(0)
	ds_write_b64 v3, v[4:5]
.LBB305_5:
	s_or_b64 exec, exec, s[0:1]
	v_accvgpr_read_b32 v4, a8
	v_add_u32_e32 v3, 31, v4
	v_ashrrev_i32_e32 v4, 31, v3
	v_lshrrev_b32_e32 v4, 27, v4
	v_add_u32_e32 v3, v3, v4
	s_lshl_b32 s19, s14, 4
	v_ashrrev_i32_e32 v3, 5, v3
	s_add_i32 s0, s19, 16
	v_accvgpr_write_b32 a9, v3
	v_min_i32_e32 v6, s0, v3
	v_mul_lo_u32 v3, v33, v0
	v_sub_u32_e32 v3, s2, v3
	v_add_u32_e32 v4, 1, v33
	v_cmp_ge_u32_e32 vcc, v3, v0
	v_sub_u32_e32 v5, v3, v0
	v_xor_b32_e32 v2, s3, v2
	v_cndmask_b32_e32 v4, v33, v4, vcc
	v_cndmask_b32_e32 v3, v3, v5, vcc
	v_add_u32_e32 v5, 1, v4
	v_cmp_ge_u32_e32 vcc, v3, v0
	v_lshrrev_b32_e32 v7, 6, v10
	v_accvgpr_write_b32 a2, v10
	v_cndmask_b32_e32 v0, v4, v5, vcc
	v_mul_lo_u32 v4, s20, v18
	v_xor_b32_e32 v0, v0, v2
	v_ashrrev_i32_e32 v5, 31, v4
	v_sub_u32_e32 v3, v0, v2
	v_accvgpr_write_b32 a23, v5
	v_or_b32_e32 v0, s19, v7
	v_accvgpr_write_b32 a22, v4
	v_accvgpr_write_b32 a7, v7
	v_cmp_lt_i32_e64 s[0:1], v0, v6
	v_accvgpr_write_b32 a3, v6
	v_mov_b32_e32 v4, v0
	v_cmp_ge_i32_e32 vcc, v0, v6
	v_mbcnt_lo_u32_b32 v2, -1, 0
	s_waitcnt lgkmcnt(0)
	s_barrier
	s_waitcnt lgkmcnt(0)
                                        ; implicit-def: $sgpr4
                                        ; implicit-def: $agpr29
                                        ; implicit-def: $vgpr0
	s_and_saveexec_b64 s[2:3], vcc
	s_xor_b64 s[2:3], exec, s[2:3]
; %bb.6:
	v_mbcnt_hi_u32_b32 v0, -1, v2
	v_accvgpr_write_b32 a29, v0
	v_and_b32_e32 v0, 64, v0
	v_add_u32_e32 v0, 64, v0
	s_mov_b32 s4, 0xff7fffff
                                        ; implicit-def: $vgpr1
                                        ; kill: killed $vgpr1
                                        ; implicit-def: $agpr28
                                        ; implicit-def: $agpr26
                                        ; implicit-def: $vgpr8
                                        ; implicit-def: $vgpr1
                                        ; implicit-def: $vgpr2
; %bb.7:
	s_or_saveexec_b64 s[6:7], s[2:3]
	s_load_dword s30, s[8:9], 0x14
	s_load_dword s13, s[8:9], 0x8
	v_mov_b32_e32 v5, s4
	v_mul_lo_u32 v6, v3, v23
	scratch_store_dword off, v5, s32 offset:128 ; 4-byte Folded Spill
	v_ashrrev_i32_e32 v5, 31, v4
	v_ashrrev_i32_e32 v7, 31, v6
	v_accvgpr_read_b32 v3, a7
	v_accvgpr_write_b32 a11, v5
	v_accvgpr_write_b32 a25, v7
	v_lshlrev_b32_e32 v3, 5, v3
	v_accvgpr_write_b32 a10, v4
	v_accvgpr_write_b32 a24, v6
	;; [unrolled: 1-line block ×3, first 2 shown]
	s_xor_b64 exec, exec, s[6:7]
	s_cbranch_execz .LBB305_461
; %bb.8:
	v_accvgpr_read_b32 v0, a2
	v_bfe_u32 v3, v0, 1, 5
	v_mul_u32_u24_e32 v0, 0x70, v1
	v_accvgpr_write_b32 a34, v0
	scratch_load_dword v0, off, s32 offset:132 ; 4-byte Folded Reload
	v_accvgpr_read_b32 v4, a24
	v_accvgpr_read_b32 v5, a25
	v_lshl_add_u64 v[4:5], v[8:9], 0, v[4:5]
	v_lshlrev_b32_e32 v8, 4, v3
	v_mov_b32_e32 v9, 0
	v_lshl_add_u64 v[4:5], v[4:5], 0, v[8:9]
	v_accvgpr_write_b32 a31, v5
	v_accvgpr_write_b32 a30, v4
	v_mov_b32_e32 v5, v9
	v_lshlrev_b32_e32 v4, 2, v1
	v_accvgpr_write_b32 a33, v5
	v_accvgpr_write_b32 a32, v4
	v_accvgpr_read_b32 v4, a10
	v_accvgpr_read_b32 v5, a11
	;; [unrolled: 1-line block ×3, first 2 shown]
	v_cmp_eq_u32_e32 vcc, 0, v1
	v_accvgpr_read_b32 v7, a23
	s_ashr_i32 s17, s16, 31
	s_lshl_b64 s[4:5], s[16:17], 2
	s_getpc_b64 s[8:9]
	s_add_u32 s8, s8, llvm.amdgcn.dynlds.offset.table@rel32@lo+4
	s_addc_u32 s9, s9, llvm.amdgcn.dynlds.offset.table@rel32@hi+12
	s_add_u32 s8, s4, s8
	s_addc_u32 s9, s5, s9
	s_mov_b64 s[22:23], 0
	s_movk_i32 s17, 0x7f
	s_movk_i32 s31, 0x80
	s_mov_b32 s34, 0x8000
	s_waitcnt vmcnt(0)
	v_cmp_neq_f32_e64 s[2:3], 0, v0
	v_lshlrev_b64 v[0:1], 2, v[4:5]
	v_lshl_add_u64 v[0:1], v[6:7], 2, v[0:1]
	v_accvgpr_read_b32 v6, a12
	v_accvgpr_read_b32 v7, a13
	v_lshl_add_u64 v[0:1], v[6:7], 0, v[0:1]
	v_accvgpr_write_b32 a37, v1
	v_accvgpr_write_b32 a36, v0
	v_accvgpr_read_b32 v0, a8
	v_sub_u32_e32 v0, 1, v0
	v_accvgpr_write_b32 a35, v0
	v_accvgpr_read_b32 v0, a21
	v_add3_u32 v0, s21, v0, v3
	v_accvgpr_write_b32 a38, v0
	v_lshlrev_b32_e32 v0, 2, v3
	v_accvgpr_read_b32 v1, a7
	v_lshl_or_b32 v0, v1, 7, v0
	v_accvgpr_write_b32 a39, v0
	v_mov_b32_e32 v0, 0xff7fffff
	scratch_store_dword off, v0, s32 offset:128 ; 4-byte Folded Spill
	v_mbcnt_hi_u32_b32 v0, -1, v2
	v_accvgpr_write_b32 a29, v0
	v_mov_b32_e32 v6, v4
	s_branch .LBB305_10
.LBB305_9:                              ;   in Loop: Header=BB305_10 Depth=1
	s_or_b64 exec, exec, s[24:25]
	v_accvgpr_read_b32 v1, a38
	s_waitcnt lgkmcnt(0)
	v_accvgpr_read_b32 v2, a36
	v_add_u32_e32 v1, 64, v1
	v_add_u32_e32 v6, 2, v6
	v_accvgpr_read_b32 v3, a37
	v_accvgpr_write_b32 a38, v1
	v_accvgpr_read_b32 v1, a3
	v_lshl_add_u64 v[2:3], v[2:3], 0, 8
	v_cmp_ge_i32_e64 s[4:5], v6, v1
	v_accvgpr_read_b32 v1, a39
	v_accvgpr_write_b32 a37, v3
	v_add_u32_e32 v1, 0x100, v1
	v_accvgpr_write_b32 a36, v2
	s_or_b64 s[22:23], s[4:5], s[22:23]
	v_accvgpr_write_b32 a39, v1
	s_andn2_b64 exec, exec, s[22:23]
	s_cbranch_execz .LBB305_460
.LBB305_10:                             ; =>This Inner Loop Header: Depth=1
	v_accvgpr_read_b32 v0, a36
	v_accvgpr_read_b32 v1, a37
	flat_load_dword v0, v[0:1]
	v_accvgpr_read_b32 v4, a30
	v_accvgpr_read_b32 v2, a6
	;; [unrolled: 1-line block ×3, first 2 shown]
	v_accvgpr_write_b32 a40, v6
                                        ; implicit-def: $sgpr28
	s_waitcnt vmcnt(0) lgkmcnt(0)
	v_mad_i64_i32 v[0:1], s[4:5], v0, v2, v[4:5]
	v_accvgpr_read_b32 v2, a32
	v_accvgpr_read_b32 v3, a33
	v_lshl_add_u64 v[36:37], v[0:1], 0, v[2:3]
	v_accvgpr_read_b32 v0, a26
	flat_load_dword v12, v[36:37]
	v_accvgpr_read_b32 v1, a27
	flat_load_dword v41, v[0:1]
	s_mov_b64 s[4:5], 0
	s_waitcnt vmcnt(0) lgkmcnt(0)
	v_cmp_gt_i16_sdwa s[24:25], v12, s17 src0_sel:BYTE_0 src1_sel:DWORD
	s_and_saveexec_b64 s[26:27], s[24:25]
	s_xor_b64 s[24:25], exec, s[26:27]
	s_cbranch_execnz .LBB305_240
; %bb.11:                               ;   in Loop: Header=BB305_10 Depth=1
	s_or_saveexec_b64 s[24:25], s[24:25]
	v_mov_b32_e32 v18, s28
	s_xor_b64 exec, exec, s[24:25]
	s_cbranch_execnz .LBB305_243
.LBB305_12:                             ;   in Loop: Header=BB305_10 Depth=1
	s_or_b64 exec, exec, s[24:25]
	s_and_saveexec_b64 s[24:25], s[4:5]
	s_cbranch_execz .LBB305_14
.LBB305_13:                             ;   in Loop: Header=BB305_10 Depth=1
	v_and_b32_e32 v2, 7, v12
	v_ffbh_u32_e32 v0, v2
	v_min_u32_e32 v4, 32, v0
	v_subrev_u32_e32 v0, 28, v4
	v_bfe_u32 v3, v12, 3, 4
	v_lshlrev_b64 v[0:1], v0, v[12:13]
	v_sub_u32_e32 v1, 29, v4
	v_cmp_eq_u32_e64 s[4:5], 0, v3
	v_and_b32_e32 v0, 7, v0
	s_nop 0
	v_cndmask_b32_e64 v1, v3, v1, s[4:5]
	v_mov_b32_e32 v3, 0x1c00
	v_cndmask_b32_e64 v0, v2, v0, s[4:5]
	v_lshlrev_b32_e32 v2, 8, v12
	v_lshl_add_u32 v1, v1, 10, v3
	v_and_or_b32 v1, v2, s34, v1
	v_lshl_or_b32 v0, v0, 7, v1
	v_cvt_f32_f16_e32 v18, v0
.LBB305_14:                             ;   in Loop: Header=BB305_10 Depth=1
	s_or_b64 exec, exec, s[24:25]
	v_lshrrev_b16_e32 v8, 8, v12
	v_cmp_lt_i16_e64 s[4:5], s17, v8
	s_mov_b64 s[24:25], 0
                                        ; implicit-def: $sgpr35
	s_and_saveexec_b64 s[26:27], s[4:5]
	s_xor_b64 s[26:27], exec, s[26:27]
	s_cbranch_execnz .LBB305_244
; %bb.15:                               ;   in Loop: Header=BB305_10 Depth=1
	s_or_saveexec_b64 s[26:27], s[26:27]
	v_mov_b32_e32 v21, s35
	s_xor_b64 exec, exec, s[26:27]
	s_cbranch_execnz .LBB305_247
.LBB305_16:                             ;   in Loop: Header=BB305_10 Depth=1
	s_or_b64 exec, exec, s[26:27]
	s_and_saveexec_b64 s[26:27], s[24:25]
	s_cbranch_execz .LBB305_18
.LBB305_17:                             ;   in Loop: Header=BB305_10 Depth=1
	v_and_b32_e32 v2, 7, v8
	v_ffbh_u32_e32 v0, v2
	v_min_u32_e32 v4, 32, v0
	v_subrev_u32_e32 v0, 28, v4
	v_bfe_u32 v3, v8, 3, 4
	v_lshlrev_b64 v[0:1], v0, v[8:9]
	v_sub_u32_e32 v1, 29, v4
	v_cmp_eq_u32_e64 s[4:5], 0, v3
	v_and_b32_e32 v0, 7, v0
	s_nop 0
	v_cndmask_b32_e64 v1, v3, v1, s[4:5]
	v_mov_b32_e32 v3, 0x1c00
	v_cndmask_b32_e64 v0, v2, v0, s[4:5]
	v_lshlrev_b32_e32 v2, 8, v8
	v_lshl_add_u32 v1, v1, 10, v3
	v_and_or_b32 v1, v2, s34, v1
	v_lshl_or_b32 v0, v0, 7, v1
	v_cvt_f32_f16_e32 v21, v0
.LBB305_18:                             ;   in Loop: Header=BB305_10 Depth=1
	s_or_b64 exec, exec, s[26:27]
	v_lshrrev_b32_e32 v8, 16, v12
	v_cmp_gt_i16_sdwa s[24:25], v8, s17 src0_sel:BYTE_0 src1_sel:DWORD
	s_mov_b64 s[4:5], 0
                                        ; implicit-def: $sgpr28
	s_and_saveexec_b64 s[26:27], s[24:25]
	s_xor_b64 s[24:25], exec, s[26:27]
	s_cbranch_execnz .LBB305_248
; %bb.19:                               ;   in Loop: Header=BB305_10 Depth=1
	s_or_saveexec_b64 s[24:25], s[24:25]
	v_mov_b32_e32 v23, s28
	s_xor_b64 exec, exec, s[24:25]
	s_cbranch_execnz .LBB305_251
.LBB305_20:                             ;   in Loop: Header=BB305_10 Depth=1
	s_or_b64 exec, exec, s[24:25]
	s_and_saveexec_b64 s[24:25], s[4:5]
	s_cbranch_execz .LBB305_22
.LBB305_21:                             ;   in Loop: Header=BB305_10 Depth=1
	v_bfe_u32 v2, v12, 16, 3
	v_ffbh_u32_e32 v0, v2
	v_min_u32_e32 v4, 32, v0
	v_subrev_u32_e32 v0, 28, v4
	v_bfe_u32 v3, v12, 19, 4
	v_lshlrev_b64 v[0:1], v0, v[8:9]
	v_sub_u32_e32 v1, 29, v4
	v_cmp_eq_u32_e64 s[4:5], 0, v3
	v_and_b32_e32 v0, 7, v0
	s_nop 0
	v_cndmask_b32_e64 v1, v3, v1, s[4:5]
	v_mov_b32_e32 v3, 0x1c00
	v_cndmask_b32_e64 v0, v2, v0, s[4:5]
	v_lshlrev_b32_e32 v2, 8, v8
	v_lshl_add_u32 v1, v1, 10, v3
	v_and_or_b32 v1, v2, s34, v1
	v_lshl_or_b32 v0, v0, 7, v1
	v_cvt_f32_f16_e32 v23, v0
.LBB305_22:                             ;   in Loop: Header=BB305_10 Depth=1
	s_or_b64 exec, exec, s[24:25]
	v_lshrrev_b32_e32 v8, 24, v12
	v_cmp_lt_i16_e64 s[4:5], s17, v8
	s_mov_b64 s[24:25], 0
                                        ; implicit-def: $sgpr35
	s_and_saveexec_b64 s[26:27], s[4:5]
	s_xor_b64 s[26:27], exec, s[26:27]
	s_cbranch_execnz .LBB305_252
; %bb.23:                               ;   in Loop: Header=BB305_10 Depth=1
	s_or_saveexec_b64 s[26:27], s[26:27]
	v_mov_b32_e32 v34, s35
	s_xor_b64 exec, exec, s[26:27]
	s_cbranch_execnz .LBB305_255
.LBB305_24:                             ;   in Loop: Header=BB305_10 Depth=1
	s_or_b64 exec, exec, s[26:27]
	s_and_saveexec_b64 s[26:27], s[24:25]
	s_cbranch_execz .LBB305_26
.LBB305_25:                             ;   in Loop: Header=BB305_10 Depth=1
	v_bfe_u32 v2, v12, 24, 3
	v_ffbh_u32_e32 v0, v2
	v_min_u32_e32 v4, 32, v0
	v_subrev_u32_e32 v0, 28, v4
	v_bfe_u32 v3, v12, 27, 4
	v_lshlrev_b64 v[0:1], v0, v[8:9]
	v_sub_u32_e32 v1, 29, v4
	v_cmp_eq_u32_e64 s[4:5], 0, v3
	v_and_b32_e32 v0, 7, v0
	s_nop 0
	v_cndmask_b32_e64 v1, v3, v1, s[4:5]
	v_mov_b32_e32 v3, 0x1c00
	v_cndmask_b32_e64 v0, v2, v0, s[4:5]
	v_lshlrev_b32_e32 v2, 8, v8
	v_lshl_add_u32 v1, v1, 10, v3
	v_and_or_b32 v1, v2, s34, v1
	v_lshl_or_b32 v0, v0, 7, v1
	v_cvt_f32_f16_e32 v34, v0
.LBB305_26:                             ;   in Loop: Header=BB305_10 Depth=1
	s_or_b64 exec, exec, s[26:27]
	flat_load_dword v12, v[36:37] offset:8
	s_mov_b64 s[4:5], 0
                                        ; implicit-def: $sgpr28
	s_waitcnt vmcnt(0) lgkmcnt(0)
	v_cmp_gt_i16_sdwa s[24:25], v12, s17 src0_sel:BYTE_0 src1_sel:DWORD
	s_and_saveexec_b64 s[26:27], s[24:25]
	s_xor_b64 s[24:25], exec, s[26:27]
	s_cbranch_execnz .LBB305_256
; %bb.27:                               ;   in Loop: Header=BB305_10 Depth=1
	s_or_saveexec_b64 s[24:25], s[24:25]
	v_mov_b32_e32 v35, s28
	s_xor_b64 exec, exec, s[24:25]
	s_cbranch_execnz .LBB305_259
.LBB305_28:                             ;   in Loop: Header=BB305_10 Depth=1
	s_or_b64 exec, exec, s[24:25]
	s_and_saveexec_b64 s[24:25], s[4:5]
	s_cbranch_execz .LBB305_30
.LBB305_29:                             ;   in Loop: Header=BB305_10 Depth=1
	v_and_b32_e32 v2, 7, v12
	v_ffbh_u32_e32 v0, v2
	v_min_u32_e32 v4, 32, v0
	v_subrev_u32_e32 v0, 28, v4
	v_bfe_u32 v3, v12, 3, 4
	v_lshlrev_b64 v[0:1], v0, v[12:13]
	v_sub_u32_e32 v1, 29, v4
	v_cmp_eq_u32_e64 s[4:5], 0, v3
	v_and_b32_e32 v0, 7, v0
	s_nop 0
	v_cndmask_b32_e64 v1, v3, v1, s[4:5]
	v_mov_b32_e32 v3, 0x1c00
	v_cndmask_b32_e64 v0, v2, v0, s[4:5]
	v_lshlrev_b32_e32 v2, 8, v12
	v_lshl_add_u32 v1, v1, 10, v3
	v_and_or_b32 v1, v2, s34, v1
	v_lshl_or_b32 v0, v0, 7, v1
	v_cvt_f32_f16_e32 v35, v0
.LBB305_30:                             ;   in Loop: Header=BB305_10 Depth=1
	s_or_b64 exec, exec, s[24:25]
	v_lshrrev_b16_e32 v8, 8, v12
	v_cmp_lt_i16_e64 s[4:5], s17, v8
	s_mov_b64 s[24:25], 0
                                        ; implicit-def: $sgpr35
	s_and_saveexec_b64 s[26:27], s[4:5]
	s_xor_b64 s[26:27], exec, s[26:27]
	s_cbranch_execnz .LBB305_260
; %bb.31:                               ;   in Loop: Header=BB305_10 Depth=1
	s_or_saveexec_b64 s[26:27], s[26:27]
	v_mov_b32_e32 v53, s35
	s_xor_b64 exec, exec, s[26:27]
	s_cbranch_execnz .LBB305_263
.LBB305_32:                             ;   in Loop: Header=BB305_10 Depth=1
	s_or_b64 exec, exec, s[26:27]
	s_and_saveexec_b64 s[26:27], s[24:25]
	s_cbranch_execz .LBB305_34
.LBB305_33:                             ;   in Loop: Header=BB305_10 Depth=1
	v_and_b32_e32 v2, 7, v8
	v_ffbh_u32_e32 v0, v2
	v_min_u32_e32 v4, 32, v0
	v_subrev_u32_e32 v0, 28, v4
	v_bfe_u32 v3, v8, 3, 4
	v_lshlrev_b64 v[0:1], v0, v[8:9]
	v_sub_u32_e32 v1, 29, v4
	v_cmp_eq_u32_e64 s[4:5], 0, v3
	v_and_b32_e32 v0, 7, v0
	s_nop 0
	v_cndmask_b32_e64 v1, v3, v1, s[4:5]
	v_mov_b32_e32 v3, 0x1c00
	v_cndmask_b32_e64 v0, v2, v0, s[4:5]
	v_lshlrev_b32_e32 v2, 8, v8
	v_lshl_add_u32 v1, v1, 10, v3
	v_and_or_b32 v1, v2, s34, v1
	v_lshl_or_b32 v0, v0, 7, v1
	v_cvt_f32_f16_e32 v53, v0
.LBB305_34:                             ;   in Loop: Header=BB305_10 Depth=1
	s_or_b64 exec, exec, s[26:27]
	v_lshrrev_b32_e32 v8, 16, v12
	v_cmp_gt_i16_sdwa s[24:25], v8, s17 src0_sel:BYTE_0 src1_sel:DWORD
	s_mov_b64 s[4:5], 0
                                        ; implicit-def: $sgpr28
	s_and_saveexec_b64 s[26:27], s[24:25]
	s_xor_b64 s[24:25], exec, s[26:27]
	s_cbranch_execnz .LBB305_264
; %bb.35:                               ;   in Loop: Header=BB305_10 Depth=1
	s_or_saveexec_b64 s[24:25], s[24:25]
	v_mov_b32_e32 v54, s28
	s_xor_b64 exec, exec, s[24:25]
	s_cbranch_execnz .LBB305_267
.LBB305_36:                             ;   in Loop: Header=BB305_10 Depth=1
	s_or_b64 exec, exec, s[24:25]
	s_and_saveexec_b64 s[24:25], s[4:5]
	s_cbranch_execz .LBB305_38
.LBB305_37:                             ;   in Loop: Header=BB305_10 Depth=1
	v_bfe_u32 v2, v12, 16, 3
	v_ffbh_u32_e32 v0, v2
	v_min_u32_e32 v4, 32, v0
	v_subrev_u32_e32 v0, 28, v4
	v_bfe_u32 v3, v12, 19, 4
	v_lshlrev_b64 v[0:1], v0, v[8:9]
	v_sub_u32_e32 v1, 29, v4
	v_cmp_eq_u32_e64 s[4:5], 0, v3
	v_and_b32_e32 v0, 7, v0
	s_nop 0
	v_cndmask_b32_e64 v1, v3, v1, s[4:5]
	v_mov_b32_e32 v3, 0x1c00
	v_cndmask_b32_e64 v0, v2, v0, s[4:5]
	v_lshlrev_b32_e32 v2, 8, v8
	v_lshl_add_u32 v1, v1, 10, v3
	v_and_or_b32 v1, v2, s34, v1
	v_lshl_or_b32 v0, v0, 7, v1
	v_cvt_f32_f16_e32 v54, v0
.LBB305_38:                             ;   in Loop: Header=BB305_10 Depth=1
	s_or_b64 exec, exec, s[24:25]
	v_lshrrev_b32_e32 v8, 24, v12
	v_cmp_lt_i16_e64 s[4:5], s17, v8
	s_mov_b64 s[24:25], 0
                                        ; implicit-def: $sgpr35
	s_and_saveexec_b64 s[26:27], s[4:5]
	s_xor_b64 s[26:27], exec, s[26:27]
	s_cbranch_execnz .LBB305_268
; %bb.39:                               ;   in Loop: Header=BB305_10 Depth=1
	s_or_saveexec_b64 s[26:27], s[26:27]
	v_mov_b32_e32 v39, s35
	s_xor_b64 exec, exec, s[26:27]
	s_cbranch_execnz .LBB305_271
.LBB305_40:                             ;   in Loop: Header=BB305_10 Depth=1
	s_or_b64 exec, exec, s[26:27]
	s_and_saveexec_b64 s[26:27], s[24:25]
	s_cbranch_execz .LBB305_42
.LBB305_41:                             ;   in Loop: Header=BB305_10 Depth=1
	v_bfe_u32 v2, v12, 24, 3
	v_ffbh_u32_e32 v0, v2
	v_min_u32_e32 v4, 32, v0
	v_subrev_u32_e32 v0, 28, v4
	v_bfe_u32 v3, v12, 27, 4
	v_lshlrev_b64 v[0:1], v0, v[8:9]
	v_sub_u32_e32 v1, 29, v4
	v_cmp_eq_u32_e64 s[4:5], 0, v3
	v_and_b32_e32 v0, 7, v0
	s_nop 0
	v_cndmask_b32_e64 v1, v3, v1, s[4:5]
	v_mov_b32_e32 v3, 0x1c00
	v_cndmask_b32_e64 v0, v2, v0, s[4:5]
	v_lshlrev_b32_e32 v2, 8, v8
	v_lshl_add_u32 v1, v1, 10, v3
	v_and_or_b32 v1, v2, s34, v1
	v_lshl_or_b32 v0, v0, 7, v1
	v_cvt_f32_f16_e32 v39, v0
.LBB305_42:                             ;   in Loop: Header=BB305_10 Depth=1
	s_or_b64 exec, exec, s[26:27]
	flat_load_dword v12, v[36:37] offset:512
	s_mov_b64 s[4:5], 0
                                        ; implicit-def: $sgpr28
	s_waitcnt vmcnt(0) lgkmcnt(0)
	v_cmp_gt_i16_sdwa s[24:25], v12, s17 src0_sel:BYTE_0 src1_sel:DWORD
	s_and_saveexec_b64 s[26:27], s[24:25]
	s_xor_b64 s[24:25], exec, s[26:27]
	s_cbranch_execnz .LBB305_272
; %bb.43:                               ;   in Loop: Header=BB305_10 Depth=1
	s_or_saveexec_b64 s[24:25], s[24:25]
	v_mov_b32_e32 v55, s28
	s_xor_b64 exec, exec, s[24:25]
	s_cbranch_execnz .LBB305_275
.LBB305_44:                             ;   in Loop: Header=BB305_10 Depth=1
	s_or_b64 exec, exec, s[24:25]
	s_and_saveexec_b64 s[24:25], s[4:5]
	s_cbranch_execz .LBB305_46
.LBB305_45:                             ;   in Loop: Header=BB305_10 Depth=1
	v_and_b32_e32 v2, 7, v12
	v_ffbh_u32_e32 v0, v2
	v_min_u32_e32 v4, 32, v0
	v_subrev_u32_e32 v0, 28, v4
	v_bfe_u32 v3, v12, 3, 4
	v_lshlrev_b64 v[0:1], v0, v[12:13]
	v_sub_u32_e32 v1, 29, v4
	v_cmp_eq_u32_e64 s[4:5], 0, v3
	v_and_b32_e32 v0, 7, v0
	s_nop 0
	v_cndmask_b32_e64 v1, v3, v1, s[4:5]
	v_mov_b32_e32 v3, 0x1c00
	v_cndmask_b32_e64 v0, v2, v0, s[4:5]
	v_lshlrev_b32_e32 v2, 8, v12
	v_lshl_add_u32 v1, v1, 10, v3
	v_and_or_b32 v1, v2, s34, v1
	v_lshl_or_b32 v0, v0, 7, v1
	v_cvt_f32_f16_e32 v55, v0
.LBB305_46:                             ;   in Loop: Header=BB305_10 Depth=1
	s_or_b64 exec, exec, s[24:25]
	v_lshrrev_b16_e32 v8, 8, v12
	v_cmp_lt_i16_e64 s[4:5], s17, v8
	s_mov_b64 s[24:25], 0
                                        ; implicit-def: $sgpr35
	s_and_saveexec_b64 s[26:27], s[4:5]
	s_xor_b64 s[26:27], exec, s[26:27]
	s_cbranch_execnz .LBB305_276
; %bb.47:                               ;   in Loop: Header=BB305_10 Depth=1
	s_or_saveexec_b64 s[26:27], s[26:27]
	v_mov_b32_e32 v40, s35
	s_xor_b64 exec, exec, s[26:27]
	s_cbranch_execnz .LBB305_279
.LBB305_48:                             ;   in Loop: Header=BB305_10 Depth=1
	s_or_b64 exec, exec, s[26:27]
	s_and_saveexec_b64 s[26:27], s[24:25]
	s_cbranch_execz .LBB305_50
.LBB305_49:                             ;   in Loop: Header=BB305_10 Depth=1
	v_and_b32_e32 v2, 7, v8
	v_ffbh_u32_e32 v0, v2
	v_min_u32_e32 v4, 32, v0
	v_subrev_u32_e32 v0, 28, v4
	v_bfe_u32 v3, v8, 3, 4
	v_lshlrev_b64 v[0:1], v0, v[8:9]
	v_sub_u32_e32 v1, 29, v4
	v_cmp_eq_u32_e64 s[4:5], 0, v3
	v_and_b32_e32 v0, 7, v0
	s_nop 0
	v_cndmask_b32_e64 v1, v3, v1, s[4:5]
	v_mov_b32_e32 v3, 0x1c00
	v_cndmask_b32_e64 v0, v2, v0, s[4:5]
	v_lshlrev_b32_e32 v2, 8, v8
	v_lshl_add_u32 v1, v1, 10, v3
	v_and_or_b32 v1, v2, s34, v1
	v_lshl_or_b32 v0, v0, 7, v1
	v_cvt_f32_f16_e32 v40, v0
.LBB305_50:                             ;   in Loop: Header=BB305_10 Depth=1
	s_or_b64 exec, exec, s[26:27]
	v_lshrrev_b32_e32 v8, 16, v12
	v_cmp_gt_i16_sdwa s[24:25], v8, s17 src0_sel:BYTE_0 src1_sel:DWORD
	s_mov_b64 s[4:5], 0
                                        ; implicit-def: $sgpr28
	s_and_saveexec_b64 s[26:27], s[24:25]
	s_xor_b64 s[24:25], exec, s[26:27]
	s_cbranch_execnz .LBB305_280
; %bb.51:                               ;   in Loop: Header=BB305_10 Depth=1
	s_or_saveexec_b64 s[24:25], s[24:25]
	v_mov_b32_e32 v48, s28
	s_xor_b64 exec, exec, s[24:25]
	s_cbranch_execnz .LBB305_283
.LBB305_52:                             ;   in Loop: Header=BB305_10 Depth=1
	s_or_b64 exec, exec, s[24:25]
	s_and_saveexec_b64 s[24:25], s[4:5]
	s_cbranch_execz .LBB305_54
.LBB305_53:                             ;   in Loop: Header=BB305_10 Depth=1
	v_bfe_u32 v2, v12, 16, 3
	v_ffbh_u32_e32 v0, v2
	v_min_u32_e32 v4, 32, v0
	v_subrev_u32_e32 v0, 28, v4
	v_bfe_u32 v3, v12, 19, 4
	v_lshlrev_b64 v[0:1], v0, v[8:9]
	v_sub_u32_e32 v1, 29, v4
	v_cmp_eq_u32_e64 s[4:5], 0, v3
	v_and_b32_e32 v0, 7, v0
	s_nop 0
	v_cndmask_b32_e64 v1, v3, v1, s[4:5]
	v_mov_b32_e32 v3, 0x1c00
	v_cndmask_b32_e64 v0, v2, v0, s[4:5]
	v_lshlrev_b32_e32 v2, 8, v8
	v_lshl_add_u32 v1, v1, 10, v3
	v_and_or_b32 v1, v2, s34, v1
	v_lshl_or_b32 v0, v0, 7, v1
	v_cvt_f32_f16_e32 v48, v0
.LBB305_54:                             ;   in Loop: Header=BB305_10 Depth=1
	s_or_b64 exec, exec, s[24:25]
	v_lshrrev_b32_e32 v8, 24, v12
	v_cmp_lt_i16_e64 s[4:5], s17, v8
	s_mov_b64 s[24:25], 0
                                        ; implicit-def: $sgpr35
	s_and_saveexec_b64 s[26:27], s[4:5]
	s_xor_b64 s[26:27], exec, s[26:27]
	s_cbranch_execnz .LBB305_284
; %bb.55:                               ;   in Loop: Header=BB305_10 Depth=1
	s_or_saveexec_b64 s[26:27], s[26:27]
	v_mov_b32_e32 v59, s35
	s_xor_b64 exec, exec, s[26:27]
	s_cbranch_execnz .LBB305_287
.LBB305_56:                             ;   in Loop: Header=BB305_10 Depth=1
	s_or_b64 exec, exec, s[26:27]
	s_and_saveexec_b64 s[26:27], s[24:25]
	s_cbranch_execz .LBB305_58
.LBB305_57:                             ;   in Loop: Header=BB305_10 Depth=1
	v_bfe_u32 v2, v12, 24, 3
	v_ffbh_u32_e32 v0, v2
	v_min_u32_e32 v4, 32, v0
	v_subrev_u32_e32 v0, 28, v4
	v_bfe_u32 v3, v12, 27, 4
	v_lshlrev_b64 v[0:1], v0, v[8:9]
	v_sub_u32_e32 v1, 29, v4
	v_cmp_eq_u32_e64 s[4:5], 0, v3
	v_and_b32_e32 v0, 7, v0
	s_nop 0
	v_cndmask_b32_e64 v1, v3, v1, s[4:5]
	v_mov_b32_e32 v3, 0x1c00
	v_cndmask_b32_e64 v0, v2, v0, s[4:5]
	v_lshlrev_b32_e32 v2, 8, v8
	v_lshl_add_u32 v1, v1, 10, v3
	v_and_or_b32 v1, v2, s34, v1
	v_lshl_or_b32 v0, v0, 7, v1
	v_cvt_f32_f16_e32 v59, v0
.LBB305_58:                             ;   in Loop: Header=BB305_10 Depth=1
	s_or_b64 exec, exec, s[26:27]
	flat_load_dword v12, v[36:37] offset:520
	s_mov_b64 s[4:5], 0
                                        ; implicit-def: $sgpr28
	s_waitcnt vmcnt(0) lgkmcnt(0)
	v_cmp_gt_i16_sdwa s[24:25], v12, s17 src0_sel:BYTE_0 src1_sel:DWORD
	s_and_saveexec_b64 s[26:27], s[24:25]
	s_xor_b64 s[24:25], exec, s[26:27]
	s_cbranch_execnz .LBB305_288
; %bb.59:                               ;   in Loop: Header=BB305_10 Depth=1
	s_or_saveexec_b64 s[24:25], s[24:25]
	v_mov_b32_e32 v0, s28
	s_xor_b64 exec, exec, s[24:25]
	s_cbranch_execnz .LBB305_291
.LBB305_60:                             ;   in Loop: Header=BB305_10 Depth=1
	s_or_b64 exec, exec, s[24:25]
	s_and_saveexec_b64 s[24:25], s[4:5]
	s_cbranch_execz .LBB305_62
.LBB305_61:                             ;   in Loop: Header=BB305_10 Depth=1
	v_and_b32_e32 v2, 7, v12
	v_ffbh_u32_e32 v0, v2
	v_min_u32_e32 v4, 32, v0
	v_subrev_u32_e32 v0, 28, v4
	v_bfe_u32 v3, v12, 3, 4
	v_lshlrev_b64 v[0:1], v0, v[12:13]
	v_sub_u32_e32 v1, 29, v4
	v_cmp_eq_u32_e64 s[4:5], 0, v3
	v_and_b32_e32 v0, 7, v0
	s_nop 0
	v_cndmask_b32_e64 v1, v3, v1, s[4:5]
	v_mov_b32_e32 v3, 0x1c00
	v_cndmask_b32_e64 v0, v2, v0, s[4:5]
	v_lshlrev_b32_e32 v2, 8, v12
	v_lshl_add_u32 v1, v1, 10, v3
	v_and_or_b32 v1, v2, s34, v1
	v_lshl_or_b32 v0, v0, 7, v1
	v_cvt_f32_f16_e32 v0, v0
.LBB305_62:                             ;   in Loop: Header=BB305_10 Depth=1
	s_or_b64 exec, exec, s[24:25]
	v_lshrrev_b16_e32 v8, 8, v12
	v_accvgpr_write_b32 a44, v0
	v_cmp_lt_i16_e64 s[4:5], s17, v8
	s_mov_b64 s[24:25], 0
                                        ; implicit-def: $sgpr35
	s_and_saveexec_b64 s[26:27], s[4:5]
	s_xor_b64 s[26:27], exec, s[26:27]
	s_cbranch_execnz .LBB305_292
; %bb.63:                               ;   in Loop: Header=BB305_10 Depth=1
	s_or_saveexec_b64 s[26:27], s[26:27]
	v_mov_b32_e32 v60, s35
	s_xor_b64 exec, exec, s[26:27]
	s_cbranch_execnz .LBB305_295
.LBB305_64:                             ;   in Loop: Header=BB305_10 Depth=1
	s_or_b64 exec, exec, s[26:27]
	s_and_saveexec_b64 s[26:27], s[24:25]
	s_cbranch_execz .LBB305_66
.LBB305_65:                             ;   in Loop: Header=BB305_10 Depth=1
	v_and_b32_e32 v2, 7, v8
	v_ffbh_u32_e32 v0, v2
	v_min_u32_e32 v4, 32, v0
	v_subrev_u32_e32 v0, 28, v4
	v_bfe_u32 v3, v8, 3, 4
	v_lshlrev_b64 v[0:1], v0, v[8:9]
	v_sub_u32_e32 v1, 29, v4
	v_cmp_eq_u32_e64 s[4:5], 0, v3
	v_and_b32_e32 v0, 7, v0
	s_nop 0
	v_cndmask_b32_e64 v1, v3, v1, s[4:5]
	v_mov_b32_e32 v3, 0x1c00
	v_cndmask_b32_e64 v0, v2, v0, s[4:5]
	v_lshlrev_b32_e32 v2, 8, v8
	v_lshl_add_u32 v1, v1, 10, v3
	v_and_or_b32 v1, v2, s34, v1
	v_lshl_or_b32 v0, v0, 7, v1
	v_cvt_f32_f16_e32 v60, v0
.LBB305_66:                             ;   in Loop: Header=BB305_10 Depth=1
	s_or_b64 exec, exec, s[26:27]
	v_lshrrev_b32_e32 v8, 16, v12
	v_cmp_gt_i16_sdwa s[24:25], v8, s17 src0_sel:BYTE_0 src1_sel:DWORD
	s_mov_b64 s[4:5], 0
                                        ; implicit-def: $sgpr28
	s_and_saveexec_b64 s[26:27], s[24:25]
	s_xor_b64 s[24:25], exec, s[26:27]
	s_cbranch_execnz .LBB305_296
; %bb.67:                               ;   in Loop: Header=BB305_10 Depth=1
	s_or_saveexec_b64 s[24:25], s[24:25]
	v_mov_b32_e32 v61, s28
	s_xor_b64 exec, exec, s[24:25]
	s_cbranch_execnz .LBB305_299
.LBB305_68:                             ;   in Loop: Header=BB305_10 Depth=1
	s_or_b64 exec, exec, s[24:25]
	s_and_saveexec_b64 s[24:25], s[4:5]
	s_cbranch_execz .LBB305_70
.LBB305_69:                             ;   in Loop: Header=BB305_10 Depth=1
	v_bfe_u32 v2, v12, 16, 3
	v_ffbh_u32_e32 v0, v2
	v_min_u32_e32 v4, 32, v0
	v_subrev_u32_e32 v0, 28, v4
	v_bfe_u32 v3, v12, 19, 4
	v_lshlrev_b64 v[0:1], v0, v[8:9]
	v_sub_u32_e32 v1, 29, v4
	v_cmp_eq_u32_e64 s[4:5], 0, v3
	v_and_b32_e32 v0, 7, v0
	s_nop 0
	v_cndmask_b32_e64 v1, v3, v1, s[4:5]
	v_mov_b32_e32 v3, 0x1c00
	v_cndmask_b32_e64 v0, v2, v0, s[4:5]
	v_lshlrev_b32_e32 v2, 8, v8
	v_lshl_add_u32 v1, v1, 10, v3
	v_and_or_b32 v1, v2, s34, v1
	v_lshl_or_b32 v0, v0, 7, v1
	v_cvt_f32_f16_e32 v61, v0
.LBB305_70:                             ;   in Loop: Header=BB305_10 Depth=1
	s_or_b64 exec, exec, s[24:25]
	v_lshrrev_b32_e32 v8, 24, v12
	v_cmp_lt_i16_e64 s[4:5], s17, v8
	s_mov_b64 s[24:25], 0
                                        ; implicit-def: $sgpr35
	s_and_saveexec_b64 s[26:27], s[4:5]
	s_xor_b64 s[26:27], exec, s[26:27]
	s_cbranch_execnz .LBB305_300
; %bb.71:                               ;   in Loop: Header=BB305_10 Depth=1
	s_or_saveexec_b64 s[26:27], s[26:27]
	v_mov_b32_e32 v62, s35
	s_xor_b64 exec, exec, s[26:27]
	s_cbranch_execnz .LBB305_303
.LBB305_72:                             ;   in Loop: Header=BB305_10 Depth=1
	s_or_b64 exec, exec, s[26:27]
	s_and_saveexec_b64 s[26:27], s[24:25]
	s_cbranch_execz .LBB305_74
.LBB305_73:                             ;   in Loop: Header=BB305_10 Depth=1
	v_bfe_u32 v2, v12, 24, 3
	v_ffbh_u32_e32 v0, v2
	v_min_u32_e32 v4, 32, v0
	v_subrev_u32_e32 v0, 28, v4
	v_bfe_u32 v3, v12, 27, 4
	v_lshlrev_b64 v[0:1], v0, v[8:9]
	v_sub_u32_e32 v1, 29, v4
	v_cmp_eq_u32_e64 s[4:5], 0, v3
	v_and_b32_e32 v0, 7, v0
	s_nop 0
	v_cndmask_b32_e64 v1, v3, v1, s[4:5]
	v_mov_b32_e32 v3, 0x1c00
	v_cndmask_b32_e64 v0, v2, v0, s[4:5]
	v_lshlrev_b32_e32 v2, 8, v8
	v_lshl_add_u32 v1, v1, 10, v3
	v_and_or_b32 v1, v2, s34, v1
	v_lshl_or_b32 v0, v0, 7, v1
	v_cvt_f32_f16_e32 v62, v0
.LBB305_74:                             ;   in Loop: Header=BB305_10 Depth=1
	s_or_b64 exec, exec, s[26:27]
	flat_load_dword v12, v[36:37] offset:1024
	s_mov_b64 s[4:5], 0
                                        ; implicit-def: $sgpr28
	s_waitcnt vmcnt(0) lgkmcnt(0)
	v_cmp_gt_i16_sdwa s[24:25], v12, s17 src0_sel:BYTE_0 src1_sel:DWORD
	s_and_saveexec_b64 s[26:27], s[24:25]
	s_xor_b64 s[24:25], exec, s[26:27]
	s_cbranch_execnz .LBB305_304
; %bb.75:                               ;   in Loop: Header=BB305_10 Depth=1
	s_or_saveexec_b64 s[24:25], s[24:25]
	v_mov_b32_e32 v0, s28
	s_xor_b64 exec, exec, s[24:25]
	s_cbranch_execnz .LBB305_307
.LBB305_76:                             ;   in Loop: Header=BB305_10 Depth=1
	s_or_b64 exec, exec, s[24:25]
	s_and_saveexec_b64 s[24:25], s[4:5]
	s_cbranch_execz .LBB305_78
.LBB305_77:                             ;   in Loop: Header=BB305_10 Depth=1
	v_and_b32_e32 v2, 7, v12
	v_ffbh_u32_e32 v0, v2
	v_min_u32_e32 v4, 32, v0
	v_subrev_u32_e32 v0, 28, v4
	v_bfe_u32 v3, v12, 3, 4
	v_lshlrev_b64 v[0:1], v0, v[12:13]
	v_sub_u32_e32 v1, 29, v4
	v_cmp_eq_u32_e64 s[4:5], 0, v3
	v_and_b32_e32 v0, 7, v0
	s_nop 0
	v_cndmask_b32_e64 v1, v3, v1, s[4:5]
	v_mov_b32_e32 v3, 0x1c00
	v_cndmask_b32_e64 v0, v2, v0, s[4:5]
	v_lshlrev_b32_e32 v2, 8, v12
	v_lshl_add_u32 v1, v1, 10, v3
	v_and_or_b32 v1, v2, s34, v1
	v_lshl_or_b32 v0, v0, 7, v1
	v_cvt_f32_f16_e32 v0, v0
.LBB305_78:                             ;   in Loop: Header=BB305_10 Depth=1
	s_or_b64 exec, exec, s[24:25]
	v_lshrrev_b16_e32 v8, 8, v12
	v_accvgpr_write_b32 a48, v0
	v_cmp_lt_i16_e64 s[4:5], s17, v8
	s_mov_b64 s[24:25], 0
                                        ; implicit-def: $sgpr35
	s_and_saveexec_b64 s[26:27], s[4:5]
	s_xor_b64 s[26:27], exec, s[26:27]
	s_cbranch_execnz .LBB305_308
; %bb.79:                               ;   in Loop: Header=BB305_10 Depth=1
	s_or_saveexec_b64 s[26:27], s[26:27]
	v_mov_b32_e32 v20, s35
	s_xor_b64 exec, exec, s[26:27]
	s_cbranch_execnz .LBB305_311
.LBB305_80:                             ;   in Loop: Header=BB305_10 Depth=1
	s_or_b64 exec, exec, s[26:27]
	s_and_saveexec_b64 s[26:27], s[24:25]
	s_cbranch_execz .LBB305_82
.LBB305_81:                             ;   in Loop: Header=BB305_10 Depth=1
	v_and_b32_e32 v2, 7, v8
	v_ffbh_u32_e32 v0, v2
	v_min_u32_e32 v4, 32, v0
	v_subrev_u32_e32 v0, 28, v4
	v_bfe_u32 v3, v8, 3, 4
	v_lshlrev_b64 v[0:1], v0, v[8:9]
	v_sub_u32_e32 v1, 29, v4
	v_cmp_eq_u32_e64 s[4:5], 0, v3
	v_and_b32_e32 v0, 7, v0
	s_nop 0
	v_cndmask_b32_e64 v1, v3, v1, s[4:5]
	v_mov_b32_e32 v3, 0x1c00
	v_cndmask_b32_e64 v0, v2, v0, s[4:5]
	v_lshlrev_b32_e32 v2, 8, v8
	v_lshl_add_u32 v1, v1, 10, v3
	v_and_or_b32 v1, v2, s34, v1
	v_lshl_or_b32 v0, v0, 7, v1
	v_cvt_f32_f16_e32 v20, v0
.LBB305_82:                             ;   in Loop: Header=BB305_10 Depth=1
	s_or_b64 exec, exec, s[26:27]
	v_lshrrev_b32_e32 v8, 16, v12
	v_cmp_gt_i16_sdwa s[24:25], v8, s17 src0_sel:BYTE_0 src1_sel:DWORD
	s_mov_b64 s[4:5], 0
                                        ; implicit-def: $sgpr28
	s_and_saveexec_b64 s[26:27], s[24:25]
	s_xor_b64 s[24:25], exec, s[26:27]
	s_cbranch_execnz .LBB305_312
; %bb.83:                               ;   in Loop: Header=BB305_10 Depth=1
	s_or_saveexec_b64 s[24:25], s[24:25]
	v_mov_b32_e32 v5, s28
	s_xor_b64 exec, exec, s[24:25]
	s_cbranch_execnz .LBB305_315
.LBB305_84:                             ;   in Loop: Header=BB305_10 Depth=1
	s_or_b64 exec, exec, s[24:25]
	s_and_saveexec_b64 s[24:25], s[4:5]
	s_cbranch_execz .LBB305_86
.LBB305_85:                             ;   in Loop: Header=BB305_10 Depth=1
	v_bfe_u32 v2, v12, 16, 3
	v_ffbh_u32_e32 v0, v2
	v_min_u32_e32 v4, 32, v0
	v_subrev_u32_e32 v0, 28, v4
	v_bfe_u32 v3, v12, 19, 4
	v_lshlrev_b64 v[0:1], v0, v[8:9]
	v_sub_u32_e32 v1, 29, v4
	v_cmp_eq_u32_e64 s[4:5], 0, v3
	v_and_b32_e32 v0, 7, v0
	s_nop 0
	v_cndmask_b32_e64 v1, v3, v1, s[4:5]
	v_mov_b32_e32 v3, 0x1c00
	v_cndmask_b32_e64 v0, v2, v0, s[4:5]
	v_lshlrev_b32_e32 v2, 8, v8
	v_lshl_add_u32 v1, v1, 10, v3
	v_and_or_b32 v1, v2, s34, v1
	v_lshl_or_b32 v0, v0, 7, v1
	v_cvt_f32_f16_e32 v5, v0
.LBB305_86:                             ;   in Loop: Header=BB305_10 Depth=1
	s_or_b64 exec, exec, s[24:25]
	v_lshrrev_b32_e32 v8, 24, v12
	v_cmp_lt_i16_e64 s[4:5], s17, v8
	s_mov_b64 s[24:25], 0
                                        ; implicit-def: $sgpr35
	s_and_saveexec_b64 s[26:27], s[4:5]
	s_xor_b64 s[26:27], exec, s[26:27]
	s_cbranch_execnz .LBB305_316
; %bb.87:                               ;   in Loop: Header=BB305_10 Depth=1
	s_or_saveexec_b64 s[26:27], s[26:27]
	v_mov_b32_e32 v19, s35
	s_xor_b64 exec, exec, s[26:27]
	s_cbranch_execnz .LBB305_319
.LBB305_88:                             ;   in Loop: Header=BB305_10 Depth=1
	s_or_b64 exec, exec, s[26:27]
	s_and_saveexec_b64 s[26:27], s[24:25]
	s_cbranch_execz .LBB305_90
.LBB305_89:                             ;   in Loop: Header=BB305_10 Depth=1
	v_bfe_u32 v2, v12, 24, 3
	v_ffbh_u32_e32 v0, v2
	v_min_u32_e32 v4, 32, v0
	v_subrev_u32_e32 v0, 28, v4
	v_bfe_u32 v3, v12, 27, 4
	v_lshlrev_b64 v[0:1], v0, v[8:9]
	v_sub_u32_e32 v1, 29, v4
	v_cmp_eq_u32_e64 s[4:5], 0, v3
	v_and_b32_e32 v0, 7, v0
	s_nop 0
	v_cndmask_b32_e64 v1, v3, v1, s[4:5]
	v_mov_b32_e32 v3, 0x1c00
	v_cndmask_b32_e64 v0, v2, v0, s[4:5]
	v_lshlrev_b32_e32 v2, 8, v8
	v_lshl_add_u32 v1, v1, 10, v3
	v_and_or_b32 v1, v2, s34, v1
	v_lshl_or_b32 v0, v0, 7, v1
	v_cvt_f32_f16_e32 v19, v0
.LBB305_90:                             ;   in Loop: Header=BB305_10 Depth=1
	s_or_b64 exec, exec, s[26:27]
	flat_load_dword v12, v[36:37] offset:1032
	s_mov_b64 s[4:5], 0
                                        ; implicit-def: $sgpr28
	s_waitcnt vmcnt(0) lgkmcnt(0)
	v_cmp_gt_i16_sdwa s[24:25], v12, s17 src0_sel:BYTE_0 src1_sel:DWORD
	s_and_saveexec_b64 s[26:27], s[24:25]
	s_xor_b64 s[24:25], exec, s[26:27]
	s_cbranch_execnz .LBB305_320
; %bb.91:                               ;   in Loop: Header=BB305_10 Depth=1
	s_or_saveexec_b64 s[24:25], s[24:25]
	v_mov_b32_e32 v4, s28
	s_xor_b64 exec, exec, s[24:25]
	s_cbranch_execnz .LBB305_323
.LBB305_92:                             ;   in Loop: Header=BB305_10 Depth=1
	s_or_b64 exec, exec, s[24:25]
	s_and_saveexec_b64 s[24:25], s[4:5]
	s_cbranch_execz .LBB305_94
.LBB305_93:                             ;   in Loop: Header=BB305_10 Depth=1
	v_and_b32_e32 v2, 7, v12
	v_ffbh_u32_e32 v0, v2
	v_min_u32_e32 v4, 32, v0
	v_subrev_u32_e32 v0, 28, v4
	v_bfe_u32 v3, v12, 3, 4
	v_lshlrev_b64 v[0:1], v0, v[12:13]
	v_sub_u32_e32 v1, 29, v4
	v_cmp_eq_u32_e64 s[4:5], 0, v3
	v_and_b32_e32 v0, 7, v0
	s_nop 0
	v_cndmask_b32_e64 v1, v3, v1, s[4:5]
	v_mov_b32_e32 v3, 0x1c00
	v_cndmask_b32_e64 v0, v2, v0, s[4:5]
	v_lshlrev_b32_e32 v2, 8, v12
	v_lshl_add_u32 v1, v1, 10, v3
	v_and_or_b32 v1, v2, s34, v1
	v_lshl_or_b32 v0, v0, 7, v1
	v_cvt_f32_f16_e32 v4, v0
.LBB305_94:                             ;   in Loop: Header=BB305_10 Depth=1
	s_or_b64 exec, exec, s[24:25]
	v_lshrrev_b16_e32 v8, 8, v12
	v_cmp_lt_i16_e64 s[4:5], s17, v8
	s_mov_b64 s[24:25], 0
                                        ; implicit-def: $sgpr35
	s_and_saveexec_b64 s[26:27], s[4:5]
	s_xor_b64 s[26:27], exec, s[26:27]
	s_cbranch_execnz .LBB305_324
; %bb.95:                               ;   in Loop: Header=BB305_10 Depth=1
	s_or_saveexec_b64 s[26:27], s[26:27]
	v_mov_b32_e32 v17, s35
	s_xor_b64 exec, exec, s[26:27]
	s_cbranch_execnz .LBB305_327
.LBB305_96:                             ;   in Loop: Header=BB305_10 Depth=1
	s_or_b64 exec, exec, s[26:27]
	s_and_saveexec_b64 s[26:27], s[24:25]
	s_cbranch_execz .LBB305_98
.LBB305_97:                             ;   in Loop: Header=BB305_10 Depth=1
	v_and_b32_e32 v2, 7, v8
	v_ffbh_u32_e32 v0, v2
	v_min_u32_e32 v6, 32, v0
	v_subrev_u32_e32 v0, 28, v6
	v_bfe_u32 v3, v8, 3, 4
	v_lshlrev_b64 v[0:1], v0, v[8:9]
	v_sub_u32_e32 v1, 29, v6
	v_cmp_eq_u32_e64 s[4:5], 0, v3
	v_and_b32_e32 v0, 7, v0
	s_nop 0
	v_cndmask_b32_e64 v1, v3, v1, s[4:5]
	v_mov_b32_e32 v3, 0x1c00
	v_cndmask_b32_e64 v0, v2, v0, s[4:5]
	v_lshlrev_b32_e32 v2, 8, v8
	v_lshl_add_u32 v1, v1, 10, v3
	v_and_or_b32 v1, v2, s34, v1
	v_lshl_or_b32 v0, v0, 7, v1
	v_cvt_f32_f16_e32 v17, v0
.LBB305_98:                             ;   in Loop: Header=BB305_10 Depth=1
	s_or_b64 exec, exec, s[26:27]
	v_lshrrev_b32_e32 v8, 16, v12
	v_cmp_gt_i16_sdwa s[24:25], v8, s17 src0_sel:BYTE_0 src1_sel:DWORD
	s_mov_b64 s[4:5], 0
                                        ; implicit-def: $sgpr28
	s_and_saveexec_b64 s[26:27], s[24:25]
	s_xor_b64 s[24:25], exec, s[26:27]
	s_cbranch_execnz .LBB305_328
; %bb.99:                               ;   in Loop: Header=BB305_10 Depth=1
	s_or_saveexec_b64 s[24:25], s[24:25]
	v_mov_b32_e32 v28, s28
	s_xor_b64 exec, exec, s[24:25]
	s_cbranch_execnz .LBB305_331
.LBB305_100:                            ;   in Loop: Header=BB305_10 Depth=1
	s_or_b64 exec, exec, s[24:25]
	s_and_saveexec_b64 s[24:25], s[4:5]
	s_cbranch_execz .LBB305_102
.LBB305_101:                            ;   in Loop: Header=BB305_10 Depth=1
	v_bfe_u32 v2, v12, 16, 3
	v_ffbh_u32_e32 v0, v2
	v_min_u32_e32 v6, 32, v0
	v_subrev_u32_e32 v0, 28, v6
	v_bfe_u32 v3, v12, 19, 4
	v_lshlrev_b64 v[0:1], v0, v[8:9]
	v_sub_u32_e32 v1, 29, v6
	v_cmp_eq_u32_e64 s[4:5], 0, v3
	v_and_b32_e32 v0, 7, v0
	s_nop 0
	v_cndmask_b32_e64 v1, v3, v1, s[4:5]
	v_mov_b32_e32 v3, 0x1c00
	v_cndmask_b32_e64 v0, v2, v0, s[4:5]
	v_lshlrev_b32_e32 v2, 8, v8
	v_lshl_add_u32 v1, v1, 10, v3
	v_and_or_b32 v1, v2, s34, v1
	v_lshl_or_b32 v0, v0, 7, v1
	v_cvt_f32_f16_e32 v28, v0
.LBB305_102:                            ;   in Loop: Header=BB305_10 Depth=1
	s_or_b64 exec, exec, s[24:25]
	v_lshrrev_b32_e32 v8, 24, v12
	v_cmp_lt_i16_e64 s[4:5], s17, v8
	s_mov_b64 s[24:25], 0
                                        ; implicit-def: $sgpr35
	s_and_saveexec_b64 s[26:27], s[4:5]
	s_xor_b64 s[26:27], exec, s[26:27]
	s_cbranch_execnz .LBB305_332
; %bb.103:                              ;   in Loop: Header=BB305_10 Depth=1
	s_or_saveexec_b64 s[26:27], s[26:27]
	v_mov_b32_e32 v29, s35
	s_xor_b64 exec, exec, s[26:27]
	s_cbranch_execnz .LBB305_335
.LBB305_104:                            ;   in Loop: Header=BB305_10 Depth=1
	s_or_b64 exec, exec, s[26:27]
	s_and_saveexec_b64 s[26:27], s[24:25]
	s_cbranch_execz .LBB305_106
.LBB305_105:                            ;   in Loop: Header=BB305_10 Depth=1
	v_bfe_u32 v2, v12, 24, 3
	v_ffbh_u32_e32 v0, v2
	v_min_u32_e32 v6, 32, v0
	v_subrev_u32_e32 v0, 28, v6
	v_bfe_u32 v3, v12, 27, 4
	v_lshlrev_b64 v[0:1], v0, v[8:9]
	v_sub_u32_e32 v1, 29, v6
	v_cmp_eq_u32_e64 s[4:5], 0, v3
	v_and_b32_e32 v0, 7, v0
	s_nop 0
	v_cndmask_b32_e64 v1, v3, v1, s[4:5]
	v_mov_b32_e32 v3, 0x1c00
	v_cndmask_b32_e64 v0, v2, v0, s[4:5]
	v_lshlrev_b32_e32 v2, 8, v8
	v_lshl_add_u32 v1, v1, 10, v3
	v_and_or_b32 v1, v2, s34, v1
	v_lshl_or_b32 v0, v0, 7, v1
	v_cvt_f32_f16_e32 v29, v0
.LBB305_106:                            ;   in Loop: Header=BB305_10 Depth=1
	s_or_b64 exec, exec, s[26:27]
	flat_load_dword v12, v[36:37] offset:1536
	s_mov_b64 s[4:5], 0
                                        ; implicit-def: $sgpr28
	s_waitcnt vmcnt(0) lgkmcnt(0)
	v_cmp_gt_i16_sdwa s[24:25], v12, s17 src0_sel:BYTE_0 src1_sel:DWORD
	s_and_saveexec_b64 s[26:27], s[24:25]
	s_xor_b64 s[24:25], exec, s[26:27]
	s_cbranch_execnz .LBB305_336
; %bb.107:                              ;   in Loop: Header=BB305_10 Depth=1
	s_or_saveexec_b64 s[24:25], s[24:25]
	v_mov_b32_e32 v52, s28
	s_xor_b64 exec, exec, s[24:25]
	s_cbranch_execnz .LBB305_339
.LBB305_108:                            ;   in Loop: Header=BB305_10 Depth=1
	s_or_b64 exec, exec, s[24:25]
	s_and_saveexec_b64 s[24:25], s[4:5]
	s_cbranch_execz .LBB305_110
.LBB305_109:                            ;   in Loop: Header=BB305_10 Depth=1
	v_and_b32_e32 v2, 7, v12
	v_ffbh_u32_e32 v0, v2
	v_min_u32_e32 v6, 32, v0
	v_subrev_u32_e32 v0, 28, v6
	v_bfe_u32 v3, v12, 3, 4
	v_lshlrev_b64 v[0:1], v0, v[12:13]
	v_sub_u32_e32 v1, 29, v6
	v_cmp_eq_u32_e64 s[4:5], 0, v3
	v_and_b32_e32 v0, 7, v0
	s_nop 0
	v_cndmask_b32_e64 v1, v3, v1, s[4:5]
	v_mov_b32_e32 v3, 0x1c00
	v_cndmask_b32_e64 v0, v2, v0, s[4:5]
	v_lshlrev_b32_e32 v2, 8, v12
	v_lshl_add_u32 v1, v1, 10, v3
	v_and_or_b32 v1, v2, s34, v1
	v_lshl_or_b32 v0, v0, 7, v1
	v_cvt_f32_f16_e32 v52, v0
.LBB305_110:                            ;   in Loop: Header=BB305_10 Depth=1
	s_or_b64 exec, exec, s[24:25]
	v_lshrrev_b16_e32 v8, 8, v12
	v_cmp_lt_i16_e64 s[4:5], s17, v8
	s_mov_b64 s[24:25], 0
                                        ; implicit-def: $sgpr35
	s_and_saveexec_b64 s[26:27], s[4:5]
	s_xor_b64 s[26:27], exec, s[26:27]
	s_cbranch_execnz .LBB305_340
; %bb.111:                              ;   in Loop: Header=BB305_10 Depth=1
	s_or_saveexec_b64 s[26:27], s[26:27]
	v_mov_b32_e32 v38, s35
	s_xor_b64 exec, exec, s[26:27]
	s_cbranch_execnz .LBB305_343
.LBB305_112:                            ;   in Loop: Header=BB305_10 Depth=1
	s_or_b64 exec, exec, s[26:27]
	s_and_saveexec_b64 s[26:27], s[24:25]
	s_cbranch_execz .LBB305_114
.LBB305_113:                            ;   in Loop: Header=BB305_10 Depth=1
	v_and_b32_e32 v2, 7, v8
	v_ffbh_u32_e32 v0, v2
	v_min_u32_e32 v6, 32, v0
	v_subrev_u32_e32 v0, 28, v6
	v_bfe_u32 v3, v8, 3, 4
	v_lshlrev_b64 v[0:1], v0, v[8:9]
	v_sub_u32_e32 v1, 29, v6
	v_cmp_eq_u32_e64 s[4:5], 0, v3
	v_and_b32_e32 v0, 7, v0
	s_nop 0
	v_cndmask_b32_e64 v1, v3, v1, s[4:5]
	v_mov_b32_e32 v3, 0x1c00
	v_cndmask_b32_e64 v0, v2, v0, s[4:5]
	v_lshlrev_b32_e32 v2, 8, v8
	v_lshl_add_u32 v1, v1, 10, v3
	v_and_or_b32 v1, v2, s34, v1
	v_lshl_or_b32 v0, v0, 7, v1
	v_cvt_f32_f16_e32 v38, v0
.LBB305_114:                            ;   in Loop: Header=BB305_10 Depth=1
	s_or_b64 exec, exec, s[26:27]
	v_lshrrev_b32_e32 v8, 16, v12
	v_cmp_gt_i16_sdwa s[24:25], v8, s17 src0_sel:BYTE_0 src1_sel:DWORD
	s_mov_b64 s[4:5], 0
                                        ; implicit-def: $sgpr28
	s_and_saveexec_b64 s[26:27], s[24:25]
	s_xor_b64 s[24:25], exec, s[26:27]
	s_cbranch_execnz .LBB305_344
; %bb.115:                              ;   in Loop: Header=BB305_10 Depth=1
	s_or_saveexec_b64 s[24:25], s[24:25]
	v_mov_b32_e32 v49, s28
	s_xor_b64 exec, exec, s[24:25]
	s_cbranch_execnz .LBB305_347
.LBB305_116:                            ;   in Loop: Header=BB305_10 Depth=1
	s_or_b64 exec, exec, s[24:25]
	s_and_saveexec_b64 s[24:25], s[4:5]
	s_cbranch_execz .LBB305_118
.LBB305_117:                            ;   in Loop: Header=BB305_10 Depth=1
	v_bfe_u32 v2, v12, 16, 3
	v_ffbh_u32_e32 v0, v2
	v_min_u32_e32 v6, 32, v0
	v_subrev_u32_e32 v0, 28, v6
	v_bfe_u32 v3, v12, 19, 4
	v_lshlrev_b64 v[0:1], v0, v[8:9]
	v_sub_u32_e32 v1, 29, v6
	v_cmp_eq_u32_e64 s[4:5], 0, v3
	v_and_b32_e32 v0, 7, v0
	s_nop 0
	v_cndmask_b32_e64 v1, v3, v1, s[4:5]
	v_mov_b32_e32 v3, 0x1c00
	v_cndmask_b32_e64 v0, v2, v0, s[4:5]
	v_lshlrev_b32_e32 v2, 8, v8
	v_lshl_add_u32 v1, v1, 10, v3
	v_and_or_b32 v1, v2, s34, v1
	v_lshl_or_b32 v0, v0, 7, v1
	v_cvt_f32_f16_e32 v49, v0
.LBB305_118:                            ;   in Loop: Header=BB305_10 Depth=1
	s_or_b64 exec, exec, s[24:25]
	v_lshrrev_b32_e32 v8, 24, v12
	v_cmp_lt_i16_e64 s[4:5], s17, v8
	s_mov_b64 s[24:25], 0
                                        ; implicit-def: $sgpr35
	s_and_saveexec_b64 s[26:27], s[4:5]
	s_xor_b64 s[26:27], exec, s[26:27]
	s_cbranch_execnz .LBB305_348
; %bb.119:                              ;   in Loop: Header=BB305_10 Depth=1
	s_or_saveexec_b64 s[26:27], s[26:27]
	v_mov_b32_e32 v11, s35
	s_xor_b64 exec, exec, s[26:27]
	s_cbranch_execnz .LBB305_351
.LBB305_120:                            ;   in Loop: Header=BB305_10 Depth=1
	s_or_b64 exec, exec, s[26:27]
	s_and_saveexec_b64 s[26:27], s[24:25]
	s_cbranch_execz .LBB305_122
.LBB305_121:                            ;   in Loop: Header=BB305_10 Depth=1
	v_bfe_u32 v2, v12, 24, 3
	v_ffbh_u32_e32 v0, v2
	v_min_u32_e32 v6, 32, v0
	v_subrev_u32_e32 v0, 28, v6
	v_bfe_u32 v3, v12, 27, 4
	v_lshlrev_b64 v[0:1], v0, v[8:9]
	v_sub_u32_e32 v1, 29, v6
	v_cmp_eq_u32_e64 s[4:5], 0, v3
	v_and_b32_e32 v0, 7, v0
	s_nop 0
	v_cndmask_b32_e64 v1, v3, v1, s[4:5]
	v_mov_b32_e32 v3, 0x1c00
	v_cndmask_b32_e64 v0, v2, v0, s[4:5]
	v_lshlrev_b32_e32 v2, 8, v8
	v_lshl_add_u32 v1, v1, 10, v3
	v_and_or_b32 v1, v2, s34, v1
	v_lshl_or_b32 v0, v0, 7, v1
	v_cvt_f32_f16_e32 v11, v0
.LBB305_122:                            ;   in Loop: Header=BB305_10 Depth=1
	s_or_b64 exec, exec, s[26:27]
	flat_load_dword v12, v[36:37] offset:1544
	s_mov_b64 s[4:5], 0
                                        ; implicit-def: $sgpr28
	s_waitcnt vmcnt(0) lgkmcnt(0)
	v_cmp_gt_i16_sdwa s[24:25], v12, s17 src0_sel:BYTE_0 src1_sel:DWORD
	s_and_saveexec_b64 s[26:27], s[24:25]
	s_xor_b64 s[24:25], exec, s[26:27]
	s_cbranch_execnz .LBB305_352
; %bb.123:                              ;   in Loop: Header=BB305_10 Depth=1
	s_or_saveexec_b64 s[24:25], s[24:25]
	v_mov_b32_e32 v10, s28
	s_xor_b64 exec, exec, s[24:25]
	s_cbranch_execnz .LBB305_355
.LBB305_124:                            ;   in Loop: Header=BB305_10 Depth=1
	s_or_b64 exec, exec, s[24:25]
	s_and_saveexec_b64 s[24:25], s[4:5]
	s_cbranch_execz .LBB305_126
.LBB305_125:                            ;   in Loop: Header=BB305_10 Depth=1
	v_and_b32_e32 v2, 7, v12
	v_ffbh_u32_e32 v0, v2
	v_min_u32_e32 v6, 32, v0
	v_subrev_u32_e32 v0, 28, v6
	v_bfe_u32 v3, v12, 3, 4
	v_lshlrev_b64 v[0:1], v0, v[12:13]
	v_sub_u32_e32 v1, 29, v6
	v_cmp_eq_u32_e64 s[4:5], 0, v3
	v_and_b32_e32 v0, 7, v0
	s_nop 0
	v_cndmask_b32_e64 v1, v3, v1, s[4:5]
	v_mov_b32_e32 v3, 0x1c00
	v_cndmask_b32_e64 v0, v2, v0, s[4:5]
	v_lshlrev_b32_e32 v2, 8, v12
	v_lshl_add_u32 v1, v1, 10, v3
	v_and_or_b32 v1, v2, s34, v1
	v_lshl_or_b32 v0, v0, 7, v1
	v_cvt_f32_f16_e32 v10, v0
.LBB305_126:                            ;   in Loop: Header=BB305_10 Depth=1
	s_or_b64 exec, exec, s[24:25]
	v_lshrrev_b16_e32 v8, 8, v12
	v_cmp_lt_i16_e64 s[4:5], s17, v8
	s_mov_b64 s[24:25], 0
                                        ; implicit-def: $sgpr35
	s_and_saveexec_b64 s[26:27], s[4:5]
	s_xor_b64 s[26:27], exec, s[26:27]
	s_cbranch_execnz .LBB305_356
; %bb.127:                              ;   in Loop: Header=BB305_10 Depth=1
	s_or_saveexec_b64 s[26:27], s[26:27]
	v_mov_b32_e32 v1, s35
	s_xor_b64 exec, exec, s[26:27]
	s_cbranch_execnz .LBB305_359
.LBB305_128:                            ;   in Loop: Header=BB305_10 Depth=1
	s_or_b64 exec, exec, s[26:27]
	s_and_saveexec_b64 s[26:27], s[24:25]
	s_cbranch_execz .LBB305_130
.LBB305_129:                            ;   in Loop: Header=BB305_10 Depth=1
	v_and_b32_e32 v2, 7, v8
	v_ffbh_u32_e32 v0, v2
	v_min_u32_e32 v6, 32, v0
	v_subrev_u32_e32 v0, 28, v6
	v_bfe_u32 v3, v8, 3, 4
	v_lshlrev_b64 v[0:1], v0, v[8:9]
	v_sub_u32_e32 v1, 29, v6
	v_cmp_eq_u32_e64 s[4:5], 0, v3
	v_and_b32_e32 v0, 7, v0
	s_nop 0
	v_cndmask_b32_e64 v1, v3, v1, s[4:5]
	v_mov_b32_e32 v3, 0x1c00
	v_cndmask_b32_e64 v0, v2, v0, s[4:5]
	v_lshlrev_b32_e32 v2, 8, v8
	v_lshl_add_u32 v1, v1, 10, v3
	v_and_or_b32 v1, v2, s34, v1
	v_lshl_or_b32 v0, v0, 7, v1
	v_cvt_f32_f16_e32 v1, v0
.LBB305_130:                            ;   in Loop: Header=BB305_10 Depth=1
	s_or_b64 exec, exec, s[26:27]
	v_lshrrev_b32_e32 v8, 16, v12
	v_cmp_gt_i16_sdwa s[24:25], v8, s17 src0_sel:BYTE_0 src1_sel:DWORD
	s_mov_b64 s[4:5], 0
                                        ; implicit-def: $sgpr28
	s_and_saveexec_b64 s[26:27], s[24:25]
	s_xor_b64 s[24:25], exec, s[26:27]
	s_cbranch_execnz .LBB305_360
; %bb.131:                              ;   in Loop: Header=BB305_10 Depth=1
	s_or_saveexec_b64 s[24:25], s[24:25]
	v_mov_b32_e32 v0, s28
	s_xor_b64 exec, exec, s[24:25]
	s_cbranch_execnz .LBB305_363
.LBB305_132:                            ;   in Loop: Header=BB305_10 Depth=1
	s_or_b64 exec, exec, s[24:25]
	s_and_saveexec_b64 s[24:25], s[4:5]
	s_cbranch_execz .LBB305_134
.LBB305_133:                            ;   in Loop: Header=BB305_10 Depth=1
	v_bfe_u32 v0, v12, 16, 3
	v_ffbh_u32_e32 v2, v0
	v_min_u32_e32 v7, 32, v2
	v_subrev_u32_e32 v2, 28, v7
	v_bfe_u32 v6, v12, 19, 4
	v_lshlrev_b64 v[2:3], v2, v[8:9]
	v_sub_u32_e32 v3, 29, v7
	v_cmp_eq_u32_e64 s[4:5], 0, v6
	v_and_b32_e32 v2, 7, v2
	s_nop 0
	v_cndmask_b32_e64 v3, v6, v3, s[4:5]
	v_mov_b32_e32 v6, 0x1c00
	v_cndmask_b32_e64 v0, v0, v2, s[4:5]
	v_lshlrev_b32_e32 v2, 8, v8
	v_lshl_add_u32 v3, v3, 10, v6
	v_and_or_b32 v2, v2, s34, v3
	v_lshl_or_b32 v0, v0, 7, v2
	v_cvt_f32_f16_e32 v0, v0
.LBB305_134:                            ;   in Loop: Header=BB305_10 Depth=1
	s_or_b64 exec, exec, s[24:25]
	v_lshrrev_b32_e32 v8, 24, v12
	v_cmp_lt_i16_e64 s[4:5], s17, v8
	s_mov_b64 s[24:25], 0
                                        ; implicit-def: $sgpr35
	s_and_saveexec_b64 s[26:27], s[4:5]
	s_xor_b64 s[26:27], exec, s[26:27]
	s_cbranch_execnz .LBB305_364
; %bb.135:                              ;   in Loop: Header=BB305_10 Depth=1
	s_or_saveexec_b64 s[26:27], s[26:27]
	v_mov_b32_e32 v3, s35
	s_xor_b64 exec, exec, s[26:27]
	s_cbranch_execnz .LBB305_367
.LBB305_136:                            ;   in Loop: Header=BB305_10 Depth=1
	s_or_b64 exec, exec, s[26:27]
	s_and_saveexec_b64 s[26:27], s[24:25]
	s_cbranch_execz .LBB305_138
.LBB305_137:                            ;   in Loop: Header=BB305_10 Depth=1
	v_bfe_u32 v6, v12, 24, 3
	v_ffbh_u32_e32 v2, v6
	v_bfe_u32 v7, v12, 27, 4
	v_min_u32_e32 v12, 32, v2
	v_subrev_u32_e32 v2, 28, v12
	v_lshlrev_b64 v[2:3], v2, v[8:9]
	v_sub_u32_e32 v3, 29, v12
	v_cmp_eq_u32_e64 s[4:5], 0, v7
	v_and_b32_e32 v2, 7, v2
	s_nop 0
	v_cndmask_b32_e64 v3, v7, v3, s[4:5]
	v_mov_b32_e32 v7, 0x1c00
	v_cndmask_b32_e64 v2, v6, v2, s[4:5]
	v_lshlrev_b32_e32 v6, 8, v8
	v_lshl_add_u32 v3, v3, 10, v7
	v_and_or_b32 v3, v6, s34, v3
	v_lshl_or_b32 v2, v2, 7, v3
	v_cvt_f32_f16_e32 v3, v2
.LBB305_138:                            ;   in Loop: Header=BB305_10 Depth=1
	s_or_b64 exec, exec, s[26:27]
	flat_load_dword v12, v[36:37] offset:2048
	s_mov_b64 s[4:5], 0
                                        ; implicit-def: $sgpr28
	s_waitcnt vmcnt(0) lgkmcnt(0)
	v_cmp_gt_i16_sdwa s[24:25], v12, s17 src0_sel:BYTE_0 src1_sel:DWORD
	s_and_saveexec_b64 s[26:27], s[24:25]
	s_xor_b64 s[24:25], exec, s[26:27]
	s_cbranch_execnz .LBB305_368
; %bb.139:                              ;   in Loop: Header=BB305_10 Depth=1
	s_or_saveexec_b64 s[24:25], s[24:25]
	v_mov_b32_e32 v16, s28
	s_xor_b64 exec, exec, s[24:25]
	s_cbranch_execnz .LBB305_371
.LBB305_140:                            ;   in Loop: Header=BB305_10 Depth=1
	s_or_b64 exec, exec, s[24:25]
	s_and_saveexec_b64 s[24:25], s[4:5]
	s_cbranch_execz .LBB305_142
.LBB305_141:                            ;   in Loop: Header=BB305_10 Depth=1
	v_and_b32_e32 v2, 7, v12
	v_ffbh_u32_e32 v6, v2
	v_min_u32_e32 v13, 32, v6
	v_subrev_u32_e32 v6, 28, v13
	v_bfe_u32 v8, v12, 3, 4
	v_lshlrev_b64 v[6:7], v6, v[12:13]
	v_sub_u32_e32 v7, 29, v13
	v_cmp_eq_u32_e64 s[4:5], 0, v8
	v_and_b32_e32 v6, 7, v6
	s_nop 0
	v_cndmask_b32_e64 v7, v8, v7, s[4:5]
	v_mov_b32_e32 v8, 0x1c00
	v_cndmask_b32_e64 v2, v2, v6, s[4:5]
	v_lshlrev_b32_e32 v6, 8, v12
	v_lshl_add_u32 v7, v7, 10, v8
	v_and_or_b32 v6, v6, s34, v7
	v_lshl_or_b32 v2, v2, 7, v6
	v_cvt_f32_f16_e32 v16, v2
.LBB305_142:                            ;   in Loop: Header=BB305_10 Depth=1
	s_or_b64 exec, exec, s[24:25]
	v_lshrrev_b16_e32 v8, 8, v12
	v_cmp_lt_i16_e64 s[4:5], s17, v8
	s_mov_b64 s[24:25], 0
                                        ; implicit-def: $sgpr35
	s_and_saveexec_b64 s[26:27], s[4:5]
	s_xor_b64 s[26:27], exec, s[26:27]
	s_cbranch_execnz .LBB305_372
; %bb.143:                              ;   in Loop: Header=BB305_10 Depth=1
	s_or_saveexec_b64 s[26:27], s[26:27]
	v_mov_b32_e32 v15, s35
	s_xor_b64 exec, exec, s[26:27]
	s_cbranch_execnz .LBB305_375
.LBB305_144:                            ;   in Loop: Header=BB305_10 Depth=1
	s_or_b64 exec, exec, s[26:27]
	s_and_saveexec_b64 s[26:27], s[24:25]
	s_cbranch_execz .LBB305_146
.LBB305_145:                            ;   in Loop: Header=BB305_10 Depth=1
	v_and_b32_e32 v13, 7, v8
	v_ffbh_u32_e32 v6, v13
	v_min_u32_e32 v15, 32, v6
	v_subrev_u32_e32 v6, 28, v15
	v_bfe_u32 v14, v8, 3, 4
	v_lshlrev_b64 v[6:7], v6, v[8:9]
	v_sub_u32_e32 v7, 29, v15
	v_cmp_eq_u32_e64 s[4:5], 0, v14
	v_mov_b32_e32 v2, 0x1c00
	v_and_b32_e32 v6, 7, v6
	v_cndmask_b32_e64 v7, v14, v7, s[4:5]
	v_lshlrev_b32_e32 v8, 8, v8
	v_lshl_add_u32 v7, v7, 10, v2
	v_cndmask_b32_e64 v6, v13, v6, s[4:5]
	v_and_or_b32 v7, v8, s34, v7
	v_lshl_or_b32 v6, v6, 7, v7
	v_cvt_f32_f16_e32 v15, v6
.LBB305_146:                            ;   in Loop: Header=BB305_10 Depth=1
	s_or_b64 exec, exec, s[26:27]
	v_lshrrev_b32_e32 v8, 16, v12
	v_cmp_gt_i16_sdwa s[24:25], v8, s17 src0_sel:BYTE_0 src1_sel:DWORD
	s_mov_b64 s[4:5], 0
                                        ; implicit-def: $sgpr28
	s_and_saveexec_b64 s[26:27], s[24:25]
	s_xor_b64 s[24:25], exec, s[26:27]
	s_cbranch_execnz .LBB305_376
; %bb.147:                              ;   in Loop: Header=BB305_10 Depth=1
	s_or_saveexec_b64 s[24:25], s[24:25]
	v_mov_b32_e32 v14, s28
	s_xor_b64 exec, exec, s[24:25]
	s_cbranch_execnz .LBB305_379
.LBB305_148:                            ;   in Loop: Header=BB305_10 Depth=1
	s_or_b64 exec, exec, s[24:25]
	s_and_saveexec_b64 s[24:25], s[4:5]
	s_cbranch_execz .LBB305_150
.LBB305_149:                            ;   in Loop: Header=BB305_10 Depth=1
	v_bfe_u32 v13, v12, 16, 3
	v_ffbh_u32_e32 v6, v13
	v_min_u32_e32 v22, 32, v6
	v_subrev_u32_e32 v6, 28, v22
	v_bfe_u32 v14, v12, 19, 4
	v_lshlrev_b64 v[6:7], v6, v[8:9]
	v_sub_u32_e32 v7, 29, v22
	v_cmp_eq_u32_e64 s[4:5], 0, v14
	v_mov_b32_e32 v2, 0x1c00
	v_and_b32_e32 v6, 7, v6
	v_cndmask_b32_e64 v7, v14, v7, s[4:5]
	v_lshlrev_b32_e32 v8, 8, v8
	v_lshl_add_u32 v7, v7, 10, v2
	v_cndmask_b32_e64 v6, v13, v6, s[4:5]
	v_and_or_b32 v7, v8, s34, v7
	v_lshl_or_b32 v6, v6, 7, v7
	v_cvt_f32_f16_e32 v14, v6
.LBB305_150:                            ;   in Loop: Header=BB305_10 Depth=1
	s_or_b64 exec, exec, s[24:25]
	v_lshrrev_b32_e32 v8, 24, v12
	v_cmp_lt_i16_e64 s[4:5], s17, v8
	s_mov_b64 s[24:25], 0
                                        ; implicit-def: $sgpr35
	s_and_saveexec_b64 s[26:27], s[4:5]
	s_xor_b64 s[26:27], exec, s[26:27]
	s_cbranch_execnz .LBB305_380
; %bb.151:                              ;   in Loop: Header=BB305_10 Depth=1
	s_or_saveexec_b64 s[26:27], s[26:27]
	v_mov_b32_e32 v13, s35
	s_xor_b64 exec, exec, s[26:27]
	s_cbranch_execnz .LBB305_383
.LBB305_152:                            ;   in Loop: Header=BB305_10 Depth=1
	s_or_b64 exec, exec, s[26:27]
	s_and_saveexec_b64 s[26:27], s[24:25]
	s_cbranch_execz .LBB305_154
.LBB305_153:                            ;   in Loop: Header=BB305_10 Depth=1
	v_bfe_u32 v13, v12, 24, 3
	v_ffbh_u32_e32 v6, v13
	v_min_u32_e32 v22, 32, v6
	v_subrev_u32_e32 v6, 28, v22
	v_bfe_u32 v12, v12, 27, 4
	v_lshlrev_b64 v[6:7], v6, v[8:9]
	v_sub_u32_e32 v7, 29, v22
	v_cmp_eq_u32_e64 s[4:5], 0, v12
	v_mov_b32_e32 v2, 0x1c00
	v_and_b32_e32 v6, 7, v6
	v_cndmask_b32_e64 v7, v12, v7, s[4:5]
	v_lshlrev_b32_e32 v8, 8, v8
	v_lshl_add_u32 v7, v7, 10, v2
	v_cndmask_b32_e64 v6, v13, v6, s[4:5]
	v_and_or_b32 v7, v8, s34, v7
	v_lshl_or_b32 v6, v6, 7, v7
	v_cvt_f32_f16_e32 v13, v6
.LBB305_154:                            ;   in Loop: Header=BB305_10 Depth=1
	s_or_b64 exec, exec, s[26:27]
	flat_load_dword v12, v[36:37] offset:2056
	s_mov_b64 s[4:5], 0
                                        ; implicit-def: $sgpr28
	s_waitcnt vmcnt(0) lgkmcnt(0)
	v_cmp_gt_i16_sdwa s[24:25], v12, s17 src0_sel:BYTE_0 src1_sel:DWORD
	s_and_saveexec_b64 s[26:27], s[24:25]
	s_xor_b64 s[24:25], exec, s[26:27]
	s_cbranch_execnz .LBB305_384
; %bb.155:                              ;   in Loop: Header=BB305_10 Depth=1
	s_or_saveexec_b64 s[24:25], s[24:25]
	v_mov_b32_e32 v30, s28
	s_xor_b64 exec, exec, s[24:25]
	s_cbranch_execnz .LBB305_387
.LBB305_156:                            ;   in Loop: Header=BB305_10 Depth=1
	s_or_b64 exec, exec, s[24:25]
	s_and_saveexec_b64 s[24:25], s[4:5]
	s_cbranch_execz .LBB305_158
.LBB305_157:                            ;   in Loop: Header=BB305_10 Depth=1
	v_and_b32_e32 v8, 7, v12
	v_ffbh_u32_e32 v6, v8
	v_min_u32_e32 v24, 32, v6
	v_subrev_u32_e32 v6, 28, v24
	v_bfe_u32 v22, v12, 3, 4
	v_lshlrev_b64 v[6:7], v6, v[12:13]
	v_sub_u32_e32 v7, 29, v24
	v_cmp_eq_u32_e64 s[4:5], 0, v22
	v_and_b32_e32 v6, 7, v6
	v_mov_b32_e32 v2, 0x1c00
	v_cndmask_b32_e64 v7, v22, v7, s[4:5]
	v_cndmask_b32_e64 v6, v8, v6, s[4:5]
	v_lshlrev_b32_e32 v8, 8, v12
	v_lshl_add_u32 v7, v7, 10, v2
	v_and_or_b32 v7, v8, s34, v7
	v_lshl_or_b32 v6, v6, 7, v7
	v_cvt_f32_f16_e32 v30, v6
.LBB305_158:                            ;   in Loop: Header=BB305_10 Depth=1
	s_or_b64 exec, exec, s[24:25]
	v_lshrrev_b16_e32 v8, 8, v12
	v_cmp_lt_i16_e64 s[4:5], s17, v8
	s_mov_b64 s[24:25], 0
                                        ; implicit-def: $sgpr35
	s_and_saveexec_b64 s[26:27], s[4:5]
	s_xor_b64 s[26:27], exec, s[26:27]
	s_cbranch_execnz .LBB305_388
; %bb.159:                              ;   in Loop: Header=BB305_10 Depth=1
	s_or_saveexec_b64 s[26:27], s[26:27]
	v_mov_b32_e32 v31, s35
	s_xor_b64 exec, exec, s[26:27]
	s_cbranch_execnz .LBB305_391
.LBB305_160:                            ;   in Loop: Header=BB305_10 Depth=1
	s_or_b64 exec, exec, s[26:27]
	s_and_saveexec_b64 s[26:27], s[24:25]
	s_cbranch_execz .LBB305_162
.LBB305_161:                            ;   in Loop: Header=BB305_10 Depth=1
	v_and_b32_e32 v22, 7, v8
	v_ffbh_u32_e32 v6, v22
	v_min_u32_e32 v25, 32, v6
	v_subrev_u32_e32 v6, 28, v25
	v_bfe_u32 v24, v8, 3, 4
	v_lshlrev_b64 v[6:7], v6, v[8:9]
	v_sub_u32_e32 v7, 29, v25
	v_cmp_eq_u32_e64 s[4:5], 0, v24
	v_mov_b32_e32 v2, 0x1c00
	v_and_b32_e32 v6, 7, v6
	v_cndmask_b32_e64 v7, v24, v7, s[4:5]
	v_lshlrev_b32_e32 v8, 8, v8
	v_lshl_add_u32 v7, v7, 10, v2
	v_cndmask_b32_e64 v6, v22, v6, s[4:5]
	v_and_or_b32 v7, v8, s34, v7
	v_lshl_or_b32 v6, v6, 7, v7
	v_cvt_f32_f16_e32 v31, v6
.LBB305_162:                            ;   in Loop: Header=BB305_10 Depth=1
	s_or_b64 exec, exec, s[26:27]
	v_lshrrev_b32_e32 v8, 16, v12
	v_cmp_gt_i16_sdwa s[24:25], v8, s17 src0_sel:BYTE_0 src1_sel:DWORD
	s_mov_b64 s[4:5], 0
                                        ; implicit-def: $sgpr28
	s_and_saveexec_b64 s[26:27], s[24:25]
	s_xor_b64 s[24:25], exec, s[26:27]
	s_cbranch_execnz .LBB305_392
; %bb.163:                              ;   in Loop: Header=BB305_10 Depth=1
	s_or_saveexec_b64 s[24:25], s[24:25]
	v_mov_b32_e32 v32, s28
	s_xor_b64 exec, exec, s[24:25]
	s_cbranch_execnz .LBB305_395
.LBB305_164:                            ;   in Loop: Header=BB305_10 Depth=1
	s_or_b64 exec, exec, s[24:25]
	s_and_saveexec_b64 s[24:25], s[4:5]
	s_cbranch_execz .LBB305_166
.LBB305_165:                            ;   in Loop: Header=BB305_10 Depth=1
	v_bfe_u32 v22, v12, 16, 3
	v_ffbh_u32_e32 v6, v22
	v_min_u32_e32 v25, 32, v6
	v_subrev_u32_e32 v6, 28, v25
	v_bfe_u32 v24, v12, 19, 4
	v_lshlrev_b64 v[6:7], v6, v[8:9]
	v_sub_u32_e32 v7, 29, v25
	v_cmp_eq_u32_e64 s[4:5], 0, v24
	v_mov_b32_e32 v2, 0x1c00
	v_and_b32_e32 v6, 7, v6
	v_cndmask_b32_e64 v7, v24, v7, s[4:5]
	v_lshlrev_b32_e32 v8, 8, v8
	v_lshl_add_u32 v7, v7, 10, v2
	v_cndmask_b32_e64 v6, v22, v6, s[4:5]
	v_and_or_b32 v7, v8, s34, v7
	v_lshl_or_b32 v6, v6, 7, v7
	v_cvt_f32_f16_e32 v32, v6
.LBB305_166:                            ;   in Loop: Header=BB305_10 Depth=1
	s_or_b64 exec, exec, s[24:25]
	v_lshrrev_b32_e32 v8, 24, v12
	v_cmp_lt_i16_e64 s[4:5], s17, v8
	s_mov_b64 s[24:25], 0
                                        ; implicit-def: $sgpr35
	s_and_saveexec_b64 s[26:27], s[4:5]
	s_xor_b64 s[26:27], exec, s[26:27]
	s_cbranch_execnz .LBB305_396
; %bb.167:                              ;   in Loop: Header=BB305_10 Depth=1
	s_or_saveexec_b64 s[26:27], s[26:27]
	v_mov_b32_e32 v33, s35
	s_xor_b64 exec, exec, s[26:27]
	s_cbranch_execnz .LBB305_399
.LBB305_168:                            ;   in Loop: Header=BB305_10 Depth=1
	s_or_b64 exec, exec, s[26:27]
	s_and_saveexec_b64 s[26:27], s[24:25]
	s_cbranch_execz .LBB305_170
.LBB305_169:                            ;   in Loop: Header=BB305_10 Depth=1
	v_bfe_u32 v22, v12, 24, 3
	v_ffbh_u32_e32 v6, v22
	v_min_u32_e32 v24, 32, v6
	v_subrev_u32_e32 v6, 28, v24
	v_bfe_u32 v12, v12, 27, 4
	v_lshlrev_b64 v[6:7], v6, v[8:9]
	v_sub_u32_e32 v7, 29, v24
	v_cmp_eq_u32_e64 s[4:5], 0, v12
	v_mov_b32_e32 v2, 0x1c00
	v_and_b32_e32 v6, 7, v6
	v_cndmask_b32_e64 v7, v12, v7, s[4:5]
	v_lshlrev_b32_e32 v8, 8, v8
	v_lshl_add_u32 v7, v7, 10, v2
	v_cndmask_b32_e64 v6, v22, v6, s[4:5]
	v_and_or_b32 v7, v8, s34, v7
	v_lshl_or_b32 v6, v6, 7, v7
	v_cvt_f32_f16_e32 v33, v6
.LBB305_170:                            ;   in Loop: Header=BB305_10 Depth=1
	s_or_b64 exec, exec, s[26:27]
	flat_load_dword v12, v[36:37] offset:2560
	s_mov_b64 s[4:5], 0
                                        ; implicit-def: $sgpr28
	s_waitcnt vmcnt(0) lgkmcnt(0)
	v_cmp_gt_i16_sdwa s[24:25], v12, s17 src0_sel:BYTE_0 src1_sel:DWORD
	s_and_saveexec_b64 s[26:27], s[24:25]
	s_xor_b64 s[24:25], exec, s[26:27]
	s_cbranch_execnz .LBB305_400
; %bb.171:                              ;   in Loop: Header=BB305_10 Depth=1
	s_or_saveexec_b64 s[24:25], s[24:25]
	v_mov_b32_e32 v51, s28
	s_xor_b64 exec, exec, s[24:25]
	s_cbranch_execnz .LBB305_403
.LBB305_172:                            ;   in Loop: Header=BB305_10 Depth=1
	s_or_b64 exec, exec, s[24:25]
	s_and_saveexec_b64 s[24:25], s[4:5]
	s_cbranch_execz .LBB305_174
.LBB305_173:                            ;   in Loop: Header=BB305_10 Depth=1
	v_and_b32_e32 v8, 7, v12
	v_ffbh_u32_e32 v6, v8
	v_min_u32_e32 v24, 32, v6
	v_subrev_u32_e32 v6, 28, v24
	v_bfe_u32 v22, v12, 3, 4
	v_lshlrev_b64 v[6:7], v6, v[12:13]
	v_sub_u32_e32 v7, 29, v24
	v_cmp_eq_u32_e64 s[4:5], 0, v22
	v_and_b32_e32 v6, 7, v6
	v_mov_b32_e32 v2, 0x1c00
	v_cndmask_b32_e64 v7, v22, v7, s[4:5]
	v_cndmask_b32_e64 v6, v8, v6, s[4:5]
	v_lshlrev_b32_e32 v8, 8, v12
	v_lshl_add_u32 v7, v7, 10, v2
	v_and_or_b32 v7, v8, s34, v7
	v_lshl_or_b32 v6, v6, 7, v7
	v_cvt_f32_f16_e32 v51, v6
.LBB305_174:                            ;   in Loop: Header=BB305_10 Depth=1
	s_or_b64 exec, exec, s[24:25]
	v_lshrrev_b16_e32 v8, 8, v12
	v_cmp_lt_i16_e64 s[4:5], s17, v8
	s_mov_b64 s[24:25], 0
                                        ; implicit-def: $sgpr35
	s_and_saveexec_b64 s[26:27], s[4:5]
	s_xor_b64 s[26:27], exec, s[26:27]
	s_cbranch_execnz .LBB305_404
; %bb.175:                              ;   in Loop: Header=BB305_10 Depth=1
	s_or_saveexec_b64 s[26:27], s[26:27]
	v_mov_b32_e32 v22, s35
	s_xor_b64 exec, exec, s[26:27]
	s_cbranch_execnz .LBB305_407
.LBB305_176:                            ;   in Loop: Header=BB305_10 Depth=1
	s_or_b64 exec, exec, s[26:27]
	s_and_saveexec_b64 s[26:27], s[24:25]
	s_cbranch_execz .LBB305_178
.LBB305_177:                            ;   in Loop: Header=BB305_10 Depth=1
	v_and_b32_e32 v22, 7, v8
	v_ffbh_u32_e32 v6, v22
	v_min_u32_e32 v25, 32, v6
	v_subrev_u32_e32 v6, 28, v25
	v_bfe_u32 v24, v8, 3, 4
	v_lshlrev_b64 v[6:7], v6, v[8:9]
	v_sub_u32_e32 v7, 29, v25
	v_cmp_eq_u32_e64 s[4:5], 0, v24
	v_mov_b32_e32 v2, 0x1c00
	v_and_b32_e32 v6, 7, v6
	v_cndmask_b32_e64 v7, v24, v7, s[4:5]
	v_lshlrev_b32_e32 v8, 8, v8
	v_lshl_add_u32 v7, v7, 10, v2
	v_cndmask_b32_e64 v6, v22, v6, s[4:5]
	v_and_or_b32 v7, v8, s34, v7
	v_lshl_or_b32 v6, v6, 7, v7
	v_cvt_f32_f16_e32 v22, v6
.LBB305_178:                            ;   in Loop: Header=BB305_10 Depth=1
	s_or_b64 exec, exec, s[26:27]
	v_lshrrev_b32_e32 v8, 16, v12
	v_cmp_gt_i16_sdwa s[24:25], v8, s17 src0_sel:BYTE_0 src1_sel:DWORD
	s_mov_b64 s[4:5], 0
                                        ; implicit-def: $sgpr28
	s_and_saveexec_b64 s[26:27], s[24:25]
	s_xor_b64 s[24:25], exec, s[26:27]
	s_cbranch_execnz .LBB305_408
; %bb.179:                              ;   in Loop: Header=BB305_10 Depth=1
	s_or_saveexec_b64 s[24:25], s[24:25]
	v_mov_b32_e32 v25, s28
	s_xor_b64 exec, exec, s[24:25]
	s_cbranch_execnz .LBB305_411
.LBB305_180:                            ;   in Loop: Header=BB305_10 Depth=1
	s_or_b64 exec, exec, s[24:25]
	s_and_saveexec_b64 s[24:25], s[4:5]
	s_cbranch_execz .LBB305_182
.LBB305_181:                            ;   in Loop: Header=BB305_10 Depth=1
	v_bfe_u32 v24, v12, 16, 3
	v_ffbh_u32_e32 v6, v24
	v_min_u32_e32 v26, 32, v6
	v_subrev_u32_e32 v6, 28, v26
	v_bfe_u32 v25, v12, 19, 4
	v_lshlrev_b64 v[6:7], v6, v[8:9]
	v_sub_u32_e32 v7, 29, v26
	v_cmp_eq_u32_e64 s[4:5], 0, v25
	v_mov_b32_e32 v2, 0x1c00
	v_and_b32_e32 v6, 7, v6
	v_cndmask_b32_e64 v7, v25, v7, s[4:5]
	v_lshlrev_b32_e32 v8, 8, v8
	v_lshl_add_u32 v7, v7, 10, v2
	v_cndmask_b32_e64 v6, v24, v6, s[4:5]
	v_and_or_b32 v7, v8, s34, v7
	v_lshl_or_b32 v6, v6, 7, v7
	v_cvt_f32_f16_e32 v25, v6
.LBB305_182:                            ;   in Loop: Header=BB305_10 Depth=1
	s_or_b64 exec, exec, s[24:25]
	v_lshrrev_b32_e32 v8, 24, v12
	v_cmp_lt_i16_e64 s[4:5], s17, v8
	s_mov_b64 s[24:25], 0
                                        ; implicit-def: $sgpr35
	s_and_saveexec_b64 s[26:27], s[4:5]
	s_xor_b64 s[26:27], exec, s[26:27]
	s_cbranch_execnz .LBB305_412
; %bb.183:                              ;   in Loop: Header=BB305_10 Depth=1
	s_or_saveexec_b64 s[26:27], s[26:27]
	v_mov_b32_e32 v24, s35
	s_xor_b64 exec, exec, s[26:27]
	s_cbranch_execnz .LBB305_415
.LBB305_184:                            ;   in Loop: Header=BB305_10 Depth=1
	s_or_b64 exec, exec, s[26:27]
	s_and_saveexec_b64 s[26:27], s[24:25]
	s_cbranch_execz .LBB305_186
.LBB305_185:                            ;   in Loop: Header=BB305_10 Depth=1
	v_bfe_u32 v24, v12, 24, 3
	v_ffbh_u32_e32 v6, v24
	v_min_u32_e32 v26, 32, v6
	v_subrev_u32_e32 v6, 28, v26
	v_bfe_u32 v12, v12, 27, 4
	v_lshlrev_b64 v[6:7], v6, v[8:9]
	v_sub_u32_e32 v7, 29, v26
	v_cmp_eq_u32_e64 s[4:5], 0, v12
	v_mov_b32_e32 v2, 0x1c00
	v_and_b32_e32 v6, 7, v6
	v_cndmask_b32_e64 v7, v12, v7, s[4:5]
	v_lshlrev_b32_e32 v8, 8, v8
	v_lshl_add_u32 v7, v7, 10, v2
	v_cndmask_b32_e64 v6, v24, v6, s[4:5]
	v_and_or_b32 v7, v8, s34, v7
	v_lshl_or_b32 v6, v6, 7, v7
	v_cvt_f32_f16_e32 v24, v6
.LBB305_186:                            ;   in Loop: Header=BB305_10 Depth=1
	s_or_b64 exec, exec, s[26:27]
	flat_load_dword v12, v[36:37] offset:2568
	s_mov_b64 s[4:5], 0
                                        ; implicit-def: $sgpr28
	s_waitcnt vmcnt(0) lgkmcnt(0)
	v_cmp_gt_i16_sdwa s[24:25], v12, s17 src0_sel:BYTE_0 src1_sel:DWORD
	s_and_saveexec_b64 s[26:27], s[24:25]
	s_xor_b64 s[24:25], exec, s[26:27]
	s_cbranch_execnz .LBB305_416
; %bb.187:                              ;   in Loop: Header=BB305_10 Depth=1
	s_or_saveexec_b64 s[24:25], s[24:25]
	v_mov_b32_e32 v42, s28
	s_xor_b64 exec, exec, s[24:25]
	s_cbranch_execnz .LBB305_419
.LBB305_188:                            ;   in Loop: Header=BB305_10 Depth=1
	s_or_b64 exec, exec, s[24:25]
	s_and_saveexec_b64 s[24:25], s[4:5]
	s_cbranch_execz .LBB305_190
.LBB305_189:                            ;   in Loop: Header=BB305_10 Depth=1
	v_and_b32_e32 v8, 7, v12
	v_ffbh_u32_e32 v6, v8
	v_min_u32_e32 v27, 32, v6
	v_subrev_u32_e32 v6, 28, v27
	v_bfe_u32 v26, v12, 3, 4
	v_lshlrev_b64 v[6:7], v6, v[12:13]
	v_sub_u32_e32 v7, 29, v27
	v_cmp_eq_u32_e64 s[4:5], 0, v26
	v_and_b32_e32 v6, 7, v6
	v_mov_b32_e32 v2, 0x1c00
	v_cndmask_b32_e64 v7, v26, v7, s[4:5]
	v_cndmask_b32_e64 v6, v8, v6, s[4:5]
	v_lshlrev_b32_e32 v8, 8, v12
	v_lshl_add_u32 v7, v7, 10, v2
	v_and_or_b32 v7, v8, s34, v7
	v_lshl_or_b32 v6, v6, 7, v7
	v_cvt_f32_f16_e32 v42, v6
.LBB305_190:                            ;   in Loop: Header=BB305_10 Depth=1
	s_or_b64 exec, exec, s[24:25]
	v_lshrrev_b16_e32 v8, 8, v12
	v_cmp_lt_i16_e64 s[4:5], s17, v8
	s_mov_b64 s[24:25], 0
                                        ; implicit-def: $sgpr35
	s_and_saveexec_b64 s[26:27], s[4:5]
	s_xor_b64 s[26:27], exec, s[26:27]
	s_cbranch_execnz .LBB305_420
; %bb.191:                              ;   in Loop: Header=BB305_10 Depth=1
	s_or_saveexec_b64 s[26:27], s[26:27]
	v_mov_b32_e32 v43, s35
	s_xor_b64 exec, exec, s[26:27]
	s_cbranch_execnz .LBB305_423
.LBB305_192:                            ;   in Loop: Header=BB305_10 Depth=1
	s_or_b64 exec, exec, s[26:27]
	s_and_saveexec_b64 s[26:27], s[24:25]
	s_cbranch_execz .LBB305_194
.LBB305_193:                            ;   in Loop: Header=BB305_10 Depth=1
	v_and_b32_e32 v26, 7, v8
	v_ffbh_u32_e32 v6, v26
	v_min_u32_e32 v50, 32, v6
	v_subrev_u32_e32 v6, 28, v50
	v_bfe_u32 v27, v8, 3, 4
	v_lshlrev_b64 v[6:7], v6, v[8:9]
	v_sub_u32_e32 v7, 29, v50
	v_cmp_eq_u32_e64 s[4:5], 0, v27
	v_mov_b32_e32 v2, 0x1c00
	v_and_b32_e32 v6, 7, v6
	v_cndmask_b32_e64 v7, v27, v7, s[4:5]
	v_lshlrev_b32_e32 v8, 8, v8
	v_lshl_add_u32 v7, v7, 10, v2
	v_cndmask_b32_e64 v6, v26, v6, s[4:5]
	v_and_or_b32 v7, v8, s34, v7
	v_lshl_or_b32 v6, v6, 7, v7
	v_cvt_f32_f16_e32 v43, v6
.LBB305_194:                            ;   in Loop: Header=BB305_10 Depth=1
	s_or_b64 exec, exec, s[26:27]
	v_lshrrev_b32_e32 v8, 16, v12
	v_cmp_gt_i16_sdwa s[24:25], v8, s17 src0_sel:BYTE_0 src1_sel:DWORD
	s_mov_b64 s[4:5], 0
                                        ; implicit-def: $sgpr28
	s_and_saveexec_b64 s[26:27], s[24:25]
	s_xor_b64 s[24:25], exec, s[26:27]
	s_cbranch_execnz .LBB305_424
; %bb.195:                              ;   in Loop: Header=BB305_10 Depth=1
	s_or_saveexec_b64 s[24:25], s[24:25]
	v_mov_b32_e32 v27, s28
	s_xor_b64 exec, exec, s[24:25]
	s_cbranch_execnz .LBB305_427
.LBB305_196:                            ;   in Loop: Header=BB305_10 Depth=1
	s_or_b64 exec, exec, s[24:25]
	s_and_saveexec_b64 s[24:25], s[4:5]
	s_cbranch_execz .LBB305_198
.LBB305_197:                            ;   in Loop: Header=BB305_10 Depth=1
	v_bfe_u32 v26, v12, 16, 3
	v_ffbh_u32_e32 v6, v26
	v_min_u32_e32 v50, 32, v6
	v_subrev_u32_e32 v6, 28, v50
	v_bfe_u32 v27, v12, 19, 4
	v_lshlrev_b64 v[6:7], v6, v[8:9]
	v_sub_u32_e32 v7, 29, v50
	v_cmp_eq_u32_e64 s[4:5], 0, v27
	v_mov_b32_e32 v2, 0x1c00
	v_and_b32_e32 v6, 7, v6
	v_cndmask_b32_e64 v7, v27, v7, s[4:5]
	v_lshlrev_b32_e32 v8, 8, v8
	v_lshl_add_u32 v7, v7, 10, v2
	v_cndmask_b32_e64 v6, v26, v6, s[4:5]
	v_and_or_b32 v7, v8, s34, v7
	v_lshl_or_b32 v6, v6, 7, v7
	v_cvt_f32_f16_e32 v27, v6
.LBB305_198:                            ;   in Loop: Header=BB305_10 Depth=1
	s_or_b64 exec, exec, s[24:25]
	v_lshrrev_b32_e32 v8, 24, v12
	v_cmp_lt_i16_e64 s[4:5], s17, v8
	s_mov_b64 s[24:25], 0
                                        ; implicit-def: $sgpr35
	s_and_saveexec_b64 s[26:27], s[4:5]
	s_xor_b64 s[26:27], exec, s[26:27]
	s_cbranch_execnz .LBB305_428
; %bb.199:                              ;   in Loop: Header=BB305_10 Depth=1
	s_or_saveexec_b64 s[26:27], s[26:27]
	v_mov_b32_e32 v26, s35
	s_xor_b64 exec, exec, s[26:27]
	s_cbranch_execnz .LBB305_431
.LBB305_200:                            ;   in Loop: Header=BB305_10 Depth=1
	s_or_b64 exec, exec, s[26:27]
	s_and_saveexec_b64 s[26:27], s[24:25]
	s_cbranch_execz .LBB305_202
.LBB305_201:                            ;   in Loop: Header=BB305_10 Depth=1
	v_bfe_u32 v26, v12, 24, 3
	v_ffbh_u32_e32 v6, v26
	v_min_u32_e32 v50, 32, v6
	v_subrev_u32_e32 v6, 28, v50
	v_bfe_u32 v12, v12, 27, 4
	v_lshlrev_b64 v[6:7], v6, v[8:9]
	v_sub_u32_e32 v7, 29, v50
	v_cmp_eq_u32_e64 s[4:5], 0, v12
	v_mov_b32_e32 v2, 0x1c00
	v_and_b32_e32 v6, 7, v6
	v_cndmask_b32_e64 v7, v12, v7, s[4:5]
	v_lshlrev_b32_e32 v8, 8, v8
	v_lshl_add_u32 v7, v7, 10, v2
	v_cndmask_b32_e64 v6, v26, v6, s[4:5]
	v_and_or_b32 v7, v8, s34, v7
	v_lshl_or_b32 v6, v6, 7, v7
	v_cvt_f32_f16_e32 v26, v6
.LBB305_202:                            ;   in Loop: Header=BB305_10 Depth=1
	s_or_b64 exec, exec, s[26:27]
	flat_load_dword v12, v[36:37] offset:3072
	s_mov_b64 s[4:5], 0
                                        ; implicit-def: $sgpr28
	s_waitcnt vmcnt(0) lgkmcnt(0)
	v_cmp_gt_i16_sdwa s[24:25], v12, s17 src0_sel:BYTE_0 src1_sel:DWORD
	s_and_saveexec_b64 s[26:27], s[24:25]
	s_xor_b64 s[24:25], exec, s[26:27]
	s_cbranch_execnz .LBB305_432
; %bb.203:                              ;   in Loop: Header=BB305_10 Depth=1
	s_or_saveexec_b64 s[24:25], s[24:25]
	v_mov_b32_e32 v44, s28
	s_xor_b64 exec, exec, s[24:25]
	s_cbranch_execnz .LBB305_435
.LBB305_204:                            ;   in Loop: Header=BB305_10 Depth=1
	s_or_b64 exec, exec, s[24:25]
	s_and_saveexec_b64 s[24:25], s[4:5]
	s_cbranch_execz .LBB305_206
.LBB305_205:                            ;   in Loop: Header=BB305_10 Depth=1
	v_and_b32_e32 v8, 7, v12
	v_ffbh_u32_e32 v6, v8
	v_min_u32_e32 v44, 32, v6
	v_subrev_u32_e32 v6, 28, v44
	v_bfe_u32 v50, v12, 3, 4
	v_lshlrev_b64 v[6:7], v6, v[12:13]
	v_sub_u32_e32 v7, 29, v44
	v_cmp_eq_u32_e64 s[4:5], 0, v50
	v_and_b32_e32 v6, 7, v6
	v_mov_b32_e32 v2, 0x1c00
	v_cndmask_b32_e64 v7, v50, v7, s[4:5]
	v_cndmask_b32_e64 v6, v8, v6, s[4:5]
	v_lshlrev_b32_e32 v8, 8, v12
	v_lshl_add_u32 v7, v7, 10, v2
	v_and_or_b32 v7, v8, s34, v7
	v_lshl_or_b32 v6, v6, 7, v7
	v_cvt_f32_f16_e32 v44, v6
.LBB305_206:                            ;   in Loop: Header=BB305_10 Depth=1
	s_or_b64 exec, exec, s[24:25]
	v_lshrrev_b16_e32 v8, 8, v12
	v_cmp_lt_i16_e64 s[4:5], s17, v8
	s_mov_b64 s[24:25], 0
                                        ; implicit-def: $sgpr35
	s_and_saveexec_b64 s[26:27], s[4:5]
	s_xor_b64 s[26:27], exec, s[26:27]
	s_cbranch_execnz .LBB305_436
; %bb.207:                              ;   in Loop: Header=BB305_10 Depth=1
	s_or_saveexec_b64 s[26:27], s[26:27]
	v_mov_b32_e32 v45, s35
	s_xor_b64 exec, exec, s[26:27]
	s_cbranch_execnz .LBB305_439
.LBB305_208:                            ;   in Loop: Header=BB305_10 Depth=1
	s_or_b64 exec, exec, s[26:27]
	s_and_saveexec_b64 s[26:27], s[24:25]
	s_cbranch_execz .LBB305_210
.LBB305_209:                            ;   in Loop: Header=BB305_10 Depth=1
	v_and_b32_e32 v50, 7, v8
	v_ffbh_u32_e32 v6, v50
	v_min_u32_e32 v46, 32, v6
	v_subrev_u32_e32 v6, 28, v46
	v_bfe_u32 v45, v8, 3, 4
	v_lshlrev_b64 v[6:7], v6, v[8:9]
	v_sub_u32_e32 v7, 29, v46
	v_cmp_eq_u32_e64 s[4:5], 0, v45
	v_mov_b32_e32 v2, 0x1c00
	v_and_b32_e32 v6, 7, v6
	v_cndmask_b32_e64 v7, v45, v7, s[4:5]
	v_lshlrev_b32_e32 v8, 8, v8
	v_lshl_add_u32 v7, v7, 10, v2
	v_cndmask_b32_e64 v6, v50, v6, s[4:5]
	v_and_or_b32 v7, v8, s34, v7
	v_lshl_or_b32 v6, v6, 7, v7
	v_cvt_f32_f16_e32 v45, v6
.LBB305_210:                            ;   in Loop: Header=BB305_10 Depth=1
	s_or_b64 exec, exec, s[26:27]
	v_lshrrev_b32_e32 v8, 16, v12
	v_cmp_gt_i16_sdwa s[24:25], v8, s17 src0_sel:BYTE_0 src1_sel:DWORD
	s_mov_b64 s[4:5], 0
                                        ; implicit-def: $sgpr28
	s_and_saveexec_b64 s[26:27], s[24:25]
	s_xor_b64 s[24:25], exec, s[26:27]
	s_cbranch_execnz .LBB305_440
; %bb.211:                              ;   in Loop: Header=BB305_10 Depth=1
	s_or_saveexec_b64 s[24:25], s[24:25]
	v_mov_b32_e32 v46, s28
	s_xor_b64 exec, exec, s[24:25]
	s_cbranch_execnz .LBB305_443
.LBB305_212:                            ;   in Loop: Header=BB305_10 Depth=1
	s_or_b64 exec, exec, s[24:25]
	s_and_saveexec_b64 s[24:25], s[4:5]
	s_cbranch_execz .LBB305_214
.LBB305_213:                            ;   in Loop: Header=BB305_10 Depth=1
	v_bfe_u32 v50, v12, 16, 3
	v_ffbh_u32_e32 v6, v50
	v_min_u32_e32 v47, 32, v6
	v_subrev_u32_e32 v6, 28, v47
	v_bfe_u32 v46, v12, 19, 4
	v_lshlrev_b64 v[6:7], v6, v[8:9]
	v_sub_u32_e32 v7, 29, v47
	v_cmp_eq_u32_e64 s[4:5], 0, v46
	v_mov_b32_e32 v2, 0x1c00
	v_and_b32_e32 v6, 7, v6
	v_cndmask_b32_e64 v7, v46, v7, s[4:5]
	v_lshlrev_b32_e32 v8, 8, v8
	v_lshl_add_u32 v7, v7, 10, v2
	v_cndmask_b32_e64 v6, v50, v6, s[4:5]
	v_and_or_b32 v7, v8, s34, v7
	v_lshl_or_b32 v6, v6, 7, v7
	v_cvt_f32_f16_e32 v46, v6
.LBB305_214:                            ;   in Loop: Header=BB305_10 Depth=1
	s_or_b64 exec, exec, s[24:25]
	v_lshrrev_b32_e32 v8, 24, v12
	v_cmp_lt_i16_e64 s[4:5], s17, v8
	s_mov_b64 s[24:25], 0
                                        ; implicit-def: $sgpr35
	s_and_saveexec_b64 s[26:27], s[4:5]
	s_xor_b64 s[26:27], exec, s[26:27]
	s_cbranch_execnz .LBB305_444
; %bb.215:                              ;   in Loop: Header=BB305_10 Depth=1
	s_or_saveexec_b64 s[26:27], s[26:27]
	v_mov_b32_e32 v47, s35
	s_xor_b64 exec, exec, s[26:27]
	s_cbranch_execnz .LBB305_447
.LBB305_216:                            ;   in Loop: Header=BB305_10 Depth=1
	s_or_b64 exec, exec, s[26:27]
	s_and_saveexec_b64 s[26:27], s[24:25]
	s_cbranch_execz .LBB305_218
.LBB305_217:                            ;   in Loop: Header=BB305_10 Depth=1
	v_bfe_u32 v50, v12, 24, 3
	v_ffbh_u32_e32 v6, v50
	v_min_u32_e32 v47, 32, v6
	v_subrev_u32_e32 v6, 28, v47
	v_bfe_u32 v12, v12, 27, 4
	v_lshlrev_b64 v[6:7], v6, v[8:9]
	v_sub_u32_e32 v7, 29, v47
	v_cmp_eq_u32_e64 s[4:5], 0, v12
	v_mov_b32_e32 v2, 0x1c00
	v_and_b32_e32 v6, 7, v6
	v_cndmask_b32_e64 v7, v12, v7, s[4:5]
	v_lshlrev_b32_e32 v8, 8, v8
	v_lshl_add_u32 v7, v7, 10, v2
	v_cndmask_b32_e64 v6, v50, v6, s[4:5]
	v_and_or_b32 v7, v8, s34, v7
	v_lshl_or_b32 v6, v6, 7, v7
	v_cvt_f32_f16_e32 v47, v6
.LBB305_218:                            ;   in Loop: Header=BB305_10 Depth=1
	s_or_b64 exec, exec, s[26:27]
	flat_load_dword v12, v[36:37] offset:3080
	s_mov_b64 s[4:5], 0
                                        ; implicit-def: $sgpr28
	s_waitcnt vmcnt(0) lgkmcnt(0)
	v_cmp_gt_i16_sdwa s[24:25], v12, s17 src0_sel:BYTE_0 src1_sel:DWORD
	s_and_saveexec_b64 s[26:27], s[24:25]
	s_xor_b64 s[24:25], exec, s[26:27]
	s_cbranch_execnz .LBB305_448
; %bb.219:                              ;   in Loop: Header=BB305_10 Depth=1
	s_or_saveexec_b64 s[24:25], s[24:25]
	v_mov_b32_e32 v36, s28
	s_xor_b64 exec, exec, s[24:25]
	s_cbranch_execnz .LBB305_451
.LBB305_220:                            ;   in Loop: Header=BB305_10 Depth=1
	s_or_b64 exec, exec, s[24:25]
	s_and_saveexec_b64 s[24:25], s[4:5]
	s_cbranch_execz .LBB305_222
.LBB305_221:                            ;   in Loop: Header=BB305_10 Depth=1
	v_and_b32_e32 v8, 7, v12
	v_ffbh_u32_e32 v6, v8
	v_min_u32_e32 v37, 32, v6
	v_subrev_u32_e32 v6, 28, v37
	v_bfe_u32 v36, v12, 3, 4
	v_lshlrev_b64 v[6:7], v6, v[12:13]
	v_sub_u32_e32 v7, 29, v37
	v_cmp_eq_u32_e64 s[4:5], 0, v36
	v_and_b32_e32 v6, 7, v6
	v_mov_b32_e32 v2, 0x1c00
	v_cndmask_b32_e64 v7, v36, v7, s[4:5]
	v_cndmask_b32_e64 v6, v8, v6, s[4:5]
	v_lshlrev_b32_e32 v8, 8, v12
	v_lshl_add_u32 v7, v7, 10, v2
	v_and_or_b32 v7, v8, s34, v7
	v_lshl_or_b32 v6, v6, 7, v7
	v_cvt_f32_f16_e32 v36, v6
.LBB305_222:                            ;   in Loop: Header=BB305_10 Depth=1
	s_or_b64 exec, exec, s[24:25]
	v_lshrrev_b16_e32 v8, 8, v12
	v_cmp_lt_i16_e64 s[4:5], s17, v8
	s_mov_b64 s[24:25], 0
                                        ; implicit-def: $sgpr35
	s_and_saveexec_b64 s[26:27], s[4:5]
	s_xor_b64 s[26:27], exec, s[26:27]
	s_cbranch_execnz .LBB305_452
; %bb.223:                              ;   in Loop: Header=BB305_10 Depth=1
	s_or_saveexec_b64 s[26:27], s[26:27]
	v_mov_b32_e32 v56, s35
	s_xor_b64 exec, exec, s[26:27]
	s_cbranch_execnz .LBB305_455
.LBB305_224:                            ;   in Loop: Header=BB305_10 Depth=1
	s_or_b64 exec, exec, s[26:27]
	s_and_saveexec_b64 s[26:27], s[24:25]
	s_cbranch_execz .LBB305_226
.LBB305_225:                            ;   in Loop: Header=BB305_10 Depth=1
	v_and_b32_e32 v37, 7, v8
	v_ffbh_u32_e32 v6, v37
	v_min_u32_e32 v56, 32, v6
	v_subrev_u32_e32 v6, 28, v56
	v_bfe_u32 v50, v8, 3, 4
	v_lshlrev_b64 v[6:7], v6, v[8:9]
	v_sub_u32_e32 v7, 29, v56
	v_cmp_eq_u32_e64 s[4:5], 0, v50
	v_mov_b32_e32 v2, 0x1c00
	v_and_b32_e32 v6, 7, v6
	v_cndmask_b32_e64 v7, v50, v7, s[4:5]
	v_lshlrev_b32_e32 v8, 8, v8
	v_lshl_add_u32 v7, v7, 10, v2
	v_cndmask_b32_e64 v6, v37, v6, s[4:5]
	v_and_or_b32 v7, v8, s34, v7
	v_lshl_or_b32 v6, v6, 7, v7
	v_cvt_f32_f16_e32 v56, v6
.LBB305_226:                            ;   in Loop: Header=BB305_10 Depth=1
	s_or_b64 exec, exec, s[26:27]
	v_lshrrev_b32_e32 v8, 16, v12
	v_cmp_gt_i16_sdwa s[24:25], v8, s17 src0_sel:BYTE_0 src1_sel:DWORD
	s_mov_b64 s[4:5], 0
                                        ; implicit-def: $sgpr28
	s_and_saveexec_b64 s[26:27], s[24:25]
	s_xor_b64 s[24:25], exec, s[26:27]
	s_cbranch_execnz .LBB305_456
; %bb.227:                              ;   in Loop: Header=BB305_10 Depth=1
	s_or_saveexec_b64 s[24:25], s[24:25]
	v_mov_b32_e32 v58, s28
	s_xor_b64 exec, exec, s[24:25]
	s_cbranch_execnz .LBB305_459
.LBB305_228:                            ;   in Loop: Header=BB305_10 Depth=1
	s_or_b64 exec, exec, s[24:25]
	s_and_saveexec_b64 s[24:25], s[4:5]
	s_cbranch_execz .LBB305_230
.LBB305_229:                            ;   in Loop: Header=BB305_10 Depth=1
	v_bfe_u32 v37, v12, 16, 3
	v_ffbh_u32_e32 v6, v37
	v_min_u32_e32 v57, 32, v6
	v_subrev_u32_e32 v6, 28, v57
	v_bfe_u32 v50, v12, 19, 4
	v_lshlrev_b64 v[6:7], v6, v[8:9]
	v_sub_u32_e32 v7, 29, v57
	v_cmp_eq_u32_e64 s[4:5], 0, v50
	v_mov_b32_e32 v2, 0x1c00
	v_and_b32_e32 v6, 7, v6
	v_cndmask_b32_e64 v7, v50, v7, s[4:5]
	v_lshlrev_b32_e32 v8, 8, v8
	v_lshl_add_u32 v7, v7, 10, v2
	v_cndmask_b32_e64 v6, v37, v6, s[4:5]
	v_and_or_b32 v7, v8, s34, v7
	v_lshl_or_b32 v6, v6, 7, v7
	v_cvt_f32_f16_e32 v58, v6
.LBB305_230:                            ;   in Loop: Header=BB305_10 Depth=1
	s_or_b64 exec, exec, s[24:25]
	v_lshrrev_b32_e32 v8, 24, v12
	v_cmp_lt_i16_e64 s[4:5], s17, v8
	s_mov_b64 s[24:25], 0
                                        ; implicit-def: $sgpr35
	s_and_saveexec_b64 s[26:27], s[4:5]
	s_xor_b64 s[26:27], exec, s[26:27]
	s_cbranch_execz .LBB305_234
; %bb.231:                              ;   in Loop: Header=BB305_10 Depth=1
	v_cmp_eq_u16_e64 s[4:5], s31, v8
	s_mov_b64 s[24:25], -1
                                        ; implicit-def: $sgpr35
	s_and_saveexec_b64 s[28:29], s[4:5]
; %bb.232:                              ;   in Loop: Header=BB305_10 Depth=1
	s_mov_b32 s35, 0x7fc02000
	s_xor_b64 s[24:25], exec, -1
; %bb.233:                              ;   in Loop: Header=BB305_10 Depth=1
	s_or_b64 exec, exec, s[28:29]
	s_and_b64 s[24:25], s[24:25], exec
.LBB305_234:                            ;   in Loop: Header=BB305_10 Depth=1
	s_or_saveexec_b64 s[26:27], s[26:27]
	v_mov_b32_e32 v6, s35
	s_xor_b64 exec, exec, s[26:27]
; %bb.235:                              ;   in Loop: Header=BB305_10 Depth=1
	v_cmp_ne_u16_e64 s[4:5], 0, v8
	s_andn2_b64 s[24:25], s[24:25], exec
	s_and_b64 s[4:5], s[4:5], exec
	v_mov_b32_e32 v6, 0
	s_or_b64 s[24:25], s[24:25], s[4:5]
; %bb.236:                              ;   in Loop: Header=BB305_10 Depth=1
	s_or_b64 exec, exec, s[26:27]
	v_accvgpr_write_b32 a47, v62
	v_accvgpr_write_b32 a46, v61
	;; [unrolled: 1-line block ×6, first 2 shown]
	s_and_saveexec_b64 s[26:27], s[24:25]
	s_cbranch_execz .LBB305_238
; %bb.237:                              ;   in Loop: Header=BB305_10 Depth=1
	v_bfe_u32 v37, v12, 24, 3
	v_ffbh_u32_e32 v6, v37
	v_min_u32_e32 v50, 32, v6
	v_subrev_u32_e32 v6, 28, v50
	v_bfe_u32 v12, v12, 27, 4
	v_lshlrev_b64 v[6:7], v6, v[8:9]
	v_sub_u32_e32 v7, 29, v50
	v_cmp_eq_u32_e64 s[4:5], 0, v12
	v_mov_b32_e32 v2, 0x1c00
	v_and_b32_e32 v6, 7, v6
	v_cndmask_b32_e64 v7, v12, v7, s[4:5]
	v_lshlrev_b32_e32 v8, 8, v8
	v_lshl_add_u32 v7, v7, 10, v2
	v_cndmask_b32_e64 v6, v37, v6, s[4:5]
	v_and_or_b32 v7, v8, s34, v7
	v_lshl_or_b32 v6, v6, 7, v7
	v_cvt_f32_f16_e32 v6, v6
.LBB305_238:                            ;   in Loop: Header=BB305_10 Depth=1
	s_or_b64 exec, exec, s[26:27]
	v_accvgpr_read_b32 v2, a34
	ds_read_b64 v[60:61], v2
	v_fma_mixlo_f16 v59, v41, v18, 0
	v_fma_mixlo_f16 v57, v41, v21, 0
	;; [unrolled: 1-line block ×4, first 2 shown]
	s_waitcnt lgkmcnt(0)
	v_and_b32_e32 v8, 0xffff, v60
	v_lshrrev_b32_e32 v7, 16, v60
	;;#ASMSTART
	v_cvt_f32_f16 v62, v8;
	;;#ASMEND
	v_and_b32_e32 v8, 0xffff, v59
	v_fma_mixlo_f16 v60, v41, v23, 0
	;;#ASMSTART
	v_cvt_f32_f16 v7, v7;
	;;#ASMEND
	;;#ASMSTART
	v_cvt_f32_f16 v59, v8;
	;;#ASMEND
	v_and_b32_e32 v8, 0xffff, v57
	v_lshrrev_b32_e32 v12, 16, v61
	v_and_b32_e32 v37, 0xffff, v61
	v_fma_mixlo_f16 v61, v41, v34, 0
	;;#ASMSTART
	v_cvt_f32_f16 v57, v8;
	;;#ASMEND
	v_and_b32_e32 v8, 0xffff, v60
	;;#ASMSTART
	v_cvt_f32_f16 v48, v37;
	;;#ASMEND
	;;#ASMSTART
	v_cvt_f32_f16 v21, v12;
	;;#ASMEND
	;; [unrolled: 3-line block ×3, first 2 shown]
	v_and_b32_e32 v8, 0xffff, v61
	;;#ASMSTART
	v_cvt_f32_f16 v39, v8;
	;;#ASMEND
	ds_read_b64 v[60:61], v2 offset:8
	v_and_b32_e32 v37, 0xffff, v50
	v_fma_mixlo_f16 v50, v41, v54, 0
	v_fma_mixlo_f16 v54, v41, v19, 0
	v_and_b32_e32 v5, 0xffff, v5
	s_waitcnt lgkmcnt(0)
	v_and_b32_e32 v8, 0xffff, v60
	v_lshrrev_b32_e32 v12, 16, v60
	;;#ASMSTART
	v_cvt_f32_f16 v8, v8;
	;;#ASMEND
	;;#ASMSTART
	v_cvt_f32_f16 v12, v12;
	;;#ASMEND
	;; [unrolled: 3-line block ×3, first 2 shown]
	v_fma_mixlo_f16 v60, v41, v38, 0
	v_mul_f32_e32 v8, v8, v37
	v_fma_mixlo_f16 v37, v41, v53, 0
	v_and_b32_e32 v37, 0xffff, v37
	;;#ASMSTART
	v_cvt_f32_f16 v37, v37;
	;;#ASMEND
	v_fma_mixlo_f16 v38, v41, v49, 0
	v_mul_f32_e32 v12, v12, v37
	v_fmac_f32_e32 v12, v7, v57
	v_fma_mixlo_f16 v57, v41, v45, 0
	v_fma_mixlo_f16 v45, v41, v46, 0
	;; [unrolled: 1-line block ×6, first 2 shown]
	v_accvgpr_read_b32 v0, a48
	v_lshrrev_b32_e32 v7, 16, v61
	v_and_b32_e32 v37, 0xffff, v61
	v_fma_mixlo_f16 v49, v41, v17, 0
	v_fma_mixlo_f16 v17, v41, v29, 0
	;; [unrolled: 1-line block ×4, first 2 shown]
	v_accvgpr_read_b32 v0, a45
	;;#ASMSTART
	v_cvt_f32_f16 v37, v37;
	;;#ASMEND
	;;#ASMSTART
	v_cvt_f32_f16 v61, v7;
	;;#ASMEND
	v_and_b32_e32 v7, 0xffff, v50
	v_fma_mixlo_f16 v50, v41, v44, 0
	v_fma_mixlo_f16 v44, v41, v47, 0
	;; [unrolled: 1-line block ×6, first 2 shown]
	v_accvgpr_read_b32 v0, a44
	v_fma_mixlo_f16 v23, v41, v0, 0
	v_accvgpr_read_b32 v0, a46
	v_fma_mixlo_f16 v34, v41, v0, 0
	;; [unrolled: 2-line block ×3, first 2 shown]
	v_accvgpr_read_b32 v0, a42
	;;#ASMSTART
	v_cvt_f32_f16 v7, v7;
	;;#ASMEND
	v_fma_mixlo_f16 v53, v41, v40, 0
	v_fma_mixlo_f16 v40, v41, v55, 0
	;; [unrolled: 1-line block ×3, first 2 shown]
	v_accvgpr_read_b32 v0, a43
	v_mul_f32_e32 v37, v37, v7
	v_fma_mixlo_f16 v7, v41, v1, 0
	v_fma_mixlo_f16 v1, v41, v0, 0
	v_accvgpr_read_b32 v0, a41
	v_fma_mixlo_f16 v0, v41, v0, 0
	v_and_b32_e32 v0, 0xffff, v0
	;;#ASMSTART
	v_cvt_f32_f16 v0, v0;
	;;#ASMEND
	v_fmac_f32_e32 v37, v48, v18
	ds_read_b64 v[18:19], v2 offset:16
	v_fmac_f32_e32 v8, v62, v59
	v_fma_mixlo_f16 v62, v41, v4, 0
	v_fma_mixlo_f16 v4, v41, v36, 0
	v_fma_mixlo_f16 v36, v41, v6, 0
	v_mul_f32_e32 v0, v61, v0
	s_waitcnt lgkmcnt(0)
	v_lshrrev_b32_e32 v6, 16, v18
	v_and_b32_e32 v18, 0xffff, v18
	v_fmac_f32_e32 v0, v21, v39
	;;#ASMSTART
	v_cvt_f32_f16 v21, v18;
	;;#ASMEND
	v_and_b32_e32 v18, 0xffff, v40
	;;#ASMSTART
	v_cvt_f32_f16 v6, v6;
	;;#ASMEND
	;;#ASMSTART
	v_cvt_f32_f16 v39, v18;
	;;#ASMEND
	v_and_b32_e32 v18, 0xffff, v53
	;;#ASMSTART
	v_cvt_f32_f16 v48, v18;
	;;#ASMEND
	v_lshrrev_b32_e32 v18, 16, v19
	v_and_b32_e32 v19, 0xffff, v19
	;;#ASMSTART
	v_cvt_f32_f16 v53, v19;
	;;#ASMEND
	;;#ASMSTART
	v_cvt_f32_f16 v40, v18;
	;;#ASMEND
	v_and_b32_e32 v18, 0xffff, v55
	v_and_b32_e32 v1, 0xffff, v1
	;;#ASMSTART
	v_cvt_f32_f16 v55, v18;
	;;#ASMEND
	;;#ASMSTART
	v_cvt_f32_f16 v1, v1;
	;;#ASMEND
	ds_read_b64 v[18:19], v2 offset:24
	v_fmac_f32_e32 v12, v6, v48
	v_fmac_f32_e32 v0, v40, v1
	v_fmac_f32_e32 v8, v21, v39
	v_and_b32_e32 v16, 0xffff, v16
	s_waitcnt lgkmcnt(0)
	v_lshrrev_b32_e32 v1, 16, v18
	v_and_b32_e32 v6, 0xffff, v18
	v_and_b32_e32 v18, 0xffff, v23
	;;#ASMSTART
	v_cvt_f32_f16 v6, v6;
	;;#ASMEND
	;;#ASMSTART
	v_cvt_f32_f16 v1, v1;
	;;#ASMEND
	;; [unrolled: 3-line block ×3, first 2 shown]
	v_lshrrev_b32_e32 v18, 16, v19
	;;#ASMSTART
	v_cvt_f32_f16 v16, v16;
	;;#ASMEND
	v_and_b32_e32 v19, 0xffff, v19
	;;#ASMSTART
	v_cvt_f32_f16 v23, v19;
	;;#ASMEND
	;;#ASMSTART
	v_cvt_f32_f16 v39, v18;
	;;#ASMEND
	v_and_b32_e32 v18, 0xffff, v34
	;;#ASMSTART
	v_cvt_f32_f16 v34, v18;
	;;#ASMEND
	v_and_b32_e32 v18, 0xffff, v35
	;;#ASMSTART
	v_cvt_f32_f16 v35, v18;
	;;#ASMEND
	ds_read_b64 v[18:19], v2 offset:32
	v_fmac_f32_e32 v8, v6, v21
	v_fmac_f32_e32 v12, v1, v16
	v_and_b32_e32 v16, 0xffff, v20
	v_fmac_f32_e32 v37, v53, v55
	s_waitcnt lgkmcnt(0)
	v_lshrrev_b32_e32 v1, 16, v18
	v_and_b32_e32 v6, 0xffff, v18
	v_and_b32_e32 v18, 0xffff, v29
	;;#ASMSTART
	v_cvt_f32_f16 v6, v6;
	;;#ASMEND
	;;#ASMSTART
	v_cvt_f32_f16 v1, v1;
	;;#ASMEND
	;; [unrolled: 3-line block ×4, first 2 shown]
	v_lshrrev_b32_e32 v18, 16, v19
	v_fmac_f32_e32 v37, v23, v34
	v_and_b32_e32 v19, 0xffff, v19
	;;#ASMSTART
	v_cvt_f32_f16 v21, v19;
	;;#ASMEND
	;;#ASMSTART
	v_cvt_f32_f16 v23, v18;
	;;#ASMEND
	v_and_b32_e32 v18, 0xffff, v54
	;;#ASMSTART
	v_cvt_f32_f16 v5, v5;
	;;#ASMEND
	;;#ASMSTART
	v_cvt_f32_f16 v29, v18;
	;;#ASMEND
	ds_read_b64 v[18:19], v2 offset:40
	v_fma_mixlo_f16 v28, v41, v28, 0
	v_fmac_f32_e32 v8, v6, v16
	v_fmac_f32_e32 v12, v1, v20
	v_fmac_f32_e32 v37, v21, v5
	s_waitcnt lgkmcnt(0)
	v_lshrrev_b32_e32 v1, 16, v18
	v_and_b32_e32 v5, 0xffff, v18
	v_and_b32_e32 v6, 0xffff, v62
	;; [unrolled: 1-line block ×3, first 2 shown]
	v_lshrrev_b32_e32 v18, 16, v19
	v_fmac_f32_e32 v0, v39, v35
	;;#ASMSTART
	v_cvt_f32_f16 v5, v5;
	;;#ASMEND
	;;#ASMSTART
	v_cvt_f32_f16 v1, v1;
	;;#ASMEND
	;; [unrolled: 3-line block ×4, first 2 shown]
	v_and_b32_e32 v19, 0xffff, v19
	;;#ASMSTART
	v_cvt_f32_f16 v20, v19;
	;;#ASMEND
	;;#ASMSTART
	v_cvt_f32_f16 v21, v18;
	;;#ASMEND
	v_and_b32_e32 v18, 0xffff, v28
	v_and_b32_e32 v17, 0xffff, v17
	v_fmac_f32_e32 v0, v23, v29
	;;#ASMSTART
	v_cvt_f32_f16 v23, v18;
	;;#ASMEND
	;;#ASMSTART
	v_cvt_f32_f16 v17, v17;
	;;#ASMEND
	ds_read_b64 v[18:19], v2 offset:48
	v_fma_mixlo_f16 v52, v41, v52, 0
	v_fma_mixlo_f16 v11, v41, v11, 0
	v_fmac_f32_e32 v8, v5, v6
	v_fmac_f32_e32 v12, v1, v16
	s_waitcnt lgkmcnt(0)
	v_lshrrev_b32_e32 v1, 16, v18
	v_and_b32_e32 v5, 0xffff, v18
	v_and_b32_e32 v6, 0xffff, v52
	;; [unrolled: 1-line block ×4, first 2 shown]
	v_fmac_f32_e32 v37, v20, v23
	v_fmac_f32_e32 v0, v21, v17
	;;#ASMSTART
	v_cvt_f32_f16 v5, v5;
	;;#ASMEND
	;;#ASMSTART
	v_cvt_f32_f16 v1, v1;
	;;#ASMEND
	;; [unrolled: 3-line block ×4, first 2 shown]
	v_lshrrev_b32_e32 v17, 16, v19
	;;#ASMSTART
	v_cvt_f32_f16 v20, v18;
	;;#ASMEND
	v_and_b32_e32 v18, 0xffff, v38
	v_and_b32_e32 v11, 0xffff, v11
	;;#ASMSTART
	v_cvt_f32_f16 v17, v17;
	;;#ASMEND
	;;#ASMSTART
	v_cvt_f32_f16 v21, v18;
	;;#ASMEND
	;; [unrolled: 3-line block ×3, first 2 shown]
	ds_read_b64 v[18:19], v2 offset:56
	v_fma_mixlo_f16 v59, v41, v10, 0
	v_fmac_f32_e32 v8, v5, v6
	v_fmac_f32_e32 v12, v1, v16
	v_and_b32_e32 v6, 0xffff, v59
	s_waitcnt lgkmcnt(0)
	v_lshrrev_b32_e32 v1, 16, v18
	v_and_b32_e32 v5, 0xffff, v18
	v_fmac_f32_e32 v0, v17, v11
	;;#ASMSTART
	v_cvt_f32_f16 v5, v5;
	;;#ASMEND
	;;#ASMSTART
	v_cvt_f32_f16 v1, v1;
	;;#ASMEND
	;; [unrolled: 3-line block ×3, first 2 shown]
	v_and_b32_e32 v6, 0xffff, v7
	;;#ASMSTART
	v_cvt_f32_f16 v16, v6;
	;;#ASMEND
	v_lshrrev_b32_e32 v6, 16, v19
	v_fma_mixlo_f16 v10, v41, v3, 0
	v_and_b32_e32 v7, 0xffff, v19
	;;#ASMSTART
	v_cvt_f32_f16 v17, v7;
	;;#ASMEND
	;;#ASMSTART
	v_cvt_f32_f16 v18, v6;
	;;#ASMEND
	v_and_b32_e32 v6, 0xffff, v33
	;;#ASMSTART
	v_cvt_f32_f16 v19, v6;
	;;#ASMEND
	v_and_b32_e32 v6, 0xffff, v10
	;;#ASMSTART
	v_cvt_f32_f16 v10, v6;
	;;#ASMEND
	ds_read_b64 v[6:7], v2 offset:64
	v_fma_mixlo_f16 v15, v41, v15, 0
	v_fmac_f32_e32 v8, v5, v11
	v_fmac_f32_e32 v12, v1, v16
	;; [unrolled: 1-line block ×3, first 2 shown]
	s_waitcnt lgkmcnt(0)
	v_lshrrev_b32_e32 v1, 16, v6
	v_and_b32_e32 v5, 0xffff, v6
	v_and_b32_e32 v6, 0xffff, v32
	;;#ASMSTART
	v_cvt_f32_f16 v5, v5;
	;;#ASMEND
	;;#ASMSTART
	v_cvt_f32_f16 v1, v1;
	;;#ASMEND
	;;#ASMSTART
	v_cvt_f32_f16 v10, v6;
	;;#ASMEND
	v_and_b32_e32 v6, 0xffff, v15
	v_fma_mixlo_f16 v14, v41, v14, 0
	;;#ASMSTART
	v_cvt_f32_f16 v11, v6;
	;;#ASMEND
	v_lshrrev_b32_e32 v6, 16, v7
	v_fma_mixlo_f16 v13, v41, v13, 0
	v_and_b32_e32 v7, 0xffff, v7
	;;#ASMSTART
	v_cvt_f32_f16 v15, v7;
	;;#ASMEND
	;;#ASMSTART
	v_cvt_f32_f16 v16, v6;
	;;#ASMEND
	v_and_b32_e32 v6, 0xffff, v14
	;;#ASMSTART
	v_cvt_f32_f16 v14, v6;
	;;#ASMEND
	v_and_b32_e32 v6, 0xffff, v13
	;;#ASMSTART
	v_cvt_f32_f16 v13, v6;
	;;#ASMEND
	ds_read_b64 v[6:7], v2 offset:72
	v_fma_mixlo_f16 v31, v41, v31, 0
	v_fmac_f32_e32 v8, v5, v10
	v_fmac_f32_e32 v12, v1, v11
	;; [unrolled: 1-line block ×3, first 2 shown]
	s_waitcnt lgkmcnt(0)
	v_lshrrev_b32_e32 v1, 16, v6
	v_and_b32_e32 v5, 0xffff, v6
	v_and_b32_e32 v6, 0xffff, v47
	;;#ASMSTART
	v_cvt_f32_f16 v5, v5;
	;;#ASMEND
	;;#ASMSTART
	v_cvt_f32_f16 v1, v1;
	;;#ASMEND
	;; [unrolled: 3-line block ×3, first 2 shown]
	v_and_b32_e32 v6, 0xffff, v31
	v_fmac_f32_e32 v37, v17, v19
	;;#ASMSTART
	v_cvt_f32_f16 v11, v6;
	;;#ASMEND
	v_lshrrev_b32_e32 v6, 16, v7
	v_fmac_f32_e32 v37, v15, v14
	v_fmac_f32_e32 v0, v16, v13
	v_and_b32_e32 v7, 0xffff, v7
	;;#ASMSTART
	v_cvt_f32_f16 v13, v7;
	;;#ASMEND
	;;#ASMSTART
	v_cvt_f32_f16 v14, v6;
	;;#ASMEND
	v_and_b32_e32 v6, 0xffff, v30
	;;#ASMSTART
	v_cvt_f32_f16 v15, v6;
	;;#ASMEND
	v_and_b32_e32 v6, 0xffff, v24
	;;#ASMSTART
	v_cvt_f32_f16 v16, v6;
	;;#ASMEND
	ds_read_b64 v[6:7], v2 offset:80
	v_fma_mixlo_f16 v51, v41, v51, 0
	v_fmac_f32_e32 v8, v5, v10
	v_fmac_f32_e32 v12, v1, v11
	v_fma_mixlo_f16 v25, v41, v25, 0
	s_waitcnt lgkmcnt(0)
	v_lshrrev_b32_e32 v1, 16, v6
	v_and_b32_e32 v5, 0xffff, v6
	v_and_b32_e32 v6, 0xffff, v51
	;;#ASMSTART
	v_cvt_f32_f16 v5, v5;
	;;#ASMEND
	;;#ASMSTART
	v_cvt_f32_f16 v1, v1;
	;;#ASMEND
	;; [unrolled: 3-line block ×3, first 2 shown]
	v_and_b32_e32 v6, 0xffff, v46
	;;#ASMSTART
	v_cvt_f32_f16 v11, v6;
	;;#ASMEND
	v_lshrrev_b32_e32 v6, 16, v7
	v_fmac_f32_e32 v37, v13, v15
	v_fmac_f32_e32 v0, v14, v16
	v_and_b32_e32 v7, 0xffff, v7
	;;#ASMSTART
	v_cvt_f32_f16 v13, v7;
	;;#ASMEND
	;;#ASMSTART
	v_cvt_f32_f16 v14, v6;
	;;#ASMEND
	v_and_b32_e32 v6, 0xffff, v25
	;;#ASMSTART
	v_cvt_f32_f16 v15, v6;
	;;#ASMEND
	v_and_b32_e32 v6, 0xffff, v22
	;;#ASMSTART
	v_cvt_f32_f16 v16, v6;
	;;#ASMEND
	ds_read_b64 v[6:7], v2 offset:88
	v_fma_mixlo_f16 v42, v41, v42, 0
	v_fma_mixlo_f16 v43, v41, v43, 0
	v_fmac_f32_e32 v8, v5, v10
	v_fmac_f32_e32 v12, v1, v11
	s_waitcnt lgkmcnt(0)
	v_lshrrev_b32_e32 v1, 16, v6
	v_and_b32_e32 v5, 0xffff, v6
	v_and_b32_e32 v6, 0xffff, v42
	;;#ASMSTART
	v_cvt_f32_f16 v5, v5;
	;;#ASMEND
	;;#ASMSTART
	v_cvt_f32_f16 v1, v1;
	;;#ASMEND
	;; [unrolled: 3-line block ×3, first 2 shown]
	v_and_b32_e32 v6, 0xffff, v43
	v_fma_mixlo_f16 v27, v41, v27, 0
	;;#ASMSTART
	v_cvt_f32_f16 v11, v6;
	;;#ASMEND
	v_lshrrev_b32_e32 v6, 16, v7
	v_fma_mixlo_f16 v26, v41, v26, 0
	v_fmac_f32_e32 v37, v13, v15
	v_fmac_f32_e32 v0, v14, v16
	v_and_b32_e32 v7, 0xffff, v7
	;;#ASMSTART
	v_cvt_f32_f16 v13, v7;
	;;#ASMEND
	;;#ASMSTART
	v_cvt_f32_f16 v14, v6;
	;;#ASMEND
	v_and_b32_e32 v6, 0xffff, v27
	;;#ASMSTART
	v_cvt_f32_f16 v15, v6;
	;;#ASMEND
	v_and_b32_e32 v6, 0xffff, v26
	;;#ASMSTART
	v_cvt_f32_f16 v16, v6;
	;;#ASMEND
	ds_read_b64 v[6:7], v2 offset:96
	v_fmac_f32_e32 v8, v5, v10
	v_fmac_f32_e32 v12, v1, v11
	;; [unrolled: 1-line block ×4, first 2 shown]
	s_waitcnt lgkmcnt(0)
	v_lshrrev_b32_e32 v1, 16, v6
	v_and_b32_e32 v5, 0xffff, v6
	v_and_b32_e32 v6, 0xffff, v50
	;;#ASMSTART
	v_cvt_f32_f16 v5, v5;
	;;#ASMEND
	;;#ASMSTART
	v_cvt_f32_f16 v1, v1;
	;;#ASMEND
	;; [unrolled: 3-line block ×3, first 2 shown]
	v_and_b32_e32 v6, 0xffff, v57
	;;#ASMSTART
	v_cvt_f32_f16 v11, v6;
	;;#ASMEND
	v_lshrrev_b32_e32 v6, 16, v7
	v_and_b32_e32 v7, 0xffff, v7
	;;#ASMSTART
	v_cvt_f32_f16 v13, v7;
	;;#ASMEND
	;;#ASMSTART
	v_cvt_f32_f16 v14, v6;
	;;#ASMEND
	v_and_b32_e32 v6, 0xffff, v45
	;;#ASMSTART
	v_cvt_f32_f16 v15, v6;
	;;#ASMEND
	v_and_b32_e32 v6, 0xffff, v44
	;;#ASMSTART
	v_cvt_f32_f16 v16, v6;
	;;#ASMEND
	ds_read_b64 v[6:7], v2 offset:104
	v_fma_mixlo_f16 v56, v41, v56, 0
	v_fmac_f32_e32 v8, v5, v10
	v_fmac_f32_e32 v12, v1, v11
	v_and_b32_e32 v4, 0xffff, v4
	s_waitcnt lgkmcnt(0)
	v_lshrrev_b32_e32 v1, 16, v6
	v_and_b32_e32 v5, 0xffff, v6
	v_and_b32_e32 v2, 0xffff, v56
	;;#ASMSTART
	v_cvt_f32_f16 v5, v5;
	;;#ASMEND
	;;#ASMSTART
	v_cvt_f32_f16 v1, v1;
	;;#ASMEND
	;; [unrolled: 3-line block ×4, first 2 shown]
	v_fma_mixlo_f16 v3, v41, v58, 0
	v_fmac_f32_e32 v12, v1, v2
	v_lshrrev_b32_e32 v1, 16, v7
	v_and_b32_e32 v2, 0xffff, v7
	v_fmac_f32_e32 v37, v13, v15
	v_fmac_f32_e32 v0, v14, v16
	v_fmac_f32_e32 v8, v5, v4
	;;#ASMSTART
	v_cvt_f32_f16 v2, v2;
	;;#ASMEND
	;;#ASMSTART
	v_cvt_f32_f16 v1, v1;
	;;#ASMEND
	v_and_b32_e32 v3, 0xffff, v3
	v_and_b32_e32 v4, 0xffff, v36
	;;#ASMSTART
	v_cvt_f32_f16 v3, v3;
	;;#ASMEND
	;;#ASMSTART
	v_cvt_f32_f16 v4, v4;
	;;#ASMEND
	s_nop 0
	v_fmac_f32_e32 v37, v2, v3
	v_fmac_f32_e32 v0, v1, v4
	v_add_f32_e32 v1, v8, v12
	v_add_f32_e32 v1, v1, v37
	v_accvgpr_read_b32 v3, a29
	v_add_f32_e32 v1, v0, v1
	v_and_b32_e32 v0, 64, v3
	v_xor_b32_e32 v2, 1, v3
	v_add_u32_e32 v0, 64, v0
	v_cmp_lt_i32_e64 s[4:5], v2, v0
	s_nop 1
	v_cndmask_b32_e64 v2, v3, v2, s[4:5]
	v_lshlrev_b32_e32 v2, 2, v2
	ds_bpermute_b32 v2, v2, v1
	s_mov_b64 s[24:25], exec
	s_and_b64 s[4:5], s[24:25], vcc
	v_accvgpr_read_b32 v6, a40
	s_mov_b64 exec, s[4:5]
	s_cbranch_execz .LBB305_9
; %bb.239:                              ;   in Loop: Header=BB305_10 Depth=1
	s_waitcnt lgkmcnt(0)
	v_add_f32_e32 v1, v1, v2
	scratch_load_dword v2, off, s32 offset:132 ; 4-byte Folded Reload
	v_accvgpr_read_b32 v3, a35
	v_accvgpr_read_b32 v5, a38
	v_add_u32_e32 v3, v3, v5
	v_cvt_f32_i32_e32 v3, v3
	s_load_dword s4, s[8:9], 0x0
	v_accvgpr_read_b32 v4, a28
	s_waitcnt vmcnt(0)
	v_mul_f32_e32 v2, v2, v3
	v_cndmask_b32_e64 v2, 0, v2, s[2:3]
	v_accvgpr_read_b32 v3, a39
	v_fmac_f32_e32 v2, v1, v4
	v_accvgpr_read_b32 v4, a8
	s_waitcnt lgkmcnt(0)
	v_add_u32_e32 v3, s4, v3
	v_cmp_lt_i32_e64 s[4:5], v5, v4
	s_nop 1
	v_cndmask_b32_e64 v1, 0, v2, s[4:5]
	ds_write_b32 v3, v1
	scratch_load_dword v3, off, s32 offset:128 ; 4-byte Folded Reload
	s_waitcnt vmcnt(0)
	v_max_f32_e32 v1, v3, v3
	v_max_f32_e32 v1, v1, v2
	v_cndmask_b32_e64 v3, v3, v1, s[4:5]
	scratch_store_dword off, v3, s32 offset:128 ; 4-byte Folded Spill
	s_branch .LBB305_9
.LBB305_240:                            ;   in Loop: Header=BB305_10 Depth=1
	v_cmp_eq_u16_sdwa s[36:37], v12, s31 src0_sel:BYTE_0 src1_sel:DWORD
	s_mov_b64 s[4:5], -1
                                        ; implicit-def: $sgpr28
	s_and_saveexec_b64 s[26:27], s[36:37]
; %bb.241:                              ;   in Loop: Header=BB305_10 Depth=1
	s_mov_b32 s28, 0x7fc02000
	s_xor_b64 s[4:5], exec, -1
; %bb.242:                              ;   in Loop: Header=BB305_10 Depth=1
	s_or_b64 exec, exec, s[26:27]
	s_and_b64 s[4:5], s[4:5], exec
	s_or_saveexec_b64 s[24:25], s[24:25]
	v_mov_b32_e32 v18, s28
	s_xor_b64 exec, exec, s[24:25]
	s_cbranch_execz .LBB305_12
.LBB305_243:                            ;   in Loop: Header=BB305_10 Depth=1
	v_cmp_ne_u16_sdwa s[26:27], v12, v9 src0_sel:BYTE_0 src1_sel:DWORD
	s_andn2_b64 s[4:5], s[4:5], exec
	s_and_b64 s[26:27], s[26:27], exec
	v_mov_b32_e32 v18, 0
	s_or_b64 s[4:5], s[4:5], s[26:27]
	s_or_b64 exec, exec, s[24:25]
	s_and_saveexec_b64 s[24:25], s[4:5]
	s_cbranch_execnz .LBB305_13
	s_branch .LBB305_14
.LBB305_244:                            ;   in Loop: Header=BB305_10 Depth=1
	v_cmp_eq_u16_e64 s[4:5], s31, v8
	s_mov_b64 s[24:25], -1
                                        ; implicit-def: $sgpr35
	s_and_saveexec_b64 s[28:29], s[4:5]
; %bb.245:                              ;   in Loop: Header=BB305_10 Depth=1
	s_mov_b32 s35, 0x7fc02000
	s_xor_b64 s[24:25], exec, -1
; %bb.246:                              ;   in Loop: Header=BB305_10 Depth=1
	s_or_b64 exec, exec, s[28:29]
	s_and_b64 s[24:25], s[24:25], exec
	s_or_saveexec_b64 s[26:27], s[26:27]
	v_mov_b32_e32 v21, s35
	s_xor_b64 exec, exec, s[26:27]
	s_cbranch_execz .LBB305_16
.LBB305_247:                            ;   in Loop: Header=BB305_10 Depth=1
	v_cmp_ne_u16_e64 s[4:5], 0, v8
	s_andn2_b64 s[24:25], s[24:25], exec
	s_and_b64 s[4:5], s[4:5], exec
	v_mov_b32_e32 v21, 0
	s_or_b64 s[24:25], s[24:25], s[4:5]
	s_or_b64 exec, exec, s[26:27]
	s_and_saveexec_b64 s[26:27], s[24:25]
	s_cbranch_execnz .LBB305_17
	s_branch .LBB305_18
.LBB305_248:                            ;   in Loop: Header=BB305_10 Depth=1
	v_cmp_eq_u16_sdwa s[36:37], v8, s31 src0_sel:BYTE_0 src1_sel:DWORD
	s_mov_b64 s[4:5], -1
                                        ; implicit-def: $sgpr28
	s_and_saveexec_b64 s[26:27], s[36:37]
; %bb.249:                              ;   in Loop: Header=BB305_10 Depth=1
	s_mov_b32 s28, 0x7fc02000
	s_xor_b64 s[4:5], exec, -1
; %bb.250:                              ;   in Loop: Header=BB305_10 Depth=1
	s_or_b64 exec, exec, s[26:27]
	s_and_b64 s[4:5], s[4:5], exec
	s_or_saveexec_b64 s[24:25], s[24:25]
	v_mov_b32_e32 v23, s28
	s_xor_b64 exec, exec, s[24:25]
	s_cbranch_execz .LBB305_20
.LBB305_251:                            ;   in Loop: Header=BB305_10 Depth=1
	v_cmp_ne_u16_sdwa s[26:27], v8, v9 src0_sel:BYTE_0 src1_sel:DWORD
	s_andn2_b64 s[4:5], s[4:5], exec
	s_and_b64 s[26:27], s[26:27], exec
	v_mov_b32_e32 v23, 0
	s_or_b64 s[4:5], s[4:5], s[26:27]
	s_or_b64 exec, exec, s[24:25]
	s_and_saveexec_b64 s[24:25], s[4:5]
	s_cbranch_execnz .LBB305_21
	s_branch .LBB305_22
.LBB305_252:                            ;   in Loop: Header=BB305_10 Depth=1
	v_cmp_eq_u16_e64 s[4:5], s31, v8
	s_mov_b64 s[24:25], -1
                                        ; implicit-def: $sgpr35
	s_and_saveexec_b64 s[28:29], s[4:5]
; %bb.253:                              ;   in Loop: Header=BB305_10 Depth=1
	s_mov_b32 s35, 0x7fc02000
	s_xor_b64 s[24:25], exec, -1
; %bb.254:                              ;   in Loop: Header=BB305_10 Depth=1
	s_or_b64 exec, exec, s[28:29]
	s_and_b64 s[24:25], s[24:25], exec
	s_or_saveexec_b64 s[26:27], s[26:27]
	v_mov_b32_e32 v34, s35
	s_xor_b64 exec, exec, s[26:27]
	s_cbranch_execz .LBB305_24
.LBB305_255:                            ;   in Loop: Header=BB305_10 Depth=1
	v_cmp_ne_u16_e64 s[4:5], 0, v8
	s_andn2_b64 s[24:25], s[24:25], exec
	s_and_b64 s[4:5], s[4:5], exec
	v_mov_b32_e32 v34, 0
	s_or_b64 s[24:25], s[24:25], s[4:5]
	s_or_b64 exec, exec, s[26:27]
	s_and_saveexec_b64 s[26:27], s[24:25]
	s_cbranch_execnz .LBB305_25
	s_branch .LBB305_26
.LBB305_256:                            ;   in Loop: Header=BB305_10 Depth=1
	v_cmp_eq_u16_sdwa s[36:37], v12, s31 src0_sel:BYTE_0 src1_sel:DWORD
	s_mov_b64 s[4:5], -1
                                        ; implicit-def: $sgpr28
	s_and_saveexec_b64 s[26:27], s[36:37]
; %bb.257:                              ;   in Loop: Header=BB305_10 Depth=1
	s_mov_b32 s28, 0x7fc02000
	s_xor_b64 s[4:5], exec, -1
; %bb.258:                              ;   in Loop: Header=BB305_10 Depth=1
	s_or_b64 exec, exec, s[26:27]
	s_and_b64 s[4:5], s[4:5], exec
	s_or_saveexec_b64 s[24:25], s[24:25]
	v_mov_b32_e32 v35, s28
	s_xor_b64 exec, exec, s[24:25]
	s_cbranch_execz .LBB305_28
.LBB305_259:                            ;   in Loop: Header=BB305_10 Depth=1
	v_cmp_ne_u16_sdwa s[26:27], v12, v9 src0_sel:BYTE_0 src1_sel:DWORD
	s_andn2_b64 s[4:5], s[4:5], exec
	s_and_b64 s[26:27], s[26:27], exec
	v_mov_b32_e32 v35, 0
	s_or_b64 s[4:5], s[4:5], s[26:27]
	s_or_b64 exec, exec, s[24:25]
	s_and_saveexec_b64 s[24:25], s[4:5]
	s_cbranch_execnz .LBB305_29
	s_branch .LBB305_30
.LBB305_260:                            ;   in Loop: Header=BB305_10 Depth=1
	v_cmp_eq_u16_e64 s[4:5], s31, v8
	s_mov_b64 s[24:25], -1
                                        ; implicit-def: $sgpr35
	s_and_saveexec_b64 s[28:29], s[4:5]
; %bb.261:                              ;   in Loop: Header=BB305_10 Depth=1
	s_mov_b32 s35, 0x7fc02000
	s_xor_b64 s[24:25], exec, -1
; %bb.262:                              ;   in Loop: Header=BB305_10 Depth=1
	s_or_b64 exec, exec, s[28:29]
	s_and_b64 s[24:25], s[24:25], exec
	s_or_saveexec_b64 s[26:27], s[26:27]
	v_mov_b32_e32 v53, s35
	s_xor_b64 exec, exec, s[26:27]
	s_cbranch_execz .LBB305_32
.LBB305_263:                            ;   in Loop: Header=BB305_10 Depth=1
	v_cmp_ne_u16_e64 s[4:5], 0, v8
	s_andn2_b64 s[24:25], s[24:25], exec
	s_and_b64 s[4:5], s[4:5], exec
	v_mov_b32_e32 v53, 0
	s_or_b64 s[24:25], s[24:25], s[4:5]
	s_or_b64 exec, exec, s[26:27]
	s_and_saveexec_b64 s[26:27], s[24:25]
	s_cbranch_execnz .LBB305_33
	s_branch .LBB305_34
.LBB305_264:                            ;   in Loop: Header=BB305_10 Depth=1
	v_cmp_eq_u16_sdwa s[36:37], v8, s31 src0_sel:BYTE_0 src1_sel:DWORD
	s_mov_b64 s[4:5], -1
                                        ; implicit-def: $sgpr28
	s_and_saveexec_b64 s[26:27], s[36:37]
; %bb.265:                              ;   in Loop: Header=BB305_10 Depth=1
	s_mov_b32 s28, 0x7fc02000
	s_xor_b64 s[4:5], exec, -1
; %bb.266:                              ;   in Loop: Header=BB305_10 Depth=1
	s_or_b64 exec, exec, s[26:27]
	s_and_b64 s[4:5], s[4:5], exec
	s_or_saveexec_b64 s[24:25], s[24:25]
	v_mov_b32_e32 v54, s28
	s_xor_b64 exec, exec, s[24:25]
	s_cbranch_execz .LBB305_36
.LBB305_267:                            ;   in Loop: Header=BB305_10 Depth=1
	v_cmp_ne_u16_sdwa s[26:27], v8, v9 src0_sel:BYTE_0 src1_sel:DWORD
	s_andn2_b64 s[4:5], s[4:5], exec
	s_and_b64 s[26:27], s[26:27], exec
	v_mov_b32_e32 v54, 0
	s_or_b64 s[4:5], s[4:5], s[26:27]
	s_or_b64 exec, exec, s[24:25]
	s_and_saveexec_b64 s[24:25], s[4:5]
	s_cbranch_execnz .LBB305_37
	s_branch .LBB305_38
.LBB305_268:                            ;   in Loop: Header=BB305_10 Depth=1
	v_cmp_eq_u16_e64 s[4:5], s31, v8
	s_mov_b64 s[24:25], -1
                                        ; implicit-def: $sgpr35
	s_and_saveexec_b64 s[28:29], s[4:5]
; %bb.269:                              ;   in Loop: Header=BB305_10 Depth=1
	s_mov_b32 s35, 0x7fc02000
	s_xor_b64 s[24:25], exec, -1
; %bb.270:                              ;   in Loop: Header=BB305_10 Depth=1
	s_or_b64 exec, exec, s[28:29]
	s_and_b64 s[24:25], s[24:25], exec
	s_or_saveexec_b64 s[26:27], s[26:27]
	v_mov_b32_e32 v39, s35
	s_xor_b64 exec, exec, s[26:27]
	s_cbranch_execz .LBB305_40
.LBB305_271:                            ;   in Loop: Header=BB305_10 Depth=1
	v_cmp_ne_u16_e64 s[4:5], 0, v8
	s_andn2_b64 s[24:25], s[24:25], exec
	s_and_b64 s[4:5], s[4:5], exec
	v_mov_b32_e32 v39, 0
	s_or_b64 s[24:25], s[24:25], s[4:5]
	s_or_b64 exec, exec, s[26:27]
	s_and_saveexec_b64 s[26:27], s[24:25]
	s_cbranch_execnz .LBB305_41
	s_branch .LBB305_42
.LBB305_272:                            ;   in Loop: Header=BB305_10 Depth=1
	v_cmp_eq_u16_sdwa s[36:37], v12, s31 src0_sel:BYTE_0 src1_sel:DWORD
	s_mov_b64 s[4:5], -1
                                        ; implicit-def: $sgpr28
	s_and_saveexec_b64 s[26:27], s[36:37]
; %bb.273:                              ;   in Loop: Header=BB305_10 Depth=1
	s_mov_b32 s28, 0x7fc02000
	s_xor_b64 s[4:5], exec, -1
; %bb.274:                              ;   in Loop: Header=BB305_10 Depth=1
	s_or_b64 exec, exec, s[26:27]
	s_and_b64 s[4:5], s[4:5], exec
	s_or_saveexec_b64 s[24:25], s[24:25]
	v_mov_b32_e32 v55, s28
	s_xor_b64 exec, exec, s[24:25]
	s_cbranch_execz .LBB305_44
.LBB305_275:                            ;   in Loop: Header=BB305_10 Depth=1
	v_cmp_ne_u16_sdwa s[26:27], v12, v9 src0_sel:BYTE_0 src1_sel:DWORD
	s_andn2_b64 s[4:5], s[4:5], exec
	s_and_b64 s[26:27], s[26:27], exec
	v_mov_b32_e32 v55, 0
	s_or_b64 s[4:5], s[4:5], s[26:27]
	s_or_b64 exec, exec, s[24:25]
	s_and_saveexec_b64 s[24:25], s[4:5]
	s_cbranch_execnz .LBB305_45
	s_branch .LBB305_46
.LBB305_276:                            ;   in Loop: Header=BB305_10 Depth=1
	v_cmp_eq_u16_e64 s[4:5], s31, v8
	s_mov_b64 s[24:25], -1
                                        ; implicit-def: $sgpr35
	s_and_saveexec_b64 s[28:29], s[4:5]
; %bb.277:                              ;   in Loop: Header=BB305_10 Depth=1
	s_mov_b32 s35, 0x7fc02000
	s_xor_b64 s[24:25], exec, -1
; %bb.278:                              ;   in Loop: Header=BB305_10 Depth=1
	s_or_b64 exec, exec, s[28:29]
	s_and_b64 s[24:25], s[24:25], exec
	s_or_saveexec_b64 s[26:27], s[26:27]
	v_mov_b32_e32 v40, s35
	s_xor_b64 exec, exec, s[26:27]
	s_cbranch_execz .LBB305_48
.LBB305_279:                            ;   in Loop: Header=BB305_10 Depth=1
	v_cmp_ne_u16_e64 s[4:5], 0, v8
	s_andn2_b64 s[24:25], s[24:25], exec
	s_and_b64 s[4:5], s[4:5], exec
	v_mov_b32_e32 v40, 0
	s_or_b64 s[24:25], s[24:25], s[4:5]
	s_or_b64 exec, exec, s[26:27]
	s_and_saveexec_b64 s[26:27], s[24:25]
	s_cbranch_execnz .LBB305_49
	s_branch .LBB305_50
.LBB305_280:                            ;   in Loop: Header=BB305_10 Depth=1
	v_cmp_eq_u16_sdwa s[36:37], v8, s31 src0_sel:BYTE_0 src1_sel:DWORD
	s_mov_b64 s[4:5], -1
                                        ; implicit-def: $sgpr28
	s_and_saveexec_b64 s[26:27], s[36:37]
; %bb.281:                              ;   in Loop: Header=BB305_10 Depth=1
	s_mov_b32 s28, 0x7fc02000
	s_xor_b64 s[4:5], exec, -1
; %bb.282:                              ;   in Loop: Header=BB305_10 Depth=1
	s_or_b64 exec, exec, s[26:27]
	s_and_b64 s[4:5], s[4:5], exec
	s_or_saveexec_b64 s[24:25], s[24:25]
	v_mov_b32_e32 v48, s28
	s_xor_b64 exec, exec, s[24:25]
	s_cbranch_execz .LBB305_52
.LBB305_283:                            ;   in Loop: Header=BB305_10 Depth=1
	v_cmp_ne_u16_sdwa s[26:27], v8, v9 src0_sel:BYTE_0 src1_sel:DWORD
	s_andn2_b64 s[4:5], s[4:5], exec
	s_and_b64 s[26:27], s[26:27], exec
	v_mov_b32_e32 v48, 0
	s_or_b64 s[4:5], s[4:5], s[26:27]
	s_or_b64 exec, exec, s[24:25]
	s_and_saveexec_b64 s[24:25], s[4:5]
	s_cbranch_execnz .LBB305_53
	s_branch .LBB305_54
.LBB305_284:                            ;   in Loop: Header=BB305_10 Depth=1
	v_cmp_eq_u16_e64 s[4:5], s31, v8
	s_mov_b64 s[24:25], -1
                                        ; implicit-def: $sgpr35
	s_and_saveexec_b64 s[28:29], s[4:5]
; %bb.285:                              ;   in Loop: Header=BB305_10 Depth=1
	s_mov_b32 s35, 0x7fc02000
	s_xor_b64 s[24:25], exec, -1
; %bb.286:                              ;   in Loop: Header=BB305_10 Depth=1
	s_or_b64 exec, exec, s[28:29]
	s_and_b64 s[24:25], s[24:25], exec
	s_or_saveexec_b64 s[26:27], s[26:27]
	v_mov_b32_e32 v59, s35
	s_xor_b64 exec, exec, s[26:27]
	s_cbranch_execz .LBB305_56
.LBB305_287:                            ;   in Loop: Header=BB305_10 Depth=1
	v_cmp_ne_u16_e64 s[4:5], 0, v8
	s_andn2_b64 s[24:25], s[24:25], exec
	s_and_b64 s[4:5], s[4:5], exec
	v_mov_b32_e32 v59, 0
	s_or_b64 s[24:25], s[24:25], s[4:5]
	s_or_b64 exec, exec, s[26:27]
	s_and_saveexec_b64 s[26:27], s[24:25]
	s_cbranch_execnz .LBB305_57
	s_branch .LBB305_58
.LBB305_288:                            ;   in Loop: Header=BB305_10 Depth=1
	v_cmp_eq_u16_sdwa s[36:37], v12, s31 src0_sel:BYTE_0 src1_sel:DWORD
	s_mov_b64 s[4:5], -1
                                        ; implicit-def: $sgpr28
	s_and_saveexec_b64 s[26:27], s[36:37]
; %bb.289:                              ;   in Loop: Header=BB305_10 Depth=1
	s_mov_b32 s28, 0x7fc02000
	s_xor_b64 s[4:5], exec, -1
; %bb.290:                              ;   in Loop: Header=BB305_10 Depth=1
	s_or_b64 exec, exec, s[26:27]
	s_and_b64 s[4:5], s[4:5], exec
	s_or_saveexec_b64 s[24:25], s[24:25]
	v_mov_b32_e32 v0, s28
	s_xor_b64 exec, exec, s[24:25]
	s_cbranch_execz .LBB305_60
.LBB305_291:                            ;   in Loop: Header=BB305_10 Depth=1
	v_cmp_ne_u16_sdwa s[26:27], v12, v9 src0_sel:BYTE_0 src1_sel:DWORD
	s_andn2_b64 s[4:5], s[4:5], exec
	s_and_b64 s[26:27], s[26:27], exec
	v_mov_b32_e32 v0, 0
	s_or_b64 s[4:5], s[4:5], s[26:27]
	s_or_b64 exec, exec, s[24:25]
	s_and_saveexec_b64 s[24:25], s[4:5]
	s_cbranch_execnz .LBB305_61
	s_branch .LBB305_62
.LBB305_292:                            ;   in Loop: Header=BB305_10 Depth=1
	v_cmp_eq_u16_e64 s[4:5], s31, v8
	s_mov_b64 s[24:25], -1
                                        ; implicit-def: $sgpr35
	s_and_saveexec_b64 s[28:29], s[4:5]
; %bb.293:                              ;   in Loop: Header=BB305_10 Depth=1
	s_mov_b32 s35, 0x7fc02000
	s_xor_b64 s[24:25], exec, -1
; %bb.294:                              ;   in Loop: Header=BB305_10 Depth=1
	s_or_b64 exec, exec, s[28:29]
	s_and_b64 s[24:25], s[24:25], exec
	s_or_saveexec_b64 s[26:27], s[26:27]
	v_mov_b32_e32 v60, s35
	s_xor_b64 exec, exec, s[26:27]
	s_cbranch_execz .LBB305_64
.LBB305_295:                            ;   in Loop: Header=BB305_10 Depth=1
	v_cmp_ne_u16_e64 s[4:5], 0, v8
	s_andn2_b64 s[24:25], s[24:25], exec
	s_and_b64 s[4:5], s[4:5], exec
	v_mov_b32_e32 v60, 0
	s_or_b64 s[24:25], s[24:25], s[4:5]
	s_or_b64 exec, exec, s[26:27]
	s_and_saveexec_b64 s[26:27], s[24:25]
	s_cbranch_execnz .LBB305_65
	s_branch .LBB305_66
.LBB305_296:                            ;   in Loop: Header=BB305_10 Depth=1
	v_cmp_eq_u16_sdwa s[36:37], v8, s31 src0_sel:BYTE_0 src1_sel:DWORD
	s_mov_b64 s[4:5], -1
                                        ; implicit-def: $sgpr28
	s_and_saveexec_b64 s[26:27], s[36:37]
; %bb.297:                              ;   in Loop: Header=BB305_10 Depth=1
	s_mov_b32 s28, 0x7fc02000
	s_xor_b64 s[4:5], exec, -1
; %bb.298:                              ;   in Loop: Header=BB305_10 Depth=1
	s_or_b64 exec, exec, s[26:27]
	s_and_b64 s[4:5], s[4:5], exec
	s_or_saveexec_b64 s[24:25], s[24:25]
	v_mov_b32_e32 v61, s28
	s_xor_b64 exec, exec, s[24:25]
	s_cbranch_execz .LBB305_68
.LBB305_299:                            ;   in Loop: Header=BB305_10 Depth=1
	v_cmp_ne_u16_sdwa s[26:27], v8, v9 src0_sel:BYTE_0 src1_sel:DWORD
	s_andn2_b64 s[4:5], s[4:5], exec
	s_and_b64 s[26:27], s[26:27], exec
	v_mov_b32_e32 v61, 0
	s_or_b64 s[4:5], s[4:5], s[26:27]
	s_or_b64 exec, exec, s[24:25]
	s_and_saveexec_b64 s[24:25], s[4:5]
	s_cbranch_execnz .LBB305_69
	s_branch .LBB305_70
.LBB305_300:                            ;   in Loop: Header=BB305_10 Depth=1
	v_cmp_eq_u16_e64 s[4:5], s31, v8
	s_mov_b64 s[24:25], -1
                                        ; implicit-def: $sgpr35
	s_and_saveexec_b64 s[28:29], s[4:5]
; %bb.301:                              ;   in Loop: Header=BB305_10 Depth=1
	s_mov_b32 s35, 0x7fc02000
	s_xor_b64 s[24:25], exec, -1
; %bb.302:                              ;   in Loop: Header=BB305_10 Depth=1
	s_or_b64 exec, exec, s[28:29]
	s_and_b64 s[24:25], s[24:25], exec
	s_or_saveexec_b64 s[26:27], s[26:27]
	v_mov_b32_e32 v62, s35
	s_xor_b64 exec, exec, s[26:27]
	s_cbranch_execz .LBB305_72
.LBB305_303:                            ;   in Loop: Header=BB305_10 Depth=1
	v_cmp_ne_u16_e64 s[4:5], 0, v8
	s_andn2_b64 s[24:25], s[24:25], exec
	s_and_b64 s[4:5], s[4:5], exec
	v_mov_b32_e32 v62, 0
	s_or_b64 s[24:25], s[24:25], s[4:5]
	s_or_b64 exec, exec, s[26:27]
	s_and_saveexec_b64 s[26:27], s[24:25]
	s_cbranch_execnz .LBB305_73
	s_branch .LBB305_74
.LBB305_304:                            ;   in Loop: Header=BB305_10 Depth=1
	v_cmp_eq_u16_sdwa s[36:37], v12, s31 src0_sel:BYTE_0 src1_sel:DWORD
	s_mov_b64 s[4:5], -1
                                        ; implicit-def: $sgpr28
	s_and_saveexec_b64 s[26:27], s[36:37]
; %bb.305:                              ;   in Loop: Header=BB305_10 Depth=1
	s_mov_b32 s28, 0x7fc02000
	s_xor_b64 s[4:5], exec, -1
; %bb.306:                              ;   in Loop: Header=BB305_10 Depth=1
	s_or_b64 exec, exec, s[26:27]
	s_and_b64 s[4:5], s[4:5], exec
	s_or_saveexec_b64 s[24:25], s[24:25]
	v_mov_b32_e32 v0, s28
	s_xor_b64 exec, exec, s[24:25]
	s_cbranch_execz .LBB305_76
.LBB305_307:                            ;   in Loop: Header=BB305_10 Depth=1
	v_cmp_ne_u16_sdwa s[26:27], v12, v9 src0_sel:BYTE_0 src1_sel:DWORD
	s_andn2_b64 s[4:5], s[4:5], exec
	s_and_b64 s[26:27], s[26:27], exec
	v_mov_b32_e32 v0, 0
	s_or_b64 s[4:5], s[4:5], s[26:27]
	s_or_b64 exec, exec, s[24:25]
	s_and_saveexec_b64 s[24:25], s[4:5]
	s_cbranch_execnz .LBB305_77
	s_branch .LBB305_78
.LBB305_308:                            ;   in Loop: Header=BB305_10 Depth=1
	v_cmp_eq_u16_e64 s[4:5], s31, v8
	s_mov_b64 s[24:25], -1
                                        ; implicit-def: $sgpr35
	s_and_saveexec_b64 s[28:29], s[4:5]
; %bb.309:                              ;   in Loop: Header=BB305_10 Depth=1
	s_mov_b32 s35, 0x7fc02000
	s_xor_b64 s[24:25], exec, -1
; %bb.310:                              ;   in Loop: Header=BB305_10 Depth=1
	s_or_b64 exec, exec, s[28:29]
	s_and_b64 s[24:25], s[24:25], exec
	s_or_saveexec_b64 s[26:27], s[26:27]
	v_mov_b32_e32 v20, s35
	s_xor_b64 exec, exec, s[26:27]
	s_cbranch_execz .LBB305_80
.LBB305_311:                            ;   in Loop: Header=BB305_10 Depth=1
	v_cmp_ne_u16_e64 s[4:5], 0, v8
	s_andn2_b64 s[24:25], s[24:25], exec
	s_and_b64 s[4:5], s[4:5], exec
	v_mov_b32_e32 v20, 0
	s_or_b64 s[24:25], s[24:25], s[4:5]
	s_or_b64 exec, exec, s[26:27]
	s_and_saveexec_b64 s[26:27], s[24:25]
	s_cbranch_execnz .LBB305_81
	s_branch .LBB305_82
.LBB305_312:                            ;   in Loop: Header=BB305_10 Depth=1
	v_cmp_eq_u16_sdwa s[36:37], v8, s31 src0_sel:BYTE_0 src1_sel:DWORD
	s_mov_b64 s[4:5], -1
                                        ; implicit-def: $sgpr28
	s_and_saveexec_b64 s[26:27], s[36:37]
; %bb.313:                              ;   in Loop: Header=BB305_10 Depth=1
	s_mov_b32 s28, 0x7fc02000
	s_xor_b64 s[4:5], exec, -1
; %bb.314:                              ;   in Loop: Header=BB305_10 Depth=1
	s_or_b64 exec, exec, s[26:27]
	s_and_b64 s[4:5], s[4:5], exec
	s_or_saveexec_b64 s[24:25], s[24:25]
	v_mov_b32_e32 v5, s28
	s_xor_b64 exec, exec, s[24:25]
	s_cbranch_execz .LBB305_84
.LBB305_315:                            ;   in Loop: Header=BB305_10 Depth=1
	v_cmp_ne_u16_sdwa s[26:27], v8, v9 src0_sel:BYTE_0 src1_sel:DWORD
	s_andn2_b64 s[4:5], s[4:5], exec
	s_and_b64 s[26:27], s[26:27], exec
	v_mov_b32_e32 v5, 0
	s_or_b64 s[4:5], s[4:5], s[26:27]
	s_or_b64 exec, exec, s[24:25]
	s_and_saveexec_b64 s[24:25], s[4:5]
	s_cbranch_execnz .LBB305_85
	s_branch .LBB305_86
.LBB305_316:                            ;   in Loop: Header=BB305_10 Depth=1
	v_cmp_eq_u16_e64 s[4:5], s31, v8
	s_mov_b64 s[24:25], -1
                                        ; implicit-def: $sgpr35
	s_and_saveexec_b64 s[28:29], s[4:5]
; %bb.317:                              ;   in Loop: Header=BB305_10 Depth=1
	s_mov_b32 s35, 0x7fc02000
	s_xor_b64 s[24:25], exec, -1
; %bb.318:                              ;   in Loop: Header=BB305_10 Depth=1
	s_or_b64 exec, exec, s[28:29]
	s_and_b64 s[24:25], s[24:25], exec
	s_or_saveexec_b64 s[26:27], s[26:27]
	v_mov_b32_e32 v19, s35
	s_xor_b64 exec, exec, s[26:27]
	s_cbranch_execz .LBB305_88
.LBB305_319:                            ;   in Loop: Header=BB305_10 Depth=1
	v_cmp_ne_u16_e64 s[4:5], 0, v8
	s_andn2_b64 s[24:25], s[24:25], exec
	s_and_b64 s[4:5], s[4:5], exec
	v_mov_b32_e32 v19, 0
	s_or_b64 s[24:25], s[24:25], s[4:5]
	s_or_b64 exec, exec, s[26:27]
	s_and_saveexec_b64 s[26:27], s[24:25]
	s_cbranch_execnz .LBB305_89
	s_branch .LBB305_90
.LBB305_320:                            ;   in Loop: Header=BB305_10 Depth=1
	v_cmp_eq_u16_sdwa s[36:37], v12, s31 src0_sel:BYTE_0 src1_sel:DWORD
	s_mov_b64 s[4:5], -1
                                        ; implicit-def: $sgpr28
	s_and_saveexec_b64 s[26:27], s[36:37]
; %bb.321:                              ;   in Loop: Header=BB305_10 Depth=1
	s_mov_b32 s28, 0x7fc02000
	s_xor_b64 s[4:5], exec, -1
; %bb.322:                              ;   in Loop: Header=BB305_10 Depth=1
	s_or_b64 exec, exec, s[26:27]
	s_and_b64 s[4:5], s[4:5], exec
	s_or_saveexec_b64 s[24:25], s[24:25]
	v_mov_b32_e32 v4, s28
	s_xor_b64 exec, exec, s[24:25]
	s_cbranch_execz .LBB305_92
.LBB305_323:                            ;   in Loop: Header=BB305_10 Depth=1
	v_cmp_ne_u16_sdwa s[26:27], v12, v9 src0_sel:BYTE_0 src1_sel:DWORD
	s_andn2_b64 s[4:5], s[4:5], exec
	s_and_b64 s[26:27], s[26:27], exec
	v_mov_b32_e32 v4, 0
	s_or_b64 s[4:5], s[4:5], s[26:27]
	s_or_b64 exec, exec, s[24:25]
	s_and_saveexec_b64 s[24:25], s[4:5]
	s_cbranch_execnz .LBB305_93
	s_branch .LBB305_94
.LBB305_324:                            ;   in Loop: Header=BB305_10 Depth=1
	v_cmp_eq_u16_e64 s[4:5], s31, v8
	s_mov_b64 s[24:25], -1
                                        ; implicit-def: $sgpr35
	s_and_saveexec_b64 s[28:29], s[4:5]
; %bb.325:                              ;   in Loop: Header=BB305_10 Depth=1
	s_mov_b32 s35, 0x7fc02000
	s_xor_b64 s[24:25], exec, -1
; %bb.326:                              ;   in Loop: Header=BB305_10 Depth=1
	s_or_b64 exec, exec, s[28:29]
	s_and_b64 s[24:25], s[24:25], exec
	s_or_saveexec_b64 s[26:27], s[26:27]
	v_mov_b32_e32 v17, s35
	s_xor_b64 exec, exec, s[26:27]
	s_cbranch_execz .LBB305_96
.LBB305_327:                            ;   in Loop: Header=BB305_10 Depth=1
	v_cmp_ne_u16_e64 s[4:5], 0, v8
	s_andn2_b64 s[24:25], s[24:25], exec
	s_and_b64 s[4:5], s[4:5], exec
	v_mov_b32_e32 v17, 0
	s_or_b64 s[24:25], s[24:25], s[4:5]
	s_or_b64 exec, exec, s[26:27]
	s_and_saveexec_b64 s[26:27], s[24:25]
	s_cbranch_execnz .LBB305_97
	s_branch .LBB305_98
.LBB305_328:                            ;   in Loop: Header=BB305_10 Depth=1
	v_cmp_eq_u16_sdwa s[36:37], v8, s31 src0_sel:BYTE_0 src1_sel:DWORD
	s_mov_b64 s[4:5], -1
                                        ; implicit-def: $sgpr28
	s_and_saveexec_b64 s[26:27], s[36:37]
; %bb.329:                              ;   in Loop: Header=BB305_10 Depth=1
	s_mov_b32 s28, 0x7fc02000
	s_xor_b64 s[4:5], exec, -1
; %bb.330:                              ;   in Loop: Header=BB305_10 Depth=1
	s_or_b64 exec, exec, s[26:27]
	s_and_b64 s[4:5], s[4:5], exec
	s_or_saveexec_b64 s[24:25], s[24:25]
	v_mov_b32_e32 v28, s28
	s_xor_b64 exec, exec, s[24:25]
	s_cbranch_execz .LBB305_100
.LBB305_331:                            ;   in Loop: Header=BB305_10 Depth=1
	v_cmp_ne_u16_sdwa s[26:27], v8, v9 src0_sel:BYTE_0 src1_sel:DWORD
	s_andn2_b64 s[4:5], s[4:5], exec
	s_and_b64 s[26:27], s[26:27], exec
	v_mov_b32_e32 v28, 0
	s_or_b64 s[4:5], s[4:5], s[26:27]
	s_or_b64 exec, exec, s[24:25]
	s_and_saveexec_b64 s[24:25], s[4:5]
	s_cbranch_execnz .LBB305_101
	s_branch .LBB305_102
.LBB305_332:                            ;   in Loop: Header=BB305_10 Depth=1
	v_cmp_eq_u16_e64 s[4:5], s31, v8
	s_mov_b64 s[24:25], -1
                                        ; implicit-def: $sgpr35
	s_and_saveexec_b64 s[28:29], s[4:5]
; %bb.333:                              ;   in Loop: Header=BB305_10 Depth=1
	s_mov_b32 s35, 0x7fc02000
	s_xor_b64 s[24:25], exec, -1
; %bb.334:                              ;   in Loop: Header=BB305_10 Depth=1
	s_or_b64 exec, exec, s[28:29]
	s_and_b64 s[24:25], s[24:25], exec
	s_or_saveexec_b64 s[26:27], s[26:27]
	v_mov_b32_e32 v29, s35
	s_xor_b64 exec, exec, s[26:27]
	s_cbranch_execz .LBB305_104
.LBB305_335:                            ;   in Loop: Header=BB305_10 Depth=1
	v_cmp_ne_u16_e64 s[4:5], 0, v8
	s_andn2_b64 s[24:25], s[24:25], exec
	s_and_b64 s[4:5], s[4:5], exec
	v_mov_b32_e32 v29, 0
	s_or_b64 s[24:25], s[24:25], s[4:5]
	s_or_b64 exec, exec, s[26:27]
	s_and_saveexec_b64 s[26:27], s[24:25]
	s_cbranch_execnz .LBB305_105
	s_branch .LBB305_106
.LBB305_336:                            ;   in Loop: Header=BB305_10 Depth=1
	v_cmp_eq_u16_sdwa s[36:37], v12, s31 src0_sel:BYTE_0 src1_sel:DWORD
	s_mov_b64 s[4:5], -1
                                        ; implicit-def: $sgpr28
	s_and_saveexec_b64 s[26:27], s[36:37]
; %bb.337:                              ;   in Loop: Header=BB305_10 Depth=1
	s_mov_b32 s28, 0x7fc02000
	s_xor_b64 s[4:5], exec, -1
; %bb.338:                              ;   in Loop: Header=BB305_10 Depth=1
	s_or_b64 exec, exec, s[26:27]
	s_and_b64 s[4:5], s[4:5], exec
	s_or_saveexec_b64 s[24:25], s[24:25]
	v_mov_b32_e32 v52, s28
	s_xor_b64 exec, exec, s[24:25]
	s_cbranch_execz .LBB305_108
.LBB305_339:                            ;   in Loop: Header=BB305_10 Depth=1
	v_cmp_ne_u16_sdwa s[26:27], v12, v9 src0_sel:BYTE_0 src1_sel:DWORD
	s_andn2_b64 s[4:5], s[4:5], exec
	s_and_b64 s[26:27], s[26:27], exec
	v_mov_b32_e32 v52, 0
	s_or_b64 s[4:5], s[4:5], s[26:27]
	s_or_b64 exec, exec, s[24:25]
	s_and_saveexec_b64 s[24:25], s[4:5]
	s_cbranch_execnz .LBB305_109
	s_branch .LBB305_110
.LBB305_340:                            ;   in Loop: Header=BB305_10 Depth=1
	v_cmp_eq_u16_e64 s[4:5], s31, v8
	s_mov_b64 s[24:25], -1
                                        ; implicit-def: $sgpr35
	s_and_saveexec_b64 s[28:29], s[4:5]
; %bb.341:                              ;   in Loop: Header=BB305_10 Depth=1
	s_mov_b32 s35, 0x7fc02000
	s_xor_b64 s[24:25], exec, -1
; %bb.342:                              ;   in Loop: Header=BB305_10 Depth=1
	s_or_b64 exec, exec, s[28:29]
	s_and_b64 s[24:25], s[24:25], exec
	s_or_saveexec_b64 s[26:27], s[26:27]
	v_mov_b32_e32 v38, s35
	s_xor_b64 exec, exec, s[26:27]
	s_cbranch_execz .LBB305_112
.LBB305_343:                            ;   in Loop: Header=BB305_10 Depth=1
	v_cmp_ne_u16_e64 s[4:5], 0, v8
	s_andn2_b64 s[24:25], s[24:25], exec
	s_and_b64 s[4:5], s[4:5], exec
	v_mov_b32_e32 v38, 0
	s_or_b64 s[24:25], s[24:25], s[4:5]
	s_or_b64 exec, exec, s[26:27]
	s_and_saveexec_b64 s[26:27], s[24:25]
	s_cbranch_execnz .LBB305_113
	s_branch .LBB305_114
.LBB305_344:                            ;   in Loop: Header=BB305_10 Depth=1
	v_cmp_eq_u16_sdwa s[36:37], v8, s31 src0_sel:BYTE_0 src1_sel:DWORD
	s_mov_b64 s[4:5], -1
                                        ; implicit-def: $sgpr28
	s_and_saveexec_b64 s[26:27], s[36:37]
; %bb.345:                              ;   in Loop: Header=BB305_10 Depth=1
	s_mov_b32 s28, 0x7fc02000
	s_xor_b64 s[4:5], exec, -1
; %bb.346:                              ;   in Loop: Header=BB305_10 Depth=1
	s_or_b64 exec, exec, s[26:27]
	s_and_b64 s[4:5], s[4:5], exec
	s_or_saveexec_b64 s[24:25], s[24:25]
	v_mov_b32_e32 v49, s28
	s_xor_b64 exec, exec, s[24:25]
	s_cbranch_execz .LBB305_116
.LBB305_347:                            ;   in Loop: Header=BB305_10 Depth=1
	v_cmp_ne_u16_sdwa s[26:27], v8, v9 src0_sel:BYTE_0 src1_sel:DWORD
	s_andn2_b64 s[4:5], s[4:5], exec
	s_and_b64 s[26:27], s[26:27], exec
	v_mov_b32_e32 v49, 0
	s_or_b64 s[4:5], s[4:5], s[26:27]
	s_or_b64 exec, exec, s[24:25]
	s_and_saveexec_b64 s[24:25], s[4:5]
	s_cbranch_execnz .LBB305_117
	s_branch .LBB305_118
.LBB305_348:                            ;   in Loop: Header=BB305_10 Depth=1
	v_cmp_eq_u16_e64 s[4:5], s31, v8
	s_mov_b64 s[24:25], -1
                                        ; implicit-def: $sgpr35
	s_and_saveexec_b64 s[28:29], s[4:5]
; %bb.349:                              ;   in Loop: Header=BB305_10 Depth=1
	s_mov_b32 s35, 0x7fc02000
	s_xor_b64 s[24:25], exec, -1
; %bb.350:                              ;   in Loop: Header=BB305_10 Depth=1
	s_or_b64 exec, exec, s[28:29]
	s_and_b64 s[24:25], s[24:25], exec
	s_or_saveexec_b64 s[26:27], s[26:27]
	v_mov_b32_e32 v11, s35
	s_xor_b64 exec, exec, s[26:27]
	s_cbranch_execz .LBB305_120
.LBB305_351:                            ;   in Loop: Header=BB305_10 Depth=1
	v_cmp_ne_u16_e64 s[4:5], 0, v8
	s_andn2_b64 s[24:25], s[24:25], exec
	s_and_b64 s[4:5], s[4:5], exec
	v_mov_b32_e32 v11, 0
	s_or_b64 s[24:25], s[24:25], s[4:5]
	s_or_b64 exec, exec, s[26:27]
	s_and_saveexec_b64 s[26:27], s[24:25]
	s_cbranch_execnz .LBB305_121
	s_branch .LBB305_122
.LBB305_352:                            ;   in Loop: Header=BB305_10 Depth=1
	v_cmp_eq_u16_sdwa s[36:37], v12, s31 src0_sel:BYTE_0 src1_sel:DWORD
	s_mov_b64 s[4:5], -1
                                        ; implicit-def: $sgpr28
	s_and_saveexec_b64 s[26:27], s[36:37]
; %bb.353:                              ;   in Loop: Header=BB305_10 Depth=1
	s_mov_b32 s28, 0x7fc02000
	s_xor_b64 s[4:5], exec, -1
; %bb.354:                              ;   in Loop: Header=BB305_10 Depth=1
	s_or_b64 exec, exec, s[26:27]
	s_and_b64 s[4:5], s[4:5], exec
	s_or_saveexec_b64 s[24:25], s[24:25]
	v_mov_b32_e32 v10, s28
	s_xor_b64 exec, exec, s[24:25]
	s_cbranch_execz .LBB305_124
.LBB305_355:                            ;   in Loop: Header=BB305_10 Depth=1
	v_cmp_ne_u16_sdwa s[26:27], v12, v9 src0_sel:BYTE_0 src1_sel:DWORD
	s_andn2_b64 s[4:5], s[4:5], exec
	s_and_b64 s[26:27], s[26:27], exec
	v_mov_b32_e32 v10, 0
	s_or_b64 s[4:5], s[4:5], s[26:27]
	s_or_b64 exec, exec, s[24:25]
	s_and_saveexec_b64 s[24:25], s[4:5]
	s_cbranch_execnz .LBB305_125
	s_branch .LBB305_126
.LBB305_356:                            ;   in Loop: Header=BB305_10 Depth=1
	v_cmp_eq_u16_e64 s[4:5], s31, v8
	s_mov_b64 s[24:25], -1
                                        ; implicit-def: $sgpr35
	s_and_saveexec_b64 s[28:29], s[4:5]
; %bb.357:                              ;   in Loop: Header=BB305_10 Depth=1
	s_mov_b32 s35, 0x7fc02000
	s_xor_b64 s[24:25], exec, -1
; %bb.358:                              ;   in Loop: Header=BB305_10 Depth=1
	s_or_b64 exec, exec, s[28:29]
	s_and_b64 s[24:25], s[24:25], exec
	s_or_saveexec_b64 s[26:27], s[26:27]
	v_mov_b32_e32 v1, s35
	s_xor_b64 exec, exec, s[26:27]
	s_cbranch_execz .LBB305_128
.LBB305_359:                            ;   in Loop: Header=BB305_10 Depth=1
	v_cmp_ne_u16_e64 s[4:5], 0, v8
	s_andn2_b64 s[24:25], s[24:25], exec
	s_and_b64 s[4:5], s[4:5], exec
	v_mov_b32_e32 v1, 0
	s_or_b64 s[24:25], s[24:25], s[4:5]
	s_or_b64 exec, exec, s[26:27]
	s_and_saveexec_b64 s[26:27], s[24:25]
	s_cbranch_execnz .LBB305_129
	s_branch .LBB305_130
.LBB305_360:                            ;   in Loop: Header=BB305_10 Depth=1
	v_cmp_eq_u16_sdwa s[36:37], v8, s31 src0_sel:BYTE_0 src1_sel:DWORD
	s_mov_b64 s[4:5], -1
                                        ; implicit-def: $sgpr28
	s_and_saveexec_b64 s[26:27], s[36:37]
; %bb.361:                              ;   in Loop: Header=BB305_10 Depth=1
	s_mov_b32 s28, 0x7fc02000
	s_xor_b64 s[4:5], exec, -1
; %bb.362:                              ;   in Loop: Header=BB305_10 Depth=1
	s_or_b64 exec, exec, s[26:27]
	s_and_b64 s[4:5], s[4:5], exec
	s_or_saveexec_b64 s[24:25], s[24:25]
	v_mov_b32_e32 v0, s28
	s_xor_b64 exec, exec, s[24:25]
	s_cbranch_execz .LBB305_132
.LBB305_363:                            ;   in Loop: Header=BB305_10 Depth=1
	v_cmp_ne_u16_sdwa s[26:27], v8, v9 src0_sel:BYTE_0 src1_sel:DWORD
	s_andn2_b64 s[4:5], s[4:5], exec
	s_and_b64 s[26:27], s[26:27], exec
	v_mov_b32_e32 v0, 0
	s_or_b64 s[4:5], s[4:5], s[26:27]
	s_or_b64 exec, exec, s[24:25]
	s_and_saveexec_b64 s[24:25], s[4:5]
	s_cbranch_execnz .LBB305_133
	s_branch .LBB305_134
.LBB305_364:                            ;   in Loop: Header=BB305_10 Depth=1
	v_cmp_eq_u16_e64 s[4:5], s31, v8
	s_mov_b64 s[24:25], -1
                                        ; implicit-def: $sgpr35
	s_and_saveexec_b64 s[28:29], s[4:5]
; %bb.365:                              ;   in Loop: Header=BB305_10 Depth=1
	s_mov_b32 s35, 0x7fc02000
	s_xor_b64 s[24:25], exec, -1
; %bb.366:                              ;   in Loop: Header=BB305_10 Depth=1
	s_or_b64 exec, exec, s[28:29]
	s_and_b64 s[24:25], s[24:25], exec
	s_or_saveexec_b64 s[26:27], s[26:27]
	v_mov_b32_e32 v3, s35
	s_xor_b64 exec, exec, s[26:27]
	s_cbranch_execz .LBB305_136
.LBB305_367:                            ;   in Loop: Header=BB305_10 Depth=1
	v_cmp_ne_u16_e64 s[4:5], 0, v8
	s_andn2_b64 s[24:25], s[24:25], exec
	s_and_b64 s[4:5], s[4:5], exec
	v_mov_b32_e32 v3, 0
	s_or_b64 s[24:25], s[24:25], s[4:5]
	s_or_b64 exec, exec, s[26:27]
	s_and_saveexec_b64 s[26:27], s[24:25]
	s_cbranch_execnz .LBB305_137
	s_branch .LBB305_138
.LBB305_368:                            ;   in Loop: Header=BB305_10 Depth=1
	v_cmp_eq_u16_sdwa s[36:37], v12, s31 src0_sel:BYTE_0 src1_sel:DWORD
	s_mov_b64 s[4:5], -1
                                        ; implicit-def: $sgpr28
	s_and_saveexec_b64 s[26:27], s[36:37]
; %bb.369:                              ;   in Loop: Header=BB305_10 Depth=1
	s_mov_b32 s28, 0x7fc02000
	s_xor_b64 s[4:5], exec, -1
; %bb.370:                              ;   in Loop: Header=BB305_10 Depth=1
	s_or_b64 exec, exec, s[26:27]
	s_and_b64 s[4:5], s[4:5], exec
	s_or_saveexec_b64 s[24:25], s[24:25]
	v_mov_b32_e32 v16, s28
	s_xor_b64 exec, exec, s[24:25]
	s_cbranch_execz .LBB305_140
.LBB305_371:                            ;   in Loop: Header=BB305_10 Depth=1
	v_cmp_ne_u16_sdwa s[26:27], v12, v9 src0_sel:BYTE_0 src1_sel:DWORD
	s_andn2_b64 s[4:5], s[4:5], exec
	s_and_b64 s[26:27], s[26:27], exec
	v_mov_b32_e32 v16, 0
	s_or_b64 s[4:5], s[4:5], s[26:27]
	s_or_b64 exec, exec, s[24:25]
	s_and_saveexec_b64 s[24:25], s[4:5]
	s_cbranch_execnz .LBB305_141
	s_branch .LBB305_142
.LBB305_372:                            ;   in Loop: Header=BB305_10 Depth=1
	v_cmp_eq_u16_e64 s[4:5], s31, v8
	s_mov_b64 s[24:25], -1
                                        ; implicit-def: $sgpr35
	s_and_saveexec_b64 s[28:29], s[4:5]
; %bb.373:                              ;   in Loop: Header=BB305_10 Depth=1
	s_mov_b32 s35, 0x7fc02000
	s_xor_b64 s[24:25], exec, -1
; %bb.374:                              ;   in Loop: Header=BB305_10 Depth=1
	s_or_b64 exec, exec, s[28:29]
	s_and_b64 s[24:25], s[24:25], exec
	s_or_saveexec_b64 s[26:27], s[26:27]
	v_mov_b32_e32 v15, s35
	s_xor_b64 exec, exec, s[26:27]
	s_cbranch_execz .LBB305_144
.LBB305_375:                            ;   in Loop: Header=BB305_10 Depth=1
	v_cmp_ne_u16_e64 s[4:5], 0, v8
	s_andn2_b64 s[24:25], s[24:25], exec
	s_and_b64 s[4:5], s[4:5], exec
	v_mov_b32_e32 v15, 0
	s_or_b64 s[24:25], s[24:25], s[4:5]
	s_or_b64 exec, exec, s[26:27]
	s_and_saveexec_b64 s[26:27], s[24:25]
	s_cbranch_execnz .LBB305_145
	s_branch .LBB305_146
.LBB305_376:                            ;   in Loop: Header=BB305_10 Depth=1
	v_cmp_eq_u16_sdwa s[36:37], v8, s31 src0_sel:BYTE_0 src1_sel:DWORD
	s_mov_b64 s[4:5], -1
                                        ; implicit-def: $sgpr28
	s_and_saveexec_b64 s[26:27], s[36:37]
; %bb.377:                              ;   in Loop: Header=BB305_10 Depth=1
	s_mov_b32 s28, 0x7fc02000
	s_xor_b64 s[4:5], exec, -1
; %bb.378:                              ;   in Loop: Header=BB305_10 Depth=1
	s_or_b64 exec, exec, s[26:27]
	s_and_b64 s[4:5], s[4:5], exec
	s_or_saveexec_b64 s[24:25], s[24:25]
	v_mov_b32_e32 v14, s28
	s_xor_b64 exec, exec, s[24:25]
	s_cbranch_execz .LBB305_148
.LBB305_379:                            ;   in Loop: Header=BB305_10 Depth=1
	v_cmp_ne_u16_sdwa s[26:27], v8, v9 src0_sel:BYTE_0 src1_sel:DWORD
	s_andn2_b64 s[4:5], s[4:5], exec
	s_and_b64 s[26:27], s[26:27], exec
	v_mov_b32_e32 v14, 0
	s_or_b64 s[4:5], s[4:5], s[26:27]
	s_or_b64 exec, exec, s[24:25]
	s_and_saveexec_b64 s[24:25], s[4:5]
	s_cbranch_execnz .LBB305_149
	s_branch .LBB305_150
.LBB305_380:                            ;   in Loop: Header=BB305_10 Depth=1
	v_cmp_eq_u16_e64 s[4:5], s31, v8
	s_mov_b64 s[24:25], -1
                                        ; implicit-def: $sgpr35
	s_and_saveexec_b64 s[28:29], s[4:5]
; %bb.381:                              ;   in Loop: Header=BB305_10 Depth=1
	s_mov_b32 s35, 0x7fc02000
	s_xor_b64 s[24:25], exec, -1
; %bb.382:                              ;   in Loop: Header=BB305_10 Depth=1
	s_or_b64 exec, exec, s[28:29]
	s_and_b64 s[24:25], s[24:25], exec
	s_or_saveexec_b64 s[26:27], s[26:27]
	v_mov_b32_e32 v13, s35
	s_xor_b64 exec, exec, s[26:27]
	s_cbranch_execz .LBB305_152
.LBB305_383:                            ;   in Loop: Header=BB305_10 Depth=1
	v_cmp_ne_u16_e64 s[4:5], 0, v8
	s_andn2_b64 s[24:25], s[24:25], exec
	s_and_b64 s[4:5], s[4:5], exec
	v_mov_b32_e32 v13, 0
	s_or_b64 s[24:25], s[24:25], s[4:5]
	s_or_b64 exec, exec, s[26:27]
	s_and_saveexec_b64 s[26:27], s[24:25]
	s_cbranch_execnz .LBB305_153
	s_branch .LBB305_154
.LBB305_384:                            ;   in Loop: Header=BB305_10 Depth=1
	v_cmp_eq_u16_sdwa s[36:37], v12, s31 src0_sel:BYTE_0 src1_sel:DWORD
	s_mov_b64 s[4:5], -1
                                        ; implicit-def: $sgpr28
	s_and_saveexec_b64 s[26:27], s[36:37]
; %bb.385:                              ;   in Loop: Header=BB305_10 Depth=1
	s_mov_b32 s28, 0x7fc02000
	s_xor_b64 s[4:5], exec, -1
; %bb.386:                              ;   in Loop: Header=BB305_10 Depth=1
	s_or_b64 exec, exec, s[26:27]
	s_and_b64 s[4:5], s[4:5], exec
	s_or_saveexec_b64 s[24:25], s[24:25]
	v_mov_b32_e32 v30, s28
	s_xor_b64 exec, exec, s[24:25]
	s_cbranch_execz .LBB305_156
.LBB305_387:                            ;   in Loop: Header=BB305_10 Depth=1
	v_cmp_ne_u16_sdwa s[26:27], v12, v9 src0_sel:BYTE_0 src1_sel:DWORD
	s_andn2_b64 s[4:5], s[4:5], exec
	s_and_b64 s[26:27], s[26:27], exec
	v_mov_b32_e32 v30, 0
	s_or_b64 s[4:5], s[4:5], s[26:27]
	s_or_b64 exec, exec, s[24:25]
	s_and_saveexec_b64 s[24:25], s[4:5]
	s_cbranch_execnz .LBB305_157
	s_branch .LBB305_158
.LBB305_388:                            ;   in Loop: Header=BB305_10 Depth=1
	v_cmp_eq_u16_e64 s[4:5], s31, v8
	s_mov_b64 s[24:25], -1
                                        ; implicit-def: $sgpr35
	s_and_saveexec_b64 s[28:29], s[4:5]
; %bb.389:                              ;   in Loop: Header=BB305_10 Depth=1
	s_mov_b32 s35, 0x7fc02000
	s_xor_b64 s[24:25], exec, -1
; %bb.390:                              ;   in Loop: Header=BB305_10 Depth=1
	s_or_b64 exec, exec, s[28:29]
	s_and_b64 s[24:25], s[24:25], exec
	s_or_saveexec_b64 s[26:27], s[26:27]
	v_mov_b32_e32 v31, s35
	s_xor_b64 exec, exec, s[26:27]
	s_cbranch_execz .LBB305_160
.LBB305_391:                            ;   in Loop: Header=BB305_10 Depth=1
	v_cmp_ne_u16_e64 s[4:5], 0, v8
	s_andn2_b64 s[24:25], s[24:25], exec
	s_and_b64 s[4:5], s[4:5], exec
	v_mov_b32_e32 v31, 0
	s_or_b64 s[24:25], s[24:25], s[4:5]
	s_or_b64 exec, exec, s[26:27]
	s_and_saveexec_b64 s[26:27], s[24:25]
	s_cbranch_execnz .LBB305_161
	s_branch .LBB305_162
.LBB305_392:                            ;   in Loop: Header=BB305_10 Depth=1
	v_cmp_eq_u16_sdwa s[36:37], v8, s31 src0_sel:BYTE_0 src1_sel:DWORD
	s_mov_b64 s[4:5], -1
                                        ; implicit-def: $sgpr28
	s_and_saveexec_b64 s[26:27], s[36:37]
; %bb.393:                              ;   in Loop: Header=BB305_10 Depth=1
	s_mov_b32 s28, 0x7fc02000
	s_xor_b64 s[4:5], exec, -1
; %bb.394:                              ;   in Loop: Header=BB305_10 Depth=1
	s_or_b64 exec, exec, s[26:27]
	s_and_b64 s[4:5], s[4:5], exec
	s_or_saveexec_b64 s[24:25], s[24:25]
	v_mov_b32_e32 v32, s28
	s_xor_b64 exec, exec, s[24:25]
	s_cbranch_execz .LBB305_164
.LBB305_395:                            ;   in Loop: Header=BB305_10 Depth=1
	v_cmp_ne_u16_sdwa s[26:27], v8, v9 src0_sel:BYTE_0 src1_sel:DWORD
	s_andn2_b64 s[4:5], s[4:5], exec
	s_and_b64 s[26:27], s[26:27], exec
	v_mov_b32_e32 v32, 0
	s_or_b64 s[4:5], s[4:5], s[26:27]
	s_or_b64 exec, exec, s[24:25]
	s_and_saveexec_b64 s[24:25], s[4:5]
	s_cbranch_execnz .LBB305_165
	s_branch .LBB305_166
.LBB305_396:                            ;   in Loop: Header=BB305_10 Depth=1
	v_cmp_eq_u16_e64 s[4:5], s31, v8
	s_mov_b64 s[24:25], -1
                                        ; implicit-def: $sgpr35
	s_and_saveexec_b64 s[28:29], s[4:5]
; %bb.397:                              ;   in Loop: Header=BB305_10 Depth=1
	s_mov_b32 s35, 0x7fc02000
	s_xor_b64 s[24:25], exec, -1
; %bb.398:                              ;   in Loop: Header=BB305_10 Depth=1
	s_or_b64 exec, exec, s[28:29]
	s_and_b64 s[24:25], s[24:25], exec
	s_or_saveexec_b64 s[26:27], s[26:27]
	v_mov_b32_e32 v33, s35
	s_xor_b64 exec, exec, s[26:27]
	s_cbranch_execz .LBB305_168
.LBB305_399:                            ;   in Loop: Header=BB305_10 Depth=1
	v_cmp_ne_u16_e64 s[4:5], 0, v8
	s_andn2_b64 s[24:25], s[24:25], exec
	s_and_b64 s[4:5], s[4:5], exec
	v_mov_b32_e32 v33, 0
	s_or_b64 s[24:25], s[24:25], s[4:5]
	s_or_b64 exec, exec, s[26:27]
	s_and_saveexec_b64 s[26:27], s[24:25]
	s_cbranch_execnz .LBB305_169
	s_branch .LBB305_170
.LBB305_400:                            ;   in Loop: Header=BB305_10 Depth=1
	v_cmp_eq_u16_sdwa s[36:37], v12, s31 src0_sel:BYTE_0 src1_sel:DWORD
	s_mov_b64 s[4:5], -1
                                        ; implicit-def: $sgpr28
	s_and_saveexec_b64 s[26:27], s[36:37]
; %bb.401:                              ;   in Loop: Header=BB305_10 Depth=1
	s_mov_b32 s28, 0x7fc02000
	s_xor_b64 s[4:5], exec, -1
; %bb.402:                              ;   in Loop: Header=BB305_10 Depth=1
	s_or_b64 exec, exec, s[26:27]
	s_and_b64 s[4:5], s[4:5], exec
	s_or_saveexec_b64 s[24:25], s[24:25]
	v_mov_b32_e32 v51, s28
	s_xor_b64 exec, exec, s[24:25]
	s_cbranch_execz .LBB305_172
.LBB305_403:                            ;   in Loop: Header=BB305_10 Depth=1
	v_cmp_ne_u16_sdwa s[26:27], v12, v9 src0_sel:BYTE_0 src1_sel:DWORD
	s_andn2_b64 s[4:5], s[4:5], exec
	s_and_b64 s[26:27], s[26:27], exec
	v_mov_b32_e32 v51, 0
	s_or_b64 s[4:5], s[4:5], s[26:27]
	s_or_b64 exec, exec, s[24:25]
	s_and_saveexec_b64 s[24:25], s[4:5]
	s_cbranch_execnz .LBB305_173
	s_branch .LBB305_174
.LBB305_404:                            ;   in Loop: Header=BB305_10 Depth=1
	v_cmp_eq_u16_e64 s[4:5], s31, v8
	s_mov_b64 s[24:25], -1
                                        ; implicit-def: $sgpr35
	s_and_saveexec_b64 s[28:29], s[4:5]
; %bb.405:                              ;   in Loop: Header=BB305_10 Depth=1
	s_mov_b32 s35, 0x7fc02000
	s_xor_b64 s[24:25], exec, -1
; %bb.406:                              ;   in Loop: Header=BB305_10 Depth=1
	s_or_b64 exec, exec, s[28:29]
	s_and_b64 s[24:25], s[24:25], exec
	s_or_saveexec_b64 s[26:27], s[26:27]
	v_mov_b32_e32 v22, s35
	s_xor_b64 exec, exec, s[26:27]
	s_cbranch_execz .LBB305_176
.LBB305_407:                            ;   in Loop: Header=BB305_10 Depth=1
	v_cmp_ne_u16_e64 s[4:5], 0, v8
	s_andn2_b64 s[24:25], s[24:25], exec
	s_and_b64 s[4:5], s[4:5], exec
	v_mov_b32_e32 v22, 0
	s_or_b64 s[24:25], s[24:25], s[4:5]
	s_or_b64 exec, exec, s[26:27]
	s_and_saveexec_b64 s[26:27], s[24:25]
	s_cbranch_execnz .LBB305_177
	s_branch .LBB305_178
.LBB305_408:                            ;   in Loop: Header=BB305_10 Depth=1
	v_cmp_eq_u16_sdwa s[36:37], v8, s31 src0_sel:BYTE_0 src1_sel:DWORD
	s_mov_b64 s[4:5], -1
                                        ; implicit-def: $sgpr28
	s_and_saveexec_b64 s[26:27], s[36:37]
; %bb.409:                              ;   in Loop: Header=BB305_10 Depth=1
	s_mov_b32 s28, 0x7fc02000
	s_xor_b64 s[4:5], exec, -1
; %bb.410:                              ;   in Loop: Header=BB305_10 Depth=1
	s_or_b64 exec, exec, s[26:27]
	s_and_b64 s[4:5], s[4:5], exec
	s_or_saveexec_b64 s[24:25], s[24:25]
	v_mov_b32_e32 v25, s28
	s_xor_b64 exec, exec, s[24:25]
	s_cbranch_execz .LBB305_180
.LBB305_411:                            ;   in Loop: Header=BB305_10 Depth=1
	v_cmp_ne_u16_sdwa s[26:27], v8, v9 src0_sel:BYTE_0 src1_sel:DWORD
	s_andn2_b64 s[4:5], s[4:5], exec
	s_and_b64 s[26:27], s[26:27], exec
	v_mov_b32_e32 v25, 0
	s_or_b64 s[4:5], s[4:5], s[26:27]
	s_or_b64 exec, exec, s[24:25]
	s_and_saveexec_b64 s[24:25], s[4:5]
	s_cbranch_execnz .LBB305_181
	s_branch .LBB305_182
.LBB305_412:                            ;   in Loop: Header=BB305_10 Depth=1
	v_cmp_eq_u16_e64 s[4:5], s31, v8
	s_mov_b64 s[24:25], -1
                                        ; implicit-def: $sgpr35
	s_and_saveexec_b64 s[28:29], s[4:5]
; %bb.413:                              ;   in Loop: Header=BB305_10 Depth=1
	s_mov_b32 s35, 0x7fc02000
	s_xor_b64 s[24:25], exec, -1
; %bb.414:                              ;   in Loop: Header=BB305_10 Depth=1
	s_or_b64 exec, exec, s[28:29]
	s_and_b64 s[24:25], s[24:25], exec
	s_or_saveexec_b64 s[26:27], s[26:27]
	v_mov_b32_e32 v24, s35
	s_xor_b64 exec, exec, s[26:27]
	s_cbranch_execz .LBB305_184
.LBB305_415:                            ;   in Loop: Header=BB305_10 Depth=1
	v_cmp_ne_u16_e64 s[4:5], 0, v8
	s_andn2_b64 s[24:25], s[24:25], exec
	s_and_b64 s[4:5], s[4:5], exec
	v_mov_b32_e32 v24, 0
	s_or_b64 s[24:25], s[24:25], s[4:5]
	s_or_b64 exec, exec, s[26:27]
	s_and_saveexec_b64 s[26:27], s[24:25]
	s_cbranch_execnz .LBB305_185
	s_branch .LBB305_186
.LBB305_416:                            ;   in Loop: Header=BB305_10 Depth=1
	v_cmp_eq_u16_sdwa s[36:37], v12, s31 src0_sel:BYTE_0 src1_sel:DWORD
	s_mov_b64 s[4:5], -1
                                        ; implicit-def: $sgpr28
	s_and_saveexec_b64 s[26:27], s[36:37]
; %bb.417:                              ;   in Loop: Header=BB305_10 Depth=1
	s_mov_b32 s28, 0x7fc02000
	s_xor_b64 s[4:5], exec, -1
; %bb.418:                              ;   in Loop: Header=BB305_10 Depth=1
	s_or_b64 exec, exec, s[26:27]
	s_and_b64 s[4:5], s[4:5], exec
	s_or_saveexec_b64 s[24:25], s[24:25]
	v_mov_b32_e32 v42, s28
	s_xor_b64 exec, exec, s[24:25]
	s_cbranch_execz .LBB305_188
.LBB305_419:                            ;   in Loop: Header=BB305_10 Depth=1
	v_cmp_ne_u16_sdwa s[26:27], v12, v9 src0_sel:BYTE_0 src1_sel:DWORD
	s_andn2_b64 s[4:5], s[4:5], exec
	s_and_b64 s[26:27], s[26:27], exec
	v_mov_b32_e32 v42, 0
	s_or_b64 s[4:5], s[4:5], s[26:27]
	s_or_b64 exec, exec, s[24:25]
	s_and_saveexec_b64 s[24:25], s[4:5]
	s_cbranch_execnz .LBB305_189
	s_branch .LBB305_190
.LBB305_420:                            ;   in Loop: Header=BB305_10 Depth=1
	v_cmp_eq_u16_e64 s[4:5], s31, v8
	s_mov_b64 s[24:25], -1
                                        ; implicit-def: $sgpr35
	s_and_saveexec_b64 s[28:29], s[4:5]
; %bb.421:                              ;   in Loop: Header=BB305_10 Depth=1
	s_mov_b32 s35, 0x7fc02000
	s_xor_b64 s[24:25], exec, -1
; %bb.422:                              ;   in Loop: Header=BB305_10 Depth=1
	s_or_b64 exec, exec, s[28:29]
	s_and_b64 s[24:25], s[24:25], exec
	s_or_saveexec_b64 s[26:27], s[26:27]
	v_mov_b32_e32 v43, s35
	s_xor_b64 exec, exec, s[26:27]
	s_cbranch_execz .LBB305_192
.LBB305_423:                            ;   in Loop: Header=BB305_10 Depth=1
	v_cmp_ne_u16_e64 s[4:5], 0, v8
	s_andn2_b64 s[24:25], s[24:25], exec
	s_and_b64 s[4:5], s[4:5], exec
	v_mov_b32_e32 v43, 0
	s_or_b64 s[24:25], s[24:25], s[4:5]
	s_or_b64 exec, exec, s[26:27]
	s_and_saveexec_b64 s[26:27], s[24:25]
	s_cbranch_execnz .LBB305_193
	s_branch .LBB305_194
.LBB305_424:                            ;   in Loop: Header=BB305_10 Depth=1
	v_cmp_eq_u16_sdwa s[36:37], v8, s31 src0_sel:BYTE_0 src1_sel:DWORD
	s_mov_b64 s[4:5], -1
                                        ; implicit-def: $sgpr28
	s_and_saveexec_b64 s[26:27], s[36:37]
; %bb.425:                              ;   in Loop: Header=BB305_10 Depth=1
	s_mov_b32 s28, 0x7fc02000
	s_xor_b64 s[4:5], exec, -1
; %bb.426:                              ;   in Loop: Header=BB305_10 Depth=1
	s_or_b64 exec, exec, s[26:27]
	s_and_b64 s[4:5], s[4:5], exec
	s_or_saveexec_b64 s[24:25], s[24:25]
	v_mov_b32_e32 v27, s28
	s_xor_b64 exec, exec, s[24:25]
	s_cbranch_execz .LBB305_196
.LBB305_427:                            ;   in Loop: Header=BB305_10 Depth=1
	v_cmp_ne_u16_sdwa s[26:27], v8, v9 src0_sel:BYTE_0 src1_sel:DWORD
	s_andn2_b64 s[4:5], s[4:5], exec
	s_and_b64 s[26:27], s[26:27], exec
	v_mov_b32_e32 v27, 0
	s_or_b64 s[4:5], s[4:5], s[26:27]
	s_or_b64 exec, exec, s[24:25]
	s_and_saveexec_b64 s[24:25], s[4:5]
	s_cbranch_execnz .LBB305_197
	s_branch .LBB305_198
.LBB305_428:                            ;   in Loop: Header=BB305_10 Depth=1
	v_cmp_eq_u16_e64 s[4:5], s31, v8
	s_mov_b64 s[24:25], -1
                                        ; implicit-def: $sgpr35
	s_and_saveexec_b64 s[28:29], s[4:5]
; %bb.429:                              ;   in Loop: Header=BB305_10 Depth=1
	s_mov_b32 s35, 0x7fc02000
	s_xor_b64 s[24:25], exec, -1
; %bb.430:                              ;   in Loop: Header=BB305_10 Depth=1
	s_or_b64 exec, exec, s[28:29]
	s_and_b64 s[24:25], s[24:25], exec
	s_or_saveexec_b64 s[26:27], s[26:27]
	v_mov_b32_e32 v26, s35
	s_xor_b64 exec, exec, s[26:27]
	s_cbranch_execz .LBB305_200
.LBB305_431:                            ;   in Loop: Header=BB305_10 Depth=1
	v_cmp_ne_u16_e64 s[4:5], 0, v8
	s_andn2_b64 s[24:25], s[24:25], exec
	s_and_b64 s[4:5], s[4:5], exec
	v_mov_b32_e32 v26, 0
	s_or_b64 s[24:25], s[24:25], s[4:5]
	s_or_b64 exec, exec, s[26:27]
	s_and_saveexec_b64 s[26:27], s[24:25]
	s_cbranch_execnz .LBB305_201
	s_branch .LBB305_202
.LBB305_432:                            ;   in Loop: Header=BB305_10 Depth=1
	v_cmp_eq_u16_sdwa s[36:37], v12, s31 src0_sel:BYTE_0 src1_sel:DWORD
	s_mov_b64 s[4:5], -1
                                        ; implicit-def: $sgpr28
	s_and_saveexec_b64 s[26:27], s[36:37]
; %bb.433:                              ;   in Loop: Header=BB305_10 Depth=1
	s_mov_b32 s28, 0x7fc02000
	s_xor_b64 s[4:5], exec, -1
; %bb.434:                              ;   in Loop: Header=BB305_10 Depth=1
	s_or_b64 exec, exec, s[26:27]
	s_and_b64 s[4:5], s[4:5], exec
	s_or_saveexec_b64 s[24:25], s[24:25]
	v_mov_b32_e32 v44, s28
	s_xor_b64 exec, exec, s[24:25]
	s_cbranch_execz .LBB305_204
.LBB305_435:                            ;   in Loop: Header=BB305_10 Depth=1
	v_cmp_ne_u16_sdwa s[26:27], v12, v9 src0_sel:BYTE_0 src1_sel:DWORD
	s_andn2_b64 s[4:5], s[4:5], exec
	s_and_b64 s[26:27], s[26:27], exec
	v_mov_b32_e32 v44, 0
	s_or_b64 s[4:5], s[4:5], s[26:27]
	s_or_b64 exec, exec, s[24:25]
	s_and_saveexec_b64 s[24:25], s[4:5]
	s_cbranch_execnz .LBB305_205
	s_branch .LBB305_206
.LBB305_436:                            ;   in Loop: Header=BB305_10 Depth=1
	v_cmp_eq_u16_e64 s[4:5], s31, v8
	s_mov_b64 s[24:25], -1
                                        ; implicit-def: $sgpr35
	s_and_saveexec_b64 s[28:29], s[4:5]
; %bb.437:                              ;   in Loop: Header=BB305_10 Depth=1
	s_mov_b32 s35, 0x7fc02000
	s_xor_b64 s[24:25], exec, -1
; %bb.438:                              ;   in Loop: Header=BB305_10 Depth=1
	s_or_b64 exec, exec, s[28:29]
	s_and_b64 s[24:25], s[24:25], exec
	s_or_saveexec_b64 s[26:27], s[26:27]
	v_mov_b32_e32 v45, s35
	s_xor_b64 exec, exec, s[26:27]
	s_cbranch_execz .LBB305_208
.LBB305_439:                            ;   in Loop: Header=BB305_10 Depth=1
	v_cmp_ne_u16_e64 s[4:5], 0, v8
	s_andn2_b64 s[24:25], s[24:25], exec
	s_and_b64 s[4:5], s[4:5], exec
	v_mov_b32_e32 v45, 0
	s_or_b64 s[24:25], s[24:25], s[4:5]
	s_or_b64 exec, exec, s[26:27]
	s_and_saveexec_b64 s[26:27], s[24:25]
	s_cbranch_execnz .LBB305_209
	s_branch .LBB305_210
.LBB305_440:                            ;   in Loop: Header=BB305_10 Depth=1
	v_cmp_eq_u16_sdwa s[36:37], v8, s31 src0_sel:BYTE_0 src1_sel:DWORD
	s_mov_b64 s[4:5], -1
                                        ; implicit-def: $sgpr28
	s_and_saveexec_b64 s[26:27], s[36:37]
; %bb.441:                              ;   in Loop: Header=BB305_10 Depth=1
	s_mov_b32 s28, 0x7fc02000
	s_xor_b64 s[4:5], exec, -1
; %bb.442:                              ;   in Loop: Header=BB305_10 Depth=1
	s_or_b64 exec, exec, s[26:27]
	s_and_b64 s[4:5], s[4:5], exec
	s_or_saveexec_b64 s[24:25], s[24:25]
	v_mov_b32_e32 v46, s28
	s_xor_b64 exec, exec, s[24:25]
	s_cbranch_execz .LBB305_212
.LBB305_443:                            ;   in Loop: Header=BB305_10 Depth=1
	v_cmp_ne_u16_sdwa s[26:27], v8, v9 src0_sel:BYTE_0 src1_sel:DWORD
	s_andn2_b64 s[4:5], s[4:5], exec
	s_and_b64 s[26:27], s[26:27], exec
	v_mov_b32_e32 v46, 0
	s_or_b64 s[4:5], s[4:5], s[26:27]
	s_or_b64 exec, exec, s[24:25]
	s_and_saveexec_b64 s[24:25], s[4:5]
	s_cbranch_execnz .LBB305_213
	s_branch .LBB305_214
.LBB305_444:                            ;   in Loop: Header=BB305_10 Depth=1
	v_cmp_eq_u16_e64 s[4:5], s31, v8
	s_mov_b64 s[24:25], -1
                                        ; implicit-def: $sgpr35
	s_and_saveexec_b64 s[28:29], s[4:5]
; %bb.445:                              ;   in Loop: Header=BB305_10 Depth=1
	s_mov_b32 s35, 0x7fc02000
	s_xor_b64 s[24:25], exec, -1
; %bb.446:                              ;   in Loop: Header=BB305_10 Depth=1
	s_or_b64 exec, exec, s[28:29]
	s_and_b64 s[24:25], s[24:25], exec
	s_or_saveexec_b64 s[26:27], s[26:27]
	v_mov_b32_e32 v47, s35
	s_xor_b64 exec, exec, s[26:27]
	s_cbranch_execz .LBB305_216
.LBB305_447:                            ;   in Loop: Header=BB305_10 Depth=1
	v_cmp_ne_u16_e64 s[4:5], 0, v8
	s_andn2_b64 s[24:25], s[24:25], exec
	s_and_b64 s[4:5], s[4:5], exec
	v_mov_b32_e32 v47, 0
	s_or_b64 s[24:25], s[24:25], s[4:5]
	s_or_b64 exec, exec, s[26:27]
	s_and_saveexec_b64 s[26:27], s[24:25]
	s_cbranch_execnz .LBB305_217
	s_branch .LBB305_218
.LBB305_448:                            ;   in Loop: Header=BB305_10 Depth=1
	v_cmp_eq_u16_sdwa s[36:37], v12, s31 src0_sel:BYTE_0 src1_sel:DWORD
	s_mov_b64 s[4:5], -1
                                        ; implicit-def: $sgpr28
	s_and_saveexec_b64 s[26:27], s[36:37]
; %bb.449:                              ;   in Loop: Header=BB305_10 Depth=1
	s_mov_b32 s28, 0x7fc02000
	s_xor_b64 s[4:5], exec, -1
; %bb.450:                              ;   in Loop: Header=BB305_10 Depth=1
	s_or_b64 exec, exec, s[26:27]
	s_and_b64 s[4:5], s[4:5], exec
	s_or_saveexec_b64 s[24:25], s[24:25]
	v_mov_b32_e32 v36, s28
	s_xor_b64 exec, exec, s[24:25]
	s_cbranch_execz .LBB305_220
.LBB305_451:                            ;   in Loop: Header=BB305_10 Depth=1
	v_cmp_ne_u16_sdwa s[26:27], v12, v9 src0_sel:BYTE_0 src1_sel:DWORD
	s_andn2_b64 s[4:5], s[4:5], exec
	s_and_b64 s[26:27], s[26:27], exec
	v_mov_b32_e32 v36, 0
	s_or_b64 s[4:5], s[4:5], s[26:27]
	s_or_b64 exec, exec, s[24:25]
	s_and_saveexec_b64 s[24:25], s[4:5]
	s_cbranch_execnz .LBB305_221
	s_branch .LBB305_222
.LBB305_452:                            ;   in Loop: Header=BB305_10 Depth=1
	v_cmp_eq_u16_e64 s[4:5], s31, v8
	s_mov_b64 s[24:25], -1
                                        ; implicit-def: $sgpr35
	s_and_saveexec_b64 s[28:29], s[4:5]
; %bb.453:                              ;   in Loop: Header=BB305_10 Depth=1
	s_mov_b32 s35, 0x7fc02000
	s_xor_b64 s[24:25], exec, -1
; %bb.454:                              ;   in Loop: Header=BB305_10 Depth=1
	s_or_b64 exec, exec, s[28:29]
	s_and_b64 s[24:25], s[24:25], exec
	s_or_saveexec_b64 s[26:27], s[26:27]
	v_mov_b32_e32 v56, s35
	s_xor_b64 exec, exec, s[26:27]
	s_cbranch_execz .LBB305_224
.LBB305_455:                            ;   in Loop: Header=BB305_10 Depth=1
	v_cmp_ne_u16_e64 s[4:5], 0, v8
	s_andn2_b64 s[24:25], s[24:25], exec
	s_and_b64 s[4:5], s[4:5], exec
	v_mov_b32_e32 v56, 0
	s_or_b64 s[24:25], s[24:25], s[4:5]
	s_or_b64 exec, exec, s[26:27]
	s_and_saveexec_b64 s[26:27], s[24:25]
	s_cbranch_execnz .LBB305_225
	s_branch .LBB305_226
.LBB305_456:                            ;   in Loop: Header=BB305_10 Depth=1
	v_cmp_eq_u16_sdwa s[36:37], v8, s31 src0_sel:BYTE_0 src1_sel:DWORD
	s_mov_b64 s[4:5], -1
                                        ; implicit-def: $sgpr28
	s_and_saveexec_b64 s[26:27], s[36:37]
; %bb.457:                              ;   in Loop: Header=BB305_10 Depth=1
	s_mov_b32 s28, 0x7fc02000
	s_xor_b64 s[4:5], exec, -1
; %bb.458:                              ;   in Loop: Header=BB305_10 Depth=1
	s_or_b64 exec, exec, s[26:27]
	s_and_b64 s[4:5], s[4:5], exec
	s_or_saveexec_b64 s[24:25], s[24:25]
	v_mov_b32_e32 v58, s28
	s_xor_b64 exec, exec, s[24:25]
	s_cbranch_execz .LBB305_228
.LBB305_459:                            ;   in Loop: Header=BB305_10 Depth=1
	v_cmp_ne_u16_sdwa s[26:27], v8, v9 src0_sel:BYTE_0 src1_sel:DWORD
	s_andn2_b64 s[4:5], s[4:5], exec
	s_and_b64 s[26:27], s[26:27], exec
	v_mov_b32_e32 v58, 0
	s_or_b64 s[4:5], s[4:5], s[26:27]
	s_or_b64 exec, exec, s[24:25]
	s_and_saveexec_b64 s[24:25], s[4:5]
	s_cbranch_execnz .LBB305_229
	s_branch .LBB305_230
.LBB305_460:
	s_or_b64 exec, exec, s[22:23]
.LBB305_461:
	s_or_b64 exec, exec, s[6:7]
	scratch_load_dword v3, off, s32 offset:128 ; 4-byte Folded Reload
	v_accvgpr_read_b32 v8, a29
	v_xor_b32_e32 v1, 32, v8
	v_cmp_lt_i32_e32 vcc, v1, v0
	v_xor_b32_e32 v4, 16, v8
	v_xor_b32_e32 v5, 8, v8
	v_cndmask_b32_e32 v1, v8, v1, vcc
	v_lshlrev_b32_e32 v2, 2, v1
	v_cmp_lt_i32_e32 vcc, v4, v0
	v_xor_b32_e32 v6, 4, v8
	v_xor_b32_e32 v7, 2, v8
	s_waitcnt lgkmcnt(0)
	s_lshr_b32 s24, s30, 16
	s_waitcnt vmcnt(0)
	ds_bpermute_b32 v1, v2, v3
	v_max_f32_e32 v3, v3, v3
	s_waitcnt lgkmcnt(0)
	v_max_f32_e32 v1, v1, v1
	v_max_f32_e32 v1, v3, v1
	v_cndmask_b32_e32 v3, v8, v4, vcc
	v_lshlrev_b32_e32 v3, 2, v3
	ds_bpermute_b32 v4, v3, v1
	v_cmp_lt_i32_e32 vcc, v5, v0
	s_waitcnt lgkmcnt(0)
	v_max_f32_e32 v4, v4, v4
	v_max_f32_e32 v1, v1, v4
	v_cndmask_b32_e32 v4, v8, v5, vcc
	v_lshlrev_b32_e32 v4, 2, v4
	ds_bpermute_b32 v5, v4, v1
	v_cmp_lt_i32_e32 vcc, v6, v0
	;; [unrolled: 7-line block ×3, first 2 shown]
	s_waitcnt lgkmcnt(0)
	v_max_f32_e32 v6, v6, v6
	v_max_f32_e32 v1, v1, v6
	v_cndmask_b32_e32 v6, v8, v7, vcc
	v_lshlrev_b32_e32 v32, 2, v6
	ds_bpermute_b32 v7, v32, v1
	v_accvgpr_read_b32 v6, a2
	v_and_b32_e32 v23, 63, v6
	v_accvgpr_read_b32 v6, a7
	v_cmp_eq_u32_e32 vcc, 0, v23
	v_lshlrev_b32_e32 v6, 2, v6
	s_and_saveexec_b64 s[2:3], vcc
	s_cbranch_execz .LBB305_463
; %bb.462:
	s_waitcnt lgkmcnt(0)
	v_max_f32_e32 v7, v7, v7
	v_max_f32_e32 v1, v1, v1
	;; [unrolled: 1-line block ×3, first 2 shown]
	ds_write_b32 v6, v1 offset:224
.LBB305_463:
	s_or_b64 exec, exec, s[2:3]
	v_cmp_gt_u32_e64 s[2:3], 2, v23
	v_mov_b32_e32 v1, 0xff7fffff
	s_waitcnt lgkmcnt(0)
	v_lshlrev_b32_e32 v7, 2, v23
	s_barrier
	s_and_saveexec_b64 s[4:5], s[2:3]
	s_cbranch_execz .LBB305_465
; %bb.464:
	ds_read_b32 v1, v7 offset:224
.LBB305_465:
	s_or_b64 exec, exec, s[4:5]
	v_accvgpr_read_b32 v10, a29
	v_xor_b32_e32 v8, 1, v10
	v_cmp_lt_i32_e64 s[4:5], v8, v0
	s_nop 1
	v_cndmask_b32_e64 v0, v10, v8, s[4:5]
	v_lshlrev_b32_e32 v33, 2, v0
	s_waitcnt lgkmcnt(0)
	ds_bpermute_b32 v0, v33, v1
	v_accvgpr_read_b32 v8, a3
	v_max_f32_e32 v1, v1, v1
	v_subrev_u32_e32 v8, s19, v8
	v_lshl_add_u32 v9, v8, 5, s21
	s_waitcnt lgkmcnt(0)
	v_max_f32_e32 v0, v0, v0
	v_max_f32_e32 v0, v1, v0
	v_lshlrev_b32_e32 v1, 2, v10
	v_and_b32_e32 v8, 0xffffff00, v1
	ds_bpermute_b32 v0, v8, v0
	v_accvgpr_read_b32 v10, a8
	v_min_i32_e32 v9, v9, v10
	v_subrev_u32_e32 v1, s21, v9
	v_accvgpr_read_b32 v10, a2
	v_cmp_lt_i32_e64 s[4:5], v10, v1
	v_mov_b32_e32 v10, 0
	s_and_saveexec_b64 s[8:9], s[4:5]
	s_cbranch_execz .LBB305_469
; %bb.466:
	s_ashr_i32 s17, s16, 31
	s_lshl_b64 s[6:7], s[16:17], 2
	s_getpc_b64 s[22:23]
	s_add_u32 s22, s22, llvm.amdgcn.dynlds.offset.table@rel32@lo+4
	s_addc_u32 s23, s23, llvm.amdgcn.dynlds.offset.table@rel32@hi+12
	s_add_u32 s6, s6, s22
	s_addc_u32 s7, s7, s23
	s_load_dword s6, s[6:7], 0x0
	v_accvgpr_read_b32 v12, a2
	s_mov_b64 s[22:23], 0
	v_mov_b32_e32 v10, 0
	s_waitcnt lgkmcnt(0)
	v_lshl_add_u32 v11, v12, 2, s6
.LBB305_467:                            ; =>This Inner Loop Header: Depth=1
	ds_read_b32 v13, v11
	v_add_u32_e32 v12, 0x80, v12
	v_cmp_ge_i32_e64 s[6:7], v12, v1
	s_or_b64 s[22:23], s[6:7], s[22:23]
	s_waitcnt lgkmcnt(0)
	v_sub_f32_e32 v13, v13, v0
	v_mul_f32_e32 v13, 0x3fb8aa3b, v13
	v_exp_f32_e32 v13, v13
	ds_write_b32 v11, v13
	v_add_f32_e32 v10, v10, v13
	v_add_u32_e32 v11, 0x200, v11
	s_andn2_b64 exec, exec, s[22:23]
	s_cbranch_execnz .LBB305_467
; %bb.468:
	s_or_b64 exec, exec, s[22:23]
.LBB305_469:
	s_or_b64 exec, exec, s[8:9]
	ds_bpermute_b32 v2, v2, v10
	s_waitcnt lgkmcnt(0)
	v_add_f32_e32 v2, v10, v2
	ds_bpermute_b32 v3, v3, v2
	s_waitcnt lgkmcnt(0)
	v_add_f32_e32 v2, v2, v3
	;; [unrolled: 3-line block ×6, first 2 shown]
	s_and_saveexec_b64 s[6:7], vcc
	s_cbranch_execz .LBB305_471
; %bb.470:
	ds_write_b32 v6, v2 offset:232
.LBB305_471:
	s_or_b64 exec, exec, s[6:7]
	s_waitcnt lgkmcnt(0)
	s_barrier
	s_and_saveexec_b64 s[6:7], s[2:3]
	s_cbranch_execz .LBB305_473
; %bb.472:
	ds_read_b32 v2, v7 offset:232
.LBB305_473:
	s_or_b64 exec, exec, s[6:7]
	s_waitcnt lgkmcnt(0)
	ds_bpermute_b32 v3, v33, v2
	s_waitcnt lgkmcnt(0)
	v_add_f32_e32 v2, v2, v3
	ds_bpermute_b32 v2, v8, v2
	s_and_saveexec_b64 s[2:3], s[4:5]
	s_cbranch_execz .LBB305_486
; %bb.474:
	s_waitcnt lgkmcnt(0)
	v_add_f32_e32 v3, 0x358637bd, v2
	v_div_scale_f32 v4, s[4:5], v3, v3, 1.0
	v_rcp_f32_e32 v5, v4
	v_div_scale_f32 v6, vcc, 1.0, v3, 1.0
	s_movk_i32 s4, 0x7f
	v_fma_f32 v7, -v4, v5, 1.0
	v_fmac_f32_e32 v5, v7, v5
	v_mul_f32_e32 v7, v6, v5
	v_fma_f32 v8, -v4, v7, v6
	v_fmac_f32_e32 v7, v8, v5
	v_fma_f32 v4, -v4, v7, v6
	v_div_fmas_f32 v4, v4, v5, v7
	v_accvgpr_read_b32 v5, a2
	v_div_fixup_f32 v8, v4, v3, 1.0
	v_xad_u32 v3, v5, -1, v9
	v_subrev_u32_e32 v4, s21, v3
	v_cmp_lt_u32_e32 vcc, s4, v4
	s_mov_b64 s[6:7], -1
	v_accvgpr_read_b32 v3, a2
	s_and_saveexec_b64 s[4:5], vcc
	s_cbranch_execz .LBB305_483
; %bb.475:
	v_lshrrev_b32_e32 v3, 7, v4
	v_add_u32_e32 v5, -1, v3
	v_lshrrev_b32_e32 v4, 1, v5
	v_mov_b32_e32 v9, v8
	v_add_u32_e32 v4, 1, v4
	v_cmp_lt_u32_e32 vcc, 13, v5
	v_mov_b32_e32 v7, 0
	s_and_saveexec_b64 s[6:7], vcc
	s_cbranch_execz .LBB305_479
; %bb.476:
	s_ashr_i32 s17, s16, 31
	s_lshl_b64 s[8:9], s[16:17], 2
	s_getpc_b64 s[22:23]
	s_add_u32 s22, s22, llvm.amdgcn.dynlds.offset.table@rel32@lo+4
	s_addc_u32 s23, s23, llvm.amdgcn.dynlds.offset.table@rel32@hi+12
	s_add_u32 s8, s8, s22
	s_addc_u32 s9, s9, s23
	s_load_dword s8, s[8:9], 0x0
	v_accvgpr_read_b32 v6, a2
	v_and_b32_e32 v5, -8, v4
	s_mov_b32 s17, 0
	s_waitcnt lgkmcnt(0)
	v_lshl_add_u32 v6, v6, 2, s8
	s_mov_b64 s[8:9], 0
.LBB305_477:                            ; =>This Inner Loop Header: Depth=1
	ds_read2st64_b32 v[10:11], v6 offset1:2
	ds_read2st64_b32 v[12:13], v6 offset0:4 offset1:6
	ds_read2st64_b32 v[14:15], v6 offset0:8 offset1:10
	;; [unrolled: 1-line block ×3, first 2 shown]
	v_add_u32_e32 v5, -8, v5
	s_waitcnt lgkmcnt(3)
	v_pk_mul_f32 v[10:11], v[8:9], v[10:11]
	s_waitcnt lgkmcnt(2)
	v_pk_mul_f32 v[12:13], v[8:9], v[12:13]
	ds_write2st64_b32 v6, v10, v11 offset1:2
	ds_write2st64_b32 v6, v12, v13 offset0:4 offset1:6
	ds_read2st64_b32 v[12:13], v6 offset0:16 offset1:18
	s_waitcnt lgkmcnt(4)
	v_pk_mul_f32 v[10:11], v[8:9], v[14:15]
	ds_write2st64_b32 v6, v10, v11 offset0:8 offset1:10
	s_waitcnt lgkmcnt(4)
	v_pk_mul_f32 v[10:11], v[8:9], v[18:19]
	ds_write2st64_b32 v6, v10, v11 offset0:12 offset1:14
	ds_read2st64_b32 v[10:11], v6 offset0:20 offset1:22
	s_waitcnt lgkmcnt(3)
	v_pk_mul_f32 v[12:13], v[8:9], v[12:13]
	ds_read2st64_b32 v[14:15], v6 offset0:24 offset1:26
	ds_write2st64_b32 v6, v12, v13 offset0:16 offset1:18
	ds_read2st64_b32 v[12:13], v6 offset0:28 offset1:30
	s_waitcnt lgkmcnt(3)
	v_pk_mul_f32 v[10:11], v[8:9], v[10:11]
	ds_write2st64_b32 v6, v10, v11 offset0:20 offset1:22
	s_waitcnt lgkmcnt(3)
	v_pk_mul_f32 v[10:11], v[8:9], v[14:15]
	ds_write2st64_b32 v6, v10, v11 offset0:24 offset1:26
	s_waitcnt lgkmcnt(2)
	v_pk_mul_f32 v[10:11], v[8:9], v[12:13]
	s_add_i32 s17, s17, 16
	v_cmp_eq_u32_e32 vcc, 0, v5
	ds_write2st64_b32 v6, v10, v11 offset0:28 offset1:30
	v_add_u32_e32 v6, 0x2000, v6
	s_or_b64 s[8:9], vcc, s[8:9]
	v_mov_b32_e32 v7, s17
	s_andn2_b64 exec, exec, s[8:9]
	s_cbranch_execnz .LBB305_477
; %bb.478:
	s_or_b64 exec, exec, s[8:9]
.LBB305_479:
	s_or_b64 exec, exec, s[6:7]
	v_and_b32_e32 v4, 7, v4
	v_cmp_ne_u32_e32 vcc, 0, v4
	s_and_saveexec_b64 s[6:7], vcc
	s_cbranch_execz .LBB305_482
; %bb.480:
	s_ashr_i32 s17, s16, 31
	s_lshl_b64 s[8:9], s[16:17], 2
	s_getpc_b64 s[22:23]
	s_add_u32 s22, s22, llvm.amdgcn.dynlds.offset.table@rel32@lo+4
	s_addc_u32 s23, s23, llvm.amdgcn.dynlds.offset.table@rel32@hi+12
	s_add_u32 s8, s8, s22
	s_addc_u32 s9, s9, s23
	s_load_dword s8, s[8:9], 0x0
	v_accvgpr_read_b32 v6, a2
	v_lshlrev_b32_e32 v5, 9, v7
	v_lshlrev_b32_e32 v6, 2, v6
	s_waitcnt lgkmcnt(0)
	v_add3_u32 v5, v5, v6, s8
	s_mov_b64 s[8:9], 0
.LBB305_481:                            ; =>This Inner Loop Header: Depth=1
	ds_read2st64_b32 v[6:7], v5 offset1:2
	v_add_u32_e32 v4, -1, v4
	v_cmp_eq_u32_e32 vcc, 0, v4
	s_or_b64 s[8:9], vcc, s[8:9]
	s_waitcnt lgkmcnt(0)
	v_pk_mul_f32 v[6:7], v[8:9], v[6:7]
	ds_write2st64_b32 v5, v6, v7 offset1:2
	v_add_u32_e32 v5, 0x400, v5
	s_andn2_b64 exec, exec, s[8:9]
	s_cbranch_execnz .LBB305_481
.LBB305_482:
	s_or_b64 exec, exec, s[6:7]
	v_add_u32_e32 v4, 1, v3
	v_and_b32_e32 v5, 0x3fffffe, v4
	v_accvgpr_read_b32 v3, a2
	v_cmp_ne_u32_e32 vcc, v4, v5
	v_lshl_add_u32 v3, v5, 7, v3
	s_orn2_b64 s[6:7], vcc, exec
.LBB305_483:
	s_or_b64 exec, exec, s[4:5]
	s_and_b64 exec, exec, s[6:7]
	s_cbranch_execz .LBB305_486
; %bb.484:
	s_ashr_i32 s17, s16, 31
	s_lshl_b64 s[4:5], s[16:17], 2
	s_getpc_b64 s[6:7]
	s_add_u32 s6, s6, llvm.amdgcn.dynlds.offset.table@rel32@lo+4
	s_addc_u32 s7, s7, llvm.amdgcn.dynlds.offset.table@rel32@hi+12
	s_add_u32 s4, s4, s6
	s_addc_u32 s5, s5, s7
	s_load_dword s4, s[4:5], 0x0
	s_waitcnt lgkmcnt(0)
	v_lshl_add_u32 v4, v3, 2, s4
	s_mov_b64 s[4:5], 0
.LBB305_485:                            ; =>This Inner Loop Header: Depth=1
	ds_read_b32 v5, v4
	v_add_u32_e32 v3, 0x80, v3
	v_cmp_ge_i32_e32 vcc, v3, v1
	s_or_b64 s[4:5], vcc, s[4:5]
	s_waitcnt lgkmcnt(0)
	v_mul_f32_e32 v5, v8, v5
	ds_write_b32 v4, v5
	v_add_u32_e32 v4, 0x200, v4
	s_andn2_b64 exec, exec, s[4:5]
	s_cbranch_execnz .LBB305_485
.LBB305_486:
	s_or_b64 exec, exec, s[2:3]
	v_cmp_ne_u16_e64 s[2:3], s24, 0
	s_cmp_lg_u64 s[2:3], 0
	s_addc_u32 s19, s13, 0
	v_accvgpr_read_b32 v3, a2
	s_mul_i32 s2, s19, s20
	v_cmp_eq_u32_e32 vcc, 0, v3
	s_mul_i32 s2, s2, s15
	s_waitcnt lgkmcnt(0)
	s_barrier
	s_and_saveexec_b64 s[4:5], vcc
	s_cbranch_execz .LBB305_488
; %bb.487:
	s_mul_i32 s8, s19, s12
	s_ashr_i32 s3, s2, 31
	s_ashr_i32 s9, s8, 31
	;; [unrolled: 1-line block ×3, first 2 shown]
	s_lshl_b64 s[6:7], s[2:3], 2
	s_lshl_b64 s[8:9], s[8:9], 2
	;; [unrolled: 1-line block ×3, first 2 shown]
	s_add_u32 s3, s12, s8
	s_addc_u32 s8, s13, s9
	s_add_u32 s6, s3, s6
	v_accvgpr_read_b32 v4, a18
	s_addc_u32 s7, s8, s7
	v_accvgpr_read_b32 v5, a19
	v_lshl_add_u64 v[4:5], s[6:7], 0, v[4:5]
	flat_store_dword v[4:5], v0
	v_accvgpr_read_b32 v0, a16
	v_accvgpr_read_b32 v1, a17
	v_lshl_add_u64 v[0:1], s[6:7], 0, v[0:1]
	flat_store_dword v[0:1], v2
.LBB305_488:
	s_or_b64 exec, exec, s[4:5]
	v_mov_b32_e32 v35, 0
	v_and_b32_e32 v34, 3, v3
	v_mov_b32_e32 v1, 0
	v_mov_b32_e32 v0, 0
	v_mov_b32_e32 v3, 0
	v_mov_b32_e32 v2, 0
	v_mov_b32_e32 v9, 0
	v_mov_b32_e32 v8, 0
	s_and_saveexec_b64 s[4:5], s[0:1]
	s_cbranch_execz .LBB305_954
; %bb.489:
	v_accvgpr_read_b32 v0, a14
	v_accvgpr_read_b32 v6, a24
	;; [unrolled: 1-line block ×3, first 2 shown]
	s_ashr_i32 s17, s16, 31
	v_accvgpr_read_b32 v1, a15
	v_accvgpr_read_b32 v7, a25
	s_lshl_b64 s[0:1], s[16:17], 2
	v_lshl_add_u64 v[0:1], v[0:1], 0, v[6:7]
	v_and_b32_e32 v10, 0x1f8, v4
	v_mov_b32_e32 v11, 0
	s_getpc_b64 s[6:7]
	s_add_u32 s6, s6, llvm.amdgcn.dynlds.offset.table@rel32@lo+4
	s_addc_u32 s7, s7, llvm.amdgcn.dynlds.offset.table@rel32@hi+12
	v_lshl_add_u64 v[20:21], v[0:1], 0, v[10:11]
	v_accvgpr_read_b32 v0, a10
	v_and_b32_e32 v2, 24, v4
	s_add_u32 s0, s0, s6
	v_accvgpr_read_b32 v1, a11
	v_accvgpr_read_b32 v4, a22
	s_addc_u32 s1, s1, s7
	v_lshlrev_b64 v[0:1], 2, v[0:1]
	v_accvgpr_read_b32 v5, a23
	s_load_dword s0, s[0:1], 0x0
	v_lshl_add_u64 v[0:1], v[4:5], 2, v[0:1]
	v_accvgpr_read_b32 v4, a12
	v_accvgpr_read_b32 v5, a13
	v_lshl_add_u64 v[14:15], v[4:5], 0, v[0:1]
	v_accvgpr_read_b32 v0, a21
	v_add3_u32 v7, s21, v0, v2
	v_lshlrev_b32_e32 v0, 5, v34
	v_accvgpr_read_b32 v1, a7
	v_accvgpr_read_b32 v3, a9
	v_lshl_or_b32 v0, v1, 7, v0
	v_add_u32_e32 v36, -1, v3
	v_accvgpr_read_b32 v13, a8
	s_waitcnt lgkmcnt(0)
	v_add_u32_e32 v37, s0, v0
	s_mov_b64 s[6:7], 0
	s_movk_i32 s3, 0x7f
	s_movk_i32 s15, 0x80
	s_mov_b32 s17, 0x8000
	s_movk_i32 s22, 0x380
	s_mov_b32 s23, 0x3020706
	s_mov_b32 s24, 0x1000504
	;; [unrolled: 1-line block ×3, first 2 shown]
	v_mov_b32_e32 v39, 0x1c00
	v_mov_b32_e32 v8, 0
	;; [unrolled: 1-line block ×8, first 2 shown]
	s_branch .LBB305_491
.LBB305_490:                            ;   in Loop: Header=BB305_491 Depth=1
	s_or_b64 exec, exec, s[0:1]
	v_add_f32_e32 v4, v4, v5
	v_add_f32_e32 v2, v2, v4
	;; [unrolled: 1-line block ×8, first 2 shown]
	;;#ASMSTART
	v_pk_mul_f16 v4, v55, v19;

	;;#ASMEND
	;;#ASMSTART
	v_pk_mul_f16 v5, v40, v10;

	;;#ASMEND
	;; [unrolled: 4-line block ×4, first 2 shown]
	v_add_f32_e32 v12, v43, v44
	;;#ASMSTART
	v_pk_add_f16 v4, v4, v5;

	;;#ASMEND
	v_add_f32_e32 v8, v8, v12
	;;#ASMSTART
	v_pk_add_f16 v4, v4, v10;

	;;#ASMEND
	;; [unrolled: 5-line block ×3, first 2 shown]
	v_accvgpr_read_b32 v6, a10
	v_lshrrev_b32_e32 v5, 16, v4
	v_and_b32_e32 v4, 0xffff, v4
	;;#ASMSTART
	v_cvt_f32_f16 v4, v4;
	;;#ASMEND
	;;#ASMSTART
	v_cvt_f32_f16 v5, v5;
	;;#ASMEND
	v_add_u32_e32 v6, 2, v6
	v_add_f32_e32 v4, v4, v5
	v_add_f32_e32 v35, v35, v4
	v_accvgpr_read_b32 v4, a3
	v_cmp_ge_i32_e32 vcc, v6, v4
	v_add_f32_e32 v9, v9, v12
	v_lshl_add_u64 v[14:15], v[14:15], 0, 8
	v_add_u32_e32 v7, 64, v7
	v_accvgpr_write_b32 a10, v6
	s_or_b64 s[6:7], vcc, s[6:7]
	v_add_u32_e32 v37, 0x100, v37
	s_andn2_b64 exec, exec, s[6:7]
	s_cbranch_execz .LBB305_953
.LBB305_491:                            ; =>This Inner Loop Header: Depth=1
	ds_read2_b64 v[24:27], v37 offset1:1
	ds_read2_b64 v[28:31], v37 offset0:2 offset1:3
	v_accvgpr_read_b32 v10, a6
                                        ; implicit-def: $sgpr20
	s_waitcnt lgkmcnt(0)
	;;#ASMSTART
	v_cvt_f16_f32 v4, v24;

	;;#ASMEND
	;;#ASMSTART
	v_cvt_f16_f32 v5, v25;

	;;#ASMEND
	;; [unrolled: 4-line block ×8, first 2 shown]
	flat_load_dword v6, v[14:15]
	v_accvgpr_read_b32 v29, a5
	v_accvgpr_read_b32 v28, a4
	flat_load_dword v12, v[28:29]
	s_waitcnt vmcnt(0) lgkmcnt(0)
	v_mad_i64_i32 v[18:19], s[0:1], v6, v10, v[20:21]
	flat_load_dwordx2 v[24:25], v[18:19]
	s_mov_b64 s[0:1], 0
	s_waitcnt vmcnt(0) lgkmcnt(0)
	v_cmp_gt_i16_sdwa s[8:9], v24, s3 src0_sel:BYTE_0 src1_sel:DWORD
	s_and_saveexec_b64 s[12:13], s[8:9]
	s_xor_b64 s[8:9], exec, s[12:13]
	s_cbranch_execnz .LBB305_729
; %bb.492:                              ;   in Loop: Header=BB305_491 Depth=1
	s_or_saveexec_b64 s[8:9], s[8:9]
	v_mov_b32_e32 v28, s20
	s_xor_b64 exec, exec, s[8:9]
	s_cbranch_execnz .LBB305_732
.LBB305_493:                            ;   in Loop: Header=BB305_491 Depth=1
	s_or_b64 exec, exec, s[8:9]
	s_and_saveexec_b64 s[8:9], s[0:1]
	s_cbranch_execz .LBB305_495
.LBB305_494:                            ;   in Loop: Header=BB305_491 Depth=1
	v_and_b32_e32 v6, 7, v24
	v_ffbh_u32_e32 v6, v6
	v_bfe_u32 v10, v24, 3, 4
	v_min_u32_e32 v6, 32, v6
	v_subrev_u32_e32 v16, 28, v6
	v_sub_u32_e32 v6, 29, v6
	v_cmp_eq_u32_e32 vcc, 0, v10
	s_nop 1
	v_cndmask_b32_e32 v6, v10, v6, vcc
	v_cndmask_b32_e32 v10, 0, v16, vcc
	v_lshlrev_b64 v[28:29], v10, v[24:25]
	v_lshlrev_b32_e32 v16, 8, v24
	v_lshl_add_u32 v6, v6, 10, v39
	v_lshlrev_b32_e32 v10, 7, v28
	v_and_or_b32 v6, v16, s17, v6
	v_and_or_b32 v6, v10, s22, v6
	v_cvt_f32_f16_e32 v28, v6
.LBB305_495:                            ;   in Loop: Header=BB305_491 Depth=1
	s_or_b64 exec, exec, s[8:9]
	v_lshrrev_b16_e32 v10, 8, v24
	v_cmp_lt_i16_e32 vcc, s3, v10
	s_mov_b64 s[0:1], 0
                                        ; implicit-def: $sgpr20
	s_and_saveexec_b64 s[8:9], vcc
	s_xor_b64 s[8:9], exec, s[8:9]
	s_cbranch_execnz .LBB305_733
; %bb.496:                              ;   in Loop: Header=BB305_491 Depth=1
	s_or_saveexec_b64 s[8:9], s[8:9]
	v_mov_b32_e32 v30, s20
	s_xor_b64 exec, exec, s[8:9]
	s_cbranch_execnz .LBB305_736
.LBB305_497:                            ;   in Loop: Header=BB305_491 Depth=1
	s_or_b64 exec, exec, s[8:9]
	s_and_saveexec_b64 s[8:9], s[0:1]
	s_cbranch_execz .LBB305_499
.LBB305_498:                            ;   in Loop: Header=BB305_491 Depth=1
	v_and_b32_e32 v6, 7, v10
	v_ffbh_u32_e32 v29, v6
	v_bfe_u32 v16, v10, 3, 4
	v_min_u32_e32 v29, 32, v29
	v_subrev_u32_e32 v30, 28, v29
	v_sub_u32_e32 v29, 29, v29
	v_cmp_eq_u32_e32 vcc, 0, v16
	v_lshlrev_b64 v[30:31], v30, v[10:11]
	v_and_b32_e32 v30, 7, v30
	v_cndmask_b32_e32 v16, v16, v29, vcc
	v_lshlrev_b32_e32 v10, 8, v10
	v_lshl_add_u32 v16, v16, 10, v39
	v_cndmask_b32_e32 v6, v6, v30, vcc
	v_and_or_b32 v10, v10, s17, v16
	v_lshl_or_b32 v6, v6, 7, v10
	v_cvt_f32_f16_e32 v30, v6
.LBB305_499:                            ;   in Loop: Header=BB305_491 Depth=1
	s_or_b64 exec, exec, s[8:9]
	v_lshrrev_b32_e32 v10, 16, v24
	v_cmp_gt_i16_sdwa s[8:9], v10, s3 src0_sel:BYTE_0 src1_sel:DWORD
	s_mov_b64 s[0:1], 0
                                        ; implicit-def: $sgpr20
	s_and_saveexec_b64 s[12:13], s[8:9]
	s_xor_b64 s[8:9], exec, s[12:13]
	s_cbranch_execnz .LBB305_737
; %bb.500:                              ;   in Loop: Header=BB305_491 Depth=1
	s_or_saveexec_b64 s[8:9], s[8:9]
	v_mov_b32_e32 v29, s20
	s_xor_b64 exec, exec, s[8:9]
	s_cbranch_execnz .LBB305_740
.LBB305_501:                            ;   in Loop: Header=BB305_491 Depth=1
	s_or_b64 exec, exec, s[8:9]
	s_and_saveexec_b64 s[8:9], s[0:1]
	s_cbranch_execz .LBB305_503
.LBB305_502:                            ;   in Loop: Header=BB305_491 Depth=1
	v_bfe_u32 v6, v24, 16, 3
	v_ffbh_u32_e32 v29, v6
	v_bfe_u32 v16, v24, 19, 4
	v_min_u32_e32 v29, 32, v29
	v_subrev_u32_e32 v31, 28, v29
	v_sub_u32_e32 v29, 29, v29
	v_cmp_eq_u32_e32 vcc, 0, v16
	v_lshlrev_b64 v[48:49], v31, v[10:11]
	v_and_b32_e32 v31, 7, v48
	v_cndmask_b32_e32 v16, v16, v29, vcc
	v_lshlrev_b32_e32 v10, 8, v10
	v_lshl_add_u32 v16, v16, 10, v39
	v_cndmask_b32_e32 v6, v6, v31, vcc
	v_and_or_b32 v10, v10, s17, v16
	v_lshl_or_b32 v6, v6, 7, v10
	v_cvt_f32_f16_e32 v29, v6
.LBB305_503:                            ;   in Loop: Header=BB305_491 Depth=1
	s_or_b64 exec, exec, s[8:9]
	v_lshrrev_b32_e32 v10, 24, v24
	v_cmp_lt_i16_e32 vcc, s3, v10
	s_mov_b64 s[0:1], 0
                                        ; implicit-def: $sgpr20
	s_and_saveexec_b64 s[8:9], vcc
	s_xor_b64 s[8:9], exec, s[8:9]
	s_cbranch_execnz .LBB305_741
; %bb.504:                              ;   in Loop: Header=BB305_491 Depth=1
	s_or_saveexec_b64 s[8:9], s[8:9]
	v_mov_b32_e32 v31, s20
	s_xor_b64 exec, exec, s[8:9]
	s_cbranch_execnz .LBB305_744
.LBB305_505:                            ;   in Loop: Header=BB305_491 Depth=1
	s_or_b64 exec, exec, s[8:9]
	s_and_saveexec_b64 s[8:9], s[0:1]
	s_cbranch_execz .LBB305_507
.LBB305_506:                            ;   in Loop: Header=BB305_491 Depth=1
	v_bfe_u32 v6, v24, 24, 3
	v_bfe_u32 v16, v24, 27, 4
	v_ffbh_u32_e32 v24, v6
	v_min_u32_e32 v24, 32, v24
	v_subrev_u32_e32 v31, 28, v24
	v_sub_u32_e32 v24, 29, v24
	v_cmp_eq_u32_e32 vcc, 0, v16
	v_lshlrev_b64 v[48:49], v31, v[10:11]
	v_and_b32_e32 v31, 7, v48
	v_cndmask_b32_e32 v16, v16, v24, vcc
	v_lshlrev_b32_e32 v10, 8, v10
	v_lshl_add_u32 v16, v16, 10, v39
	v_cndmask_b32_e32 v6, v6, v31, vcc
	v_and_or_b32 v10, v10, s17, v16
	v_lshl_or_b32 v6, v6, 7, v10
	v_cvt_f32_f16_e32 v31, v6
.LBB305_507:                            ;   in Loop: Header=BB305_491 Depth=1
	s_or_b64 exec, exec, s[8:9]
	v_cmp_gt_i16_sdwa s[8:9], v25, s3 src0_sel:BYTE_0 src1_sel:DWORD
	s_mov_b64 s[0:1], 0
                                        ; implicit-def: $sgpr20
	s_and_saveexec_b64 s[12:13], s[8:9]
	s_xor_b64 s[8:9], exec, s[12:13]
	s_cbranch_execnz .LBB305_745
; %bb.508:                              ;   in Loop: Header=BB305_491 Depth=1
	s_or_saveexec_b64 s[8:9], s[8:9]
	v_mov_b32_e32 v24, s20
	s_xor_b64 exec, exec, s[8:9]
	s_cbranch_execnz .LBB305_748
.LBB305_509:                            ;   in Loop: Header=BB305_491 Depth=1
	s_or_b64 exec, exec, s[8:9]
	v_mov_b32_e32 v10, v25
	s_and_saveexec_b64 s[8:9], s[0:1]
	s_cbranch_execz .LBB305_511
.LBB305_510:                            ;   in Loop: Header=BB305_491 Depth=1
	v_and_b32_e32 v6, 7, v25
	v_ffbh_u32_e32 v6, v6
	v_bfe_u32 v16, v25, 3, 4
	v_min_u32_e32 v6, 32, v6
	v_subrev_u32_e32 v24, 28, v6
	v_sub_u32_e32 v6, 29, v6
	v_cmp_eq_u32_e32 vcc, 0, v16
	s_nop 1
	v_cndmask_b32_e32 v6, v16, v6, vcc
	v_cndmask_b32_e32 v16, 0, v24, vcc
	v_lshlrev_b64 v[48:49], v16, v[10:11]
	v_lshlrev_b32_e32 v24, 8, v25
	v_lshl_add_u32 v6, v6, 10, v39
	v_lshlrev_b32_e32 v16, 7, v48
	v_and_or_b32 v6, v24, s17, v6
	v_and_or_b32 v6, v16, s22, v6
	v_cvt_f32_f16_e32 v24, v6
.LBB305_511:                            ;   in Loop: Header=BB305_491 Depth=1
	s_or_b64 exec, exec, s[8:9]
	v_lshrrev_b16_e32 v10, 8, v10
	v_cmp_lt_i16_e32 vcc, s3, v10
	s_mov_b64 s[0:1], 0
                                        ; implicit-def: $sgpr20
	s_and_saveexec_b64 s[8:9], vcc
	s_xor_b64 s[8:9], exec, s[8:9]
	s_cbranch_execnz .LBB305_749
; %bb.512:                              ;   in Loop: Header=BB305_491 Depth=1
	s_or_saveexec_b64 s[8:9], s[8:9]
	v_mov_b32_e32 v48, s20
	s_xor_b64 exec, exec, s[8:9]
	s_cbranch_execnz .LBB305_752
.LBB305_513:                            ;   in Loop: Header=BB305_491 Depth=1
	s_or_b64 exec, exec, s[8:9]
	s_and_saveexec_b64 s[8:9], s[0:1]
	s_cbranch_execz .LBB305_515
.LBB305_514:                            ;   in Loop: Header=BB305_491 Depth=1
	v_and_b32_e32 v6, 7, v10
	v_ffbh_u32_e32 v48, v6
	v_min_u32_e32 v50, 32, v48
	v_subrev_u32_e32 v48, 28, v50
	v_bfe_u32 v16, v10, 3, 4
	v_lshlrev_b64 v[48:49], v48, v[10:11]
	v_sub_u32_e32 v49, 29, v50
	v_cmp_eq_u32_e32 vcc, 0, v16
	v_and_b32_e32 v48, 7, v48
	v_lshlrev_b32_e32 v10, 8, v10
	v_cndmask_b32_e32 v16, v16, v49, vcc
	v_lshl_add_u32 v16, v16, 10, v39
	v_cndmask_b32_e32 v6, v6, v48, vcc
	v_and_or_b32 v10, v10, s17, v16
	v_lshl_or_b32 v6, v6, 7, v10
	v_cvt_f32_f16_e32 v48, v6
.LBB305_515:                            ;   in Loop: Header=BB305_491 Depth=1
	s_or_b64 exec, exec, s[8:9]
	v_lshrrev_b32_e32 v10, 16, v25
	v_cmp_gt_i16_sdwa s[8:9], v10, s3 src0_sel:BYTE_0 src1_sel:DWORD
	s_mov_b64 s[0:1], 0
                                        ; implicit-def: $sgpr20
	s_and_saveexec_b64 s[12:13], s[8:9]
	s_xor_b64 s[8:9], exec, s[12:13]
	s_cbranch_execnz .LBB305_753
; %bb.516:                              ;   in Loop: Header=BB305_491 Depth=1
	s_or_saveexec_b64 s[8:9], s[8:9]
	v_mov_b32_e32 v6, s20
	s_xor_b64 exec, exec, s[8:9]
	s_cbranch_execnz .LBB305_756
.LBB305_517:                            ;   in Loop: Header=BB305_491 Depth=1
	s_or_b64 exec, exec, s[8:9]
	s_and_saveexec_b64 s[8:9], s[0:1]
	s_cbranch_execz .LBB305_519
.LBB305_518:                            ;   in Loop: Header=BB305_491 Depth=1
	v_bfe_u32 v6, v25, 16, 3
	v_ffbh_u32_e32 v49, v6
	v_bfe_u32 v16, v25, 19, 4
	v_min_u32_e32 v49, 32, v49
	v_subrev_u32_e32 v50, 28, v49
	v_sub_u32_e32 v49, 29, v49
	v_cmp_eq_u32_e32 vcc, 0, v16
	v_lshlrev_b64 v[50:51], v50, v[10:11]
	v_and_b32_e32 v50, 7, v50
	v_cndmask_b32_e32 v16, v16, v49, vcc
	v_lshlrev_b32_e32 v10, 8, v10
	v_lshl_add_u32 v16, v16, 10, v39
	v_cndmask_b32_e32 v6, v6, v50, vcc
	v_and_or_b32 v10, v10, s17, v16
	v_lshl_or_b32 v6, v6, 7, v10
	v_cvt_f32_f16_e32 v6, v6
.LBB305_519:                            ;   in Loop: Header=BB305_491 Depth=1
	s_or_b64 exec, exec, s[8:9]
	v_lshrrev_b32_e32 v10, 24, v25
	v_cmp_lt_i16_e32 vcc, s3, v10
	s_mov_b64 s[0:1], 0
                                        ; implicit-def: $sgpr20
	s_and_saveexec_b64 s[8:9], vcc
	s_xor_b64 s[8:9], exec, s[8:9]
	s_cbranch_execnz .LBB305_757
; %bb.520:                              ;   in Loop: Header=BB305_491 Depth=1
	s_or_saveexec_b64 s[8:9], s[8:9]
	v_mov_b32_e32 v49, s20
	s_xor_b64 exec, exec, s[8:9]
	s_cbranch_execnz .LBB305_760
.LBB305_521:                            ;   in Loop: Header=BB305_491 Depth=1
	s_or_b64 exec, exec, s[8:9]
	s_and_saveexec_b64 s[8:9], s[0:1]
	s_cbranch_execz .LBB305_523
.LBB305_522:                            ;   in Loop: Header=BB305_491 Depth=1
	v_bfe_u32 v16, v25, 24, 3
	v_ffbh_u32_e32 v49, v16
	v_bfe_u32 v25, v25, 27, 4
	v_min_u32_e32 v49, 32, v49
	v_subrev_u32_e32 v50, 28, v49
	v_sub_u32_e32 v49, 29, v49
	v_cmp_eq_u32_e32 vcc, 0, v25
	v_lshlrev_b64 v[50:51], v50, v[10:11]
	v_and_b32_e32 v50, 7, v50
	v_cndmask_b32_e32 v25, v25, v49, vcc
	v_lshlrev_b32_e32 v10, 8, v10
	v_lshl_add_u32 v25, v25, 10, v39
	v_cndmask_b32_e32 v16, v16, v50, vcc
	v_and_or_b32 v10, v10, s17, v25
	v_lshl_or_b32 v10, v16, 7, v10
	v_cvt_f32_f16_e32 v49, v10
.LBB305_523:                            ;   in Loop: Header=BB305_491 Depth=1
	s_or_b64 exec, exec, s[8:9]
	v_pk_mul_f32 v[30:31], v[12:13], v[30:31] op_sel_hi:[0,1]
	v_pk_mul_f32 v[28:29], v[12:13], v[28:29] op_sel_hi:[0,1]
	v_cvt_f16_f32_e32 v10, v31
	v_cvt_f16_f32_e32 v16, v30
	;; [unrolled: 1-line block ×4, first 2 shown]
	v_accvgpr_read_b32 v30, a10
	v_pack_b32_f16 v16, v16, v10
	v_fma_mixlo_f16 v24, v12, v24, 0
	v_pack_b32_f16 v25, v28, v25
	v_perm_b32 v10, v25, v16, s23
	v_perm_b32 v25, v25, v16, s24
	v_fma_mixlo_f16 v16, v12, v48, 0
	v_fma_mixlo_f16 v28, v12, v6, 0
	;; [unrolled: 1-line block ×3, first 2 shown]
	v_lshlrev_b32_e32 v16, 16, v16
	v_lshlrev_b32_e32 v6, 16, v6
	v_cmp_eq_u32_e32 vcc, v36, v30
	v_or_b32_sdwa v24, v16, v24 dst_sel:DWORD dst_unused:UNUSED_PAD src0_sel:DWORD src1_sel:WORD_0
	v_or_b32_sdwa v6, v6, v28 dst_sel:DWORD dst_unused:UNUSED_PAD src0_sel:DWORD src1_sel:WORD_0
	v_add_u32_e32 v54, 1, v7
	v_or_b32_e32 v53, 3, v7
	v_or_b32_e32 v52, 2, v7
	v_or_b32_e32 v51, 5, v7
	v_or_b32_e32 v50, 4, v7
	v_or_b32_e32 v49, 7, v7
	v_or_b32_e32 v48, 6, v7
	s_and_saveexec_b64 s[8:9], vcc
	s_cbranch_execz .LBB305_525
; %bb.524:                              ;   in Loop: Header=BB305_491 Depth=1
	v_lshrrev_b32_e32 v12, 16, v25
	v_cmp_lt_i32_e64 s[0:1], v54, v13
	v_accvgpr_read_b32 v30, a8
	v_lshrrev_b32_e32 v6, 16, v6
	v_cndmask_b32_e64 v12, 0, v12, s[0:1]
	v_cmp_lt_i32_e64 s[0:1], v7, v30
	s_nop 1
	v_cndmask_b32_e64 v16, 0, v25, s[0:1]
	v_perm_b32 v25, v12, v16, s25
	v_lshrrev_b32_e32 v12, 16, v10
	v_cmp_lt_i32_e64 s[0:1], v53, v13
	s_nop 1
	v_cndmask_b32_e64 v12, 0, v12, s[0:1]
	v_cmp_lt_i32_e64 s[0:1], v52, v30
	s_nop 1
	v_cndmask_b32_e64 v10, 0, v10, s[0:1]
	v_perm_b32 v10, v12, v10, s25
	v_lshrrev_b32_e32 v12, 16, v24
	v_cmp_lt_i32_e64 s[0:1], v51, v13
	s_nop 1
	v_cndmask_b32_e64 v12, 0, v12, s[0:1]
	v_cmp_lt_i32_e64 s[0:1], v50, v30
	s_nop 1
	v_cndmask_b32_e64 v16, 0, v24, s[0:1]
	v_cmp_lt_i32_e64 s[0:1], v49, v13
	v_perm_b32 v24, v12, v16, s25
	s_nop 0
	v_cndmask_b32_e64 v6, 0, v6, s[0:1]
	v_cmp_lt_i32_e64 s[0:1], v48, v30
	s_nop 1
	v_cndmask_b32_e64 v12, 0, v28, s[0:1]
	v_perm_b32 v6, v6, v12, s25
.LBB305_525:                            ;   in Loop: Header=BB305_491 Depth=1
	s_or_b64 exec, exec, s[8:9]
	v_and_b32_e32 v4, 0xffff, v4
	v_lshl_or_b32 v55, v5, 16, v4
	v_and_b32_e32 v4, 0xffff, v17
	v_lshl_or_b32 v40, v22, 16, v4
	;; [unrolled: 2-line block ×4, first 2 shown]
	;;#ASMSTART
	v_pk_mul_f16 v4, v55, v25;

	;;#ASMEND
	;;#ASMSTART
	v_pk_mul_f16 v5, v40, v10;

	;;#ASMEND
	;; [unrolled: 4-line block ×4, first 2 shown]
	s_mov_b64 s[0:1], 0
	;;#ASMSTART
	v_pk_add_f16 v4, v4, v5;

	;;#ASMEND
                                        ; implicit-def: $sgpr20
	s_nop 0
	;;#ASMSTART
	v_pk_add_f16 v4, v4, v10;

	;;#ASMEND
	s_nop 0
	;;#ASMSTART
	v_pk_add_f16 v4, v4, v6;

	;;#ASMEND
	s_nop 0
	v_lshrrev_b32_e32 v5, 16, v4
	v_and_b32_e32 v4, 0xffff, v4
	;;#ASMSTART
	v_cvt_f32_f16 v43, v4;
	;;#ASMEND
	;;#ASMSTART
	v_cvt_f32_f16 v44, v5;
	;;#ASMEND
	v_accvgpr_read_b32 v4, a4
	flat_load_dwordx2 v[24:25], v[18:19] offset:512
	v_accvgpr_read_b32 v5, a5
	flat_load_dword v12, v[4:5]
	s_waitcnt vmcnt(0) lgkmcnt(0)
	v_cmp_gt_i16_sdwa s[8:9], v24, s3 src0_sel:BYTE_0 src1_sel:DWORD
	s_and_saveexec_b64 s[12:13], s[8:9]
	s_xor_b64 s[8:9], exec, s[12:13]
	s_cbranch_execnz .LBB305_761
; %bb.526:                              ;   in Loop: Header=BB305_491 Depth=1
	s_or_saveexec_b64 s[8:9], s[8:9]
	v_mov_b32_e32 v28, s20
	s_xor_b64 exec, exec, s[8:9]
	s_cbranch_execnz .LBB305_764
.LBB305_527:                            ;   in Loop: Header=BB305_491 Depth=1
	s_or_b64 exec, exec, s[8:9]
	s_and_saveexec_b64 s[8:9], s[0:1]
	s_cbranch_execz .LBB305_529
.LBB305_528:                            ;   in Loop: Header=BB305_491 Depth=1
	v_and_b32_e32 v4, 7, v24
	v_ffbh_u32_e32 v4, v4
	v_bfe_u32 v5, v24, 3, 4
	v_min_u32_e32 v4, 32, v4
	v_subrev_u32_e32 v6, 28, v4
	v_sub_u32_e32 v4, 29, v4
	v_cmp_eq_u32_e64 s[0:1], 0, v5
	s_nop 1
	v_cndmask_b32_e64 v10, v5, v4, s[0:1]
	v_cndmask_b32_e64 v4, 0, v6, s[0:1]
	v_lshlrev_b64 v[4:5], v4, v[24:25]
	v_lshlrev_b32_e32 v5, 8, v24
	v_lshl_add_u32 v6, v10, 10, v39
	v_lshlrev_b32_e32 v4, 7, v4
	v_and_or_b32 v5, v5, s17, v6
	v_and_or_b32 v4, v4, s22, v5
	v_cvt_f32_f16_e32 v28, v4
.LBB305_529:                            ;   in Loop: Header=BB305_491 Depth=1
	s_or_b64 exec, exec, s[8:9]
	v_lshrrev_b16_e32 v10, 8, v24
	v_cmp_lt_i16_e64 s[0:1], s3, v10
	s_mov_b64 s[8:9], 0
                                        ; implicit-def: $sgpr26
	s_and_saveexec_b64 s[12:13], s[0:1]
	s_xor_b64 s[12:13], exec, s[12:13]
	s_cbranch_execnz .LBB305_765
; %bb.530:                              ;   in Loop: Header=BB305_491 Depth=1
	s_or_saveexec_b64 s[12:13], s[12:13]
	v_mov_b32_e32 v30, s26
	s_xor_b64 exec, exec, s[12:13]
	s_cbranch_execnz .LBB305_768
.LBB305_531:                            ;   in Loop: Header=BB305_491 Depth=1
	s_or_b64 exec, exec, s[12:13]
	s_and_saveexec_b64 s[12:13], s[8:9]
	s_cbranch_execz .LBB305_533
.LBB305_532:                            ;   in Loop: Header=BB305_491 Depth=1
	v_and_b32_e32 v6, 7, v10
	v_ffbh_u32_e32 v4, v6
	v_min_u32_e32 v17, 32, v4
	v_subrev_u32_e32 v4, 28, v17
	v_bfe_u32 v16, v10, 3, 4
	v_lshlrev_b64 v[4:5], v4, v[10:11]
	v_sub_u32_e32 v5, 29, v17
	v_cmp_eq_u32_e64 s[0:1], 0, v16
	v_and_b32_e32 v4, 7, v4
	s_nop 0
	v_cndmask_b32_e64 v5, v16, v5, s[0:1]
	v_cndmask_b32_e64 v4, v6, v4, s[0:1]
	v_lshlrev_b32_e32 v6, 8, v10
	v_lshl_add_u32 v5, v5, 10, v39
	v_and_or_b32 v5, v6, s17, v5
	v_lshl_or_b32 v4, v4, 7, v5
	v_cvt_f32_f16_e32 v30, v4
.LBB305_533:                            ;   in Loop: Header=BB305_491 Depth=1
	s_or_b64 exec, exec, s[12:13]
	v_lshrrev_b32_e32 v10, 16, v24
	v_cmp_gt_i16_sdwa s[8:9], v10, s3 src0_sel:BYTE_0 src1_sel:DWORD
	s_mov_b64 s[0:1], 0
                                        ; implicit-def: $sgpr20
	s_and_saveexec_b64 s[12:13], s[8:9]
	s_xor_b64 s[8:9], exec, s[12:13]
	s_cbranch_execnz .LBB305_769
; %bb.534:                              ;   in Loop: Header=BB305_491 Depth=1
	s_or_saveexec_b64 s[8:9], s[8:9]
	v_mov_b32_e32 v29, s20
	s_xor_b64 exec, exec, s[8:9]
	s_cbranch_execnz .LBB305_772
.LBB305_535:                            ;   in Loop: Header=BB305_491 Depth=1
	s_or_b64 exec, exec, s[8:9]
	s_and_saveexec_b64 s[8:9], s[0:1]
	s_cbranch_execz .LBB305_537
.LBB305_536:                            ;   in Loop: Header=BB305_491 Depth=1
	v_bfe_u32 v6, v24, 16, 3
	v_ffbh_u32_e32 v4, v6
	v_min_u32_e32 v17, 32, v4
	v_subrev_u32_e32 v4, 28, v17
	v_bfe_u32 v16, v24, 19, 4
	v_lshlrev_b64 v[4:5], v4, v[10:11]
	v_sub_u32_e32 v5, 29, v17
	v_cmp_eq_u32_e64 s[0:1], 0, v16
	v_and_b32_e32 v4, 7, v4
	s_nop 0
	v_cndmask_b32_e64 v5, v16, v5, s[0:1]
	v_cndmask_b32_e64 v4, v6, v4, s[0:1]
	v_lshlrev_b32_e32 v6, 8, v10
	v_lshl_add_u32 v5, v5, 10, v39
	v_and_or_b32 v5, v6, s17, v5
	v_lshl_or_b32 v4, v4, 7, v5
	v_cvt_f32_f16_e32 v29, v4
.LBB305_537:                            ;   in Loop: Header=BB305_491 Depth=1
	s_or_b64 exec, exec, s[8:9]
	v_lshrrev_b32_e32 v10, 24, v24
	v_cmp_lt_i16_e64 s[0:1], s3, v10
	s_mov_b64 s[8:9], 0
                                        ; implicit-def: $sgpr26
	s_and_saveexec_b64 s[12:13], s[0:1]
	s_xor_b64 s[12:13], exec, s[12:13]
	s_cbranch_execnz .LBB305_773
; %bb.538:                              ;   in Loop: Header=BB305_491 Depth=1
	s_or_saveexec_b64 s[12:13], s[12:13]
	v_mov_b32_e32 v31, s26
	s_xor_b64 exec, exec, s[12:13]
	s_cbranch_execnz .LBB305_776
.LBB305_539:                            ;   in Loop: Header=BB305_491 Depth=1
	s_or_b64 exec, exec, s[12:13]
	s_and_saveexec_b64 s[12:13], s[8:9]
	s_cbranch_execz .LBB305_541
.LBB305_540:                            ;   in Loop: Header=BB305_491 Depth=1
	v_bfe_u32 v6, v24, 24, 3
	v_ffbh_u32_e32 v4, v6
	v_min_u32_e32 v17, 32, v4
	v_subrev_u32_e32 v4, 28, v17
	v_bfe_u32 v16, v24, 27, 4
	v_lshlrev_b64 v[4:5], v4, v[10:11]
	v_sub_u32_e32 v5, 29, v17
	v_cmp_eq_u32_e64 s[0:1], 0, v16
	v_and_b32_e32 v4, 7, v4
	s_nop 0
	v_cndmask_b32_e64 v5, v16, v5, s[0:1]
	v_cndmask_b32_e64 v4, v6, v4, s[0:1]
	v_lshlrev_b32_e32 v6, 8, v10
	v_lshl_add_u32 v5, v5, 10, v39
	v_and_or_b32 v5, v6, s17, v5
	v_lshl_or_b32 v4, v4, 7, v5
	v_cvt_f32_f16_e32 v31, v4
.LBB305_541:                            ;   in Loop: Header=BB305_491 Depth=1
	s_or_b64 exec, exec, s[12:13]
	v_cmp_gt_i16_sdwa s[8:9], v25, s3 src0_sel:BYTE_0 src1_sel:DWORD
	s_mov_b64 s[0:1], 0
                                        ; implicit-def: $sgpr20
	s_and_saveexec_b64 s[12:13], s[8:9]
	s_xor_b64 s[8:9], exec, s[12:13]
	s_cbranch_execnz .LBB305_777
; %bb.542:                              ;   in Loop: Header=BB305_491 Depth=1
	s_or_saveexec_b64 s[8:9], s[8:9]
	v_mov_b32_e32 v4, s20
	s_xor_b64 exec, exec, s[8:9]
	s_cbranch_execnz .LBB305_780
.LBB305_543:                            ;   in Loop: Header=BB305_491 Depth=1
	s_or_b64 exec, exec, s[8:9]
	v_mov_b32_e32 v10, v25
	s_and_saveexec_b64 s[8:9], s[0:1]
	s_cbranch_execz .LBB305_545
.LBB305_544:                            ;   in Loop: Header=BB305_491 Depth=1
	v_and_b32_e32 v4, 7, v25
	v_ffbh_u32_e32 v4, v4
	v_bfe_u32 v5, v25, 3, 4
	v_min_u32_e32 v4, 32, v4
	v_subrev_u32_e32 v6, 28, v4
	v_sub_u32_e32 v4, 29, v4
	v_cmp_eq_u32_e64 s[0:1], 0, v5
	s_nop 1
	v_cndmask_b32_e64 v16, v5, v4, s[0:1]
	v_cndmask_b32_e64 v4, 0, v6, s[0:1]
	v_lshlrev_b64 v[4:5], v4, v[10:11]
	v_lshlrev_b32_e32 v5, 8, v25
	v_lshl_add_u32 v6, v16, 10, v39
	v_lshlrev_b32_e32 v4, 7, v4
	v_and_or_b32 v5, v5, s17, v6
	v_and_or_b32 v4, v4, s22, v5
	v_cvt_f32_f16_e32 v4, v4
.LBB305_545:                            ;   in Loop: Header=BB305_491 Depth=1
	s_or_b64 exec, exec, s[8:9]
	v_lshrrev_b16_e32 v10, 8, v10
	v_cmp_lt_i16_e64 s[0:1], s3, v10
	s_mov_b64 s[8:9], 0
                                        ; implicit-def: $sgpr26
	s_and_saveexec_b64 s[12:13], s[0:1]
	s_xor_b64 s[12:13], exec, s[12:13]
	s_cbranch_execnz .LBB305_781
; %bb.546:                              ;   in Loop: Header=BB305_491 Depth=1
	s_or_saveexec_b64 s[12:13], s[12:13]
	v_mov_b32_e32 v5, s26
	s_xor_b64 exec, exec, s[12:13]
	s_cbranch_execnz .LBB305_784
.LBB305_547:                            ;   in Loop: Header=BB305_491 Depth=1
	s_or_b64 exec, exec, s[12:13]
	s_and_saveexec_b64 s[12:13], s[8:9]
	s_cbranch_execz .LBB305_549
.LBB305_548:                            ;   in Loop: Header=BB305_491 Depth=1
	v_and_b32_e32 v5, 7, v10
	v_ffbh_u32_e32 v16, v5
	v_bfe_u32 v6, v10, 3, 4
	v_min_u32_e32 v16, 32, v16
	v_subrev_u32_e32 v17, 28, v16
	v_sub_u32_e32 v16, 29, v16
	v_cmp_eq_u32_e64 s[0:1], 0, v6
	v_lshlrev_b64 v[26:27], v17, v[10:11]
	v_and_b32_e32 v17, 7, v26
	v_cndmask_b32_e64 v6, v6, v16, s[0:1]
	v_lshlrev_b32_e32 v10, 8, v10
	v_lshl_add_u32 v6, v6, 10, v39
	v_cndmask_b32_e64 v5, v5, v17, s[0:1]
	v_and_or_b32 v6, v10, s17, v6
	v_lshl_or_b32 v5, v5, 7, v6
	v_cvt_f32_f16_e32 v5, v5
.LBB305_549:                            ;   in Loop: Header=BB305_491 Depth=1
	s_or_b64 exec, exec, s[12:13]
	v_lshrrev_b32_e32 v10, 16, v25
	v_cmp_gt_i16_sdwa s[8:9], v10, s3 src0_sel:BYTE_0 src1_sel:DWORD
	s_mov_b64 s[0:1], 0
                                        ; implicit-def: $sgpr20
	s_and_saveexec_b64 s[12:13], s[8:9]
	s_xor_b64 s[8:9], exec, s[12:13]
	s_cbranch_execnz .LBB305_785
; %bb.550:                              ;   in Loop: Header=BB305_491 Depth=1
	s_or_saveexec_b64 s[8:9], s[8:9]
	v_mov_b32_e32 v6, s20
	s_xor_b64 exec, exec, s[8:9]
	s_cbranch_execnz .LBB305_788
.LBB305_551:                            ;   in Loop: Header=BB305_491 Depth=1
	s_or_b64 exec, exec, s[8:9]
	s_and_saveexec_b64 s[8:9], s[0:1]
	s_cbranch_execz .LBB305_553
.LBB305_552:                            ;   in Loop: Header=BB305_491 Depth=1
	v_bfe_u32 v6, v25, 16, 3
	v_ffbh_u32_e32 v17, v6
	v_bfe_u32 v16, v25, 19, 4
	v_min_u32_e32 v17, 32, v17
	v_subrev_u32_e32 v22, 28, v17
	v_sub_u32_e32 v17, 29, v17
	v_cmp_eq_u32_e64 s[0:1], 0, v16
	v_lshlrev_b64 v[26:27], v22, v[10:11]
	v_and_b32_e32 v22, 7, v26
	v_cndmask_b32_e64 v16, v16, v17, s[0:1]
	v_lshlrev_b32_e32 v10, 8, v10
	v_lshl_add_u32 v16, v16, 10, v39
	v_cndmask_b32_e64 v6, v6, v22, s[0:1]
	v_and_or_b32 v10, v10, s17, v16
	v_lshl_or_b32 v6, v6, 7, v10
	v_cvt_f32_f16_e32 v6, v6
.LBB305_553:                            ;   in Loop: Header=BB305_491 Depth=1
	s_or_b64 exec, exec, s[8:9]
	v_lshrrev_b32_e32 v10, 24, v25
	v_cmp_lt_i16_e64 s[0:1], s3, v10
	s_mov_b64 s[8:9], 0
                                        ; implicit-def: $sgpr26
	s_and_saveexec_b64 s[12:13], s[0:1]
	s_xor_b64 s[12:13], exec, s[12:13]
	s_cbranch_execnz .LBB305_789
; %bb.554:                              ;   in Loop: Header=BB305_491 Depth=1
	s_or_saveexec_b64 s[12:13], s[12:13]
	v_mov_b32_e32 v22, s26
	s_xor_b64 exec, exec, s[12:13]
	s_cbranch_execnz .LBB305_792
.LBB305_555:                            ;   in Loop: Header=BB305_491 Depth=1
	s_or_b64 exec, exec, s[12:13]
	s_and_saveexec_b64 s[12:13], s[8:9]
	s_cbranch_execz .LBB305_557
.LBB305_556:                            ;   in Loop: Header=BB305_491 Depth=1
	v_bfe_u32 v16, v25, 24, 3
	v_ffbh_u32_e32 v22, v16
	v_bfe_u32 v17, v25, 27, 4
	v_min_u32_e32 v22, 32, v22
	v_subrev_u32_e32 v24, 28, v22
	v_sub_u32_e32 v22, 29, v22
	v_cmp_eq_u32_e64 s[0:1], 0, v17
	v_lshlrev_b64 v[24:25], v24, v[10:11]
	v_and_b32_e32 v24, 7, v24
	v_cndmask_b32_e64 v17, v17, v22, s[0:1]
	v_lshlrev_b32_e32 v10, 8, v10
	v_lshl_add_u32 v17, v17, 10, v39
	v_cndmask_b32_e64 v16, v16, v24, s[0:1]
	v_and_or_b32 v10, v10, s17, v17
	v_lshl_or_b32 v10, v16, 7, v10
	v_cvt_f32_f16_e32 v22, v10
.LBB305_557:                            ;   in Loop: Header=BB305_491 Depth=1
	s_or_b64 exec, exec, s[12:13]
	v_pk_mul_f32 v[24:25], v[12:13], v[30:31] op_sel_hi:[0,1]
	v_pk_mul_f32 v[26:27], v[12:13], v[28:29] op_sel_hi:[0,1]
	v_cvt_f16_f32_e32 v10, v25
	v_cvt_f16_f32_e32 v16, v24
	;; [unrolled: 1-line block ×4, first 2 shown]
	v_fma_mixlo_f16 v5, v12, v5, 0
	v_lshlrev_b32_e32 v5, 16, v5
	v_fma_mixlo_f16 v4, v12, v4, 0
	v_or_b32_sdwa v4, v5, v4 dst_sel:DWORD dst_unused:UNUSED_PAD src0_sel:DWORD src1_sel:WORD_0
	v_fma_mixlo_f16 v5, v12, v22, 0
	v_pack_b32_f16 v16, v16, v10
	v_pack_b32_f16 v17, v24, v17
	v_fma_mixlo_f16 v6, v12, v6, 0
	v_lshlrev_b32_e32 v5, 16, v5
	v_perm_b32 v10, v17, v16, s23
	v_perm_b32 v17, v17, v16, s24
	v_or_b32_sdwa v5, v5, v6 dst_sel:DWORD dst_unused:UNUSED_PAD src0_sel:DWORD src1_sel:WORD_0
	s_and_saveexec_b64 s[8:9], vcc
	s_cbranch_execz .LBB305_559
; %bb.558:                              ;   in Loop: Header=BB305_491 Depth=1
	v_lshrrev_b32_e32 v12, 16, v17
	v_cmp_lt_i32_e64 s[0:1], v54, v13
	v_accvgpr_read_b32 v22, a8
	v_lshrrev_b32_e32 v5, 16, v5
	v_cndmask_b32_e64 v12, 0, v12, s[0:1]
	v_cmp_lt_i32_e64 s[0:1], v7, v22
	s_nop 1
	v_cndmask_b32_e64 v16, 0, v17, s[0:1]
	v_perm_b32 v17, v12, v16, s25
	v_lshrrev_b32_e32 v12, 16, v10
	v_cmp_lt_i32_e64 s[0:1], v53, v13
	s_nop 1
	v_cndmask_b32_e64 v12, 0, v12, s[0:1]
	v_cmp_lt_i32_e64 s[0:1], v52, v22
	s_nop 1
	v_cndmask_b32_e64 v10, 0, v10, s[0:1]
	v_perm_b32 v10, v12, v10, s25
	v_lshrrev_b32_e32 v12, 16, v4
	v_cmp_lt_i32_e64 s[0:1], v51, v13
	s_nop 1
	v_cndmask_b32_e64 v12, 0, v12, s[0:1]
	v_cmp_lt_i32_e64 s[0:1], v50, v22
	s_nop 1
	v_cndmask_b32_e64 v4, 0, v4, s[0:1]
	v_cmp_lt_i32_e64 s[0:1], v49, v13
	v_perm_b32 v4, v12, v4, s25
	s_nop 0
	v_cndmask_b32_e64 v5, 0, v5, s[0:1]
	v_cmp_lt_i32_e64 s[0:1], v48, v22
	s_nop 1
	v_cndmask_b32_e64 v6, 0, v6, s[0:1]
	v_perm_b32 v5, v5, v6, s25
.LBB305_559:                            ;   in Loop: Header=BB305_491 Depth=1
	s_or_b64 exec, exec, s[8:9]
	;;#ASMSTART
	v_pk_mul_f16 v6, v55, v17;

	;;#ASMEND
	;;#ASMSTART
	v_pk_mul_f16 v10, v40, v10;

	;;#ASMEND
	;; [unrolled: 4-line block ×4, first 2 shown]
	s_mov_b64 s[0:1], 0
	;;#ASMSTART
	v_pk_add_f16 v6, v6, v10;

	;;#ASMEND
                                        ; implicit-def: $sgpr20
	s_nop 0
	;;#ASMSTART
	v_pk_add_f16 v4, v6, v4;

	;;#ASMEND
	s_nop 0
	;;#ASMSTART
	v_pk_add_f16 v4, v4, v5;

	;;#ASMEND
	s_nop 0
	v_lshrrev_b32_e32 v5, 16, v4
	v_and_b32_e32 v4, 0xffff, v4
	;;#ASMSTART
	v_cvt_f32_f16 v45, v4;
	;;#ASMEND
	;;#ASMSTART
	v_cvt_f32_f16 v46, v5;
	;;#ASMEND
	v_accvgpr_read_b32 v4, a4
	flat_load_dwordx2 v[24:25], v[18:19] offset:1024
	v_accvgpr_read_b32 v5, a5
	flat_load_dword v12, v[4:5]
	s_waitcnt vmcnt(0) lgkmcnt(0)
	v_cmp_gt_i16_sdwa s[8:9], v24, s3 src0_sel:BYTE_0 src1_sel:DWORD
	s_and_saveexec_b64 s[12:13], s[8:9]
	s_xor_b64 s[8:9], exec, s[12:13]
	s_cbranch_execnz .LBB305_793
; %bb.560:                              ;   in Loop: Header=BB305_491 Depth=1
	s_or_saveexec_b64 s[8:9], s[8:9]
	v_mov_b32_e32 v28, s20
	s_xor_b64 exec, exec, s[8:9]
	s_cbranch_execnz .LBB305_796
.LBB305_561:                            ;   in Loop: Header=BB305_491 Depth=1
	s_or_b64 exec, exec, s[8:9]
	s_and_saveexec_b64 s[8:9], s[0:1]
	s_cbranch_execz .LBB305_563
.LBB305_562:                            ;   in Loop: Header=BB305_491 Depth=1
	v_and_b32_e32 v4, 7, v24
	v_ffbh_u32_e32 v4, v4
	v_bfe_u32 v5, v24, 3, 4
	v_min_u32_e32 v4, 32, v4
	v_subrev_u32_e32 v6, 28, v4
	v_sub_u32_e32 v4, 29, v4
	v_cmp_eq_u32_e64 s[0:1], 0, v5
	s_nop 1
	v_cndmask_b32_e64 v10, v5, v4, s[0:1]
	v_cndmask_b32_e64 v4, 0, v6, s[0:1]
	v_lshlrev_b64 v[4:5], v4, v[24:25]
	v_lshlrev_b32_e32 v5, 8, v24
	v_lshl_add_u32 v6, v10, 10, v39
	v_lshlrev_b32_e32 v4, 7, v4
	v_and_or_b32 v5, v5, s17, v6
	v_and_or_b32 v4, v4, s22, v5
	v_cvt_f32_f16_e32 v28, v4
.LBB305_563:                            ;   in Loop: Header=BB305_491 Depth=1
	s_or_b64 exec, exec, s[8:9]
	v_lshrrev_b16_e32 v10, 8, v24
	v_cmp_lt_i16_e64 s[0:1], s3, v10
	s_mov_b64 s[8:9], 0
                                        ; implicit-def: $sgpr26
	s_and_saveexec_b64 s[12:13], s[0:1]
	s_xor_b64 s[12:13], exec, s[12:13]
	s_cbranch_execnz .LBB305_797
; %bb.564:                              ;   in Loop: Header=BB305_491 Depth=1
	s_or_saveexec_b64 s[12:13], s[12:13]
	v_mov_b32_e32 v30, s26
	s_xor_b64 exec, exec, s[12:13]
	s_cbranch_execnz .LBB305_800
.LBB305_565:                            ;   in Loop: Header=BB305_491 Depth=1
	s_or_b64 exec, exec, s[12:13]
	s_and_saveexec_b64 s[12:13], s[8:9]
	s_cbranch_execz .LBB305_567
.LBB305_566:                            ;   in Loop: Header=BB305_491 Depth=1
	v_and_b32_e32 v6, 7, v10
	v_ffbh_u32_e32 v4, v6
	v_min_u32_e32 v17, 32, v4
	v_subrev_u32_e32 v4, 28, v17
	v_bfe_u32 v16, v10, 3, 4
	v_lshlrev_b64 v[4:5], v4, v[10:11]
	v_sub_u32_e32 v5, 29, v17
	v_cmp_eq_u32_e64 s[0:1], 0, v16
	v_and_b32_e32 v4, 7, v4
	s_nop 0
	v_cndmask_b32_e64 v5, v16, v5, s[0:1]
	v_cndmask_b32_e64 v4, v6, v4, s[0:1]
	v_lshlrev_b32_e32 v6, 8, v10
	v_lshl_add_u32 v5, v5, 10, v39
	v_and_or_b32 v5, v6, s17, v5
	v_lshl_or_b32 v4, v4, 7, v5
	v_cvt_f32_f16_e32 v30, v4
.LBB305_567:                            ;   in Loop: Header=BB305_491 Depth=1
	s_or_b64 exec, exec, s[12:13]
	v_lshrrev_b32_e32 v10, 16, v24
	v_cmp_gt_i16_sdwa s[8:9], v10, s3 src0_sel:BYTE_0 src1_sel:DWORD
	s_mov_b64 s[0:1], 0
                                        ; implicit-def: $sgpr20
	s_and_saveexec_b64 s[12:13], s[8:9]
	s_xor_b64 s[8:9], exec, s[12:13]
	s_cbranch_execnz .LBB305_801
; %bb.568:                              ;   in Loop: Header=BB305_491 Depth=1
	s_or_saveexec_b64 s[8:9], s[8:9]
	v_mov_b32_e32 v29, s20
	s_xor_b64 exec, exec, s[8:9]
	s_cbranch_execnz .LBB305_804
.LBB305_569:                            ;   in Loop: Header=BB305_491 Depth=1
	s_or_b64 exec, exec, s[8:9]
	s_and_saveexec_b64 s[8:9], s[0:1]
	s_cbranch_execz .LBB305_571
.LBB305_570:                            ;   in Loop: Header=BB305_491 Depth=1
	v_bfe_u32 v6, v24, 16, 3
	v_ffbh_u32_e32 v4, v6
	v_min_u32_e32 v17, 32, v4
	v_subrev_u32_e32 v4, 28, v17
	v_bfe_u32 v16, v24, 19, 4
	v_lshlrev_b64 v[4:5], v4, v[10:11]
	v_sub_u32_e32 v5, 29, v17
	v_cmp_eq_u32_e64 s[0:1], 0, v16
	v_and_b32_e32 v4, 7, v4
	s_nop 0
	v_cndmask_b32_e64 v5, v16, v5, s[0:1]
	v_cndmask_b32_e64 v4, v6, v4, s[0:1]
	v_lshlrev_b32_e32 v6, 8, v10
	v_lshl_add_u32 v5, v5, 10, v39
	v_and_or_b32 v5, v6, s17, v5
	v_lshl_or_b32 v4, v4, 7, v5
	v_cvt_f32_f16_e32 v29, v4
.LBB305_571:                            ;   in Loop: Header=BB305_491 Depth=1
	s_or_b64 exec, exec, s[8:9]
	v_lshrrev_b32_e32 v10, 24, v24
	v_cmp_lt_i16_e64 s[0:1], s3, v10
	s_mov_b64 s[8:9], 0
                                        ; implicit-def: $sgpr26
	s_and_saveexec_b64 s[12:13], s[0:1]
	s_xor_b64 s[12:13], exec, s[12:13]
	s_cbranch_execnz .LBB305_805
; %bb.572:                              ;   in Loop: Header=BB305_491 Depth=1
	s_or_saveexec_b64 s[12:13], s[12:13]
	v_mov_b32_e32 v31, s26
	s_xor_b64 exec, exec, s[12:13]
	s_cbranch_execnz .LBB305_808
.LBB305_573:                            ;   in Loop: Header=BB305_491 Depth=1
	s_or_b64 exec, exec, s[12:13]
	s_and_saveexec_b64 s[12:13], s[8:9]
	s_cbranch_execz .LBB305_575
.LBB305_574:                            ;   in Loop: Header=BB305_491 Depth=1
	v_bfe_u32 v6, v24, 24, 3
	v_ffbh_u32_e32 v4, v6
	v_min_u32_e32 v17, 32, v4
	v_subrev_u32_e32 v4, 28, v17
	v_bfe_u32 v16, v24, 27, 4
	v_lshlrev_b64 v[4:5], v4, v[10:11]
	v_sub_u32_e32 v5, 29, v17
	v_cmp_eq_u32_e64 s[0:1], 0, v16
	v_and_b32_e32 v4, 7, v4
	s_nop 0
	v_cndmask_b32_e64 v5, v16, v5, s[0:1]
	v_cndmask_b32_e64 v4, v6, v4, s[0:1]
	v_lshlrev_b32_e32 v6, 8, v10
	v_lshl_add_u32 v5, v5, 10, v39
	v_and_or_b32 v5, v6, s17, v5
	v_lshl_or_b32 v4, v4, 7, v5
	v_cvt_f32_f16_e32 v31, v4
.LBB305_575:                            ;   in Loop: Header=BB305_491 Depth=1
	s_or_b64 exec, exec, s[12:13]
	v_cmp_gt_i16_sdwa s[8:9], v25, s3 src0_sel:BYTE_0 src1_sel:DWORD
	s_mov_b64 s[0:1], 0
                                        ; implicit-def: $sgpr20
	s_and_saveexec_b64 s[12:13], s[8:9]
	s_xor_b64 s[8:9], exec, s[12:13]
	s_cbranch_execnz .LBB305_809
; %bb.576:                              ;   in Loop: Header=BB305_491 Depth=1
	s_or_saveexec_b64 s[8:9], s[8:9]
	v_mov_b32_e32 v4, s20
	s_xor_b64 exec, exec, s[8:9]
	s_cbranch_execnz .LBB305_812
.LBB305_577:                            ;   in Loop: Header=BB305_491 Depth=1
	s_or_b64 exec, exec, s[8:9]
	v_mov_b32_e32 v10, v25
	s_and_saveexec_b64 s[8:9], s[0:1]
	s_cbranch_execz .LBB305_579
.LBB305_578:                            ;   in Loop: Header=BB305_491 Depth=1
	v_and_b32_e32 v4, 7, v25
	v_ffbh_u32_e32 v4, v4
	v_bfe_u32 v5, v25, 3, 4
	v_min_u32_e32 v4, 32, v4
	v_subrev_u32_e32 v6, 28, v4
	v_sub_u32_e32 v4, 29, v4
	v_cmp_eq_u32_e64 s[0:1], 0, v5
	s_nop 1
	v_cndmask_b32_e64 v16, v5, v4, s[0:1]
	v_cndmask_b32_e64 v4, 0, v6, s[0:1]
	v_lshlrev_b64 v[4:5], v4, v[10:11]
	v_lshlrev_b32_e32 v5, 8, v25
	v_lshl_add_u32 v6, v16, 10, v39
	v_lshlrev_b32_e32 v4, 7, v4
	v_and_or_b32 v5, v5, s17, v6
	v_and_or_b32 v4, v4, s22, v5
	v_cvt_f32_f16_e32 v4, v4
.LBB305_579:                            ;   in Loop: Header=BB305_491 Depth=1
	s_or_b64 exec, exec, s[8:9]
	v_lshrrev_b16_e32 v10, 8, v10
	v_cmp_lt_i16_e64 s[0:1], s3, v10
	s_mov_b64 s[8:9], 0
                                        ; implicit-def: $sgpr26
	s_and_saveexec_b64 s[12:13], s[0:1]
	s_xor_b64 s[12:13], exec, s[12:13]
	s_cbranch_execnz .LBB305_813
; %bb.580:                              ;   in Loop: Header=BB305_491 Depth=1
	s_or_saveexec_b64 s[12:13], s[12:13]
	v_mov_b32_e32 v5, s26
	s_xor_b64 exec, exec, s[12:13]
	s_cbranch_execnz .LBB305_816
.LBB305_581:                            ;   in Loop: Header=BB305_491 Depth=1
	s_or_b64 exec, exec, s[12:13]
	s_and_saveexec_b64 s[12:13], s[8:9]
	s_cbranch_execz .LBB305_583
.LBB305_582:                            ;   in Loop: Header=BB305_491 Depth=1
	v_and_b32_e32 v5, 7, v10
	v_ffbh_u32_e32 v16, v5
	v_bfe_u32 v6, v10, 3, 4
	v_min_u32_e32 v16, 32, v16
	v_subrev_u32_e32 v17, 28, v16
	v_sub_u32_e32 v16, 29, v16
	v_cmp_eq_u32_e64 s[0:1], 0, v6
	v_lshlrev_b64 v[26:27], v17, v[10:11]
	v_and_b32_e32 v17, 7, v26
	v_cndmask_b32_e64 v6, v6, v16, s[0:1]
	v_lshlrev_b32_e32 v10, 8, v10
	v_lshl_add_u32 v6, v6, 10, v39
	v_cndmask_b32_e64 v5, v5, v17, s[0:1]
	v_and_or_b32 v6, v10, s17, v6
	v_lshl_or_b32 v5, v5, 7, v6
	v_cvt_f32_f16_e32 v5, v5
.LBB305_583:                            ;   in Loop: Header=BB305_491 Depth=1
	s_or_b64 exec, exec, s[12:13]
	v_lshrrev_b32_e32 v10, 16, v25
	v_cmp_gt_i16_sdwa s[8:9], v10, s3 src0_sel:BYTE_0 src1_sel:DWORD
	s_mov_b64 s[0:1], 0
                                        ; implicit-def: $sgpr20
	s_and_saveexec_b64 s[12:13], s[8:9]
	s_xor_b64 s[8:9], exec, s[12:13]
	s_cbranch_execnz .LBB305_817
; %bb.584:                              ;   in Loop: Header=BB305_491 Depth=1
	s_or_saveexec_b64 s[8:9], s[8:9]
	v_mov_b32_e32 v6, s20
	s_xor_b64 exec, exec, s[8:9]
	s_cbranch_execnz .LBB305_820
.LBB305_585:                            ;   in Loop: Header=BB305_491 Depth=1
	s_or_b64 exec, exec, s[8:9]
	s_and_saveexec_b64 s[8:9], s[0:1]
	s_cbranch_execz .LBB305_587
.LBB305_586:                            ;   in Loop: Header=BB305_491 Depth=1
	v_bfe_u32 v6, v25, 16, 3
	v_ffbh_u32_e32 v17, v6
	v_bfe_u32 v16, v25, 19, 4
	v_min_u32_e32 v17, 32, v17
	v_subrev_u32_e32 v22, 28, v17
	v_sub_u32_e32 v17, 29, v17
	v_cmp_eq_u32_e64 s[0:1], 0, v16
	v_lshlrev_b64 v[26:27], v22, v[10:11]
	v_and_b32_e32 v22, 7, v26
	v_cndmask_b32_e64 v16, v16, v17, s[0:1]
	v_lshlrev_b32_e32 v10, 8, v10
	v_lshl_add_u32 v16, v16, 10, v39
	v_cndmask_b32_e64 v6, v6, v22, s[0:1]
	v_and_or_b32 v10, v10, s17, v16
	v_lshl_or_b32 v6, v6, 7, v10
	v_cvt_f32_f16_e32 v6, v6
.LBB305_587:                            ;   in Loop: Header=BB305_491 Depth=1
	s_or_b64 exec, exec, s[8:9]
	v_lshrrev_b32_e32 v10, 24, v25
	v_cmp_lt_i16_e64 s[0:1], s3, v10
	s_mov_b64 s[8:9], 0
                                        ; implicit-def: $sgpr26
	s_and_saveexec_b64 s[12:13], s[0:1]
	s_xor_b64 s[12:13], exec, s[12:13]
	s_cbranch_execnz .LBB305_821
; %bb.588:                              ;   in Loop: Header=BB305_491 Depth=1
	s_or_saveexec_b64 s[12:13], s[12:13]
	v_mov_b32_e32 v22, s26
	s_xor_b64 exec, exec, s[12:13]
	s_cbranch_execnz .LBB305_824
.LBB305_589:                            ;   in Loop: Header=BB305_491 Depth=1
	s_or_b64 exec, exec, s[12:13]
	s_and_saveexec_b64 s[12:13], s[8:9]
	s_cbranch_execz .LBB305_591
.LBB305_590:                            ;   in Loop: Header=BB305_491 Depth=1
	v_bfe_u32 v16, v25, 24, 3
	v_ffbh_u32_e32 v22, v16
	v_bfe_u32 v17, v25, 27, 4
	v_min_u32_e32 v22, 32, v22
	v_subrev_u32_e32 v24, 28, v22
	v_sub_u32_e32 v22, 29, v22
	v_cmp_eq_u32_e64 s[0:1], 0, v17
	v_lshlrev_b64 v[24:25], v24, v[10:11]
	v_and_b32_e32 v24, 7, v24
	v_cndmask_b32_e64 v17, v17, v22, s[0:1]
	v_lshlrev_b32_e32 v10, 8, v10
	v_lshl_add_u32 v17, v17, 10, v39
	v_cndmask_b32_e64 v16, v16, v24, s[0:1]
	v_and_or_b32 v10, v10, s17, v17
	v_lshl_or_b32 v10, v16, 7, v10
	v_cvt_f32_f16_e32 v22, v10
.LBB305_591:                            ;   in Loop: Header=BB305_491 Depth=1
	s_or_b64 exec, exec, s[12:13]
	v_pk_mul_f32 v[24:25], v[12:13], v[30:31] op_sel_hi:[0,1]
	v_pk_mul_f32 v[26:27], v[12:13], v[28:29] op_sel_hi:[0,1]
	v_cvt_f16_f32_e32 v10, v25
	v_cvt_f16_f32_e32 v16, v24
	;; [unrolled: 1-line block ×4, first 2 shown]
	v_fma_mixlo_f16 v5, v12, v5, 0
	v_lshlrev_b32_e32 v5, 16, v5
	v_fma_mixlo_f16 v4, v12, v4, 0
	v_or_b32_sdwa v4, v5, v4 dst_sel:DWORD dst_unused:UNUSED_PAD src0_sel:DWORD src1_sel:WORD_0
	v_fma_mixlo_f16 v5, v12, v22, 0
	v_pack_b32_f16 v16, v16, v10
	v_pack_b32_f16 v17, v24, v17
	v_fma_mixlo_f16 v6, v12, v6, 0
	v_lshlrev_b32_e32 v5, 16, v5
	v_perm_b32 v10, v17, v16, s23
	v_perm_b32 v17, v17, v16, s24
	v_or_b32_sdwa v5, v5, v6 dst_sel:DWORD dst_unused:UNUSED_PAD src0_sel:DWORD src1_sel:WORD_0
	s_and_saveexec_b64 s[8:9], vcc
	s_cbranch_execz .LBB305_593
; %bb.592:                              ;   in Loop: Header=BB305_491 Depth=1
	v_lshrrev_b32_e32 v12, 16, v17
	v_cmp_lt_i32_e64 s[0:1], v54, v13
	v_accvgpr_read_b32 v22, a8
	v_lshrrev_b32_e32 v5, 16, v5
	v_cndmask_b32_e64 v12, 0, v12, s[0:1]
	v_cmp_lt_i32_e64 s[0:1], v7, v22
	s_nop 1
	v_cndmask_b32_e64 v16, 0, v17, s[0:1]
	v_perm_b32 v17, v12, v16, s25
	v_lshrrev_b32_e32 v12, 16, v10
	v_cmp_lt_i32_e64 s[0:1], v53, v13
	s_nop 1
	v_cndmask_b32_e64 v12, 0, v12, s[0:1]
	v_cmp_lt_i32_e64 s[0:1], v52, v22
	s_nop 1
	v_cndmask_b32_e64 v10, 0, v10, s[0:1]
	v_perm_b32 v10, v12, v10, s25
	v_lshrrev_b32_e32 v12, 16, v4
	v_cmp_lt_i32_e64 s[0:1], v51, v13
	s_nop 1
	v_cndmask_b32_e64 v12, 0, v12, s[0:1]
	v_cmp_lt_i32_e64 s[0:1], v50, v22
	s_nop 1
	v_cndmask_b32_e64 v4, 0, v4, s[0:1]
	v_cmp_lt_i32_e64 s[0:1], v49, v13
	v_perm_b32 v4, v12, v4, s25
	s_nop 0
	v_cndmask_b32_e64 v5, 0, v5, s[0:1]
	v_cmp_lt_i32_e64 s[0:1], v48, v22
	s_nop 1
	v_cndmask_b32_e64 v6, 0, v6, s[0:1]
	v_perm_b32 v5, v5, v6, s25
.LBB305_593:                            ;   in Loop: Header=BB305_491 Depth=1
	s_or_b64 exec, exec, s[8:9]
	;;#ASMSTART
	v_pk_mul_f16 v6, v55, v17;

	;;#ASMEND
	;;#ASMSTART
	v_pk_mul_f16 v10, v40, v10;

	;;#ASMEND
	;; [unrolled: 4-line block ×4, first 2 shown]
	v_accvgpr_read_b32 v17, a5
	;;#ASMSTART
	v_pk_add_f16 v6, v6, v10;

	;;#ASMEND
	v_accvgpr_read_b32 v16, a4
	;;#ASMSTART
	v_pk_add_f16 v4, v6, v4;

	;;#ASMEND
	s_mov_b64 s[0:1], 0
	;;#ASMSTART
	v_pk_add_f16 v4, v4, v5;

	;;#ASMEND
                                        ; implicit-def: $sgpr20
	s_nop 0
	v_lshrrev_b32_e32 v5, 16, v4
	v_and_b32_e32 v4, 0xffff, v4
	;;#ASMSTART
	v_cvt_f32_f16 v4, v4;
	;;#ASMEND
	;;#ASMSTART
	v_cvt_f32_f16 v5, v5;
	;;#ASMEND
	flat_load_dwordx2 v[24:25], v[18:19] offset:1536
	flat_load_dword v12, v[16:17]
	s_waitcnt vmcnt(0) lgkmcnt(0)
	v_cmp_gt_i16_sdwa s[8:9], v24, s3 src0_sel:BYTE_0 src1_sel:DWORD
	s_and_saveexec_b64 s[12:13], s[8:9]
	s_xor_b64 s[8:9], exec, s[12:13]
	s_cbranch_execnz .LBB305_825
; %bb.594:                              ;   in Loop: Header=BB305_491 Depth=1
	s_or_saveexec_b64 s[8:9], s[8:9]
	v_mov_b32_e32 v28, s20
	s_xor_b64 exec, exec, s[8:9]
	s_cbranch_execnz .LBB305_828
.LBB305_595:                            ;   in Loop: Header=BB305_491 Depth=1
	s_or_b64 exec, exec, s[8:9]
	s_and_saveexec_b64 s[8:9], s[0:1]
	s_cbranch_execz .LBB305_597
.LBB305_596:                            ;   in Loop: Header=BB305_491 Depth=1
	v_and_b32_e32 v6, 7, v24
	v_ffbh_u32_e32 v6, v6
	v_bfe_u32 v10, v24, 3, 4
	v_min_u32_e32 v6, 32, v6
	v_subrev_u32_e32 v16, 28, v6
	v_sub_u32_e32 v6, 29, v6
	v_cmp_eq_u32_e64 s[0:1], 0, v10
	s_nop 1
	v_cndmask_b32_e64 v6, v10, v6, s[0:1]
	v_cndmask_b32_e64 v10, 0, v16, s[0:1]
	v_lshlrev_b64 v[26:27], v10, v[24:25]
	v_lshlrev_b32_e32 v16, 8, v24
	v_lshl_add_u32 v6, v6, 10, v39
	v_lshlrev_b32_e32 v10, 7, v26
	v_and_or_b32 v6, v16, s17, v6
	v_and_or_b32 v6, v10, s22, v6
	v_cvt_f32_f16_e32 v28, v6
.LBB305_597:                            ;   in Loop: Header=BB305_491 Depth=1
	s_or_b64 exec, exec, s[8:9]
	v_lshrrev_b16_e32 v10, 8, v24
	v_cmp_lt_i16_e64 s[0:1], s3, v10
	s_mov_b64 s[8:9], 0
                                        ; implicit-def: $sgpr26
	s_and_saveexec_b64 s[12:13], s[0:1]
	s_xor_b64 s[12:13], exec, s[12:13]
	s_cbranch_execnz .LBB305_829
; %bb.598:                              ;   in Loop: Header=BB305_491 Depth=1
	s_or_saveexec_b64 s[12:13], s[12:13]
	v_mov_b32_e32 v30, s26
	s_xor_b64 exec, exec, s[12:13]
	s_cbranch_execnz .LBB305_832
.LBB305_599:                            ;   in Loop: Header=BB305_491 Depth=1
	s_or_b64 exec, exec, s[12:13]
	s_and_saveexec_b64 s[12:13], s[8:9]
	s_cbranch_execz .LBB305_601
.LBB305_600:                            ;   in Loop: Header=BB305_491 Depth=1
	v_and_b32_e32 v6, 7, v10
	v_ffbh_u32_e32 v17, v6
	v_bfe_u32 v16, v10, 3, 4
	v_min_u32_e32 v17, 32, v17
	v_subrev_u32_e32 v22, 28, v17
	v_sub_u32_e32 v17, 29, v17
	v_cmp_eq_u32_e64 s[0:1], 0, v16
	v_lshlrev_b64 v[26:27], v22, v[10:11]
	v_and_b32_e32 v22, 7, v26
	v_cndmask_b32_e64 v16, v16, v17, s[0:1]
	v_lshlrev_b32_e32 v10, 8, v10
	v_lshl_add_u32 v16, v16, 10, v39
	v_cndmask_b32_e64 v6, v6, v22, s[0:1]
	v_and_or_b32 v10, v10, s17, v16
	v_lshl_or_b32 v6, v6, 7, v10
	v_cvt_f32_f16_e32 v30, v6
.LBB305_601:                            ;   in Loop: Header=BB305_491 Depth=1
	s_or_b64 exec, exec, s[12:13]
	v_lshrrev_b32_e32 v10, 16, v24
	v_cmp_gt_i16_sdwa s[8:9], v10, s3 src0_sel:BYTE_0 src1_sel:DWORD
	s_mov_b64 s[0:1], 0
                                        ; implicit-def: $sgpr20
	s_and_saveexec_b64 s[12:13], s[8:9]
	s_xor_b64 s[8:9], exec, s[12:13]
	s_cbranch_execnz .LBB305_833
; %bb.602:                              ;   in Loop: Header=BB305_491 Depth=1
	s_or_saveexec_b64 s[8:9], s[8:9]
	v_mov_b32_e32 v29, s20
	s_xor_b64 exec, exec, s[8:9]
	s_cbranch_execnz .LBB305_836
.LBB305_603:                            ;   in Loop: Header=BB305_491 Depth=1
	s_or_b64 exec, exec, s[8:9]
	s_and_saveexec_b64 s[8:9], s[0:1]
	s_cbranch_execz .LBB305_605
.LBB305_604:                            ;   in Loop: Header=BB305_491 Depth=1
	v_bfe_u32 v6, v24, 16, 3
	v_ffbh_u32_e32 v17, v6
	v_bfe_u32 v16, v24, 19, 4
	v_min_u32_e32 v17, 32, v17
	v_subrev_u32_e32 v22, 28, v17
	v_sub_u32_e32 v17, 29, v17
	v_cmp_eq_u32_e64 s[0:1], 0, v16
	v_lshlrev_b64 v[26:27], v22, v[10:11]
	v_and_b32_e32 v22, 7, v26
	v_cndmask_b32_e64 v16, v16, v17, s[0:1]
	v_lshlrev_b32_e32 v10, 8, v10
	v_lshl_add_u32 v16, v16, 10, v39
	v_cndmask_b32_e64 v6, v6, v22, s[0:1]
	v_and_or_b32 v10, v10, s17, v16
	v_lshl_or_b32 v6, v6, 7, v10
	v_cvt_f32_f16_e32 v29, v6
.LBB305_605:                            ;   in Loop: Header=BB305_491 Depth=1
	s_or_b64 exec, exec, s[8:9]
	v_lshrrev_b32_e32 v10, 24, v24
	v_cmp_lt_i16_e64 s[0:1], s3, v10
	s_mov_b64 s[8:9], 0
                                        ; implicit-def: $sgpr26
	s_and_saveexec_b64 s[12:13], s[0:1]
	s_xor_b64 s[12:13], exec, s[12:13]
	s_cbranch_execnz .LBB305_837
; %bb.606:                              ;   in Loop: Header=BB305_491 Depth=1
	s_or_saveexec_b64 s[12:13], s[12:13]
	v_mov_b32_e32 v31, s26
	s_xor_b64 exec, exec, s[12:13]
	s_cbranch_execnz .LBB305_840
.LBB305_607:                            ;   in Loop: Header=BB305_491 Depth=1
	s_or_b64 exec, exec, s[12:13]
	s_and_saveexec_b64 s[12:13], s[8:9]
	s_cbranch_execz .LBB305_609
.LBB305_608:                            ;   in Loop: Header=BB305_491 Depth=1
	v_bfe_u32 v6, v24, 24, 3
	v_ffbh_u32_e32 v17, v6
	v_bfe_u32 v16, v24, 27, 4
	v_min_u32_e32 v17, 32, v17
	v_subrev_u32_e32 v22, 28, v17
	v_sub_u32_e32 v17, 29, v17
	v_cmp_eq_u32_e64 s[0:1], 0, v16
	v_lshlrev_b64 v[26:27], v22, v[10:11]
	v_and_b32_e32 v22, 7, v26
	v_cndmask_b32_e64 v16, v16, v17, s[0:1]
	v_lshlrev_b32_e32 v10, 8, v10
	v_lshl_add_u32 v16, v16, 10, v39
	v_cndmask_b32_e64 v6, v6, v22, s[0:1]
	v_and_or_b32 v10, v10, s17, v16
	v_lshl_or_b32 v6, v6, 7, v10
	v_cvt_f32_f16_e32 v31, v6
.LBB305_609:                            ;   in Loop: Header=BB305_491 Depth=1
	s_or_b64 exec, exec, s[12:13]
	v_cmp_gt_i16_sdwa s[8:9], v25, s3 src0_sel:BYTE_0 src1_sel:DWORD
	s_mov_b64 s[0:1], 0
                                        ; implicit-def: $sgpr20
	s_and_saveexec_b64 s[12:13], s[8:9]
	s_xor_b64 s[8:9], exec, s[12:13]
	s_cbranch_execnz .LBB305_841
; %bb.610:                              ;   in Loop: Header=BB305_491 Depth=1
	s_or_saveexec_b64 s[8:9], s[8:9]
	v_mov_b32_e32 v17, s20
	s_xor_b64 exec, exec, s[8:9]
	s_cbranch_execnz .LBB305_844
.LBB305_611:                            ;   in Loop: Header=BB305_491 Depth=1
	s_or_b64 exec, exec, s[8:9]
	v_mov_b32_e32 v10, v25
	s_and_saveexec_b64 s[8:9], s[0:1]
	s_cbranch_execz .LBB305_613
.LBB305_612:                            ;   in Loop: Header=BB305_491 Depth=1
	v_and_b32_e32 v6, 7, v25
	v_ffbh_u32_e32 v6, v6
	v_bfe_u32 v16, v25, 3, 4
	v_min_u32_e32 v6, 32, v6
	v_subrev_u32_e32 v17, 28, v6
	v_sub_u32_e32 v6, 29, v6
	v_cmp_eq_u32_e64 s[0:1], 0, v16
	s_nop 1
	v_cndmask_b32_e64 v6, v16, v6, s[0:1]
	v_cndmask_b32_e64 v16, 0, v17, s[0:1]
	v_lshlrev_b64 v[26:27], v16, v[10:11]
	v_lshlrev_b32_e32 v17, 8, v25
	v_lshl_add_u32 v6, v6, 10, v39
	v_lshlrev_b32_e32 v16, 7, v26
	v_and_or_b32 v6, v17, s17, v6
	v_and_or_b32 v6, v16, s22, v6
	v_cvt_f32_f16_e32 v17, v6
.LBB305_613:                            ;   in Loop: Header=BB305_491 Depth=1
	s_or_b64 exec, exec, s[8:9]
	v_lshrrev_b16_e32 v10, 8, v10
	v_cmp_lt_i16_e64 s[0:1], s3, v10
	s_mov_b64 s[8:9], 0
                                        ; implicit-def: $sgpr26
	s_and_saveexec_b64 s[12:13], s[0:1]
	s_xor_b64 s[12:13], exec, s[12:13]
	s_cbranch_execnz .LBB305_845
; %bb.614:                              ;   in Loop: Header=BB305_491 Depth=1
	s_or_saveexec_b64 s[12:13], s[12:13]
	v_mov_b32_e32 v22, s26
	s_xor_b64 exec, exec, s[12:13]
	s_cbranch_execnz .LBB305_848
.LBB305_615:                            ;   in Loop: Header=BB305_491 Depth=1
	s_or_b64 exec, exec, s[12:13]
	s_and_saveexec_b64 s[12:13], s[8:9]
	s_cbranch_execz .LBB305_617
.LBB305_616:                            ;   in Loop: Header=BB305_491 Depth=1
	v_and_b32_e32 v6, 7, v10
	v_ffbh_u32_e32 v22, v6
	v_bfe_u32 v16, v10, 3, 4
	v_min_u32_e32 v22, 32, v22
	v_subrev_u32_e32 v24, 28, v22
	v_sub_u32_e32 v22, 29, v22
	v_cmp_eq_u32_e64 s[0:1], 0, v16
	v_lshlrev_b64 v[26:27], v24, v[10:11]
	v_and_b32_e32 v24, 7, v26
	v_cndmask_b32_e64 v16, v16, v22, s[0:1]
	v_lshlrev_b32_e32 v10, 8, v10
	v_lshl_add_u32 v16, v16, 10, v39
	v_cndmask_b32_e64 v6, v6, v24, s[0:1]
	v_and_or_b32 v10, v10, s17, v16
	v_lshl_or_b32 v6, v6, 7, v10
	v_cvt_f32_f16_e32 v22, v6
.LBB305_617:                            ;   in Loop: Header=BB305_491 Depth=1
	s_or_b64 exec, exec, s[12:13]
	v_lshrrev_b32_e32 v10, 16, v25
	v_cmp_gt_i16_sdwa s[8:9], v10, s3 src0_sel:BYTE_0 src1_sel:DWORD
	s_mov_b64 s[0:1], 0
                                        ; implicit-def: $sgpr20
	s_and_saveexec_b64 s[12:13], s[8:9]
	s_xor_b64 s[8:9], exec, s[12:13]
	s_cbranch_execnz .LBB305_849
; %bb.618:                              ;   in Loop: Header=BB305_491 Depth=1
	s_or_saveexec_b64 s[8:9], s[8:9]
	v_mov_b32_e32 v6, s20
	s_xor_b64 exec, exec, s[8:9]
	s_cbranch_execnz .LBB305_852
.LBB305_619:                            ;   in Loop: Header=BB305_491 Depth=1
	s_or_b64 exec, exec, s[8:9]
	s_and_saveexec_b64 s[8:9], s[0:1]
	s_cbranch_execz .LBB305_621
.LBB305_620:                            ;   in Loop: Header=BB305_491 Depth=1
	v_bfe_u32 v6, v25, 16, 3
	v_ffbh_u32_e32 v24, v6
	v_bfe_u32 v16, v25, 19, 4
	v_min_u32_e32 v24, 32, v24
	v_subrev_u32_e32 v26, 28, v24
	v_sub_u32_e32 v24, 29, v24
	v_cmp_eq_u32_e64 s[0:1], 0, v16
	v_lshlrev_b64 v[26:27], v26, v[10:11]
	v_and_b32_e32 v26, 7, v26
	v_cndmask_b32_e64 v16, v16, v24, s[0:1]
	v_lshlrev_b32_e32 v10, 8, v10
	v_lshl_add_u32 v16, v16, 10, v39
	v_cndmask_b32_e64 v6, v6, v26, s[0:1]
	v_and_or_b32 v10, v10, s17, v16
	v_lshl_or_b32 v6, v6, 7, v10
	v_cvt_f32_f16_e32 v6, v6
.LBB305_621:                            ;   in Loop: Header=BB305_491 Depth=1
	s_or_b64 exec, exec, s[8:9]
	v_lshrrev_b32_e32 v10, 24, v25
	v_cmp_lt_i16_e64 s[0:1], s3, v10
	s_mov_b64 s[8:9], 0
                                        ; implicit-def: $sgpr26
	s_and_saveexec_b64 s[12:13], s[0:1]
	s_xor_b64 s[12:13], exec, s[12:13]
	s_cbranch_execnz .LBB305_853
; %bb.622:                              ;   in Loop: Header=BB305_491 Depth=1
	s_or_saveexec_b64 s[12:13], s[12:13]
	v_mov_b32_e32 v26, s26
	s_xor_b64 exec, exec, s[12:13]
	s_cbranch_execnz .LBB305_856
.LBB305_623:                            ;   in Loop: Header=BB305_491 Depth=1
	s_or_b64 exec, exec, s[12:13]
	s_and_saveexec_b64 s[12:13], s[8:9]
	s_cbranch_execz .LBB305_625
.LBB305_624:                            ;   in Loop: Header=BB305_491 Depth=1
	v_bfe_u32 v16, v25, 24, 3
	v_ffbh_u32_e32 v24, v16
	v_min_u32_e32 v27, 32, v24
	v_subrev_u32_e32 v24, 28, v27
	v_bfe_u32 v26, v25, 27, 4
	v_lshlrev_b64 v[24:25], v24, v[10:11]
	v_sub_u32_e32 v25, 29, v27
	v_cmp_eq_u32_e64 s[0:1], 0, v26
	v_and_b32_e32 v24, 7, v24
	v_lshlrev_b32_e32 v10, 8, v10
	v_cndmask_b32_e64 v25, v26, v25, s[0:1]
	v_cndmask_b32_e64 v16, v16, v24, s[0:1]
	v_lshl_add_u32 v24, v25, 10, v39
	v_and_or_b32 v10, v10, s17, v24
	v_lshl_or_b32 v10, v16, 7, v10
	v_cvt_f32_f16_e32 v26, v10
.LBB305_625:                            ;   in Loop: Header=BB305_491 Depth=1
	s_or_b64 exec, exec, s[12:13]
	v_pk_mul_f32 v[24:25], v[12:13], v[30:31] op_sel_hi:[0,1]
	v_pk_mul_f32 v[28:29], v[12:13], v[28:29] op_sel_hi:[0,1]
	v_cvt_f16_f32_e32 v10, v25
	v_cvt_f16_f32_e32 v16, v24
	;; [unrolled: 1-line block ×4, first 2 shown]
	v_fma_mixlo_f16 v17, v12, v17, 0
	v_pack_b32_f16 v16, v16, v10
	v_pack_b32_f16 v24, v25, v24
	v_perm_b32 v10, v24, v16, s23
	v_perm_b32 v24, v24, v16, s24
	v_fma_mixlo_f16 v16, v12, v22, 0
	v_fma_mixlo_f16 v22, v12, v6, 0
	;; [unrolled: 1-line block ×3, first 2 shown]
	v_lshlrev_b32_e32 v16, 16, v16
	v_lshlrev_b32_e32 v6, 16, v6
	v_or_b32_sdwa v17, v16, v17 dst_sel:DWORD dst_unused:UNUSED_PAD src0_sel:DWORD src1_sel:WORD_0
	v_or_b32_sdwa v6, v6, v22 dst_sel:DWORD dst_unused:UNUSED_PAD src0_sel:DWORD src1_sel:WORD_0
	s_and_saveexec_b64 s[8:9], vcc
	s_cbranch_execz .LBB305_627
; %bb.626:                              ;   in Loop: Header=BB305_491 Depth=1
	v_lshrrev_b32_e32 v12, 16, v24
	v_cmp_lt_i32_e64 s[0:1], v54, v13
	v_accvgpr_read_b32 v26, a8
	v_lshrrev_b32_e32 v6, 16, v6
	v_cndmask_b32_e64 v12, 0, v12, s[0:1]
	v_cmp_lt_i32_e64 s[0:1], v7, v26
	s_nop 1
	v_cndmask_b32_e64 v16, 0, v24, s[0:1]
	v_perm_b32 v24, v12, v16, s25
	v_lshrrev_b32_e32 v12, 16, v10
	v_cmp_lt_i32_e64 s[0:1], v53, v13
	s_nop 1
	v_cndmask_b32_e64 v12, 0, v12, s[0:1]
	v_cmp_lt_i32_e64 s[0:1], v52, v26
	s_nop 1
	v_cndmask_b32_e64 v10, 0, v10, s[0:1]
	v_perm_b32 v10, v12, v10, s25
	v_lshrrev_b32_e32 v12, 16, v17
	v_cmp_lt_i32_e64 s[0:1], v51, v13
	s_nop 1
	v_cndmask_b32_e64 v12, 0, v12, s[0:1]
	v_cmp_lt_i32_e64 s[0:1], v50, v26
	s_nop 1
	v_cndmask_b32_e64 v16, 0, v17, s[0:1]
	v_cmp_lt_i32_e64 s[0:1], v49, v13
	v_perm_b32 v17, v12, v16, s25
	s_nop 0
	v_cndmask_b32_e64 v6, 0, v6, s[0:1]
	v_cmp_lt_i32_e64 s[0:1], v48, v26
	s_nop 1
	v_cndmask_b32_e64 v12, 0, v22, s[0:1]
	v_perm_b32 v6, v6, v12, s25
.LBB305_627:                            ;   in Loop: Header=BB305_491 Depth=1
	s_or_b64 exec, exec, s[8:9]
	;;#ASMSTART
	v_pk_mul_f16 v12, v55, v24;

	;;#ASMEND
	;;#ASMSTART
	v_pk_mul_f16 v10, v40, v10;

	;;#ASMEND
	;; [unrolled: 4-line block ×4, first 2 shown]
	v_accvgpr_read_b32 v27, a5
	;;#ASMSTART
	v_pk_add_f16 v10, v12, v10;

	;;#ASMEND
	v_accvgpr_read_b32 v26, a4
	;;#ASMSTART
	v_pk_add_f16 v10, v10, v16;

	;;#ASMEND
	s_mov_b64 s[0:1], 0
	;;#ASMSTART
	v_pk_add_f16 v6, v10, v6;

	;;#ASMEND
                                        ; implicit-def: $sgpr20
	s_nop 0
	v_lshrrev_b32_e32 v10, 16, v6
	v_and_b32_e32 v6, 0xffff, v6
	;;#ASMSTART
	v_cvt_f32_f16 v17, v6;
	;;#ASMEND
	;;#ASMSTART
	v_cvt_f32_f16 v38, v10;
	;;#ASMEND
	flat_load_dwordx2 v[24:25], v[18:19] offset:2048
	flat_load_dword v12, v[26:27]
	s_waitcnt vmcnt(0) lgkmcnt(0)
	v_cmp_gt_i16_sdwa s[8:9], v24, s3 src0_sel:BYTE_0 src1_sel:DWORD
	s_and_saveexec_b64 s[12:13], s[8:9]
	s_xor_b64 s[8:9], exec, s[12:13]
	s_cbranch_execnz .LBB305_857
; %bb.628:                              ;   in Loop: Header=BB305_491 Depth=1
	s_or_saveexec_b64 s[8:9], s[8:9]
	v_mov_b32_e32 v28, s20
	s_xor_b64 exec, exec, s[8:9]
	s_cbranch_execnz .LBB305_860
.LBB305_629:                            ;   in Loop: Header=BB305_491 Depth=1
	s_or_b64 exec, exec, s[8:9]
	s_and_saveexec_b64 s[8:9], s[0:1]
	s_cbranch_execz .LBB305_631
.LBB305_630:                            ;   in Loop: Header=BB305_491 Depth=1
	v_and_b32_e32 v6, 7, v24
	v_ffbh_u32_e32 v6, v6
	v_bfe_u32 v10, v24, 3, 4
	v_min_u32_e32 v6, 32, v6
	v_subrev_u32_e32 v16, 28, v6
	v_sub_u32_e32 v6, 29, v6
	v_cmp_eq_u32_e64 s[0:1], 0, v10
	s_nop 1
	v_cndmask_b32_e64 v6, v10, v6, s[0:1]
	v_cndmask_b32_e64 v10, 0, v16, s[0:1]
	v_lshlrev_b64 v[26:27], v10, v[24:25]
	v_lshlrev_b32_e32 v16, 8, v24
	v_lshl_add_u32 v6, v6, 10, v39
	v_lshlrev_b32_e32 v10, 7, v26
	v_and_or_b32 v6, v16, s17, v6
	v_and_or_b32 v6, v10, s22, v6
	v_cvt_f32_f16_e32 v28, v6
.LBB305_631:                            ;   in Loop: Header=BB305_491 Depth=1
	s_or_b64 exec, exec, s[8:9]
	v_lshrrev_b16_e32 v10, 8, v24
	v_cmp_lt_i16_e64 s[0:1], s3, v10
	s_mov_b64 s[8:9], 0
                                        ; implicit-def: $sgpr26
	s_and_saveexec_b64 s[12:13], s[0:1]
	s_xor_b64 s[12:13], exec, s[12:13]
	s_cbranch_execnz .LBB305_861
; %bb.632:                              ;   in Loop: Header=BB305_491 Depth=1
	s_or_saveexec_b64 s[12:13], s[12:13]
	v_mov_b32_e32 v30, s26
	s_xor_b64 exec, exec, s[12:13]
	s_cbranch_execnz .LBB305_864
.LBB305_633:                            ;   in Loop: Header=BB305_491 Depth=1
	s_or_b64 exec, exec, s[12:13]
	s_and_saveexec_b64 s[12:13], s[8:9]
	s_cbranch_execz .LBB305_635
.LBB305_634:                            ;   in Loop: Header=BB305_491 Depth=1
	v_and_b32_e32 v6, 7, v10
	v_ffbh_u32_e32 v22, v6
	v_bfe_u32 v16, v10, 3, 4
	v_min_u32_e32 v22, 32, v22
	v_subrev_u32_e32 v26, 28, v22
	v_sub_u32_e32 v22, 29, v22
	v_cmp_eq_u32_e64 s[0:1], 0, v16
	v_lshlrev_b64 v[26:27], v26, v[10:11]
	v_and_b32_e32 v26, 7, v26
	v_cndmask_b32_e64 v16, v16, v22, s[0:1]
	v_lshlrev_b32_e32 v10, 8, v10
	v_lshl_add_u32 v16, v16, 10, v39
	v_cndmask_b32_e64 v6, v6, v26, s[0:1]
	v_and_or_b32 v10, v10, s17, v16
	v_lshl_or_b32 v6, v6, 7, v10
	v_cvt_f32_f16_e32 v30, v6
.LBB305_635:                            ;   in Loop: Header=BB305_491 Depth=1
	s_or_b64 exec, exec, s[12:13]
	v_lshrrev_b32_e32 v10, 16, v24
	v_cmp_gt_i16_sdwa s[8:9], v10, s3 src0_sel:BYTE_0 src1_sel:DWORD
	s_mov_b64 s[0:1], 0
                                        ; implicit-def: $sgpr20
	s_and_saveexec_b64 s[12:13], s[8:9]
	s_xor_b64 s[8:9], exec, s[12:13]
	s_cbranch_execnz .LBB305_865
; %bb.636:                              ;   in Loop: Header=BB305_491 Depth=1
	s_or_saveexec_b64 s[8:9], s[8:9]
	v_mov_b32_e32 v29, s20
	s_xor_b64 exec, exec, s[8:9]
	s_cbranch_execnz .LBB305_868
.LBB305_637:                            ;   in Loop: Header=BB305_491 Depth=1
	s_or_b64 exec, exec, s[8:9]
	s_and_saveexec_b64 s[8:9], s[0:1]
	s_cbranch_execz .LBB305_639
.LBB305_638:                            ;   in Loop: Header=BB305_491 Depth=1
	v_bfe_u32 v6, v24, 16, 3
	v_ffbh_u32_e32 v22, v6
	v_bfe_u32 v16, v24, 19, 4
	v_min_u32_e32 v22, 32, v22
	v_subrev_u32_e32 v26, 28, v22
	v_sub_u32_e32 v22, 29, v22
	v_cmp_eq_u32_e64 s[0:1], 0, v16
	v_lshlrev_b64 v[26:27], v26, v[10:11]
	v_and_b32_e32 v26, 7, v26
	v_cndmask_b32_e64 v16, v16, v22, s[0:1]
	v_lshlrev_b32_e32 v10, 8, v10
	v_lshl_add_u32 v16, v16, 10, v39
	v_cndmask_b32_e64 v6, v6, v26, s[0:1]
	v_and_or_b32 v10, v10, s17, v16
	v_lshl_or_b32 v6, v6, 7, v10
	v_cvt_f32_f16_e32 v29, v6
.LBB305_639:                            ;   in Loop: Header=BB305_491 Depth=1
	s_or_b64 exec, exec, s[8:9]
	v_lshrrev_b32_e32 v10, 24, v24
	v_cmp_lt_i16_e64 s[0:1], s3, v10
	s_mov_b64 s[8:9], 0
                                        ; implicit-def: $sgpr26
	s_and_saveexec_b64 s[12:13], s[0:1]
	s_xor_b64 s[12:13], exec, s[12:13]
	s_cbranch_execnz .LBB305_869
; %bb.640:                              ;   in Loop: Header=BB305_491 Depth=1
	s_or_saveexec_b64 s[12:13], s[12:13]
	v_mov_b32_e32 v31, s26
	s_xor_b64 exec, exec, s[12:13]
	s_cbranch_execnz .LBB305_872
.LBB305_641:                            ;   in Loop: Header=BB305_491 Depth=1
	s_or_b64 exec, exec, s[12:13]
	s_and_saveexec_b64 s[12:13], s[8:9]
	s_cbranch_execz .LBB305_643
.LBB305_642:                            ;   in Loop: Header=BB305_491 Depth=1
	v_bfe_u32 v6, v24, 24, 3
	v_ffbh_u32_e32 v22, v6
	v_bfe_u32 v16, v24, 27, 4
	v_min_u32_e32 v22, 32, v22
	v_subrev_u32_e32 v24, 28, v22
	v_sub_u32_e32 v22, 29, v22
	v_cmp_eq_u32_e64 s[0:1], 0, v16
	v_lshlrev_b64 v[26:27], v24, v[10:11]
	v_and_b32_e32 v24, 7, v26
	v_cndmask_b32_e64 v16, v16, v22, s[0:1]
	v_lshlrev_b32_e32 v10, 8, v10
	v_lshl_add_u32 v16, v16, 10, v39
	v_cndmask_b32_e64 v6, v6, v24, s[0:1]
	v_and_or_b32 v10, v10, s17, v16
	v_lshl_or_b32 v6, v6, 7, v10
	v_cvt_f32_f16_e32 v31, v6
.LBB305_643:                            ;   in Loop: Header=BB305_491 Depth=1
	s_or_b64 exec, exec, s[12:13]
	v_cmp_gt_i16_sdwa s[8:9], v25, s3 src0_sel:BYTE_0 src1_sel:DWORD
	s_mov_b64 s[0:1], 0
                                        ; implicit-def: $sgpr20
	s_and_saveexec_b64 s[12:13], s[8:9]
	s_xor_b64 s[8:9], exec, s[12:13]
	s_cbranch_execnz .LBB305_873
; %bb.644:                              ;   in Loop: Header=BB305_491 Depth=1
	s_or_saveexec_b64 s[8:9], s[8:9]
	v_mov_b32_e32 v22, s20
	s_xor_b64 exec, exec, s[8:9]
	s_cbranch_execnz .LBB305_876
.LBB305_645:                            ;   in Loop: Header=BB305_491 Depth=1
	s_or_b64 exec, exec, s[8:9]
	v_mov_b32_e32 v10, v25
	s_and_saveexec_b64 s[8:9], s[0:1]
	s_cbranch_execz .LBB305_647
.LBB305_646:                            ;   in Loop: Header=BB305_491 Depth=1
	v_and_b32_e32 v6, 7, v25
	v_ffbh_u32_e32 v6, v6
	v_bfe_u32 v16, v25, 3, 4
	v_min_u32_e32 v6, 32, v6
	v_subrev_u32_e32 v22, 28, v6
	v_sub_u32_e32 v6, 29, v6
	v_cmp_eq_u32_e64 s[0:1], 0, v16
	s_nop 1
	v_cndmask_b32_e64 v6, v16, v6, s[0:1]
	v_cndmask_b32_e64 v16, 0, v22, s[0:1]
	v_lshlrev_b64 v[26:27], v16, v[10:11]
	v_lshlrev_b32_e32 v22, 8, v25
	v_lshl_add_u32 v6, v6, 10, v39
	v_lshlrev_b32_e32 v16, 7, v26
	v_and_or_b32 v6, v22, s17, v6
	v_and_or_b32 v6, v16, s22, v6
	v_cvt_f32_f16_e32 v22, v6
.LBB305_647:                            ;   in Loop: Header=BB305_491 Depth=1
	s_or_b64 exec, exec, s[8:9]
	v_lshrrev_b16_e32 v10, 8, v10
	v_cmp_lt_i16_e64 s[0:1], s3, v10
	s_mov_b64 s[8:9], 0
                                        ; implicit-def: $sgpr26
	s_and_saveexec_b64 s[12:13], s[0:1]
	s_xor_b64 s[12:13], exec, s[12:13]
	s_cbranch_execnz .LBB305_877
; %bb.648:                              ;   in Loop: Header=BB305_491 Depth=1
	s_or_saveexec_b64 s[12:13], s[12:13]
	v_mov_b32_e32 v24, s26
	s_xor_b64 exec, exec, s[12:13]
	s_cbranch_execnz .LBB305_880
.LBB305_649:                            ;   in Loop: Header=BB305_491 Depth=1
	s_or_b64 exec, exec, s[12:13]
	s_and_saveexec_b64 s[12:13], s[8:9]
	s_cbranch_execz .LBB305_651
.LBB305_650:                            ;   in Loop: Header=BB305_491 Depth=1
	v_and_b32_e32 v6, 7, v10
	v_ffbh_u32_e32 v24, v6
	v_bfe_u32 v16, v10, 3, 4
	v_min_u32_e32 v24, 32, v24
	v_subrev_u32_e32 v26, 28, v24
	v_sub_u32_e32 v24, 29, v24
	v_cmp_eq_u32_e64 s[0:1], 0, v16
	v_lshlrev_b64 v[26:27], v26, v[10:11]
	v_and_b32_e32 v26, 7, v26
	v_cndmask_b32_e64 v16, v16, v24, s[0:1]
	v_lshlrev_b32_e32 v10, 8, v10
	v_lshl_add_u32 v16, v16, 10, v39
	v_cndmask_b32_e64 v6, v6, v26, s[0:1]
	v_and_or_b32 v10, v10, s17, v16
	v_lshl_or_b32 v6, v6, 7, v10
	v_cvt_f32_f16_e32 v24, v6
.LBB305_651:                            ;   in Loop: Header=BB305_491 Depth=1
	s_or_b64 exec, exec, s[12:13]
	v_lshrrev_b32_e32 v10, 16, v25
	v_cmp_gt_i16_sdwa s[8:9], v10, s3 src0_sel:BYTE_0 src1_sel:DWORD
	s_mov_b64 s[0:1], 0
                                        ; implicit-def: $sgpr20
	s_and_saveexec_b64 s[12:13], s[8:9]
	s_xor_b64 s[8:9], exec, s[12:13]
	s_cbranch_execnz .LBB305_881
; %bb.652:                              ;   in Loop: Header=BB305_491 Depth=1
	s_or_saveexec_b64 s[8:9], s[8:9]
	v_mov_b32_e32 v6, s20
	s_xor_b64 exec, exec, s[8:9]
	s_cbranch_execnz .LBB305_884
.LBB305_653:                            ;   in Loop: Header=BB305_491 Depth=1
	s_or_b64 exec, exec, s[8:9]
	s_and_saveexec_b64 s[8:9], s[0:1]
	s_cbranch_execz .LBB305_655
.LBB305_654:                            ;   in Loop: Header=BB305_491 Depth=1
	v_bfe_u32 v6, v25, 16, 3
	v_ffbh_u32_e32 v26, v6
	v_min_u32_e32 v47, 32, v26
	v_subrev_u32_e32 v26, 28, v47
	v_bfe_u32 v16, v25, 19, 4
	v_lshlrev_b64 v[26:27], v26, v[10:11]
	v_sub_u32_e32 v27, 29, v47
	v_cmp_eq_u32_e64 s[0:1], 0, v16
	v_and_b32_e32 v26, 7, v26
	v_lshlrev_b32_e32 v10, 8, v10
	v_cndmask_b32_e64 v16, v16, v27, s[0:1]
	v_lshl_add_u32 v16, v16, 10, v39
	v_cndmask_b32_e64 v6, v6, v26, s[0:1]
	v_and_or_b32 v10, v10, s17, v16
	v_lshl_or_b32 v6, v6, 7, v10
	v_cvt_f32_f16_e32 v6, v6
.LBB305_655:                            ;   in Loop: Header=BB305_491 Depth=1
	s_or_b64 exec, exec, s[8:9]
	v_lshrrev_b32_e32 v10, 24, v25
	v_cmp_lt_i16_e64 s[0:1], s3, v10
	s_mov_b64 s[8:9], 0
                                        ; implicit-def: $sgpr26
	s_and_saveexec_b64 s[12:13], s[0:1]
	s_xor_b64 s[12:13], exec, s[12:13]
	s_cbranch_execnz .LBB305_885
; %bb.656:                              ;   in Loop: Header=BB305_491 Depth=1
	s_or_saveexec_b64 s[12:13], s[12:13]
	v_mov_b32_e32 v26, s26
	s_xor_b64 exec, exec, s[12:13]
	s_cbranch_execnz .LBB305_888
.LBB305_657:                            ;   in Loop: Header=BB305_491 Depth=1
	s_or_b64 exec, exec, s[12:13]
	s_and_saveexec_b64 s[12:13], s[8:9]
	s_cbranch_execz .LBB305_659
.LBB305_658:                            ;   in Loop: Header=BB305_491 Depth=1
	v_bfe_u32 v16, v25, 24, 3
	v_ffbh_u32_e32 v26, v16
	v_min_u32_e32 v47, 32, v26
	v_subrev_u32_e32 v26, 28, v47
	v_bfe_u32 v25, v25, 27, 4
	v_lshlrev_b64 v[26:27], v26, v[10:11]
	v_sub_u32_e32 v27, 29, v47
	v_cmp_eq_u32_e64 s[0:1], 0, v25
	v_and_b32_e32 v26, 7, v26
	v_lshlrev_b32_e32 v10, 8, v10
	v_cndmask_b32_e64 v25, v25, v27, s[0:1]
	v_lshl_add_u32 v25, v25, 10, v39
	v_cndmask_b32_e64 v16, v16, v26, s[0:1]
	v_and_or_b32 v10, v10, s17, v25
	v_lshl_or_b32 v10, v16, 7, v10
	v_cvt_f32_f16_e32 v26, v10
.LBB305_659:                            ;   in Loop: Header=BB305_491 Depth=1
	s_or_b64 exec, exec, s[12:13]
	v_pk_mul_f32 v[30:31], v[12:13], v[30:31] op_sel_hi:[0,1]
	v_pk_mul_f32 v[28:29], v[12:13], v[28:29] op_sel_hi:[0,1]
	v_cvt_f16_f32_e32 v10, v31
	v_cvt_f16_f32_e32 v16, v30
	;; [unrolled: 1-line block ×4, first 2 shown]
	v_fma_mixlo_f16 v22, v12, v22, 0
	v_pack_b32_f16 v16, v16, v10
	v_pack_b32_f16 v25, v27, v25
	v_perm_b32 v10, v25, v16, s23
	v_perm_b32 v25, v25, v16, s24
	v_fma_mixlo_f16 v16, v12, v24, 0
	v_fma_mixlo_f16 v24, v12, v6, 0
	;; [unrolled: 1-line block ×3, first 2 shown]
	v_lshlrev_b32_e32 v16, 16, v16
	v_lshlrev_b32_e32 v6, 16, v6
	v_or_b32_sdwa v22, v16, v22 dst_sel:DWORD dst_unused:UNUSED_PAD src0_sel:DWORD src1_sel:WORD_0
	v_or_b32_sdwa v6, v6, v24 dst_sel:DWORD dst_unused:UNUSED_PAD src0_sel:DWORD src1_sel:WORD_0
	s_and_saveexec_b64 s[8:9], vcc
	s_cbranch_execz .LBB305_661
; %bb.660:                              ;   in Loop: Header=BB305_491 Depth=1
	v_lshrrev_b32_e32 v12, 16, v25
	v_cmp_lt_i32_e64 s[0:1], v54, v13
	v_accvgpr_read_b32 v26, a8
	v_lshrrev_b32_e32 v6, 16, v6
	v_cndmask_b32_e64 v12, 0, v12, s[0:1]
	v_cmp_lt_i32_e64 s[0:1], v7, v26
	s_nop 1
	v_cndmask_b32_e64 v16, 0, v25, s[0:1]
	v_perm_b32 v25, v12, v16, s25
	v_lshrrev_b32_e32 v12, 16, v10
	v_cmp_lt_i32_e64 s[0:1], v53, v13
	s_nop 1
	v_cndmask_b32_e64 v12, 0, v12, s[0:1]
	v_cmp_lt_i32_e64 s[0:1], v52, v26
	s_nop 1
	v_cndmask_b32_e64 v10, 0, v10, s[0:1]
	v_perm_b32 v10, v12, v10, s25
	v_lshrrev_b32_e32 v12, 16, v22
	v_cmp_lt_i32_e64 s[0:1], v51, v13
	s_nop 1
	v_cndmask_b32_e64 v12, 0, v12, s[0:1]
	v_cmp_lt_i32_e64 s[0:1], v50, v26
	s_nop 1
	v_cndmask_b32_e64 v16, 0, v22, s[0:1]
	v_cmp_lt_i32_e64 s[0:1], v49, v13
	v_perm_b32 v22, v12, v16, s25
	s_nop 0
	v_cndmask_b32_e64 v6, 0, v6, s[0:1]
	v_cmp_lt_i32_e64 s[0:1], v48, v26
	s_nop 1
	v_cndmask_b32_e64 v12, 0, v24, s[0:1]
	v_perm_b32 v6, v6, v12, s25
.LBB305_661:                            ;   in Loop: Header=BB305_491 Depth=1
	s_or_b64 exec, exec, s[8:9]
	;;#ASMSTART
	v_pk_mul_f16 v12, v55, v25;

	;;#ASMEND
	;;#ASMSTART
	v_pk_mul_f16 v10, v40, v10;

	;;#ASMEND
	;; [unrolled: 4-line block ×4, first 2 shown]
	v_accvgpr_read_b32 v27, a5
	;;#ASMSTART
	v_pk_add_f16 v10, v12, v10;

	;;#ASMEND
	v_accvgpr_read_b32 v26, a4
	;;#ASMSTART
	v_pk_add_f16 v10, v10, v16;

	;;#ASMEND
	s_mov_b64 s[0:1], 0
	;;#ASMSTART
	v_pk_add_f16 v6, v10, v6;

	;;#ASMEND
                                        ; implicit-def: $sgpr20
	s_nop 0
	v_lshrrev_b32_e32 v10, 16, v6
	v_and_b32_e32 v6, 0xffff, v6
	;;#ASMSTART
	v_cvt_f32_f16 v47, v6;
	;;#ASMEND
	;;#ASMSTART
	v_cvt_f32_f16 v56, v10;
	;;#ASMEND
	flat_load_dwordx2 v[24:25], v[18:19] offset:2560
	flat_load_dword v12, v[26:27]
	s_waitcnt vmcnt(0) lgkmcnt(0)
	v_cmp_gt_i16_sdwa s[8:9], v24, s3 src0_sel:BYTE_0 src1_sel:DWORD
	s_and_saveexec_b64 s[12:13], s[8:9]
	s_xor_b64 s[8:9], exec, s[12:13]
	s_cbranch_execnz .LBB305_889
; %bb.662:                              ;   in Loop: Header=BB305_491 Depth=1
	s_or_saveexec_b64 s[8:9], s[8:9]
	v_mov_b32_e32 v28, s20
	s_xor_b64 exec, exec, s[8:9]
	s_cbranch_execnz .LBB305_892
.LBB305_663:                            ;   in Loop: Header=BB305_491 Depth=1
	s_or_b64 exec, exec, s[8:9]
	s_and_saveexec_b64 s[8:9], s[0:1]
	s_cbranch_execz .LBB305_665
.LBB305_664:                            ;   in Loop: Header=BB305_491 Depth=1
	v_and_b32_e32 v6, 7, v24
	v_ffbh_u32_e32 v6, v6
	v_bfe_u32 v10, v24, 3, 4
	v_min_u32_e32 v6, 32, v6
	v_subrev_u32_e32 v16, 28, v6
	v_sub_u32_e32 v6, 29, v6
	v_cmp_eq_u32_e64 s[0:1], 0, v10
	s_nop 1
	v_cndmask_b32_e64 v6, v10, v6, s[0:1]
	v_cndmask_b32_e64 v10, 0, v16, s[0:1]
	v_lshlrev_b64 v[26:27], v10, v[24:25]
	v_lshlrev_b32_e32 v16, 8, v24
	v_lshl_add_u32 v6, v6, 10, v39
	v_lshlrev_b32_e32 v10, 7, v26
	v_and_or_b32 v6, v16, s17, v6
	v_and_or_b32 v6, v10, s22, v6
	v_cvt_f32_f16_e32 v28, v6
.LBB305_665:                            ;   in Loop: Header=BB305_491 Depth=1
	s_or_b64 exec, exec, s[8:9]
	v_lshrrev_b16_e32 v10, 8, v24
	v_cmp_lt_i16_e64 s[0:1], s3, v10
	s_mov_b64 s[8:9], 0
                                        ; implicit-def: $sgpr26
	s_and_saveexec_b64 s[12:13], s[0:1]
	s_xor_b64 s[12:13], exec, s[12:13]
	s_cbranch_execnz .LBB305_893
; %bb.666:                              ;   in Loop: Header=BB305_491 Depth=1
	s_or_saveexec_b64 s[12:13], s[12:13]
	v_mov_b32_e32 v30, s26
	s_xor_b64 exec, exec, s[12:13]
	s_cbranch_execnz .LBB305_896
.LBB305_667:                            ;   in Loop: Header=BB305_491 Depth=1
	s_or_b64 exec, exec, s[12:13]
	s_and_saveexec_b64 s[12:13], s[8:9]
	s_cbranch_execz .LBB305_669
.LBB305_668:                            ;   in Loop: Header=BB305_491 Depth=1
	v_and_b32_e32 v6, 7, v10
	v_ffbh_u32_e32 v22, v6
	v_bfe_u32 v16, v10, 3, 4
	v_min_u32_e32 v22, 32, v22
	v_subrev_u32_e32 v26, 28, v22
	v_sub_u32_e32 v22, 29, v22
	v_cmp_eq_u32_e64 s[0:1], 0, v16
	v_lshlrev_b64 v[26:27], v26, v[10:11]
	v_and_b32_e32 v26, 7, v26
	v_cndmask_b32_e64 v16, v16, v22, s[0:1]
	v_lshlrev_b32_e32 v10, 8, v10
	v_lshl_add_u32 v16, v16, 10, v39
	v_cndmask_b32_e64 v6, v6, v26, s[0:1]
	v_and_or_b32 v10, v10, s17, v16
	v_lshl_or_b32 v6, v6, 7, v10
	v_cvt_f32_f16_e32 v30, v6
.LBB305_669:                            ;   in Loop: Header=BB305_491 Depth=1
	s_or_b64 exec, exec, s[12:13]
	v_lshrrev_b32_e32 v10, 16, v24
	v_cmp_gt_i16_sdwa s[8:9], v10, s3 src0_sel:BYTE_0 src1_sel:DWORD
	s_mov_b64 s[0:1], 0
                                        ; implicit-def: $sgpr20
	s_and_saveexec_b64 s[12:13], s[8:9]
	s_xor_b64 s[8:9], exec, s[12:13]
	s_cbranch_execnz .LBB305_897
; %bb.670:                              ;   in Loop: Header=BB305_491 Depth=1
	s_or_saveexec_b64 s[8:9], s[8:9]
	v_mov_b32_e32 v29, s20
	s_xor_b64 exec, exec, s[8:9]
	s_cbranch_execnz .LBB305_900
.LBB305_671:                            ;   in Loop: Header=BB305_491 Depth=1
	s_or_b64 exec, exec, s[8:9]
	s_and_saveexec_b64 s[8:9], s[0:1]
	s_cbranch_execz .LBB305_673
.LBB305_672:                            ;   in Loop: Header=BB305_491 Depth=1
	v_bfe_u32 v6, v24, 16, 3
	v_ffbh_u32_e32 v22, v6
	v_bfe_u32 v16, v24, 19, 4
	v_min_u32_e32 v22, 32, v22
	v_subrev_u32_e32 v26, 28, v22
	v_sub_u32_e32 v22, 29, v22
	v_cmp_eq_u32_e64 s[0:1], 0, v16
	v_lshlrev_b64 v[26:27], v26, v[10:11]
	v_and_b32_e32 v26, 7, v26
	v_cndmask_b32_e64 v16, v16, v22, s[0:1]
	v_lshlrev_b32_e32 v10, 8, v10
	v_lshl_add_u32 v16, v16, 10, v39
	v_cndmask_b32_e64 v6, v6, v26, s[0:1]
	v_and_or_b32 v10, v10, s17, v16
	v_lshl_or_b32 v6, v6, 7, v10
	v_cvt_f32_f16_e32 v29, v6
.LBB305_673:                            ;   in Loop: Header=BB305_491 Depth=1
	s_or_b64 exec, exec, s[8:9]
	v_lshrrev_b32_e32 v10, 24, v24
	v_cmp_lt_i16_e64 s[0:1], s3, v10
	s_mov_b64 s[8:9], 0
                                        ; implicit-def: $sgpr26
	s_and_saveexec_b64 s[12:13], s[0:1]
	s_xor_b64 s[12:13], exec, s[12:13]
	s_cbranch_execnz .LBB305_901
; %bb.674:                              ;   in Loop: Header=BB305_491 Depth=1
	s_or_saveexec_b64 s[12:13], s[12:13]
	v_mov_b32_e32 v31, s26
	s_xor_b64 exec, exec, s[12:13]
	s_cbranch_execnz .LBB305_904
.LBB305_675:                            ;   in Loop: Header=BB305_491 Depth=1
	s_or_b64 exec, exec, s[12:13]
	s_and_saveexec_b64 s[12:13], s[8:9]
	s_cbranch_execz .LBB305_677
.LBB305_676:                            ;   in Loop: Header=BB305_491 Depth=1
	v_bfe_u32 v6, v24, 24, 3
	v_ffbh_u32_e32 v22, v6
	v_bfe_u32 v16, v24, 27, 4
	v_min_u32_e32 v22, 32, v22
	v_subrev_u32_e32 v24, 28, v22
	v_sub_u32_e32 v22, 29, v22
	v_cmp_eq_u32_e64 s[0:1], 0, v16
	v_lshlrev_b64 v[26:27], v24, v[10:11]
	v_and_b32_e32 v24, 7, v26
	v_cndmask_b32_e64 v16, v16, v22, s[0:1]
	v_lshlrev_b32_e32 v10, 8, v10
	v_lshl_add_u32 v16, v16, 10, v39
	v_cndmask_b32_e64 v6, v6, v24, s[0:1]
	v_and_or_b32 v10, v10, s17, v16
	v_lshl_or_b32 v6, v6, 7, v10
	v_cvt_f32_f16_e32 v31, v6
.LBB305_677:                            ;   in Loop: Header=BB305_491 Depth=1
	s_or_b64 exec, exec, s[12:13]
	v_cmp_gt_i16_sdwa s[8:9], v25, s3 src0_sel:BYTE_0 src1_sel:DWORD
	s_mov_b64 s[0:1], 0
                                        ; implicit-def: $sgpr20
	s_and_saveexec_b64 s[12:13], s[8:9]
	s_xor_b64 s[8:9], exec, s[12:13]
	s_cbranch_execnz .LBB305_905
; %bb.678:                              ;   in Loop: Header=BB305_491 Depth=1
	s_or_saveexec_b64 s[8:9], s[8:9]
	v_mov_b32_e32 v22, s20
	s_xor_b64 exec, exec, s[8:9]
	s_cbranch_execnz .LBB305_908
.LBB305_679:                            ;   in Loop: Header=BB305_491 Depth=1
	s_or_b64 exec, exec, s[8:9]
	v_mov_b32_e32 v10, v25
	s_and_saveexec_b64 s[8:9], s[0:1]
	s_cbranch_execz .LBB305_681
.LBB305_680:                            ;   in Loop: Header=BB305_491 Depth=1
	v_and_b32_e32 v6, 7, v25
	v_ffbh_u32_e32 v6, v6
	v_bfe_u32 v16, v25, 3, 4
	v_min_u32_e32 v6, 32, v6
	v_subrev_u32_e32 v22, 28, v6
	v_sub_u32_e32 v6, 29, v6
	v_cmp_eq_u32_e64 s[0:1], 0, v16
	s_nop 1
	v_cndmask_b32_e64 v6, v16, v6, s[0:1]
	v_cndmask_b32_e64 v16, 0, v22, s[0:1]
	v_lshlrev_b64 v[26:27], v16, v[10:11]
	v_lshlrev_b32_e32 v22, 8, v25
	v_lshl_add_u32 v6, v6, 10, v39
	v_lshlrev_b32_e32 v16, 7, v26
	v_and_or_b32 v6, v22, s17, v6
	v_and_or_b32 v6, v16, s22, v6
	v_cvt_f32_f16_e32 v22, v6
.LBB305_681:                            ;   in Loop: Header=BB305_491 Depth=1
	s_or_b64 exec, exec, s[8:9]
	v_lshrrev_b16_e32 v10, 8, v10
	v_cmp_lt_i16_e64 s[0:1], s3, v10
	s_mov_b64 s[8:9], 0
                                        ; implicit-def: $sgpr26
	s_and_saveexec_b64 s[12:13], s[0:1]
	s_xor_b64 s[12:13], exec, s[12:13]
	s_cbranch_execnz .LBB305_909
; %bb.682:                              ;   in Loop: Header=BB305_491 Depth=1
	s_or_saveexec_b64 s[12:13], s[12:13]
	v_mov_b32_e32 v24, s26
	s_xor_b64 exec, exec, s[12:13]
	s_cbranch_execnz .LBB305_912
.LBB305_683:                            ;   in Loop: Header=BB305_491 Depth=1
	s_or_b64 exec, exec, s[12:13]
	s_and_saveexec_b64 s[12:13], s[8:9]
	s_cbranch_execz .LBB305_685
.LBB305_684:                            ;   in Loop: Header=BB305_491 Depth=1
	v_and_b32_e32 v6, 7, v10
	v_ffbh_u32_e32 v24, v6
	v_bfe_u32 v16, v10, 3, 4
	v_min_u32_e32 v24, 32, v24
	v_subrev_u32_e32 v26, 28, v24
	v_sub_u32_e32 v24, 29, v24
	v_cmp_eq_u32_e64 s[0:1], 0, v16
	v_lshlrev_b64 v[26:27], v26, v[10:11]
	v_and_b32_e32 v26, 7, v26
	v_cndmask_b32_e64 v16, v16, v24, s[0:1]
	v_lshlrev_b32_e32 v10, 8, v10
	v_lshl_add_u32 v16, v16, 10, v39
	v_cndmask_b32_e64 v6, v6, v26, s[0:1]
	v_and_or_b32 v10, v10, s17, v16
	v_lshl_or_b32 v6, v6, 7, v10
	v_cvt_f32_f16_e32 v24, v6
.LBB305_685:                            ;   in Loop: Header=BB305_491 Depth=1
	s_or_b64 exec, exec, s[12:13]
	v_lshrrev_b32_e32 v10, 16, v25
	v_cmp_gt_i16_sdwa s[8:9], v10, s3 src0_sel:BYTE_0 src1_sel:DWORD
	s_mov_b64 s[0:1], 0
                                        ; implicit-def: $sgpr20
	s_and_saveexec_b64 s[12:13], s[8:9]
	s_xor_b64 s[8:9], exec, s[12:13]
	s_cbranch_execnz .LBB305_913
; %bb.686:                              ;   in Loop: Header=BB305_491 Depth=1
	s_or_saveexec_b64 s[8:9], s[8:9]
	v_mov_b32_e32 v6, s20
	s_xor_b64 exec, exec, s[8:9]
	s_cbranch_execnz .LBB305_916
.LBB305_687:                            ;   in Loop: Header=BB305_491 Depth=1
	s_or_b64 exec, exec, s[8:9]
	s_and_saveexec_b64 s[8:9], s[0:1]
	s_cbranch_execz .LBB305_689
.LBB305_688:                            ;   in Loop: Header=BB305_491 Depth=1
	v_bfe_u32 v6, v25, 16, 3
	v_ffbh_u32_e32 v26, v6
	v_min_u32_e32 v57, 32, v26
	v_subrev_u32_e32 v26, 28, v57
	v_bfe_u32 v16, v25, 19, 4
	v_lshlrev_b64 v[26:27], v26, v[10:11]
	v_sub_u32_e32 v27, 29, v57
	v_cmp_eq_u32_e64 s[0:1], 0, v16
	v_and_b32_e32 v26, 7, v26
	v_lshlrev_b32_e32 v10, 8, v10
	v_cndmask_b32_e64 v16, v16, v27, s[0:1]
	v_lshl_add_u32 v16, v16, 10, v39
	v_cndmask_b32_e64 v6, v6, v26, s[0:1]
	v_and_or_b32 v10, v10, s17, v16
	v_lshl_or_b32 v6, v6, 7, v10
	v_cvt_f32_f16_e32 v6, v6
.LBB305_689:                            ;   in Loop: Header=BB305_491 Depth=1
	s_or_b64 exec, exec, s[8:9]
	v_lshrrev_b32_e32 v10, 24, v25
	v_cmp_lt_i16_e64 s[0:1], s3, v10
	s_mov_b64 s[8:9], 0
                                        ; implicit-def: $sgpr26
	s_and_saveexec_b64 s[12:13], s[0:1]
	s_xor_b64 s[12:13], exec, s[12:13]
	s_cbranch_execnz .LBB305_917
; %bb.690:                              ;   in Loop: Header=BB305_491 Depth=1
	s_or_saveexec_b64 s[12:13], s[12:13]
	v_mov_b32_e32 v26, s26
	s_xor_b64 exec, exec, s[12:13]
	s_cbranch_execnz .LBB305_920
.LBB305_691:                            ;   in Loop: Header=BB305_491 Depth=1
	s_or_b64 exec, exec, s[12:13]
	s_and_saveexec_b64 s[12:13], s[8:9]
	s_cbranch_execz .LBB305_693
.LBB305_692:                            ;   in Loop: Header=BB305_491 Depth=1
	v_bfe_u32 v16, v25, 24, 3
	v_ffbh_u32_e32 v26, v16
	v_min_u32_e32 v57, 32, v26
	v_subrev_u32_e32 v26, 28, v57
	v_bfe_u32 v25, v25, 27, 4
	v_lshlrev_b64 v[26:27], v26, v[10:11]
	v_sub_u32_e32 v27, 29, v57
	v_cmp_eq_u32_e64 s[0:1], 0, v25
	v_and_b32_e32 v26, 7, v26
	v_lshlrev_b32_e32 v10, 8, v10
	v_cndmask_b32_e64 v25, v25, v27, s[0:1]
	v_lshl_add_u32 v25, v25, 10, v39
	v_cndmask_b32_e64 v16, v16, v26, s[0:1]
	v_and_or_b32 v10, v10, s17, v25
	v_lshl_or_b32 v10, v16, 7, v10
	v_cvt_f32_f16_e32 v26, v10
.LBB305_693:                            ;   in Loop: Header=BB305_491 Depth=1
	s_or_b64 exec, exec, s[12:13]
	v_pk_mul_f32 v[30:31], v[12:13], v[30:31] op_sel_hi:[0,1]
	v_pk_mul_f32 v[28:29], v[12:13], v[28:29] op_sel_hi:[0,1]
	v_cvt_f16_f32_e32 v10, v31
	v_cvt_f16_f32_e32 v16, v30
	;; [unrolled: 1-line block ×4, first 2 shown]
	v_fma_mixlo_f16 v22, v12, v22, 0
	v_pack_b32_f16 v16, v16, v10
	v_pack_b32_f16 v25, v27, v25
	v_perm_b32 v10, v25, v16, s23
	v_perm_b32 v25, v25, v16, s24
	v_fma_mixlo_f16 v16, v12, v24, 0
	v_fma_mixlo_f16 v24, v12, v6, 0
	;; [unrolled: 1-line block ×3, first 2 shown]
	v_lshlrev_b32_e32 v16, 16, v16
	v_lshlrev_b32_e32 v6, 16, v6
	v_or_b32_sdwa v22, v16, v22 dst_sel:DWORD dst_unused:UNUSED_PAD src0_sel:DWORD src1_sel:WORD_0
	v_or_b32_sdwa v6, v6, v24 dst_sel:DWORD dst_unused:UNUSED_PAD src0_sel:DWORD src1_sel:WORD_0
	s_and_saveexec_b64 s[8:9], vcc
	s_cbranch_execz .LBB305_695
; %bb.694:                              ;   in Loop: Header=BB305_491 Depth=1
	v_lshrrev_b32_e32 v12, 16, v25
	v_cmp_lt_i32_e64 s[0:1], v54, v13
	v_accvgpr_read_b32 v26, a8
	v_lshrrev_b32_e32 v6, 16, v6
	v_cndmask_b32_e64 v12, 0, v12, s[0:1]
	v_cmp_lt_i32_e64 s[0:1], v7, v26
	s_nop 1
	v_cndmask_b32_e64 v16, 0, v25, s[0:1]
	v_perm_b32 v25, v12, v16, s25
	v_lshrrev_b32_e32 v12, 16, v10
	v_cmp_lt_i32_e64 s[0:1], v53, v13
	s_nop 1
	v_cndmask_b32_e64 v12, 0, v12, s[0:1]
	v_cmp_lt_i32_e64 s[0:1], v52, v26
	s_nop 1
	v_cndmask_b32_e64 v10, 0, v10, s[0:1]
	v_perm_b32 v10, v12, v10, s25
	v_lshrrev_b32_e32 v12, 16, v22
	v_cmp_lt_i32_e64 s[0:1], v51, v13
	s_nop 1
	v_cndmask_b32_e64 v12, 0, v12, s[0:1]
	v_cmp_lt_i32_e64 s[0:1], v50, v26
	s_nop 1
	v_cndmask_b32_e64 v16, 0, v22, s[0:1]
	v_cmp_lt_i32_e64 s[0:1], v49, v13
	v_perm_b32 v22, v12, v16, s25
	s_nop 0
	v_cndmask_b32_e64 v6, 0, v6, s[0:1]
	v_cmp_lt_i32_e64 s[0:1], v48, v26
	s_nop 1
	v_cndmask_b32_e64 v12, 0, v24, s[0:1]
	v_perm_b32 v6, v6, v12, s25
.LBB305_695:                            ;   in Loop: Header=BB305_491 Depth=1
	s_or_b64 exec, exec, s[8:9]
	;;#ASMSTART
	v_pk_mul_f16 v12, v55, v25;

	;;#ASMEND
	;;#ASMSTART
	v_pk_mul_f16 v10, v40, v10;

	;;#ASMEND
	;; [unrolled: 4-line block ×4, first 2 shown]
	v_accvgpr_read_b32 v25, a5
	;;#ASMSTART
	v_pk_add_f16 v10, v12, v10;

	;;#ASMEND
	v_accvgpr_read_b32 v24, a4
	;;#ASMSTART
	v_pk_add_f16 v10, v10, v16;

	;;#ASMEND
	s_mov_b64 s[0:1], 0
	;;#ASMSTART
	v_pk_add_f16 v6, v10, v6;

	;;#ASMEND
                                        ; implicit-def: $sgpr20
	s_nop 0
	v_lshrrev_b32_e32 v10, 16, v6
	v_and_b32_e32 v6, 0xffff, v6
	;;#ASMSTART
	v_cvt_f32_f16 v22, v6;
	;;#ASMEND
	;;#ASMSTART
	v_cvt_f32_f16 v26, v10;
	;;#ASMEND
	flat_load_dwordx2 v[18:19], v[18:19] offset:3072
	s_waitcnt vmcnt(0) lgkmcnt(0)
	v_cmp_gt_i16_sdwa s[8:9], v18, s3 src0_sel:BYTE_0 src1_sel:DWORD
	flat_load_dword v12, v[24:25]
	s_and_saveexec_b64 s[12:13], s[8:9]
	s_xor_b64 s[8:9], exec, s[12:13]
	s_cbranch_execnz .LBB305_921
; %bb.696:                              ;   in Loop: Header=BB305_491 Depth=1
	s_or_saveexec_b64 s[8:9], s[8:9]
	v_mov_b32_e32 v24, s20
	s_xor_b64 exec, exec, s[8:9]
	s_cbranch_execnz .LBB305_924
.LBB305_697:                            ;   in Loop: Header=BB305_491 Depth=1
	s_or_b64 exec, exec, s[8:9]
	s_and_saveexec_b64 s[8:9], s[0:1]
	s_cbranch_execz .LBB305_699
.LBB305_698:                            ;   in Loop: Header=BB305_491 Depth=1
	v_and_b32_e32 v6, 7, v18
	v_ffbh_u32_e32 v6, v6
	v_bfe_u32 v10, v18, 3, 4
	v_min_u32_e32 v6, 32, v6
	v_subrev_u32_e32 v16, 28, v6
	v_sub_u32_e32 v6, 29, v6
	v_cmp_eq_u32_e64 s[0:1], 0, v10
	s_nop 1
	v_cndmask_b32_e64 v6, v10, v6, s[0:1]
	v_cndmask_b32_e64 v10, 0, v16, s[0:1]
	v_lshlrev_b64 v[24:25], v10, v[18:19]
	v_lshlrev_b32_e32 v16, 8, v18
	v_lshl_add_u32 v6, v6, 10, v39
	v_lshlrev_b32_e32 v10, 7, v24
	v_and_or_b32 v6, v16, s17, v6
	v_and_or_b32 v6, v10, s22, v6
	v_cvt_f32_f16_e32 v24, v6
.LBB305_699:                            ;   in Loop: Header=BB305_491 Depth=1
	s_or_b64 exec, exec, s[8:9]
	v_lshrrev_b16_e32 v10, 8, v18
	v_cmp_lt_i16_e64 s[0:1], s3, v10
	s_mov_b64 s[8:9], 0
                                        ; implicit-def: $sgpr26
	s_and_saveexec_b64 s[12:13], s[0:1]
	s_xor_b64 s[12:13], exec, s[12:13]
	s_cbranch_execnz .LBB305_925
; %bb.700:                              ;   in Loop: Header=BB305_491 Depth=1
	s_or_saveexec_b64 s[12:13], s[12:13]
	v_mov_b32_e32 v28, s26
	s_xor_b64 exec, exec, s[12:13]
	s_cbranch_execnz .LBB305_928
.LBB305_701:                            ;   in Loop: Header=BB305_491 Depth=1
	s_or_b64 exec, exec, s[12:13]
	s_and_saveexec_b64 s[12:13], s[8:9]
	s_cbranch_execz .LBB305_703
.LBB305_702:                            ;   in Loop: Header=BB305_491 Depth=1
	v_and_b32_e32 v6, 7, v10
	v_ffbh_u32_e32 v25, v6
	v_bfe_u32 v16, v10, 3, 4
	v_min_u32_e32 v25, 32, v25
	v_subrev_u32_e32 v27, 28, v25
	v_sub_u32_e32 v25, 29, v25
	v_cmp_eq_u32_e64 s[0:1], 0, v16
	v_lshlrev_b64 v[28:29], v27, v[10:11]
	v_and_b32_e32 v27, 7, v28
	v_cndmask_b32_e64 v16, v16, v25, s[0:1]
	v_lshlrev_b32_e32 v10, 8, v10
	v_lshl_add_u32 v16, v16, 10, v39
	v_cndmask_b32_e64 v6, v6, v27, s[0:1]
	v_and_or_b32 v10, v10, s17, v16
	v_lshl_or_b32 v6, v6, 7, v10
	v_cvt_f32_f16_e32 v28, v6
.LBB305_703:                            ;   in Loop: Header=BB305_491 Depth=1
	s_or_b64 exec, exec, s[12:13]
	v_lshrrev_b32_e32 v10, 16, v18
	v_cmp_gt_i16_sdwa s[8:9], v10, s3 src0_sel:BYTE_0 src1_sel:DWORD
	s_mov_b64 s[0:1], 0
                                        ; implicit-def: $sgpr20
	s_and_saveexec_b64 s[12:13], s[8:9]
	s_xor_b64 s[8:9], exec, s[12:13]
	s_cbranch_execnz .LBB305_929
; %bb.704:                              ;   in Loop: Header=BB305_491 Depth=1
	s_or_saveexec_b64 s[8:9], s[8:9]
	v_mov_b32_e32 v25, s20
	s_xor_b64 exec, exec, s[8:9]
	s_cbranch_execnz .LBB305_932
.LBB305_705:                            ;   in Loop: Header=BB305_491 Depth=1
	s_or_b64 exec, exec, s[8:9]
	s_and_saveexec_b64 s[8:9], s[0:1]
	s_cbranch_execz .LBB305_707
.LBB305_706:                            ;   in Loop: Header=BB305_491 Depth=1
	v_bfe_u32 v6, v18, 16, 3
	v_ffbh_u32_e32 v25, v6
	v_bfe_u32 v16, v18, 19, 4
	v_min_u32_e32 v25, 32, v25
	v_subrev_u32_e32 v27, 28, v25
	v_sub_u32_e32 v25, 29, v25
	v_cmp_eq_u32_e64 s[0:1], 0, v16
	v_lshlrev_b64 v[30:31], v27, v[10:11]
	v_and_b32_e32 v27, 7, v30
	v_cndmask_b32_e64 v16, v16, v25, s[0:1]
	v_lshlrev_b32_e32 v10, 8, v10
	v_lshl_add_u32 v16, v16, 10, v39
	v_cndmask_b32_e64 v6, v6, v27, s[0:1]
	v_and_or_b32 v10, v10, s17, v16
	v_lshl_or_b32 v6, v6, 7, v10
	v_cvt_f32_f16_e32 v25, v6
.LBB305_707:                            ;   in Loop: Header=BB305_491 Depth=1
	s_or_b64 exec, exec, s[8:9]
	v_lshrrev_b32_e32 v10, 24, v18
	v_cmp_lt_i16_e64 s[0:1], s3, v10
	s_mov_b64 s[8:9], 0
                                        ; implicit-def: $sgpr26
	s_and_saveexec_b64 s[12:13], s[0:1]
	s_xor_b64 s[12:13], exec, s[12:13]
	s_cbranch_execnz .LBB305_933
; %bb.708:                              ;   in Loop: Header=BB305_491 Depth=1
	s_or_saveexec_b64 s[12:13], s[12:13]
	v_mov_b32_e32 v29, s26
	s_xor_b64 exec, exec, s[12:13]
	s_cbranch_execnz .LBB305_936
.LBB305_709:                            ;   in Loop: Header=BB305_491 Depth=1
	s_or_b64 exec, exec, s[12:13]
	s_and_saveexec_b64 s[12:13], s[8:9]
	s_cbranch_execz .LBB305_711
.LBB305_710:                            ;   in Loop: Header=BB305_491 Depth=1
	v_bfe_u32 v6, v18, 24, 3
	v_bfe_u32 v16, v18, 27, 4
	v_ffbh_u32_e32 v18, v6
	v_min_u32_e32 v18, 32, v18
	v_subrev_u32_e32 v27, 28, v18
	v_sub_u32_e32 v18, 29, v18
	v_cmp_eq_u32_e64 s[0:1], 0, v16
	v_lshlrev_b64 v[30:31], v27, v[10:11]
	v_and_b32_e32 v27, 7, v30
	v_cndmask_b32_e64 v16, v16, v18, s[0:1]
	v_lshlrev_b32_e32 v10, 8, v10
	v_lshl_add_u32 v16, v16, 10, v39
	v_cndmask_b32_e64 v6, v6, v27, s[0:1]
	v_and_or_b32 v10, v10, s17, v16
	v_lshl_or_b32 v6, v6, 7, v10
	v_cvt_f32_f16_e32 v29, v6
.LBB305_711:                            ;   in Loop: Header=BB305_491 Depth=1
	s_or_b64 exec, exec, s[12:13]
	v_cmp_gt_i16_sdwa s[8:9], v19, s3 src0_sel:BYTE_0 src1_sel:DWORD
	s_mov_b64 s[0:1], 0
                                        ; implicit-def: $sgpr20
	s_and_saveexec_b64 s[12:13], s[8:9]
	s_xor_b64 s[8:9], exec, s[12:13]
	s_cbranch_execnz .LBB305_937
; %bb.712:                              ;   in Loop: Header=BB305_491 Depth=1
	s_or_saveexec_b64 s[8:9], s[8:9]
	v_mov_b32_e32 v18, s20
	s_xor_b64 exec, exec, s[8:9]
	s_cbranch_execnz .LBB305_940
.LBB305_713:                            ;   in Loop: Header=BB305_491 Depth=1
	s_or_b64 exec, exec, s[8:9]
	v_mov_b32_e32 v10, v19
	s_and_saveexec_b64 s[8:9], s[0:1]
	s_cbranch_execz .LBB305_715
.LBB305_714:                            ;   in Loop: Header=BB305_491 Depth=1
	v_and_b32_e32 v6, 7, v19
	v_ffbh_u32_e32 v6, v6
	v_bfe_u32 v16, v19, 3, 4
	v_min_u32_e32 v6, 32, v6
	v_subrev_u32_e32 v18, 28, v6
	v_sub_u32_e32 v6, 29, v6
	v_cmp_eq_u32_e64 s[0:1], 0, v16
	s_nop 1
	v_cndmask_b32_e64 v6, v16, v6, s[0:1]
	v_cndmask_b32_e64 v16, 0, v18, s[0:1]
	v_lshlrev_b64 v[30:31], v16, v[10:11]
	v_lshlrev_b32_e32 v18, 8, v19
	v_lshl_add_u32 v6, v6, 10, v39
	v_lshlrev_b32_e32 v16, 7, v30
	v_and_or_b32 v6, v18, s17, v6
	v_and_or_b32 v6, v16, s22, v6
	v_cvt_f32_f16_e32 v18, v6
.LBB305_715:                            ;   in Loop: Header=BB305_491 Depth=1
	s_or_b64 exec, exec, s[8:9]
	v_lshrrev_b16_e32 v10, 8, v10
	v_cmp_lt_i16_e64 s[0:1], s3, v10
	s_mov_b64 s[8:9], 0
                                        ; implicit-def: $sgpr26
	s_and_saveexec_b64 s[12:13], s[0:1]
	s_xor_b64 s[12:13], exec, s[12:13]
	s_cbranch_execnz .LBB305_941
; %bb.716:                              ;   in Loop: Header=BB305_491 Depth=1
	s_or_saveexec_b64 s[12:13], s[12:13]
	v_mov_b32_e32 v27, s26
	s_xor_b64 exec, exec, s[12:13]
	s_cbranch_execnz .LBB305_944
.LBB305_717:                            ;   in Loop: Header=BB305_491 Depth=1
	s_or_b64 exec, exec, s[12:13]
	s_and_saveexec_b64 s[12:13], s[8:9]
	s_cbranch_execz .LBB305_719
.LBB305_718:                            ;   in Loop: Header=BB305_491 Depth=1
	v_and_b32_e32 v6, 7, v10
	v_ffbh_u32_e32 v27, v6
	v_bfe_u32 v16, v10, 3, 4
	v_min_u32_e32 v27, 32, v27
	v_subrev_u32_e32 v30, 28, v27
	v_sub_u32_e32 v27, 29, v27
	v_cmp_eq_u32_e64 s[0:1], 0, v16
	v_lshlrev_b64 v[30:31], v30, v[10:11]
	v_and_b32_e32 v30, 7, v30
	v_cndmask_b32_e64 v16, v16, v27, s[0:1]
	v_lshlrev_b32_e32 v10, 8, v10
	v_lshl_add_u32 v16, v16, 10, v39
	v_cndmask_b32_e64 v6, v6, v30, s[0:1]
	v_and_or_b32 v10, v10, s17, v16
	v_lshl_or_b32 v6, v6, 7, v10
	v_cvt_f32_f16_e32 v27, v6
.LBB305_719:                            ;   in Loop: Header=BB305_491 Depth=1
	s_or_b64 exec, exec, s[12:13]
	v_lshrrev_b32_e32 v10, 16, v19
	v_cmp_gt_i16_sdwa s[8:9], v10, s3 src0_sel:BYTE_0 src1_sel:DWORD
	s_mov_b64 s[0:1], 0
                                        ; implicit-def: $sgpr20
	s_and_saveexec_b64 s[12:13], s[8:9]
	s_xor_b64 s[8:9], exec, s[12:13]
	s_cbranch_execnz .LBB305_945
; %bb.720:                              ;   in Loop: Header=BB305_491 Depth=1
	s_or_saveexec_b64 s[8:9], s[8:9]
	v_mov_b32_e32 v6, s20
	s_xor_b64 exec, exec, s[8:9]
	s_cbranch_execnz .LBB305_948
.LBB305_721:                            ;   in Loop: Header=BB305_491 Depth=1
	s_or_b64 exec, exec, s[8:9]
	s_and_saveexec_b64 s[8:9], s[0:1]
	s_cbranch_execz .LBB305_723
.LBB305_722:                            ;   in Loop: Header=BB305_491 Depth=1
	v_bfe_u32 v6, v19, 16, 3
	v_ffbh_u32_e32 v30, v6
	v_min_u32_e32 v57, 32, v30
	v_subrev_u32_e32 v30, 28, v57
	v_bfe_u32 v16, v19, 19, 4
	v_lshlrev_b64 v[30:31], v30, v[10:11]
	v_sub_u32_e32 v31, 29, v57
	v_cmp_eq_u32_e64 s[0:1], 0, v16
	v_and_b32_e32 v30, 7, v30
	v_lshlrev_b32_e32 v10, 8, v10
	v_cndmask_b32_e64 v16, v16, v31, s[0:1]
	v_lshl_add_u32 v16, v16, 10, v39
	v_cndmask_b32_e64 v6, v6, v30, s[0:1]
	v_and_or_b32 v10, v10, s17, v16
	v_lshl_or_b32 v6, v6, 7, v10
	v_cvt_f32_f16_e32 v6, v6
.LBB305_723:                            ;   in Loop: Header=BB305_491 Depth=1
	s_or_b64 exec, exec, s[8:9]
	v_lshrrev_b32_e32 v10, 24, v19
	v_cmp_lt_i16_e64 s[0:1], s3, v10
	s_mov_b64 s[8:9], 0
                                        ; implicit-def: $sgpr26
	s_and_saveexec_b64 s[12:13], s[0:1]
	s_xor_b64 s[12:13], exec, s[12:13]
	s_cbranch_execnz .LBB305_949
; %bb.724:                              ;   in Loop: Header=BB305_491 Depth=1
	s_or_saveexec_b64 s[12:13], s[12:13]
	v_mov_b32_e32 v30, s26
	s_xor_b64 exec, exec, s[12:13]
	s_cbranch_execnz .LBB305_952
.LBB305_725:                            ;   in Loop: Header=BB305_491 Depth=1
	s_or_b64 exec, exec, s[12:13]
	s_and_saveexec_b64 s[12:13], s[8:9]
	s_cbranch_execz .LBB305_727
.LBB305_726:                            ;   in Loop: Header=BB305_491 Depth=1
	v_bfe_u32 v16, v19, 24, 3
	v_ffbh_u32_e32 v30, v16
	v_min_u32_e32 v57, 32, v30
	v_subrev_u32_e32 v30, 28, v57
	v_bfe_u32 v19, v19, 27, 4
	v_lshlrev_b64 v[30:31], v30, v[10:11]
	v_sub_u32_e32 v31, 29, v57
	v_cmp_eq_u32_e64 s[0:1], 0, v19
	v_and_b32_e32 v30, 7, v30
	v_lshlrev_b32_e32 v10, 8, v10
	v_cndmask_b32_e64 v19, v19, v31, s[0:1]
	v_lshl_add_u32 v19, v19, 10, v39
	v_cndmask_b32_e64 v16, v16, v30, s[0:1]
	v_and_or_b32 v10, v10, s17, v19
	v_lshl_or_b32 v10, v16, 7, v10
	v_cvt_f32_f16_e32 v30, v10
.LBB305_727:                            ;   in Loop: Header=BB305_491 Depth=1
	s_or_b64 exec, exec, s[12:13]
	s_waitcnt vmcnt(0) lgkmcnt(0)
	v_pk_mul_f32 v[28:29], v[12:13], v[28:29] op_sel_hi:[0,1]
	v_pk_mul_f32 v[24:25], v[12:13], v[24:25] op_sel_hi:[0,1]
	v_cvt_f16_f32_e32 v10, v29
	v_cvt_f16_f32_e32 v16, v28
	v_cvt_f16_f32_e32 v19, v25
	v_cvt_f16_f32_e32 v24, v24
	v_fma_mixlo_f16 v18, v12, v18, 0
	v_pack_b32_f16 v16, v16, v10
	v_pack_b32_f16 v19, v24, v19
	v_perm_b32 v10, v19, v16, s23
	v_perm_b32 v19, v19, v16, s24
	v_fma_mixlo_f16 v16, v12, v27, 0
	v_fma_mixlo_f16 v24, v12, v6, 0
	v_fma_mixlo_f16 v6, v12, v30, 0
	v_lshlrev_b32_e32 v16, 16, v16
	v_lshlrev_b32_e32 v6, 16, v6
	v_or_b32_sdwa v18, v16, v18 dst_sel:DWORD dst_unused:UNUSED_PAD src0_sel:DWORD src1_sel:WORD_0
	v_or_b32_sdwa v6, v6, v24 dst_sel:DWORD dst_unused:UNUSED_PAD src0_sel:DWORD src1_sel:WORD_0
	s_and_saveexec_b64 s[0:1], vcc
	s_cbranch_execz .LBB305_490
; %bb.728:                              ;   in Loop: Header=BB305_491 Depth=1
	v_lshrrev_b32_e32 v12, 16, v19
	v_cmp_lt_i32_e32 vcc, v54, v13
	v_accvgpr_read_b32 v28, a8
	v_lshrrev_b32_e32 v6, 16, v6
	v_cndmask_b32_e32 v12, 0, v12, vcc
	v_cmp_lt_i32_e32 vcc, v7, v28
	s_nop 1
	v_cndmask_b32_e32 v16, 0, v19, vcc
	v_perm_b32 v19, v12, v16, s25
	v_lshrrev_b32_e32 v12, 16, v10
	v_cmp_lt_i32_e32 vcc, v53, v13
	s_nop 1
	v_cndmask_b32_e32 v12, 0, v12, vcc
	v_cmp_lt_i32_e32 vcc, v52, v28
	s_nop 1
	v_cndmask_b32_e32 v10, 0, v10, vcc
	v_perm_b32 v10, v12, v10, s25
	v_lshrrev_b32_e32 v12, 16, v18
	v_cmp_lt_i32_e32 vcc, v51, v13
	s_nop 1
	v_cndmask_b32_e32 v12, 0, v12, vcc
	v_cmp_lt_i32_e32 vcc, v50, v28
	s_nop 1
	v_cndmask_b32_e32 v16, 0, v18, vcc
	v_cmp_lt_i32_e32 vcc, v49, v13
	v_perm_b32 v18, v12, v16, s25
	s_nop 0
	v_cndmask_b32_e32 v6, 0, v6, vcc
	v_cmp_lt_i32_e32 vcc, v48, v28
	s_nop 1
	v_cndmask_b32_e32 v12, 0, v24, vcc
	v_perm_b32 v6, v6, v12, s25
	s_branch .LBB305_490
.LBB305_729:                            ;   in Loop: Header=BB305_491 Depth=1
	v_cmp_eq_u16_sdwa s[26:27], v24, s15 src0_sel:BYTE_0 src1_sel:DWORD
	s_mov_b64 s[0:1], -1
                                        ; implicit-def: $sgpr20
	s_and_saveexec_b64 s[12:13], s[26:27]
; %bb.730:                              ;   in Loop: Header=BB305_491 Depth=1
	s_mov_b32 s20, 0x7fc02000
	s_xor_b64 s[0:1], exec, -1
; %bb.731:                              ;   in Loop: Header=BB305_491 Depth=1
	s_or_b64 exec, exec, s[12:13]
	s_and_b64 s[0:1], s[0:1], exec
	s_or_saveexec_b64 s[8:9], s[8:9]
	v_mov_b32_e32 v28, s20
	s_xor_b64 exec, exec, s[8:9]
	s_cbranch_execz .LBB305_493
.LBB305_732:                            ;   in Loop: Header=BB305_491 Depth=1
	v_cmp_ne_u16_sdwa s[12:13], v24, v11 src0_sel:BYTE_0 src1_sel:DWORD
	s_andn2_b64 s[0:1], s[0:1], exec
	s_and_b64 s[12:13], s[12:13], exec
	v_mov_b32_e32 v28, 0
	s_or_b64 s[0:1], s[0:1], s[12:13]
	s_or_b64 exec, exec, s[8:9]
	s_and_saveexec_b64 s[8:9], s[0:1]
	s_cbranch_execnz .LBB305_494
	s_branch .LBB305_495
.LBB305_733:                            ;   in Loop: Header=BB305_491 Depth=1
	v_cmp_eq_u16_e32 vcc, s15, v10
	s_mov_b64 s[0:1], -1
                                        ; implicit-def: $sgpr20
	s_and_saveexec_b64 s[12:13], vcc
; %bb.734:                              ;   in Loop: Header=BB305_491 Depth=1
	s_mov_b32 s20, 0x7fc02000
	s_xor_b64 s[0:1], exec, -1
; %bb.735:                              ;   in Loop: Header=BB305_491 Depth=1
	s_or_b64 exec, exec, s[12:13]
	s_and_b64 s[0:1], s[0:1], exec
	s_or_saveexec_b64 s[8:9], s[8:9]
	v_mov_b32_e32 v30, s20
	s_xor_b64 exec, exec, s[8:9]
	s_cbranch_execz .LBB305_497
.LBB305_736:                            ;   in Loop: Header=BB305_491 Depth=1
	v_cmp_ne_u16_e32 vcc, 0, v10
	s_andn2_b64 s[0:1], s[0:1], exec
	s_and_b64 s[12:13], vcc, exec
	v_mov_b32_e32 v30, 0
	s_or_b64 s[0:1], s[0:1], s[12:13]
	s_or_b64 exec, exec, s[8:9]
	s_and_saveexec_b64 s[8:9], s[0:1]
	s_cbranch_execnz .LBB305_498
	s_branch .LBB305_499
.LBB305_737:                            ;   in Loop: Header=BB305_491 Depth=1
	v_cmp_eq_u16_sdwa s[26:27], v10, s15 src0_sel:BYTE_0 src1_sel:DWORD
	s_mov_b64 s[0:1], -1
                                        ; implicit-def: $sgpr20
	s_and_saveexec_b64 s[12:13], s[26:27]
; %bb.738:                              ;   in Loop: Header=BB305_491 Depth=1
	s_mov_b32 s20, 0x7fc02000
	s_xor_b64 s[0:1], exec, -1
; %bb.739:                              ;   in Loop: Header=BB305_491 Depth=1
	s_or_b64 exec, exec, s[12:13]
	s_and_b64 s[0:1], s[0:1], exec
	s_or_saveexec_b64 s[8:9], s[8:9]
	v_mov_b32_e32 v29, s20
	s_xor_b64 exec, exec, s[8:9]
	s_cbranch_execz .LBB305_501
.LBB305_740:                            ;   in Loop: Header=BB305_491 Depth=1
	v_cmp_ne_u16_sdwa s[12:13], v10, v11 src0_sel:BYTE_0 src1_sel:DWORD
	s_andn2_b64 s[0:1], s[0:1], exec
	s_and_b64 s[12:13], s[12:13], exec
	v_mov_b32_e32 v29, 0
	s_or_b64 s[0:1], s[0:1], s[12:13]
	s_or_b64 exec, exec, s[8:9]
	s_and_saveexec_b64 s[8:9], s[0:1]
	s_cbranch_execnz .LBB305_502
	s_branch .LBB305_503
.LBB305_741:                            ;   in Loop: Header=BB305_491 Depth=1
	v_cmp_eq_u16_e32 vcc, s15, v10
	s_mov_b64 s[0:1], -1
                                        ; implicit-def: $sgpr20
	s_and_saveexec_b64 s[12:13], vcc
; %bb.742:                              ;   in Loop: Header=BB305_491 Depth=1
	s_mov_b32 s20, 0x7fc02000
	s_xor_b64 s[0:1], exec, -1
; %bb.743:                              ;   in Loop: Header=BB305_491 Depth=1
	s_or_b64 exec, exec, s[12:13]
	s_and_b64 s[0:1], s[0:1], exec
	s_or_saveexec_b64 s[8:9], s[8:9]
	v_mov_b32_e32 v31, s20
	s_xor_b64 exec, exec, s[8:9]
	s_cbranch_execz .LBB305_505
.LBB305_744:                            ;   in Loop: Header=BB305_491 Depth=1
	v_cmp_ne_u16_e32 vcc, 0, v10
	s_andn2_b64 s[0:1], s[0:1], exec
	s_and_b64 s[12:13], vcc, exec
	v_mov_b32_e32 v31, 0
	s_or_b64 s[0:1], s[0:1], s[12:13]
	s_or_b64 exec, exec, s[8:9]
	s_and_saveexec_b64 s[8:9], s[0:1]
	s_cbranch_execnz .LBB305_506
	s_branch .LBB305_507
.LBB305_745:                            ;   in Loop: Header=BB305_491 Depth=1
	v_cmp_eq_u16_sdwa s[26:27], v25, s15 src0_sel:BYTE_0 src1_sel:DWORD
	s_mov_b64 s[0:1], -1
                                        ; implicit-def: $sgpr20
	s_and_saveexec_b64 s[12:13], s[26:27]
; %bb.746:                              ;   in Loop: Header=BB305_491 Depth=1
	s_mov_b32 s20, 0x7fc02000
	s_xor_b64 s[0:1], exec, -1
; %bb.747:                              ;   in Loop: Header=BB305_491 Depth=1
	s_or_b64 exec, exec, s[12:13]
	s_and_b64 s[0:1], s[0:1], exec
	s_or_saveexec_b64 s[8:9], s[8:9]
	v_mov_b32_e32 v24, s20
	s_xor_b64 exec, exec, s[8:9]
	s_cbranch_execz .LBB305_509
.LBB305_748:                            ;   in Loop: Header=BB305_491 Depth=1
	v_cmp_ne_u16_sdwa s[12:13], v25, v11 src0_sel:BYTE_0 src1_sel:DWORD
	s_andn2_b64 s[0:1], s[0:1], exec
	s_and_b64 s[12:13], s[12:13], exec
	v_mov_b32_e32 v24, 0
	s_or_b64 s[0:1], s[0:1], s[12:13]
	s_or_b64 exec, exec, s[8:9]
	v_mov_b32_e32 v10, v25
	s_and_saveexec_b64 s[8:9], s[0:1]
	s_cbranch_execnz .LBB305_510
	s_branch .LBB305_511
.LBB305_749:                            ;   in Loop: Header=BB305_491 Depth=1
	v_cmp_eq_u16_e32 vcc, s15, v10
	s_mov_b64 s[0:1], -1
                                        ; implicit-def: $sgpr20
	s_and_saveexec_b64 s[12:13], vcc
; %bb.750:                              ;   in Loop: Header=BB305_491 Depth=1
	s_mov_b32 s20, 0x7fc02000
	s_xor_b64 s[0:1], exec, -1
; %bb.751:                              ;   in Loop: Header=BB305_491 Depth=1
	s_or_b64 exec, exec, s[12:13]
	s_and_b64 s[0:1], s[0:1], exec
	s_or_saveexec_b64 s[8:9], s[8:9]
	v_mov_b32_e32 v48, s20
	s_xor_b64 exec, exec, s[8:9]
	s_cbranch_execz .LBB305_513
.LBB305_752:                            ;   in Loop: Header=BB305_491 Depth=1
	v_cmp_ne_u16_e32 vcc, 0, v10
	s_andn2_b64 s[0:1], s[0:1], exec
	s_and_b64 s[12:13], vcc, exec
	v_mov_b32_e32 v48, 0
	s_or_b64 s[0:1], s[0:1], s[12:13]
	s_or_b64 exec, exec, s[8:9]
	s_and_saveexec_b64 s[8:9], s[0:1]
	s_cbranch_execnz .LBB305_514
	s_branch .LBB305_515
.LBB305_753:                            ;   in Loop: Header=BB305_491 Depth=1
	v_cmp_eq_u16_sdwa s[26:27], v10, s15 src0_sel:BYTE_0 src1_sel:DWORD
	s_mov_b64 s[0:1], -1
                                        ; implicit-def: $sgpr20
	s_and_saveexec_b64 s[12:13], s[26:27]
; %bb.754:                              ;   in Loop: Header=BB305_491 Depth=1
	s_mov_b32 s20, 0x7fc02000
	s_xor_b64 s[0:1], exec, -1
; %bb.755:                              ;   in Loop: Header=BB305_491 Depth=1
	s_or_b64 exec, exec, s[12:13]
	s_and_b64 s[0:1], s[0:1], exec
	s_or_saveexec_b64 s[8:9], s[8:9]
	v_mov_b32_e32 v6, s20
	s_xor_b64 exec, exec, s[8:9]
	s_cbranch_execz .LBB305_517
.LBB305_756:                            ;   in Loop: Header=BB305_491 Depth=1
	v_cmp_ne_u16_sdwa s[12:13], v10, v11 src0_sel:BYTE_0 src1_sel:DWORD
	s_andn2_b64 s[0:1], s[0:1], exec
	s_and_b64 s[12:13], s[12:13], exec
	v_mov_b32_e32 v6, 0
	s_or_b64 s[0:1], s[0:1], s[12:13]
	s_or_b64 exec, exec, s[8:9]
	s_and_saveexec_b64 s[8:9], s[0:1]
	s_cbranch_execnz .LBB305_518
	s_branch .LBB305_519
.LBB305_757:                            ;   in Loop: Header=BB305_491 Depth=1
	v_cmp_eq_u16_e32 vcc, s15, v10
	s_mov_b64 s[0:1], -1
                                        ; implicit-def: $sgpr20
	s_and_saveexec_b64 s[12:13], vcc
; %bb.758:                              ;   in Loop: Header=BB305_491 Depth=1
	s_mov_b32 s20, 0x7fc02000
	s_xor_b64 s[0:1], exec, -1
; %bb.759:                              ;   in Loop: Header=BB305_491 Depth=1
	s_or_b64 exec, exec, s[12:13]
	s_and_b64 s[0:1], s[0:1], exec
	s_or_saveexec_b64 s[8:9], s[8:9]
	v_mov_b32_e32 v49, s20
	s_xor_b64 exec, exec, s[8:9]
	s_cbranch_execz .LBB305_521
.LBB305_760:                            ;   in Loop: Header=BB305_491 Depth=1
	v_cmp_ne_u16_e32 vcc, 0, v10
	s_andn2_b64 s[0:1], s[0:1], exec
	s_and_b64 s[12:13], vcc, exec
	v_mov_b32_e32 v49, 0
	s_or_b64 s[0:1], s[0:1], s[12:13]
	s_or_b64 exec, exec, s[8:9]
	s_and_saveexec_b64 s[8:9], s[0:1]
	s_cbranch_execnz .LBB305_522
	s_branch .LBB305_523
.LBB305_761:                            ;   in Loop: Header=BB305_491 Depth=1
	v_cmp_eq_u16_sdwa s[26:27], v24, s15 src0_sel:BYTE_0 src1_sel:DWORD
	s_mov_b64 s[0:1], -1
                                        ; implicit-def: $sgpr20
	s_and_saveexec_b64 s[12:13], s[26:27]
; %bb.762:                              ;   in Loop: Header=BB305_491 Depth=1
	s_mov_b32 s20, 0x7fc02000
	s_xor_b64 s[0:1], exec, -1
; %bb.763:                              ;   in Loop: Header=BB305_491 Depth=1
	s_or_b64 exec, exec, s[12:13]
	s_and_b64 s[0:1], s[0:1], exec
	s_or_saveexec_b64 s[8:9], s[8:9]
	v_mov_b32_e32 v28, s20
	s_xor_b64 exec, exec, s[8:9]
	s_cbranch_execz .LBB305_527
.LBB305_764:                            ;   in Loop: Header=BB305_491 Depth=1
	v_cmp_ne_u16_sdwa s[12:13], v24, v11 src0_sel:BYTE_0 src1_sel:DWORD
	s_andn2_b64 s[0:1], s[0:1], exec
	s_and_b64 s[12:13], s[12:13], exec
	v_mov_b32_e32 v28, 0
	s_or_b64 s[0:1], s[0:1], s[12:13]
	s_or_b64 exec, exec, s[8:9]
	s_and_saveexec_b64 s[8:9], s[0:1]
	s_cbranch_execnz .LBB305_528
	s_branch .LBB305_529
.LBB305_765:                            ;   in Loop: Header=BB305_491 Depth=1
	v_cmp_eq_u16_e64 s[0:1], s15, v10
	s_mov_b64 s[8:9], -1
                                        ; implicit-def: $sgpr26
	s_and_saveexec_b64 s[20:21], s[0:1]
; %bb.766:                              ;   in Loop: Header=BB305_491 Depth=1
	s_mov_b32 s26, 0x7fc02000
	s_xor_b64 s[8:9], exec, -1
; %bb.767:                              ;   in Loop: Header=BB305_491 Depth=1
	s_or_b64 exec, exec, s[20:21]
	s_and_b64 s[8:9], s[8:9], exec
	s_or_saveexec_b64 s[12:13], s[12:13]
	v_mov_b32_e32 v30, s26
	s_xor_b64 exec, exec, s[12:13]
	s_cbranch_execz .LBB305_531
.LBB305_768:                            ;   in Loop: Header=BB305_491 Depth=1
	v_cmp_ne_u16_e64 s[0:1], 0, v10
	s_andn2_b64 s[8:9], s[8:9], exec
	s_and_b64 s[0:1], s[0:1], exec
	v_mov_b32_e32 v30, 0
	s_or_b64 s[8:9], s[8:9], s[0:1]
	s_or_b64 exec, exec, s[12:13]
	s_and_saveexec_b64 s[12:13], s[8:9]
	s_cbranch_execnz .LBB305_532
	s_branch .LBB305_533
.LBB305_769:                            ;   in Loop: Header=BB305_491 Depth=1
	v_cmp_eq_u16_sdwa s[26:27], v10, s15 src0_sel:BYTE_0 src1_sel:DWORD
	s_mov_b64 s[0:1], -1
                                        ; implicit-def: $sgpr20
	s_and_saveexec_b64 s[12:13], s[26:27]
; %bb.770:                              ;   in Loop: Header=BB305_491 Depth=1
	s_mov_b32 s20, 0x7fc02000
	s_xor_b64 s[0:1], exec, -1
; %bb.771:                              ;   in Loop: Header=BB305_491 Depth=1
	s_or_b64 exec, exec, s[12:13]
	s_and_b64 s[0:1], s[0:1], exec
	s_or_saveexec_b64 s[8:9], s[8:9]
	v_mov_b32_e32 v29, s20
	s_xor_b64 exec, exec, s[8:9]
	s_cbranch_execz .LBB305_535
.LBB305_772:                            ;   in Loop: Header=BB305_491 Depth=1
	v_cmp_ne_u16_sdwa s[12:13], v10, v11 src0_sel:BYTE_0 src1_sel:DWORD
	s_andn2_b64 s[0:1], s[0:1], exec
	s_and_b64 s[12:13], s[12:13], exec
	v_mov_b32_e32 v29, 0
	s_or_b64 s[0:1], s[0:1], s[12:13]
	s_or_b64 exec, exec, s[8:9]
	s_and_saveexec_b64 s[8:9], s[0:1]
	s_cbranch_execnz .LBB305_536
	s_branch .LBB305_537
.LBB305_773:                            ;   in Loop: Header=BB305_491 Depth=1
	v_cmp_eq_u16_e64 s[0:1], s15, v10
	s_mov_b64 s[8:9], -1
                                        ; implicit-def: $sgpr26
	s_and_saveexec_b64 s[20:21], s[0:1]
; %bb.774:                              ;   in Loop: Header=BB305_491 Depth=1
	s_mov_b32 s26, 0x7fc02000
	s_xor_b64 s[8:9], exec, -1
; %bb.775:                              ;   in Loop: Header=BB305_491 Depth=1
	s_or_b64 exec, exec, s[20:21]
	s_and_b64 s[8:9], s[8:9], exec
	s_or_saveexec_b64 s[12:13], s[12:13]
	v_mov_b32_e32 v31, s26
	s_xor_b64 exec, exec, s[12:13]
	s_cbranch_execz .LBB305_539
.LBB305_776:                            ;   in Loop: Header=BB305_491 Depth=1
	v_cmp_ne_u16_e64 s[0:1], 0, v10
	s_andn2_b64 s[8:9], s[8:9], exec
	s_and_b64 s[0:1], s[0:1], exec
	v_mov_b32_e32 v31, 0
	s_or_b64 s[8:9], s[8:9], s[0:1]
	s_or_b64 exec, exec, s[12:13]
	s_and_saveexec_b64 s[12:13], s[8:9]
	s_cbranch_execnz .LBB305_540
	s_branch .LBB305_541
.LBB305_777:                            ;   in Loop: Header=BB305_491 Depth=1
	v_cmp_eq_u16_sdwa s[26:27], v25, s15 src0_sel:BYTE_0 src1_sel:DWORD
	s_mov_b64 s[0:1], -1
                                        ; implicit-def: $sgpr20
	s_and_saveexec_b64 s[12:13], s[26:27]
; %bb.778:                              ;   in Loop: Header=BB305_491 Depth=1
	s_mov_b32 s20, 0x7fc02000
	s_xor_b64 s[0:1], exec, -1
; %bb.779:                              ;   in Loop: Header=BB305_491 Depth=1
	s_or_b64 exec, exec, s[12:13]
	s_and_b64 s[0:1], s[0:1], exec
	s_or_saveexec_b64 s[8:9], s[8:9]
	v_mov_b32_e32 v4, s20
	s_xor_b64 exec, exec, s[8:9]
	s_cbranch_execz .LBB305_543
.LBB305_780:                            ;   in Loop: Header=BB305_491 Depth=1
	v_cmp_ne_u16_sdwa s[12:13], v25, v11 src0_sel:BYTE_0 src1_sel:DWORD
	s_andn2_b64 s[0:1], s[0:1], exec
	s_and_b64 s[12:13], s[12:13], exec
	v_mov_b32_e32 v4, 0
	s_or_b64 s[0:1], s[0:1], s[12:13]
	s_or_b64 exec, exec, s[8:9]
	v_mov_b32_e32 v10, v25
	s_and_saveexec_b64 s[8:9], s[0:1]
	s_cbranch_execnz .LBB305_544
	s_branch .LBB305_545
.LBB305_781:                            ;   in Loop: Header=BB305_491 Depth=1
	v_cmp_eq_u16_e64 s[0:1], s15, v10
	s_mov_b64 s[8:9], -1
                                        ; implicit-def: $sgpr26
	s_and_saveexec_b64 s[20:21], s[0:1]
; %bb.782:                              ;   in Loop: Header=BB305_491 Depth=1
	s_mov_b32 s26, 0x7fc02000
	s_xor_b64 s[8:9], exec, -1
; %bb.783:                              ;   in Loop: Header=BB305_491 Depth=1
	s_or_b64 exec, exec, s[20:21]
	s_and_b64 s[8:9], s[8:9], exec
	s_or_saveexec_b64 s[12:13], s[12:13]
	v_mov_b32_e32 v5, s26
	s_xor_b64 exec, exec, s[12:13]
	s_cbranch_execz .LBB305_547
.LBB305_784:                            ;   in Loop: Header=BB305_491 Depth=1
	v_cmp_ne_u16_e64 s[0:1], 0, v10
	s_andn2_b64 s[8:9], s[8:9], exec
	s_and_b64 s[0:1], s[0:1], exec
	v_mov_b32_e32 v5, 0
	s_or_b64 s[8:9], s[8:9], s[0:1]
	s_or_b64 exec, exec, s[12:13]
	s_and_saveexec_b64 s[12:13], s[8:9]
	s_cbranch_execnz .LBB305_548
	s_branch .LBB305_549
.LBB305_785:                            ;   in Loop: Header=BB305_491 Depth=1
	v_cmp_eq_u16_sdwa s[26:27], v10, s15 src0_sel:BYTE_0 src1_sel:DWORD
	s_mov_b64 s[0:1], -1
                                        ; implicit-def: $sgpr20
	s_and_saveexec_b64 s[12:13], s[26:27]
; %bb.786:                              ;   in Loop: Header=BB305_491 Depth=1
	s_mov_b32 s20, 0x7fc02000
	s_xor_b64 s[0:1], exec, -1
; %bb.787:                              ;   in Loop: Header=BB305_491 Depth=1
	s_or_b64 exec, exec, s[12:13]
	s_and_b64 s[0:1], s[0:1], exec
	s_or_saveexec_b64 s[8:9], s[8:9]
	v_mov_b32_e32 v6, s20
	s_xor_b64 exec, exec, s[8:9]
	s_cbranch_execz .LBB305_551
.LBB305_788:                            ;   in Loop: Header=BB305_491 Depth=1
	v_cmp_ne_u16_sdwa s[12:13], v10, v11 src0_sel:BYTE_0 src1_sel:DWORD
	s_andn2_b64 s[0:1], s[0:1], exec
	s_and_b64 s[12:13], s[12:13], exec
	v_mov_b32_e32 v6, 0
	s_or_b64 s[0:1], s[0:1], s[12:13]
	s_or_b64 exec, exec, s[8:9]
	s_and_saveexec_b64 s[8:9], s[0:1]
	s_cbranch_execnz .LBB305_552
	s_branch .LBB305_553
.LBB305_789:                            ;   in Loop: Header=BB305_491 Depth=1
	v_cmp_eq_u16_e64 s[0:1], s15, v10
	s_mov_b64 s[8:9], -1
                                        ; implicit-def: $sgpr26
	s_and_saveexec_b64 s[20:21], s[0:1]
; %bb.790:                              ;   in Loop: Header=BB305_491 Depth=1
	s_mov_b32 s26, 0x7fc02000
	s_xor_b64 s[8:9], exec, -1
; %bb.791:                              ;   in Loop: Header=BB305_491 Depth=1
	s_or_b64 exec, exec, s[20:21]
	s_and_b64 s[8:9], s[8:9], exec
	s_or_saveexec_b64 s[12:13], s[12:13]
	v_mov_b32_e32 v22, s26
	s_xor_b64 exec, exec, s[12:13]
	s_cbranch_execz .LBB305_555
.LBB305_792:                            ;   in Loop: Header=BB305_491 Depth=1
	v_cmp_ne_u16_e64 s[0:1], 0, v10
	s_andn2_b64 s[8:9], s[8:9], exec
	s_and_b64 s[0:1], s[0:1], exec
	v_mov_b32_e32 v22, 0
	s_or_b64 s[8:9], s[8:9], s[0:1]
	s_or_b64 exec, exec, s[12:13]
	s_and_saveexec_b64 s[12:13], s[8:9]
	s_cbranch_execnz .LBB305_556
	s_branch .LBB305_557
.LBB305_793:                            ;   in Loop: Header=BB305_491 Depth=1
	v_cmp_eq_u16_sdwa s[26:27], v24, s15 src0_sel:BYTE_0 src1_sel:DWORD
	s_mov_b64 s[0:1], -1
                                        ; implicit-def: $sgpr20
	s_and_saveexec_b64 s[12:13], s[26:27]
; %bb.794:                              ;   in Loop: Header=BB305_491 Depth=1
	s_mov_b32 s20, 0x7fc02000
	s_xor_b64 s[0:1], exec, -1
; %bb.795:                              ;   in Loop: Header=BB305_491 Depth=1
	s_or_b64 exec, exec, s[12:13]
	s_and_b64 s[0:1], s[0:1], exec
	s_or_saveexec_b64 s[8:9], s[8:9]
	v_mov_b32_e32 v28, s20
	s_xor_b64 exec, exec, s[8:9]
	s_cbranch_execz .LBB305_561
.LBB305_796:                            ;   in Loop: Header=BB305_491 Depth=1
	v_cmp_ne_u16_sdwa s[12:13], v24, v11 src0_sel:BYTE_0 src1_sel:DWORD
	s_andn2_b64 s[0:1], s[0:1], exec
	s_and_b64 s[12:13], s[12:13], exec
	v_mov_b32_e32 v28, 0
	s_or_b64 s[0:1], s[0:1], s[12:13]
	s_or_b64 exec, exec, s[8:9]
	s_and_saveexec_b64 s[8:9], s[0:1]
	s_cbranch_execnz .LBB305_562
	s_branch .LBB305_563
.LBB305_797:                            ;   in Loop: Header=BB305_491 Depth=1
	v_cmp_eq_u16_e64 s[0:1], s15, v10
	s_mov_b64 s[8:9], -1
                                        ; implicit-def: $sgpr26
	s_and_saveexec_b64 s[20:21], s[0:1]
; %bb.798:                              ;   in Loop: Header=BB305_491 Depth=1
	s_mov_b32 s26, 0x7fc02000
	s_xor_b64 s[8:9], exec, -1
; %bb.799:                              ;   in Loop: Header=BB305_491 Depth=1
	s_or_b64 exec, exec, s[20:21]
	s_and_b64 s[8:9], s[8:9], exec
	s_or_saveexec_b64 s[12:13], s[12:13]
	v_mov_b32_e32 v30, s26
	s_xor_b64 exec, exec, s[12:13]
	s_cbranch_execz .LBB305_565
.LBB305_800:                            ;   in Loop: Header=BB305_491 Depth=1
	v_cmp_ne_u16_e64 s[0:1], 0, v10
	s_andn2_b64 s[8:9], s[8:9], exec
	s_and_b64 s[0:1], s[0:1], exec
	v_mov_b32_e32 v30, 0
	s_or_b64 s[8:9], s[8:9], s[0:1]
	s_or_b64 exec, exec, s[12:13]
	s_and_saveexec_b64 s[12:13], s[8:9]
	s_cbranch_execnz .LBB305_566
	s_branch .LBB305_567
.LBB305_801:                            ;   in Loop: Header=BB305_491 Depth=1
	v_cmp_eq_u16_sdwa s[26:27], v10, s15 src0_sel:BYTE_0 src1_sel:DWORD
	s_mov_b64 s[0:1], -1
                                        ; implicit-def: $sgpr20
	s_and_saveexec_b64 s[12:13], s[26:27]
; %bb.802:                              ;   in Loop: Header=BB305_491 Depth=1
	s_mov_b32 s20, 0x7fc02000
	s_xor_b64 s[0:1], exec, -1
; %bb.803:                              ;   in Loop: Header=BB305_491 Depth=1
	s_or_b64 exec, exec, s[12:13]
	s_and_b64 s[0:1], s[0:1], exec
	s_or_saveexec_b64 s[8:9], s[8:9]
	v_mov_b32_e32 v29, s20
	s_xor_b64 exec, exec, s[8:9]
	s_cbranch_execz .LBB305_569
.LBB305_804:                            ;   in Loop: Header=BB305_491 Depth=1
	v_cmp_ne_u16_sdwa s[12:13], v10, v11 src0_sel:BYTE_0 src1_sel:DWORD
	s_andn2_b64 s[0:1], s[0:1], exec
	s_and_b64 s[12:13], s[12:13], exec
	v_mov_b32_e32 v29, 0
	s_or_b64 s[0:1], s[0:1], s[12:13]
	s_or_b64 exec, exec, s[8:9]
	s_and_saveexec_b64 s[8:9], s[0:1]
	s_cbranch_execnz .LBB305_570
	s_branch .LBB305_571
.LBB305_805:                            ;   in Loop: Header=BB305_491 Depth=1
	v_cmp_eq_u16_e64 s[0:1], s15, v10
	s_mov_b64 s[8:9], -1
                                        ; implicit-def: $sgpr26
	s_and_saveexec_b64 s[20:21], s[0:1]
; %bb.806:                              ;   in Loop: Header=BB305_491 Depth=1
	s_mov_b32 s26, 0x7fc02000
	s_xor_b64 s[8:9], exec, -1
; %bb.807:                              ;   in Loop: Header=BB305_491 Depth=1
	s_or_b64 exec, exec, s[20:21]
	s_and_b64 s[8:9], s[8:9], exec
	s_or_saveexec_b64 s[12:13], s[12:13]
	v_mov_b32_e32 v31, s26
	s_xor_b64 exec, exec, s[12:13]
	s_cbranch_execz .LBB305_573
.LBB305_808:                            ;   in Loop: Header=BB305_491 Depth=1
	v_cmp_ne_u16_e64 s[0:1], 0, v10
	s_andn2_b64 s[8:9], s[8:9], exec
	s_and_b64 s[0:1], s[0:1], exec
	v_mov_b32_e32 v31, 0
	s_or_b64 s[8:9], s[8:9], s[0:1]
	s_or_b64 exec, exec, s[12:13]
	s_and_saveexec_b64 s[12:13], s[8:9]
	s_cbranch_execnz .LBB305_574
	s_branch .LBB305_575
.LBB305_809:                            ;   in Loop: Header=BB305_491 Depth=1
	v_cmp_eq_u16_sdwa s[26:27], v25, s15 src0_sel:BYTE_0 src1_sel:DWORD
	s_mov_b64 s[0:1], -1
                                        ; implicit-def: $sgpr20
	s_and_saveexec_b64 s[12:13], s[26:27]
; %bb.810:                              ;   in Loop: Header=BB305_491 Depth=1
	s_mov_b32 s20, 0x7fc02000
	s_xor_b64 s[0:1], exec, -1
; %bb.811:                              ;   in Loop: Header=BB305_491 Depth=1
	s_or_b64 exec, exec, s[12:13]
	s_and_b64 s[0:1], s[0:1], exec
	s_or_saveexec_b64 s[8:9], s[8:9]
	v_mov_b32_e32 v4, s20
	s_xor_b64 exec, exec, s[8:9]
	s_cbranch_execz .LBB305_577
.LBB305_812:                            ;   in Loop: Header=BB305_491 Depth=1
	v_cmp_ne_u16_sdwa s[12:13], v25, v11 src0_sel:BYTE_0 src1_sel:DWORD
	s_andn2_b64 s[0:1], s[0:1], exec
	s_and_b64 s[12:13], s[12:13], exec
	v_mov_b32_e32 v4, 0
	s_or_b64 s[0:1], s[0:1], s[12:13]
	s_or_b64 exec, exec, s[8:9]
	v_mov_b32_e32 v10, v25
	s_and_saveexec_b64 s[8:9], s[0:1]
	s_cbranch_execnz .LBB305_578
	s_branch .LBB305_579
.LBB305_813:                            ;   in Loop: Header=BB305_491 Depth=1
	v_cmp_eq_u16_e64 s[0:1], s15, v10
	s_mov_b64 s[8:9], -1
                                        ; implicit-def: $sgpr26
	s_and_saveexec_b64 s[20:21], s[0:1]
; %bb.814:                              ;   in Loop: Header=BB305_491 Depth=1
	s_mov_b32 s26, 0x7fc02000
	s_xor_b64 s[8:9], exec, -1
; %bb.815:                              ;   in Loop: Header=BB305_491 Depth=1
	s_or_b64 exec, exec, s[20:21]
	s_and_b64 s[8:9], s[8:9], exec
	s_or_saveexec_b64 s[12:13], s[12:13]
	v_mov_b32_e32 v5, s26
	s_xor_b64 exec, exec, s[12:13]
	s_cbranch_execz .LBB305_581
.LBB305_816:                            ;   in Loop: Header=BB305_491 Depth=1
	v_cmp_ne_u16_e64 s[0:1], 0, v10
	s_andn2_b64 s[8:9], s[8:9], exec
	s_and_b64 s[0:1], s[0:1], exec
	v_mov_b32_e32 v5, 0
	s_or_b64 s[8:9], s[8:9], s[0:1]
	s_or_b64 exec, exec, s[12:13]
	s_and_saveexec_b64 s[12:13], s[8:9]
	s_cbranch_execnz .LBB305_582
	s_branch .LBB305_583
.LBB305_817:                            ;   in Loop: Header=BB305_491 Depth=1
	v_cmp_eq_u16_sdwa s[26:27], v10, s15 src0_sel:BYTE_0 src1_sel:DWORD
	s_mov_b64 s[0:1], -1
                                        ; implicit-def: $sgpr20
	s_and_saveexec_b64 s[12:13], s[26:27]
; %bb.818:                              ;   in Loop: Header=BB305_491 Depth=1
	s_mov_b32 s20, 0x7fc02000
	s_xor_b64 s[0:1], exec, -1
; %bb.819:                              ;   in Loop: Header=BB305_491 Depth=1
	s_or_b64 exec, exec, s[12:13]
	s_and_b64 s[0:1], s[0:1], exec
	s_or_saveexec_b64 s[8:9], s[8:9]
	v_mov_b32_e32 v6, s20
	s_xor_b64 exec, exec, s[8:9]
	s_cbranch_execz .LBB305_585
.LBB305_820:                            ;   in Loop: Header=BB305_491 Depth=1
	v_cmp_ne_u16_sdwa s[12:13], v10, v11 src0_sel:BYTE_0 src1_sel:DWORD
	s_andn2_b64 s[0:1], s[0:1], exec
	s_and_b64 s[12:13], s[12:13], exec
	v_mov_b32_e32 v6, 0
	s_or_b64 s[0:1], s[0:1], s[12:13]
	s_or_b64 exec, exec, s[8:9]
	s_and_saveexec_b64 s[8:9], s[0:1]
	s_cbranch_execnz .LBB305_586
	s_branch .LBB305_587
.LBB305_821:                            ;   in Loop: Header=BB305_491 Depth=1
	v_cmp_eq_u16_e64 s[0:1], s15, v10
	s_mov_b64 s[8:9], -1
                                        ; implicit-def: $sgpr26
	s_and_saveexec_b64 s[20:21], s[0:1]
; %bb.822:                              ;   in Loop: Header=BB305_491 Depth=1
	s_mov_b32 s26, 0x7fc02000
	s_xor_b64 s[8:9], exec, -1
; %bb.823:                              ;   in Loop: Header=BB305_491 Depth=1
	s_or_b64 exec, exec, s[20:21]
	s_and_b64 s[8:9], s[8:9], exec
	s_or_saveexec_b64 s[12:13], s[12:13]
	v_mov_b32_e32 v22, s26
	s_xor_b64 exec, exec, s[12:13]
	s_cbranch_execz .LBB305_589
.LBB305_824:                            ;   in Loop: Header=BB305_491 Depth=1
	v_cmp_ne_u16_e64 s[0:1], 0, v10
	s_andn2_b64 s[8:9], s[8:9], exec
	s_and_b64 s[0:1], s[0:1], exec
	v_mov_b32_e32 v22, 0
	s_or_b64 s[8:9], s[8:9], s[0:1]
	s_or_b64 exec, exec, s[12:13]
	s_and_saveexec_b64 s[12:13], s[8:9]
	s_cbranch_execnz .LBB305_590
	s_branch .LBB305_591
.LBB305_825:                            ;   in Loop: Header=BB305_491 Depth=1
	v_cmp_eq_u16_sdwa s[26:27], v24, s15 src0_sel:BYTE_0 src1_sel:DWORD
	s_mov_b64 s[0:1], -1
                                        ; implicit-def: $sgpr20
	s_and_saveexec_b64 s[12:13], s[26:27]
; %bb.826:                              ;   in Loop: Header=BB305_491 Depth=1
	s_mov_b32 s20, 0x7fc02000
	s_xor_b64 s[0:1], exec, -1
; %bb.827:                              ;   in Loop: Header=BB305_491 Depth=1
	s_or_b64 exec, exec, s[12:13]
	s_and_b64 s[0:1], s[0:1], exec
	s_or_saveexec_b64 s[8:9], s[8:9]
	v_mov_b32_e32 v28, s20
	s_xor_b64 exec, exec, s[8:9]
	s_cbranch_execz .LBB305_595
.LBB305_828:                            ;   in Loop: Header=BB305_491 Depth=1
	v_cmp_ne_u16_sdwa s[12:13], v24, v11 src0_sel:BYTE_0 src1_sel:DWORD
	s_andn2_b64 s[0:1], s[0:1], exec
	s_and_b64 s[12:13], s[12:13], exec
	v_mov_b32_e32 v28, 0
	s_or_b64 s[0:1], s[0:1], s[12:13]
	s_or_b64 exec, exec, s[8:9]
	s_and_saveexec_b64 s[8:9], s[0:1]
	s_cbranch_execnz .LBB305_596
	s_branch .LBB305_597
.LBB305_829:                            ;   in Loop: Header=BB305_491 Depth=1
	v_cmp_eq_u16_e64 s[0:1], s15, v10
	s_mov_b64 s[8:9], -1
                                        ; implicit-def: $sgpr26
	s_and_saveexec_b64 s[20:21], s[0:1]
; %bb.830:                              ;   in Loop: Header=BB305_491 Depth=1
	s_mov_b32 s26, 0x7fc02000
	s_xor_b64 s[8:9], exec, -1
; %bb.831:                              ;   in Loop: Header=BB305_491 Depth=1
	s_or_b64 exec, exec, s[20:21]
	s_and_b64 s[8:9], s[8:9], exec
	s_or_saveexec_b64 s[12:13], s[12:13]
	v_mov_b32_e32 v30, s26
	s_xor_b64 exec, exec, s[12:13]
	s_cbranch_execz .LBB305_599
.LBB305_832:                            ;   in Loop: Header=BB305_491 Depth=1
	v_cmp_ne_u16_e64 s[0:1], 0, v10
	s_andn2_b64 s[8:9], s[8:9], exec
	s_and_b64 s[0:1], s[0:1], exec
	v_mov_b32_e32 v30, 0
	s_or_b64 s[8:9], s[8:9], s[0:1]
	s_or_b64 exec, exec, s[12:13]
	s_and_saveexec_b64 s[12:13], s[8:9]
	s_cbranch_execnz .LBB305_600
	s_branch .LBB305_601
.LBB305_833:                            ;   in Loop: Header=BB305_491 Depth=1
	v_cmp_eq_u16_sdwa s[26:27], v10, s15 src0_sel:BYTE_0 src1_sel:DWORD
	s_mov_b64 s[0:1], -1
                                        ; implicit-def: $sgpr20
	s_and_saveexec_b64 s[12:13], s[26:27]
; %bb.834:                              ;   in Loop: Header=BB305_491 Depth=1
	s_mov_b32 s20, 0x7fc02000
	s_xor_b64 s[0:1], exec, -1
; %bb.835:                              ;   in Loop: Header=BB305_491 Depth=1
	s_or_b64 exec, exec, s[12:13]
	s_and_b64 s[0:1], s[0:1], exec
	s_or_saveexec_b64 s[8:9], s[8:9]
	v_mov_b32_e32 v29, s20
	s_xor_b64 exec, exec, s[8:9]
	s_cbranch_execz .LBB305_603
.LBB305_836:                            ;   in Loop: Header=BB305_491 Depth=1
	v_cmp_ne_u16_sdwa s[12:13], v10, v11 src0_sel:BYTE_0 src1_sel:DWORD
	s_andn2_b64 s[0:1], s[0:1], exec
	s_and_b64 s[12:13], s[12:13], exec
	v_mov_b32_e32 v29, 0
	s_or_b64 s[0:1], s[0:1], s[12:13]
	s_or_b64 exec, exec, s[8:9]
	s_and_saveexec_b64 s[8:9], s[0:1]
	s_cbranch_execnz .LBB305_604
	s_branch .LBB305_605
.LBB305_837:                            ;   in Loop: Header=BB305_491 Depth=1
	v_cmp_eq_u16_e64 s[0:1], s15, v10
	s_mov_b64 s[8:9], -1
                                        ; implicit-def: $sgpr26
	s_and_saveexec_b64 s[20:21], s[0:1]
; %bb.838:                              ;   in Loop: Header=BB305_491 Depth=1
	s_mov_b32 s26, 0x7fc02000
	s_xor_b64 s[8:9], exec, -1
; %bb.839:                              ;   in Loop: Header=BB305_491 Depth=1
	s_or_b64 exec, exec, s[20:21]
	s_and_b64 s[8:9], s[8:9], exec
	s_or_saveexec_b64 s[12:13], s[12:13]
	v_mov_b32_e32 v31, s26
	s_xor_b64 exec, exec, s[12:13]
	s_cbranch_execz .LBB305_607
.LBB305_840:                            ;   in Loop: Header=BB305_491 Depth=1
	v_cmp_ne_u16_e64 s[0:1], 0, v10
	s_andn2_b64 s[8:9], s[8:9], exec
	s_and_b64 s[0:1], s[0:1], exec
	v_mov_b32_e32 v31, 0
	s_or_b64 s[8:9], s[8:9], s[0:1]
	s_or_b64 exec, exec, s[12:13]
	s_and_saveexec_b64 s[12:13], s[8:9]
	s_cbranch_execnz .LBB305_608
	s_branch .LBB305_609
.LBB305_841:                            ;   in Loop: Header=BB305_491 Depth=1
	v_cmp_eq_u16_sdwa s[26:27], v25, s15 src0_sel:BYTE_0 src1_sel:DWORD
	s_mov_b64 s[0:1], -1
                                        ; implicit-def: $sgpr20
	s_and_saveexec_b64 s[12:13], s[26:27]
; %bb.842:                              ;   in Loop: Header=BB305_491 Depth=1
	s_mov_b32 s20, 0x7fc02000
	s_xor_b64 s[0:1], exec, -1
; %bb.843:                              ;   in Loop: Header=BB305_491 Depth=1
	s_or_b64 exec, exec, s[12:13]
	s_and_b64 s[0:1], s[0:1], exec
	s_or_saveexec_b64 s[8:9], s[8:9]
	v_mov_b32_e32 v17, s20
	s_xor_b64 exec, exec, s[8:9]
	s_cbranch_execz .LBB305_611
.LBB305_844:                            ;   in Loop: Header=BB305_491 Depth=1
	v_cmp_ne_u16_sdwa s[12:13], v25, v11 src0_sel:BYTE_0 src1_sel:DWORD
	s_andn2_b64 s[0:1], s[0:1], exec
	s_and_b64 s[12:13], s[12:13], exec
	v_mov_b32_e32 v17, 0
	s_or_b64 s[0:1], s[0:1], s[12:13]
	s_or_b64 exec, exec, s[8:9]
	v_mov_b32_e32 v10, v25
	s_and_saveexec_b64 s[8:9], s[0:1]
	s_cbranch_execnz .LBB305_612
	s_branch .LBB305_613
.LBB305_845:                            ;   in Loop: Header=BB305_491 Depth=1
	v_cmp_eq_u16_e64 s[0:1], s15, v10
	s_mov_b64 s[8:9], -1
                                        ; implicit-def: $sgpr26
	s_and_saveexec_b64 s[20:21], s[0:1]
; %bb.846:                              ;   in Loop: Header=BB305_491 Depth=1
	s_mov_b32 s26, 0x7fc02000
	s_xor_b64 s[8:9], exec, -1
; %bb.847:                              ;   in Loop: Header=BB305_491 Depth=1
	s_or_b64 exec, exec, s[20:21]
	s_and_b64 s[8:9], s[8:9], exec
	s_or_saveexec_b64 s[12:13], s[12:13]
	v_mov_b32_e32 v22, s26
	s_xor_b64 exec, exec, s[12:13]
	s_cbranch_execz .LBB305_615
.LBB305_848:                            ;   in Loop: Header=BB305_491 Depth=1
	v_cmp_ne_u16_e64 s[0:1], 0, v10
	s_andn2_b64 s[8:9], s[8:9], exec
	s_and_b64 s[0:1], s[0:1], exec
	v_mov_b32_e32 v22, 0
	s_or_b64 s[8:9], s[8:9], s[0:1]
	s_or_b64 exec, exec, s[12:13]
	s_and_saveexec_b64 s[12:13], s[8:9]
	s_cbranch_execnz .LBB305_616
	s_branch .LBB305_617
.LBB305_849:                            ;   in Loop: Header=BB305_491 Depth=1
	v_cmp_eq_u16_sdwa s[26:27], v10, s15 src0_sel:BYTE_0 src1_sel:DWORD
	s_mov_b64 s[0:1], -1
                                        ; implicit-def: $sgpr20
	s_and_saveexec_b64 s[12:13], s[26:27]
; %bb.850:                              ;   in Loop: Header=BB305_491 Depth=1
	s_mov_b32 s20, 0x7fc02000
	s_xor_b64 s[0:1], exec, -1
; %bb.851:                              ;   in Loop: Header=BB305_491 Depth=1
	s_or_b64 exec, exec, s[12:13]
	s_and_b64 s[0:1], s[0:1], exec
	s_or_saveexec_b64 s[8:9], s[8:9]
	v_mov_b32_e32 v6, s20
	s_xor_b64 exec, exec, s[8:9]
	s_cbranch_execz .LBB305_619
.LBB305_852:                            ;   in Loop: Header=BB305_491 Depth=1
	v_cmp_ne_u16_sdwa s[12:13], v10, v11 src0_sel:BYTE_0 src1_sel:DWORD
	s_andn2_b64 s[0:1], s[0:1], exec
	s_and_b64 s[12:13], s[12:13], exec
	v_mov_b32_e32 v6, 0
	s_or_b64 s[0:1], s[0:1], s[12:13]
	s_or_b64 exec, exec, s[8:9]
	s_and_saveexec_b64 s[8:9], s[0:1]
	s_cbranch_execnz .LBB305_620
	s_branch .LBB305_621
.LBB305_853:                            ;   in Loop: Header=BB305_491 Depth=1
	v_cmp_eq_u16_e64 s[0:1], s15, v10
	s_mov_b64 s[8:9], -1
                                        ; implicit-def: $sgpr26
	s_and_saveexec_b64 s[20:21], s[0:1]
; %bb.854:                              ;   in Loop: Header=BB305_491 Depth=1
	s_mov_b32 s26, 0x7fc02000
	s_xor_b64 s[8:9], exec, -1
; %bb.855:                              ;   in Loop: Header=BB305_491 Depth=1
	s_or_b64 exec, exec, s[20:21]
	s_and_b64 s[8:9], s[8:9], exec
	s_or_saveexec_b64 s[12:13], s[12:13]
	v_mov_b32_e32 v26, s26
	s_xor_b64 exec, exec, s[12:13]
	s_cbranch_execz .LBB305_623
.LBB305_856:                            ;   in Loop: Header=BB305_491 Depth=1
	v_cmp_ne_u16_e64 s[0:1], 0, v10
	s_andn2_b64 s[8:9], s[8:9], exec
	s_and_b64 s[0:1], s[0:1], exec
	v_mov_b32_e32 v26, 0
	s_or_b64 s[8:9], s[8:9], s[0:1]
	s_or_b64 exec, exec, s[12:13]
	s_and_saveexec_b64 s[12:13], s[8:9]
	s_cbranch_execnz .LBB305_624
	s_branch .LBB305_625
.LBB305_857:                            ;   in Loop: Header=BB305_491 Depth=1
	v_cmp_eq_u16_sdwa s[26:27], v24, s15 src0_sel:BYTE_0 src1_sel:DWORD
	s_mov_b64 s[0:1], -1
                                        ; implicit-def: $sgpr20
	s_and_saveexec_b64 s[12:13], s[26:27]
; %bb.858:                              ;   in Loop: Header=BB305_491 Depth=1
	s_mov_b32 s20, 0x7fc02000
	s_xor_b64 s[0:1], exec, -1
; %bb.859:                              ;   in Loop: Header=BB305_491 Depth=1
	s_or_b64 exec, exec, s[12:13]
	s_and_b64 s[0:1], s[0:1], exec
	s_or_saveexec_b64 s[8:9], s[8:9]
	v_mov_b32_e32 v28, s20
	s_xor_b64 exec, exec, s[8:9]
	s_cbranch_execz .LBB305_629
.LBB305_860:                            ;   in Loop: Header=BB305_491 Depth=1
	v_cmp_ne_u16_sdwa s[12:13], v24, v11 src0_sel:BYTE_0 src1_sel:DWORD
	s_andn2_b64 s[0:1], s[0:1], exec
	s_and_b64 s[12:13], s[12:13], exec
	v_mov_b32_e32 v28, 0
	s_or_b64 s[0:1], s[0:1], s[12:13]
	s_or_b64 exec, exec, s[8:9]
	s_and_saveexec_b64 s[8:9], s[0:1]
	s_cbranch_execnz .LBB305_630
	s_branch .LBB305_631
.LBB305_861:                            ;   in Loop: Header=BB305_491 Depth=1
	v_cmp_eq_u16_e64 s[0:1], s15, v10
	s_mov_b64 s[8:9], -1
                                        ; implicit-def: $sgpr26
	s_and_saveexec_b64 s[20:21], s[0:1]
; %bb.862:                              ;   in Loop: Header=BB305_491 Depth=1
	s_mov_b32 s26, 0x7fc02000
	s_xor_b64 s[8:9], exec, -1
; %bb.863:                              ;   in Loop: Header=BB305_491 Depth=1
	s_or_b64 exec, exec, s[20:21]
	s_and_b64 s[8:9], s[8:9], exec
	s_or_saveexec_b64 s[12:13], s[12:13]
	v_mov_b32_e32 v30, s26
	s_xor_b64 exec, exec, s[12:13]
	s_cbranch_execz .LBB305_633
.LBB305_864:                            ;   in Loop: Header=BB305_491 Depth=1
	v_cmp_ne_u16_e64 s[0:1], 0, v10
	s_andn2_b64 s[8:9], s[8:9], exec
	s_and_b64 s[0:1], s[0:1], exec
	v_mov_b32_e32 v30, 0
	s_or_b64 s[8:9], s[8:9], s[0:1]
	s_or_b64 exec, exec, s[12:13]
	s_and_saveexec_b64 s[12:13], s[8:9]
	s_cbranch_execnz .LBB305_634
	s_branch .LBB305_635
.LBB305_865:                            ;   in Loop: Header=BB305_491 Depth=1
	v_cmp_eq_u16_sdwa s[26:27], v10, s15 src0_sel:BYTE_0 src1_sel:DWORD
	s_mov_b64 s[0:1], -1
                                        ; implicit-def: $sgpr20
	s_and_saveexec_b64 s[12:13], s[26:27]
; %bb.866:                              ;   in Loop: Header=BB305_491 Depth=1
	s_mov_b32 s20, 0x7fc02000
	s_xor_b64 s[0:1], exec, -1
; %bb.867:                              ;   in Loop: Header=BB305_491 Depth=1
	s_or_b64 exec, exec, s[12:13]
	s_and_b64 s[0:1], s[0:1], exec
	s_or_saveexec_b64 s[8:9], s[8:9]
	v_mov_b32_e32 v29, s20
	s_xor_b64 exec, exec, s[8:9]
	s_cbranch_execz .LBB305_637
.LBB305_868:                            ;   in Loop: Header=BB305_491 Depth=1
	v_cmp_ne_u16_sdwa s[12:13], v10, v11 src0_sel:BYTE_0 src1_sel:DWORD
	s_andn2_b64 s[0:1], s[0:1], exec
	s_and_b64 s[12:13], s[12:13], exec
	v_mov_b32_e32 v29, 0
	s_or_b64 s[0:1], s[0:1], s[12:13]
	s_or_b64 exec, exec, s[8:9]
	s_and_saveexec_b64 s[8:9], s[0:1]
	s_cbranch_execnz .LBB305_638
	s_branch .LBB305_639
.LBB305_869:                            ;   in Loop: Header=BB305_491 Depth=1
	v_cmp_eq_u16_e64 s[0:1], s15, v10
	s_mov_b64 s[8:9], -1
                                        ; implicit-def: $sgpr26
	s_and_saveexec_b64 s[20:21], s[0:1]
; %bb.870:                              ;   in Loop: Header=BB305_491 Depth=1
	s_mov_b32 s26, 0x7fc02000
	s_xor_b64 s[8:9], exec, -1
; %bb.871:                              ;   in Loop: Header=BB305_491 Depth=1
	s_or_b64 exec, exec, s[20:21]
	s_and_b64 s[8:9], s[8:9], exec
	s_or_saveexec_b64 s[12:13], s[12:13]
	v_mov_b32_e32 v31, s26
	s_xor_b64 exec, exec, s[12:13]
	s_cbranch_execz .LBB305_641
.LBB305_872:                            ;   in Loop: Header=BB305_491 Depth=1
	v_cmp_ne_u16_e64 s[0:1], 0, v10
	s_andn2_b64 s[8:9], s[8:9], exec
	s_and_b64 s[0:1], s[0:1], exec
	v_mov_b32_e32 v31, 0
	s_or_b64 s[8:9], s[8:9], s[0:1]
	s_or_b64 exec, exec, s[12:13]
	s_and_saveexec_b64 s[12:13], s[8:9]
	s_cbranch_execnz .LBB305_642
	s_branch .LBB305_643
.LBB305_873:                            ;   in Loop: Header=BB305_491 Depth=1
	v_cmp_eq_u16_sdwa s[26:27], v25, s15 src0_sel:BYTE_0 src1_sel:DWORD
	s_mov_b64 s[0:1], -1
                                        ; implicit-def: $sgpr20
	s_and_saveexec_b64 s[12:13], s[26:27]
; %bb.874:                              ;   in Loop: Header=BB305_491 Depth=1
	s_mov_b32 s20, 0x7fc02000
	s_xor_b64 s[0:1], exec, -1
; %bb.875:                              ;   in Loop: Header=BB305_491 Depth=1
	s_or_b64 exec, exec, s[12:13]
	s_and_b64 s[0:1], s[0:1], exec
	s_or_saveexec_b64 s[8:9], s[8:9]
	v_mov_b32_e32 v22, s20
	s_xor_b64 exec, exec, s[8:9]
	s_cbranch_execz .LBB305_645
.LBB305_876:                            ;   in Loop: Header=BB305_491 Depth=1
	v_cmp_ne_u16_sdwa s[12:13], v25, v11 src0_sel:BYTE_0 src1_sel:DWORD
	s_andn2_b64 s[0:1], s[0:1], exec
	s_and_b64 s[12:13], s[12:13], exec
	v_mov_b32_e32 v22, 0
	s_or_b64 s[0:1], s[0:1], s[12:13]
	s_or_b64 exec, exec, s[8:9]
	v_mov_b32_e32 v10, v25
	s_and_saveexec_b64 s[8:9], s[0:1]
	s_cbranch_execnz .LBB305_646
	s_branch .LBB305_647
.LBB305_877:                            ;   in Loop: Header=BB305_491 Depth=1
	v_cmp_eq_u16_e64 s[0:1], s15, v10
	s_mov_b64 s[8:9], -1
                                        ; implicit-def: $sgpr26
	s_and_saveexec_b64 s[20:21], s[0:1]
; %bb.878:                              ;   in Loop: Header=BB305_491 Depth=1
	s_mov_b32 s26, 0x7fc02000
	s_xor_b64 s[8:9], exec, -1
; %bb.879:                              ;   in Loop: Header=BB305_491 Depth=1
	s_or_b64 exec, exec, s[20:21]
	s_and_b64 s[8:9], s[8:9], exec
	s_or_saveexec_b64 s[12:13], s[12:13]
	v_mov_b32_e32 v24, s26
	s_xor_b64 exec, exec, s[12:13]
	s_cbranch_execz .LBB305_649
.LBB305_880:                            ;   in Loop: Header=BB305_491 Depth=1
	v_cmp_ne_u16_e64 s[0:1], 0, v10
	s_andn2_b64 s[8:9], s[8:9], exec
	s_and_b64 s[0:1], s[0:1], exec
	v_mov_b32_e32 v24, 0
	s_or_b64 s[8:9], s[8:9], s[0:1]
	s_or_b64 exec, exec, s[12:13]
	s_and_saveexec_b64 s[12:13], s[8:9]
	s_cbranch_execnz .LBB305_650
	s_branch .LBB305_651
.LBB305_881:                            ;   in Loop: Header=BB305_491 Depth=1
	v_cmp_eq_u16_sdwa s[26:27], v10, s15 src0_sel:BYTE_0 src1_sel:DWORD
	s_mov_b64 s[0:1], -1
                                        ; implicit-def: $sgpr20
	s_and_saveexec_b64 s[12:13], s[26:27]
; %bb.882:                              ;   in Loop: Header=BB305_491 Depth=1
	s_mov_b32 s20, 0x7fc02000
	s_xor_b64 s[0:1], exec, -1
; %bb.883:                              ;   in Loop: Header=BB305_491 Depth=1
	s_or_b64 exec, exec, s[12:13]
	s_and_b64 s[0:1], s[0:1], exec
	s_or_saveexec_b64 s[8:9], s[8:9]
	v_mov_b32_e32 v6, s20
	s_xor_b64 exec, exec, s[8:9]
	s_cbranch_execz .LBB305_653
.LBB305_884:                            ;   in Loop: Header=BB305_491 Depth=1
	v_cmp_ne_u16_sdwa s[12:13], v10, v11 src0_sel:BYTE_0 src1_sel:DWORD
	s_andn2_b64 s[0:1], s[0:1], exec
	s_and_b64 s[12:13], s[12:13], exec
	v_mov_b32_e32 v6, 0
	s_or_b64 s[0:1], s[0:1], s[12:13]
	s_or_b64 exec, exec, s[8:9]
	s_and_saveexec_b64 s[8:9], s[0:1]
	s_cbranch_execnz .LBB305_654
	s_branch .LBB305_655
.LBB305_885:                            ;   in Loop: Header=BB305_491 Depth=1
	v_cmp_eq_u16_e64 s[0:1], s15, v10
	s_mov_b64 s[8:9], -1
                                        ; implicit-def: $sgpr26
	s_and_saveexec_b64 s[20:21], s[0:1]
; %bb.886:                              ;   in Loop: Header=BB305_491 Depth=1
	s_mov_b32 s26, 0x7fc02000
	s_xor_b64 s[8:9], exec, -1
; %bb.887:                              ;   in Loop: Header=BB305_491 Depth=1
	s_or_b64 exec, exec, s[20:21]
	s_and_b64 s[8:9], s[8:9], exec
	s_or_saveexec_b64 s[12:13], s[12:13]
	v_mov_b32_e32 v26, s26
	s_xor_b64 exec, exec, s[12:13]
	s_cbranch_execz .LBB305_657
.LBB305_888:                            ;   in Loop: Header=BB305_491 Depth=1
	v_cmp_ne_u16_e64 s[0:1], 0, v10
	s_andn2_b64 s[8:9], s[8:9], exec
	s_and_b64 s[0:1], s[0:1], exec
	v_mov_b32_e32 v26, 0
	s_or_b64 s[8:9], s[8:9], s[0:1]
	s_or_b64 exec, exec, s[12:13]
	s_and_saveexec_b64 s[12:13], s[8:9]
	s_cbranch_execnz .LBB305_658
	s_branch .LBB305_659
.LBB305_889:                            ;   in Loop: Header=BB305_491 Depth=1
	v_cmp_eq_u16_sdwa s[26:27], v24, s15 src0_sel:BYTE_0 src1_sel:DWORD
	s_mov_b64 s[0:1], -1
                                        ; implicit-def: $sgpr20
	s_and_saveexec_b64 s[12:13], s[26:27]
; %bb.890:                              ;   in Loop: Header=BB305_491 Depth=1
	s_mov_b32 s20, 0x7fc02000
	s_xor_b64 s[0:1], exec, -1
; %bb.891:                              ;   in Loop: Header=BB305_491 Depth=1
	s_or_b64 exec, exec, s[12:13]
	s_and_b64 s[0:1], s[0:1], exec
	s_or_saveexec_b64 s[8:9], s[8:9]
	v_mov_b32_e32 v28, s20
	s_xor_b64 exec, exec, s[8:9]
	s_cbranch_execz .LBB305_663
.LBB305_892:                            ;   in Loop: Header=BB305_491 Depth=1
	v_cmp_ne_u16_sdwa s[12:13], v24, v11 src0_sel:BYTE_0 src1_sel:DWORD
	s_andn2_b64 s[0:1], s[0:1], exec
	s_and_b64 s[12:13], s[12:13], exec
	v_mov_b32_e32 v28, 0
	s_or_b64 s[0:1], s[0:1], s[12:13]
	s_or_b64 exec, exec, s[8:9]
	s_and_saveexec_b64 s[8:9], s[0:1]
	s_cbranch_execnz .LBB305_664
	s_branch .LBB305_665
.LBB305_893:                            ;   in Loop: Header=BB305_491 Depth=1
	v_cmp_eq_u16_e64 s[0:1], s15, v10
	s_mov_b64 s[8:9], -1
                                        ; implicit-def: $sgpr26
	s_and_saveexec_b64 s[20:21], s[0:1]
; %bb.894:                              ;   in Loop: Header=BB305_491 Depth=1
	s_mov_b32 s26, 0x7fc02000
	s_xor_b64 s[8:9], exec, -1
; %bb.895:                              ;   in Loop: Header=BB305_491 Depth=1
	s_or_b64 exec, exec, s[20:21]
	s_and_b64 s[8:9], s[8:9], exec
	s_or_saveexec_b64 s[12:13], s[12:13]
	v_mov_b32_e32 v30, s26
	s_xor_b64 exec, exec, s[12:13]
	s_cbranch_execz .LBB305_667
.LBB305_896:                            ;   in Loop: Header=BB305_491 Depth=1
	v_cmp_ne_u16_e64 s[0:1], 0, v10
	s_andn2_b64 s[8:9], s[8:9], exec
	s_and_b64 s[0:1], s[0:1], exec
	v_mov_b32_e32 v30, 0
	s_or_b64 s[8:9], s[8:9], s[0:1]
	s_or_b64 exec, exec, s[12:13]
	s_and_saveexec_b64 s[12:13], s[8:9]
	s_cbranch_execnz .LBB305_668
	s_branch .LBB305_669
.LBB305_897:                            ;   in Loop: Header=BB305_491 Depth=1
	v_cmp_eq_u16_sdwa s[26:27], v10, s15 src0_sel:BYTE_0 src1_sel:DWORD
	s_mov_b64 s[0:1], -1
                                        ; implicit-def: $sgpr20
	s_and_saveexec_b64 s[12:13], s[26:27]
; %bb.898:                              ;   in Loop: Header=BB305_491 Depth=1
	s_mov_b32 s20, 0x7fc02000
	s_xor_b64 s[0:1], exec, -1
; %bb.899:                              ;   in Loop: Header=BB305_491 Depth=1
	s_or_b64 exec, exec, s[12:13]
	s_and_b64 s[0:1], s[0:1], exec
	s_or_saveexec_b64 s[8:9], s[8:9]
	v_mov_b32_e32 v29, s20
	s_xor_b64 exec, exec, s[8:9]
	s_cbranch_execz .LBB305_671
.LBB305_900:                            ;   in Loop: Header=BB305_491 Depth=1
	v_cmp_ne_u16_sdwa s[12:13], v10, v11 src0_sel:BYTE_0 src1_sel:DWORD
	s_andn2_b64 s[0:1], s[0:1], exec
	s_and_b64 s[12:13], s[12:13], exec
	v_mov_b32_e32 v29, 0
	s_or_b64 s[0:1], s[0:1], s[12:13]
	s_or_b64 exec, exec, s[8:9]
	s_and_saveexec_b64 s[8:9], s[0:1]
	s_cbranch_execnz .LBB305_672
	s_branch .LBB305_673
.LBB305_901:                            ;   in Loop: Header=BB305_491 Depth=1
	v_cmp_eq_u16_e64 s[0:1], s15, v10
	s_mov_b64 s[8:9], -1
                                        ; implicit-def: $sgpr26
	s_and_saveexec_b64 s[20:21], s[0:1]
; %bb.902:                              ;   in Loop: Header=BB305_491 Depth=1
	s_mov_b32 s26, 0x7fc02000
	s_xor_b64 s[8:9], exec, -1
; %bb.903:                              ;   in Loop: Header=BB305_491 Depth=1
	s_or_b64 exec, exec, s[20:21]
	s_and_b64 s[8:9], s[8:9], exec
	s_or_saveexec_b64 s[12:13], s[12:13]
	v_mov_b32_e32 v31, s26
	s_xor_b64 exec, exec, s[12:13]
	s_cbranch_execz .LBB305_675
.LBB305_904:                            ;   in Loop: Header=BB305_491 Depth=1
	v_cmp_ne_u16_e64 s[0:1], 0, v10
	s_andn2_b64 s[8:9], s[8:9], exec
	s_and_b64 s[0:1], s[0:1], exec
	v_mov_b32_e32 v31, 0
	s_or_b64 s[8:9], s[8:9], s[0:1]
	s_or_b64 exec, exec, s[12:13]
	s_and_saveexec_b64 s[12:13], s[8:9]
	s_cbranch_execnz .LBB305_676
	s_branch .LBB305_677
.LBB305_905:                            ;   in Loop: Header=BB305_491 Depth=1
	v_cmp_eq_u16_sdwa s[26:27], v25, s15 src0_sel:BYTE_0 src1_sel:DWORD
	s_mov_b64 s[0:1], -1
                                        ; implicit-def: $sgpr20
	s_and_saveexec_b64 s[12:13], s[26:27]
; %bb.906:                              ;   in Loop: Header=BB305_491 Depth=1
	s_mov_b32 s20, 0x7fc02000
	s_xor_b64 s[0:1], exec, -1
; %bb.907:                              ;   in Loop: Header=BB305_491 Depth=1
	s_or_b64 exec, exec, s[12:13]
	s_and_b64 s[0:1], s[0:1], exec
	s_or_saveexec_b64 s[8:9], s[8:9]
	v_mov_b32_e32 v22, s20
	s_xor_b64 exec, exec, s[8:9]
	s_cbranch_execz .LBB305_679
.LBB305_908:                            ;   in Loop: Header=BB305_491 Depth=1
	v_cmp_ne_u16_sdwa s[12:13], v25, v11 src0_sel:BYTE_0 src1_sel:DWORD
	s_andn2_b64 s[0:1], s[0:1], exec
	s_and_b64 s[12:13], s[12:13], exec
	v_mov_b32_e32 v22, 0
	s_or_b64 s[0:1], s[0:1], s[12:13]
	s_or_b64 exec, exec, s[8:9]
	v_mov_b32_e32 v10, v25
	s_and_saveexec_b64 s[8:9], s[0:1]
	s_cbranch_execnz .LBB305_680
	s_branch .LBB305_681
.LBB305_909:                            ;   in Loop: Header=BB305_491 Depth=1
	v_cmp_eq_u16_e64 s[0:1], s15, v10
	s_mov_b64 s[8:9], -1
                                        ; implicit-def: $sgpr26
	s_and_saveexec_b64 s[20:21], s[0:1]
; %bb.910:                              ;   in Loop: Header=BB305_491 Depth=1
	s_mov_b32 s26, 0x7fc02000
	s_xor_b64 s[8:9], exec, -1
; %bb.911:                              ;   in Loop: Header=BB305_491 Depth=1
	s_or_b64 exec, exec, s[20:21]
	s_and_b64 s[8:9], s[8:9], exec
	s_or_saveexec_b64 s[12:13], s[12:13]
	v_mov_b32_e32 v24, s26
	s_xor_b64 exec, exec, s[12:13]
	s_cbranch_execz .LBB305_683
.LBB305_912:                            ;   in Loop: Header=BB305_491 Depth=1
	v_cmp_ne_u16_e64 s[0:1], 0, v10
	s_andn2_b64 s[8:9], s[8:9], exec
	s_and_b64 s[0:1], s[0:1], exec
	v_mov_b32_e32 v24, 0
	s_or_b64 s[8:9], s[8:9], s[0:1]
	s_or_b64 exec, exec, s[12:13]
	s_and_saveexec_b64 s[12:13], s[8:9]
	s_cbranch_execnz .LBB305_684
	s_branch .LBB305_685
.LBB305_913:                            ;   in Loop: Header=BB305_491 Depth=1
	v_cmp_eq_u16_sdwa s[26:27], v10, s15 src0_sel:BYTE_0 src1_sel:DWORD
	s_mov_b64 s[0:1], -1
                                        ; implicit-def: $sgpr20
	s_and_saveexec_b64 s[12:13], s[26:27]
; %bb.914:                              ;   in Loop: Header=BB305_491 Depth=1
	s_mov_b32 s20, 0x7fc02000
	s_xor_b64 s[0:1], exec, -1
; %bb.915:                              ;   in Loop: Header=BB305_491 Depth=1
	s_or_b64 exec, exec, s[12:13]
	s_and_b64 s[0:1], s[0:1], exec
	s_or_saveexec_b64 s[8:9], s[8:9]
	v_mov_b32_e32 v6, s20
	s_xor_b64 exec, exec, s[8:9]
	s_cbranch_execz .LBB305_687
.LBB305_916:                            ;   in Loop: Header=BB305_491 Depth=1
	v_cmp_ne_u16_sdwa s[12:13], v10, v11 src0_sel:BYTE_0 src1_sel:DWORD
	s_andn2_b64 s[0:1], s[0:1], exec
	s_and_b64 s[12:13], s[12:13], exec
	v_mov_b32_e32 v6, 0
	s_or_b64 s[0:1], s[0:1], s[12:13]
	s_or_b64 exec, exec, s[8:9]
	s_and_saveexec_b64 s[8:9], s[0:1]
	s_cbranch_execnz .LBB305_688
	s_branch .LBB305_689
.LBB305_917:                            ;   in Loop: Header=BB305_491 Depth=1
	v_cmp_eq_u16_e64 s[0:1], s15, v10
	s_mov_b64 s[8:9], -1
                                        ; implicit-def: $sgpr26
	s_and_saveexec_b64 s[20:21], s[0:1]
; %bb.918:                              ;   in Loop: Header=BB305_491 Depth=1
	s_mov_b32 s26, 0x7fc02000
	s_xor_b64 s[8:9], exec, -1
; %bb.919:                              ;   in Loop: Header=BB305_491 Depth=1
	s_or_b64 exec, exec, s[20:21]
	s_and_b64 s[8:9], s[8:9], exec
	s_or_saveexec_b64 s[12:13], s[12:13]
	v_mov_b32_e32 v26, s26
	s_xor_b64 exec, exec, s[12:13]
	s_cbranch_execz .LBB305_691
.LBB305_920:                            ;   in Loop: Header=BB305_491 Depth=1
	v_cmp_ne_u16_e64 s[0:1], 0, v10
	s_andn2_b64 s[8:9], s[8:9], exec
	s_and_b64 s[0:1], s[0:1], exec
	v_mov_b32_e32 v26, 0
	s_or_b64 s[8:9], s[8:9], s[0:1]
	s_or_b64 exec, exec, s[12:13]
	s_and_saveexec_b64 s[12:13], s[8:9]
	s_cbranch_execnz .LBB305_692
	s_branch .LBB305_693
.LBB305_921:                            ;   in Loop: Header=BB305_491 Depth=1
	v_cmp_eq_u16_sdwa s[26:27], v18, s15 src0_sel:BYTE_0 src1_sel:DWORD
	s_mov_b64 s[0:1], -1
                                        ; implicit-def: $sgpr20
	s_and_saveexec_b64 s[12:13], s[26:27]
; %bb.922:                              ;   in Loop: Header=BB305_491 Depth=1
	s_mov_b32 s20, 0x7fc02000
	s_xor_b64 s[0:1], exec, -1
; %bb.923:                              ;   in Loop: Header=BB305_491 Depth=1
	s_or_b64 exec, exec, s[12:13]
	s_and_b64 s[0:1], s[0:1], exec
	s_or_saveexec_b64 s[8:9], s[8:9]
	v_mov_b32_e32 v24, s20
	s_xor_b64 exec, exec, s[8:9]
	s_cbranch_execz .LBB305_697
.LBB305_924:                            ;   in Loop: Header=BB305_491 Depth=1
	v_cmp_ne_u16_sdwa s[12:13], v18, v11 src0_sel:BYTE_0 src1_sel:DWORD
	s_andn2_b64 s[0:1], s[0:1], exec
	s_and_b64 s[12:13], s[12:13], exec
	v_mov_b32_e32 v24, 0
	s_or_b64 s[0:1], s[0:1], s[12:13]
	s_or_b64 exec, exec, s[8:9]
	s_and_saveexec_b64 s[8:9], s[0:1]
	s_cbranch_execnz .LBB305_698
	s_branch .LBB305_699
.LBB305_925:                            ;   in Loop: Header=BB305_491 Depth=1
	v_cmp_eq_u16_e64 s[0:1], s15, v10
	s_mov_b64 s[8:9], -1
                                        ; implicit-def: $sgpr26
	s_and_saveexec_b64 s[20:21], s[0:1]
; %bb.926:                              ;   in Loop: Header=BB305_491 Depth=1
	s_mov_b32 s26, 0x7fc02000
	s_xor_b64 s[8:9], exec, -1
; %bb.927:                              ;   in Loop: Header=BB305_491 Depth=1
	s_or_b64 exec, exec, s[20:21]
	s_and_b64 s[8:9], s[8:9], exec
	s_or_saveexec_b64 s[12:13], s[12:13]
	v_mov_b32_e32 v28, s26
	s_xor_b64 exec, exec, s[12:13]
	s_cbranch_execz .LBB305_701
.LBB305_928:                            ;   in Loop: Header=BB305_491 Depth=1
	v_cmp_ne_u16_e64 s[0:1], 0, v10
	s_andn2_b64 s[8:9], s[8:9], exec
	s_and_b64 s[0:1], s[0:1], exec
	v_mov_b32_e32 v28, 0
	s_or_b64 s[8:9], s[8:9], s[0:1]
	s_or_b64 exec, exec, s[12:13]
	s_and_saveexec_b64 s[12:13], s[8:9]
	s_cbranch_execnz .LBB305_702
	s_branch .LBB305_703
.LBB305_929:                            ;   in Loop: Header=BB305_491 Depth=1
	v_cmp_eq_u16_sdwa s[26:27], v10, s15 src0_sel:BYTE_0 src1_sel:DWORD
	s_mov_b64 s[0:1], -1
                                        ; implicit-def: $sgpr20
	s_and_saveexec_b64 s[12:13], s[26:27]
; %bb.930:                              ;   in Loop: Header=BB305_491 Depth=1
	s_mov_b32 s20, 0x7fc02000
	s_xor_b64 s[0:1], exec, -1
; %bb.931:                              ;   in Loop: Header=BB305_491 Depth=1
	s_or_b64 exec, exec, s[12:13]
	s_and_b64 s[0:1], s[0:1], exec
	s_or_saveexec_b64 s[8:9], s[8:9]
	v_mov_b32_e32 v25, s20
	s_xor_b64 exec, exec, s[8:9]
	s_cbranch_execz .LBB305_705
.LBB305_932:                            ;   in Loop: Header=BB305_491 Depth=1
	v_cmp_ne_u16_sdwa s[12:13], v10, v11 src0_sel:BYTE_0 src1_sel:DWORD
	s_andn2_b64 s[0:1], s[0:1], exec
	s_and_b64 s[12:13], s[12:13], exec
	v_mov_b32_e32 v25, 0
	s_or_b64 s[0:1], s[0:1], s[12:13]
	s_or_b64 exec, exec, s[8:9]
	s_and_saveexec_b64 s[8:9], s[0:1]
	s_cbranch_execnz .LBB305_706
	s_branch .LBB305_707
.LBB305_933:                            ;   in Loop: Header=BB305_491 Depth=1
	v_cmp_eq_u16_e64 s[0:1], s15, v10
	s_mov_b64 s[8:9], -1
                                        ; implicit-def: $sgpr26
	s_and_saveexec_b64 s[20:21], s[0:1]
; %bb.934:                              ;   in Loop: Header=BB305_491 Depth=1
	s_mov_b32 s26, 0x7fc02000
	s_xor_b64 s[8:9], exec, -1
; %bb.935:                              ;   in Loop: Header=BB305_491 Depth=1
	s_or_b64 exec, exec, s[20:21]
	s_and_b64 s[8:9], s[8:9], exec
	s_or_saveexec_b64 s[12:13], s[12:13]
	v_mov_b32_e32 v29, s26
	s_xor_b64 exec, exec, s[12:13]
	s_cbranch_execz .LBB305_709
.LBB305_936:                            ;   in Loop: Header=BB305_491 Depth=1
	v_cmp_ne_u16_e64 s[0:1], 0, v10
	s_andn2_b64 s[8:9], s[8:9], exec
	s_and_b64 s[0:1], s[0:1], exec
	v_mov_b32_e32 v29, 0
	s_or_b64 s[8:9], s[8:9], s[0:1]
	s_or_b64 exec, exec, s[12:13]
	s_and_saveexec_b64 s[12:13], s[8:9]
	s_cbranch_execnz .LBB305_710
	s_branch .LBB305_711
.LBB305_937:                            ;   in Loop: Header=BB305_491 Depth=1
	v_cmp_eq_u16_sdwa s[26:27], v19, s15 src0_sel:BYTE_0 src1_sel:DWORD
	s_mov_b64 s[0:1], -1
                                        ; implicit-def: $sgpr20
	s_and_saveexec_b64 s[12:13], s[26:27]
; %bb.938:                              ;   in Loop: Header=BB305_491 Depth=1
	s_mov_b32 s20, 0x7fc02000
	s_xor_b64 s[0:1], exec, -1
; %bb.939:                              ;   in Loop: Header=BB305_491 Depth=1
	s_or_b64 exec, exec, s[12:13]
	s_and_b64 s[0:1], s[0:1], exec
	s_or_saveexec_b64 s[8:9], s[8:9]
	v_mov_b32_e32 v18, s20
	s_xor_b64 exec, exec, s[8:9]
	s_cbranch_execz .LBB305_713
.LBB305_940:                            ;   in Loop: Header=BB305_491 Depth=1
	v_cmp_ne_u16_sdwa s[12:13], v19, v11 src0_sel:BYTE_0 src1_sel:DWORD
	s_andn2_b64 s[0:1], s[0:1], exec
	s_and_b64 s[12:13], s[12:13], exec
	v_mov_b32_e32 v18, 0
	s_or_b64 s[0:1], s[0:1], s[12:13]
	s_or_b64 exec, exec, s[8:9]
	v_mov_b32_e32 v10, v19
	s_and_saveexec_b64 s[8:9], s[0:1]
	s_cbranch_execnz .LBB305_714
	s_branch .LBB305_715
.LBB305_941:                            ;   in Loop: Header=BB305_491 Depth=1
	v_cmp_eq_u16_e64 s[0:1], s15, v10
	s_mov_b64 s[8:9], -1
                                        ; implicit-def: $sgpr26
	s_and_saveexec_b64 s[20:21], s[0:1]
; %bb.942:                              ;   in Loop: Header=BB305_491 Depth=1
	s_mov_b32 s26, 0x7fc02000
	s_xor_b64 s[8:9], exec, -1
; %bb.943:                              ;   in Loop: Header=BB305_491 Depth=1
	s_or_b64 exec, exec, s[20:21]
	s_and_b64 s[8:9], s[8:9], exec
	s_or_saveexec_b64 s[12:13], s[12:13]
	v_mov_b32_e32 v27, s26
	s_xor_b64 exec, exec, s[12:13]
	s_cbranch_execz .LBB305_717
.LBB305_944:                            ;   in Loop: Header=BB305_491 Depth=1
	v_cmp_ne_u16_e64 s[0:1], 0, v10
	s_andn2_b64 s[8:9], s[8:9], exec
	s_and_b64 s[0:1], s[0:1], exec
	v_mov_b32_e32 v27, 0
	s_or_b64 s[8:9], s[8:9], s[0:1]
	s_or_b64 exec, exec, s[12:13]
	s_and_saveexec_b64 s[12:13], s[8:9]
	s_cbranch_execnz .LBB305_718
	s_branch .LBB305_719
.LBB305_945:                            ;   in Loop: Header=BB305_491 Depth=1
	v_cmp_eq_u16_sdwa s[26:27], v10, s15 src0_sel:BYTE_0 src1_sel:DWORD
	s_mov_b64 s[0:1], -1
                                        ; implicit-def: $sgpr20
	s_and_saveexec_b64 s[12:13], s[26:27]
; %bb.946:                              ;   in Loop: Header=BB305_491 Depth=1
	s_mov_b32 s20, 0x7fc02000
	s_xor_b64 s[0:1], exec, -1
; %bb.947:                              ;   in Loop: Header=BB305_491 Depth=1
	s_or_b64 exec, exec, s[12:13]
	s_and_b64 s[0:1], s[0:1], exec
	s_or_saveexec_b64 s[8:9], s[8:9]
	v_mov_b32_e32 v6, s20
	s_xor_b64 exec, exec, s[8:9]
	s_cbranch_execz .LBB305_721
.LBB305_948:                            ;   in Loop: Header=BB305_491 Depth=1
	v_cmp_ne_u16_sdwa s[12:13], v10, v11 src0_sel:BYTE_0 src1_sel:DWORD
	s_andn2_b64 s[0:1], s[0:1], exec
	s_and_b64 s[12:13], s[12:13], exec
	v_mov_b32_e32 v6, 0
	s_or_b64 s[0:1], s[0:1], s[12:13]
	s_or_b64 exec, exec, s[8:9]
	s_and_saveexec_b64 s[8:9], s[0:1]
	s_cbranch_execnz .LBB305_722
	s_branch .LBB305_723
.LBB305_949:                            ;   in Loop: Header=BB305_491 Depth=1
	v_cmp_eq_u16_e64 s[0:1], s15, v10
	s_mov_b64 s[8:9], -1
                                        ; implicit-def: $sgpr26
	s_and_saveexec_b64 s[20:21], s[0:1]
; %bb.950:                              ;   in Loop: Header=BB305_491 Depth=1
	s_mov_b32 s26, 0x7fc02000
	s_xor_b64 s[8:9], exec, -1
; %bb.951:                              ;   in Loop: Header=BB305_491 Depth=1
	s_or_b64 exec, exec, s[20:21]
	s_and_b64 s[8:9], s[8:9], exec
	s_or_saveexec_b64 s[12:13], s[12:13]
	v_mov_b32_e32 v30, s26
	s_xor_b64 exec, exec, s[12:13]
	s_cbranch_execz .LBB305_725
.LBB305_952:                            ;   in Loop: Header=BB305_491 Depth=1
	v_cmp_ne_u16_e64 s[0:1], 0, v10
	s_andn2_b64 s[8:9], s[8:9], exec
	s_and_b64 s[0:1], s[0:1], exec
	v_mov_b32_e32 v30, 0
	s_or_b64 s[8:9], s[8:9], s[0:1]
	s_or_b64 exec, exec, s[12:13]
	s_and_saveexec_b64 s[12:13], s[8:9]
	s_cbranch_execnz .LBB305_726
	s_branch .LBB305_727
.LBB305_953:
	s_or_b64 exec, exec, s[6:7]
.LBB305_954:
	s_or_b64 exec, exec, s[4:5]
	ds_bpermute_b32 v4, v32, v8
	ds_bpermute_b32 v5, v32, v9
	;; [unrolled: 1-line block ×7, first 2 shown]
	s_waitcnt lgkmcnt(0)
	v_pk_add_f32 v[4:5], v[8:9], v[4:5]
	ds_bpermute_b32 v8, v33, v4
	ds_bpermute_b32 v9, v33, v5
	v_pk_add_f32 v[2:3], v[2:3], v[6:7]
	v_pk_add_f32 v[0:1], v[0:1], v[10:11]
	v_add_f32_e32 v12, v35, v12
	ds_bpermute_b32 v6, v33, v2
	ds_bpermute_b32 v7, v33, v3
	;; [unrolled: 1-line block ×5, first 2 shown]
	s_waitcnt lgkmcnt(0)
	v_pk_add_f32 v[8:9], v[4:5], v[8:9]
	v_accvgpr_read_b32 v4, a2
	v_and_b32_e32 v4, 0x3c3, v4
	v_pk_add_f32 v[2:3], v[2:3], v[6:7]
	v_pk_add_f32 v[0:1], v[0:1], v[10:11]
	v_add_f32_e32 v6, v12, v13
	v_cmp_eq_u32_e32 vcc, 64, v4
	s_barrier
	s_and_saveexec_b64 s[0:1], vcc
	s_cbranch_execz .LBB305_956
; %bb.955:
	s_ashr_i32 s17, s16, 31
	s_lshl_b64 s[4:5], s[16:17], 2
	s_getpc_b64 s[6:7]
	s_add_u32 s6, s6, llvm.amdgcn.dynlds.offset.table@rel32@lo+4
	s_addc_u32 s7, s7, llvm.amdgcn.dynlds.offset.table@rel32@hi+12
	s_add_u32 s4, s4, s6
	s_addc_u32 s5, s5, s7
	s_load_dword s3, s[4:5], 0x0
	s_waitcnt lgkmcnt(0)
	v_add_u32_e32 v5, s3, v23
	ds_write2_b32 v5, v8, v9 offset1:16
	ds_write2_b32 v5, v2, v3 offset0:32 offset1:48
	ds_write2_b32 v5, v0, v1 offset0:64 offset1:80
	ds_write_b32 v5, v6 offset:384
.LBB305_956:
	s_or_b64 exec, exec, s[0:1]
	v_accvgpr_read_b32 v5, a2
	s_waitcnt lgkmcnt(0)
	s_barrier
	v_cmp_gt_u32_e32 vcc, 64, v5
	s_mov_b64 s[0:1], exec
	v_accvgpr_read_b32 v11, a1
	s_and_b64 s[4:5], s[0:1], vcc
	v_accvgpr_read_b32 v10, a0
	s_mov_b64 exec, s[4:5]
	s_cbranch_execz .LBB305_966
; %bb.957:
	v_accvgpr_read_b32 v5, a2
	v_cmp_eq_u32_e32 vcc, 0, v34
	v_lshrrev_b32_e32 v5, 2, v5
	s_and_saveexec_b64 s[4:5], vcc
	s_cbranch_execnz .LBB305_969
; %bb.958:
	s_or_b64 exec, exec, s[4:5]
	s_and_saveexec_b64 s[4:5], vcc
	s_cbranch_execnz .LBB305_970
.LBB305_959:
	s_or_b64 exec, exec, s[4:5]
	s_and_saveexec_b64 s[4:5], vcc
	s_cbranch_execnz .LBB305_971
.LBB305_960:
	s_or_b64 exec, exec, s[4:5]
	s_and_saveexec_b64 s[4:5], vcc
	s_cbranch_execnz .LBB305_972
.LBB305_961:
	s_or_b64 exec, exec, s[4:5]
	s_and_saveexec_b64 s[4:5], vcc
	s_cbranch_execnz .LBB305_973
.LBB305_962:
	s_or_b64 exec, exec, s[4:5]
	s_and_saveexec_b64 s[4:5], vcc
	s_cbranch_execnz .LBB305_974
.LBB305_963:
	s_or_b64 exec, exec, s[4:5]
	s_and_saveexec_b64 s[4:5], vcc
	s_cbranch_execz .LBB305_965
.LBB305_964:
	s_ashr_i32 s17, s16, 31
	s_lshl_b64 s[6:7], s[16:17], 2
	s_getpc_b64 s[8:9]
	s_add_u32 s8, s8, llvm.amdgcn.dynlds.offset.table@rel32@lo+4
	s_addc_u32 s9, s9, llvm.amdgcn.dynlds.offset.table@rel32@hi+12
	s_add_u32 s6, s6, s8
	s_addc_u32 s7, s7, s9
	s_load_dword s3, s[6:7], 0x0
	s_waitcnt lgkmcnt(0)
	v_lshl_add_u32 v5, v5, 2, s3
	ds_read_b32 v5, v5 offset:384
	s_waitcnt lgkmcnt(0)
	v_add_f32_e32 v6, v6, v5
.LBB305_965:
	s_or_b64 exec, exec, s[4:5]
.LBB305_966:
	s_or_b64 exec, exec, s[0:1]
	v_cmp_eq_u32_e32 vcc, 0, v4
	s_barrier
	s_and_b64 exec, exec, vcc
	s_cbranch_execz .LBB305_968
; %bb.967:
	s_mul_i32 s0, s2, 0x70
	s_mul_i32 s2, s18, s19
	;; [unrolled: 1-line block ×3, first 2 shown]
	s_ashr_i32 s1, s0, 31
	s_ashr_i32 s3, s2, 31
	;; [unrolled: 1-line block ×3, first 2 shown]
	s_lshl_b64 s[0:1], s[0:1], 1
	s_lshl_b64 s[2:3], s[2:3], 1
	s_lshl_b64 s[4:5], s[4:5], 1
	s_add_u32 s2, s4, s2
	s_addc_u32 s3, s5, s3
	s_add_u32 s0, s2, s0
	s_addc_u32 s1, s3, s1
	v_accvgpr_read_b32 v7, a2
	v_lshl_add_u64 v[4:5], s[0:1], 0, v[10:11]
	v_lshrrev_b32_e32 v10, 1, v7
	v_mov_b32_e32 v11, 0
	v_lshl_add_u64 v[4:5], v[4:5], 0, v[10:11]
	;;#ASMSTART
	v_cvt_f16_f32 v7, v8;

	;;#ASMEND
	flat_store_short v[4:5], v7
	;;#ASMSTART
	v_cvt_f16_f32 v7, v9;

	;;#ASMEND
	flat_store_short v[4:5], v7 offset:32
	;;#ASMSTART
	v_cvt_f16_f32 v2, v2;

	;;#ASMEND
	flat_store_short v[4:5], v2 offset:64
	;; [unrolled: 5-line block ×6, first 2 shown]
.LBB305_968:
	s_or_b64 exec, exec, s[10:11]
	scratch_load_dword a48, off, s32        ; 4-byte Folded Reload
	scratch_load_dword a47, off, s32 offset:4 ; 4-byte Folded Reload
	scratch_load_dword a46, off, s32 offset:8 ; 4-byte Folded Reload
	;; [unrolled: 1-line block ×31, first 2 shown]
	v_readlane_b32 s30, v63, 4
	v_readlane_b32 s31, v63, 5
	;; [unrolled: 1-line block ×6, first 2 shown]
	s_or_saveexec_b64 s[0:1], -1
	scratch_load_dword v63, off, s32 offset:136 ; 4-byte Folded Reload
	s_mov_b64 exec, s[0:1]
	s_waitcnt vmcnt(0) lgkmcnt(0)
	s_setpc_b64 s[30:31]
.LBB305_969:
	s_ashr_i32 s17, s16, 31
	s_lshl_b64 s[6:7], s[16:17], 2
	s_getpc_b64 s[8:9]
	s_add_u32 s8, s8, llvm.amdgcn.dynlds.offset.table@rel32@lo+4
	s_addc_u32 s9, s9, llvm.amdgcn.dynlds.offset.table@rel32@hi+12
	s_add_u32 s6, s6, s8
	s_addc_u32 s7, s7, s9
	s_load_dword s3, s[6:7], 0x0
	s_waitcnt lgkmcnt(0)
	v_lshl_add_u32 v7, v5, 2, s3
	ds_read_b32 v7, v7
	s_waitcnt lgkmcnt(0)
	v_add_f32_e32 v8, v8, v7
	s_or_b64 exec, exec, s[4:5]
	s_and_saveexec_b64 s[4:5], vcc
	s_cbranch_execz .LBB305_959
.LBB305_970:
	s_ashr_i32 s17, s16, 31
	s_lshl_b64 s[6:7], s[16:17], 2
	s_getpc_b64 s[8:9]
	s_add_u32 s8, s8, llvm.amdgcn.dynlds.offset.table@rel32@lo+4
	s_addc_u32 s9, s9, llvm.amdgcn.dynlds.offset.table@rel32@hi+12
	s_add_u32 s6, s6, s8
	s_addc_u32 s7, s7, s9
	s_load_dword s3, s[6:7], 0x0
	s_waitcnt lgkmcnt(0)
	v_lshl_add_u32 v7, v5, 2, s3
	ds_read_b32 v7, v7 offset:64
	s_waitcnt lgkmcnt(0)
	v_add_f32_e32 v9, v9, v7
	s_or_b64 exec, exec, s[4:5]
	s_and_saveexec_b64 s[4:5], vcc
	s_cbranch_execz .LBB305_960
.LBB305_971:
	s_ashr_i32 s17, s16, 31
	s_lshl_b64 s[6:7], s[16:17], 2
	s_getpc_b64 s[8:9]
	s_add_u32 s8, s8, llvm.amdgcn.dynlds.offset.table@rel32@lo+4
	s_addc_u32 s9, s9, llvm.amdgcn.dynlds.offset.table@rel32@hi+12
	s_add_u32 s6, s6, s8
	s_addc_u32 s7, s7, s9
	s_load_dword s3, s[6:7], 0x0
	s_waitcnt lgkmcnt(0)
	v_lshl_add_u32 v7, v5, 2, s3
	ds_read_b32 v7, v7 offset:128
	s_waitcnt lgkmcnt(0)
	v_add_f32_e32 v2, v2, v7
	s_or_b64 exec, exec, s[4:5]
	s_and_saveexec_b64 s[4:5], vcc
	s_cbranch_execz .LBB305_961
.LBB305_972:
	s_ashr_i32 s17, s16, 31
	s_lshl_b64 s[6:7], s[16:17], 2
	s_getpc_b64 s[8:9]
	s_add_u32 s8, s8, llvm.amdgcn.dynlds.offset.table@rel32@lo+4
	s_addc_u32 s9, s9, llvm.amdgcn.dynlds.offset.table@rel32@hi+12
	s_add_u32 s6, s6, s8
	s_addc_u32 s7, s7, s9
	s_load_dword s3, s[6:7], 0x0
	s_waitcnt lgkmcnt(0)
	v_lshl_add_u32 v7, v5, 2, s3
	ds_read_b32 v7, v7 offset:192
	s_waitcnt lgkmcnt(0)
	v_add_f32_e32 v3, v3, v7
	s_or_b64 exec, exec, s[4:5]
	s_and_saveexec_b64 s[4:5], vcc
	s_cbranch_execz .LBB305_962
.LBB305_973:
	s_ashr_i32 s17, s16, 31
	s_lshl_b64 s[6:7], s[16:17], 2
	s_getpc_b64 s[8:9]
	s_add_u32 s8, s8, llvm.amdgcn.dynlds.offset.table@rel32@lo+4
	s_addc_u32 s9, s9, llvm.amdgcn.dynlds.offset.table@rel32@hi+12
	s_add_u32 s6, s6, s8
	s_addc_u32 s7, s7, s9
	s_load_dword s3, s[6:7], 0x0
	s_waitcnt lgkmcnt(0)
	v_lshl_add_u32 v7, v5, 2, s3
	ds_read_b32 v7, v7 offset:256
	s_waitcnt lgkmcnt(0)
	v_add_f32_e32 v0, v0, v7
	s_or_b64 exec, exec, s[4:5]
	s_and_saveexec_b64 s[4:5], vcc
	s_cbranch_execz .LBB305_963
.LBB305_974:
	s_ashr_i32 s17, s16, 31
	s_lshl_b64 s[6:7], s[16:17], 2
	s_getpc_b64 s[8:9]
	s_add_u32 s8, s8, llvm.amdgcn.dynlds.offset.table@rel32@lo+4
	s_addc_u32 s9, s9, llvm.amdgcn.dynlds.offset.table@rel32@hi+12
	s_add_u32 s6, s6, s8
	s_addc_u32 s7, s7, s9
	s_load_dword s3, s[6:7], 0x0
	s_waitcnt lgkmcnt(0)
	v_lshl_add_u32 v7, v5, 2, s3
	ds_read_b32 v7, v7 offset:320
	s_waitcnt lgkmcnt(0)
	v_add_f32_e32 v1, v1, v7
	s_or_b64 exec, exec, s[4:5]
	s_and_saveexec_b64 s[4:5], vcc
	s_cbranch_execnz .LBB305_964
	s_branch .LBB305_965
.Lfunc_end305:
	.size	_ZN4vllm22paged_attention_kernelIthLi112ELi32ELi128ELNS_18Fp8KVCacheDataTypeE1ELb0ELi512EEEvPfS2_PT_PKS3_PKT0_S9_ifPKiSB_iPKfiiiSD_SD_iiiii, .Lfunc_end305-_ZN4vllm22paged_attention_kernelIthLi112ELi32ELi128ELNS_18Fp8KVCacheDataTypeE1ELb0ELi512EEEvPfS2_PT_PKS3_PKT0_S9_ifPKiSB_iPKfiiiSD_SD_iiiii
                                        ; -- End function
	.section	.AMDGPU.csdata,"",@progbits
; Function info:
; codeLenInByte = 40792
; NumSgprs: 44
; NumVgprs: 64
; NumAgprs: 49
; TotalNumVgprs: 113
; ScratchSize: 144
; MemoryBound: 0
	.section	.text._ZN4vllm25paged_attention_v2_kernelIthLi112ELi32ELi128ELNS_18Fp8KVCacheDataTypeE1ELb0ELi512EEEvPfS2_PT_PKS3_PKT0_S9_ifPKiSB_iPKfiiiSD_SD_iiiii,"axG",@progbits,_ZN4vllm25paged_attention_v2_kernelIthLi112ELi32ELi128ELNS_18Fp8KVCacheDataTypeE1ELb0ELi512EEEvPfS2_PT_PKS3_PKT0_S9_ifPKiSB_iPKfiiiSD_SD_iiiii,comdat
	.protected	_ZN4vllm25paged_attention_v2_kernelIthLi112ELi32ELi128ELNS_18Fp8KVCacheDataTypeE1ELb0ELi512EEEvPfS2_PT_PKS3_PKT0_S9_ifPKiSB_iPKfiiiSD_SD_iiiii ; -- Begin function _ZN4vllm25paged_attention_v2_kernelIthLi112ELi32ELi128ELNS_18Fp8KVCacheDataTypeE1ELb0ELi512EEEvPfS2_PT_PKS3_PKT0_S9_ifPKiSB_iPKfiiiSD_SD_iiiii
	.globl	_ZN4vllm25paged_attention_v2_kernelIthLi112ELi32ELi128ELNS_18Fp8KVCacheDataTypeE1ELb0ELi512EEEvPfS2_PT_PKS3_PKT0_S9_ifPKiSB_iPKfiiiSD_SD_iiiii
	.p2align	8
	.type	_ZN4vllm25paged_attention_v2_kernelIthLi112ELi32ELi128ELNS_18Fp8KVCacheDataTypeE1ELb0ELi512EEEvPfS2_PT_PKS3_PKT0_S9_ifPKiSB_iPKfiiiSD_SD_iiiii,@function
_ZN4vllm25paged_attention_v2_kernelIthLi112ELi32ELi128ELNS_18Fp8KVCacheDataTypeE1ELb0ELi512EEEvPfS2_PT_PKS3_PKT0_S9_ifPKiSB_iPKfiiiSD_SD_iiiii: ; @_ZN4vllm25paged_attention_v2_kernelIthLi112ELi32ELi128ELNS_18Fp8KVCacheDataTypeE1ELb0ELi512EEEvPfS2_PT_PKS3_PKT0_S9_ifPKiSB_iPKfiiiSD_SD_iiiii
; %bb.0:
	s_load_dwordx8 s[24:31], s[0:1], 0x0
	s_load_dwordx8 s[16:23], s[0:1], 0x20
	s_load_dwordx2 s[6:7], s[0:1], 0x40
	s_load_dwordx2 s[10:11], s[0:1], 0x50
	s_load_dword s5, s[0:1], 0x48
	s_load_dwordx8 s[36:43], s[0:1], 0x58
	s_add_u32 s8, s0, 0x90
	s_addc_u32 s9, s1, 0
	s_mov_b32 s12, s2
	s_mov_b32 s13, s3
	s_mov_b32 s14, s4
	s_mov_b32 s15, 14
	v_mov_b32_e32 v31, v0
	s_waitcnt lgkmcnt(0)
	v_mov_b32_e32 v0, s24
	v_mov_b32_e32 v1, s25
	;; [unrolled: 1-line block ×28, first 2 shown]
	s_mov_b32 s32, 0
	s_getpc_b64 s[0:1]
	s_add_u32 s0, s0, _ZN4vllm22paged_attention_kernelIthLi112ELi32ELi128ELNS_18Fp8KVCacheDataTypeE1ELb0ELi512EEEvPfS2_PT_PKS3_PKT0_S9_ifPKiSB_iPKfiiiSD_SD_iiiii@rel32@lo+4
	s_addc_u32 s1, s1, _ZN4vllm22paged_attention_kernelIthLi112ELi32ELi128ELNS_18Fp8KVCacheDataTypeE1ELb0ELi512EEEvPfS2_PT_PKS3_PKT0_S9_ifPKiSB_iPKfiiiSD_SD_iiiii@rel32@hi+12
	s_swappc_b64 s[30:31], s[0:1]
	s_endpgm
	.section	.rodata,"a",@progbits
	.p2align	6, 0x0
	.amdhsa_kernel _ZN4vllm25paged_attention_v2_kernelIthLi112ELi32ELi128ELNS_18Fp8KVCacheDataTypeE1ELb0ELi512EEEvPfS2_PT_PKS3_PKT0_S9_ifPKiSB_iPKfiiiSD_SD_iiiii
		.amdhsa_group_segment_fixed_size 240
		.amdhsa_private_segment_fixed_size 144
		.amdhsa_kernarg_size 400
		.amdhsa_user_sgpr_count 2
		.amdhsa_user_sgpr_dispatch_ptr 0
		.amdhsa_user_sgpr_queue_ptr 0
		.amdhsa_user_sgpr_kernarg_segment_ptr 1
		.amdhsa_user_sgpr_dispatch_id 0
		.amdhsa_user_sgpr_kernarg_preload_length 0
		.amdhsa_user_sgpr_kernarg_preload_offset 0
		.amdhsa_user_sgpr_private_segment_size 0
		.amdhsa_uses_dynamic_stack 0
		.amdhsa_enable_private_segment 1
		.amdhsa_system_sgpr_workgroup_id_x 1
		.amdhsa_system_sgpr_workgroup_id_y 1
		.amdhsa_system_sgpr_workgroup_id_z 1
		.amdhsa_system_sgpr_workgroup_info 0
		.amdhsa_system_vgpr_workitem_id 0
		.amdhsa_next_free_vgpr 113
		.amdhsa_next_free_sgpr 44
		.amdhsa_accum_offset 64
		.amdhsa_reserve_vcc 1
		.amdhsa_float_round_mode_32 0
		.amdhsa_float_round_mode_16_64 0
		.amdhsa_float_denorm_mode_32 3
		.amdhsa_float_denorm_mode_16_64 3
		.amdhsa_dx10_clamp 1
		.amdhsa_ieee_mode 1
		.amdhsa_fp16_overflow 0
		.amdhsa_tg_split 0
		.amdhsa_exception_fp_ieee_invalid_op 0
		.amdhsa_exception_fp_denorm_src 0
		.amdhsa_exception_fp_ieee_div_zero 0
		.amdhsa_exception_fp_ieee_overflow 0
		.amdhsa_exception_fp_ieee_underflow 0
		.amdhsa_exception_fp_ieee_inexact 0
		.amdhsa_exception_int_div_zero 0
	.end_amdhsa_kernel
	.section	.text._ZN4vllm25paged_attention_v2_kernelIthLi112ELi32ELi128ELNS_18Fp8KVCacheDataTypeE1ELb0ELi512EEEvPfS2_PT_PKS3_PKT0_S9_ifPKiSB_iPKfiiiSD_SD_iiiii,"axG",@progbits,_ZN4vllm25paged_attention_v2_kernelIthLi112ELi32ELi128ELNS_18Fp8KVCacheDataTypeE1ELb0ELi512EEEvPfS2_PT_PKS3_PKT0_S9_ifPKiSB_iPKfiiiSD_SD_iiiii,comdat
.Lfunc_end306:
	.size	_ZN4vllm25paged_attention_v2_kernelIthLi112ELi32ELi128ELNS_18Fp8KVCacheDataTypeE1ELb0ELi512EEEvPfS2_PT_PKS3_PKT0_S9_ifPKiSB_iPKfiiiSD_SD_iiiii, .Lfunc_end306-_ZN4vllm25paged_attention_v2_kernelIthLi112ELi32ELi128ELNS_18Fp8KVCacheDataTypeE1ELb0ELi512EEEvPfS2_PT_PKS3_PKT0_S9_ifPKiSB_iPKfiiiSD_SD_iiiii
                                        ; -- End function
	.section	.AMDGPU.csdata,"",@progbits
; Kernel info:
; codeLenInByte = 228
; NumSgprs: 50
; NumVgprs: 64
; NumAgprs: 49
; TotalNumVgprs: 113
; ScratchSize: 144
; MemoryBound: 0
; FloatMode: 240
; IeeeMode: 1
; LDSByteSize: 240 bytes/workgroup (compile time only)
; SGPRBlocks: 6
; VGPRBlocks: 14
; NumSGPRsForWavesPerEU: 50
; NumVGPRsForWavesPerEU: 113
; AccumOffset: 64
; Occupancy: 4
; WaveLimiterHint : 1
; COMPUTE_PGM_RSRC2:SCRATCH_EN: 1
; COMPUTE_PGM_RSRC2:USER_SGPR: 2
; COMPUTE_PGM_RSRC2:TRAP_HANDLER: 0
; COMPUTE_PGM_RSRC2:TGID_X_EN: 1
; COMPUTE_PGM_RSRC2:TGID_Y_EN: 1
; COMPUTE_PGM_RSRC2:TGID_Z_EN: 1
; COMPUTE_PGM_RSRC2:TIDIG_COMP_CNT: 0
; COMPUTE_PGM_RSRC3_GFX90A:ACCUM_OFFSET: 15
; COMPUTE_PGM_RSRC3_GFX90A:TG_SPLIT: 0
	.text
	.p2align	2                               ; -- Begin function _ZN4vllm22paged_attention_kernelIthLi120ELi32ELi128ELNS_18Fp8KVCacheDataTypeE1ELb0ELi512EEEvPfS2_PT_PKS3_PKT0_S9_ifPKiSB_iPKfiiiSD_SD_iiiii
	.type	_ZN4vllm22paged_attention_kernelIthLi120ELi32ELi128ELNS_18Fp8KVCacheDataTypeE1ELb0ELi512EEEvPfS2_PT_PKS3_PKT0_S9_ifPKiSB_iPKfiiiSD_SD_iiiii,@function
_ZN4vllm22paged_attention_kernelIthLi120ELi32ELi128ELNS_18Fp8KVCacheDataTypeE1ELb0ELi512EEEvPfS2_PT_PKS3_PKT0_S9_ifPKiSB_iPKfiiiSD_SD_iiiii: ; @_ZN4vllm22paged_attention_kernelIthLi120ELi32ELi128ELNS_18Fp8KVCacheDataTypeE1ELb0ELi512EEEvPfS2_PT_PKS3_PKT0_S9_ifPKiSB_iPKfiiiSD_SD_iiiii
; %bb.0:
	s_waitcnt vmcnt(0) expcnt(0) lgkmcnt(0)
	s_or_saveexec_b64 s[0:1], -1
	scratch_store_dword off, v63, s32 offset:148 ; 4-byte Folded Spill
	s_mov_b64 exec, s[0:1]
	scratch_store_dword off, v40, s32 offset:128 ; 4-byte Folded Spill
	scratch_store_dword off, v41, s32 offset:124 ; 4-byte Folded Spill
	;; [unrolled: 1-line block ×32, first 2 shown]
	scratch_store_dword off, a49, s32       ; 4-byte Folded Spill
	v_writelane_b32 v63, s34, 0
	v_writelane_b32 v63, s35, 1
	;; [unrolled: 1-line block ×5, first 2 shown]
	s_nop 1
	v_writelane_b32 v63, s31, 5
	s_mov_b32 s20, s13
	v_accvgpr_write_b32 a19, v3
	s_ashr_i32 s21, s13, 31
	v_accvgpr_write_b32 a18, v2
	v_lshl_add_u64 v[2:3], s[20:21], 2, v[16:17]
	flat_load_dword v2, v[2:3]
	v_accvgpr_write_b32 a4, v26
	v_accvgpr_write_b32 a27, v25
	;; [unrolled: 1-line block ×5, first 2 shown]
	s_lshl_b32 s21, s14, 9
	v_accvgpr_write_b32 a5, v27
	v_accvgpr_write_b32 a26, v24
	;; [unrolled: 1-line block ×3, first 2 shown]
	v_mov_b32_e32 v29, v20
	v_mov_b32_e32 v28, v19
	v_accvgpr_write_b32 a13, v15
	v_accvgpr_write_b32 a28, v13
	;; [unrolled: 1-line block ×4, first 2 shown]
	s_waitcnt vmcnt(0) lgkmcnt(0)
	v_accvgpr_write_b32 a8, v2
	v_cmp_lt_i32_e32 vcc, s21, v2
	s_and_saveexec_b64 s[10:11], vcc
	s_cbranch_execz .LBB307_1076
; %bb.1:
	v_accvgpr_write_b32 a17, v1
	v_accvgpr_write_b32 a16, v0
	v_sub_u32_e32 v0, 0, v12
	v_max_i32_e32 v0, v12, v0
	v_cvt_f32_u32_e32 v1, v0
	s_load_dword s0, s[8:9], 0x10
	s_load_dword s2, s[8:9], 0x0
	v_sub_u32_e32 v3, 0, v0
	s_mov_b32 s16, s15
	v_rcp_iflag_f32_e32 v1, v1
	s_waitcnt lgkmcnt(0)
	s_lshr_b32 s0, s0, 16
	s_cmp_lg_u32 s0, 0
	s_cselect_b64 s[0:1], -1, 0
	v_mul_f32_e32 v1, 0x4f7ffffe, v1
	v_cvt_u32_f32_e32 v1, v1
	s_cmp_lg_u64 s[0:1], 0
	s_addc_u32 s15, s2, 0
	s_abs_i32 s0, s15
	v_mul_lo_u32 v3, v3, v1
	v_mul_hi_u32 v3, v1, v3
	v_add_u32_e32 v1, v1, v3
	v_mul_hi_u32 v1, s0, v1
	v_mul_lo_u32 v3, v1, v0
	v_sub_u32_e32 v3, s0, v3
	v_add_u32_e32 v4, 1, v1
	v_cmp_ge_u32_e32 vcc, v3, v0
	v_xor_b32_e32 v2, s15, v12
	v_ashrrev_i32_e32 v2, 31, v2
	v_cndmask_b32_e32 v1, v1, v4, vcc
	v_sub_u32_e32 v4, v3, v0
	v_cndmask_b32_e32 v3, v3, v4, vcc
	v_add_u32_e32 v4, 1, v1
	v_cmp_ge_u32_e32 vcc, v3, v0
	s_abs_i32 s2, s12
	s_nop 0
	v_cndmask_b32_e32 v0, v1, v4, vcc
	v_xor_b32_e32 v0, v0, v2
	v_sub_u32_e32 v0, v0, v2
	v_sub_u32_e32 v1, 0, v0
	v_max_i32_e32 v1, v0, v1
	v_cvt_f32_u32_e32 v2, v1
	v_sub_u32_e32 v3, 0, v1
	v_cmp_ne_u64_e32 vcc, 0, v[28:29]
	v_rcp_iflag_f32_e32 v2, v2
	s_nop 0
	v_mul_f32_e32 v2, 0x4f7ffffe, v2
	v_cvt_u32_f32_e32 v2, v2
	v_mul_lo_u32 v3, v3, v2
	v_mul_hi_u32 v3, v2, v3
	v_add_u32_e32 v2, v2, v3
	v_mad_u64_u32 v[32:33], s[0:1], s2, v2, 0
	v_mov_b32_e32 v2, 0
	scratch_store_dword off, v2, s32 offset:144 ; 4-byte Folded Spill
	s_and_saveexec_b64 s[0:1], vcc
	s_cbranch_execz .LBB307_3
; %bb.2:
	s_ashr_i32 s13, s12, 31
	v_lshl_add_u64 v[2:3], s[12:13], 2, v[28:29]
	flat_load_dword v2, v[2:3]
	s_waitcnt vmcnt(0) lgkmcnt(0)
	scratch_store_dword off, v2, s32 offset:144 ; 4-byte Folded Spill
.LBB307_3:
	s_or_b64 exec, exec, s[0:1]
	v_and_b32_e32 v10, 0x3ff, v31
	v_lshlrev_b32_e32 v4, 3, v10
	s_ashr_i32 s3, s12, 31
	v_ashrrev_i32_e32 v2, 31, v0
	v_and_b32_e32 v0, 1, v10
	s_movk_i32 s4, 0x78
	s_mul_i32 s18, s12, 0x78
	v_cmp_gt_u32_e32 vcc, 30, v10
	v_accvgpr_write_b32 a20, v4
	s_and_saveexec_b64 s[0:1], vcc
	s_cbranch_execz .LBB307_5
; %bb.4:
	v_mul_lo_u32 v4, s20, v21
	v_ashrrev_i32_e32 v5, 31, v4
	v_lshl_add_u64 v[4:5], v[4:5], 1, v[6:7]
	s_ashr_i32 s19, s18, 31
	v_lshl_add_u64 v[4:5], s[18:19], 1, v[4:5]
	v_accvgpr_read_b32 v6, a20
	v_mov_b32_e32 v7, 0
	v_lshl_add_u64 v[4:5], v[4:5], 0, v[6:7]
	flat_load_dwordx2 v[4:5], v[4:5]
	v_lshlrev_b32_e32 v3, 2, v10
	v_and_b32_e32 v3, 0xff8, v3
	v_mad_u32_u24 v3, v0, s4, v3
	s_waitcnt vmcnt(0) lgkmcnt(0)
	ds_write_b64 v3, v[4:5]
.LBB307_5:
	s_or_b64 exec, exec, s[0:1]
	v_accvgpr_read_b32 v4, a8
	v_add_u32_e32 v3, 31, v4
	v_ashrrev_i32_e32 v4, 31, v3
	v_lshrrev_b32_e32 v4, 27, v4
	v_add_u32_e32 v3, v3, v4
	s_lshl_b32 s19, s14, 4
	v_ashrrev_i32_e32 v3, 5, v3
	s_add_i32 s0, s19, 16
	v_accvgpr_write_b32 a9, v3
	v_min_i32_e32 v6, s0, v3
	v_mul_lo_u32 v3, v33, v1
	v_sub_u32_e32 v3, s2, v3
	v_add_u32_e32 v4, 1, v33
	v_cmp_ge_u32_e32 vcc, v3, v1
	v_sub_u32_e32 v5, v3, v1
	v_xor_b32_e32 v2, s3, v2
	v_cndmask_b32_e32 v4, v33, v4, vcc
	v_cndmask_b32_e32 v3, v3, v5, vcc
	v_add_u32_e32 v5, 1, v4
	v_cmp_ge_u32_e32 vcc, v3, v1
	v_lshrrev_b32_e32 v7, 6, v10
	v_accvgpr_write_b32 a2, v10
	v_cndmask_b32_e32 v1, v4, v5, vcc
	v_mul_lo_u32 v4, s20, v18
	v_xor_b32_e32 v1, v1, v2
	v_ashrrev_i32_e32 v5, 31, v4
	v_sub_u32_e32 v3, v1, v2
	v_accvgpr_write_b32 a23, v5
	v_or_b32_e32 v2, s19, v7
	v_accvgpr_write_b32 a22, v4
	v_accvgpr_write_b32 a7, v7
	v_cmp_lt_i32_e64 s[0:1], v2, v6
	v_accvgpr_write_b32 a3, v6
	v_mov_b32_e32 v4, v2
	v_cmp_ge_i32_e32 vcc, v2, v6
	v_mbcnt_lo_u32_b32 v2, -1, 0
	s_waitcnt lgkmcnt(0)
	s_barrier
	s_waitcnt lgkmcnt(0)
                                        ; implicit-def: $sgpr4
                                        ; implicit-def: $agpr29
                                        ; implicit-def: $vgpr1
	s_and_saveexec_b64 s[2:3], vcc
	s_xor_b64 s[2:3], exec, s[2:3]
; %bb.6:
	v_mbcnt_hi_u32_b32 v0, -1, v2
	v_accvgpr_write_b32 a29, v0
	v_and_b32_e32 v0, 64, v0
	v_add_u32_e32 v1, 64, v0
	s_mov_b32 s4, 0xff7fffff
                                        ; implicit-def: $vgpr0
                                        ; kill: killed $vgpr0
                                        ; implicit-def: $agpr28
                                        ; implicit-def: $agpr26
                                        ; implicit-def: $vgpr8
                                        ; implicit-def: $vgpr0
                                        ; implicit-def: $vgpr2
; %bb.7:
	s_or_saveexec_b64 s[6:7], s[2:3]
	s_load_dword s30, s[8:9], 0x14
	s_load_dword s13, s[8:9], 0x8
	v_mov_b32_e32 v5, s4
	v_mul_lo_u32 v6, v3, v23
	scratch_store_dword off, v5, s32 offset:140 ; 4-byte Folded Spill
	v_ashrrev_i32_e32 v5, 31, v4
	v_ashrrev_i32_e32 v7, 31, v6
	v_accvgpr_read_b32 v3, a7
	v_accvgpr_write_b32 a11, v5
	v_accvgpr_write_b32 a25, v7
	v_lshlrev_b32_e32 v3, 5, v3
	v_accvgpr_write_b32 a10, v4
	v_accvgpr_write_b32 a24, v6
	;; [unrolled: 1-line block ×3, first 2 shown]
	s_xor_b64 exec, exec, s[6:7]
	s_cbranch_execz .LBB307_493
; %bb.8:
	v_accvgpr_read_b32 v1, a2
	v_accvgpr_read_b32 v4, a24
	v_bfe_u32 v3, v1, 1, 5
	v_accvgpr_read_b32 v5, a25
	v_lshl_add_u64 v[4:5], v[8:9], 0, v[4:5]
	v_lshlrev_b32_e32 v8, 4, v3
	v_mov_b32_e32 v9, 0
	v_lshl_add_u64 v[4:5], v[4:5], 0, v[8:9]
	v_accvgpr_write_b32 a31, v5
	v_accvgpr_write_b32 a30, v4
	v_lshlrev_b32_e32 v4, 2, v0
	v_mul_u32_u24_e32 v1, 0x78, v0
	v_cmp_eq_u32_e32 vcc, 0, v0
	scratch_load_dword v0, off, s32 offset:144 ; 4-byte Folded Reload
	v_mov_b32_e32 v5, v9
	v_accvgpr_write_b32 a33, v5
	v_accvgpr_write_b32 a32, v4
	v_accvgpr_read_b32 v4, a10
	v_accvgpr_read_b32 v5, a11
	;; [unrolled: 1-line block ×3, first 2 shown]
	v_accvgpr_write_b32 a34, v1
	v_accvgpr_read_b32 v7, a23
	s_ashr_i32 s17, s16, 31
	s_lshl_b64 s[4:5], s[16:17], 2
	s_getpc_b64 s[8:9]
	s_add_u32 s8, s8, llvm.amdgcn.dynlds.offset.table@rel32@lo+4
	s_addc_u32 s9, s9, llvm.amdgcn.dynlds.offset.table@rel32@hi+12
	s_add_u32 s8, s4, s8
	s_addc_u32 s9, s5, s9
	s_mov_b64 s[22:23], 0
	s_movk_i32 s17, 0x7f
	s_movk_i32 s31, 0x80
	s_mov_b32 s34, 0x8000
	s_waitcnt vmcnt(0)
	v_cmp_neq_f32_e64 s[2:3], 0, v0
	v_lshlrev_b64 v[0:1], 2, v[4:5]
	v_lshl_add_u64 v[0:1], v[6:7], 2, v[0:1]
	v_accvgpr_read_b32 v6, a12
	v_accvgpr_read_b32 v7, a13
	v_lshl_add_u64 v[0:1], v[6:7], 0, v[0:1]
	v_accvgpr_write_b32 a37, v1
	v_accvgpr_write_b32 a36, v0
	v_accvgpr_read_b32 v0, a8
	v_sub_u32_e32 v0, 1, v0
	v_accvgpr_write_b32 a35, v0
	v_accvgpr_read_b32 v0, a21
	v_add3_u32 v0, s21, v0, v3
	v_accvgpr_write_b32 a38, v0
	v_lshlrev_b32_e32 v0, 2, v3
	v_accvgpr_read_b32 v1, a7
	v_lshl_or_b32 v0, v1, 7, v0
	v_accvgpr_write_b32 a39, v0
	v_mov_b32_e32 v0, 0xff7fffff
	scratch_store_dword off, v0, s32 offset:140 ; 4-byte Folded Spill
	v_mbcnt_hi_u32_b32 v0, -1, v2
	v_accvgpr_write_b32 a29, v0
	v_mov_b32_e32 v6, v4
	s_branch .LBB307_10
.LBB307_9:                              ;   in Loop: Header=BB307_10 Depth=1
	s_or_b64 exec, exec, s[24:25]
	v_accvgpr_read_b32 v0, a38
	s_waitcnt lgkmcnt(0)
	v_accvgpr_read_b32 v2, a36
	v_add_u32_e32 v0, 64, v0
	v_add_u32_e32 v6, 2, v6
	v_accvgpr_read_b32 v3, a37
	v_accvgpr_write_b32 a38, v0
	v_accvgpr_read_b32 v0, a3
	v_lshl_add_u64 v[2:3], v[2:3], 0, 8
	v_cmp_ge_i32_e64 s[4:5], v6, v0
	v_accvgpr_read_b32 v0, a39
	v_accvgpr_write_b32 a37, v3
	v_add_u32_e32 v0, 0x100, v0
	v_accvgpr_write_b32 a36, v2
	s_or_b64 s[22:23], s[4:5], s[22:23]
	v_accvgpr_write_b32 a39, v0
	s_andn2_b64 exec, exec, s[22:23]
	s_cbranch_execz .LBB307_492
.LBB307_10:                             ; =>This Inner Loop Header: Depth=1
	v_accvgpr_read_b32 v0, a36
	v_accvgpr_read_b32 v1, a37
	flat_load_dword v0, v[0:1]
	v_accvgpr_read_b32 v4, a30
	v_accvgpr_read_b32 v2, a6
	;; [unrolled: 1-line block ×3, first 2 shown]
	v_accvgpr_write_b32 a40, v6
                                        ; implicit-def: $sgpr28
	s_waitcnt vmcnt(0) lgkmcnt(0)
	v_mad_i64_i32 v[0:1], s[4:5], v0, v2, v[4:5]
	v_accvgpr_read_b32 v2, a32
	v_accvgpr_read_b32 v3, a33
	v_lshl_add_u64 v[36:37], v[0:1], 0, v[2:3]
	v_accvgpr_read_b32 v0, a26
	flat_load_dword v12, v[36:37]
	v_accvgpr_read_b32 v1, a27
	flat_load_dword v41, v[0:1]
	s_mov_b64 s[4:5], 0
	s_waitcnt vmcnt(0) lgkmcnt(0)
	v_cmp_gt_i16_sdwa s[24:25], v12, s17 src0_sel:BYTE_0 src1_sel:DWORD
	s_and_saveexec_b64 s[26:27], s[24:25]
	s_xor_b64 s[24:25], exec, s[26:27]
	s_cbranch_execnz .LBB307_264
; %bb.11:                               ;   in Loop: Header=BB307_10 Depth=1
	s_or_saveexec_b64 s[24:25], s[24:25]
	v_mov_b32_e32 v0, s28
	s_xor_b64 exec, exec, s[24:25]
	s_cbranch_execnz .LBB307_267
.LBB307_12:                             ;   in Loop: Header=BB307_10 Depth=1
	s_or_b64 exec, exec, s[24:25]
	s_and_saveexec_b64 s[24:25], s[4:5]
	s_cbranch_execz .LBB307_14
.LBB307_13:                             ;   in Loop: Header=BB307_10 Depth=1
	v_and_b32_e32 v2, 7, v12
	v_ffbh_u32_e32 v0, v2
	v_min_u32_e32 v4, 32, v0
	v_subrev_u32_e32 v0, 28, v4
	v_bfe_u32 v3, v12, 3, 4
	v_lshlrev_b64 v[0:1], v0, v[12:13]
	v_sub_u32_e32 v1, 29, v4
	v_cmp_eq_u32_e64 s[4:5], 0, v3
	v_and_b32_e32 v0, 7, v0
	s_nop 0
	v_cndmask_b32_e64 v1, v3, v1, s[4:5]
	v_mov_b32_e32 v3, 0x1c00
	v_cndmask_b32_e64 v0, v2, v0, s[4:5]
	v_lshlrev_b32_e32 v2, 8, v12
	v_lshl_add_u32 v1, v1, 10, v3
	v_and_or_b32 v1, v2, s34, v1
	v_lshl_or_b32 v0, v0, 7, v1
	v_cvt_f32_f16_e32 v0, v0
.LBB307_14:                             ;   in Loop: Header=BB307_10 Depth=1
	s_or_b64 exec, exec, s[24:25]
	v_lshrrev_b16_e32 v8, 8, v12
	v_accvgpr_write_b32 a46, v0
	v_cmp_lt_i16_e64 s[4:5], s17, v8
	s_mov_b64 s[24:25], 0
                                        ; implicit-def: $sgpr35
	s_and_saveexec_b64 s[26:27], s[4:5]
	s_xor_b64 s[26:27], exec, s[26:27]
	s_cbranch_execnz .LBB307_268
; %bb.15:                               ;   in Loop: Header=BB307_10 Depth=1
	s_or_saveexec_b64 s[26:27], s[26:27]
	v_mov_b32_e32 v5, s35
	s_xor_b64 exec, exec, s[26:27]
	s_cbranch_execnz .LBB307_271
.LBB307_16:                             ;   in Loop: Header=BB307_10 Depth=1
	s_or_b64 exec, exec, s[26:27]
	s_and_saveexec_b64 s[26:27], s[24:25]
	s_cbranch_execz .LBB307_18
.LBB307_17:                             ;   in Loop: Header=BB307_10 Depth=1
	v_and_b32_e32 v2, 7, v8
	v_ffbh_u32_e32 v0, v2
	v_min_u32_e32 v4, 32, v0
	v_subrev_u32_e32 v0, 28, v4
	v_bfe_u32 v3, v8, 3, 4
	v_lshlrev_b64 v[0:1], v0, v[8:9]
	v_sub_u32_e32 v1, 29, v4
	v_cmp_eq_u32_e64 s[4:5], 0, v3
	v_and_b32_e32 v0, 7, v0
	s_nop 0
	v_cndmask_b32_e64 v1, v3, v1, s[4:5]
	v_mov_b32_e32 v3, 0x1c00
	v_cndmask_b32_e64 v0, v2, v0, s[4:5]
	v_lshlrev_b32_e32 v2, 8, v8
	v_lshl_add_u32 v1, v1, 10, v3
	v_and_or_b32 v1, v2, s34, v1
	v_lshl_or_b32 v0, v0, 7, v1
	v_cvt_f32_f16_e32 v5, v0
.LBB307_18:                             ;   in Loop: Header=BB307_10 Depth=1
	s_or_b64 exec, exec, s[26:27]
	v_lshrrev_b32_e32 v8, 16, v12
	v_cmp_gt_i16_sdwa s[24:25], v8, s17 src0_sel:BYTE_0 src1_sel:DWORD
	s_mov_b64 s[4:5], 0
                                        ; implicit-def: $sgpr28
	s_and_saveexec_b64 s[26:27], s[24:25]
	s_xor_b64 s[24:25], exec, s[26:27]
	s_cbranch_execnz .LBB307_272
; %bb.19:                               ;   in Loop: Header=BB307_10 Depth=1
	s_or_saveexec_b64 s[24:25], s[24:25]
	v_mov_b32_e32 v20, s28
	s_xor_b64 exec, exec, s[24:25]
	s_cbranch_execnz .LBB307_275
.LBB307_20:                             ;   in Loop: Header=BB307_10 Depth=1
	s_or_b64 exec, exec, s[24:25]
	s_and_saveexec_b64 s[24:25], s[4:5]
	s_cbranch_execz .LBB307_22
.LBB307_21:                             ;   in Loop: Header=BB307_10 Depth=1
	v_bfe_u32 v2, v12, 16, 3
	v_ffbh_u32_e32 v0, v2
	v_min_u32_e32 v4, 32, v0
	v_subrev_u32_e32 v0, 28, v4
	v_bfe_u32 v3, v12, 19, 4
	v_lshlrev_b64 v[0:1], v0, v[8:9]
	v_sub_u32_e32 v1, 29, v4
	v_cmp_eq_u32_e64 s[4:5], 0, v3
	v_and_b32_e32 v0, 7, v0
	s_nop 0
	v_cndmask_b32_e64 v1, v3, v1, s[4:5]
	v_mov_b32_e32 v3, 0x1c00
	v_cndmask_b32_e64 v0, v2, v0, s[4:5]
	v_lshlrev_b32_e32 v2, 8, v8
	v_lshl_add_u32 v1, v1, 10, v3
	v_and_or_b32 v1, v2, s34, v1
	v_lshl_or_b32 v0, v0, 7, v1
	v_cvt_f32_f16_e32 v20, v0
.LBB307_22:                             ;   in Loop: Header=BB307_10 Depth=1
	s_or_b64 exec, exec, s[24:25]
	v_lshrrev_b32_e32 v8, 24, v12
	v_cmp_lt_i16_e64 s[4:5], s17, v8
	s_mov_b64 s[24:25], 0
                                        ; implicit-def: $sgpr35
	s_and_saveexec_b64 s[26:27], s[4:5]
	s_xor_b64 s[26:27], exec, s[26:27]
	s_cbranch_execz .LBB307_26
; %bb.23:                               ;   in Loop: Header=BB307_10 Depth=1
	v_cmp_eq_u16_e64 s[4:5], s31, v8
	s_mov_b64 s[24:25], -1
                                        ; implicit-def: $sgpr35
	s_and_saveexec_b64 s[28:29], s[4:5]
; %bb.24:                               ;   in Loop: Header=BB307_10 Depth=1
	s_mov_b32 s35, 0x7fc02000
	s_xor_b64 s[24:25], exec, -1
; %bb.25:                               ;   in Loop: Header=BB307_10 Depth=1
	s_or_b64 exec, exec, s[28:29]
	s_and_b64 s[24:25], s[24:25], exec
.LBB307_26:                             ;   in Loop: Header=BB307_10 Depth=1
	s_or_saveexec_b64 s[26:27], s[26:27]
	v_mov_b32_e32 v0, s35
	scratch_store_dword off, v0, s32 offset:132 ; 4-byte Folded Spill
	s_xor_b64 exec, exec, s[26:27]
	s_cbranch_execz .LBB307_28
; %bb.27:                               ;   in Loop: Header=BB307_10 Depth=1
	v_cmp_ne_u16_e64 s[4:5], 0, v8
	s_andn2_b64 s[24:25], s[24:25], exec
	s_and_b64 s[4:5], s[4:5], exec
	v_mov_b32_e32 v0, 0
	s_or_b64 s[24:25], s[24:25], s[4:5]
	scratch_store_dword off, v0, s32 offset:132 ; 4-byte Folded Spill
.LBB307_28:                             ;   in Loop: Header=BB307_10 Depth=1
	s_or_b64 exec, exec, s[26:27]
	s_and_saveexec_b64 s[26:27], s[24:25]
	s_cbranch_execz .LBB307_30
; %bb.29:                               ;   in Loop: Header=BB307_10 Depth=1
	v_bfe_u32 v2, v12, 24, 3
	v_ffbh_u32_e32 v0, v2
	v_min_u32_e32 v4, 32, v0
	v_subrev_u32_e32 v0, 28, v4
	v_bfe_u32 v3, v12, 27, 4
	v_lshlrev_b64 v[0:1], v0, v[8:9]
	v_sub_u32_e32 v1, 29, v4
	v_cmp_eq_u32_e64 s[4:5], 0, v3
	v_and_b32_e32 v0, 7, v0
	s_nop 0
	v_cndmask_b32_e64 v1, v3, v1, s[4:5]
	v_mov_b32_e32 v3, 0x1c00
	v_cndmask_b32_e64 v0, v2, v0, s[4:5]
	v_lshlrev_b32_e32 v2, 8, v8
	v_lshl_add_u32 v1, v1, 10, v3
	v_and_or_b32 v1, v2, s34, v1
	v_lshl_or_b32 v0, v0, 7, v1
	v_cvt_f32_f16_e32 v0, v0
	scratch_store_dword off, v0, s32 offset:132 ; 4-byte Folded Spill
.LBB307_30:                             ;   in Loop: Header=BB307_10 Depth=1
	s_or_b64 exec, exec, s[26:27]
	flat_load_dword v12, v[36:37] offset:8
	s_mov_b64 s[4:5], 0
                                        ; implicit-def: $sgpr28
	s_waitcnt vmcnt(0) lgkmcnt(0)
	v_cmp_gt_i16_sdwa s[24:25], v12, s17 src0_sel:BYTE_0 src1_sel:DWORD
	s_and_saveexec_b64 s[26:27], s[24:25]
	s_xor_b64 s[24:25], exec, s[26:27]
	s_cbranch_execnz .LBB307_276
; %bb.31:                               ;   in Loop: Header=BB307_10 Depth=1
	s_or_saveexec_b64 s[24:25], s[24:25]
	v_mov_b32_e32 v38, s28
	s_xor_b64 exec, exec, s[24:25]
	s_cbranch_execnz .LBB307_279
.LBB307_32:                             ;   in Loop: Header=BB307_10 Depth=1
	s_or_b64 exec, exec, s[24:25]
	s_and_saveexec_b64 s[24:25], s[4:5]
	s_cbranch_execz .LBB307_34
.LBB307_33:                             ;   in Loop: Header=BB307_10 Depth=1
	v_and_b32_e32 v2, 7, v12
	v_ffbh_u32_e32 v0, v2
	v_min_u32_e32 v4, 32, v0
	v_subrev_u32_e32 v0, 28, v4
	v_bfe_u32 v3, v12, 3, 4
	v_lshlrev_b64 v[0:1], v0, v[12:13]
	v_sub_u32_e32 v1, 29, v4
	v_cmp_eq_u32_e64 s[4:5], 0, v3
	v_and_b32_e32 v0, 7, v0
	s_nop 0
	v_cndmask_b32_e64 v1, v3, v1, s[4:5]
	v_mov_b32_e32 v3, 0x1c00
	v_cndmask_b32_e64 v0, v2, v0, s[4:5]
	v_lshlrev_b32_e32 v2, 8, v12
	v_lshl_add_u32 v1, v1, 10, v3
	v_and_or_b32 v1, v2, s34, v1
	v_lshl_or_b32 v0, v0, 7, v1
	v_cvt_f32_f16_e32 v38, v0
.LBB307_34:                             ;   in Loop: Header=BB307_10 Depth=1
	s_or_b64 exec, exec, s[24:25]
	v_lshrrev_b16_e32 v8, 8, v12
	v_cmp_lt_i16_e64 s[4:5], s17, v8
	s_mov_b64 s[24:25], 0
                                        ; implicit-def: $sgpr35
	s_and_saveexec_b64 s[26:27], s[4:5]
	s_xor_b64 s[26:27], exec, s[26:27]
	s_cbranch_execz .LBB307_38
; %bb.35:                               ;   in Loop: Header=BB307_10 Depth=1
	v_cmp_eq_u16_e64 s[4:5], s31, v8
	s_mov_b64 s[24:25], -1
                                        ; implicit-def: $sgpr35
	s_and_saveexec_b64 s[28:29], s[4:5]
; %bb.36:                               ;   in Loop: Header=BB307_10 Depth=1
	s_mov_b32 s35, 0x7fc02000
	s_xor_b64 s[24:25], exec, -1
; %bb.37:                               ;   in Loop: Header=BB307_10 Depth=1
	s_or_b64 exec, exec, s[28:29]
	s_and_b64 s[24:25], s[24:25], exec
.LBB307_38:                             ;   in Loop: Header=BB307_10 Depth=1
	s_or_saveexec_b64 s[26:27], s[26:27]
	v_mov_b32_e32 v0, s35
	scratch_store_dword off, v0, s32 offset:136 ; 4-byte Folded Spill
	s_xor_b64 exec, exec, s[26:27]
	s_cbranch_execz .LBB307_40
; %bb.39:                               ;   in Loop: Header=BB307_10 Depth=1
	v_cmp_ne_u16_e64 s[4:5], 0, v8
	s_andn2_b64 s[24:25], s[24:25], exec
	s_and_b64 s[4:5], s[4:5], exec
	v_mov_b32_e32 v0, 0
	s_or_b64 s[24:25], s[24:25], s[4:5]
	scratch_store_dword off, v0, s32 offset:136 ; 4-byte Folded Spill
.LBB307_40:                             ;   in Loop: Header=BB307_10 Depth=1
	s_or_b64 exec, exec, s[26:27]
	s_and_saveexec_b64 s[26:27], s[24:25]
	s_cbranch_execz .LBB307_42
; %bb.41:                               ;   in Loop: Header=BB307_10 Depth=1
	v_and_b32_e32 v2, 7, v8
	v_ffbh_u32_e32 v0, v2
	v_min_u32_e32 v4, 32, v0
	v_subrev_u32_e32 v0, 28, v4
	v_bfe_u32 v3, v8, 3, 4
	v_lshlrev_b64 v[0:1], v0, v[8:9]
	v_sub_u32_e32 v1, 29, v4
	v_cmp_eq_u32_e64 s[4:5], 0, v3
	v_and_b32_e32 v0, 7, v0
	s_nop 0
	v_cndmask_b32_e64 v1, v3, v1, s[4:5]
	v_mov_b32_e32 v3, 0x1c00
	v_cndmask_b32_e64 v0, v2, v0, s[4:5]
	v_lshlrev_b32_e32 v2, 8, v8
	v_lshl_add_u32 v1, v1, 10, v3
	v_and_or_b32 v1, v2, s34, v1
	v_lshl_or_b32 v0, v0, 7, v1
	v_cvt_f32_f16_e32 v0, v0
	scratch_store_dword off, v0, s32 offset:136 ; 4-byte Folded Spill
.LBB307_42:                             ;   in Loop: Header=BB307_10 Depth=1
	s_or_b64 exec, exec, s[26:27]
	v_lshrrev_b32_e32 v8, 16, v12
	v_cmp_gt_i16_sdwa s[24:25], v8, s17 src0_sel:BYTE_0 src1_sel:DWORD
	s_mov_b64 s[4:5], 0
                                        ; implicit-def: $sgpr28
	s_and_saveexec_b64 s[26:27], s[24:25]
	s_xor_b64 s[24:25], exec, s[26:27]
	s_cbranch_execnz .LBB307_280
; %bb.43:                               ;   in Loop: Header=BB307_10 Depth=1
	s_or_saveexec_b64 s[24:25], s[24:25]
	v_mov_b32_e32 v54, s28
	s_xor_b64 exec, exec, s[24:25]
	s_cbranch_execnz .LBB307_283
.LBB307_44:                             ;   in Loop: Header=BB307_10 Depth=1
	s_or_b64 exec, exec, s[24:25]
	s_and_saveexec_b64 s[24:25], s[4:5]
	s_cbranch_execz .LBB307_46
.LBB307_45:                             ;   in Loop: Header=BB307_10 Depth=1
	v_bfe_u32 v2, v12, 16, 3
	v_ffbh_u32_e32 v0, v2
	v_min_u32_e32 v4, 32, v0
	v_subrev_u32_e32 v0, 28, v4
	v_bfe_u32 v3, v12, 19, 4
	v_lshlrev_b64 v[0:1], v0, v[8:9]
	v_sub_u32_e32 v1, 29, v4
	v_cmp_eq_u32_e64 s[4:5], 0, v3
	v_and_b32_e32 v0, 7, v0
	s_nop 0
	v_cndmask_b32_e64 v1, v3, v1, s[4:5]
	v_mov_b32_e32 v3, 0x1c00
	v_cndmask_b32_e64 v0, v2, v0, s[4:5]
	v_lshlrev_b32_e32 v2, 8, v8
	v_lshl_add_u32 v1, v1, 10, v3
	v_and_or_b32 v1, v2, s34, v1
	v_lshl_or_b32 v0, v0, 7, v1
	v_cvt_f32_f16_e32 v54, v0
.LBB307_46:                             ;   in Loop: Header=BB307_10 Depth=1
	s_or_b64 exec, exec, s[24:25]
	v_lshrrev_b32_e32 v8, 24, v12
	v_cmp_lt_i16_e64 s[4:5], s17, v8
	s_mov_b64 s[24:25], 0
                                        ; implicit-def: $sgpr35
	s_and_saveexec_b64 s[26:27], s[4:5]
	s_xor_b64 s[26:27], exec, s[26:27]
	s_cbranch_execnz .LBB307_284
; %bb.47:                               ;   in Loop: Header=BB307_10 Depth=1
	s_or_saveexec_b64 s[26:27], s[26:27]
	v_mov_b32_e32 v34, s35
	s_xor_b64 exec, exec, s[26:27]
	s_cbranch_execnz .LBB307_287
.LBB307_48:                             ;   in Loop: Header=BB307_10 Depth=1
	s_or_b64 exec, exec, s[26:27]
	s_and_saveexec_b64 s[26:27], s[24:25]
	s_cbranch_execz .LBB307_50
.LBB307_49:                             ;   in Loop: Header=BB307_10 Depth=1
	v_bfe_u32 v2, v12, 24, 3
	v_ffbh_u32_e32 v0, v2
	v_min_u32_e32 v4, 32, v0
	v_subrev_u32_e32 v0, 28, v4
	v_bfe_u32 v3, v12, 27, 4
	v_lshlrev_b64 v[0:1], v0, v[8:9]
	v_sub_u32_e32 v1, 29, v4
	v_cmp_eq_u32_e64 s[4:5], 0, v3
	v_and_b32_e32 v0, 7, v0
	s_nop 0
	v_cndmask_b32_e64 v1, v3, v1, s[4:5]
	v_mov_b32_e32 v3, 0x1c00
	v_cndmask_b32_e64 v0, v2, v0, s[4:5]
	v_lshlrev_b32_e32 v2, 8, v8
	v_lshl_add_u32 v1, v1, 10, v3
	v_and_or_b32 v1, v2, s34, v1
	v_lshl_or_b32 v0, v0, 7, v1
	v_cvt_f32_f16_e32 v34, v0
.LBB307_50:                             ;   in Loop: Header=BB307_10 Depth=1
	s_or_b64 exec, exec, s[26:27]
	flat_load_dword v12, v[36:37] offset:512
	s_mov_b64 s[4:5], 0
                                        ; implicit-def: $sgpr28
	s_waitcnt vmcnt(0) lgkmcnt(0)
	v_cmp_gt_i16_sdwa s[24:25], v12, s17 src0_sel:BYTE_0 src1_sel:DWORD
	s_and_saveexec_b64 s[26:27], s[24:25]
	s_xor_b64 s[24:25], exec, s[26:27]
	s_cbranch_execnz .LBB307_288
; %bb.51:                               ;   in Loop: Header=BB307_10 Depth=1
	s_or_saveexec_b64 s[24:25], s[24:25]
	v_mov_b32_e32 v0, s28
	s_xor_b64 exec, exec, s[24:25]
	s_cbranch_execnz .LBB307_291
.LBB307_52:                             ;   in Loop: Header=BB307_10 Depth=1
	s_or_b64 exec, exec, s[24:25]
	s_and_saveexec_b64 s[24:25], s[4:5]
	s_cbranch_execz .LBB307_54
.LBB307_53:                             ;   in Loop: Header=BB307_10 Depth=1
	v_and_b32_e32 v2, 7, v12
	v_ffbh_u32_e32 v0, v2
	v_min_u32_e32 v4, 32, v0
	v_subrev_u32_e32 v0, 28, v4
	v_bfe_u32 v3, v12, 3, 4
	v_lshlrev_b64 v[0:1], v0, v[12:13]
	v_sub_u32_e32 v1, 29, v4
	v_cmp_eq_u32_e64 s[4:5], 0, v3
	v_and_b32_e32 v0, 7, v0
	s_nop 0
	v_cndmask_b32_e64 v1, v3, v1, s[4:5]
	v_mov_b32_e32 v3, 0x1c00
	v_cndmask_b32_e64 v0, v2, v0, s[4:5]
	v_lshlrev_b32_e32 v2, 8, v12
	v_lshl_add_u32 v1, v1, 10, v3
	v_and_or_b32 v1, v2, s34, v1
	v_lshl_or_b32 v0, v0, 7, v1
	v_cvt_f32_f16_e32 v0, v0
.LBB307_54:                             ;   in Loop: Header=BB307_10 Depth=1
	s_or_b64 exec, exec, s[24:25]
	v_lshrrev_b16_e32 v8, 8, v12
	v_accvgpr_write_b32 a48, v0
	v_cmp_lt_i16_e64 s[4:5], s17, v8
	s_mov_b64 s[24:25], 0
                                        ; implicit-def: $sgpr35
	s_and_saveexec_b64 s[26:27], s[4:5]
	s_xor_b64 s[26:27], exec, s[26:27]
	s_cbranch_execnz .LBB307_292
; %bb.55:                               ;   in Loop: Header=BB307_10 Depth=1
	s_or_saveexec_b64 s[26:27], s[26:27]
	v_mov_b32_e32 v48, s35
	s_xor_b64 exec, exec, s[26:27]
	s_cbranch_execnz .LBB307_295
.LBB307_56:                             ;   in Loop: Header=BB307_10 Depth=1
	s_or_b64 exec, exec, s[26:27]
	s_and_saveexec_b64 s[26:27], s[24:25]
	s_cbranch_execz .LBB307_58
.LBB307_57:                             ;   in Loop: Header=BB307_10 Depth=1
	v_and_b32_e32 v2, 7, v8
	v_ffbh_u32_e32 v0, v2
	v_min_u32_e32 v4, 32, v0
	v_subrev_u32_e32 v0, 28, v4
	v_bfe_u32 v3, v8, 3, 4
	v_lshlrev_b64 v[0:1], v0, v[8:9]
	v_sub_u32_e32 v1, 29, v4
	v_cmp_eq_u32_e64 s[4:5], 0, v3
	v_and_b32_e32 v0, 7, v0
	s_nop 0
	v_cndmask_b32_e64 v1, v3, v1, s[4:5]
	v_mov_b32_e32 v3, 0x1c00
	v_cndmask_b32_e64 v0, v2, v0, s[4:5]
	v_lshlrev_b32_e32 v2, 8, v8
	v_lshl_add_u32 v1, v1, 10, v3
	v_and_or_b32 v1, v2, s34, v1
	v_lshl_or_b32 v0, v0, 7, v1
	v_cvt_f32_f16_e32 v48, v0
.LBB307_58:                             ;   in Loop: Header=BB307_10 Depth=1
	s_or_b64 exec, exec, s[26:27]
	v_lshrrev_b32_e32 v8, 16, v12
	v_cmp_gt_i16_sdwa s[24:25], v8, s17 src0_sel:BYTE_0 src1_sel:DWORD
	s_mov_b64 s[4:5], 0
                                        ; implicit-def: $sgpr28
	s_and_saveexec_b64 s[26:27], s[24:25]
	s_xor_b64 s[24:25], exec, s[26:27]
	s_cbranch_execnz .LBB307_296
; %bb.59:                               ;   in Loop: Header=BB307_10 Depth=1
	s_or_saveexec_b64 s[24:25], s[24:25]
	v_mov_b32_e32 v58, s28
	s_xor_b64 exec, exec, s[24:25]
	s_cbranch_execnz .LBB307_299
.LBB307_60:                             ;   in Loop: Header=BB307_10 Depth=1
	s_or_b64 exec, exec, s[24:25]
	s_and_saveexec_b64 s[24:25], s[4:5]
	s_cbranch_execz .LBB307_62
.LBB307_61:                             ;   in Loop: Header=BB307_10 Depth=1
	v_bfe_u32 v2, v12, 16, 3
	v_ffbh_u32_e32 v0, v2
	v_min_u32_e32 v4, 32, v0
	v_subrev_u32_e32 v0, 28, v4
	v_bfe_u32 v3, v12, 19, 4
	v_lshlrev_b64 v[0:1], v0, v[8:9]
	v_sub_u32_e32 v1, 29, v4
	v_cmp_eq_u32_e64 s[4:5], 0, v3
	v_and_b32_e32 v0, 7, v0
	s_nop 0
	v_cndmask_b32_e64 v1, v3, v1, s[4:5]
	v_mov_b32_e32 v3, 0x1c00
	v_cndmask_b32_e64 v0, v2, v0, s[4:5]
	v_lshlrev_b32_e32 v2, 8, v8
	v_lshl_add_u32 v1, v1, 10, v3
	v_and_or_b32 v1, v2, s34, v1
	v_lshl_or_b32 v0, v0, 7, v1
	v_cvt_f32_f16_e32 v58, v0
.LBB307_62:                             ;   in Loop: Header=BB307_10 Depth=1
	s_or_b64 exec, exec, s[24:25]
	v_lshrrev_b32_e32 v8, 24, v12
	v_cmp_lt_i16_e64 s[4:5], s17, v8
	s_mov_b64 s[24:25], 0
                                        ; implicit-def: $sgpr35
	s_and_saveexec_b64 s[26:27], s[4:5]
	s_xor_b64 s[26:27], exec, s[26:27]
	s_cbranch_execnz .LBB307_300
; %bb.63:                               ;   in Loop: Header=BB307_10 Depth=1
	s_or_saveexec_b64 s[26:27], s[26:27]
	v_mov_b32_e32 v59, s35
	s_xor_b64 exec, exec, s[26:27]
	s_cbranch_execnz .LBB307_303
.LBB307_64:                             ;   in Loop: Header=BB307_10 Depth=1
	s_or_b64 exec, exec, s[26:27]
	s_and_saveexec_b64 s[26:27], s[24:25]
	s_cbranch_execz .LBB307_66
.LBB307_65:                             ;   in Loop: Header=BB307_10 Depth=1
	v_bfe_u32 v2, v12, 24, 3
	v_ffbh_u32_e32 v0, v2
	v_min_u32_e32 v4, 32, v0
	v_subrev_u32_e32 v0, 28, v4
	v_bfe_u32 v3, v12, 27, 4
	v_lshlrev_b64 v[0:1], v0, v[8:9]
	v_sub_u32_e32 v1, 29, v4
	v_cmp_eq_u32_e64 s[4:5], 0, v3
	v_and_b32_e32 v0, 7, v0
	s_nop 0
	v_cndmask_b32_e64 v1, v3, v1, s[4:5]
	v_mov_b32_e32 v3, 0x1c00
	v_cndmask_b32_e64 v0, v2, v0, s[4:5]
	v_lshlrev_b32_e32 v2, 8, v8
	v_lshl_add_u32 v1, v1, 10, v3
	v_and_or_b32 v1, v2, s34, v1
	v_lshl_or_b32 v0, v0, 7, v1
	v_cvt_f32_f16_e32 v59, v0
.LBB307_66:                             ;   in Loop: Header=BB307_10 Depth=1
	s_or_b64 exec, exec, s[26:27]
	flat_load_dword v12, v[36:37] offset:520
	s_mov_b64 s[4:5], 0
                                        ; implicit-def: $sgpr28
	s_waitcnt vmcnt(0) lgkmcnt(0)
	v_cmp_gt_i16_sdwa s[24:25], v12, s17 src0_sel:BYTE_0 src1_sel:DWORD
	s_and_saveexec_b64 s[26:27], s[24:25]
	s_xor_b64 s[24:25], exec, s[26:27]
	s_cbranch_execnz .LBB307_304
; %bb.67:                               ;   in Loop: Header=BB307_10 Depth=1
	s_or_saveexec_b64 s[24:25], s[24:25]
	v_mov_b32_e32 v0, s28
	s_xor_b64 exec, exec, s[24:25]
	s_cbranch_execnz .LBB307_307
.LBB307_68:                             ;   in Loop: Header=BB307_10 Depth=1
	s_or_b64 exec, exec, s[24:25]
	s_and_saveexec_b64 s[24:25], s[4:5]
	s_cbranch_execz .LBB307_70
.LBB307_69:                             ;   in Loop: Header=BB307_10 Depth=1
	v_and_b32_e32 v2, 7, v12
	v_ffbh_u32_e32 v0, v2
	v_min_u32_e32 v4, 32, v0
	v_subrev_u32_e32 v0, 28, v4
	v_bfe_u32 v3, v12, 3, 4
	v_lshlrev_b64 v[0:1], v0, v[12:13]
	v_sub_u32_e32 v1, 29, v4
	v_cmp_eq_u32_e64 s[4:5], 0, v3
	v_and_b32_e32 v0, 7, v0
	s_nop 0
	v_cndmask_b32_e64 v1, v3, v1, s[4:5]
	v_mov_b32_e32 v3, 0x1c00
	v_cndmask_b32_e64 v0, v2, v0, s[4:5]
	v_lshlrev_b32_e32 v2, 8, v12
	v_lshl_add_u32 v1, v1, 10, v3
	v_and_or_b32 v1, v2, s34, v1
	v_lshl_or_b32 v0, v0, 7, v1
	v_cvt_f32_f16_e32 v0, v0
.LBB307_70:                             ;   in Loop: Header=BB307_10 Depth=1
	s_or_b64 exec, exec, s[24:25]
	v_lshrrev_b16_e32 v8, 8, v12
	v_accvgpr_write_b32 a44, v0
	v_cmp_lt_i16_e64 s[4:5], s17, v8
	s_mov_b64 s[24:25], 0
                                        ; implicit-def: $sgpr35
	s_and_saveexec_b64 s[26:27], s[4:5]
	s_xor_b64 s[26:27], exec, s[26:27]
	s_cbranch_execnz .LBB307_308
; %bb.71:                               ;   in Loop: Header=BB307_10 Depth=1
	s_or_saveexec_b64 s[26:27], s[26:27]
	v_mov_b32_e32 v62, s35
	s_xor_b64 exec, exec, s[26:27]
	s_cbranch_execnz .LBB307_311
.LBB307_72:                             ;   in Loop: Header=BB307_10 Depth=1
	s_or_b64 exec, exec, s[26:27]
	s_and_saveexec_b64 s[26:27], s[24:25]
	s_cbranch_execz .LBB307_74
.LBB307_73:                             ;   in Loop: Header=BB307_10 Depth=1
	v_and_b32_e32 v2, 7, v8
	v_ffbh_u32_e32 v0, v2
	v_min_u32_e32 v4, 32, v0
	v_subrev_u32_e32 v0, 28, v4
	v_bfe_u32 v3, v8, 3, 4
	v_lshlrev_b64 v[0:1], v0, v[8:9]
	v_sub_u32_e32 v1, 29, v4
	v_cmp_eq_u32_e64 s[4:5], 0, v3
	v_and_b32_e32 v0, 7, v0
	s_nop 0
	v_cndmask_b32_e64 v1, v3, v1, s[4:5]
	v_mov_b32_e32 v3, 0x1c00
	v_cndmask_b32_e64 v0, v2, v0, s[4:5]
	v_lshlrev_b32_e32 v2, 8, v8
	v_lshl_add_u32 v1, v1, 10, v3
	v_and_or_b32 v1, v2, s34, v1
	v_lshl_or_b32 v0, v0, 7, v1
	v_cvt_f32_f16_e32 v62, v0
.LBB307_74:                             ;   in Loop: Header=BB307_10 Depth=1
	s_or_b64 exec, exec, s[26:27]
	v_lshrrev_b32_e32 v8, 16, v12
	v_cmp_gt_i16_sdwa s[24:25], v8, s17 src0_sel:BYTE_0 src1_sel:DWORD
	s_mov_b64 s[4:5], 0
                                        ; implicit-def: $sgpr28
	s_and_saveexec_b64 s[26:27], s[24:25]
	s_xor_b64 s[24:25], exec, s[26:27]
	s_cbranch_execnz .LBB307_312
; %bb.75:                               ;   in Loop: Header=BB307_10 Depth=1
	s_or_saveexec_b64 s[24:25], s[24:25]
	v_mov_b32_e32 v23, s28
	s_xor_b64 exec, exec, s[24:25]
	s_cbranch_execnz .LBB307_315
.LBB307_76:                             ;   in Loop: Header=BB307_10 Depth=1
	s_or_b64 exec, exec, s[24:25]
	s_and_saveexec_b64 s[24:25], s[4:5]
	s_cbranch_execz .LBB307_78
.LBB307_77:                             ;   in Loop: Header=BB307_10 Depth=1
	v_bfe_u32 v2, v12, 16, 3
	v_ffbh_u32_e32 v0, v2
	v_min_u32_e32 v4, 32, v0
	v_subrev_u32_e32 v0, 28, v4
	v_bfe_u32 v3, v12, 19, 4
	v_lshlrev_b64 v[0:1], v0, v[8:9]
	v_sub_u32_e32 v1, 29, v4
	v_cmp_eq_u32_e64 s[4:5], 0, v3
	v_and_b32_e32 v0, 7, v0
	s_nop 0
	v_cndmask_b32_e64 v1, v3, v1, s[4:5]
	v_mov_b32_e32 v3, 0x1c00
	v_cndmask_b32_e64 v0, v2, v0, s[4:5]
	v_lshlrev_b32_e32 v2, 8, v8
	v_lshl_add_u32 v1, v1, 10, v3
	v_and_or_b32 v1, v2, s34, v1
	v_lshl_or_b32 v0, v0, 7, v1
	v_cvt_f32_f16_e32 v23, v0
.LBB307_78:                             ;   in Loop: Header=BB307_10 Depth=1
	s_or_b64 exec, exec, s[24:25]
	v_lshrrev_b32_e32 v8, 24, v12
	v_cmp_lt_i16_e64 s[4:5], s17, v8
	s_mov_b64 s[24:25], 0
                                        ; implicit-def: $sgpr35
	s_and_saveexec_b64 s[26:27], s[4:5]
	s_xor_b64 s[26:27], exec, s[26:27]
	s_cbranch_execnz .LBB307_316
; %bb.79:                               ;   in Loop: Header=BB307_10 Depth=1
	s_or_saveexec_b64 s[26:27], s[26:27]
	v_mov_b32_e32 v55, s35
	s_xor_b64 exec, exec, s[26:27]
	s_cbranch_execnz .LBB307_319
.LBB307_80:                             ;   in Loop: Header=BB307_10 Depth=1
	s_or_b64 exec, exec, s[26:27]
	s_and_saveexec_b64 s[26:27], s[24:25]
	s_cbranch_execz .LBB307_82
.LBB307_81:                             ;   in Loop: Header=BB307_10 Depth=1
	v_bfe_u32 v2, v12, 24, 3
	v_ffbh_u32_e32 v0, v2
	v_min_u32_e32 v4, 32, v0
	v_subrev_u32_e32 v0, 28, v4
	v_bfe_u32 v3, v12, 27, 4
	v_lshlrev_b64 v[0:1], v0, v[8:9]
	v_sub_u32_e32 v1, 29, v4
	v_cmp_eq_u32_e64 s[4:5], 0, v3
	v_and_b32_e32 v0, 7, v0
	s_nop 0
	v_cndmask_b32_e64 v1, v3, v1, s[4:5]
	v_mov_b32_e32 v3, 0x1c00
	v_cndmask_b32_e64 v0, v2, v0, s[4:5]
	v_lshlrev_b32_e32 v2, 8, v8
	v_lshl_add_u32 v1, v1, 10, v3
	v_and_or_b32 v1, v2, s34, v1
	v_lshl_or_b32 v0, v0, 7, v1
	v_cvt_f32_f16_e32 v55, v0
.LBB307_82:                             ;   in Loop: Header=BB307_10 Depth=1
	s_or_b64 exec, exec, s[26:27]
	flat_load_dword v12, v[36:37] offset:1024
	s_mov_b64 s[4:5], 0
                                        ; implicit-def: $sgpr28
	s_waitcnt vmcnt(0) lgkmcnt(0)
	v_cmp_gt_i16_sdwa s[24:25], v12, s17 src0_sel:BYTE_0 src1_sel:DWORD
	s_and_saveexec_b64 s[26:27], s[24:25]
	s_xor_b64 s[24:25], exec, s[26:27]
	s_cbranch_execnz .LBB307_320
; %bb.83:                               ;   in Loop: Header=BB307_10 Depth=1
	s_or_saveexec_b64 s[24:25], s[24:25]
	v_mov_b32_e32 v0, s28
	s_xor_b64 exec, exec, s[24:25]
	s_cbranch_execnz .LBB307_323
.LBB307_84:                             ;   in Loop: Header=BB307_10 Depth=1
	s_or_b64 exec, exec, s[24:25]
	s_and_saveexec_b64 s[24:25], s[4:5]
	s_cbranch_execz .LBB307_86
.LBB307_85:                             ;   in Loop: Header=BB307_10 Depth=1
	v_and_b32_e32 v2, 7, v12
	v_ffbh_u32_e32 v0, v2
	v_min_u32_e32 v4, 32, v0
	v_subrev_u32_e32 v0, 28, v4
	v_bfe_u32 v3, v12, 3, 4
	v_lshlrev_b64 v[0:1], v0, v[12:13]
	v_sub_u32_e32 v1, 29, v4
	v_cmp_eq_u32_e64 s[4:5], 0, v3
	v_and_b32_e32 v0, 7, v0
	s_nop 0
	v_cndmask_b32_e64 v1, v3, v1, s[4:5]
	v_mov_b32_e32 v3, 0x1c00
	v_cndmask_b32_e64 v0, v2, v0, s[4:5]
	v_lshlrev_b32_e32 v2, 8, v12
	v_lshl_add_u32 v1, v1, 10, v3
	v_and_or_b32 v1, v2, s34, v1
	v_lshl_or_b32 v0, v0, 7, v1
	v_cvt_f32_f16_e32 v0, v0
.LBB307_86:                             ;   in Loop: Header=BB307_10 Depth=1
	s_or_b64 exec, exec, s[24:25]
	v_lshrrev_b16_e32 v8, 8, v12
	v_accvgpr_write_b32 a47, v0
	v_cmp_lt_i16_e64 s[4:5], s17, v8
	s_mov_b64 s[24:25], 0
                                        ; implicit-def: $sgpr35
	s_and_saveexec_b64 s[26:27], s[4:5]
	s_xor_b64 s[26:27], exec, s[26:27]
	s_cbranch_execnz .LBB307_324
; %bb.87:                               ;   in Loop: Header=BB307_10 Depth=1
	s_or_saveexec_b64 s[26:27], s[26:27]
	v_mov_b32_e32 v35, s35
	s_xor_b64 exec, exec, s[26:27]
	s_cbranch_execnz .LBB307_327
.LBB307_88:                             ;   in Loop: Header=BB307_10 Depth=1
	s_or_b64 exec, exec, s[26:27]
	s_and_saveexec_b64 s[26:27], s[24:25]
	s_cbranch_execz .LBB307_90
.LBB307_89:                             ;   in Loop: Header=BB307_10 Depth=1
	v_and_b32_e32 v2, 7, v8
	v_ffbh_u32_e32 v0, v2
	v_min_u32_e32 v4, 32, v0
	v_subrev_u32_e32 v0, 28, v4
	v_bfe_u32 v3, v8, 3, 4
	v_lshlrev_b64 v[0:1], v0, v[8:9]
	v_sub_u32_e32 v1, 29, v4
	v_cmp_eq_u32_e64 s[4:5], 0, v3
	v_and_b32_e32 v0, 7, v0
	s_nop 0
	v_cndmask_b32_e64 v1, v3, v1, s[4:5]
	v_mov_b32_e32 v3, 0x1c00
	v_cndmask_b32_e64 v0, v2, v0, s[4:5]
	v_lshlrev_b32_e32 v2, 8, v8
	v_lshl_add_u32 v1, v1, 10, v3
	v_and_or_b32 v1, v2, s34, v1
	v_lshl_or_b32 v0, v0, 7, v1
	v_cvt_f32_f16_e32 v35, v0
.LBB307_90:                             ;   in Loop: Header=BB307_10 Depth=1
	s_or_b64 exec, exec, s[26:27]
	v_lshrrev_b32_e32 v8, 16, v12
	v_cmp_gt_i16_sdwa s[24:25], v8, s17 src0_sel:BYTE_0 src1_sel:DWORD
	s_mov_b64 s[4:5], 0
                                        ; implicit-def: $sgpr28
	s_and_saveexec_b64 s[26:27], s[24:25]
	s_xor_b64 s[24:25], exec, s[26:27]
	s_cbranch_execnz .LBB307_328
; %bb.91:                               ;   in Loop: Header=BB307_10 Depth=1
	s_or_saveexec_b64 s[24:25], s[24:25]
	v_mov_b32_e32 v53, s28
	s_xor_b64 exec, exec, s[24:25]
	s_cbranch_execnz .LBB307_331
.LBB307_92:                             ;   in Loop: Header=BB307_10 Depth=1
	s_or_b64 exec, exec, s[24:25]
	s_and_saveexec_b64 s[24:25], s[4:5]
	s_cbranch_execz .LBB307_94
.LBB307_93:                             ;   in Loop: Header=BB307_10 Depth=1
	v_bfe_u32 v2, v12, 16, 3
	v_ffbh_u32_e32 v0, v2
	v_min_u32_e32 v4, 32, v0
	v_subrev_u32_e32 v0, 28, v4
	v_bfe_u32 v3, v12, 19, 4
	v_lshlrev_b64 v[0:1], v0, v[8:9]
	v_sub_u32_e32 v1, 29, v4
	v_cmp_eq_u32_e64 s[4:5], 0, v3
	v_and_b32_e32 v0, 7, v0
	s_nop 0
	v_cndmask_b32_e64 v1, v3, v1, s[4:5]
	v_mov_b32_e32 v3, 0x1c00
	v_cndmask_b32_e64 v0, v2, v0, s[4:5]
	v_lshlrev_b32_e32 v2, 8, v8
	v_lshl_add_u32 v1, v1, 10, v3
	v_and_or_b32 v1, v2, s34, v1
	v_lshl_or_b32 v0, v0, 7, v1
	v_cvt_f32_f16_e32 v53, v0
.LBB307_94:                             ;   in Loop: Header=BB307_10 Depth=1
	s_or_b64 exec, exec, s[24:25]
	v_lshrrev_b32_e32 v8, 24, v12
	v_cmp_lt_i16_e64 s[4:5], s17, v8
	s_mov_b64 s[24:25], 0
                                        ; implicit-def: $sgpr35
	s_and_saveexec_b64 s[26:27], s[4:5]
	s_xor_b64 s[26:27], exec, s[26:27]
	s_cbranch_execnz .LBB307_332
; %bb.95:                               ;   in Loop: Header=BB307_10 Depth=1
	s_or_saveexec_b64 s[26:27], s[26:27]
	v_mov_b32_e32 v40, s35
	s_xor_b64 exec, exec, s[26:27]
	s_cbranch_execnz .LBB307_335
.LBB307_96:                             ;   in Loop: Header=BB307_10 Depth=1
	s_or_b64 exec, exec, s[26:27]
	s_and_saveexec_b64 s[26:27], s[24:25]
	s_cbranch_execz .LBB307_98
.LBB307_97:                             ;   in Loop: Header=BB307_10 Depth=1
	v_bfe_u32 v2, v12, 24, 3
	v_ffbh_u32_e32 v0, v2
	v_min_u32_e32 v4, 32, v0
	v_subrev_u32_e32 v0, 28, v4
	v_bfe_u32 v3, v12, 27, 4
	v_lshlrev_b64 v[0:1], v0, v[8:9]
	v_sub_u32_e32 v1, 29, v4
	v_cmp_eq_u32_e64 s[4:5], 0, v3
	v_and_b32_e32 v0, 7, v0
	s_nop 0
	v_cndmask_b32_e64 v1, v3, v1, s[4:5]
	v_mov_b32_e32 v3, 0x1c00
	v_cndmask_b32_e64 v0, v2, v0, s[4:5]
	v_lshlrev_b32_e32 v2, 8, v8
	v_lshl_add_u32 v1, v1, 10, v3
	v_and_or_b32 v1, v2, s34, v1
	v_lshl_or_b32 v0, v0, 7, v1
	v_cvt_f32_f16_e32 v40, v0
.LBB307_98:                             ;   in Loop: Header=BB307_10 Depth=1
	s_or_b64 exec, exec, s[26:27]
	flat_load_dword v12, v[36:37] offset:1032
	s_mov_b64 s[4:5], 0
                                        ; implicit-def: $sgpr28
	s_waitcnt vmcnt(0) lgkmcnt(0)
	v_cmp_gt_i16_sdwa s[24:25], v12, s17 src0_sel:BYTE_0 src1_sel:DWORD
	s_and_saveexec_b64 s[26:27], s[24:25]
	s_xor_b64 s[24:25], exec, s[26:27]
	s_cbranch_execnz .LBB307_336
; %bb.99:                               ;   in Loop: Header=BB307_10 Depth=1
	s_or_saveexec_b64 s[24:25], s[24:25]
	v_mov_b32_e32 v0, s28
	s_xor_b64 exec, exec, s[24:25]
	s_cbranch_execnz .LBB307_339
.LBB307_100:                            ;   in Loop: Header=BB307_10 Depth=1
	s_or_b64 exec, exec, s[24:25]
	s_and_saveexec_b64 s[24:25], s[4:5]
	s_cbranch_execz .LBB307_102
.LBB307_101:                            ;   in Loop: Header=BB307_10 Depth=1
	v_and_b32_e32 v2, 7, v12
	v_ffbh_u32_e32 v0, v2
	v_min_u32_e32 v4, 32, v0
	v_subrev_u32_e32 v0, 28, v4
	v_bfe_u32 v3, v12, 3, 4
	v_lshlrev_b64 v[0:1], v0, v[12:13]
	v_sub_u32_e32 v1, 29, v4
	v_cmp_eq_u32_e64 s[4:5], 0, v3
	v_and_b32_e32 v0, 7, v0
	s_nop 0
	v_cndmask_b32_e64 v1, v3, v1, s[4:5]
	v_mov_b32_e32 v3, 0x1c00
	v_cndmask_b32_e64 v0, v2, v0, s[4:5]
	v_lshlrev_b32_e32 v2, 8, v12
	v_lshl_add_u32 v1, v1, 10, v3
	v_and_or_b32 v1, v2, s34, v1
	v_lshl_or_b32 v0, v0, 7, v1
	v_cvt_f32_f16_e32 v0, v0
.LBB307_102:                            ;   in Loop: Header=BB307_10 Depth=1
	s_or_b64 exec, exec, s[24:25]
	v_lshrrev_b16_e32 v8, 8, v12
	v_accvgpr_write_b32 a49, v0
	v_cmp_lt_i16_e64 s[4:5], s17, v8
	s_mov_b64 s[24:25], 0
                                        ; implicit-def: $sgpr35
	s_and_saveexec_b64 s[26:27], s[4:5]
	s_xor_b64 s[26:27], exec, s[26:27]
	s_cbranch_execnz .LBB307_340
; %bb.103:                              ;   in Loop: Header=BB307_10 Depth=1
	s_or_saveexec_b64 s[26:27], s[26:27]
	v_mov_b32_e32 v4, s35
	s_xor_b64 exec, exec, s[26:27]
	s_cbranch_execnz .LBB307_343
.LBB307_104:                            ;   in Loop: Header=BB307_10 Depth=1
	s_or_b64 exec, exec, s[26:27]
	s_and_saveexec_b64 s[26:27], s[24:25]
	s_cbranch_execz .LBB307_106
.LBB307_105:                            ;   in Loop: Header=BB307_10 Depth=1
	v_and_b32_e32 v2, 7, v8
	v_ffbh_u32_e32 v0, v2
	v_min_u32_e32 v4, 32, v0
	v_subrev_u32_e32 v0, 28, v4
	v_bfe_u32 v3, v8, 3, 4
	v_lshlrev_b64 v[0:1], v0, v[8:9]
	v_sub_u32_e32 v1, 29, v4
	v_cmp_eq_u32_e64 s[4:5], 0, v3
	v_and_b32_e32 v0, 7, v0
	s_nop 0
	v_cndmask_b32_e64 v1, v3, v1, s[4:5]
	v_mov_b32_e32 v3, 0x1c00
	v_cndmask_b32_e64 v0, v2, v0, s[4:5]
	v_lshlrev_b32_e32 v2, 8, v8
	v_lshl_add_u32 v1, v1, 10, v3
	v_and_or_b32 v1, v2, s34, v1
	v_lshl_or_b32 v0, v0, 7, v1
	v_cvt_f32_f16_e32 v4, v0
.LBB307_106:                            ;   in Loop: Header=BB307_10 Depth=1
	s_or_b64 exec, exec, s[26:27]
	v_lshrrev_b32_e32 v8, 16, v12
	v_cmp_gt_i16_sdwa s[24:25], v8, s17 src0_sel:BYTE_0 src1_sel:DWORD
	s_mov_b64 s[4:5], 0
                                        ; implicit-def: $sgpr28
	s_and_saveexec_b64 s[26:27], s[24:25]
	s_xor_b64 s[24:25], exec, s[26:27]
	s_cbranch_execnz .LBB307_344
; %bb.107:                              ;   in Loop: Header=BB307_10 Depth=1
	s_or_saveexec_b64 s[24:25], s[24:25]
	v_mov_b32_e32 v18, s28
	s_xor_b64 exec, exec, s[24:25]
	s_cbranch_execnz .LBB307_347
.LBB307_108:                            ;   in Loop: Header=BB307_10 Depth=1
	s_or_b64 exec, exec, s[24:25]
	s_and_saveexec_b64 s[24:25], s[4:5]
	s_cbranch_execz .LBB307_110
.LBB307_109:                            ;   in Loop: Header=BB307_10 Depth=1
	v_bfe_u32 v2, v12, 16, 3
	v_ffbh_u32_e32 v0, v2
	v_min_u32_e32 v6, 32, v0
	v_subrev_u32_e32 v0, 28, v6
	v_bfe_u32 v3, v12, 19, 4
	v_lshlrev_b64 v[0:1], v0, v[8:9]
	v_sub_u32_e32 v1, 29, v6
	v_cmp_eq_u32_e64 s[4:5], 0, v3
	v_and_b32_e32 v0, 7, v0
	s_nop 0
	v_cndmask_b32_e64 v1, v3, v1, s[4:5]
	v_mov_b32_e32 v3, 0x1c00
	v_cndmask_b32_e64 v0, v2, v0, s[4:5]
	v_lshlrev_b32_e32 v2, 8, v8
	v_lshl_add_u32 v1, v1, 10, v3
	v_and_or_b32 v1, v2, s34, v1
	v_lshl_or_b32 v0, v0, 7, v1
	v_cvt_f32_f16_e32 v18, v0
.LBB307_110:                            ;   in Loop: Header=BB307_10 Depth=1
	s_or_b64 exec, exec, s[24:25]
	v_lshrrev_b32_e32 v8, 24, v12
	v_cmp_lt_i16_e64 s[4:5], s17, v8
	s_mov_b64 s[24:25], 0
                                        ; implicit-def: $sgpr35
	s_and_saveexec_b64 s[26:27], s[4:5]
	s_xor_b64 s[26:27], exec, s[26:27]
	s_cbranch_execnz .LBB307_348
; %bb.111:                              ;   in Loop: Header=BB307_10 Depth=1
	s_or_saveexec_b64 s[26:27], s[26:27]
	v_mov_b32_e32 v19, s35
	s_xor_b64 exec, exec, s[26:27]
	s_cbranch_execnz .LBB307_351
.LBB307_112:                            ;   in Loop: Header=BB307_10 Depth=1
	s_or_b64 exec, exec, s[26:27]
	s_and_saveexec_b64 s[26:27], s[24:25]
	s_cbranch_execz .LBB307_114
.LBB307_113:                            ;   in Loop: Header=BB307_10 Depth=1
	v_bfe_u32 v2, v12, 24, 3
	v_ffbh_u32_e32 v0, v2
	v_min_u32_e32 v6, 32, v0
	v_subrev_u32_e32 v0, 28, v6
	v_bfe_u32 v3, v12, 27, 4
	v_lshlrev_b64 v[0:1], v0, v[8:9]
	v_sub_u32_e32 v1, 29, v6
	v_cmp_eq_u32_e64 s[4:5], 0, v3
	v_and_b32_e32 v0, 7, v0
	s_nop 0
	v_cndmask_b32_e64 v1, v3, v1, s[4:5]
	v_mov_b32_e32 v3, 0x1c00
	v_cndmask_b32_e64 v0, v2, v0, s[4:5]
	v_lshlrev_b32_e32 v2, 8, v8
	v_lshl_add_u32 v1, v1, 10, v3
	v_and_or_b32 v1, v2, s34, v1
	v_lshl_or_b32 v0, v0, 7, v1
	v_cvt_f32_f16_e32 v19, v0
.LBB307_114:                            ;   in Loop: Header=BB307_10 Depth=1
	s_or_b64 exec, exec, s[26:27]
	flat_load_dword v12, v[36:37] offset:1536
	s_mov_b64 s[4:5], 0
                                        ; implicit-def: $sgpr28
	s_waitcnt vmcnt(0) lgkmcnt(0)
	v_cmp_gt_i16_sdwa s[24:25], v12, s17 src0_sel:BYTE_0 src1_sel:DWORD
	s_and_saveexec_b64 s[26:27], s[24:25]
	s_xor_b64 s[24:25], exec, s[26:27]
	s_cbranch_execnz .LBB307_352
; %bb.115:                              ;   in Loop: Header=BB307_10 Depth=1
	s_or_saveexec_b64 s[24:25], s[24:25]
	v_mov_b32_e32 v52, s28
	s_xor_b64 exec, exec, s[24:25]
	s_cbranch_execnz .LBB307_355
.LBB307_116:                            ;   in Loop: Header=BB307_10 Depth=1
	s_or_b64 exec, exec, s[24:25]
	s_and_saveexec_b64 s[24:25], s[4:5]
	s_cbranch_execz .LBB307_118
.LBB307_117:                            ;   in Loop: Header=BB307_10 Depth=1
	v_and_b32_e32 v2, 7, v12
	v_ffbh_u32_e32 v0, v2
	v_min_u32_e32 v6, 32, v0
	v_subrev_u32_e32 v0, 28, v6
	v_bfe_u32 v3, v12, 3, 4
	v_lshlrev_b64 v[0:1], v0, v[12:13]
	v_sub_u32_e32 v1, 29, v6
	v_cmp_eq_u32_e64 s[4:5], 0, v3
	v_and_b32_e32 v0, 7, v0
	s_nop 0
	v_cndmask_b32_e64 v1, v3, v1, s[4:5]
	v_mov_b32_e32 v3, 0x1c00
	v_cndmask_b32_e64 v0, v2, v0, s[4:5]
	v_lshlrev_b32_e32 v2, 8, v12
	v_lshl_add_u32 v1, v1, 10, v3
	v_and_or_b32 v1, v2, s34, v1
	v_lshl_or_b32 v0, v0, 7, v1
	v_cvt_f32_f16_e32 v52, v0
.LBB307_118:                            ;   in Loop: Header=BB307_10 Depth=1
	s_or_b64 exec, exec, s[24:25]
	v_lshrrev_b16_e32 v8, 8, v12
	v_cmp_lt_i16_e64 s[4:5], s17, v8
	s_mov_b64 s[24:25], 0
                                        ; implicit-def: $sgpr35
	s_and_saveexec_b64 s[26:27], s[4:5]
	s_xor_b64 s[26:27], exec, s[26:27]
	s_cbranch_execnz .LBB307_356
; %bb.119:                              ;   in Loop: Header=BB307_10 Depth=1
	s_or_saveexec_b64 s[26:27], s[26:27]
	v_mov_b32_e32 v49, s35
	s_xor_b64 exec, exec, s[26:27]
	s_cbranch_execnz .LBB307_359
.LBB307_120:                            ;   in Loop: Header=BB307_10 Depth=1
	s_or_b64 exec, exec, s[26:27]
	s_and_saveexec_b64 s[26:27], s[24:25]
	s_cbranch_execz .LBB307_122
.LBB307_121:                            ;   in Loop: Header=BB307_10 Depth=1
	v_and_b32_e32 v2, 7, v8
	v_ffbh_u32_e32 v0, v2
	v_min_u32_e32 v6, 32, v0
	v_subrev_u32_e32 v0, 28, v6
	v_bfe_u32 v3, v8, 3, 4
	v_lshlrev_b64 v[0:1], v0, v[8:9]
	v_sub_u32_e32 v1, 29, v6
	v_cmp_eq_u32_e64 s[4:5], 0, v3
	v_and_b32_e32 v0, 7, v0
	s_nop 0
	v_cndmask_b32_e64 v1, v3, v1, s[4:5]
	v_mov_b32_e32 v3, 0x1c00
	v_cndmask_b32_e64 v0, v2, v0, s[4:5]
	v_lshlrev_b32_e32 v2, 8, v8
	v_lshl_add_u32 v1, v1, 10, v3
	v_and_or_b32 v1, v2, s34, v1
	v_lshl_or_b32 v0, v0, 7, v1
	v_cvt_f32_f16_e32 v49, v0
.LBB307_122:                            ;   in Loop: Header=BB307_10 Depth=1
	s_or_b64 exec, exec, s[26:27]
	v_lshrrev_b32_e32 v8, 16, v12
	v_cmp_gt_i16_sdwa s[24:25], v8, s17 src0_sel:BYTE_0 src1_sel:DWORD
	s_mov_b64 s[4:5], 0
                                        ; implicit-def: $sgpr28
	s_and_saveexec_b64 s[26:27], s[24:25]
	s_xor_b64 s[24:25], exec, s[26:27]
	s_cbranch_execnz .LBB307_360
; %bb.123:                              ;   in Loop: Header=BB307_10 Depth=1
	s_or_saveexec_b64 s[24:25], s[24:25]
	v_mov_b32_e32 v50, s28
	s_xor_b64 exec, exec, s[24:25]
	s_cbranch_execnz .LBB307_363
.LBB307_124:                            ;   in Loop: Header=BB307_10 Depth=1
	s_or_b64 exec, exec, s[24:25]
	s_and_saveexec_b64 s[24:25], s[4:5]
	s_cbranch_execz .LBB307_126
.LBB307_125:                            ;   in Loop: Header=BB307_10 Depth=1
	v_bfe_u32 v2, v12, 16, 3
	v_ffbh_u32_e32 v0, v2
	v_min_u32_e32 v6, 32, v0
	v_subrev_u32_e32 v0, 28, v6
	v_bfe_u32 v3, v12, 19, 4
	v_lshlrev_b64 v[0:1], v0, v[8:9]
	v_sub_u32_e32 v1, 29, v6
	v_cmp_eq_u32_e64 s[4:5], 0, v3
	v_and_b32_e32 v0, 7, v0
	s_nop 0
	v_cndmask_b32_e64 v1, v3, v1, s[4:5]
	v_mov_b32_e32 v3, 0x1c00
	v_cndmask_b32_e64 v0, v2, v0, s[4:5]
	v_lshlrev_b32_e32 v2, 8, v8
	v_lshl_add_u32 v1, v1, 10, v3
	v_and_or_b32 v1, v2, s34, v1
	v_lshl_or_b32 v0, v0, 7, v1
	v_cvt_f32_f16_e32 v50, v0
.LBB307_126:                            ;   in Loop: Header=BB307_10 Depth=1
	s_or_b64 exec, exec, s[24:25]
	v_lshrrev_b32_e32 v8, 24, v12
	v_cmp_lt_i16_e64 s[4:5], s17, v8
	s_mov_b64 s[24:25], 0
                                        ; implicit-def: $sgpr35
	s_and_saveexec_b64 s[26:27], s[4:5]
	s_xor_b64 s[26:27], exec, s[26:27]
	s_cbranch_execnz .LBB307_364
; %bb.127:                              ;   in Loop: Header=BB307_10 Depth=1
	s_or_saveexec_b64 s[26:27], s[26:27]
	v_mov_b32_e32 v11, s35
	s_xor_b64 exec, exec, s[26:27]
	s_cbranch_execnz .LBB307_367
.LBB307_128:                            ;   in Loop: Header=BB307_10 Depth=1
	s_or_b64 exec, exec, s[26:27]
	s_and_saveexec_b64 s[26:27], s[24:25]
	s_cbranch_execz .LBB307_130
.LBB307_129:                            ;   in Loop: Header=BB307_10 Depth=1
	v_bfe_u32 v2, v12, 24, 3
	v_ffbh_u32_e32 v0, v2
	v_min_u32_e32 v6, 32, v0
	v_subrev_u32_e32 v0, 28, v6
	v_bfe_u32 v3, v12, 27, 4
	v_lshlrev_b64 v[0:1], v0, v[8:9]
	v_sub_u32_e32 v1, 29, v6
	v_cmp_eq_u32_e64 s[4:5], 0, v3
	v_and_b32_e32 v0, 7, v0
	s_nop 0
	v_cndmask_b32_e64 v1, v3, v1, s[4:5]
	v_mov_b32_e32 v3, 0x1c00
	v_cndmask_b32_e64 v0, v2, v0, s[4:5]
	v_lshlrev_b32_e32 v2, 8, v8
	v_lshl_add_u32 v1, v1, 10, v3
	v_and_or_b32 v1, v2, s34, v1
	v_lshl_or_b32 v0, v0, 7, v1
	v_cvt_f32_f16_e32 v11, v0
.LBB307_130:                            ;   in Loop: Header=BB307_10 Depth=1
	s_or_b64 exec, exec, s[26:27]
	flat_load_dword v12, v[36:37] offset:1544
	s_mov_b64 s[4:5], 0
                                        ; implicit-def: $sgpr28
	s_waitcnt vmcnt(0) lgkmcnt(0)
	v_cmp_gt_i16_sdwa s[24:25], v12, s17 src0_sel:BYTE_0 src1_sel:DWORD
	s_and_saveexec_b64 s[26:27], s[24:25]
	s_xor_b64 s[24:25], exec, s[26:27]
	s_cbranch_execnz .LBB307_368
; %bb.131:                              ;   in Loop: Header=BB307_10 Depth=1
	s_or_saveexec_b64 s[24:25], s[24:25]
	v_mov_b32_e32 v10, s28
	s_xor_b64 exec, exec, s[24:25]
	s_cbranch_execnz .LBB307_371
.LBB307_132:                            ;   in Loop: Header=BB307_10 Depth=1
	s_or_b64 exec, exec, s[24:25]
	s_and_saveexec_b64 s[24:25], s[4:5]
	s_cbranch_execz .LBB307_134
.LBB307_133:                            ;   in Loop: Header=BB307_10 Depth=1
	v_and_b32_e32 v2, 7, v12
	v_ffbh_u32_e32 v0, v2
	v_min_u32_e32 v6, 32, v0
	v_subrev_u32_e32 v0, 28, v6
	v_bfe_u32 v3, v12, 3, 4
	v_lshlrev_b64 v[0:1], v0, v[12:13]
	v_sub_u32_e32 v1, 29, v6
	v_cmp_eq_u32_e64 s[4:5], 0, v3
	v_and_b32_e32 v0, 7, v0
	s_nop 0
	v_cndmask_b32_e64 v1, v3, v1, s[4:5]
	v_mov_b32_e32 v3, 0x1c00
	v_cndmask_b32_e64 v0, v2, v0, s[4:5]
	v_lshlrev_b32_e32 v2, 8, v12
	v_lshl_add_u32 v1, v1, 10, v3
	v_and_or_b32 v1, v2, s34, v1
	v_lshl_or_b32 v0, v0, 7, v1
	v_cvt_f32_f16_e32 v10, v0
.LBB307_134:                            ;   in Loop: Header=BB307_10 Depth=1
	s_or_b64 exec, exec, s[24:25]
	v_lshrrev_b16_e32 v8, 8, v12
	v_cmp_lt_i16_e64 s[4:5], s17, v8
	s_mov_b64 s[24:25], 0
                                        ; implicit-def: $sgpr35
	s_and_saveexec_b64 s[26:27], s[4:5]
	s_xor_b64 s[26:27], exec, s[26:27]
	s_cbranch_execnz .LBB307_372
; %bb.135:                              ;   in Loop: Header=BB307_10 Depth=1
	s_or_saveexec_b64 s[26:27], s[26:27]
	v_mov_b32_e32 v1, s35
	s_xor_b64 exec, exec, s[26:27]
	s_cbranch_execnz .LBB307_375
.LBB307_136:                            ;   in Loop: Header=BB307_10 Depth=1
	s_or_b64 exec, exec, s[26:27]
	s_and_saveexec_b64 s[26:27], s[24:25]
	s_cbranch_execz .LBB307_138
.LBB307_137:                            ;   in Loop: Header=BB307_10 Depth=1
	v_and_b32_e32 v2, 7, v8
	v_ffbh_u32_e32 v0, v2
	v_min_u32_e32 v6, 32, v0
	v_subrev_u32_e32 v0, 28, v6
	v_bfe_u32 v3, v8, 3, 4
	v_lshlrev_b64 v[0:1], v0, v[8:9]
	v_sub_u32_e32 v1, 29, v6
	v_cmp_eq_u32_e64 s[4:5], 0, v3
	v_and_b32_e32 v0, 7, v0
	s_nop 0
	v_cndmask_b32_e64 v1, v3, v1, s[4:5]
	v_mov_b32_e32 v3, 0x1c00
	v_cndmask_b32_e64 v0, v2, v0, s[4:5]
	v_lshlrev_b32_e32 v2, 8, v8
	v_lshl_add_u32 v1, v1, 10, v3
	v_and_or_b32 v1, v2, s34, v1
	v_lshl_or_b32 v0, v0, 7, v1
	v_cvt_f32_f16_e32 v1, v0
.LBB307_138:                            ;   in Loop: Header=BB307_10 Depth=1
	s_or_b64 exec, exec, s[26:27]
	v_lshrrev_b32_e32 v8, 16, v12
	v_cmp_gt_i16_sdwa s[24:25], v8, s17 src0_sel:BYTE_0 src1_sel:DWORD
	s_mov_b64 s[4:5], 0
                                        ; implicit-def: $sgpr28
	s_and_saveexec_b64 s[26:27], s[24:25]
	s_xor_b64 s[24:25], exec, s[26:27]
	s_cbranch_execnz .LBB307_376
; %bb.139:                              ;   in Loop: Header=BB307_10 Depth=1
	s_or_saveexec_b64 s[24:25], s[24:25]
	v_mov_b32_e32 v16, s28
	s_xor_b64 exec, exec, s[24:25]
	s_cbranch_execnz .LBB307_379
.LBB307_140:                            ;   in Loop: Header=BB307_10 Depth=1
	s_or_b64 exec, exec, s[24:25]
	s_and_saveexec_b64 s[24:25], s[4:5]
	s_cbranch_execz .LBB307_142
.LBB307_141:                            ;   in Loop: Header=BB307_10 Depth=1
	v_bfe_u32 v0, v12, 16, 3
	v_ffbh_u32_e32 v2, v0
	v_min_u32_e32 v7, 32, v2
	v_subrev_u32_e32 v2, 28, v7
	v_bfe_u32 v6, v12, 19, 4
	v_lshlrev_b64 v[2:3], v2, v[8:9]
	v_sub_u32_e32 v3, 29, v7
	v_cmp_eq_u32_e64 s[4:5], 0, v6
	v_and_b32_e32 v2, 7, v2
	s_nop 0
	v_cndmask_b32_e64 v3, v6, v3, s[4:5]
	v_mov_b32_e32 v6, v5
	v_mov_b32_e32 v5, 0x1c00
	v_cndmask_b32_e64 v0, v0, v2, s[4:5]
	v_lshlrev_b32_e32 v2, 8, v8
	v_lshl_add_u32 v3, v3, 10, v5
	v_and_or_b32 v2, v2, s34, v3
	v_lshl_or_b32 v0, v0, 7, v2
	v_cvt_f32_f16_e32 v16, v0
	v_mov_b32_e32 v5, v6
.LBB307_142:                            ;   in Loop: Header=BB307_10 Depth=1
	s_or_b64 exec, exec, s[24:25]
	v_lshrrev_b32_e32 v8, 24, v12
	v_cmp_lt_i16_e64 s[4:5], s17, v8
	s_mov_b64 s[24:25], 0
                                        ; implicit-def: $sgpr35
	s_and_saveexec_b64 s[26:27], s[4:5]
	s_xor_b64 s[26:27], exec, s[26:27]
	s_cbranch_execnz .LBB307_380
; %bb.143:                              ;   in Loop: Header=BB307_10 Depth=1
	s_or_saveexec_b64 s[26:27], s[26:27]
	v_mov_b32_e32 v3, s35
	s_xor_b64 exec, exec, s[26:27]
	s_cbranch_execnz .LBB307_383
.LBB307_144:                            ;   in Loop: Header=BB307_10 Depth=1
	s_or_b64 exec, exec, s[26:27]
	s_and_saveexec_b64 s[26:27], s[24:25]
	s_cbranch_execz .LBB307_146
.LBB307_145:                            ;   in Loop: Header=BB307_10 Depth=1
	v_bfe_u32 v6, v12, 24, 3
	v_ffbh_u32_e32 v2, v6
	v_bfe_u32 v7, v12, 27, 4
	v_min_u32_e32 v12, 32, v2
	v_subrev_u32_e32 v2, 28, v12
	v_lshlrev_b64 v[2:3], v2, v[8:9]
	v_sub_u32_e32 v3, 29, v12
	v_cmp_eq_u32_e64 s[4:5], 0, v7
	v_and_b32_e32 v2, 7, v2
	v_mov_b32_e32 v0, 0x1c00
	v_cndmask_b32_e64 v3, v7, v3, s[4:5]
	v_cndmask_b32_e64 v2, v6, v2, s[4:5]
	v_lshlrev_b32_e32 v6, 8, v8
	v_lshl_add_u32 v3, v3, 10, v0
	v_and_or_b32 v3, v6, s34, v3
	v_lshl_or_b32 v2, v2, 7, v3
	v_cvt_f32_f16_e32 v3, v2
.LBB307_146:                            ;   in Loop: Header=BB307_10 Depth=1
	s_or_b64 exec, exec, s[26:27]
	flat_load_dword v12, v[36:37] offset:2048
	s_mov_b64 s[4:5], 0
                                        ; implicit-def: $sgpr28
	s_waitcnt vmcnt(0) lgkmcnt(0)
	v_cmp_gt_i16_sdwa s[24:25], v12, s17 src0_sel:BYTE_0 src1_sel:DWORD
	s_and_saveexec_b64 s[26:27], s[24:25]
	s_xor_b64 s[24:25], exec, s[26:27]
	s_cbranch_execnz .LBB307_384
; %bb.147:                              ;   in Loop: Header=BB307_10 Depth=1
	s_or_saveexec_b64 s[24:25], s[24:25]
	v_mov_b32_e32 v2, s28
	s_xor_b64 exec, exec, s[24:25]
	s_cbranch_execnz .LBB307_387
.LBB307_148:                            ;   in Loop: Header=BB307_10 Depth=1
	s_or_b64 exec, exec, s[24:25]
	s_and_saveexec_b64 s[24:25], s[4:5]
	s_cbranch_execz .LBB307_150
.LBB307_149:                            ;   in Loop: Header=BB307_10 Depth=1
	v_and_b32_e32 v2, 7, v12
	v_ffbh_u32_e32 v6, v2
	v_min_u32_e32 v13, 32, v6
	v_subrev_u32_e32 v6, 28, v13
	v_bfe_u32 v8, v12, 3, 4
	v_lshlrev_b64 v[6:7], v6, v[12:13]
	v_sub_u32_e32 v7, 29, v13
	v_cmp_eq_u32_e64 s[4:5], 0, v8
	v_and_b32_e32 v6, 7, v6
	v_mov_b32_e32 v0, 0x1c00
	v_cndmask_b32_e64 v7, v8, v7, s[4:5]
	v_cndmask_b32_e64 v2, v2, v6, s[4:5]
	v_lshlrev_b32_e32 v6, 8, v12
	v_lshl_add_u32 v7, v7, 10, v0
	v_and_or_b32 v6, v6, s34, v7
	v_lshl_or_b32 v2, v2, 7, v6
	v_cvt_f32_f16_e32 v2, v2
.LBB307_150:                            ;   in Loop: Header=BB307_10 Depth=1
	s_or_b64 exec, exec, s[24:25]
	v_lshrrev_b16_e32 v8, 8, v12
	v_cmp_lt_i16_e64 s[4:5], s17, v8
	s_mov_b64 s[24:25], 0
                                        ; implicit-def: $sgpr35
	s_and_saveexec_b64 s[26:27], s[4:5]
	s_xor_b64 s[26:27], exec, s[26:27]
	s_cbranch_execnz .LBB307_388
; %bb.151:                              ;   in Loop: Header=BB307_10 Depth=1
	s_or_saveexec_b64 s[26:27], s[26:27]
	v_mov_b32_e32 v15, s35
	s_xor_b64 exec, exec, s[26:27]
	s_cbranch_execnz .LBB307_391
.LBB307_152:                            ;   in Loop: Header=BB307_10 Depth=1
	s_or_b64 exec, exec, s[26:27]
	s_and_saveexec_b64 s[26:27], s[24:25]
	s_cbranch_execz .LBB307_154
.LBB307_153:                            ;   in Loop: Header=BB307_10 Depth=1
	v_and_b32_e32 v13, 7, v8
	v_ffbh_u32_e32 v6, v13
	v_min_u32_e32 v15, 32, v6
	v_subrev_u32_e32 v6, 28, v15
	v_bfe_u32 v14, v8, 3, 4
	v_lshlrev_b64 v[6:7], v6, v[8:9]
	v_sub_u32_e32 v7, 29, v15
	v_cmp_eq_u32_e64 s[4:5], 0, v14
	v_mov_b32_e32 v0, 0x1c00
	v_and_b32_e32 v6, 7, v6
	v_cndmask_b32_e64 v7, v14, v7, s[4:5]
	v_lshlrev_b32_e32 v8, 8, v8
	v_lshl_add_u32 v7, v7, 10, v0
	v_cndmask_b32_e64 v6, v13, v6, s[4:5]
	v_and_or_b32 v7, v8, s34, v7
	v_lshl_or_b32 v6, v6, 7, v7
	v_cvt_f32_f16_e32 v15, v6
.LBB307_154:                            ;   in Loop: Header=BB307_10 Depth=1
	s_or_b64 exec, exec, s[26:27]
	v_lshrrev_b32_e32 v8, 16, v12
	v_cmp_gt_i16_sdwa s[24:25], v8, s17 src0_sel:BYTE_0 src1_sel:DWORD
	s_mov_b64 s[4:5], 0
                                        ; implicit-def: $sgpr28
	s_and_saveexec_b64 s[26:27], s[24:25]
	s_xor_b64 s[24:25], exec, s[26:27]
	s_cbranch_execnz .LBB307_392
; %bb.155:                              ;   in Loop: Header=BB307_10 Depth=1
	s_or_saveexec_b64 s[24:25], s[24:25]
	v_mov_b32_e32 v14, s28
	s_xor_b64 exec, exec, s[24:25]
	s_cbranch_execnz .LBB307_395
.LBB307_156:                            ;   in Loop: Header=BB307_10 Depth=1
	s_or_b64 exec, exec, s[24:25]
	s_and_saveexec_b64 s[24:25], s[4:5]
	s_cbranch_execz .LBB307_158
.LBB307_157:                            ;   in Loop: Header=BB307_10 Depth=1
	v_bfe_u32 v13, v12, 16, 3
	v_ffbh_u32_e32 v6, v13
	v_min_u32_e32 v17, 32, v6
	v_subrev_u32_e32 v6, 28, v17
	v_bfe_u32 v14, v12, 19, 4
	v_lshlrev_b64 v[6:7], v6, v[8:9]
	v_sub_u32_e32 v7, 29, v17
	v_cmp_eq_u32_e64 s[4:5], 0, v14
	v_mov_b32_e32 v0, 0x1c00
	v_and_b32_e32 v6, 7, v6
	v_cndmask_b32_e64 v7, v14, v7, s[4:5]
	v_lshlrev_b32_e32 v8, 8, v8
	v_lshl_add_u32 v7, v7, 10, v0
	v_cndmask_b32_e64 v6, v13, v6, s[4:5]
	v_and_or_b32 v7, v8, s34, v7
	v_lshl_or_b32 v6, v6, 7, v7
	v_cvt_f32_f16_e32 v14, v6
.LBB307_158:                            ;   in Loop: Header=BB307_10 Depth=1
	s_or_b64 exec, exec, s[24:25]
	v_lshrrev_b32_e32 v8, 24, v12
	v_cmp_lt_i16_e64 s[4:5], s17, v8
	s_mov_b64 s[24:25], 0
                                        ; implicit-def: $sgpr35
	s_and_saveexec_b64 s[26:27], s[4:5]
	s_xor_b64 s[26:27], exec, s[26:27]
	s_cbranch_execnz .LBB307_396
; %bb.159:                              ;   in Loop: Header=BB307_10 Depth=1
	s_or_saveexec_b64 s[26:27], s[26:27]
	v_mov_b32_e32 v13, s35
	s_xor_b64 exec, exec, s[26:27]
	s_cbranch_execnz .LBB307_399
.LBB307_160:                            ;   in Loop: Header=BB307_10 Depth=1
	s_or_b64 exec, exec, s[26:27]
	s_and_saveexec_b64 s[26:27], s[24:25]
	s_cbranch_execz .LBB307_162
.LBB307_161:                            ;   in Loop: Header=BB307_10 Depth=1
	v_bfe_u32 v13, v12, 24, 3
	v_ffbh_u32_e32 v6, v13
	v_min_u32_e32 v17, 32, v6
	v_subrev_u32_e32 v6, 28, v17
	v_bfe_u32 v12, v12, 27, 4
	v_lshlrev_b64 v[6:7], v6, v[8:9]
	v_sub_u32_e32 v7, 29, v17
	v_cmp_eq_u32_e64 s[4:5], 0, v12
	v_mov_b32_e32 v0, 0x1c00
	v_and_b32_e32 v6, 7, v6
	v_cndmask_b32_e64 v7, v12, v7, s[4:5]
	v_lshlrev_b32_e32 v8, 8, v8
	v_lshl_add_u32 v7, v7, 10, v0
	v_cndmask_b32_e64 v6, v13, v6, s[4:5]
	v_and_or_b32 v7, v8, s34, v7
	v_lshl_or_b32 v6, v6, 7, v7
	v_cvt_f32_f16_e32 v13, v6
.LBB307_162:                            ;   in Loop: Header=BB307_10 Depth=1
	s_or_b64 exec, exec, s[26:27]
	flat_load_dword v12, v[36:37] offset:2056
	s_mov_b64 s[4:5], 0
                                        ; implicit-def: $sgpr28
	s_waitcnt vmcnt(0) lgkmcnt(0)
	v_cmp_gt_i16_sdwa s[24:25], v12, s17 src0_sel:BYTE_0 src1_sel:DWORD
	s_and_saveexec_b64 s[26:27], s[24:25]
	s_xor_b64 s[24:25], exec, s[26:27]
	s_cbranch_execnz .LBB307_400
; %bb.163:                              ;   in Loop: Header=BB307_10 Depth=1
	s_or_saveexec_b64 s[24:25], s[24:25]
	v_mov_b32_e32 v30, s28
	s_xor_b64 exec, exec, s[24:25]
	s_cbranch_execnz .LBB307_403
.LBB307_164:                            ;   in Loop: Header=BB307_10 Depth=1
	s_or_b64 exec, exec, s[24:25]
	s_and_saveexec_b64 s[24:25], s[4:5]
	s_cbranch_execz .LBB307_166
.LBB307_165:                            ;   in Loop: Header=BB307_10 Depth=1
	v_and_b32_e32 v8, 7, v12
	v_ffbh_u32_e32 v6, v8
	v_min_u32_e32 v21, 32, v6
	v_subrev_u32_e32 v6, 28, v21
	v_bfe_u32 v17, v12, 3, 4
	v_lshlrev_b64 v[6:7], v6, v[12:13]
	v_sub_u32_e32 v7, 29, v21
	v_cmp_eq_u32_e64 s[4:5], 0, v17
	v_and_b32_e32 v6, 7, v6
	v_mov_b32_e32 v0, 0x1c00
	v_cndmask_b32_e64 v7, v17, v7, s[4:5]
	v_cndmask_b32_e64 v6, v8, v6, s[4:5]
	v_lshlrev_b32_e32 v8, 8, v12
	v_lshl_add_u32 v7, v7, 10, v0
	v_and_or_b32 v7, v8, s34, v7
	v_lshl_or_b32 v6, v6, 7, v7
	v_cvt_f32_f16_e32 v30, v6
.LBB307_166:                            ;   in Loop: Header=BB307_10 Depth=1
	s_or_b64 exec, exec, s[24:25]
	v_lshrrev_b16_e32 v8, 8, v12
	v_cmp_lt_i16_e64 s[4:5], s17, v8
	s_mov_b64 s[24:25], 0
                                        ; implicit-def: $sgpr35
	s_and_saveexec_b64 s[26:27], s[4:5]
	s_xor_b64 s[26:27], exec, s[26:27]
	s_cbranch_execnz .LBB307_404
; %bb.167:                              ;   in Loop: Header=BB307_10 Depth=1
	s_or_saveexec_b64 s[26:27], s[26:27]
	v_mov_b32_e32 v31, s35
	s_xor_b64 exec, exec, s[26:27]
	s_cbranch_execnz .LBB307_407
.LBB307_168:                            ;   in Loop: Header=BB307_10 Depth=1
	s_or_b64 exec, exec, s[26:27]
	s_and_saveexec_b64 s[26:27], s[24:25]
	s_cbranch_execz .LBB307_170
.LBB307_169:                            ;   in Loop: Header=BB307_10 Depth=1
	v_and_b32_e32 v17, 7, v8
	v_ffbh_u32_e32 v6, v17
	v_min_u32_e32 v22, 32, v6
	v_subrev_u32_e32 v6, 28, v22
	v_bfe_u32 v21, v8, 3, 4
	v_lshlrev_b64 v[6:7], v6, v[8:9]
	v_sub_u32_e32 v7, 29, v22
	v_cmp_eq_u32_e64 s[4:5], 0, v21
	v_mov_b32_e32 v0, 0x1c00
	v_and_b32_e32 v6, 7, v6
	v_cndmask_b32_e64 v7, v21, v7, s[4:5]
	v_lshlrev_b32_e32 v8, 8, v8
	v_lshl_add_u32 v7, v7, 10, v0
	v_cndmask_b32_e64 v6, v17, v6, s[4:5]
	v_and_or_b32 v7, v8, s34, v7
	v_lshl_or_b32 v6, v6, 7, v7
	v_cvt_f32_f16_e32 v31, v6
.LBB307_170:                            ;   in Loop: Header=BB307_10 Depth=1
	s_or_b64 exec, exec, s[26:27]
	v_lshrrev_b32_e32 v8, 16, v12
	v_cmp_gt_i16_sdwa s[24:25], v8, s17 src0_sel:BYTE_0 src1_sel:DWORD
	s_mov_b64 s[4:5], 0
                                        ; implicit-def: $sgpr28
	s_and_saveexec_b64 s[26:27], s[24:25]
	s_xor_b64 s[24:25], exec, s[26:27]
	s_cbranch_execnz .LBB307_408
; %bb.171:                              ;   in Loop: Header=BB307_10 Depth=1
	s_or_saveexec_b64 s[24:25], s[24:25]
	v_mov_b32_e32 v32, s28
	s_xor_b64 exec, exec, s[24:25]
	s_cbranch_execnz .LBB307_411
.LBB307_172:                            ;   in Loop: Header=BB307_10 Depth=1
	s_or_b64 exec, exec, s[24:25]
	s_and_saveexec_b64 s[24:25], s[4:5]
	s_cbranch_execz .LBB307_174
.LBB307_173:                            ;   in Loop: Header=BB307_10 Depth=1
	v_bfe_u32 v17, v12, 16, 3
	v_ffbh_u32_e32 v6, v17
	v_min_u32_e32 v22, 32, v6
	v_subrev_u32_e32 v6, 28, v22
	v_bfe_u32 v21, v12, 19, 4
	v_lshlrev_b64 v[6:7], v6, v[8:9]
	v_sub_u32_e32 v7, 29, v22
	v_cmp_eq_u32_e64 s[4:5], 0, v21
	v_mov_b32_e32 v0, 0x1c00
	v_and_b32_e32 v6, 7, v6
	v_cndmask_b32_e64 v7, v21, v7, s[4:5]
	v_lshlrev_b32_e32 v8, 8, v8
	v_lshl_add_u32 v7, v7, 10, v0
	v_cndmask_b32_e64 v6, v17, v6, s[4:5]
	v_and_or_b32 v7, v8, s34, v7
	v_lshl_or_b32 v6, v6, 7, v7
	v_cvt_f32_f16_e32 v32, v6
.LBB307_174:                            ;   in Loop: Header=BB307_10 Depth=1
	s_or_b64 exec, exec, s[24:25]
	v_lshrrev_b32_e32 v8, 24, v12
	v_cmp_lt_i16_e64 s[4:5], s17, v8
	s_mov_b64 s[24:25], 0
                                        ; implicit-def: $sgpr35
	s_and_saveexec_b64 s[26:27], s[4:5]
	s_xor_b64 s[26:27], exec, s[26:27]
	s_cbranch_execnz .LBB307_412
; %bb.175:                              ;   in Loop: Header=BB307_10 Depth=1
	s_or_saveexec_b64 s[26:27], s[26:27]
	v_mov_b32_e32 v33, s35
	s_xor_b64 exec, exec, s[26:27]
	s_cbranch_execnz .LBB307_415
.LBB307_176:                            ;   in Loop: Header=BB307_10 Depth=1
	s_or_b64 exec, exec, s[26:27]
	s_and_saveexec_b64 s[26:27], s[24:25]
	s_cbranch_execz .LBB307_178
.LBB307_177:                            ;   in Loop: Header=BB307_10 Depth=1
	v_bfe_u32 v17, v12, 24, 3
	v_ffbh_u32_e32 v6, v17
	v_min_u32_e32 v21, 32, v6
	v_subrev_u32_e32 v6, 28, v21
	v_bfe_u32 v12, v12, 27, 4
	v_lshlrev_b64 v[6:7], v6, v[8:9]
	v_sub_u32_e32 v7, 29, v21
	v_cmp_eq_u32_e64 s[4:5], 0, v12
	v_mov_b32_e32 v0, 0x1c00
	v_and_b32_e32 v6, 7, v6
	v_cndmask_b32_e64 v7, v12, v7, s[4:5]
	v_lshlrev_b32_e32 v8, 8, v8
	v_lshl_add_u32 v7, v7, 10, v0
	v_cndmask_b32_e64 v6, v17, v6, s[4:5]
	v_and_or_b32 v7, v8, s34, v7
	v_lshl_or_b32 v6, v6, 7, v7
	v_cvt_f32_f16_e32 v33, v6
.LBB307_178:                            ;   in Loop: Header=BB307_10 Depth=1
	s_or_b64 exec, exec, s[26:27]
	flat_load_dword v12, v[36:37] offset:2560
	s_mov_b64 s[4:5], 0
                                        ; implicit-def: $sgpr28
	s_waitcnt vmcnt(0) lgkmcnt(0)
	v_cmp_gt_i16_sdwa s[24:25], v12, s17 src0_sel:BYTE_0 src1_sel:DWORD
	s_and_saveexec_b64 s[26:27], s[24:25]
	s_xor_b64 s[24:25], exec, s[26:27]
	s_cbranch_execnz .LBB307_416
; %bb.179:                              ;   in Loop: Header=BB307_10 Depth=1
	s_or_saveexec_b64 s[24:25], s[24:25]
	v_mov_b32_e32 v51, s28
	s_xor_b64 exec, exec, s[24:25]
	s_cbranch_execnz .LBB307_419
.LBB307_180:                            ;   in Loop: Header=BB307_10 Depth=1
	s_or_b64 exec, exec, s[24:25]
	s_and_saveexec_b64 s[24:25], s[4:5]
	s_cbranch_execz .LBB307_182
.LBB307_181:                            ;   in Loop: Header=BB307_10 Depth=1
	v_and_b32_e32 v8, 7, v12
	v_ffbh_u32_e32 v6, v8
	v_min_u32_e32 v21, 32, v6
	v_subrev_u32_e32 v6, 28, v21
	v_bfe_u32 v17, v12, 3, 4
	v_lshlrev_b64 v[6:7], v6, v[12:13]
	v_sub_u32_e32 v7, 29, v21
	v_cmp_eq_u32_e64 s[4:5], 0, v17
	v_and_b32_e32 v6, 7, v6
	v_mov_b32_e32 v0, 0x1c00
	v_cndmask_b32_e64 v7, v17, v7, s[4:5]
	v_cndmask_b32_e64 v6, v8, v6, s[4:5]
	v_lshlrev_b32_e32 v8, 8, v12
	v_lshl_add_u32 v7, v7, 10, v0
	v_and_or_b32 v7, v8, s34, v7
	v_lshl_or_b32 v6, v6, 7, v7
	v_cvt_f32_f16_e32 v51, v6
.LBB307_182:                            ;   in Loop: Header=BB307_10 Depth=1
	s_or_b64 exec, exec, s[24:25]
	v_lshrrev_b16_e32 v8, 8, v12
	v_cmp_lt_i16_e64 s[4:5], s17, v8
	s_mov_b64 s[24:25], 0
                                        ; implicit-def: $sgpr35
	s_and_saveexec_b64 s[26:27], s[4:5]
	s_xor_b64 s[26:27], exec, s[26:27]
	s_cbranch_execnz .LBB307_420
; %bb.183:                              ;   in Loop: Header=BB307_10 Depth=1
	s_or_saveexec_b64 s[26:27], s[26:27]
	v_mov_b32_e32 v22, s35
	s_xor_b64 exec, exec, s[26:27]
	s_cbranch_execnz .LBB307_423
.LBB307_184:                            ;   in Loop: Header=BB307_10 Depth=1
	s_or_b64 exec, exec, s[26:27]
	s_and_saveexec_b64 s[26:27], s[24:25]
	s_cbranch_execz .LBB307_186
.LBB307_185:                            ;   in Loop: Header=BB307_10 Depth=1
	v_and_b32_e32 v17, 7, v8
	v_ffbh_u32_e32 v6, v17
	v_min_u32_e32 v22, 32, v6
	v_subrev_u32_e32 v6, 28, v22
	v_bfe_u32 v21, v8, 3, 4
	v_lshlrev_b64 v[6:7], v6, v[8:9]
	v_sub_u32_e32 v7, 29, v22
	v_cmp_eq_u32_e64 s[4:5], 0, v21
	v_mov_b32_e32 v0, 0x1c00
	v_and_b32_e32 v6, 7, v6
	v_cndmask_b32_e64 v7, v21, v7, s[4:5]
	v_lshlrev_b32_e32 v8, 8, v8
	v_lshl_add_u32 v7, v7, 10, v0
	v_cndmask_b32_e64 v6, v17, v6, s[4:5]
	v_and_or_b32 v7, v8, s34, v7
	v_lshl_or_b32 v6, v6, 7, v7
	v_cvt_f32_f16_e32 v22, v6
.LBB307_186:                            ;   in Loop: Header=BB307_10 Depth=1
	s_or_b64 exec, exec, s[26:27]
	v_lshrrev_b32_e32 v8, 16, v12
	v_cmp_gt_i16_sdwa s[24:25], v8, s17 src0_sel:BYTE_0 src1_sel:DWORD
	s_mov_b64 s[4:5], 0
                                        ; implicit-def: $sgpr28
	s_and_saveexec_b64 s[26:27], s[24:25]
	s_xor_b64 s[24:25], exec, s[26:27]
	s_cbranch_execnz .LBB307_424
; %bb.187:                              ;   in Loop: Header=BB307_10 Depth=1
	s_or_saveexec_b64 s[24:25], s[24:25]
	v_mov_b32_e32 v25, s28
	s_xor_b64 exec, exec, s[24:25]
	s_cbranch_execnz .LBB307_427
.LBB307_188:                            ;   in Loop: Header=BB307_10 Depth=1
	s_or_b64 exec, exec, s[24:25]
	s_and_saveexec_b64 s[24:25], s[4:5]
	s_cbranch_execz .LBB307_190
.LBB307_189:                            ;   in Loop: Header=BB307_10 Depth=1
	v_bfe_u32 v17, v12, 16, 3
	v_ffbh_u32_e32 v6, v17
	v_min_u32_e32 v24, 32, v6
	v_subrev_u32_e32 v6, 28, v24
	v_bfe_u32 v21, v12, 19, 4
	v_lshlrev_b64 v[6:7], v6, v[8:9]
	v_sub_u32_e32 v7, 29, v24
	v_cmp_eq_u32_e64 s[4:5], 0, v21
	v_mov_b32_e32 v0, 0x1c00
	v_and_b32_e32 v6, 7, v6
	v_cndmask_b32_e64 v7, v21, v7, s[4:5]
	v_lshlrev_b32_e32 v8, 8, v8
	v_lshl_add_u32 v7, v7, 10, v0
	v_cndmask_b32_e64 v6, v17, v6, s[4:5]
	v_and_or_b32 v7, v8, s34, v7
	v_lshl_or_b32 v6, v6, 7, v7
	v_cvt_f32_f16_e32 v25, v6
.LBB307_190:                            ;   in Loop: Header=BB307_10 Depth=1
	s_or_b64 exec, exec, s[24:25]
	v_lshrrev_b32_e32 v8, 24, v12
	v_cmp_lt_i16_e64 s[4:5], s17, v8
	s_mov_b64 s[24:25], 0
                                        ; implicit-def: $sgpr35
	s_and_saveexec_b64 s[26:27], s[4:5]
	s_xor_b64 s[26:27], exec, s[26:27]
	s_cbranch_execnz .LBB307_428
; %bb.191:                              ;   in Loop: Header=BB307_10 Depth=1
	s_or_saveexec_b64 s[26:27], s[26:27]
	v_mov_b32_e32 v24, s35
	s_xor_b64 exec, exec, s[26:27]
	s_cbranch_execnz .LBB307_431
.LBB307_192:                            ;   in Loop: Header=BB307_10 Depth=1
	s_or_b64 exec, exec, s[26:27]
	s_and_saveexec_b64 s[26:27], s[24:25]
	s_cbranch_execz .LBB307_194
.LBB307_193:                            ;   in Loop: Header=BB307_10 Depth=1
	v_bfe_u32 v17, v12, 24, 3
	v_ffbh_u32_e32 v6, v17
	v_min_u32_e32 v21, 32, v6
	v_subrev_u32_e32 v6, 28, v21
	v_bfe_u32 v12, v12, 27, 4
	v_lshlrev_b64 v[6:7], v6, v[8:9]
	v_sub_u32_e32 v7, 29, v21
	v_cmp_eq_u32_e64 s[4:5], 0, v12
	v_mov_b32_e32 v0, 0x1c00
	v_and_b32_e32 v6, 7, v6
	v_cndmask_b32_e64 v7, v12, v7, s[4:5]
	v_lshlrev_b32_e32 v8, 8, v8
	v_lshl_add_u32 v7, v7, 10, v0
	v_cndmask_b32_e64 v6, v17, v6, s[4:5]
	v_and_or_b32 v7, v8, s34, v7
	v_lshl_or_b32 v6, v6, 7, v7
	v_cvt_f32_f16_e32 v24, v6
.LBB307_194:                            ;   in Loop: Header=BB307_10 Depth=1
	s_or_b64 exec, exec, s[26:27]
	flat_load_dword v12, v[36:37] offset:2568
	s_mov_b64 s[4:5], 0
                                        ; implicit-def: $sgpr28
	s_waitcnt vmcnt(0) lgkmcnt(0)
	v_cmp_gt_i16_sdwa s[24:25], v12, s17 src0_sel:BYTE_0 src1_sel:DWORD
	s_and_saveexec_b64 s[26:27], s[24:25]
	s_xor_b64 s[24:25], exec, s[26:27]
	s_cbranch_execnz .LBB307_432
; %bb.195:                              ;   in Loop: Header=BB307_10 Depth=1
	s_or_saveexec_b64 s[24:25], s[24:25]
	v_mov_b32_e32 v42, s28
	s_xor_b64 exec, exec, s[24:25]
	s_cbranch_execnz .LBB307_435
.LBB307_196:                            ;   in Loop: Header=BB307_10 Depth=1
	s_or_b64 exec, exec, s[24:25]
	s_and_saveexec_b64 s[24:25], s[4:5]
	s_cbranch_execz .LBB307_198
.LBB307_197:                            ;   in Loop: Header=BB307_10 Depth=1
	v_and_b32_e32 v8, 7, v12
	v_ffbh_u32_e32 v6, v8
	v_min_u32_e32 v21, 32, v6
	v_subrev_u32_e32 v6, 28, v21
	v_bfe_u32 v17, v12, 3, 4
	v_lshlrev_b64 v[6:7], v6, v[12:13]
	v_sub_u32_e32 v7, 29, v21
	v_cmp_eq_u32_e64 s[4:5], 0, v17
	v_and_b32_e32 v6, 7, v6
	v_mov_b32_e32 v0, 0x1c00
	v_cndmask_b32_e64 v7, v17, v7, s[4:5]
	v_cndmask_b32_e64 v6, v8, v6, s[4:5]
	v_lshlrev_b32_e32 v8, 8, v12
	v_lshl_add_u32 v7, v7, 10, v0
	v_and_or_b32 v7, v8, s34, v7
	v_lshl_or_b32 v6, v6, 7, v7
	v_cvt_f32_f16_e32 v42, v6
.LBB307_198:                            ;   in Loop: Header=BB307_10 Depth=1
	s_or_b64 exec, exec, s[24:25]
	v_lshrrev_b16_e32 v8, 8, v12
	v_cmp_lt_i16_e64 s[4:5], s17, v8
	s_mov_b64 s[24:25], 0
                                        ; implicit-def: $sgpr35
	s_and_saveexec_b64 s[26:27], s[4:5]
	s_xor_b64 s[26:27], exec, s[26:27]
	s_cbranch_execnz .LBB307_436
; %bb.199:                              ;   in Loop: Header=BB307_10 Depth=1
	s_or_saveexec_b64 s[26:27], s[26:27]
	v_mov_b32_e32 v43, s35
	s_xor_b64 exec, exec, s[26:27]
	s_cbranch_execnz .LBB307_439
.LBB307_200:                            ;   in Loop: Header=BB307_10 Depth=1
	s_or_b64 exec, exec, s[26:27]
	s_and_saveexec_b64 s[26:27], s[24:25]
	s_cbranch_execz .LBB307_202
.LBB307_201:                            ;   in Loop: Header=BB307_10 Depth=1
	v_and_b32_e32 v17, 7, v8
	v_ffbh_u32_e32 v6, v17
	v_min_u32_e32 v26, 32, v6
	v_subrev_u32_e32 v6, 28, v26
	v_bfe_u32 v21, v8, 3, 4
	v_lshlrev_b64 v[6:7], v6, v[8:9]
	v_sub_u32_e32 v7, 29, v26
	v_cmp_eq_u32_e64 s[4:5], 0, v21
	v_mov_b32_e32 v0, 0x1c00
	v_and_b32_e32 v6, 7, v6
	v_cndmask_b32_e64 v7, v21, v7, s[4:5]
	v_lshlrev_b32_e32 v8, 8, v8
	v_lshl_add_u32 v7, v7, 10, v0
	v_cndmask_b32_e64 v6, v17, v6, s[4:5]
	v_and_or_b32 v7, v8, s34, v7
	v_lshl_or_b32 v6, v6, 7, v7
	v_cvt_f32_f16_e32 v43, v6
.LBB307_202:                            ;   in Loop: Header=BB307_10 Depth=1
	s_or_b64 exec, exec, s[26:27]
	v_lshrrev_b32_e32 v8, 16, v12
	v_cmp_gt_i16_sdwa s[24:25], v8, s17 src0_sel:BYTE_0 src1_sel:DWORD
	s_mov_b64 s[4:5], 0
                                        ; implicit-def: $sgpr28
	s_and_saveexec_b64 s[26:27], s[24:25]
	s_xor_b64 s[24:25], exec, s[26:27]
	s_cbranch_execnz .LBB307_440
; %bb.203:                              ;   in Loop: Header=BB307_10 Depth=1
	s_or_saveexec_b64 s[24:25], s[24:25]
	v_mov_b32_e32 v44, s28
	s_xor_b64 exec, exec, s[24:25]
	s_cbranch_execnz .LBB307_443
.LBB307_204:                            ;   in Loop: Header=BB307_10 Depth=1
	s_or_b64 exec, exec, s[24:25]
	s_and_saveexec_b64 s[24:25], s[4:5]
	s_cbranch_execz .LBB307_206
.LBB307_205:                            ;   in Loop: Header=BB307_10 Depth=1
	v_bfe_u32 v17, v12, 16, 3
	v_ffbh_u32_e32 v6, v17
	v_min_u32_e32 v26, 32, v6
	v_subrev_u32_e32 v6, 28, v26
	v_bfe_u32 v21, v12, 19, 4
	v_lshlrev_b64 v[6:7], v6, v[8:9]
	v_sub_u32_e32 v7, 29, v26
	v_cmp_eq_u32_e64 s[4:5], 0, v21
	v_mov_b32_e32 v0, 0x1c00
	v_and_b32_e32 v6, 7, v6
	v_cndmask_b32_e64 v7, v21, v7, s[4:5]
	v_lshlrev_b32_e32 v8, 8, v8
	v_lshl_add_u32 v7, v7, 10, v0
	v_cndmask_b32_e64 v6, v17, v6, s[4:5]
	v_and_or_b32 v7, v8, s34, v7
	v_lshl_or_b32 v6, v6, 7, v7
	v_cvt_f32_f16_e32 v44, v6
.LBB307_206:                            ;   in Loop: Header=BB307_10 Depth=1
	s_or_b64 exec, exec, s[24:25]
	v_lshrrev_b32_e32 v8, 24, v12
	v_cmp_lt_i16_e64 s[4:5], s17, v8
	s_mov_b64 s[24:25], 0
                                        ; implicit-def: $sgpr35
	s_and_saveexec_b64 s[26:27], s[4:5]
	s_xor_b64 s[26:27], exec, s[26:27]
	s_cbranch_execnz .LBB307_444
; %bb.207:                              ;   in Loop: Header=BB307_10 Depth=1
	s_or_saveexec_b64 s[26:27], s[26:27]
	v_mov_b32_e32 v45, s35
	s_xor_b64 exec, exec, s[26:27]
	s_cbranch_execnz .LBB307_447
.LBB307_208:                            ;   in Loop: Header=BB307_10 Depth=1
	s_or_b64 exec, exec, s[26:27]
	s_and_saveexec_b64 s[26:27], s[24:25]
	s_cbranch_execz .LBB307_210
.LBB307_209:                            ;   in Loop: Header=BB307_10 Depth=1
	v_bfe_u32 v17, v12, 24, 3
	v_ffbh_u32_e32 v6, v17
	v_min_u32_e32 v21, 32, v6
	v_subrev_u32_e32 v6, 28, v21
	v_bfe_u32 v12, v12, 27, 4
	v_lshlrev_b64 v[6:7], v6, v[8:9]
	v_sub_u32_e32 v7, 29, v21
	v_cmp_eq_u32_e64 s[4:5], 0, v12
	v_mov_b32_e32 v0, 0x1c00
	v_and_b32_e32 v6, 7, v6
	v_cndmask_b32_e64 v7, v12, v7, s[4:5]
	v_lshlrev_b32_e32 v8, 8, v8
	v_lshl_add_u32 v7, v7, 10, v0
	v_cndmask_b32_e64 v6, v17, v6, s[4:5]
	v_and_or_b32 v7, v8, s34, v7
	v_lshl_or_b32 v6, v6, 7, v7
	v_cvt_f32_f16_e32 v45, v6
.LBB307_210:                            ;   in Loop: Header=BB307_10 Depth=1
	s_or_b64 exec, exec, s[26:27]
	flat_load_dword v12, v[36:37] offset:3072
	s_mov_b64 s[4:5], 0
                                        ; implicit-def: $sgpr28
	s_waitcnt vmcnt(0) lgkmcnt(0)
	v_cmp_gt_i16_sdwa s[24:25], v12, s17 src0_sel:BYTE_0 src1_sel:DWORD
	s_and_saveexec_b64 s[26:27], s[24:25]
	s_xor_b64 s[24:25], exec, s[26:27]
	s_cbranch_execnz .LBB307_448
; %bb.211:                              ;   in Loop: Header=BB307_10 Depth=1
	s_or_saveexec_b64 s[24:25], s[24:25]
	v_mov_b32_e32 v46, s28
	s_xor_b64 exec, exec, s[24:25]
	s_cbranch_execnz .LBB307_451
.LBB307_212:                            ;   in Loop: Header=BB307_10 Depth=1
	s_or_b64 exec, exec, s[24:25]
	s_and_saveexec_b64 s[24:25], s[4:5]
	s_cbranch_execz .LBB307_214
.LBB307_213:                            ;   in Loop: Header=BB307_10 Depth=1
	v_and_b32_e32 v8, 7, v12
	v_ffbh_u32_e32 v6, v8
	v_min_u32_e32 v21, 32, v6
	v_subrev_u32_e32 v6, 28, v21
	v_bfe_u32 v17, v12, 3, 4
	v_lshlrev_b64 v[6:7], v6, v[12:13]
	v_sub_u32_e32 v7, 29, v21
	v_cmp_eq_u32_e64 s[4:5], 0, v17
	v_and_b32_e32 v6, 7, v6
	v_mov_b32_e32 v0, 0x1c00
	v_cndmask_b32_e64 v7, v17, v7, s[4:5]
	v_cndmask_b32_e64 v6, v8, v6, s[4:5]
	v_lshlrev_b32_e32 v8, 8, v12
	v_lshl_add_u32 v7, v7, 10, v0
	v_and_or_b32 v7, v8, s34, v7
	v_lshl_or_b32 v6, v6, 7, v7
	v_cvt_f32_f16_e32 v46, v6
.LBB307_214:                            ;   in Loop: Header=BB307_10 Depth=1
	s_or_b64 exec, exec, s[24:25]
	v_lshrrev_b16_e32 v8, 8, v12
	v_cmp_lt_i16_e64 s[4:5], s17, v8
	s_mov_b64 s[24:25], 0
                                        ; implicit-def: $sgpr35
	s_and_saveexec_b64 s[26:27], s[4:5]
	s_xor_b64 s[26:27], exec, s[26:27]
	s_cbranch_execnz .LBB307_452
; %bb.215:                              ;   in Loop: Header=BB307_10 Depth=1
	s_or_saveexec_b64 s[26:27], s[26:27]
	v_mov_b32_e32 v27, s35
	s_xor_b64 exec, exec, s[26:27]
	s_cbranch_execnz .LBB307_455
.LBB307_216:                            ;   in Loop: Header=BB307_10 Depth=1
	s_or_b64 exec, exec, s[26:27]
	s_and_saveexec_b64 s[26:27], s[24:25]
	s_cbranch_execz .LBB307_218
.LBB307_217:                            ;   in Loop: Header=BB307_10 Depth=1
	v_and_b32_e32 v17, 7, v8
	v_ffbh_u32_e32 v6, v17
	v_min_u32_e32 v26, 32, v6
	v_subrev_u32_e32 v6, 28, v26
	v_bfe_u32 v21, v8, 3, 4
	v_lshlrev_b64 v[6:7], v6, v[8:9]
	v_sub_u32_e32 v7, 29, v26
	v_cmp_eq_u32_e64 s[4:5], 0, v21
	v_mov_b32_e32 v0, 0x1c00
	v_and_b32_e32 v6, 7, v6
	v_cndmask_b32_e64 v7, v21, v7, s[4:5]
	v_lshlrev_b32_e32 v8, 8, v8
	v_lshl_add_u32 v7, v7, 10, v0
	v_cndmask_b32_e64 v6, v17, v6, s[4:5]
	v_and_or_b32 v7, v8, s34, v7
	v_lshl_or_b32 v6, v6, 7, v7
	v_cvt_f32_f16_e32 v27, v6
.LBB307_218:                            ;   in Loop: Header=BB307_10 Depth=1
	s_or_b64 exec, exec, s[26:27]
	v_lshrrev_b32_e32 v8, 16, v12
	v_cmp_gt_i16_sdwa s[24:25], v8, s17 src0_sel:BYTE_0 src1_sel:DWORD
	s_mov_b64 s[4:5], 0
                                        ; implicit-def: $sgpr28
	s_and_saveexec_b64 s[26:27], s[24:25]
	s_xor_b64 s[24:25], exec, s[26:27]
	s_cbranch_execnz .LBB307_456
; %bb.219:                              ;   in Loop: Header=BB307_10 Depth=1
	s_or_saveexec_b64 s[24:25], s[24:25]
	v_mov_b32_e32 v26, s28
	s_xor_b64 exec, exec, s[24:25]
	s_cbranch_execnz .LBB307_459
.LBB307_220:                            ;   in Loop: Header=BB307_10 Depth=1
	s_or_b64 exec, exec, s[24:25]
	s_and_saveexec_b64 s[24:25], s[4:5]
	s_cbranch_execz .LBB307_222
.LBB307_221:                            ;   in Loop: Header=BB307_10 Depth=1
	v_bfe_u32 v17, v12, 16, 3
	v_ffbh_u32_e32 v6, v17
	v_min_u32_e32 v26, 32, v6
	v_subrev_u32_e32 v6, 28, v26
	v_bfe_u32 v21, v12, 19, 4
	v_lshlrev_b64 v[6:7], v6, v[8:9]
	v_sub_u32_e32 v7, 29, v26
	v_cmp_eq_u32_e64 s[4:5], 0, v21
	v_mov_b32_e32 v0, 0x1c00
	v_and_b32_e32 v6, 7, v6
	v_cndmask_b32_e64 v7, v21, v7, s[4:5]
	v_lshlrev_b32_e32 v8, 8, v8
	v_lshl_add_u32 v7, v7, 10, v0
	v_cndmask_b32_e64 v6, v17, v6, s[4:5]
	v_and_or_b32 v7, v8, s34, v7
	v_lshl_or_b32 v6, v6, 7, v7
	v_cvt_f32_f16_e32 v26, v6
.LBB307_222:                            ;   in Loop: Header=BB307_10 Depth=1
	s_or_b64 exec, exec, s[24:25]
	v_lshrrev_b32_e32 v8, 24, v12
	v_cmp_lt_i16_e64 s[4:5], s17, v8
	s_mov_b64 s[24:25], 0
                                        ; implicit-def: $sgpr35
	s_and_saveexec_b64 s[26:27], s[4:5]
	s_xor_b64 s[26:27], exec, s[26:27]
	s_cbranch_execnz .LBB307_460
; %bb.223:                              ;   in Loop: Header=BB307_10 Depth=1
	s_or_saveexec_b64 s[26:27], s[26:27]
	v_mov_b32_e32 v47, s35
	s_xor_b64 exec, exec, s[26:27]
	s_cbranch_execnz .LBB307_463
.LBB307_224:                            ;   in Loop: Header=BB307_10 Depth=1
	s_or_b64 exec, exec, s[26:27]
	s_and_saveexec_b64 s[26:27], s[24:25]
	s_cbranch_execz .LBB307_226
.LBB307_225:                            ;   in Loop: Header=BB307_10 Depth=1
	v_bfe_u32 v17, v12, 24, 3
	v_ffbh_u32_e32 v6, v17
	v_min_u32_e32 v21, 32, v6
	v_subrev_u32_e32 v6, 28, v21
	v_bfe_u32 v12, v12, 27, 4
	v_lshlrev_b64 v[6:7], v6, v[8:9]
	v_sub_u32_e32 v7, 29, v21
	v_cmp_eq_u32_e64 s[4:5], 0, v12
	v_mov_b32_e32 v0, 0x1c00
	v_and_b32_e32 v6, 7, v6
	v_cndmask_b32_e64 v7, v12, v7, s[4:5]
	v_lshlrev_b32_e32 v8, 8, v8
	v_lshl_add_u32 v7, v7, 10, v0
	v_cndmask_b32_e64 v6, v17, v6, s[4:5]
	v_and_or_b32 v7, v8, s34, v7
	v_lshl_or_b32 v6, v6, 7, v7
	v_cvt_f32_f16_e32 v47, v6
.LBB307_226:                            ;   in Loop: Header=BB307_10 Depth=1
	s_or_b64 exec, exec, s[26:27]
	flat_load_dword v12, v[36:37] offset:3080
	s_mov_b64 s[4:5], 0
                                        ; implicit-def: $sgpr28
	s_waitcnt vmcnt(0) lgkmcnt(0)
	v_cmp_gt_i16_sdwa s[24:25], v12, s17 src0_sel:BYTE_0 src1_sel:DWORD
	s_and_saveexec_b64 s[26:27], s[24:25]
	s_xor_b64 s[24:25], exec, s[26:27]
	s_cbranch_execnz .LBB307_464
; %bb.227:                              ;   in Loop: Header=BB307_10 Depth=1
	s_or_saveexec_b64 s[24:25], s[24:25]
	v_mov_b32_e32 v56, s28
	s_xor_b64 exec, exec, s[24:25]
	s_cbranch_execnz .LBB307_467
.LBB307_228:                            ;   in Loop: Header=BB307_10 Depth=1
	s_or_b64 exec, exec, s[24:25]
	s_and_saveexec_b64 s[24:25], s[4:5]
	s_cbranch_execz .LBB307_230
.LBB307_229:                            ;   in Loop: Header=BB307_10 Depth=1
	v_and_b32_e32 v8, 7, v12
	v_ffbh_u32_e32 v6, v8
	v_min_u32_e32 v21, 32, v6
	v_subrev_u32_e32 v6, 28, v21
	v_bfe_u32 v17, v12, 3, 4
	v_lshlrev_b64 v[6:7], v6, v[12:13]
	v_sub_u32_e32 v7, 29, v21
	v_cmp_eq_u32_e64 s[4:5], 0, v17
	v_and_b32_e32 v6, 7, v6
	v_mov_b32_e32 v0, 0x1c00
	v_cndmask_b32_e64 v7, v17, v7, s[4:5]
	v_cndmask_b32_e64 v6, v8, v6, s[4:5]
	v_lshlrev_b32_e32 v8, 8, v12
	v_lshl_add_u32 v7, v7, 10, v0
	v_and_or_b32 v7, v8, s34, v7
	v_lshl_or_b32 v6, v6, 7, v7
	v_cvt_f32_f16_e32 v56, v6
.LBB307_230:                            ;   in Loop: Header=BB307_10 Depth=1
	s_or_b64 exec, exec, s[24:25]
	v_lshrrev_b16_e32 v8, 8, v12
	v_cmp_lt_i16_e64 s[4:5], s17, v8
	s_mov_b64 s[24:25], 0
                                        ; implicit-def: $sgpr35
	s_and_saveexec_b64 s[26:27], s[4:5]
	s_xor_b64 s[26:27], exec, s[26:27]
	s_cbranch_execnz .LBB307_468
; %bb.231:                              ;   in Loop: Header=BB307_10 Depth=1
	s_or_saveexec_b64 s[26:27], s[26:27]
	v_mov_b32_e32 v57, s35
	s_xor_b64 exec, exec, s[26:27]
	s_cbranch_execnz .LBB307_471
.LBB307_232:                            ;   in Loop: Header=BB307_10 Depth=1
	s_or_b64 exec, exec, s[26:27]
	s_and_saveexec_b64 s[26:27], s[24:25]
	s_cbranch_execz .LBB307_234
.LBB307_233:                            ;   in Loop: Header=BB307_10 Depth=1
	v_and_b32_e32 v17, 7, v8
	v_ffbh_u32_e32 v6, v17
	v_min_u32_e32 v28, 32, v6
	v_subrev_u32_e32 v6, 28, v28
	v_bfe_u32 v21, v8, 3, 4
	v_lshlrev_b64 v[6:7], v6, v[8:9]
	v_sub_u32_e32 v7, 29, v28
	v_cmp_eq_u32_e64 s[4:5], 0, v21
	v_mov_b32_e32 v0, 0x1c00
	v_and_b32_e32 v6, 7, v6
	v_cndmask_b32_e64 v7, v21, v7, s[4:5]
	v_lshlrev_b32_e32 v8, 8, v8
	v_lshl_add_u32 v7, v7, 10, v0
	v_cndmask_b32_e64 v6, v17, v6, s[4:5]
	v_and_or_b32 v7, v8, s34, v7
	v_lshl_or_b32 v6, v6, 7, v7
	v_cvt_f32_f16_e32 v57, v6
.LBB307_234:                            ;   in Loop: Header=BB307_10 Depth=1
	s_or_b64 exec, exec, s[26:27]
	v_lshrrev_b32_e32 v8, 16, v12
	v_cmp_gt_i16_sdwa s[24:25], v8, s17 src0_sel:BYTE_0 src1_sel:DWORD
	s_mov_b64 s[4:5], 0
                                        ; implicit-def: $sgpr28
	s_and_saveexec_b64 s[26:27], s[24:25]
	s_xor_b64 s[24:25], exec, s[26:27]
	s_cbranch_execnz .LBB307_472
; %bb.235:                              ;   in Loop: Header=BB307_10 Depth=1
	s_or_saveexec_b64 s[24:25], s[24:25]
	v_mov_b32_e32 v6, s28
	s_xor_b64 exec, exec, s[24:25]
	s_cbranch_execnz .LBB307_475
.LBB307_236:                            ;   in Loop: Header=BB307_10 Depth=1
	s_or_b64 exec, exec, s[24:25]
	s_and_saveexec_b64 s[24:25], s[4:5]
	s_cbranch_execz .LBB307_238
.LBB307_237:                            ;   in Loop: Header=BB307_10 Depth=1
	v_bfe_u32 v17, v12, 16, 3
	v_ffbh_u32_e32 v6, v17
	v_min_u32_e32 v28, 32, v6
	v_subrev_u32_e32 v6, 28, v28
	v_bfe_u32 v21, v12, 19, 4
	v_lshlrev_b64 v[6:7], v6, v[8:9]
	v_sub_u32_e32 v7, 29, v28
	v_cmp_eq_u32_e64 s[4:5], 0, v21
	v_mov_b32_e32 v0, 0x1c00
	v_and_b32_e32 v6, 7, v6
	v_cndmask_b32_e64 v7, v21, v7, s[4:5]
	v_lshlrev_b32_e32 v8, 8, v8
	v_lshl_add_u32 v7, v7, 10, v0
	v_cndmask_b32_e64 v6, v17, v6, s[4:5]
	v_and_or_b32 v7, v8, s34, v7
	v_lshl_or_b32 v6, v6, 7, v7
	v_cvt_f32_f16_e32 v6, v6
.LBB307_238:                            ;   in Loop: Header=BB307_10 Depth=1
	s_or_b64 exec, exec, s[24:25]
	v_lshrrev_b32_e32 v8, 24, v12
	v_cmp_lt_i16_e64 s[4:5], s17, v8
	s_mov_b64 s[24:25], 0
                                        ; implicit-def: $sgpr35
	s_and_saveexec_b64 s[26:27], s[4:5]
	s_xor_b64 s[26:27], exec, s[26:27]
	s_cbranch_execnz .LBB307_476
; %bb.239:                              ;   in Loop: Header=BB307_10 Depth=1
	s_or_saveexec_b64 s[26:27], s[26:27]
	v_mov_b32_e32 v7, s35
	s_xor_b64 exec, exec, s[26:27]
	s_cbranch_execnz .LBB307_479
.LBB307_240:                            ;   in Loop: Header=BB307_10 Depth=1
	s_or_b64 exec, exec, s[26:27]
	s_and_saveexec_b64 s[26:27], s[24:25]
	s_cbranch_execz .LBB307_242
.LBB307_241:                            ;   in Loop: Header=BB307_10 Depth=1
	v_bfe_u32 v7, v12, 24, 3
	v_ffbh_u32_e32 v17, v7
	v_bfe_u32 v12, v12, 27, 4
	v_min_u32_e32 v17, 32, v17
	v_subrev_u32_e32 v21, 28, v17
	v_sub_u32_e32 v17, 29, v17
	v_cmp_eq_u32_e64 s[4:5], 0, v12
	v_lshlrev_b64 v[28:29], v21, v[8:9]
	v_mov_b32_e32 v0, 0x1c00
	v_cndmask_b32_e64 v12, v12, v17, s[4:5]
	v_and_b32_e32 v21, 7, v28
	v_lshlrev_b32_e32 v8, 8, v8
	v_lshl_add_u32 v12, v12, 10, v0
	v_cndmask_b32_e64 v7, v7, v21, s[4:5]
	v_and_or_b32 v8, v8, s34, v12
	v_lshl_or_b32 v7, v7, 7, v8
	v_cvt_f32_f16_e32 v7, v7
.LBB307_242:                            ;   in Loop: Header=BB307_10 Depth=1
	s_or_b64 exec, exec, s[26:27]
	flat_load_dword v12, v[36:37] offset:3584
	s_mov_b64 s[4:5], 0
                                        ; implicit-def: $sgpr28
	s_waitcnt vmcnt(0) lgkmcnt(0)
	v_cmp_gt_i16_sdwa s[24:25], v12, s17 src0_sel:BYTE_0 src1_sel:DWORD
	s_and_saveexec_b64 s[26:27], s[24:25]
	s_xor_b64 s[24:25], exec, s[26:27]
	s_cbranch_execnz .LBB307_480
; %bb.243:                              ;   in Loop: Header=BB307_10 Depth=1
	s_or_saveexec_b64 s[24:25], s[24:25]
	v_mov_b32_e32 v21, s28
	s_xor_b64 exec, exec, s[24:25]
	s_cbranch_execnz .LBB307_483
.LBB307_244:                            ;   in Loop: Header=BB307_10 Depth=1
	s_or_b64 exec, exec, s[24:25]
	s_and_saveexec_b64 s[24:25], s[4:5]
	s_cbranch_execz .LBB307_246
.LBB307_245:                            ;   in Loop: Header=BB307_10 Depth=1
	v_and_b32_e32 v8, 7, v12
	v_ffbh_u32_e32 v21, v8
	v_bfe_u32 v17, v12, 3, 4
	v_min_u32_e32 v21, 32, v21
	v_subrev_u32_e32 v28, 28, v21
	v_sub_u32_e32 v21, 29, v21
	v_cmp_eq_u32_e64 s[4:5], 0, v17
	v_lshlrev_b64 v[28:29], v28, v[12:13]
	v_mov_b32_e32 v0, 0x1c00
	v_cndmask_b32_e64 v17, v17, v21, s[4:5]
	v_and_b32_e32 v28, 7, v28
	v_lshlrev_b32_e32 v21, 8, v12
	v_lshl_add_u32 v17, v17, 10, v0
	v_cndmask_b32_e64 v8, v8, v28, s[4:5]
	v_and_or_b32 v17, v21, s34, v17
	v_lshl_or_b32 v8, v8, 7, v17
	v_cvt_f32_f16_e32 v21, v8
.LBB307_246:                            ;   in Loop: Header=BB307_10 Depth=1
	s_or_b64 exec, exec, s[24:25]
	v_lshrrev_b16_e32 v8, 8, v12
	v_cmp_lt_i16_e64 s[4:5], s17, v8
	s_mov_b64 s[24:25], 0
                                        ; implicit-def: $sgpr35
	s_and_saveexec_b64 s[26:27], s[4:5]
	s_xor_b64 s[26:27], exec, s[26:27]
	s_cbranch_execnz .LBB307_484
; %bb.247:                              ;   in Loop: Header=BB307_10 Depth=1
	s_or_saveexec_b64 s[26:27], s[26:27]
	v_mov_b32_e32 v60, s35
	s_xor_b64 exec, exec, s[26:27]
	s_cbranch_execnz .LBB307_487
.LBB307_248:                            ;   in Loop: Header=BB307_10 Depth=1
	s_or_b64 exec, exec, s[26:27]
	s_and_saveexec_b64 s[26:27], s[24:25]
	s_cbranch_execz .LBB307_250
.LBB307_249:                            ;   in Loop: Header=BB307_10 Depth=1
	v_and_b32_e32 v17, 7, v8
	v_ffbh_u32_e32 v28, v17
	v_min_u32_e32 v37, 32, v28
	v_subrev_u32_e32 v28, 28, v37
	v_bfe_u32 v36, v8, 3, 4
	v_lshlrev_b64 v[28:29], v28, v[8:9]
	v_sub_u32_e32 v29, 29, v37
	v_cmp_eq_u32_e64 s[4:5], 0, v36
	v_and_b32_e32 v28, 7, v28
	v_mov_b32_e32 v0, 0x1c00
	v_cndmask_b32_e64 v29, v36, v29, s[4:5]
	v_cndmask_b32_e64 v17, v17, v28, s[4:5]
	v_lshlrev_b32_e32 v8, 8, v8
	v_lshl_add_u32 v28, v29, 10, v0
	v_and_or_b32 v8, v8, s34, v28
	v_lshl_or_b32 v8, v17, 7, v8
	v_cvt_f32_f16_e32 v60, v8
.LBB307_250:                            ;   in Loop: Header=BB307_10 Depth=1
	s_or_b64 exec, exec, s[26:27]
	v_lshrrev_b32_e32 v8, 16, v12
	v_cmp_gt_i16_sdwa s[24:25], v8, s17 src0_sel:BYTE_0 src1_sel:DWORD
	s_mov_b64 s[4:5], 0
                                        ; implicit-def: $sgpr28
	s_and_saveexec_b64 s[26:27], s[24:25]
	s_xor_b64 s[24:25], exec, s[26:27]
	s_cbranch_execnz .LBB307_488
; %bb.251:                              ;   in Loop: Header=BB307_10 Depth=1
	s_or_saveexec_b64 s[24:25], s[24:25]
	v_mov_b32_e32 v61, s28
	s_xor_b64 exec, exec, s[24:25]
	s_cbranch_execnz .LBB307_491
.LBB307_252:                            ;   in Loop: Header=BB307_10 Depth=1
	s_or_b64 exec, exec, s[24:25]
	s_and_saveexec_b64 s[24:25], s[4:5]
	s_cbranch_execz .LBB307_254
.LBB307_253:                            ;   in Loop: Header=BB307_10 Depth=1
	v_bfe_u32 v17, v12, 16, 3
	v_ffbh_u32_e32 v28, v17
	v_min_u32_e32 v37, 32, v28
	v_subrev_u32_e32 v28, 28, v37
	v_bfe_u32 v36, v12, 19, 4
	v_lshlrev_b64 v[28:29], v28, v[8:9]
	v_sub_u32_e32 v29, 29, v37
	v_cmp_eq_u32_e64 s[4:5], 0, v36
	v_and_b32_e32 v28, 7, v28
	v_mov_b32_e32 v0, 0x1c00
	v_cndmask_b32_e64 v29, v36, v29, s[4:5]
	v_cndmask_b32_e64 v17, v17, v28, s[4:5]
	v_lshlrev_b32_e32 v8, 8, v8
	v_lshl_add_u32 v28, v29, 10, v0
	v_and_or_b32 v8, v8, s34, v28
	v_lshl_or_b32 v8, v17, 7, v8
	v_cvt_f32_f16_e32 v61, v8
.LBB307_254:                            ;   in Loop: Header=BB307_10 Depth=1
	s_or_b64 exec, exec, s[24:25]
	v_lshrrev_b32_e32 v8, 24, v12
	v_cmp_lt_i16_e64 s[4:5], s17, v8
	s_mov_b64 s[24:25], 0
                                        ; implicit-def: $sgpr35
	s_and_saveexec_b64 s[26:27], s[4:5]
	s_xor_b64 s[26:27], exec, s[26:27]
	s_cbranch_execz .LBB307_258
; %bb.255:                              ;   in Loop: Header=BB307_10 Depth=1
	v_cmp_eq_u16_e64 s[4:5], s31, v8
	s_mov_b64 s[24:25], -1
                                        ; implicit-def: $sgpr35
	s_and_saveexec_b64 s[28:29], s[4:5]
; %bb.256:                              ;   in Loop: Header=BB307_10 Depth=1
	s_mov_b32 s35, 0x7fc02000
	s_xor_b64 s[24:25], exec, -1
; %bb.257:                              ;   in Loop: Header=BB307_10 Depth=1
	s_or_b64 exec, exec, s[28:29]
	s_and_b64 s[24:25], s[24:25], exec
.LBB307_258:                            ;   in Loop: Header=BB307_10 Depth=1
	s_or_saveexec_b64 s[26:27], s[26:27]
	v_mov_b32_e32 v39, s35
	s_xor_b64 exec, exec, s[26:27]
; %bb.259:                              ;   in Loop: Header=BB307_10 Depth=1
	v_cmp_ne_u16_e64 s[4:5], 0, v8
	s_andn2_b64 s[24:25], s[24:25], exec
	s_and_b64 s[4:5], s[4:5], exec
	v_mov_b32_e32 v39, 0
	s_or_b64 s[24:25], s[24:25], s[4:5]
; %bb.260:                              ;   in Loop: Header=BB307_10 Depth=1
	s_or_b64 exec, exec, s[26:27]
	v_accvgpr_write_b32 a45, v62
	v_accvgpr_write_b32 a43, v59
	;; [unrolled: 1-line block ×4, first 2 shown]
	s_and_saveexec_b64 s[26:27], s[24:25]
	s_cbranch_execz .LBB307_262
; %bb.261:                              ;   in Loop: Header=BB307_10 Depth=1
	v_bfe_u32 v17, v12, 24, 3
	v_ffbh_u32_e32 v28, v17
	v_min_u32_e32 v36, 32, v28
	v_subrev_u32_e32 v28, 28, v36
	v_bfe_u32 v12, v12, 27, 4
	v_lshlrev_b64 v[28:29], v28, v[8:9]
	v_sub_u32_e32 v29, 29, v36
	v_cmp_eq_u32_e64 s[4:5], 0, v12
	v_mov_b32_e32 v0, 0x1c00
	v_and_b32_e32 v28, 7, v28
	v_cndmask_b32_e64 v12, v12, v29, s[4:5]
	v_lshlrev_b32_e32 v8, 8, v8
	v_lshl_add_u32 v12, v12, 10, v0
	v_cndmask_b32_e64 v17, v17, v28, s[4:5]
	v_and_or_b32 v8, v8, s34, v12
	v_lshl_or_b32 v8, v17, 7, v8
	v_cvt_f32_f16_e32 v39, v8
.LBB307_262:                            ;   in Loop: Header=BB307_10 Depth=1
	s_or_b64 exec, exec, s[26:27]
	v_accvgpr_read_b32 v0, a34
	ds_read_b64 v[28:29], v0
	v_fma_mixlo_f16 v58, v41, v20, 0
	v_fma_mixlo_f16 v36, v41, v38, 0
	v_and_b32_e32 v36, 0xffff, v36
	v_fma_mixlo_f16 v57, v41, v57, 0
	s_waitcnt lgkmcnt(0)
	v_lshrrev_b32_e32 v8, 16, v28
	v_and_b32_e32 v12, 0xffff, v28
	v_lshrrev_b32_e32 v17, 16, v29
	v_and_b32_e32 v28, 0xffff, v29
	v_fma_mixlo_f16 v29, v41, v5, 0
	v_accvgpr_read_b32 v5, a46
	v_fma_mixlo_f16 v37, v41, v5, 0
	scratch_load_dword v5, off, s32 offset:132 ; 4-byte Folded Reload
	;;#ASMSTART
	v_cvt_f32_f16 v12, v12;
	;;#ASMEND
	;;#ASMSTART
	v_cvt_f32_f16 v62, v8;
	;;#ASMEND
	v_and_b32_e32 v8, 0xffff, v37
	;;#ASMSTART
	v_cvt_f32_f16 v37, v8;
	;;#ASMEND
	v_and_b32_e32 v8, 0xffff, v29
	;; [unrolled: 4-line block ×3, first 2 shown]
	;;#ASMSTART
	v_cvt_f32_f16 v20, v28;
	;;#ASMEND
	;;#ASMSTART
	v_cvt_f32_f16 v17, v17;
	;;#ASMEND
	;; [unrolled: 3-line block ×3, first 2 shown]
	v_fma_mixlo_f16 v56, v41, v56, 0
	v_fma_mixlo_f16 v27, v41, v27, 0
	;; [unrolled: 1-line block ×14, first 2 shown]
	s_waitcnt vmcnt(0)
	v_fma_mixlo_f16 v59, v41, v5, 0
	v_and_b32_e32 v8, 0xffff, v59
	;;#ASMSTART
	v_cvt_f32_f16 v5, v8;
	;;#ASMEND
	ds_read_b64 v[28:29], v0 offset:8
	s_waitcnt lgkmcnt(0)
	v_and_b32_e32 v8, 0xffff, v28
	;;#ASMSTART
	v_cvt_f32_f16 v8, v8;
	;;#ASMEND
	v_lshrrev_b32_e32 v28, 16, v28
	;;#ASMSTART
	v_cvt_f32_f16 v28, v28;
	;;#ASMEND
	;;#ASMSTART
	v_cvt_f32_f16 v36, v36;
	;;#ASMEND
	s_nop 0
	v_mul_f32_e32 v8, v8, v36
	v_fmac_f32_e32 v8, v12, v37
	scratch_load_dword v12, off, s32 offset:136 ; 4-byte Folded Reload
	v_fma_mixlo_f16 v36, v41, v54, 0
	v_and_b32_e32 v36, 0xffff, v36
	s_waitcnt vmcnt(0)
	v_fma_mixlo_f16 v12, v41, v12, 0
	v_and_b32_e32 v12, 0xffff, v12
	;;#ASMSTART
	v_cvt_f32_f16 v12, v12;
	;;#ASMEND
	s_nop 0
	v_mul_f32_e32 v12, v28, v12
	v_lshrrev_b32_e32 v28, 16, v29
	v_and_b32_e32 v29, 0xffff, v29
	;;#ASMSTART
	v_cvt_f32_f16 v29, v29;
	;;#ASMEND
	;;#ASMSTART
	v_cvt_f32_f16 v28, v28;
	;;#ASMEND
	;;#ASMSTART
	v_cvt_f32_f16 v36, v36;
	;;#ASMEND
	v_fmac_f32_e32 v12, v62, v38
	v_mul_f32_e32 v58, v29, v36
	v_fmac_f32_e32 v58, v20, v48
	v_fma_mixlo_f16 v20, v41, v34, 0
	v_and_b32_e32 v20, 0xffff, v20
	;;#ASMSTART
	v_cvt_f32_f16 v20, v20;
	;;#ASMEND
	ds_read_b64 v[36:37], v0 offset:16
	v_mul_f32_e32 v59, v28, v20
	v_fmac_f32_e32 v59, v17, v5
	v_accvgpr_read_b32 v5, a48
	v_fma_mixlo_f16 v5, v41, v5, 0
	s_waitcnt lgkmcnt(0)
	v_and_b32_e32 v17, 0xffff, v36
	;;#ASMSTART
	v_cvt_f32_f16 v17, v17;
	;;#ASMEND
	v_lshrrev_b32_e32 v20, 16, v36
	v_and_b32_e32 v5, 0xffff, v5
	;;#ASMSTART
	v_cvt_f32_f16 v20, v20;
	;;#ASMEND
	;;#ASMSTART
	v_cvt_f32_f16 v5, v5;
	;;#ASMEND
	v_fma_mixlo_f16 v34, v41, v53, 0
	v_fmac_f32_e32 v8, v17, v5
	v_fma_mixlo_f16 v17, v41, v1, 0
	v_accvgpr_read_b32 v1, a49
	v_fma_mixlo_f16 v48, v41, v1, 0
	v_accvgpr_read_b32 v1, a47
	;; [unrolled: 2-line block ×4, first 2 shown]
	v_fma_mixlo_f16 v29, v41, v49, 0
	v_fma_mixlo_f16 v49, v41, v50, 0
	v_fma_mixlo_f16 v50, v41, v35, 0
	v_fma_mixlo_f16 v35, v41, v40, 0
	v_fma_mixlo_f16 v40, v41, v1, 0
	v_accvgpr_read_b32 v1, a41
	v_fma_mixlo_f16 v38, v41, v4, 0
	v_fma_mixlo_f16 v4, v41, v1, 0
	v_and_b32_e32 v4, 0xffff, v4
	v_accvgpr_read_b32 v1, a42
	;;#ASMSTART
	v_cvt_f32_f16 v4, v4;
	;;#ASMEND
	v_fma_mixlo_f16 v5, v41, v1, 0
	v_accvgpr_read_b32 v1, a43
	v_fmac_f32_e32 v12, v20, v4
	v_lshrrev_b32_e32 v4, 16, v37
	v_and_b32_e32 v20, 0xffff, v37
	v_fma_mixlo_f16 v36, v41, v6, 0
	v_fma_mixlo_f16 v6, v41, v7, 0
	;; [unrolled: 1-line block ×15, first 2 shown]
	;;#ASMSTART
	v_cvt_f32_f16 v20, v20;
	;;#ASMEND
	;;#ASMSTART
	v_cvt_f32_f16 v21, v4;
	;;#ASMEND
	v_and_b32_e32 v4, 0xffff, v5
	;;#ASMSTART
	v_cvt_f32_f16 v37, v4;
	;;#ASMEND
	v_and_b32_e32 v4, 0xffff, v55
	v_fma_mixlo_f16 v62, v41, v42, 0
	v_fma_mixlo_f16 v42, v41, v45, 0
	;; [unrolled: 1-line block ×8, first 2 shown]
	;;#ASMSTART
	v_cvt_f32_f16 v39, v4;
	;;#ASMEND
	ds_read_b64 v[4:5], v0 offset:24
	v_fmac_f32_e32 v58, v20, v37
	v_fmac_f32_e32 v59, v21, v39
	v_and_b32_e32 v3, 0xffff, v3
	v_and_b32_e32 v2, 0xffff, v2
	s_waitcnt lgkmcnt(0)
	v_lshrrev_b32_e32 v20, 16, v4
	v_and_b32_e32 v4, 0xffff, v4
	;;#ASMSTART
	v_cvt_f32_f16 v21, v4;
	;;#ASMEND
	v_and_b32_e32 v4, 0xffff, v40
	;;#ASMSTART
	v_cvt_f32_f16 v20, v20;
	;;#ASMEND
	;;#ASMSTART
	v_cvt_f32_f16 v37, v4;
	;;#ASMEND
	v_and_b32_e32 v4, 0xffff, v53
	;;#ASMSTART
	v_cvt_f32_f16 v39, v4;
	;;#ASMEND
	v_lshrrev_b32_e32 v4, 16, v5
	v_and_b32_e32 v5, 0xffff, v5
	;;#ASMSTART
	v_cvt_f32_f16 v53, v5;
	;;#ASMEND
	;;#ASMSTART
	v_cvt_f32_f16 v55, v4;
	;;#ASMEND
	v_and_b32_e32 v4, 0xffff, v16
	;;#ASMSTART
	v_cvt_f32_f16 v16, v4;
	;;#ASMEND
	v_and_b32_e32 v4, 0xffff, v23
	;;#ASMSTART
	v_cvt_f32_f16 v23, v4;
	;;#ASMEND
	ds_read_b64 v[4:5], v0 offset:32
	v_fmac_f32_e32 v58, v53, v16
	v_fmac_f32_e32 v12, v20, v39
	v_fmac_f32_e32 v8, v21, v37
	v_fmac_f32_e32 v59, v55, v23
	s_waitcnt lgkmcnt(0)
	v_lshrrev_b32_e32 v16, 16, v4
	v_and_b32_e32 v4, 0xffff, v4
	;;#ASMSTART
	v_cvt_f32_f16 v20, v4;
	;;#ASMEND
	v_and_b32_e32 v4, 0xffff, v54
	;;#ASMSTART
	v_cvt_f32_f16 v16, v16;
	;;#ASMEND
	;;#ASMSTART
	v_cvt_f32_f16 v21, v4;
	;;#ASMEND
	v_and_b32_e32 v4, 0xffff, v50
	;;#ASMSTART
	v_cvt_f32_f16 v23, v4;
	;;#ASMEND
	v_lshrrev_b32_e32 v4, 16, v5
	v_and_b32_e32 v5, 0xffff, v5
	;;#ASMSTART
	v_cvt_f32_f16 v37, v5;
	;;#ASMEND
	;;#ASMSTART
	v_cvt_f32_f16 v39, v4;
	;;#ASMEND
	v_and_b32_e32 v4, 0xffff, v34
	;;#ASMSTART
	v_cvt_f32_f16 v34, v4;
	;;#ASMEND
	v_and_b32_e32 v4, 0xffff, v35
	;;#ASMSTART
	v_cvt_f32_f16 v35, v4;
	;;#ASMEND
	ds_read_b64 v[4:5], v0 offset:40
	v_fmac_f32_e32 v12, v16, v23
	v_fmac_f32_e32 v8, v20, v21
	v_fmac_f32_e32 v58, v37, v34
	v_fmac_f32_e32 v59, v39, v35
	;; [unrolled: 38-line block ×11, first 2 shown]
	s_waitcnt lgkmcnt(0)
	v_lshrrev_b32_e32 v6, 16, v4
	v_and_b32_e32 v4, 0xffff, v4
	;;#ASMSTART
	v_cvt_f32_f16 v4, v4;
	;;#ASMEND
	;;#ASMSTART
	v_cvt_f32_f16 v6, v6;
	;;#ASMEND
	;; [unrolled: 3-line block ×4, first 2 shown]
	v_and_b32_e32 v1, 0xffff, v1
	v_fmac_f32_e32 v8, v4, v3
	v_and_b32_e32 v3, 0xffff, v5
	v_fmac_f32_e32 v12, v6, v2
	v_lshrrev_b32_e32 v2, 16, v5
	;;#ASMSTART
	v_cvt_f32_f16 v3, v3;
	;;#ASMEND
	;;#ASMSTART
	v_cvt_f32_f16 v2, v2;
	;;#ASMEND
	;; [unrolled: 3-line block ×3, first 2 shown]
	v_and_b32_e32 v0, 0xffff, v41
	v_fmac_f32_e32 v58, v3, v1
	v_accvgpr_read_b32 v3, a29
	v_and_b32_e32 v1, 64, v3
	;;#ASMSTART
	v_cvt_f32_f16 v0, v0;
	;;#ASMEND
	v_add_u32_e32 v1, 64, v1
	v_fmac_f32_e32 v59, v2, v0
	v_xor_b32_e32 v2, 1, v3
	v_add_f32_e32 v0, v8, v12
	v_cmp_lt_i32_e64 s[4:5], v2, v1
	v_add_f32_e32 v0, v0, v58
	v_add_f32_e32 v0, v59, v0
	v_cndmask_b32_e64 v2, v3, v2, s[4:5]
	v_lshlrev_b32_e32 v2, 2, v2
	ds_bpermute_b32 v2, v2, v0
	s_mov_b64 s[24:25], exec
	s_and_b64 s[4:5], s[24:25], vcc
	v_accvgpr_read_b32 v6, a40
	s_mov_b64 exec, s[4:5]
	s_cbranch_execz .LBB307_9
; %bb.263:                              ;   in Loop: Header=BB307_10 Depth=1
	s_waitcnt lgkmcnt(0)
	v_add_f32_e32 v0, v0, v2
	scratch_load_dword v2, off, s32 offset:144 ; 4-byte Folded Reload
	v_accvgpr_read_b32 v3, a35
	v_accvgpr_read_b32 v5, a38
	v_add_u32_e32 v3, v3, v5
	v_cvt_f32_i32_e32 v3, v3
	s_load_dword s4, s[8:9], 0x0
	v_accvgpr_read_b32 v4, a28
	s_waitcnt vmcnt(0)
	v_mul_f32_e32 v2, v2, v3
	v_cndmask_b32_e64 v2, 0, v2, s[2:3]
	v_accvgpr_read_b32 v3, a39
	v_fmac_f32_e32 v2, v0, v4
	v_accvgpr_read_b32 v0, a8
	s_waitcnt lgkmcnt(0)
	v_add_u32_e32 v3, s4, v3
	v_cmp_lt_i32_e64 s[4:5], v5, v0
	s_nop 1
	v_cndmask_b32_e64 v0, 0, v2, s[4:5]
	ds_write_b32 v3, v0
	scratch_load_dword v3, off, s32 offset:140 ; 4-byte Folded Reload
	s_waitcnt vmcnt(0)
	v_max_f32_e32 v0, v3, v3
	v_max_f32_e32 v0, v0, v2
	v_cndmask_b32_e64 v3, v3, v0, s[4:5]
	scratch_store_dword off, v3, s32 offset:140 ; 4-byte Folded Spill
	s_branch .LBB307_9
.LBB307_264:                            ;   in Loop: Header=BB307_10 Depth=1
	v_cmp_eq_u16_sdwa s[36:37], v12, s31 src0_sel:BYTE_0 src1_sel:DWORD
	s_mov_b64 s[4:5], -1
                                        ; implicit-def: $sgpr28
	s_and_saveexec_b64 s[26:27], s[36:37]
; %bb.265:                              ;   in Loop: Header=BB307_10 Depth=1
	s_mov_b32 s28, 0x7fc02000
	s_xor_b64 s[4:5], exec, -1
; %bb.266:                              ;   in Loop: Header=BB307_10 Depth=1
	s_or_b64 exec, exec, s[26:27]
	s_and_b64 s[4:5], s[4:5], exec
	s_or_saveexec_b64 s[24:25], s[24:25]
	v_mov_b32_e32 v0, s28
	s_xor_b64 exec, exec, s[24:25]
	s_cbranch_execz .LBB307_12
.LBB307_267:                            ;   in Loop: Header=BB307_10 Depth=1
	v_cmp_ne_u16_sdwa s[26:27], v12, v9 src0_sel:BYTE_0 src1_sel:DWORD
	s_andn2_b64 s[4:5], s[4:5], exec
	s_and_b64 s[26:27], s[26:27], exec
	v_mov_b32_e32 v0, 0
	s_or_b64 s[4:5], s[4:5], s[26:27]
	s_or_b64 exec, exec, s[24:25]
	s_and_saveexec_b64 s[24:25], s[4:5]
	s_cbranch_execnz .LBB307_13
	s_branch .LBB307_14
.LBB307_268:                            ;   in Loop: Header=BB307_10 Depth=1
	v_cmp_eq_u16_e64 s[4:5], s31, v8
	s_mov_b64 s[24:25], -1
                                        ; implicit-def: $sgpr35
	s_and_saveexec_b64 s[28:29], s[4:5]
; %bb.269:                              ;   in Loop: Header=BB307_10 Depth=1
	s_mov_b32 s35, 0x7fc02000
	s_xor_b64 s[24:25], exec, -1
; %bb.270:                              ;   in Loop: Header=BB307_10 Depth=1
	s_or_b64 exec, exec, s[28:29]
	s_and_b64 s[24:25], s[24:25], exec
	s_or_saveexec_b64 s[26:27], s[26:27]
	v_mov_b32_e32 v5, s35
	s_xor_b64 exec, exec, s[26:27]
	s_cbranch_execz .LBB307_16
.LBB307_271:                            ;   in Loop: Header=BB307_10 Depth=1
	v_cmp_ne_u16_e64 s[4:5], 0, v8
	s_andn2_b64 s[24:25], s[24:25], exec
	s_and_b64 s[4:5], s[4:5], exec
	v_mov_b32_e32 v5, 0
	s_or_b64 s[24:25], s[24:25], s[4:5]
	s_or_b64 exec, exec, s[26:27]
	s_and_saveexec_b64 s[26:27], s[24:25]
	s_cbranch_execnz .LBB307_17
	s_branch .LBB307_18
.LBB307_272:                            ;   in Loop: Header=BB307_10 Depth=1
	v_cmp_eq_u16_sdwa s[36:37], v8, s31 src0_sel:BYTE_0 src1_sel:DWORD
	s_mov_b64 s[4:5], -1
                                        ; implicit-def: $sgpr28
	s_and_saveexec_b64 s[26:27], s[36:37]
; %bb.273:                              ;   in Loop: Header=BB307_10 Depth=1
	s_mov_b32 s28, 0x7fc02000
	s_xor_b64 s[4:5], exec, -1
; %bb.274:                              ;   in Loop: Header=BB307_10 Depth=1
	s_or_b64 exec, exec, s[26:27]
	s_and_b64 s[4:5], s[4:5], exec
	s_or_saveexec_b64 s[24:25], s[24:25]
	v_mov_b32_e32 v20, s28
	s_xor_b64 exec, exec, s[24:25]
	s_cbranch_execz .LBB307_20
.LBB307_275:                            ;   in Loop: Header=BB307_10 Depth=1
	v_cmp_ne_u16_sdwa s[26:27], v8, v9 src0_sel:BYTE_0 src1_sel:DWORD
	s_andn2_b64 s[4:5], s[4:5], exec
	s_and_b64 s[26:27], s[26:27], exec
	v_mov_b32_e32 v20, 0
	s_or_b64 s[4:5], s[4:5], s[26:27]
	s_or_b64 exec, exec, s[24:25]
	s_and_saveexec_b64 s[24:25], s[4:5]
	s_cbranch_execnz .LBB307_21
	s_branch .LBB307_22
.LBB307_276:                            ;   in Loop: Header=BB307_10 Depth=1
	v_cmp_eq_u16_sdwa s[36:37], v12, s31 src0_sel:BYTE_0 src1_sel:DWORD
	s_mov_b64 s[4:5], -1
                                        ; implicit-def: $sgpr28
	s_and_saveexec_b64 s[26:27], s[36:37]
; %bb.277:                              ;   in Loop: Header=BB307_10 Depth=1
	s_mov_b32 s28, 0x7fc02000
	s_xor_b64 s[4:5], exec, -1
; %bb.278:                              ;   in Loop: Header=BB307_10 Depth=1
	s_or_b64 exec, exec, s[26:27]
	s_and_b64 s[4:5], s[4:5], exec
	s_or_saveexec_b64 s[24:25], s[24:25]
	v_mov_b32_e32 v38, s28
	s_xor_b64 exec, exec, s[24:25]
	s_cbranch_execz .LBB307_32
.LBB307_279:                            ;   in Loop: Header=BB307_10 Depth=1
	v_cmp_ne_u16_sdwa s[26:27], v12, v9 src0_sel:BYTE_0 src1_sel:DWORD
	s_andn2_b64 s[4:5], s[4:5], exec
	s_and_b64 s[26:27], s[26:27], exec
	v_mov_b32_e32 v38, 0
	s_or_b64 s[4:5], s[4:5], s[26:27]
	s_or_b64 exec, exec, s[24:25]
	s_and_saveexec_b64 s[24:25], s[4:5]
	s_cbranch_execnz .LBB307_33
	s_branch .LBB307_34
.LBB307_280:                            ;   in Loop: Header=BB307_10 Depth=1
	v_cmp_eq_u16_sdwa s[36:37], v8, s31 src0_sel:BYTE_0 src1_sel:DWORD
	s_mov_b64 s[4:5], -1
                                        ; implicit-def: $sgpr28
	s_and_saveexec_b64 s[26:27], s[36:37]
; %bb.281:                              ;   in Loop: Header=BB307_10 Depth=1
	s_mov_b32 s28, 0x7fc02000
	s_xor_b64 s[4:5], exec, -1
; %bb.282:                              ;   in Loop: Header=BB307_10 Depth=1
	s_or_b64 exec, exec, s[26:27]
	s_and_b64 s[4:5], s[4:5], exec
	s_or_saveexec_b64 s[24:25], s[24:25]
	v_mov_b32_e32 v54, s28
	s_xor_b64 exec, exec, s[24:25]
	s_cbranch_execz .LBB307_44
.LBB307_283:                            ;   in Loop: Header=BB307_10 Depth=1
	v_cmp_ne_u16_sdwa s[26:27], v8, v9 src0_sel:BYTE_0 src1_sel:DWORD
	s_andn2_b64 s[4:5], s[4:5], exec
	s_and_b64 s[26:27], s[26:27], exec
	v_mov_b32_e32 v54, 0
	s_or_b64 s[4:5], s[4:5], s[26:27]
	s_or_b64 exec, exec, s[24:25]
	s_and_saveexec_b64 s[24:25], s[4:5]
	s_cbranch_execnz .LBB307_45
	s_branch .LBB307_46
.LBB307_284:                            ;   in Loop: Header=BB307_10 Depth=1
	v_cmp_eq_u16_e64 s[4:5], s31, v8
	s_mov_b64 s[24:25], -1
                                        ; implicit-def: $sgpr35
	s_and_saveexec_b64 s[28:29], s[4:5]
; %bb.285:                              ;   in Loop: Header=BB307_10 Depth=1
	s_mov_b32 s35, 0x7fc02000
	s_xor_b64 s[24:25], exec, -1
; %bb.286:                              ;   in Loop: Header=BB307_10 Depth=1
	s_or_b64 exec, exec, s[28:29]
	s_and_b64 s[24:25], s[24:25], exec
	s_or_saveexec_b64 s[26:27], s[26:27]
	v_mov_b32_e32 v34, s35
	s_xor_b64 exec, exec, s[26:27]
	s_cbranch_execz .LBB307_48
.LBB307_287:                            ;   in Loop: Header=BB307_10 Depth=1
	v_cmp_ne_u16_e64 s[4:5], 0, v8
	s_andn2_b64 s[24:25], s[24:25], exec
	s_and_b64 s[4:5], s[4:5], exec
	v_mov_b32_e32 v34, 0
	s_or_b64 s[24:25], s[24:25], s[4:5]
	s_or_b64 exec, exec, s[26:27]
	s_and_saveexec_b64 s[26:27], s[24:25]
	s_cbranch_execnz .LBB307_49
	s_branch .LBB307_50
.LBB307_288:                            ;   in Loop: Header=BB307_10 Depth=1
	v_cmp_eq_u16_sdwa s[36:37], v12, s31 src0_sel:BYTE_0 src1_sel:DWORD
	s_mov_b64 s[4:5], -1
                                        ; implicit-def: $sgpr28
	s_and_saveexec_b64 s[26:27], s[36:37]
; %bb.289:                              ;   in Loop: Header=BB307_10 Depth=1
	s_mov_b32 s28, 0x7fc02000
	s_xor_b64 s[4:5], exec, -1
; %bb.290:                              ;   in Loop: Header=BB307_10 Depth=1
	s_or_b64 exec, exec, s[26:27]
	s_and_b64 s[4:5], s[4:5], exec
	s_or_saveexec_b64 s[24:25], s[24:25]
	v_mov_b32_e32 v0, s28
	s_xor_b64 exec, exec, s[24:25]
	s_cbranch_execz .LBB307_52
.LBB307_291:                            ;   in Loop: Header=BB307_10 Depth=1
	v_cmp_ne_u16_sdwa s[26:27], v12, v9 src0_sel:BYTE_0 src1_sel:DWORD
	s_andn2_b64 s[4:5], s[4:5], exec
	s_and_b64 s[26:27], s[26:27], exec
	v_mov_b32_e32 v0, 0
	s_or_b64 s[4:5], s[4:5], s[26:27]
	s_or_b64 exec, exec, s[24:25]
	s_and_saveexec_b64 s[24:25], s[4:5]
	s_cbranch_execnz .LBB307_53
	s_branch .LBB307_54
.LBB307_292:                            ;   in Loop: Header=BB307_10 Depth=1
	v_cmp_eq_u16_e64 s[4:5], s31, v8
	s_mov_b64 s[24:25], -1
                                        ; implicit-def: $sgpr35
	s_and_saveexec_b64 s[28:29], s[4:5]
; %bb.293:                              ;   in Loop: Header=BB307_10 Depth=1
	s_mov_b32 s35, 0x7fc02000
	s_xor_b64 s[24:25], exec, -1
; %bb.294:                              ;   in Loop: Header=BB307_10 Depth=1
	s_or_b64 exec, exec, s[28:29]
	s_and_b64 s[24:25], s[24:25], exec
	s_or_saveexec_b64 s[26:27], s[26:27]
	v_mov_b32_e32 v48, s35
	s_xor_b64 exec, exec, s[26:27]
	s_cbranch_execz .LBB307_56
.LBB307_295:                            ;   in Loop: Header=BB307_10 Depth=1
	v_cmp_ne_u16_e64 s[4:5], 0, v8
	s_andn2_b64 s[24:25], s[24:25], exec
	s_and_b64 s[4:5], s[4:5], exec
	v_mov_b32_e32 v48, 0
	s_or_b64 s[24:25], s[24:25], s[4:5]
	s_or_b64 exec, exec, s[26:27]
	s_and_saveexec_b64 s[26:27], s[24:25]
	s_cbranch_execnz .LBB307_57
	s_branch .LBB307_58
.LBB307_296:                            ;   in Loop: Header=BB307_10 Depth=1
	v_cmp_eq_u16_sdwa s[36:37], v8, s31 src0_sel:BYTE_0 src1_sel:DWORD
	s_mov_b64 s[4:5], -1
                                        ; implicit-def: $sgpr28
	s_and_saveexec_b64 s[26:27], s[36:37]
; %bb.297:                              ;   in Loop: Header=BB307_10 Depth=1
	s_mov_b32 s28, 0x7fc02000
	s_xor_b64 s[4:5], exec, -1
; %bb.298:                              ;   in Loop: Header=BB307_10 Depth=1
	s_or_b64 exec, exec, s[26:27]
	s_and_b64 s[4:5], s[4:5], exec
	s_or_saveexec_b64 s[24:25], s[24:25]
	v_mov_b32_e32 v58, s28
	s_xor_b64 exec, exec, s[24:25]
	s_cbranch_execz .LBB307_60
.LBB307_299:                            ;   in Loop: Header=BB307_10 Depth=1
	v_cmp_ne_u16_sdwa s[26:27], v8, v9 src0_sel:BYTE_0 src1_sel:DWORD
	s_andn2_b64 s[4:5], s[4:5], exec
	s_and_b64 s[26:27], s[26:27], exec
	v_mov_b32_e32 v58, 0
	s_or_b64 s[4:5], s[4:5], s[26:27]
	s_or_b64 exec, exec, s[24:25]
	s_and_saveexec_b64 s[24:25], s[4:5]
	s_cbranch_execnz .LBB307_61
	s_branch .LBB307_62
.LBB307_300:                            ;   in Loop: Header=BB307_10 Depth=1
	v_cmp_eq_u16_e64 s[4:5], s31, v8
	s_mov_b64 s[24:25], -1
                                        ; implicit-def: $sgpr35
	s_and_saveexec_b64 s[28:29], s[4:5]
; %bb.301:                              ;   in Loop: Header=BB307_10 Depth=1
	s_mov_b32 s35, 0x7fc02000
	s_xor_b64 s[24:25], exec, -1
; %bb.302:                              ;   in Loop: Header=BB307_10 Depth=1
	s_or_b64 exec, exec, s[28:29]
	s_and_b64 s[24:25], s[24:25], exec
	s_or_saveexec_b64 s[26:27], s[26:27]
	v_mov_b32_e32 v59, s35
	s_xor_b64 exec, exec, s[26:27]
	s_cbranch_execz .LBB307_64
.LBB307_303:                            ;   in Loop: Header=BB307_10 Depth=1
	v_cmp_ne_u16_e64 s[4:5], 0, v8
	s_andn2_b64 s[24:25], s[24:25], exec
	s_and_b64 s[4:5], s[4:5], exec
	v_mov_b32_e32 v59, 0
	s_or_b64 s[24:25], s[24:25], s[4:5]
	s_or_b64 exec, exec, s[26:27]
	s_and_saveexec_b64 s[26:27], s[24:25]
	s_cbranch_execnz .LBB307_65
	s_branch .LBB307_66
.LBB307_304:                            ;   in Loop: Header=BB307_10 Depth=1
	v_cmp_eq_u16_sdwa s[36:37], v12, s31 src0_sel:BYTE_0 src1_sel:DWORD
	s_mov_b64 s[4:5], -1
                                        ; implicit-def: $sgpr28
	s_and_saveexec_b64 s[26:27], s[36:37]
; %bb.305:                              ;   in Loop: Header=BB307_10 Depth=1
	s_mov_b32 s28, 0x7fc02000
	s_xor_b64 s[4:5], exec, -1
; %bb.306:                              ;   in Loop: Header=BB307_10 Depth=1
	s_or_b64 exec, exec, s[26:27]
	s_and_b64 s[4:5], s[4:5], exec
	s_or_saveexec_b64 s[24:25], s[24:25]
	v_mov_b32_e32 v0, s28
	s_xor_b64 exec, exec, s[24:25]
	s_cbranch_execz .LBB307_68
.LBB307_307:                            ;   in Loop: Header=BB307_10 Depth=1
	v_cmp_ne_u16_sdwa s[26:27], v12, v9 src0_sel:BYTE_0 src1_sel:DWORD
	s_andn2_b64 s[4:5], s[4:5], exec
	s_and_b64 s[26:27], s[26:27], exec
	v_mov_b32_e32 v0, 0
	s_or_b64 s[4:5], s[4:5], s[26:27]
	s_or_b64 exec, exec, s[24:25]
	s_and_saveexec_b64 s[24:25], s[4:5]
	s_cbranch_execnz .LBB307_69
	s_branch .LBB307_70
.LBB307_308:                            ;   in Loop: Header=BB307_10 Depth=1
	v_cmp_eq_u16_e64 s[4:5], s31, v8
	s_mov_b64 s[24:25], -1
                                        ; implicit-def: $sgpr35
	s_and_saveexec_b64 s[28:29], s[4:5]
; %bb.309:                              ;   in Loop: Header=BB307_10 Depth=1
	s_mov_b32 s35, 0x7fc02000
	s_xor_b64 s[24:25], exec, -1
; %bb.310:                              ;   in Loop: Header=BB307_10 Depth=1
	s_or_b64 exec, exec, s[28:29]
	s_and_b64 s[24:25], s[24:25], exec
	s_or_saveexec_b64 s[26:27], s[26:27]
	v_mov_b32_e32 v62, s35
	s_xor_b64 exec, exec, s[26:27]
	s_cbranch_execz .LBB307_72
.LBB307_311:                            ;   in Loop: Header=BB307_10 Depth=1
	v_cmp_ne_u16_e64 s[4:5], 0, v8
	s_andn2_b64 s[24:25], s[24:25], exec
	s_and_b64 s[4:5], s[4:5], exec
	v_mov_b32_e32 v62, 0
	s_or_b64 s[24:25], s[24:25], s[4:5]
	s_or_b64 exec, exec, s[26:27]
	s_and_saveexec_b64 s[26:27], s[24:25]
	s_cbranch_execnz .LBB307_73
	s_branch .LBB307_74
.LBB307_312:                            ;   in Loop: Header=BB307_10 Depth=1
	v_cmp_eq_u16_sdwa s[36:37], v8, s31 src0_sel:BYTE_0 src1_sel:DWORD
	s_mov_b64 s[4:5], -1
                                        ; implicit-def: $sgpr28
	s_and_saveexec_b64 s[26:27], s[36:37]
; %bb.313:                              ;   in Loop: Header=BB307_10 Depth=1
	s_mov_b32 s28, 0x7fc02000
	s_xor_b64 s[4:5], exec, -1
; %bb.314:                              ;   in Loop: Header=BB307_10 Depth=1
	s_or_b64 exec, exec, s[26:27]
	s_and_b64 s[4:5], s[4:5], exec
	s_or_saveexec_b64 s[24:25], s[24:25]
	v_mov_b32_e32 v23, s28
	s_xor_b64 exec, exec, s[24:25]
	s_cbranch_execz .LBB307_76
.LBB307_315:                            ;   in Loop: Header=BB307_10 Depth=1
	v_cmp_ne_u16_sdwa s[26:27], v8, v9 src0_sel:BYTE_0 src1_sel:DWORD
	s_andn2_b64 s[4:5], s[4:5], exec
	s_and_b64 s[26:27], s[26:27], exec
	v_mov_b32_e32 v23, 0
	s_or_b64 s[4:5], s[4:5], s[26:27]
	s_or_b64 exec, exec, s[24:25]
	s_and_saveexec_b64 s[24:25], s[4:5]
	s_cbranch_execnz .LBB307_77
	s_branch .LBB307_78
.LBB307_316:                            ;   in Loop: Header=BB307_10 Depth=1
	v_cmp_eq_u16_e64 s[4:5], s31, v8
	s_mov_b64 s[24:25], -1
                                        ; implicit-def: $sgpr35
	s_and_saveexec_b64 s[28:29], s[4:5]
; %bb.317:                              ;   in Loop: Header=BB307_10 Depth=1
	s_mov_b32 s35, 0x7fc02000
	s_xor_b64 s[24:25], exec, -1
; %bb.318:                              ;   in Loop: Header=BB307_10 Depth=1
	s_or_b64 exec, exec, s[28:29]
	s_and_b64 s[24:25], s[24:25], exec
	s_or_saveexec_b64 s[26:27], s[26:27]
	v_mov_b32_e32 v55, s35
	s_xor_b64 exec, exec, s[26:27]
	s_cbranch_execz .LBB307_80
.LBB307_319:                            ;   in Loop: Header=BB307_10 Depth=1
	v_cmp_ne_u16_e64 s[4:5], 0, v8
	s_andn2_b64 s[24:25], s[24:25], exec
	s_and_b64 s[4:5], s[4:5], exec
	v_mov_b32_e32 v55, 0
	s_or_b64 s[24:25], s[24:25], s[4:5]
	s_or_b64 exec, exec, s[26:27]
	s_and_saveexec_b64 s[26:27], s[24:25]
	s_cbranch_execnz .LBB307_81
	s_branch .LBB307_82
.LBB307_320:                            ;   in Loop: Header=BB307_10 Depth=1
	v_cmp_eq_u16_sdwa s[36:37], v12, s31 src0_sel:BYTE_0 src1_sel:DWORD
	s_mov_b64 s[4:5], -1
                                        ; implicit-def: $sgpr28
	s_and_saveexec_b64 s[26:27], s[36:37]
; %bb.321:                              ;   in Loop: Header=BB307_10 Depth=1
	s_mov_b32 s28, 0x7fc02000
	s_xor_b64 s[4:5], exec, -1
; %bb.322:                              ;   in Loop: Header=BB307_10 Depth=1
	s_or_b64 exec, exec, s[26:27]
	s_and_b64 s[4:5], s[4:5], exec
	s_or_saveexec_b64 s[24:25], s[24:25]
	v_mov_b32_e32 v0, s28
	s_xor_b64 exec, exec, s[24:25]
	s_cbranch_execz .LBB307_84
.LBB307_323:                            ;   in Loop: Header=BB307_10 Depth=1
	v_cmp_ne_u16_sdwa s[26:27], v12, v9 src0_sel:BYTE_0 src1_sel:DWORD
	s_andn2_b64 s[4:5], s[4:5], exec
	s_and_b64 s[26:27], s[26:27], exec
	v_mov_b32_e32 v0, 0
	s_or_b64 s[4:5], s[4:5], s[26:27]
	s_or_b64 exec, exec, s[24:25]
	s_and_saveexec_b64 s[24:25], s[4:5]
	s_cbranch_execnz .LBB307_85
	s_branch .LBB307_86
.LBB307_324:                            ;   in Loop: Header=BB307_10 Depth=1
	v_cmp_eq_u16_e64 s[4:5], s31, v8
	s_mov_b64 s[24:25], -1
                                        ; implicit-def: $sgpr35
	s_and_saveexec_b64 s[28:29], s[4:5]
; %bb.325:                              ;   in Loop: Header=BB307_10 Depth=1
	s_mov_b32 s35, 0x7fc02000
	s_xor_b64 s[24:25], exec, -1
; %bb.326:                              ;   in Loop: Header=BB307_10 Depth=1
	s_or_b64 exec, exec, s[28:29]
	s_and_b64 s[24:25], s[24:25], exec
	s_or_saveexec_b64 s[26:27], s[26:27]
	v_mov_b32_e32 v35, s35
	s_xor_b64 exec, exec, s[26:27]
	s_cbranch_execz .LBB307_88
.LBB307_327:                            ;   in Loop: Header=BB307_10 Depth=1
	v_cmp_ne_u16_e64 s[4:5], 0, v8
	s_andn2_b64 s[24:25], s[24:25], exec
	s_and_b64 s[4:5], s[4:5], exec
	v_mov_b32_e32 v35, 0
	s_or_b64 s[24:25], s[24:25], s[4:5]
	s_or_b64 exec, exec, s[26:27]
	s_and_saveexec_b64 s[26:27], s[24:25]
	s_cbranch_execnz .LBB307_89
	s_branch .LBB307_90
.LBB307_328:                            ;   in Loop: Header=BB307_10 Depth=1
	v_cmp_eq_u16_sdwa s[36:37], v8, s31 src0_sel:BYTE_0 src1_sel:DWORD
	s_mov_b64 s[4:5], -1
                                        ; implicit-def: $sgpr28
	s_and_saveexec_b64 s[26:27], s[36:37]
; %bb.329:                              ;   in Loop: Header=BB307_10 Depth=1
	s_mov_b32 s28, 0x7fc02000
	s_xor_b64 s[4:5], exec, -1
; %bb.330:                              ;   in Loop: Header=BB307_10 Depth=1
	s_or_b64 exec, exec, s[26:27]
	s_and_b64 s[4:5], s[4:5], exec
	s_or_saveexec_b64 s[24:25], s[24:25]
	v_mov_b32_e32 v53, s28
	s_xor_b64 exec, exec, s[24:25]
	s_cbranch_execz .LBB307_92
.LBB307_331:                            ;   in Loop: Header=BB307_10 Depth=1
	v_cmp_ne_u16_sdwa s[26:27], v8, v9 src0_sel:BYTE_0 src1_sel:DWORD
	s_andn2_b64 s[4:5], s[4:5], exec
	s_and_b64 s[26:27], s[26:27], exec
	v_mov_b32_e32 v53, 0
	s_or_b64 s[4:5], s[4:5], s[26:27]
	s_or_b64 exec, exec, s[24:25]
	s_and_saveexec_b64 s[24:25], s[4:5]
	s_cbranch_execnz .LBB307_93
	s_branch .LBB307_94
.LBB307_332:                            ;   in Loop: Header=BB307_10 Depth=1
	v_cmp_eq_u16_e64 s[4:5], s31, v8
	s_mov_b64 s[24:25], -1
                                        ; implicit-def: $sgpr35
	s_and_saveexec_b64 s[28:29], s[4:5]
; %bb.333:                              ;   in Loop: Header=BB307_10 Depth=1
	s_mov_b32 s35, 0x7fc02000
	s_xor_b64 s[24:25], exec, -1
; %bb.334:                              ;   in Loop: Header=BB307_10 Depth=1
	s_or_b64 exec, exec, s[28:29]
	s_and_b64 s[24:25], s[24:25], exec
	s_or_saveexec_b64 s[26:27], s[26:27]
	v_mov_b32_e32 v40, s35
	s_xor_b64 exec, exec, s[26:27]
	s_cbranch_execz .LBB307_96
.LBB307_335:                            ;   in Loop: Header=BB307_10 Depth=1
	v_cmp_ne_u16_e64 s[4:5], 0, v8
	s_andn2_b64 s[24:25], s[24:25], exec
	s_and_b64 s[4:5], s[4:5], exec
	v_mov_b32_e32 v40, 0
	s_or_b64 s[24:25], s[24:25], s[4:5]
	s_or_b64 exec, exec, s[26:27]
	s_and_saveexec_b64 s[26:27], s[24:25]
	s_cbranch_execnz .LBB307_97
	s_branch .LBB307_98
.LBB307_336:                            ;   in Loop: Header=BB307_10 Depth=1
	v_cmp_eq_u16_sdwa s[36:37], v12, s31 src0_sel:BYTE_0 src1_sel:DWORD
	s_mov_b64 s[4:5], -1
                                        ; implicit-def: $sgpr28
	s_and_saveexec_b64 s[26:27], s[36:37]
; %bb.337:                              ;   in Loop: Header=BB307_10 Depth=1
	s_mov_b32 s28, 0x7fc02000
	s_xor_b64 s[4:5], exec, -1
; %bb.338:                              ;   in Loop: Header=BB307_10 Depth=1
	s_or_b64 exec, exec, s[26:27]
	s_and_b64 s[4:5], s[4:5], exec
	s_or_saveexec_b64 s[24:25], s[24:25]
	v_mov_b32_e32 v0, s28
	s_xor_b64 exec, exec, s[24:25]
	s_cbranch_execz .LBB307_100
.LBB307_339:                            ;   in Loop: Header=BB307_10 Depth=1
	v_cmp_ne_u16_sdwa s[26:27], v12, v9 src0_sel:BYTE_0 src1_sel:DWORD
	s_andn2_b64 s[4:5], s[4:5], exec
	s_and_b64 s[26:27], s[26:27], exec
	v_mov_b32_e32 v0, 0
	s_or_b64 s[4:5], s[4:5], s[26:27]
	s_or_b64 exec, exec, s[24:25]
	s_and_saveexec_b64 s[24:25], s[4:5]
	s_cbranch_execnz .LBB307_101
	s_branch .LBB307_102
.LBB307_340:                            ;   in Loop: Header=BB307_10 Depth=1
	v_cmp_eq_u16_e64 s[4:5], s31, v8
	s_mov_b64 s[24:25], -1
                                        ; implicit-def: $sgpr35
	s_and_saveexec_b64 s[28:29], s[4:5]
; %bb.341:                              ;   in Loop: Header=BB307_10 Depth=1
	s_mov_b32 s35, 0x7fc02000
	s_xor_b64 s[24:25], exec, -1
; %bb.342:                              ;   in Loop: Header=BB307_10 Depth=1
	s_or_b64 exec, exec, s[28:29]
	s_and_b64 s[24:25], s[24:25], exec
	s_or_saveexec_b64 s[26:27], s[26:27]
	v_mov_b32_e32 v4, s35
	s_xor_b64 exec, exec, s[26:27]
	s_cbranch_execz .LBB307_104
.LBB307_343:                            ;   in Loop: Header=BB307_10 Depth=1
	v_cmp_ne_u16_e64 s[4:5], 0, v8
	s_andn2_b64 s[24:25], s[24:25], exec
	s_and_b64 s[4:5], s[4:5], exec
	v_mov_b32_e32 v4, 0
	s_or_b64 s[24:25], s[24:25], s[4:5]
	s_or_b64 exec, exec, s[26:27]
	s_and_saveexec_b64 s[26:27], s[24:25]
	s_cbranch_execnz .LBB307_105
	s_branch .LBB307_106
.LBB307_344:                            ;   in Loop: Header=BB307_10 Depth=1
	v_cmp_eq_u16_sdwa s[36:37], v8, s31 src0_sel:BYTE_0 src1_sel:DWORD
	s_mov_b64 s[4:5], -1
                                        ; implicit-def: $sgpr28
	s_and_saveexec_b64 s[26:27], s[36:37]
; %bb.345:                              ;   in Loop: Header=BB307_10 Depth=1
	s_mov_b32 s28, 0x7fc02000
	s_xor_b64 s[4:5], exec, -1
; %bb.346:                              ;   in Loop: Header=BB307_10 Depth=1
	s_or_b64 exec, exec, s[26:27]
	s_and_b64 s[4:5], s[4:5], exec
	s_or_saveexec_b64 s[24:25], s[24:25]
	v_mov_b32_e32 v18, s28
	s_xor_b64 exec, exec, s[24:25]
	s_cbranch_execz .LBB307_108
.LBB307_347:                            ;   in Loop: Header=BB307_10 Depth=1
	v_cmp_ne_u16_sdwa s[26:27], v8, v9 src0_sel:BYTE_0 src1_sel:DWORD
	s_andn2_b64 s[4:5], s[4:5], exec
	s_and_b64 s[26:27], s[26:27], exec
	v_mov_b32_e32 v18, 0
	s_or_b64 s[4:5], s[4:5], s[26:27]
	s_or_b64 exec, exec, s[24:25]
	s_and_saveexec_b64 s[24:25], s[4:5]
	s_cbranch_execnz .LBB307_109
	s_branch .LBB307_110
.LBB307_348:                            ;   in Loop: Header=BB307_10 Depth=1
	v_cmp_eq_u16_e64 s[4:5], s31, v8
	s_mov_b64 s[24:25], -1
                                        ; implicit-def: $sgpr35
	s_and_saveexec_b64 s[28:29], s[4:5]
; %bb.349:                              ;   in Loop: Header=BB307_10 Depth=1
	s_mov_b32 s35, 0x7fc02000
	s_xor_b64 s[24:25], exec, -1
; %bb.350:                              ;   in Loop: Header=BB307_10 Depth=1
	s_or_b64 exec, exec, s[28:29]
	s_and_b64 s[24:25], s[24:25], exec
	s_or_saveexec_b64 s[26:27], s[26:27]
	v_mov_b32_e32 v19, s35
	s_xor_b64 exec, exec, s[26:27]
	s_cbranch_execz .LBB307_112
.LBB307_351:                            ;   in Loop: Header=BB307_10 Depth=1
	v_cmp_ne_u16_e64 s[4:5], 0, v8
	s_andn2_b64 s[24:25], s[24:25], exec
	s_and_b64 s[4:5], s[4:5], exec
	v_mov_b32_e32 v19, 0
	s_or_b64 s[24:25], s[24:25], s[4:5]
	s_or_b64 exec, exec, s[26:27]
	s_and_saveexec_b64 s[26:27], s[24:25]
	s_cbranch_execnz .LBB307_113
	s_branch .LBB307_114
.LBB307_352:                            ;   in Loop: Header=BB307_10 Depth=1
	v_cmp_eq_u16_sdwa s[36:37], v12, s31 src0_sel:BYTE_0 src1_sel:DWORD
	s_mov_b64 s[4:5], -1
                                        ; implicit-def: $sgpr28
	s_and_saveexec_b64 s[26:27], s[36:37]
; %bb.353:                              ;   in Loop: Header=BB307_10 Depth=1
	s_mov_b32 s28, 0x7fc02000
	s_xor_b64 s[4:5], exec, -1
; %bb.354:                              ;   in Loop: Header=BB307_10 Depth=1
	s_or_b64 exec, exec, s[26:27]
	s_and_b64 s[4:5], s[4:5], exec
	s_or_saveexec_b64 s[24:25], s[24:25]
	v_mov_b32_e32 v52, s28
	s_xor_b64 exec, exec, s[24:25]
	s_cbranch_execz .LBB307_116
.LBB307_355:                            ;   in Loop: Header=BB307_10 Depth=1
	v_cmp_ne_u16_sdwa s[26:27], v12, v9 src0_sel:BYTE_0 src1_sel:DWORD
	s_andn2_b64 s[4:5], s[4:5], exec
	s_and_b64 s[26:27], s[26:27], exec
	v_mov_b32_e32 v52, 0
	s_or_b64 s[4:5], s[4:5], s[26:27]
	s_or_b64 exec, exec, s[24:25]
	s_and_saveexec_b64 s[24:25], s[4:5]
	s_cbranch_execnz .LBB307_117
	s_branch .LBB307_118
.LBB307_356:                            ;   in Loop: Header=BB307_10 Depth=1
	v_cmp_eq_u16_e64 s[4:5], s31, v8
	s_mov_b64 s[24:25], -1
                                        ; implicit-def: $sgpr35
	s_and_saveexec_b64 s[28:29], s[4:5]
; %bb.357:                              ;   in Loop: Header=BB307_10 Depth=1
	s_mov_b32 s35, 0x7fc02000
	s_xor_b64 s[24:25], exec, -1
; %bb.358:                              ;   in Loop: Header=BB307_10 Depth=1
	s_or_b64 exec, exec, s[28:29]
	s_and_b64 s[24:25], s[24:25], exec
	s_or_saveexec_b64 s[26:27], s[26:27]
	v_mov_b32_e32 v49, s35
	s_xor_b64 exec, exec, s[26:27]
	s_cbranch_execz .LBB307_120
.LBB307_359:                            ;   in Loop: Header=BB307_10 Depth=1
	v_cmp_ne_u16_e64 s[4:5], 0, v8
	s_andn2_b64 s[24:25], s[24:25], exec
	s_and_b64 s[4:5], s[4:5], exec
	v_mov_b32_e32 v49, 0
	s_or_b64 s[24:25], s[24:25], s[4:5]
	s_or_b64 exec, exec, s[26:27]
	s_and_saveexec_b64 s[26:27], s[24:25]
	s_cbranch_execnz .LBB307_121
	s_branch .LBB307_122
.LBB307_360:                            ;   in Loop: Header=BB307_10 Depth=1
	v_cmp_eq_u16_sdwa s[36:37], v8, s31 src0_sel:BYTE_0 src1_sel:DWORD
	s_mov_b64 s[4:5], -1
                                        ; implicit-def: $sgpr28
	s_and_saveexec_b64 s[26:27], s[36:37]
; %bb.361:                              ;   in Loop: Header=BB307_10 Depth=1
	s_mov_b32 s28, 0x7fc02000
	s_xor_b64 s[4:5], exec, -1
; %bb.362:                              ;   in Loop: Header=BB307_10 Depth=1
	s_or_b64 exec, exec, s[26:27]
	s_and_b64 s[4:5], s[4:5], exec
	s_or_saveexec_b64 s[24:25], s[24:25]
	v_mov_b32_e32 v50, s28
	s_xor_b64 exec, exec, s[24:25]
	s_cbranch_execz .LBB307_124
.LBB307_363:                            ;   in Loop: Header=BB307_10 Depth=1
	v_cmp_ne_u16_sdwa s[26:27], v8, v9 src0_sel:BYTE_0 src1_sel:DWORD
	s_andn2_b64 s[4:5], s[4:5], exec
	s_and_b64 s[26:27], s[26:27], exec
	v_mov_b32_e32 v50, 0
	s_or_b64 s[4:5], s[4:5], s[26:27]
	s_or_b64 exec, exec, s[24:25]
	s_and_saveexec_b64 s[24:25], s[4:5]
	s_cbranch_execnz .LBB307_125
	s_branch .LBB307_126
.LBB307_364:                            ;   in Loop: Header=BB307_10 Depth=1
	v_cmp_eq_u16_e64 s[4:5], s31, v8
	s_mov_b64 s[24:25], -1
                                        ; implicit-def: $sgpr35
	s_and_saveexec_b64 s[28:29], s[4:5]
; %bb.365:                              ;   in Loop: Header=BB307_10 Depth=1
	s_mov_b32 s35, 0x7fc02000
	s_xor_b64 s[24:25], exec, -1
; %bb.366:                              ;   in Loop: Header=BB307_10 Depth=1
	s_or_b64 exec, exec, s[28:29]
	s_and_b64 s[24:25], s[24:25], exec
	s_or_saveexec_b64 s[26:27], s[26:27]
	v_mov_b32_e32 v11, s35
	s_xor_b64 exec, exec, s[26:27]
	s_cbranch_execz .LBB307_128
.LBB307_367:                            ;   in Loop: Header=BB307_10 Depth=1
	v_cmp_ne_u16_e64 s[4:5], 0, v8
	s_andn2_b64 s[24:25], s[24:25], exec
	s_and_b64 s[4:5], s[4:5], exec
	v_mov_b32_e32 v11, 0
	s_or_b64 s[24:25], s[24:25], s[4:5]
	s_or_b64 exec, exec, s[26:27]
	s_and_saveexec_b64 s[26:27], s[24:25]
	s_cbranch_execnz .LBB307_129
	s_branch .LBB307_130
.LBB307_368:                            ;   in Loop: Header=BB307_10 Depth=1
	v_cmp_eq_u16_sdwa s[36:37], v12, s31 src0_sel:BYTE_0 src1_sel:DWORD
	s_mov_b64 s[4:5], -1
                                        ; implicit-def: $sgpr28
	s_and_saveexec_b64 s[26:27], s[36:37]
; %bb.369:                              ;   in Loop: Header=BB307_10 Depth=1
	s_mov_b32 s28, 0x7fc02000
	s_xor_b64 s[4:5], exec, -1
; %bb.370:                              ;   in Loop: Header=BB307_10 Depth=1
	s_or_b64 exec, exec, s[26:27]
	s_and_b64 s[4:5], s[4:5], exec
	s_or_saveexec_b64 s[24:25], s[24:25]
	v_mov_b32_e32 v10, s28
	s_xor_b64 exec, exec, s[24:25]
	s_cbranch_execz .LBB307_132
.LBB307_371:                            ;   in Loop: Header=BB307_10 Depth=1
	v_cmp_ne_u16_sdwa s[26:27], v12, v9 src0_sel:BYTE_0 src1_sel:DWORD
	s_andn2_b64 s[4:5], s[4:5], exec
	s_and_b64 s[26:27], s[26:27], exec
	v_mov_b32_e32 v10, 0
	s_or_b64 s[4:5], s[4:5], s[26:27]
	s_or_b64 exec, exec, s[24:25]
	s_and_saveexec_b64 s[24:25], s[4:5]
	s_cbranch_execnz .LBB307_133
	s_branch .LBB307_134
.LBB307_372:                            ;   in Loop: Header=BB307_10 Depth=1
	v_cmp_eq_u16_e64 s[4:5], s31, v8
	s_mov_b64 s[24:25], -1
                                        ; implicit-def: $sgpr35
	s_and_saveexec_b64 s[28:29], s[4:5]
; %bb.373:                              ;   in Loop: Header=BB307_10 Depth=1
	s_mov_b32 s35, 0x7fc02000
	s_xor_b64 s[24:25], exec, -1
; %bb.374:                              ;   in Loop: Header=BB307_10 Depth=1
	s_or_b64 exec, exec, s[28:29]
	s_and_b64 s[24:25], s[24:25], exec
	s_or_saveexec_b64 s[26:27], s[26:27]
	v_mov_b32_e32 v1, s35
	s_xor_b64 exec, exec, s[26:27]
	s_cbranch_execz .LBB307_136
.LBB307_375:                            ;   in Loop: Header=BB307_10 Depth=1
	v_cmp_ne_u16_e64 s[4:5], 0, v8
	s_andn2_b64 s[24:25], s[24:25], exec
	s_and_b64 s[4:5], s[4:5], exec
	v_mov_b32_e32 v1, 0
	s_or_b64 s[24:25], s[24:25], s[4:5]
	s_or_b64 exec, exec, s[26:27]
	s_and_saveexec_b64 s[26:27], s[24:25]
	s_cbranch_execnz .LBB307_137
	s_branch .LBB307_138
.LBB307_376:                            ;   in Loop: Header=BB307_10 Depth=1
	v_cmp_eq_u16_sdwa s[36:37], v8, s31 src0_sel:BYTE_0 src1_sel:DWORD
	s_mov_b64 s[4:5], -1
                                        ; implicit-def: $sgpr28
	s_and_saveexec_b64 s[26:27], s[36:37]
; %bb.377:                              ;   in Loop: Header=BB307_10 Depth=1
	s_mov_b32 s28, 0x7fc02000
	s_xor_b64 s[4:5], exec, -1
; %bb.378:                              ;   in Loop: Header=BB307_10 Depth=1
	s_or_b64 exec, exec, s[26:27]
	s_and_b64 s[4:5], s[4:5], exec
	s_or_saveexec_b64 s[24:25], s[24:25]
	v_mov_b32_e32 v16, s28
	s_xor_b64 exec, exec, s[24:25]
	s_cbranch_execz .LBB307_140
.LBB307_379:                            ;   in Loop: Header=BB307_10 Depth=1
	v_cmp_ne_u16_sdwa s[26:27], v8, v9 src0_sel:BYTE_0 src1_sel:DWORD
	s_andn2_b64 s[4:5], s[4:5], exec
	s_and_b64 s[26:27], s[26:27], exec
	v_mov_b32_e32 v16, 0
	s_or_b64 s[4:5], s[4:5], s[26:27]
	s_or_b64 exec, exec, s[24:25]
	s_and_saveexec_b64 s[24:25], s[4:5]
	s_cbranch_execnz .LBB307_141
	s_branch .LBB307_142
.LBB307_380:                            ;   in Loop: Header=BB307_10 Depth=1
	v_cmp_eq_u16_e64 s[4:5], s31, v8
	s_mov_b64 s[24:25], -1
                                        ; implicit-def: $sgpr35
	s_and_saveexec_b64 s[28:29], s[4:5]
; %bb.381:                              ;   in Loop: Header=BB307_10 Depth=1
	s_mov_b32 s35, 0x7fc02000
	s_xor_b64 s[24:25], exec, -1
; %bb.382:                              ;   in Loop: Header=BB307_10 Depth=1
	s_or_b64 exec, exec, s[28:29]
	s_and_b64 s[24:25], s[24:25], exec
	s_or_saveexec_b64 s[26:27], s[26:27]
	v_mov_b32_e32 v3, s35
	s_xor_b64 exec, exec, s[26:27]
	s_cbranch_execz .LBB307_144
.LBB307_383:                            ;   in Loop: Header=BB307_10 Depth=1
	v_cmp_ne_u16_e64 s[4:5], 0, v8
	s_andn2_b64 s[24:25], s[24:25], exec
	s_and_b64 s[4:5], s[4:5], exec
	v_mov_b32_e32 v3, 0
	s_or_b64 s[24:25], s[24:25], s[4:5]
	s_or_b64 exec, exec, s[26:27]
	s_and_saveexec_b64 s[26:27], s[24:25]
	s_cbranch_execnz .LBB307_145
	s_branch .LBB307_146
.LBB307_384:                            ;   in Loop: Header=BB307_10 Depth=1
	v_cmp_eq_u16_sdwa s[36:37], v12, s31 src0_sel:BYTE_0 src1_sel:DWORD
	s_mov_b64 s[4:5], -1
                                        ; implicit-def: $sgpr28
	s_and_saveexec_b64 s[26:27], s[36:37]
; %bb.385:                              ;   in Loop: Header=BB307_10 Depth=1
	s_mov_b32 s28, 0x7fc02000
	s_xor_b64 s[4:5], exec, -1
; %bb.386:                              ;   in Loop: Header=BB307_10 Depth=1
	s_or_b64 exec, exec, s[26:27]
	s_and_b64 s[4:5], s[4:5], exec
	s_or_saveexec_b64 s[24:25], s[24:25]
	v_mov_b32_e32 v2, s28
	s_xor_b64 exec, exec, s[24:25]
	s_cbranch_execz .LBB307_148
.LBB307_387:                            ;   in Loop: Header=BB307_10 Depth=1
	v_cmp_ne_u16_sdwa s[26:27], v12, v9 src0_sel:BYTE_0 src1_sel:DWORD
	s_andn2_b64 s[4:5], s[4:5], exec
	s_and_b64 s[26:27], s[26:27], exec
	v_mov_b32_e32 v2, 0
	s_or_b64 s[4:5], s[4:5], s[26:27]
	s_or_b64 exec, exec, s[24:25]
	s_and_saveexec_b64 s[24:25], s[4:5]
	s_cbranch_execnz .LBB307_149
	s_branch .LBB307_150
.LBB307_388:                            ;   in Loop: Header=BB307_10 Depth=1
	v_cmp_eq_u16_e64 s[4:5], s31, v8
	s_mov_b64 s[24:25], -1
                                        ; implicit-def: $sgpr35
	s_and_saveexec_b64 s[28:29], s[4:5]
; %bb.389:                              ;   in Loop: Header=BB307_10 Depth=1
	s_mov_b32 s35, 0x7fc02000
	s_xor_b64 s[24:25], exec, -1
; %bb.390:                              ;   in Loop: Header=BB307_10 Depth=1
	s_or_b64 exec, exec, s[28:29]
	s_and_b64 s[24:25], s[24:25], exec
	s_or_saveexec_b64 s[26:27], s[26:27]
	v_mov_b32_e32 v15, s35
	s_xor_b64 exec, exec, s[26:27]
	s_cbranch_execz .LBB307_152
.LBB307_391:                            ;   in Loop: Header=BB307_10 Depth=1
	v_cmp_ne_u16_e64 s[4:5], 0, v8
	s_andn2_b64 s[24:25], s[24:25], exec
	s_and_b64 s[4:5], s[4:5], exec
	v_mov_b32_e32 v15, 0
	s_or_b64 s[24:25], s[24:25], s[4:5]
	s_or_b64 exec, exec, s[26:27]
	s_and_saveexec_b64 s[26:27], s[24:25]
	s_cbranch_execnz .LBB307_153
	s_branch .LBB307_154
.LBB307_392:                            ;   in Loop: Header=BB307_10 Depth=1
	v_cmp_eq_u16_sdwa s[36:37], v8, s31 src0_sel:BYTE_0 src1_sel:DWORD
	s_mov_b64 s[4:5], -1
                                        ; implicit-def: $sgpr28
	s_and_saveexec_b64 s[26:27], s[36:37]
; %bb.393:                              ;   in Loop: Header=BB307_10 Depth=1
	s_mov_b32 s28, 0x7fc02000
	s_xor_b64 s[4:5], exec, -1
; %bb.394:                              ;   in Loop: Header=BB307_10 Depth=1
	s_or_b64 exec, exec, s[26:27]
	s_and_b64 s[4:5], s[4:5], exec
	s_or_saveexec_b64 s[24:25], s[24:25]
	v_mov_b32_e32 v14, s28
	s_xor_b64 exec, exec, s[24:25]
	s_cbranch_execz .LBB307_156
.LBB307_395:                            ;   in Loop: Header=BB307_10 Depth=1
	v_cmp_ne_u16_sdwa s[26:27], v8, v9 src0_sel:BYTE_0 src1_sel:DWORD
	s_andn2_b64 s[4:5], s[4:5], exec
	s_and_b64 s[26:27], s[26:27], exec
	v_mov_b32_e32 v14, 0
	s_or_b64 s[4:5], s[4:5], s[26:27]
	s_or_b64 exec, exec, s[24:25]
	s_and_saveexec_b64 s[24:25], s[4:5]
	s_cbranch_execnz .LBB307_157
	s_branch .LBB307_158
.LBB307_396:                            ;   in Loop: Header=BB307_10 Depth=1
	v_cmp_eq_u16_e64 s[4:5], s31, v8
	s_mov_b64 s[24:25], -1
                                        ; implicit-def: $sgpr35
	s_and_saveexec_b64 s[28:29], s[4:5]
; %bb.397:                              ;   in Loop: Header=BB307_10 Depth=1
	s_mov_b32 s35, 0x7fc02000
	s_xor_b64 s[24:25], exec, -1
; %bb.398:                              ;   in Loop: Header=BB307_10 Depth=1
	s_or_b64 exec, exec, s[28:29]
	s_and_b64 s[24:25], s[24:25], exec
	s_or_saveexec_b64 s[26:27], s[26:27]
	v_mov_b32_e32 v13, s35
	s_xor_b64 exec, exec, s[26:27]
	s_cbranch_execz .LBB307_160
.LBB307_399:                            ;   in Loop: Header=BB307_10 Depth=1
	v_cmp_ne_u16_e64 s[4:5], 0, v8
	s_andn2_b64 s[24:25], s[24:25], exec
	s_and_b64 s[4:5], s[4:5], exec
	v_mov_b32_e32 v13, 0
	s_or_b64 s[24:25], s[24:25], s[4:5]
	s_or_b64 exec, exec, s[26:27]
	s_and_saveexec_b64 s[26:27], s[24:25]
	s_cbranch_execnz .LBB307_161
	s_branch .LBB307_162
.LBB307_400:                            ;   in Loop: Header=BB307_10 Depth=1
	v_cmp_eq_u16_sdwa s[36:37], v12, s31 src0_sel:BYTE_0 src1_sel:DWORD
	s_mov_b64 s[4:5], -1
                                        ; implicit-def: $sgpr28
	s_and_saveexec_b64 s[26:27], s[36:37]
; %bb.401:                              ;   in Loop: Header=BB307_10 Depth=1
	s_mov_b32 s28, 0x7fc02000
	s_xor_b64 s[4:5], exec, -1
; %bb.402:                              ;   in Loop: Header=BB307_10 Depth=1
	s_or_b64 exec, exec, s[26:27]
	s_and_b64 s[4:5], s[4:5], exec
	s_or_saveexec_b64 s[24:25], s[24:25]
	v_mov_b32_e32 v30, s28
	s_xor_b64 exec, exec, s[24:25]
	s_cbranch_execz .LBB307_164
.LBB307_403:                            ;   in Loop: Header=BB307_10 Depth=1
	v_cmp_ne_u16_sdwa s[26:27], v12, v9 src0_sel:BYTE_0 src1_sel:DWORD
	s_andn2_b64 s[4:5], s[4:5], exec
	s_and_b64 s[26:27], s[26:27], exec
	v_mov_b32_e32 v30, 0
	s_or_b64 s[4:5], s[4:5], s[26:27]
	s_or_b64 exec, exec, s[24:25]
	s_and_saveexec_b64 s[24:25], s[4:5]
	s_cbranch_execnz .LBB307_165
	s_branch .LBB307_166
.LBB307_404:                            ;   in Loop: Header=BB307_10 Depth=1
	v_cmp_eq_u16_e64 s[4:5], s31, v8
	s_mov_b64 s[24:25], -1
                                        ; implicit-def: $sgpr35
	s_and_saveexec_b64 s[28:29], s[4:5]
; %bb.405:                              ;   in Loop: Header=BB307_10 Depth=1
	s_mov_b32 s35, 0x7fc02000
	s_xor_b64 s[24:25], exec, -1
; %bb.406:                              ;   in Loop: Header=BB307_10 Depth=1
	s_or_b64 exec, exec, s[28:29]
	s_and_b64 s[24:25], s[24:25], exec
	s_or_saveexec_b64 s[26:27], s[26:27]
	v_mov_b32_e32 v31, s35
	s_xor_b64 exec, exec, s[26:27]
	s_cbranch_execz .LBB307_168
.LBB307_407:                            ;   in Loop: Header=BB307_10 Depth=1
	v_cmp_ne_u16_e64 s[4:5], 0, v8
	s_andn2_b64 s[24:25], s[24:25], exec
	s_and_b64 s[4:5], s[4:5], exec
	v_mov_b32_e32 v31, 0
	s_or_b64 s[24:25], s[24:25], s[4:5]
	s_or_b64 exec, exec, s[26:27]
	s_and_saveexec_b64 s[26:27], s[24:25]
	s_cbranch_execnz .LBB307_169
	s_branch .LBB307_170
.LBB307_408:                            ;   in Loop: Header=BB307_10 Depth=1
	v_cmp_eq_u16_sdwa s[36:37], v8, s31 src0_sel:BYTE_0 src1_sel:DWORD
	s_mov_b64 s[4:5], -1
                                        ; implicit-def: $sgpr28
	s_and_saveexec_b64 s[26:27], s[36:37]
; %bb.409:                              ;   in Loop: Header=BB307_10 Depth=1
	s_mov_b32 s28, 0x7fc02000
	s_xor_b64 s[4:5], exec, -1
; %bb.410:                              ;   in Loop: Header=BB307_10 Depth=1
	s_or_b64 exec, exec, s[26:27]
	s_and_b64 s[4:5], s[4:5], exec
	s_or_saveexec_b64 s[24:25], s[24:25]
	v_mov_b32_e32 v32, s28
	s_xor_b64 exec, exec, s[24:25]
	s_cbranch_execz .LBB307_172
.LBB307_411:                            ;   in Loop: Header=BB307_10 Depth=1
	v_cmp_ne_u16_sdwa s[26:27], v8, v9 src0_sel:BYTE_0 src1_sel:DWORD
	s_andn2_b64 s[4:5], s[4:5], exec
	s_and_b64 s[26:27], s[26:27], exec
	v_mov_b32_e32 v32, 0
	s_or_b64 s[4:5], s[4:5], s[26:27]
	s_or_b64 exec, exec, s[24:25]
	s_and_saveexec_b64 s[24:25], s[4:5]
	s_cbranch_execnz .LBB307_173
	s_branch .LBB307_174
.LBB307_412:                            ;   in Loop: Header=BB307_10 Depth=1
	v_cmp_eq_u16_e64 s[4:5], s31, v8
	s_mov_b64 s[24:25], -1
                                        ; implicit-def: $sgpr35
	s_and_saveexec_b64 s[28:29], s[4:5]
; %bb.413:                              ;   in Loop: Header=BB307_10 Depth=1
	s_mov_b32 s35, 0x7fc02000
	s_xor_b64 s[24:25], exec, -1
; %bb.414:                              ;   in Loop: Header=BB307_10 Depth=1
	s_or_b64 exec, exec, s[28:29]
	s_and_b64 s[24:25], s[24:25], exec
	s_or_saveexec_b64 s[26:27], s[26:27]
	v_mov_b32_e32 v33, s35
	s_xor_b64 exec, exec, s[26:27]
	s_cbranch_execz .LBB307_176
.LBB307_415:                            ;   in Loop: Header=BB307_10 Depth=1
	v_cmp_ne_u16_e64 s[4:5], 0, v8
	s_andn2_b64 s[24:25], s[24:25], exec
	s_and_b64 s[4:5], s[4:5], exec
	v_mov_b32_e32 v33, 0
	s_or_b64 s[24:25], s[24:25], s[4:5]
	s_or_b64 exec, exec, s[26:27]
	s_and_saveexec_b64 s[26:27], s[24:25]
	s_cbranch_execnz .LBB307_177
	s_branch .LBB307_178
.LBB307_416:                            ;   in Loop: Header=BB307_10 Depth=1
	v_cmp_eq_u16_sdwa s[36:37], v12, s31 src0_sel:BYTE_0 src1_sel:DWORD
	s_mov_b64 s[4:5], -1
                                        ; implicit-def: $sgpr28
	s_and_saveexec_b64 s[26:27], s[36:37]
; %bb.417:                              ;   in Loop: Header=BB307_10 Depth=1
	s_mov_b32 s28, 0x7fc02000
	s_xor_b64 s[4:5], exec, -1
; %bb.418:                              ;   in Loop: Header=BB307_10 Depth=1
	s_or_b64 exec, exec, s[26:27]
	s_and_b64 s[4:5], s[4:5], exec
	s_or_saveexec_b64 s[24:25], s[24:25]
	v_mov_b32_e32 v51, s28
	s_xor_b64 exec, exec, s[24:25]
	s_cbranch_execz .LBB307_180
.LBB307_419:                            ;   in Loop: Header=BB307_10 Depth=1
	v_cmp_ne_u16_sdwa s[26:27], v12, v9 src0_sel:BYTE_0 src1_sel:DWORD
	s_andn2_b64 s[4:5], s[4:5], exec
	s_and_b64 s[26:27], s[26:27], exec
	v_mov_b32_e32 v51, 0
	s_or_b64 s[4:5], s[4:5], s[26:27]
	s_or_b64 exec, exec, s[24:25]
	s_and_saveexec_b64 s[24:25], s[4:5]
	s_cbranch_execnz .LBB307_181
	s_branch .LBB307_182
.LBB307_420:                            ;   in Loop: Header=BB307_10 Depth=1
	v_cmp_eq_u16_e64 s[4:5], s31, v8
	s_mov_b64 s[24:25], -1
                                        ; implicit-def: $sgpr35
	s_and_saveexec_b64 s[28:29], s[4:5]
; %bb.421:                              ;   in Loop: Header=BB307_10 Depth=1
	s_mov_b32 s35, 0x7fc02000
	s_xor_b64 s[24:25], exec, -1
; %bb.422:                              ;   in Loop: Header=BB307_10 Depth=1
	s_or_b64 exec, exec, s[28:29]
	s_and_b64 s[24:25], s[24:25], exec
	s_or_saveexec_b64 s[26:27], s[26:27]
	v_mov_b32_e32 v22, s35
	s_xor_b64 exec, exec, s[26:27]
	s_cbranch_execz .LBB307_184
.LBB307_423:                            ;   in Loop: Header=BB307_10 Depth=1
	v_cmp_ne_u16_e64 s[4:5], 0, v8
	s_andn2_b64 s[24:25], s[24:25], exec
	s_and_b64 s[4:5], s[4:5], exec
	v_mov_b32_e32 v22, 0
	s_or_b64 s[24:25], s[24:25], s[4:5]
	s_or_b64 exec, exec, s[26:27]
	s_and_saveexec_b64 s[26:27], s[24:25]
	s_cbranch_execnz .LBB307_185
	s_branch .LBB307_186
.LBB307_424:                            ;   in Loop: Header=BB307_10 Depth=1
	v_cmp_eq_u16_sdwa s[36:37], v8, s31 src0_sel:BYTE_0 src1_sel:DWORD
	s_mov_b64 s[4:5], -1
                                        ; implicit-def: $sgpr28
	s_and_saveexec_b64 s[26:27], s[36:37]
; %bb.425:                              ;   in Loop: Header=BB307_10 Depth=1
	s_mov_b32 s28, 0x7fc02000
	s_xor_b64 s[4:5], exec, -1
; %bb.426:                              ;   in Loop: Header=BB307_10 Depth=1
	s_or_b64 exec, exec, s[26:27]
	s_and_b64 s[4:5], s[4:5], exec
	s_or_saveexec_b64 s[24:25], s[24:25]
	v_mov_b32_e32 v25, s28
	s_xor_b64 exec, exec, s[24:25]
	s_cbranch_execz .LBB307_188
.LBB307_427:                            ;   in Loop: Header=BB307_10 Depth=1
	v_cmp_ne_u16_sdwa s[26:27], v8, v9 src0_sel:BYTE_0 src1_sel:DWORD
	s_andn2_b64 s[4:5], s[4:5], exec
	s_and_b64 s[26:27], s[26:27], exec
	v_mov_b32_e32 v25, 0
	s_or_b64 s[4:5], s[4:5], s[26:27]
	s_or_b64 exec, exec, s[24:25]
	s_and_saveexec_b64 s[24:25], s[4:5]
	s_cbranch_execnz .LBB307_189
	s_branch .LBB307_190
.LBB307_428:                            ;   in Loop: Header=BB307_10 Depth=1
	v_cmp_eq_u16_e64 s[4:5], s31, v8
	s_mov_b64 s[24:25], -1
                                        ; implicit-def: $sgpr35
	s_and_saveexec_b64 s[28:29], s[4:5]
; %bb.429:                              ;   in Loop: Header=BB307_10 Depth=1
	s_mov_b32 s35, 0x7fc02000
	s_xor_b64 s[24:25], exec, -1
; %bb.430:                              ;   in Loop: Header=BB307_10 Depth=1
	s_or_b64 exec, exec, s[28:29]
	s_and_b64 s[24:25], s[24:25], exec
	s_or_saveexec_b64 s[26:27], s[26:27]
	v_mov_b32_e32 v24, s35
	s_xor_b64 exec, exec, s[26:27]
	s_cbranch_execz .LBB307_192
.LBB307_431:                            ;   in Loop: Header=BB307_10 Depth=1
	v_cmp_ne_u16_e64 s[4:5], 0, v8
	s_andn2_b64 s[24:25], s[24:25], exec
	s_and_b64 s[4:5], s[4:5], exec
	v_mov_b32_e32 v24, 0
	s_or_b64 s[24:25], s[24:25], s[4:5]
	s_or_b64 exec, exec, s[26:27]
	s_and_saveexec_b64 s[26:27], s[24:25]
	s_cbranch_execnz .LBB307_193
	s_branch .LBB307_194
.LBB307_432:                            ;   in Loop: Header=BB307_10 Depth=1
	v_cmp_eq_u16_sdwa s[36:37], v12, s31 src0_sel:BYTE_0 src1_sel:DWORD
	s_mov_b64 s[4:5], -1
                                        ; implicit-def: $sgpr28
	s_and_saveexec_b64 s[26:27], s[36:37]
; %bb.433:                              ;   in Loop: Header=BB307_10 Depth=1
	s_mov_b32 s28, 0x7fc02000
	s_xor_b64 s[4:5], exec, -1
; %bb.434:                              ;   in Loop: Header=BB307_10 Depth=1
	s_or_b64 exec, exec, s[26:27]
	s_and_b64 s[4:5], s[4:5], exec
	s_or_saveexec_b64 s[24:25], s[24:25]
	v_mov_b32_e32 v42, s28
	s_xor_b64 exec, exec, s[24:25]
	s_cbranch_execz .LBB307_196
.LBB307_435:                            ;   in Loop: Header=BB307_10 Depth=1
	v_cmp_ne_u16_sdwa s[26:27], v12, v9 src0_sel:BYTE_0 src1_sel:DWORD
	s_andn2_b64 s[4:5], s[4:5], exec
	s_and_b64 s[26:27], s[26:27], exec
	v_mov_b32_e32 v42, 0
	s_or_b64 s[4:5], s[4:5], s[26:27]
	s_or_b64 exec, exec, s[24:25]
	s_and_saveexec_b64 s[24:25], s[4:5]
	s_cbranch_execnz .LBB307_197
	s_branch .LBB307_198
.LBB307_436:                            ;   in Loop: Header=BB307_10 Depth=1
	v_cmp_eq_u16_e64 s[4:5], s31, v8
	s_mov_b64 s[24:25], -1
                                        ; implicit-def: $sgpr35
	s_and_saveexec_b64 s[28:29], s[4:5]
; %bb.437:                              ;   in Loop: Header=BB307_10 Depth=1
	s_mov_b32 s35, 0x7fc02000
	s_xor_b64 s[24:25], exec, -1
; %bb.438:                              ;   in Loop: Header=BB307_10 Depth=1
	s_or_b64 exec, exec, s[28:29]
	s_and_b64 s[24:25], s[24:25], exec
	s_or_saveexec_b64 s[26:27], s[26:27]
	v_mov_b32_e32 v43, s35
	s_xor_b64 exec, exec, s[26:27]
	s_cbranch_execz .LBB307_200
.LBB307_439:                            ;   in Loop: Header=BB307_10 Depth=1
	v_cmp_ne_u16_e64 s[4:5], 0, v8
	s_andn2_b64 s[24:25], s[24:25], exec
	s_and_b64 s[4:5], s[4:5], exec
	v_mov_b32_e32 v43, 0
	s_or_b64 s[24:25], s[24:25], s[4:5]
	s_or_b64 exec, exec, s[26:27]
	s_and_saveexec_b64 s[26:27], s[24:25]
	s_cbranch_execnz .LBB307_201
	s_branch .LBB307_202
.LBB307_440:                            ;   in Loop: Header=BB307_10 Depth=1
	v_cmp_eq_u16_sdwa s[36:37], v8, s31 src0_sel:BYTE_0 src1_sel:DWORD
	s_mov_b64 s[4:5], -1
                                        ; implicit-def: $sgpr28
	s_and_saveexec_b64 s[26:27], s[36:37]
; %bb.441:                              ;   in Loop: Header=BB307_10 Depth=1
	s_mov_b32 s28, 0x7fc02000
	s_xor_b64 s[4:5], exec, -1
; %bb.442:                              ;   in Loop: Header=BB307_10 Depth=1
	s_or_b64 exec, exec, s[26:27]
	s_and_b64 s[4:5], s[4:5], exec
	s_or_saveexec_b64 s[24:25], s[24:25]
	v_mov_b32_e32 v44, s28
	s_xor_b64 exec, exec, s[24:25]
	s_cbranch_execz .LBB307_204
.LBB307_443:                            ;   in Loop: Header=BB307_10 Depth=1
	v_cmp_ne_u16_sdwa s[26:27], v8, v9 src0_sel:BYTE_0 src1_sel:DWORD
	s_andn2_b64 s[4:5], s[4:5], exec
	s_and_b64 s[26:27], s[26:27], exec
	v_mov_b32_e32 v44, 0
	s_or_b64 s[4:5], s[4:5], s[26:27]
	s_or_b64 exec, exec, s[24:25]
	s_and_saveexec_b64 s[24:25], s[4:5]
	s_cbranch_execnz .LBB307_205
	s_branch .LBB307_206
.LBB307_444:                            ;   in Loop: Header=BB307_10 Depth=1
	v_cmp_eq_u16_e64 s[4:5], s31, v8
	s_mov_b64 s[24:25], -1
                                        ; implicit-def: $sgpr35
	s_and_saveexec_b64 s[28:29], s[4:5]
; %bb.445:                              ;   in Loop: Header=BB307_10 Depth=1
	s_mov_b32 s35, 0x7fc02000
	s_xor_b64 s[24:25], exec, -1
; %bb.446:                              ;   in Loop: Header=BB307_10 Depth=1
	s_or_b64 exec, exec, s[28:29]
	s_and_b64 s[24:25], s[24:25], exec
	s_or_saveexec_b64 s[26:27], s[26:27]
	v_mov_b32_e32 v45, s35
	s_xor_b64 exec, exec, s[26:27]
	s_cbranch_execz .LBB307_208
.LBB307_447:                            ;   in Loop: Header=BB307_10 Depth=1
	v_cmp_ne_u16_e64 s[4:5], 0, v8
	s_andn2_b64 s[24:25], s[24:25], exec
	s_and_b64 s[4:5], s[4:5], exec
	v_mov_b32_e32 v45, 0
	s_or_b64 s[24:25], s[24:25], s[4:5]
	s_or_b64 exec, exec, s[26:27]
	s_and_saveexec_b64 s[26:27], s[24:25]
	s_cbranch_execnz .LBB307_209
	s_branch .LBB307_210
.LBB307_448:                            ;   in Loop: Header=BB307_10 Depth=1
	v_cmp_eq_u16_sdwa s[36:37], v12, s31 src0_sel:BYTE_0 src1_sel:DWORD
	s_mov_b64 s[4:5], -1
                                        ; implicit-def: $sgpr28
	s_and_saveexec_b64 s[26:27], s[36:37]
; %bb.449:                              ;   in Loop: Header=BB307_10 Depth=1
	s_mov_b32 s28, 0x7fc02000
	s_xor_b64 s[4:5], exec, -1
; %bb.450:                              ;   in Loop: Header=BB307_10 Depth=1
	s_or_b64 exec, exec, s[26:27]
	s_and_b64 s[4:5], s[4:5], exec
	s_or_saveexec_b64 s[24:25], s[24:25]
	v_mov_b32_e32 v46, s28
	s_xor_b64 exec, exec, s[24:25]
	s_cbranch_execz .LBB307_212
.LBB307_451:                            ;   in Loop: Header=BB307_10 Depth=1
	v_cmp_ne_u16_sdwa s[26:27], v12, v9 src0_sel:BYTE_0 src1_sel:DWORD
	s_andn2_b64 s[4:5], s[4:5], exec
	s_and_b64 s[26:27], s[26:27], exec
	v_mov_b32_e32 v46, 0
	s_or_b64 s[4:5], s[4:5], s[26:27]
	s_or_b64 exec, exec, s[24:25]
	s_and_saveexec_b64 s[24:25], s[4:5]
	s_cbranch_execnz .LBB307_213
	s_branch .LBB307_214
.LBB307_452:                            ;   in Loop: Header=BB307_10 Depth=1
	v_cmp_eq_u16_e64 s[4:5], s31, v8
	s_mov_b64 s[24:25], -1
                                        ; implicit-def: $sgpr35
	s_and_saveexec_b64 s[28:29], s[4:5]
; %bb.453:                              ;   in Loop: Header=BB307_10 Depth=1
	s_mov_b32 s35, 0x7fc02000
	s_xor_b64 s[24:25], exec, -1
; %bb.454:                              ;   in Loop: Header=BB307_10 Depth=1
	s_or_b64 exec, exec, s[28:29]
	s_and_b64 s[24:25], s[24:25], exec
	s_or_saveexec_b64 s[26:27], s[26:27]
	v_mov_b32_e32 v27, s35
	s_xor_b64 exec, exec, s[26:27]
	s_cbranch_execz .LBB307_216
.LBB307_455:                            ;   in Loop: Header=BB307_10 Depth=1
	v_cmp_ne_u16_e64 s[4:5], 0, v8
	s_andn2_b64 s[24:25], s[24:25], exec
	s_and_b64 s[4:5], s[4:5], exec
	v_mov_b32_e32 v27, 0
	s_or_b64 s[24:25], s[24:25], s[4:5]
	s_or_b64 exec, exec, s[26:27]
	s_and_saveexec_b64 s[26:27], s[24:25]
	s_cbranch_execnz .LBB307_217
	s_branch .LBB307_218
.LBB307_456:                            ;   in Loop: Header=BB307_10 Depth=1
	v_cmp_eq_u16_sdwa s[36:37], v8, s31 src0_sel:BYTE_0 src1_sel:DWORD
	s_mov_b64 s[4:5], -1
                                        ; implicit-def: $sgpr28
	s_and_saveexec_b64 s[26:27], s[36:37]
; %bb.457:                              ;   in Loop: Header=BB307_10 Depth=1
	s_mov_b32 s28, 0x7fc02000
	s_xor_b64 s[4:5], exec, -1
; %bb.458:                              ;   in Loop: Header=BB307_10 Depth=1
	s_or_b64 exec, exec, s[26:27]
	s_and_b64 s[4:5], s[4:5], exec
	s_or_saveexec_b64 s[24:25], s[24:25]
	v_mov_b32_e32 v26, s28
	s_xor_b64 exec, exec, s[24:25]
	s_cbranch_execz .LBB307_220
.LBB307_459:                            ;   in Loop: Header=BB307_10 Depth=1
	v_cmp_ne_u16_sdwa s[26:27], v8, v9 src0_sel:BYTE_0 src1_sel:DWORD
	s_andn2_b64 s[4:5], s[4:5], exec
	s_and_b64 s[26:27], s[26:27], exec
	v_mov_b32_e32 v26, 0
	s_or_b64 s[4:5], s[4:5], s[26:27]
	s_or_b64 exec, exec, s[24:25]
	s_and_saveexec_b64 s[24:25], s[4:5]
	s_cbranch_execnz .LBB307_221
	s_branch .LBB307_222
.LBB307_460:                            ;   in Loop: Header=BB307_10 Depth=1
	v_cmp_eq_u16_e64 s[4:5], s31, v8
	s_mov_b64 s[24:25], -1
                                        ; implicit-def: $sgpr35
	s_and_saveexec_b64 s[28:29], s[4:5]
; %bb.461:                              ;   in Loop: Header=BB307_10 Depth=1
	s_mov_b32 s35, 0x7fc02000
	s_xor_b64 s[24:25], exec, -1
; %bb.462:                              ;   in Loop: Header=BB307_10 Depth=1
	s_or_b64 exec, exec, s[28:29]
	s_and_b64 s[24:25], s[24:25], exec
	s_or_saveexec_b64 s[26:27], s[26:27]
	v_mov_b32_e32 v47, s35
	s_xor_b64 exec, exec, s[26:27]
	s_cbranch_execz .LBB307_224
.LBB307_463:                            ;   in Loop: Header=BB307_10 Depth=1
	v_cmp_ne_u16_e64 s[4:5], 0, v8
	s_andn2_b64 s[24:25], s[24:25], exec
	s_and_b64 s[4:5], s[4:5], exec
	v_mov_b32_e32 v47, 0
	s_or_b64 s[24:25], s[24:25], s[4:5]
	s_or_b64 exec, exec, s[26:27]
	s_and_saveexec_b64 s[26:27], s[24:25]
	s_cbranch_execnz .LBB307_225
	s_branch .LBB307_226
.LBB307_464:                            ;   in Loop: Header=BB307_10 Depth=1
	v_cmp_eq_u16_sdwa s[36:37], v12, s31 src0_sel:BYTE_0 src1_sel:DWORD
	s_mov_b64 s[4:5], -1
                                        ; implicit-def: $sgpr28
	s_and_saveexec_b64 s[26:27], s[36:37]
; %bb.465:                              ;   in Loop: Header=BB307_10 Depth=1
	s_mov_b32 s28, 0x7fc02000
	s_xor_b64 s[4:5], exec, -1
; %bb.466:                              ;   in Loop: Header=BB307_10 Depth=1
	s_or_b64 exec, exec, s[26:27]
	s_and_b64 s[4:5], s[4:5], exec
	s_or_saveexec_b64 s[24:25], s[24:25]
	v_mov_b32_e32 v56, s28
	s_xor_b64 exec, exec, s[24:25]
	s_cbranch_execz .LBB307_228
.LBB307_467:                            ;   in Loop: Header=BB307_10 Depth=1
	v_cmp_ne_u16_sdwa s[26:27], v12, v9 src0_sel:BYTE_0 src1_sel:DWORD
	s_andn2_b64 s[4:5], s[4:5], exec
	s_and_b64 s[26:27], s[26:27], exec
	v_mov_b32_e32 v56, 0
	s_or_b64 s[4:5], s[4:5], s[26:27]
	s_or_b64 exec, exec, s[24:25]
	s_and_saveexec_b64 s[24:25], s[4:5]
	s_cbranch_execnz .LBB307_229
	s_branch .LBB307_230
.LBB307_468:                            ;   in Loop: Header=BB307_10 Depth=1
	v_cmp_eq_u16_e64 s[4:5], s31, v8
	s_mov_b64 s[24:25], -1
                                        ; implicit-def: $sgpr35
	s_and_saveexec_b64 s[28:29], s[4:5]
; %bb.469:                              ;   in Loop: Header=BB307_10 Depth=1
	s_mov_b32 s35, 0x7fc02000
	s_xor_b64 s[24:25], exec, -1
; %bb.470:                              ;   in Loop: Header=BB307_10 Depth=1
	s_or_b64 exec, exec, s[28:29]
	s_and_b64 s[24:25], s[24:25], exec
	s_or_saveexec_b64 s[26:27], s[26:27]
	v_mov_b32_e32 v57, s35
	s_xor_b64 exec, exec, s[26:27]
	s_cbranch_execz .LBB307_232
.LBB307_471:                            ;   in Loop: Header=BB307_10 Depth=1
	v_cmp_ne_u16_e64 s[4:5], 0, v8
	s_andn2_b64 s[24:25], s[24:25], exec
	s_and_b64 s[4:5], s[4:5], exec
	v_mov_b32_e32 v57, 0
	s_or_b64 s[24:25], s[24:25], s[4:5]
	s_or_b64 exec, exec, s[26:27]
	s_and_saveexec_b64 s[26:27], s[24:25]
	s_cbranch_execnz .LBB307_233
	s_branch .LBB307_234
.LBB307_472:                            ;   in Loop: Header=BB307_10 Depth=1
	v_cmp_eq_u16_sdwa s[36:37], v8, s31 src0_sel:BYTE_0 src1_sel:DWORD
	s_mov_b64 s[4:5], -1
                                        ; implicit-def: $sgpr28
	s_and_saveexec_b64 s[26:27], s[36:37]
; %bb.473:                              ;   in Loop: Header=BB307_10 Depth=1
	s_mov_b32 s28, 0x7fc02000
	s_xor_b64 s[4:5], exec, -1
; %bb.474:                              ;   in Loop: Header=BB307_10 Depth=1
	s_or_b64 exec, exec, s[26:27]
	s_and_b64 s[4:5], s[4:5], exec
	s_or_saveexec_b64 s[24:25], s[24:25]
	v_mov_b32_e32 v6, s28
	s_xor_b64 exec, exec, s[24:25]
	s_cbranch_execz .LBB307_236
.LBB307_475:                            ;   in Loop: Header=BB307_10 Depth=1
	v_cmp_ne_u16_sdwa s[26:27], v8, v9 src0_sel:BYTE_0 src1_sel:DWORD
	s_andn2_b64 s[4:5], s[4:5], exec
	s_and_b64 s[26:27], s[26:27], exec
	v_mov_b32_e32 v6, 0
	s_or_b64 s[4:5], s[4:5], s[26:27]
	s_or_b64 exec, exec, s[24:25]
	s_and_saveexec_b64 s[24:25], s[4:5]
	s_cbranch_execnz .LBB307_237
	s_branch .LBB307_238
.LBB307_476:                            ;   in Loop: Header=BB307_10 Depth=1
	v_cmp_eq_u16_e64 s[4:5], s31, v8
	s_mov_b64 s[24:25], -1
                                        ; implicit-def: $sgpr35
	s_and_saveexec_b64 s[28:29], s[4:5]
; %bb.477:                              ;   in Loop: Header=BB307_10 Depth=1
	s_mov_b32 s35, 0x7fc02000
	s_xor_b64 s[24:25], exec, -1
; %bb.478:                              ;   in Loop: Header=BB307_10 Depth=1
	s_or_b64 exec, exec, s[28:29]
	s_and_b64 s[24:25], s[24:25], exec
	s_or_saveexec_b64 s[26:27], s[26:27]
	v_mov_b32_e32 v7, s35
	s_xor_b64 exec, exec, s[26:27]
	s_cbranch_execz .LBB307_240
.LBB307_479:                            ;   in Loop: Header=BB307_10 Depth=1
	v_cmp_ne_u16_e64 s[4:5], 0, v8
	s_andn2_b64 s[24:25], s[24:25], exec
	s_and_b64 s[4:5], s[4:5], exec
	v_mov_b32_e32 v7, 0
	s_or_b64 s[24:25], s[24:25], s[4:5]
	s_or_b64 exec, exec, s[26:27]
	s_and_saveexec_b64 s[26:27], s[24:25]
	s_cbranch_execnz .LBB307_241
	s_branch .LBB307_242
.LBB307_480:                            ;   in Loop: Header=BB307_10 Depth=1
	v_cmp_eq_u16_sdwa s[36:37], v12, s31 src0_sel:BYTE_0 src1_sel:DWORD
	s_mov_b64 s[4:5], -1
                                        ; implicit-def: $sgpr28
	s_and_saveexec_b64 s[26:27], s[36:37]
; %bb.481:                              ;   in Loop: Header=BB307_10 Depth=1
	s_mov_b32 s28, 0x7fc02000
	s_xor_b64 s[4:5], exec, -1
; %bb.482:                              ;   in Loop: Header=BB307_10 Depth=1
	s_or_b64 exec, exec, s[26:27]
	s_and_b64 s[4:5], s[4:5], exec
	s_or_saveexec_b64 s[24:25], s[24:25]
	v_mov_b32_e32 v21, s28
	s_xor_b64 exec, exec, s[24:25]
	s_cbranch_execz .LBB307_244
.LBB307_483:                            ;   in Loop: Header=BB307_10 Depth=1
	v_cmp_ne_u16_sdwa s[26:27], v12, v9 src0_sel:BYTE_0 src1_sel:DWORD
	s_andn2_b64 s[4:5], s[4:5], exec
	s_and_b64 s[26:27], s[26:27], exec
	v_mov_b32_e32 v21, 0
	s_or_b64 s[4:5], s[4:5], s[26:27]
	s_or_b64 exec, exec, s[24:25]
	s_and_saveexec_b64 s[24:25], s[4:5]
	s_cbranch_execnz .LBB307_245
	s_branch .LBB307_246
.LBB307_484:                            ;   in Loop: Header=BB307_10 Depth=1
	v_cmp_eq_u16_e64 s[4:5], s31, v8
	s_mov_b64 s[24:25], -1
                                        ; implicit-def: $sgpr35
	s_and_saveexec_b64 s[28:29], s[4:5]
; %bb.485:                              ;   in Loop: Header=BB307_10 Depth=1
	s_mov_b32 s35, 0x7fc02000
	s_xor_b64 s[24:25], exec, -1
; %bb.486:                              ;   in Loop: Header=BB307_10 Depth=1
	s_or_b64 exec, exec, s[28:29]
	s_and_b64 s[24:25], s[24:25], exec
	s_or_saveexec_b64 s[26:27], s[26:27]
	v_mov_b32_e32 v60, s35
	s_xor_b64 exec, exec, s[26:27]
	s_cbranch_execz .LBB307_248
.LBB307_487:                            ;   in Loop: Header=BB307_10 Depth=1
	v_cmp_ne_u16_e64 s[4:5], 0, v8
	s_andn2_b64 s[24:25], s[24:25], exec
	s_and_b64 s[4:5], s[4:5], exec
	v_mov_b32_e32 v60, 0
	s_or_b64 s[24:25], s[24:25], s[4:5]
	s_or_b64 exec, exec, s[26:27]
	s_and_saveexec_b64 s[26:27], s[24:25]
	s_cbranch_execnz .LBB307_249
	s_branch .LBB307_250
.LBB307_488:                            ;   in Loop: Header=BB307_10 Depth=1
	v_cmp_eq_u16_sdwa s[36:37], v8, s31 src0_sel:BYTE_0 src1_sel:DWORD
	s_mov_b64 s[4:5], -1
                                        ; implicit-def: $sgpr28
	s_and_saveexec_b64 s[26:27], s[36:37]
; %bb.489:                              ;   in Loop: Header=BB307_10 Depth=1
	s_mov_b32 s28, 0x7fc02000
	s_xor_b64 s[4:5], exec, -1
; %bb.490:                              ;   in Loop: Header=BB307_10 Depth=1
	s_or_b64 exec, exec, s[26:27]
	s_and_b64 s[4:5], s[4:5], exec
	s_or_saveexec_b64 s[24:25], s[24:25]
	v_mov_b32_e32 v61, s28
	s_xor_b64 exec, exec, s[24:25]
	s_cbranch_execz .LBB307_252
.LBB307_491:                            ;   in Loop: Header=BB307_10 Depth=1
	v_cmp_ne_u16_sdwa s[26:27], v8, v9 src0_sel:BYTE_0 src1_sel:DWORD
	s_andn2_b64 s[4:5], s[4:5], exec
	s_and_b64 s[26:27], s[26:27], exec
	v_mov_b32_e32 v61, 0
	s_or_b64 s[4:5], s[4:5], s[26:27]
	s_or_b64 exec, exec, s[24:25]
	s_and_saveexec_b64 s[24:25], s[4:5]
	s_cbranch_execnz .LBB307_253
	s_branch .LBB307_254
.LBB307_492:
	s_or_b64 exec, exec, s[22:23]
.LBB307_493:
	s_or_b64 exec, exec, s[6:7]
	scratch_load_dword v2, off, s32 offset:140 ; 4-byte Folded Reload
	v_accvgpr_read_b32 v8, a29
	v_xor_b32_e32 v0, 32, v8
	v_cmp_lt_i32_e32 vcc, v0, v1
	v_xor_b32_e32 v4, 16, v8
	v_xor_b32_e32 v5, 8, v8
	v_cndmask_b32_e32 v0, v8, v0, vcc
	v_lshlrev_b32_e32 v3, 2, v0
	v_cmp_lt_i32_e32 vcc, v4, v1
	v_xor_b32_e32 v6, 4, v8
	v_xor_b32_e32 v7, 2, v8
	s_waitcnt lgkmcnt(0)
	s_lshr_b32 s24, s30, 16
	s_waitcnt vmcnt(0)
	ds_bpermute_b32 v0, v3, v2
	v_max_f32_e32 v2, v2, v2
	s_waitcnt lgkmcnt(0)
	v_max_f32_e32 v0, v0, v0
	v_max_f32_e32 v0, v2, v0
	v_cndmask_b32_e32 v2, v8, v4, vcc
	v_lshlrev_b32_e32 v4, 2, v2
	ds_bpermute_b32 v2, v4, v0
	v_cmp_lt_i32_e32 vcc, v5, v1
	s_waitcnt lgkmcnt(0)
	v_max_f32_e32 v2, v2, v2
	v_max_f32_e32 v0, v0, v2
	v_cndmask_b32_e32 v2, v8, v5, vcc
	v_lshlrev_b32_e32 v5, 2, v2
	ds_bpermute_b32 v2, v5, v0
	v_cmp_lt_i32_e32 vcc, v6, v1
	;; [unrolled: 7-line block ×3, first 2 shown]
	s_waitcnt lgkmcnt(0)
	v_max_f32_e32 v2, v2, v2
	v_max_f32_e32 v2, v0, v2
	v_cndmask_b32_e32 v0, v8, v7, vcc
	v_lshlrev_b32_e32 v23, 2, v0
	ds_bpermute_b32 v8, v23, v2
	v_accvgpr_read_b32 v0, a2
	v_and_b32_e32 v0, 63, v0
	v_accvgpr_read_b32 v7, a7
	v_cmp_eq_u32_e32 vcc, 0, v0
	v_lshlrev_b32_e32 v7, 2, v7
	s_and_saveexec_b64 s[2:3], vcc
	s_cbranch_execz .LBB307_495
; %bb.494:
	s_waitcnt lgkmcnt(0)
	v_max_f32_e32 v8, v8, v8
	v_max_f32_e32 v2, v2, v2
	;; [unrolled: 1-line block ×3, first 2 shown]
	ds_write_b32 v7, v2 offset:240
.LBB307_495:
	s_or_b64 exec, exec, s[2:3]
	v_cmp_gt_u32_e64 s[2:3], 2, v0
	v_mov_b32_e32 v2, 0xff7fffff
	s_waitcnt lgkmcnt(0)
	v_lshlrev_b32_e32 v8, 2, v0
	s_barrier
	s_and_saveexec_b64 s[4:5], s[2:3]
	s_cbranch_execz .LBB307_497
; %bb.496:
	ds_read_b32 v2, v8 offset:240
.LBB307_497:
	s_or_b64 exec, exec, s[4:5]
	v_accvgpr_read_b32 v10, a29
	v_xor_b32_e32 v9, 1, v10
	v_cmp_lt_i32_e64 s[4:5], v9, v1
	v_accvgpr_read_b32 v11, a2
	s_nop 0
	v_cndmask_b32_e64 v1, v10, v9, s[4:5]
	v_lshlrev_b32_e32 v50, 2, v1
	s_waitcnt lgkmcnt(0)
	ds_bpermute_b32 v1, v50, v2
	v_max_f32_e32 v2, v2, v2
	v_accvgpr_read_b32 v9, a3
	v_subrev_u32_e32 v9, s19, v9
	v_lshl_add_u32 v9, v9, 5, s21
	s_waitcnt lgkmcnt(0)
	v_max_f32_e32 v1, v1, v1
	v_max_f32_e32 v1, v2, v1
	v_lshlrev_b32_e32 v2, 2, v10
	v_and_b32_e32 v10, 0xffffff00, v2
	ds_bpermute_b32 v1, v10, v1
	v_accvgpr_read_b32 v2, a8
	v_min_i32_e32 v9, v9, v2
	v_subrev_u32_e32 v2, s21, v9
	v_cmp_lt_i32_e64 s[4:5], v11, v2
	v_mov_b32_e32 v11, 0
	s_and_saveexec_b64 s[8:9], s[4:5]
	s_cbranch_execz .LBB307_501
; %bb.498:
	s_ashr_i32 s17, s16, 31
	s_lshl_b64 s[6:7], s[16:17], 2
	s_getpc_b64 s[22:23]
	s_add_u32 s22, s22, llvm.amdgcn.dynlds.offset.table@rel32@lo+4
	s_addc_u32 s23, s23, llvm.amdgcn.dynlds.offset.table@rel32@hi+12
	s_add_u32 s6, s6, s22
	s_addc_u32 s7, s7, s23
	s_load_dword s6, s[6:7], 0x0
	v_accvgpr_read_b32 v13, a2
	s_mov_b64 s[22:23], 0
	v_mov_b32_e32 v11, 0
	s_waitcnt lgkmcnt(0)
	v_lshl_add_u32 v12, v13, 2, s6
.LBB307_499:                            ; =>This Inner Loop Header: Depth=1
	ds_read_b32 v14, v12
	v_add_u32_e32 v13, 0x80, v13
	v_cmp_ge_i32_e64 s[6:7], v13, v2
	s_or_b64 s[22:23], s[6:7], s[22:23]
	s_waitcnt lgkmcnt(0)
	v_sub_f32_e32 v14, v14, v1
	v_mul_f32_e32 v14, 0x3fb8aa3b, v14
	v_exp_f32_e32 v14, v14
	ds_write_b32 v12, v14
	v_add_f32_e32 v11, v11, v14
	v_add_u32_e32 v12, 0x200, v12
	s_andn2_b64 exec, exec, s[22:23]
	s_cbranch_execnz .LBB307_499
; %bb.500:
	s_or_b64 exec, exec, s[22:23]
.LBB307_501:
	s_or_b64 exec, exec, s[8:9]
	ds_bpermute_b32 v3, v3, v11
	s_waitcnt lgkmcnt(0)
	v_add_f32_e32 v3, v11, v3
	ds_bpermute_b32 v4, v4, v3
	s_waitcnt lgkmcnt(0)
	v_add_f32_e32 v3, v3, v4
	;; [unrolled: 3-line block ×6, first 2 shown]
	s_and_saveexec_b64 s[6:7], vcc
	s_cbranch_execz .LBB307_503
; %bb.502:
	ds_write_b32 v7, v3 offset:248
.LBB307_503:
	s_or_b64 exec, exec, s[6:7]
	s_waitcnt lgkmcnt(0)
	s_barrier
	s_and_saveexec_b64 s[6:7], s[2:3]
	s_cbranch_execz .LBB307_505
; %bb.504:
	ds_read_b32 v3, v8 offset:248
.LBB307_505:
	s_or_b64 exec, exec, s[6:7]
	s_waitcnt lgkmcnt(0)
	ds_bpermute_b32 v4, v50, v3
	s_waitcnt lgkmcnt(0)
	v_add_f32_e32 v3, v3, v4
	ds_bpermute_b32 v3, v10, v3
	s_and_saveexec_b64 s[2:3], s[4:5]
	s_cbranch_execz .LBB307_518
; %bb.506:
	s_waitcnt lgkmcnt(0)
	v_add_f32_e32 v4, 0x358637bd, v3
	v_div_scale_f32 v5, s[4:5], v4, v4, 1.0
	v_rcp_f32_e32 v6, v5
	v_div_scale_f32 v7, vcc, 1.0, v4, 1.0
	s_movk_i32 s4, 0x7f
	v_fma_f32 v8, -v5, v6, 1.0
	v_fmac_f32_e32 v6, v8, v6
	v_mul_f32_e32 v8, v7, v6
	v_fma_f32 v10, -v5, v8, v7
	v_fmac_f32_e32 v8, v10, v6
	v_fma_f32 v5, -v5, v8, v7
	v_div_fmas_f32 v5, v5, v6, v8
	v_accvgpr_read_b32 v6, a2
	v_div_fixup_f32 v8, v5, v4, 1.0
	v_xad_u32 v4, v6, -1, v9
	v_subrev_u32_e32 v5, s21, v4
	v_cmp_lt_u32_e32 vcc, s4, v5
	s_mov_b64 s[6:7], -1
	v_accvgpr_read_b32 v4, a2
	s_and_saveexec_b64 s[4:5], vcc
	s_cbranch_execz .LBB307_515
; %bb.507:
	v_lshrrev_b32_e32 v4, 7, v5
	v_add_u32_e32 v6, -1, v4
	v_lshrrev_b32_e32 v5, 1, v6
	v_mov_b32_e32 v9, v8
	v_add_u32_e32 v5, 1, v5
	v_cmp_lt_u32_e32 vcc, 13, v6
	v_mov_b32_e32 v10, 0
	s_and_saveexec_b64 s[6:7], vcc
	s_cbranch_execz .LBB307_511
; %bb.508:
	s_ashr_i32 s17, s16, 31
	s_lshl_b64 s[8:9], s[16:17], 2
	s_getpc_b64 s[22:23]
	s_add_u32 s22, s22, llvm.amdgcn.dynlds.offset.table@rel32@lo+4
	s_addc_u32 s23, s23, llvm.amdgcn.dynlds.offset.table@rel32@hi+12
	s_add_u32 s8, s8, s22
	s_addc_u32 s9, s9, s23
	s_load_dword s8, s[8:9], 0x0
	v_accvgpr_read_b32 v7, a2
	v_and_b32_e32 v6, -8, v5
	s_mov_b32 s17, 0
	s_waitcnt lgkmcnt(0)
	v_lshl_add_u32 v7, v7, 2, s8
	s_mov_b64 s[8:9], 0
.LBB307_509:                            ; =>This Inner Loop Header: Depth=1
	ds_read2st64_b32 v[10:11], v7 offset1:2
	ds_read2st64_b32 v[12:13], v7 offset0:4 offset1:6
	ds_read2st64_b32 v[14:15], v7 offset0:8 offset1:10
	;; [unrolled: 1-line block ×3, first 2 shown]
	v_add_u32_e32 v6, -8, v6
	s_waitcnt lgkmcnt(3)
	v_pk_mul_f32 v[10:11], v[8:9], v[10:11]
	s_waitcnt lgkmcnt(2)
	v_pk_mul_f32 v[12:13], v[8:9], v[12:13]
	ds_write2st64_b32 v7, v10, v11 offset1:2
	ds_write2st64_b32 v7, v12, v13 offset0:4 offset1:6
	ds_read2st64_b32 v[12:13], v7 offset0:16 offset1:18
	s_waitcnt lgkmcnt(4)
	v_pk_mul_f32 v[10:11], v[8:9], v[14:15]
	ds_write2st64_b32 v7, v10, v11 offset0:8 offset1:10
	s_waitcnt lgkmcnt(4)
	v_pk_mul_f32 v[10:11], v[8:9], v[18:19]
	ds_write2st64_b32 v7, v10, v11 offset0:12 offset1:14
	ds_read2st64_b32 v[10:11], v7 offset0:20 offset1:22
	s_waitcnt lgkmcnt(3)
	v_pk_mul_f32 v[12:13], v[8:9], v[12:13]
	ds_read2st64_b32 v[14:15], v7 offset0:24 offset1:26
	ds_write2st64_b32 v7, v12, v13 offset0:16 offset1:18
	ds_read2st64_b32 v[12:13], v7 offset0:28 offset1:30
	s_waitcnt lgkmcnt(3)
	v_pk_mul_f32 v[10:11], v[8:9], v[10:11]
	ds_write2st64_b32 v7, v10, v11 offset0:20 offset1:22
	s_waitcnt lgkmcnt(3)
	v_pk_mul_f32 v[10:11], v[8:9], v[14:15]
	ds_write2st64_b32 v7, v10, v11 offset0:24 offset1:26
	s_waitcnt lgkmcnt(2)
	v_pk_mul_f32 v[10:11], v[8:9], v[12:13]
	s_add_i32 s17, s17, 16
	v_cmp_eq_u32_e32 vcc, 0, v6
	ds_write2st64_b32 v7, v10, v11 offset0:28 offset1:30
	v_add_u32_e32 v7, 0x2000, v7
	s_or_b64 s[8:9], vcc, s[8:9]
	v_mov_b32_e32 v10, s17
	s_andn2_b64 exec, exec, s[8:9]
	s_cbranch_execnz .LBB307_509
; %bb.510:
	s_or_b64 exec, exec, s[8:9]
.LBB307_511:
	s_or_b64 exec, exec, s[6:7]
	v_and_b32_e32 v5, 7, v5
	v_cmp_ne_u32_e32 vcc, 0, v5
	s_and_saveexec_b64 s[6:7], vcc
	s_cbranch_execz .LBB307_514
; %bb.512:
	s_ashr_i32 s17, s16, 31
	s_lshl_b64 s[8:9], s[16:17], 2
	s_getpc_b64 s[22:23]
	s_add_u32 s22, s22, llvm.amdgcn.dynlds.offset.table@rel32@lo+4
	s_addc_u32 s23, s23, llvm.amdgcn.dynlds.offset.table@rel32@hi+12
	s_add_u32 s8, s8, s22
	s_addc_u32 s9, s9, s23
	s_load_dword s8, s[8:9], 0x0
	v_accvgpr_read_b32 v7, a2
	v_lshlrev_b32_e32 v6, 9, v10
	v_lshlrev_b32_e32 v7, 2, v7
	s_waitcnt lgkmcnt(0)
	v_add3_u32 v6, v6, v7, s8
	s_mov_b64 s[8:9], 0
.LBB307_513:                            ; =>This Inner Loop Header: Depth=1
	ds_read2st64_b32 v[10:11], v6 offset1:2
	v_add_u32_e32 v5, -1, v5
	v_cmp_eq_u32_e32 vcc, 0, v5
	s_or_b64 s[8:9], vcc, s[8:9]
	s_waitcnt lgkmcnt(0)
	v_pk_mul_f32 v[10:11], v[8:9], v[10:11]
	ds_write2st64_b32 v6, v10, v11 offset1:2
	v_add_u32_e32 v6, 0x400, v6
	s_andn2_b64 exec, exec, s[8:9]
	s_cbranch_execnz .LBB307_513
.LBB307_514:
	s_or_b64 exec, exec, s[6:7]
	v_add_u32_e32 v5, 1, v4
	v_and_b32_e32 v6, 0x3fffffe, v5
	v_accvgpr_read_b32 v4, a2
	v_cmp_ne_u32_e32 vcc, v5, v6
	v_lshl_add_u32 v4, v6, 7, v4
	s_orn2_b64 s[6:7], vcc, exec
.LBB307_515:
	s_or_b64 exec, exec, s[4:5]
	s_and_b64 exec, exec, s[6:7]
	s_cbranch_execz .LBB307_518
; %bb.516:
	s_ashr_i32 s17, s16, 31
	s_lshl_b64 s[4:5], s[16:17], 2
	s_getpc_b64 s[6:7]
	s_add_u32 s6, s6, llvm.amdgcn.dynlds.offset.table@rel32@lo+4
	s_addc_u32 s7, s7, llvm.amdgcn.dynlds.offset.table@rel32@hi+12
	s_add_u32 s4, s4, s6
	s_addc_u32 s5, s5, s7
	s_load_dword s4, s[4:5], 0x0
	s_waitcnt lgkmcnt(0)
	v_lshl_add_u32 v5, v4, 2, s4
	s_mov_b64 s[4:5], 0
.LBB307_517:                            ; =>This Inner Loop Header: Depth=1
	ds_read_b32 v6, v5
	v_add_u32_e32 v4, 0x80, v4
	v_cmp_ge_i32_e32 vcc, v4, v2
	s_or_b64 s[4:5], vcc, s[4:5]
	s_waitcnt lgkmcnt(0)
	v_mul_f32_e32 v6, v8, v6
	ds_write_b32 v5, v6
	v_add_u32_e32 v5, 0x200, v5
	s_andn2_b64 exec, exec, s[4:5]
	s_cbranch_execnz .LBB307_517
.LBB307_518:
	s_or_b64 exec, exec, s[2:3]
	v_cmp_ne_u16_e64 s[2:3], s24, 0
	s_cmp_lg_u64 s[2:3], 0
	s_addc_u32 s19, s13, 0
	v_accvgpr_read_b32 v2, a2
	s_mul_i32 s2, s19, s20
	v_cmp_eq_u32_e32 vcc, 0, v2
	s_mul_i32 s4, s2, s15
	s_waitcnt lgkmcnt(0)
	s_barrier
	s_and_saveexec_b64 s[2:3], vcc
	s_cbranch_execz .LBB307_520
; %bb.519:
	s_mul_i32 s8, s19, s12
	s_ashr_i32 s5, s4, 31
	s_ashr_i32 s9, s8, 31
	;; [unrolled: 1-line block ×3, first 2 shown]
	s_lshl_b64 s[6:7], s[4:5], 2
	s_lshl_b64 s[8:9], s[8:9], 2
	;; [unrolled: 1-line block ×3, first 2 shown]
	s_add_u32 s5, s12, s8
	s_addc_u32 s8, s13, s9
	s_add_u32 s6, s5, s6
	v_accvgpr_read_b32 v4, a18
	s_addc_u32 s7, s8, s7
	v_accvgpr_read_b32 v5, a19
	v_lshl_add_u64 v[4:5], s[6:7], 0, v[4:5]
	flat_store_dword v[4:5], v1
	v_accvgpr_read_b32 v4, a16
	v_accvgpr_read_b32 v5, a17
	v_lshl_add_u64 v[4:5], s[6:7], 0, v[4:5]
	flat_store_dword v[4:5], v3
.LBB307_520:
	s_or_b64 exec, exec, s[2:3]
	v_mov_b32_e32 v1, 0
	v_lshrrev_b32_e32 v52, 2, v0
	v_and_b32_e32 v51, 3, v2
	v_mov_b32_e32 v0, v1
	v_mov_b32_e32 v3, v1
	v_mov_b32_e32 v2, v1
	v_mov_b32_e32 v9, v1
	v_mov_b32_e32 v8, v1
	v_mov_b32_e32 v13, v1
	v_mov_b32_e32 v12, v1
	s_and_saveexec_b64 s[6:7], s[0:1]
	s_cbranch_execz .LBB307_1054
; %bb.521:
	s_ashr_i32 s17, s16, 31
	v_accvgpr_read_b32 v0, a20
	s_lshl_b64 s[0:1], s[16:17], 2
	v_and_b32_e32 v2, 24, v0
	s_getpc_b64 s[2:3]
	s_add_u32 s2, s2, llvm.amdgcn.dynlds.offset.table@rel32@lo+4
	s_addc_u32 s3, s3, llvm.amdgcn.dynlds.offset.table@rel32@hi+12
	v_accvgpr_read_b32 v0, a14
	v_accvgpr_read_b32 v4, a24
	s_add_u32 s0, s0, s2
	v_accvgpr_read_b32 v1, a15
	v_accvgpr_read_b32 v5, a25
	s_addc_u32 s1, s1, s3
	v_lshl_add_u64 v[10:11], v[0:1], 0, v[4:5]
	v_accvgpr_read_b32 v0, a9
	s_load_dword s0, s[0:1], 0x0
	v_add_u32_e32 v53, -1, v0
	v_or_b32_e32 v0, 0x70, v52
	s_movk_i32 s1, 0x78
	v_cmp_gt_u32_e32 vcc, s1, v0
	v_lshl_or_b32 v24, v0, 5, v2
	v_accvgpr_read_b32 v0, a10
	v_accvgpr_read_b32 v1, a11
	;; [unrolled: 1-line block ×3, first 2 shown]
	v_lshlrev_b64 v[0:1], 2, v[0:1]
	v_accvgpr_read_b32 v5, a23
	v_lshl_add_u64 v[0:1], v[4:5], 2, v[0:1]
	v_accvgpr_read_b32 v4, a12
	v_accvgpr_read_b32 v5, a13
	v_lshl_add_u64 v[14:15], v[4:5], 0, v[0:1]
	v_accvgpr_read_b32 v0, a21
	v_add3_u32 v7, s21, v0, v2
	v_lshlrev_b32_e32 v0, 5, v51
	v_accvgpr_read_b32 v1, a7
	v_mov_b32_e32 v21, 0
	v_lshl_or_b32 v0, v1, 7, v0
	v_lshl_or_b32 v18, v52, 5, v2
	v_mov_b32_e32 v19, v21
	v_mov_b32_e32 v25, v21
	v_accvgpr_read_b32 v17, a8
	s_waitcnt lgkmcnt(0)
	v_add_u32_e32 v54, s0, v0
	s_mov_b64 s[8:9], 0
	s_movk_i32 s5, 0x7f
	s_movk_i32 s15, 0x80
	s_mov_b32 s17, 0x8000
	s_movk_i32 s26, 0x380
	s_mov_b32 s27, 0x3020706
	s_mov_b32 s28, 0x1000504
	s_mov_b32 s29, 0x5040100
	v_mov_b32_e32 v55, 0x1c00
	v_mov_b32_e32 v12, v21
	v_mov_b32_e32 v13, v21
	v_mov_b32_e32 v8, v21
	v_mov_b32_e32 v9, v21
	v_mov_b32_e32 v2, v21
	v_mov_b32_e32 v3, v21
	v_mov_b32_e32 v0, v21
	v_mov_b32_e32 v1, v21
	s_branch .LBB307_524
.LBB307_522:                            ;   in Loop: Header=BB307_524 Depth=1
	s_or_b64 exec, exec, s[2:3]
	;;#ASMSTART
	v_pk_mul_f16 v6, v43, v22;

	;;#ASMEND
	;;#ASMSTART
	v_pk_mul_f16 v16, v42, v20;

	;;#ASMEND
	;; [unrolled: 4-line block ×4, first 2 shown]
	s_nop 0
	;;#ASMSTART
	v_pk_add_f16 v6, v6, v16;

	;;#ASMEND
	s_nop 0
	;;#ASMSTART
	v_pk_add_f16 v4, v6, v4;

	;;#ASMEND
	;; [unrolled: 5-line block ×3, first 2 shown]
	s_nop 0
	v_lshrrev_b32_e32 v5, 16, v4
	v_and_b32_e32 v4, 0xffff, v4
	;;#ASMSTART
	v_cvt_f32_f16 v4, v4;
	;;#ASMEND
	;;#ASMSTART
	v_cvt_f32_f16 v5, v5;
	;;#ASMEND
	s_nop 0
	v_add_f32_e32 v4, v4, v5
	v_add_f32_e32 v1, v1, v4
.LBB307_523:                            ;   in Loop: Header=BB307_524 Depth=1
	s_or_b64 exec, exec, s[12:13]
	v_accvgpr_read_b32 v6, a10
	v_add_u32_e32 v6, 2, v6
	v_accvgpr_read_b32 v4, a3
	v_cmp_ge_i32_e64 s[0:1], v6, v4
	v_lshl_add_u64 v[14:15], v[14:15], 0, 8
	v_add_u32_e32 v7, 64, v7
	v_accvgpr_write_b32 a10, v6
	s_or_b64 s[8:9], s[0:1], s[8:9]
	v_add_u32_e32 v54, 0x100, v54
	s_andn2_b64 exec, exec, s[8:9]
	s_cbranch_execz .LBB307_1053
.LBB307_524:                            ; =>This Inner Loop Header: Depth=1
	ds_read2_b64 v[26:29], v54 offset1:1
	ds_read2_b64 v[32:35], v54 offset0:2 offset1:3
	v_accvgpr_read_b32 v16, a6
	v_accvgpr_read_b32 v37, a5
	;; [unrolled: 1-line block ×3, first 2 shown]
	s_waitcnt lgkmcnt(0)
	;;#ASMSTART
	v_cvt_f16_f32 v4, v26;

	;;#ASMEND
	;;#ASMSTART
	v_cvt_f16_f32 v5, v27;

	;;#ASMEND
	;;#ASMSTART
	v_cvt_f16_f32 v22, v28;

	;;#ASMEND
	;;#ASMSTART
	v_cvt_f16_f32 v26, v29;

	;;#ASMEND
	;;#ASMSTART
	v_cvt_f16_f32 v27, v32;

	;;#ASMEND
	;;#ASMSTART
	v_cvt_f16_f32 v33, v33;

	;;#ASMEND
	;;#ASMSTART
	v_cvt_f16_f32 v48, v34;

	;;#ASMEND
	;;#ASMSTART
	v_cvt_f16_f32 v49, v35;

	;;#ASMEND
	flat_load_dword v6, v[14:15]
	flat_load_dword v32, v[36:37]
                                        ; implicit-def: $sgpr20
	s_waitcnt vmcnt(0) lgkmcnt(0)
	v_mad_i64_i32 v[28:29], s[0:1], v6, v16, v[10:11]
	v_lshl_add_u64 v[30:31], v[28:29], 0, v[18:19]
	flat_load_dwordx2 v[34:35], v[30:31]
	s_mov_b64 s[0:1], 0
	s_waitcnt vmcnt(0) lgkmcnt(0)
	v_cmp_gt_i16_sdwa s[2:3], v34, s5 src0_sel:BYTE_0 src1_sel:DWORD
	s_and_saveexec_b64 s[12:13], s[2:3]
	s_xor_b64 s[2:3], exec, s[12:13]
	s_cbranch_execnz .LBB307_797
; %bb.525:                              ;   in Loop: Header=BB307_524 Depth=1
	s_or_saveexec_b64 s[2:3], s[2:3]
	v_mov_b32_e32 v36, s20
	s_xor_b64 exec, exec, s[2:3]
	s_cbranch_execnz .LBB307_800
.LBB307_526:                            ;   in Loop: Header=BB307_524 Depth=1
	s_or_b64 exec, exec, s[2:3]
	s_and_saveexec_b64 s[2:3], s[0:1]
	s_cbranch_execz .LBB307_528
.LBB307_527:                            ;   in Loop: Header=BB307_524 Depth=1
	v_and_b32_e32 v6, 7, v34
	v_ffbh_u32_e32 v6, v6
	v_bfe_u32 v16, v34, 3, 4
	v_min_u32_e32 v6, 32, v6
	v_subrev_u32_e32 v20, 28, v6
	v_sub_u32_e32 v6, 29, v6
	v_cmp_eq_u32_e64 s[0:1], 0, v16
	s_nop 1
	v_cndmask_b32_e64 v6, v16, v6, s[0:1]
	v_cndmask_b32_e64 v16, 0, v20, s[0:1]
	v_lshlrev_b64 v[36:37], v16, v[34:35]
	v_lshlrev_b32_e32 v20, 8, v34
	v_lshl_add_u32 v6, v6, 10, v55
	v_lshlrev_b32_e32 v16, 7, v36
	v_and_or_b32 v6, v20, s17, v6
	v_and_or_b32 v6, v16, s26, v6
	v_cvt_f32_f16_e32 v36, v6
.LBB307_528:                            ;   in Loop: Header=BB307_524 Depth=1
	s_or_b64 exec, exec, s[2:3]
	v_lshrrev_b16_e32 v20, 8, v34
	v_cmp_lt_i16_e64 s[0:1], s5, v20
	s_mov_b64 s[2:3], 0
                                        ; implicit-def: $sgpr22
	s_and_saveexec_b64 s[12:13], s[0:1]
	s_xor_b64 s[12:13], exec, s[12:13]
	s_cbranch_execnz .LBB307_801
; %bb.529:                              ;   in Loop: Header=BB307_524 Depth=1
	s_or_saveexec_b64 s[12:13], s[12:13]
	v_mov_b32_e32 v38, s22
	s_xor_b64 exec, exec, s[12:13]
	s_cbranch_execnz .LBB307_804
.LBB307_530:                            ;   in Loop: Header=BB307_524 Depth=1
	s_or_b64 exec, exec, s[12:13]
	s_and_saveexec_b64 s[12:13], s[2:3]
	s_cbranch_execz .LBB307_532
.LBB307_531:                            ;   in Loop: Header=BB307_524 Depth=1
	v_and_b32_e32 v6, 7, v20
	v_ffbh_u32_e32 v37, v6
	v_bfe_u32 v16, v20, 3, 4
	v_min_u32_e32 v37, 32, v37
	v_subrev_u32_e32 v38, 28, v37
	v_sub_u32_e32 v37, 29, v37
	v_cmp_eq_u32_e64 s[0:1], 0, v16
	v_lshlrev_b64 v[38:39], v38, v[20:21]
	v_and_b32_e32 v38, 7, v38
	v_cndmask_b32_e64 v16, v16, v37, s[0:1]
	v_lshlrev_b32_e32 v20, 8, v20
	v_lshl_add_u32 v16, v16, 10, v55
	v_cndmask_b32_e64 v6, v6, v38, s[0:1]
	v_and_or_b32 v16, v20, s17, v16
	v_lshl_or_b32 v6, v6, 7, v16
	v_cvt_f32_f16_e32 v38, v6
.LBB307_532:                            ;   in Loop: Header=BB307_524 Depth=1
	s_or_b64 exec, exec, s[12:13]
	v_lshrrev_b32_e32 v20, 16, v34
	v_cmp_gt_i16_sdwa s[2:3], v20, s5 src0_sel:BYTE_0 src1_sel:DWORD
	s_mov_b64 s[0:1], 0
                                        ; implicit-def: $sgpr20
	s_and_saveexec_b64 s[12:13], s[2:3]
	s_xor_b64 s[2:3], exec, s[12:13]
	s_cbranch_execnz .LBB307_805
; %bb.533:                              ;   in Loop: Header=BB307_524 Depth=1
	s_or_saveexec_b64 s[2:3], s[2:3]
	v_mov_b32_e32 v37, s20
	s_xor_b64 exec, exec, s[2:3]
	s_cbranch_execnz .LBB307_808
.LBB307_534:                            ;   in Loop: Header=BB307_524 Depth=1
	s_or_b64 exec, exec, s[2:3]
	s_and_saveexec_b64 s[2:3], s[0:1]
	s_cbranch_execz .LBB307_536
.LBB307_535:                            ;   in Loop: Header=BB307_524 Depth=1
	v_bfe_u32 v6, v34, 16, 3
	v_ffbh_u32_e32 v37, v6
	v_bfe_u32 v16, v34, 19, 4
	v_min_u32_e32 v37, 32, v37
	v_subrev_u32_e32 v39, 28, v37
	v_sub_u32_e32 v37, 29, v37
	v_cmp_eq_u32_e64 s[0:1], 0, v16
	v_lshlrev_b64 v[40:41], v39, v[20:21]
	v_and_b32_e32 v39, 7, v40
	v_cndmask_b32_e64 v16, v16, v37, s[0:1]
	v_lshlrev_b32_e32 v20, 8, v20
	v_lshl_add_u32 v16, v16, 10, v55
	v_cndmask_b32_e64 v6, v6, v39, s[0:1]
	v_and_or_b32 v16, v20, s17, v16
	v_lshl_or_b32 v6, v6, 7, v16
	v_cvt_f32_f16_e32 v37, v6
.LBB307_536:                            ;   in Loop: Header=BB307_524 Depth=1
	s_or_b64 exec, exec, s[2:3]
	v_lshrrev_b32_e32 v20, 24, v34
	v_cmp_lt_i16_e64 s[0:1], s5, v20
	s_mov_b64 s[2:3], 0
                                        ; implicit-def: $sgpr22
	s_and_saveexec_b64 s[12:13], s[0:1]
	s_xor_b64 s[12:13], exec, s[12:13]
	s_cbranch_execnz .LBB307_809
; %bb.537:                              ;   in Loop: Header=BB307_524 Depth=1
	s_or_saveexec_b64 s[12:13], s[12:13]
	v_mov_b32_e32 v39, s22
	s_xor_b64 exec, exec, s[12:13]
	s_cbranch_execnz .LBB307_812
.LBB307_538:                            ;   in Loop: Header=BB307_524 Depth=1
	s_or_b64 exec, exec, s[12:13]
	s_and_saveexec_b64 s[12:13], s[2:3]
	s_cbranch_execz .LBB307_540
.LBB307_539:                            ;   in Loop: Header=BB307_524 Depth=1
	v_bfe_u32 v6, v34, 24, 3
	v_bfe_u32 v16, v34, 27, 4
	v_ffbh_u32_e32 v34, v6
	v_min_u32_e32 v34, 32, v34
	v_subrev_u32_e32 v39, 28, v34
	v_sub_u32_e32 v34, 29, v34
	v_cmp_eq_u32_e64 s[0:1], 0, v16
	v_lshlrev_b64 v[40:41], v39, v[20:21]
	v_and_b32_e32 v39, 7, v40
	v_cndmask_b32_e64 v16, v16, v34, s[0:1]
	v_lshlrev_b32_e32 v20, 8, v20
	v_lshl_add_u32 v16, v16, 10, v55
	v_cndmask_b32_e64 v6, v6, v39, s[0:1]
	v_and_or_b32 v16, v20, s17, v16
	v_lshl_or_b32 v6, v6, 7, v16
	v_cvt_f32_f16_e32 v39, v6
.LBB307_540:                            ;   in Loop: Header=BB307_524 Depth=1
	s_or_b64 exec, exec, s[12:13]
	v_cmp_gt_i16_sdwa s[2:3], v35, s5 src0_sel:BYTE_0 src1_sel:DWORD
	s_mov_b64 s[0:1], 0
                                        ; implicit-def: $sgpr20
	s_and_saveexec_b64 s[12:13], s[2:3]
	s_xor_b64 s[2:3], exec, s[12:13]
	s_cbranch_execnz .LBB307_813
; %bb.541:                              ;   in Loop: Header=BB307_524 Depth=1
	s_or_saveexec_b64 s[2:3], s[2:3]
	v_mov_b32_e32 v6, s20
	s_xor_b64 exec, exec, s[2:3]
	s_cbranch_execnz .LBB307_816
.LBB307_542:                            ;   in Loop: Header=BB307_524 Depth=1
	s_or_b64 exec, exec, s[2:3]
	v_mov_b32_e32 v20, v35
	s_and_saveexec_b64 s[2:3], s[0:1]
	s_cbranch_execz .LBB307_544
.LBB307_543:                            ;   in Loop: Header=BB307_524 Depth=1
	v_and_b32_e32 v6, 7, v35
	v_ffbh_u32_e32 v6, v6
	v_bfe_u32 v16, v35, 3, 4
	v_min_u32_e32 v6, 32, v6
	v_subrev_u32_e32 v34, 28, v6
	v_sub_u32_e32 v6, 29, v6
	v_cmp_eq_u32_e64 s[0:1], 0, v16
	s_nop 1
	v_cndmask_b32_e64 v6, v16, v6, s[0:1]
	v_cndmask_b32_e64 v16, 0, v34, s[0:1]
	v_lshlrev_b64 v[40:41], v16, v[20:21]
	v_lshlrev_b32_e32 v34, 8, v35
	v_lshl_add_u32 v6, v6, 10, v55
	v_lshlrev_b32_e32 v16, 7, v40
	v_and_or_b32 v6, v34, s17, v6
	v_and_or_b32 v6, v16, s26, v6
	v_cvt_f32_f16_e32 v6, v6
.LBB307_544:                            ;   in Loop: Header=BB307_524 Depth=1
	s_or_b64 exec, exec, s[2:3]
	v_lshrrev_b16_e32 v20, 8, v20
	v_cmp_lt_i16_e64 s[0:1], s5, v20
	s_mov_b64 s[2:3], 0
                                        ; implicit-def: $sgpr22
	s_and_saveexec_b64 s[12:13], s[0:1]
	s_xor_b64 s[12:13], exec, s[12:13]
	s_cbranch_execnz .LBB307_817
; %bb.545:                              ;   in Loop: Header=BB307_524 Depth=1
	s_or_saveexec_b64 s[12:13], s[12:13]
	v_mov_b32_e32 v34, s22
	s_xor_b64 exec, exec, s[12:13]
	s_cbranch_execnz .LBB307_820
.LBB307_546:                            ;   in Loop: Header=BB307_524 Depth=1
	s_or_b64 exec, exec, s[12:13]
	s_and_saveexec_b64 s[12:13], s[2:3]
	s_cbranch_execz .LBB307_548
.LBB307_547:                            ;   in Loop: Header=BB307_524 Depth=1
	v_and_b32_e32 v16, 7, v20
	v_ffbh_u32_e32 v40, v16
	v_min_u32_e32 v42, 32, v40
	v_subrev_u32_e32 v40, 28, v42
	v_bfe_u32 v34, v20, 3, 4
	v_lshlrev_b64 v[40:41], v40, v[20:21]
	v_sub_u32_e32 v41, 29, v42
	v_cmp_eq_u32_e64 s[0:1], 0, v34
	v_and_b32_e32 v40, 7, v40
	v_lshlrev_b32_e32 v20, 8, v20
	v_cndmask_b32_e64 v34, v34, v41, s[0:1]
	v_lshl_add_u32 v34, v34, 10, v55
	v_cndmask_b32_e64 v16, v16, v40, s[0:1]
	v_and_or_b32 v20, v20, s17, v34
	v_lshl_or_b32 v16, v16, 7, v20
	v_cvt_f32_f16_e32 v34, v16
.LBB307_548:                            ;   in Loop: Header=BB307_524 Depth=1
	s_or_b64 exec, exec, s[12:13]
	v_lshrrev_b32_e32 v20, 16, v35
	v_cmp_gt_i16_sdwa s[2:3], v20, s5 src0_sel:BYTE_0 src1_sel:DWORD
	s_mov_b64 s[0:1], 0
                                        ; implicit-def: $sgpr20
	s_and_saveexec_b64 s[12:13], s[2:3]
	s_xor_b64 s[2:3], exec, s[12:13]
	s_cbranch_execnz .LBB307_821
; %bb.549:                              ;   in Loop: Header=BB307_524 Depth=1
	s_or_saveexec_b64 s[2:3], s[2:3]
	v_mov_b32_e32 v40, s20
	s_xor_b64 exec, exec, s[2:3]
	s_cbranch_execnz .LBB307_824
.LBB307_550:                            ;   in Loop: Header=BB307_524 Depth=1
	s_or_b64 exec, exec, s[2:3]
	s_and_saveexec_b64 s[2:3], s[0:1]
	s_cbranch_execz .LBB307_552
.LBB307_551:                            ;   in Loop: Header=BB307_524 Depth=1
	v_bfe_u32 v16, v35, 16, 3
	v_ffbh_u32_e32 v40, v16
	v_min_u32_e32 v43, 32, v40
	v_subrev_u32_e32 v40, 28, v43
	v_bfe_u32 v42, v35, 19, 4
	v_lshlrev_b64 v[40:41], v40, v[20:21]
	v_sub_u32_e32 v41, 29, v43
	v_cmp_eq_u32_e64 s[0:1], 0, v42
	v_and_b32_e32 v40, 7, v40
	v_lshlrev_b32_e32 v20, 8, v20
	v_cndmask_b32_e64 v41, v42, v41, s[0:1]
	v_cndmask_b32_e64 v16, v16, v40, s[0:1]
	v_lshl_add_u32 v40, v41, 10, v55
	v_and_or_b32 v20, v20, s17, v40
	v_lshl_or_b32 v16, v16, 7, v20
	v_cvt_f32_f16_e32 v40, v16
.LBB307_552:                            ;   in Loop: Header=BB307_524 Depth=1
	s_or_b64 exec, exec, s[2:3]
	v_lshrrev_b32_e32 v20, 24, v35
	v_cmp_lt_i16_e64 s[0:1], s5, v20
	s_mov_b64 s[2:3], 0
                                        ; implicit-def: $sgpr22
	s_and_saveexec_b64 s[12:13], s[0:1]
	s_xor_b64 s[12:13], exec, s[12:13]
	s_cbranch_execnz .LBB307_825
; %bb.553:                              ;   in Loop: Header=BB307_524 Depth=1
	s_or_saveexec_b64 s[12:13], s[12:13]
	v_mov_b32_e32 v41, s22
	s_xor_b64 exec, exec, s[12:13]
	s_cbranch_execnz .LBB307_828
.LBB307_554:                            ;   in Loop: Header=BB307_524 Depth=1
	s_or_b64 exec, exec, s[12:13]
	s_and_saveexec_b64 s[12:13], s[2:3]
	s_cbranch_execz .LBB307_556
.LBB307_555:                            ;   in Loop: Header=BB307_524 Depth=1
	v_bfe_u32 v16, v35, 24, 3
	v_ffbh_u32_e32 v41, v16
	v_bfe_u32 v35, v35, 27, 4
	v_min_u32_e32 v41, 32, v41
	v_subrev_u32_e32 v42, 28, v41
	v_sub_u32_e32 v41, 29, v41
	v_cmp_eq_u32_e64 s[0:1], 0, v35
	v_lshlrev_b64 v[42:43], v42, v[20:21]
	v_and_b32_e32 v42, 7, v42
	v_cndmask_b32_e64 v35, v35, v41, s[0:1]
	v_lshlrev_b32_e32 v20, 8, v20
	v_lshl_add_u32 v35, v35, 10, v55
	v_cndmask_b32_e64 v16, v16, v42, s[0:1]
	v_and_or_b32 v20, v20, s17, v35
	v_lshl_or_b32 v16, v16, 7, v20
	v_cvt_f32_f16_e32 v41, v16
.LBB307_556:                            ;   in Loop: Header=BB307_524 Depth=1
	s_or_b64 exec, exec, s[12:13]
	v_pk_mul_f32 v[38:39], v[32:33], v[38:39] op_sel_hi:[0,1]
	v_pk_mul_f32 v[36:37], v[32:33], v[36:37] op_sel_hi:[0,1]
	v_cvt_f16_f32_e32 v16, v39
	v_cvt_f16_f32_e32 v20, v38
	;; [unrolled: 1-line block ×4, first 2 shown]
	v_fma_mixlo_f16 v6, v32, v6, 0
	v_pack_b32_f16 v16, v20, v16
	v_accvgpr_read_b32 v38, a10
	v_pack_b32_f16 v35, v36, v35
	v_perm_b32 v20, v35, v16, s27
	v_perm_b32 v35, v35, v16, s28
	v_fma_mixlo_f16 v16, v32, v34, 0
	v_lshlrev_b32_e32 v16, 16, v16
	v_or_b32_sdwa v6, v16, v6 dst_sel:DWORD dst_unused:UNUSED_PAD src0_sel:DWORD src1_sel:WORD_0
	v_fma_mixlo_f16 v16, v32, v41, 0
	v_fma_mixlo_f16 v34, v32, v40, 0
	v_lshlrev_b32_e32 v16, 16, v16
	v_cmp_eq_u32_e64 s[0:1], v53, v38
	v_or_b32_sdwa v32, v16, v34 dst_sel:DWORD dst_unused:UNUSED_PAD src0_sel:DWORD src1_sel:WORD_0
	s_and_saveexec_b64 s[12:13], s[0:1]
	s_cbranch_execz .LBB307_558
; %bb.557:                              ;   in Loop: Header=BB307_524 Depth=1
	v_add_u32_e32 v16, 1, v7
	v_lshrrev_b32_e32 v36, 16, v35
	v_cmp_lt_i32_e64 s[2:3], v16, v17
	v_accvgpr_read_b32 v38, a8
	v_lshrrev_b32_e32 v37, 16, v20
	v_cndmask_b32_e64 v16, 0, v36, s[2:3]
	v_cmp_lt_i32_e64 s[2:3], v7, v38
	v_or_b32_e32 v36, 2, v7
	v_lshrrev_b32_e32 v32, 16, v32
	v_cndmask_b32_e64 v35, 0, v35, s[2:3]
	v_perm_b32 v35, v16, v35, s29
	v_or_b32_e32 v16, 3, v7
	v_cmp_lt_i32_e64 s[2:3], v16, v17
	s_nop 1
	v_cndmask_b32_e64 v16, 0, v37, s[2:3]
	v_cmp_lt_i32_e64 s[2:3], v36, v38
	v_or_b32_e32 v36, 4, v7
	v_lshrrev_b32_e32 v37, 16, v6
	v_cndmask_b32_e64 v20, 0, v20, s[2:3]
	v_perm_b32 v20, v16, v20, s29
	v_or_b32_e32 v16, 5, v7
	v_cmp_lt_i32_e64 s[2:3], v16, v17
	s_nop 1
	v_cndmask_b32_e64 v16, 0, v37, s[2:3]
	v_cmp_lt_i32_e64 s[2:3], v36, v38
	v_or_b32_e32 v36, 6, v7
	s_nop 0
	v_cndmask_b32_e64 v6, 0, v6, s[2:3]
	v_perm_b32 v6, v16, v6, s29
	v_or_b32_e32 v16, 7, v7
	v_cmp_lt_i32_e64 s[2:3], v16, v17
	s_nop 1
	v_cndmask_b32_e64 v16, 0, v32, s[2:3]
	v_cmp_lt_i32_e64 s[2:3], v36, v38
	s_nop 1
	v_cndmask_b32_e64 v32, 0, v34, s[2:3]
	v_perm_b32 v32, v16, v32, s29
.LBB307_558:                            ;   in Loop: Header=BB307_524 Depth=1
	s_or_b64 exec, exec, s[12:13]
	v_and_b32_e32 v4, 0xffff, v4
	v_lshl_or_b32 v43, v5, 16, v4
	v_and_b32_e32 v4, 0xffff, v22
	v_lshl_or_b32 v42, v26, 16, v4
	;; [unrolled: 2-line block ×4, first 2 shown]
	;;#ASMSTART
	v_pk_mul_f16 v4, v43, v35;

	;;#ASMEND
	;;#ASMSTART
	v_pk_mul_f16 v5, v42, v20;

	;;#ASMEND
	;; [unrolled: 4-line block ×4, first 2 shown]
	s_mov_b64 s[2:3], 0
	;;#ASMSTART
	v_pk_add_f16 v4, v4, v5;

	;;#ASMEND
                                        ; implicit-def: $sgpr22
	s_nop 0
	;;#ASMSTART
	v_pk_add_f16 v4, v4, v6;

	;;#ASMEND
	s_nop 0
	;;#ASMSTART
	v_pk_add_f16 v4, v4, v16;

	;;#ASMEND
	s_nop 0
	v_lshrrev_b32_e32 v5, 16, v4
	v_and_b32_e32 v4, 0xffff, v4
	;;#ASMSTART
	v_cvt_f32_f16 v44, v4;
	;;#ASMEND
	;;#ASMSTART
	v_cvt_f32_f16 v45, v5;
	;;#ASMEND
	v_accvgpr_read_b32 v4, a4
	flat_load_dwordx2 v[34:35], v[30:31] offset:512
	v_accvgpr_read_b32 v5, a5
	flat_load_dword v32, v[4:5]
	s_waitcnt vmcnt(0) lgkmcnt(0)
	v_cmp_gt_i16_sdwa s[12:13], v34, s5 src0_sel:BYTE_0 src1_sel:DWORD
	s_and_saveexec_b64 s[20:21], s[12:13]
	s_xor_b64 s[12:13], exec, s[20:21]
	s_cbranch_execnz .LBB307_829
; %bb.559:                              ;   in Loop: Header=BB307_524 Depth=1
	s_or_saveexec_b64 s[12:13], s[12:13]
	v_mov_b32_e32 v36, s22
	s_xor_b64 exec, exec, s[12:13]
	s_cbranch_execnz .LBB307_832
.LBB307_560:                            ;   in Loop: Header=BB307_524 Depth=1
	s_or_b64 exec, exec, s[12:13]
	s_and_saveexec_b64 s[12:13], s[2:3]
	s_cbranch_execz .LBB307_562
.LBB307_561:                            ;   in Loop: Header=BB307_524 Depth=1
	v_and_b32_e32 v4, 7, v34
	v_ffbh_u32_e32 v4, v4
	v_bfe_u32 v5, v34, 3, 4
	v_min_u32_e32 v4, 32, v4
	v_subrev_u32_e32 v6, 28, v4
	v_sub_u32_e32 v4, 29, v4
	v_cmp_eq_u32_e64 s[2:3], 0, v5
	s_nop 1
	v_cndmask_b32_e64 v16, v5, v4, s[2:3]
	v_cndmask_b32_e64 v4, 0, v6, s[2:3]
	v_lshlrev_b64 v[4:5], v4, v[34:35]
	v_lshlrev_b32_e32 v5, 8, v34
	v_lshl_add_u32 v6, v16, 10, v55
	v_lshlrev_b32_e32 v4, 7, v4
	v_and_or_b32 v5, v5, s17, v6
	v_and_or_b32 v4, v4, s26, v5
	v_cvt_f32_f16_e32 v36, v4
.LBB307_562:                            ;   in Loop: Header=BB307_524 Depth=1
	s_or_b64 exec, exec, s[12:13]
	v_lshrrev_b16_e32 v20, 8, v34
	v_cmp_lt_i16_e64 s[2:3], s5, v20
	s_mov_b64 s[12:13], 0
                                        ; implicit-def: $sgpr24
	s_and_saveexec_b64 s[20:21], s[2:3]
	s_xor_b64 s[20:21], exec, s[20:21]
	s_cbranch_execnz .LBB307_833
; %bb.563:                              ;   in Loop: Header=BB307_524 Depth=1
	s_or_saveexec_b64 s[20:21], s[20:21]
	v_mov_b32_e32 v38, s24
	s_xor_b64 exec, exec, s[20:21]
	s_cbranch_execnz .LBB307_836
.LBB307_564:                            ;   in Loop: Header=BB307_524 Depth=1
	s_or_b64 exec, exec, s[20:21]
	s_and_saveexec_b64 s[20:21], s[12:13]
	s_cbranch_execz .LBB307_566
.LBB307_565:                            ;   in Loop: Header=BB307_524 Depth=1
	v_and_b32_e32 v6, 7, v20
	v_ffbh_u32_e32 v4, v6
	v_min_u32_e32 v22, 32, v4
	v_subrev_u32_e32 v4, 28, v22
	v_bfe_u32 v16, v20, 3, 4
	v_lshlrev_b64 v[4:5], v4, v[20:21]
	v_sub_u32_e32 v5, 29, v22
	v_cmp_eq_u32_e64 s[2:3], 0, v16
	v_and_b32_e32 v4, 7, v4
	s_nop 0
	v_cndmask_b32_e64 v5, v16, v5, s[2:3]
	v_cndmask_b32_e64 v4, v6, v4, s[2:3]
	v_lshlrev_b32_e32 v6, 8, v20
	v_lshl_add_u32 v5, v5, 10, v55
	v_and_or_b32 v5, v6, s17, v5
	v_lshl_or_b32 v4, v4, 7, v5
	v_cvt_f32_f16_e32 v38, v4
.LBB307_566:                            ;   in Loop: Header=BB307_524 Depth=1
	s_or_b64 exec, exec, s[20:21]
	v_lshrrev_b32_e32 v20, 16, v34
	v_cmp_gt_i16_sdwa s[12:13], v20, s5 src0_sel:BYTE_0 src1_sel:DWORD
	s_mov_b64 s[2:3], 0
                                        ; implicit-def: $sgpr22
	s_and_saveexec_b64 s[20:21], s[12:13]
	s_xor_b64 s[12:13], exec, s[20:21]
	s_cbranch_execnz .LBB307_837
; %bb.567:                              ;   in Loop: Header=BB307_524 Depth=1
	s_or_saveexec_b64 s[12:13], s[12:13]
	v_mov_b32_e32 v37, s22
	s_xor_b64 exec, exec, s[12:13]
	s_cbranch_execnz .LBB307_840
.LBB307_568:                            ;   in Loop: Header=BB307_524 Depth=1
	s_or_b64 exec, exec, s[12:13]
	s_and_saveexec_b64 s[12:13], s[2:3]
	s_cbranch_execz .LBB307_570
.LBB307_569:                            ;   in Loop: Header=BB307_524 Depth=1
	v_bfe_u32 v6, v34, 16, 3
	v_ffbh_u32_e32 v4, v6
	v_min_u32_e32 v22, 32, v4
	v_subrev_u32_e32 v4, 28, v22
	v_bfe_u32 v16, v34, 19, 4
	v_lshlrev_b64 v[4:5], v4, v[20:21]
	v_sub_u32_e32 v5, 29, v22
	v_cmp_eq_u32_e64 s[2:3], 0, v16
	v_and_b32_e32 v4, 7, v4
	s_nop 0
	v_cndmask_b32_e64 v5, v16, v5, s[2:3]
	v_cndmask_b32_e64 v4, v6, v4, s[2:3]
	v_lshlrev_b32_e32 v6, 8, v20
	v_lshl_add_u32 v5, v5, 10, v55
	v_and_or_b32 v5, v6, s17, v5
	v_lshl_or_b32 v4, v4, 7, v5
	v_cvt_f32_f16_e32 v37, v4
.LBB307_570:                            ;   in Loop: Header=BB307_524 Depth=1
	s_or_b64 exec, exec, s[12:13]
	v_lshrrev_b32_e32 v20, 24, v34
	v_cmp_lt_i16_e64 s[2:3], s5, v20
	s_mov_b64 s[12:13], 0
                                        ; implicit-def: $sgpr24
	s_and_saveexec_b64 s[20:21], s[2:3]
	s_xor_b64 s[20:21], exec, s[20:21]
	s_cbranch_execnz .LBB307_841
; %bb.571:                              ;   in Loop: Header=BB307_524 Depth=1
	s_or_saveexec_b64 s[20:21], s[20:21]
	v_mov_b32_e32 v39, s24
	s_xor_b64 exec, exec, s[20:21]
	s_cbranch_execnz .LBB307_844
.LBB307_572:                            ;   in Loop: Header=BB307_524 Depth=1
	s_or_b64 exec, exec, s[20:21]
	s_and_saveexec_b64 s[20:21], s[12:13]
	s_cbranch_execz .LBB307_574
.LBB307_573:                            ;   in Loop: Header=BB307_524 Depth=1
	v_bfe_u32 v6, v34, 24, 3
	v_ffbh_u32_e32 v4, v6
	v_min_u32_e32 v22, 32, v4
	v_subrev_u32_e32 v4, 28, v22
	v_bfe_u32 v16, v34, 27, 4
	v_lshlrev_b64 v[4:5], v4, v[20:21]
	v_sub_u32_e32 v5, 29, v22
	v_cmp_eq_u32_e64 s[2:3], 0, v16
	v_and_b32_e32 v4, 7, v4
	s_nop 0
	v_cndmask_b32_e64 v5, v16, v5, s[2:3]
	v_cndmask_b32_e64 v4, v6, v4, s[2:3]
	v_lshlrev_b32_e32 v6, 8, v20
	v_lshl_add_u32 v5, v5, 10, v55
	v_and_or_b32 v5, v6, s17, v5
	v_lshl_or_b32 v4, v4, 7, v5
	v_cvt_f32_f16_e32 v39, v4
.LBB307_574:                            ;   in Loop: Header=BB307_524 Depth=1
	s_or_b64 exec, exec, s[20:21]
	v_cmp_gt_i16_sdwa s[12:13], v35, s5 src0_sel:BYTE_0 src1_sel:DWORD
	s_mov_b64 s[2:3], 0
                                        ; implicit-def: $sgpr22
	s_and_saveexec_b64 s[20:21], s[12:13]
	s_xor_b64 s[12:13], exec, s[20:21]
	s_cbranch_execnz .LBB307_845
; %bb.575:                              ;   in Loop: Header=BB307_524 Depth=1
	s_or_saveexec_b64 s[12:13], s[12:13]
	v_mov_b32_e32 v4, s22
	s_xor_b64 exec, exec, s[12:13]
	s_cbranch_execnz .LBB307_848
.LBB307_576:                            ;   in Loop: Header=BB307_524 Depth=1
	s_or_b64 exec, exec, s[12:13]
	v_mov_b32_e32 v20, v35
	s_and_saveexec_b64 s[12:13], s[2:3]
	s_cbranch_execz .LBB307_578
.LBB307_577:                            ;   in Loop: Header=BB307_524 Depth=1
	v_and_b32_e32 v4, 7, v35
	v_ffbh_u32_e32 v4, v4
	v_bfe_u32 v5, v35, 3, 4
	v_min_u32_e32 v4, 32, v4
	v_subrev_u32_e32 v6, 28, v4
	v_sub_u32_e32 v4, 29, v4
	v_cmp_eq_u32_e64 s[2:3], 0, v5
	s_nop 1
	v_cndmask_b32_e64 v16, v5, v4, s[2:3]
	v_cndmask_b32_e64 v4, 0, v6, s[2:3]
	v_lshlrev_b64 v[4:5], v4, v[20:21]
	v_lshlrev_b32_e32 v5, 8, v35
	v_lshl_add_u32 v6, v16, 10, v55
	v_lshlrev_b32_e32 v4, 7, v4
	v_and_or_b32 v5, v5, s17, v6
	v_and_or_b32 v4, v4, s26, v5
	v_cvt_f32_f16_e32 v4, v4
.LBB307_578:                            ;   in Loop: Header=BB307_524 Depth=1
	s_or_b64 exec, exec, s[12:13]
	v_lshrrev_b16_e32 v20, 8, v20
	v_cmp_lt_i16_e64 s[2:3], s5, v20
	s_mov_b64 s[12:13], 0
                                        ; implicit-def: $sgpr24
	s_and_saveexec_b64 s[20:21], s[2:3]
	s_xor_b64 s[20:21], exec, s[20:21]
	s_cbranch_execnz .LBB307_849
; %bb.579:                              ;   in Loop: Header=BB307_524 Depth=1
	s_or_saveexec_b64 s[20:21], s[20:21]
	v_mov_b32_e32 v5, s24
	s_xor_b64 exec, exec, s[20:21]
	s_cbranch_execnz .LBB307_852
.LBB307_580:                            ;   in Loop: Header=BB307_524 Depth=1
	s_or_b64 exec, exec, s[20:21]
	s_and_saveexec_b64 s[20:21], s[12:13]
	s_cbranch_execz .LBB307_582
.LBB307_581:                            ;   in Loop: Header=BB307_524 Depth=1
	v_and_b32_e32 v5, 7, v20
	v_ffbh_u32_e32 v16, v5
	v_bfe_u32 v6, v20, 3, 4
	v_min_u32_e32 v16, 32, v16
	v_subrev_u32_e32 v22, 28, v16
	v_sub_u32_e32 v16, 29, v16
	v_cmp_eq_u32_e64 s[2:3], 0, v6
	v_lshlrev_b64 v[26:27], v22, v[20:21]
	v_and_b32_e32 v22, 7, v26
	v_cndmask_b32_e64 v6, v6, v16, s[2:3]
	v_lshlrev_b32_e32 v16, 8, v20
	v_lshl_add_u32 v6, v6, 10, v55
	v_cndmask_b32_e64 v5, v5, v22, s[2:3]
	v_and_or_b32 v6, v16, s17, v6
	v_lshl_or_b32 v5, v5, 7, v6
	v_cvt_f32_f16_e32 v5, v5
.LBB307_582:                            ;   in Loop: Header=BB307_524 Depth=1
	s_or_b64 exec, exec, s[20:21]
	v_lshrrev_b32_e32 v20, 16, v35
	v_cmp_gt_i16_sdwa s[12:13], v20, s5 src0_sel:BYTE_0 src1_sel:DWORD
	s_mov_b64 s[2:3], 0
                                        ; implicit-def: $sgpr22
	s_and_saveexec_b64 s[20:21], s[12:13]
	s_xor_b64 s[12:13], exec, s[20:21]
	s_cbranch_execnz .LBB307_853
; %bb.583:                              ;   in Loop: Header=BB307_524 Depth=1
	s_or_saveexec_b64 s[12:13], s[12:13]
	v_mov_b32_e32 v6, s22
	s_xor_b64 exec, exec, s[12:13]
	s_cbranch_execnz .LBB307_856
.LBB307_584:                            ;   in Loop: Header=BB307_524 Depth=1
	s_or_b64 exec, exec, s[12:13]
	s_and_saveexec_b64 s[12:13], s[2:3]
	s_cbranch_execz .LBB307_586
.LBB307_585:                            ;   in Loop: Header=BB307_524 Depth=1
	v_bfe_u32 v6, v35, 16, 3
	v_ffbh_u32_e32 v22, v6
	v_bfe_u32 v16, v35, 19, 4
	v_min_u32_e32 v22, 32, v22
	v_subrev_u32_e32 v26, 28, v22
	v_sub_u32_e32 v22, 29, v22
	v_cmp_eq_u32_e64 s[2:3], 0, v16
	v_lshlrev_b64 v[26:27], v26, v[20:21]
	v_and_b32_e32 v26, 7, v26
	v_cndmask_b32_e64 v16, v16, v22, s[2:3]
	v_lshlrev_b32_e32 v20, 8, v20
	v_lshl_add_u32 v16, v16, 10, v55
	v_cndmask_b32_e64 v6, v6, v26, s[2:3]
	v_and_or_b32 v16, v20, s17, v16
	v_lshl_or_b32 v6, v6, 7, v16
	v_cvt_f32_f16_e32 v6, v6
.LBB307_586:                            ;   in Loop: Header=BB307_524 Depth=1
	s_or_b64 exec, exec, s[12:13]
	v_lshrrev_b32_e32 v20, 24, v35
	v_cmp_lt_i16_e64 s[2:3], s5, v20
	s_mov_b64 s[12:13], 0
                                        ; implicit-def: $sgpr24
	s_and_saveexec_b64 s[20:21], s[2:3]
	s_xor_b64 s[20:21], exec, s[20:21]
	s_cbranch_execnz .LBB307_857
; %bb.587:                              ;   in Loop: Header=BB307_524 Depth=1
	s_or_saveexec_b64 s[20:21], s[20:21]
	v_mov_b32_e32 v26, s24
	s_xor_b64 exec, exec, s[20:21]
	s_cbranch_execnz .LBB307_860
.LBB307_588:                            ;   in Loop: Header=BB307_524 Depth=1
	s_or_b64 exec, exec, s[20:21]
	s_and_saveexec_b64 s[20:21], s[12:13]
	s_cbranch_execz .LBB307_590
.LBB307_589:                            ;   in Loop: Header=BB307_524 Depth=1
	v_bfe_u32 v16, v35, 24, 3
	v_ffbh_u32_e32 v26, v16
	v_min_u32_e32 v33, 32, v26
	v_subrev_u32_e32 v26, 28, v33
	v_bfe_u32 v22, v35, 27, 4
	v_lshlrev_b64 v[26:27], v26, v[20:21]
	v_sub_u32_e32 v27, 29, v33
	v_cmp_eq_u32_e64 s[2:3], 0, v22
	v_and_b32_e32 v26, 7, v26
	v_lshlrev_b32_e32 v20, 8, v20
	v_cndmask_b32_e64 v22, v22, v27, s[2:3]
	v_lshl_add_u32 v22, v22, 10, v55
	v_cndmask_b32_e64 v16, v16, v26, s[2:3]
	v_and_or_b32 v20, v20, s17, v22
	v_lshl_or_b32 v16, v16, 7, v20
	v_cvt_f32_f16_e32 v26, v16
.LBB307_590:                            ;   in Loop: Header=BB307_524 Depth=1
	s_or_b64 exec, exec, s[20:21]
	v_pk_mul_f32 v[34:35], v[32:33], v[38:39] op_sel_hi:[0,1]
	v_pk_mul_f32 v[36:37], v[32:33], v[36:37] op_sel_hi:[0,1]
	v_cvt_f16_f32_e32 v16, v35
	v_cvt_f16_f32_e32 v20, v34
	;; [unrolled: 1-line block ×4, first 2 shown]
	v_fma_mixlo_f16 v5, v32, v5, 0
	v_lshlrev_b32_e32 v5, 16, v5
	v_fma_mixlo_f16 v4, v32, v4, 0
	v_or_b32_sdwa v4, v5, v4 dst_sel:DWORD dst_unused:UNUSED_PAD src0_sel:DWORD src1_sel:WORD_0
	v_fma_mixlo_f16 v5, v32, v26, 0
	v_pack_b32_f16 v16, v20, v16
	v_pack_b32_f16 v22, v27, v22
	v_fma_mixlo_f16 v6, v32, v6, 0
	v_lshlrev_b32_e32 v5, 16, v5
	v_perm_b32 v20, v22, v16, s27
	v_perm_b32 v22, v22, v16, s28
	v_or_b32_sdwa v5, v5, v6 dst_sel:DWORD dst_unused:UNUSED_PAD src0_sel:DWORD src1_sel:WORD_0
	s_and_saveexec_b64 s[12:13], s[0:1]
	s_cbranch_execz .LBB307_592
; %bb.591:                              ;   in Loop: Header=BB307_524 Depth=1
	v_add_u32_e32 v16, 1, v7
	v_lshrrev_b32_e32 v26, 16, v22
	v_cmp_lt_i32_e64 s[2:3], v16, v17
	v_accvgpr_read_b32 v32, a8
	v_lshrrev_b32_e32 v27, 16, v20
	v_cndmask_b32_e64 v16, 0, v26, s[2:3]
	v_cmp_lt_i32_e64 s[2:3], v7, v32
	v_or_b32_e32 v26, 2, v7
	v_lshrrev_b32_e32 v5, 16, v5
	v_cndmask_b32_e64 v22, 0, v22, s[2:3]
	v_perm_b32 v22, v16, v22, s29
	v_or_b32_e32 v16, 3, v7
	v_cmp_lt_i32_e64 s[2:3], v16, v17
	s_nop 1
	v_cndmask_b32_e64 v16, 0, v27, s[2:3]
	v_cmp_lt_i32_e64 s[2:3], v26, v32
	v_or_b32_e32 v26, 4, v7
	v_lshrrev_b32_e32 v27, 16, v4
	v_cndmask_b32_e64 v20, 0, v20, s[2:3]
	v_perm_b32 v20, v16, v20, s29
	v_or_b32_e32 v16, 5, v7
	v_cmp_lt_i32_e64 s[2:3], v16, v17
	s_nop 1
	v_cndmask_b32_e64 v16, 0, v27, s[2:3]
	v_cmp_lt_i32_e64 s[2:3], v26, v32
	v_or_b32_e32 v26, 6, v7
	s_nop 0
	v_cndmask_b32_e64 v4, 0, v4, s[2:3]
	v_perm_b32 v4, v16, v4, s29
	v_or_b32_e32 v16, 7, v7
	v_cmp_lt_i32_e64 s[2:3], v16, v17
	s_nop 1
	v_cndmask_b32_e64 v5, 0, v5, s[2:3]
	v_cmp_lt_i32_e64 s[2:3], v26, v32
	s_nop 1
	v_cndmask_b32_e64 v6, 0, v6, s[2:3]
	v_perm_b32 v5, v5, v6, s29
.LBB307_592:                            ;   in Loop: Header=BB307_524 Depth=1
	s_or_b64 exec, exec, s[12:13]
	;;#ASMSTART
	v_pk_mul_f16 v6, v43, v22;

	;;#ASMEND
	;;#ASMSTART
	v_pk_mul_f16 v16, v42, v20;

	;;#ASMEND
	;; [unrolled: 4-line block ×4, first 2 shown]
	s_mov_b64 s[2:3], 0
	;;#ASMSTART
	v_pk_add_f16 v6, v6, v16;

	;;#ASMEND
                                        ; implicit-def: $sgpr22
	s_nop 0
	;;#ASMSTART
	v_pk_add_f16 v4, v6, v4;

	;;#ASMEND
	s_nop 0
	;;#ASMSTART
	v_pk_add_f16 v4, v4, v5;

	;;#ASMEND
	s_nop 0
	v_lshrrev_b32_e32 v5, 16, v4
	v_and_b32_e32 v4, 0xffff, v4
	;;#ASMSTART
	v_cvt_f32_f16 v46, v4;
	;;#ASMEND
	;;#ASMSTART
	v_cvt_f32_f16 v47, v5;
	;;#ASMEND
	v_accvgpr_read_b32 v4, a4
	flat_load_dwordx2 v[34:35], v[30:31] offset:1024
	v_accvgpr_read_b32 v5, a5
	flat_load_dword v32, v[4:5]
	s_waitcnt vmcnt(0) lgkmcnt(0)
	v_cmp_gt_i16_sdwa s[12:13], v34, s5 src0_sel:BYTE_0 src1_sel:DWORD
	s_and_saveexec_b64 s[20:21], s[12:13]
	s_xor_b64 s[12:13], exec, s[20:21]
	s_cbranch_execnz .LBB307_861
; %bb.593:                              ;   in Loop: Header=BB307_524 Depth=1
	s_or_saveexec_b64 s[12:13], s[12:13]
	v_mov_b32_e32 v36, s22
	s_xor_b64 exec, exec, s[12:13]
	s_cbranch_execnz .LBB307_864
.LBB307_594:                            ;   in Loop: Header=BB307_524 Depth=1
	s_or_b64 exec, exec, s[12:13]
	s_and_saveexec_b64 s[12:13], s[2:3]
	s_cbranch_execz .LBB307_596
.LBB307_595:                            ;   in Loop: Header=BB307_524 Depth=1
	v_and_b32_e32 v4, 7, v34
	v_ffbh_u32_e32 v4, v4
	v_bfe_u32 v5, v34, 3, 4
	v_min_u32_e32 v4, 32, v4
	v_subrev_u32_e32 v6, 28, v4
	v_sub_u32_e32 v4, 29, v4
	v_cmp_eq_u32_e64 s[2:3], 0, v5
	s_nop 1
	v_cndmask_b32_e64 v16, v5, v4, s[2:3]
	v_cndmask_b32_e64 v4, 0, v6, s[2:3]
	v_lshlrev_b64 v[4:5], v4, v[34:35]
	v_lshlrev_b32_e32 v5, 8, v34
	v_lshl_add_u32 v6, v16, 10, v55
	v_lshlrev_b32_e32 v4, 7, v4
	v_and_or_b32 v5, v5, s17, v6
	v_and_or_b32 v4, v4, s26, v5
	v_cvt_f32_f16_e32 v36, v4
.LBB307_596:                            ;   in Loop: Header=BB307_524 Depth=1
	s_or_b64 exec, exec, s[12:13]
	v_lshrrev_b16_e32 v20, 8, v34
	v_cmp_lt_i16_e64 s[2:3], s5, v20
	s_mov_b64 s[12:13], 0
                                        ; implicit-def: $sgpr24
	s_and_saveexec_b64 s[20:21], s[2:3]
	s_xor_b64 s[20:21], exec, s[20:21]
	s_cbranch_execnz .LBB307_865
; %bb.597:                              ;   in Loop: Header=BB307_524 Depth=1
	s_or_saveexec_b64 s[20:21], s[20:21]
	v_mov_b32_e32 v38, s24
	s_xor_b64 exec, exec, s[20:21]
	s_cbranch_execnz .LBB307_868
.LBB307_598:                            ;   in Loop: Header=BB307_524 Depth=1
	s_or_b64 exec, exec, s[20:21]
	s_and_saveexec_b64 s[20:21], s[12:13]
	s_cbranch_execz .LBB307_600
.LBB307_599:                            ;   in Loop: Header=BB307_524 Depth=1
	v_and_b32_e32 v6, 7, v20
	v_ffbh_u32_e32 v4, v6
	v_min_u32_e32 v22, 32, v4
	v_subrev_u32_e32 v4, 28, v22
	v_bfe_u32 v16, v20, 3, 4
	v_lshlrev_b64 v[4:5], v4, v[20:21]
	v_sub_u32_e32 v5, 29, v22
	v_cmp_eq_u32_e64 s[2:3], 0, v16
	v_and_b32_e32 v4, 7, v4
	s_nop 0
	v_cndmask_b32_e64 v5, v16, v5, s[2:3]
	v_cndmask_b32_e64 v4, v6, v4, s[2:3]
	v_lshlrev_b32_e32 v6, 8, v20
	v_lshl_add_u32 v5, v5, 10, v55
	v_and_or_b32 v5, v6, s17, v5
	v_lshl_or_b32 v4, v4, 7, v5
	v_cvt_f32_f16_e32 v38, v4
.LBB307_600:                            ;   in Loop: Header=BB307_524 Depth=1
	s_or_b64 exec, exec, s[20:21]
	v_lshrrev_b32_e32 v20, 16, v34
	v_cmp_gt_i16_sdwa s[12:13], v20, s5 src0_sel:BYTE_0 src1_sel:DWORD
	s_mov_b64 s[2:3], 0
                                        ; implicit-def: $sgpr22
	s_and_saveexec_b64 s[20:21], s[12:13]
	s_xor_b64 s[12:13], exec, s[20:21]
	s_cbranch_execnz .LBB307_869
; %bb.601:                              ;   in Loop: Header=BB307_524 Depth=1
	s_or_saveexec_b64 s[12:13], s[12:13]
	v_mov_b32_e32 v37, s22
	s_xor_b64 exec, exec, s[12:13]
	s_cbranch_execnz .LBB307_872
.LBB307_602:                            ;   in Loop: Header=BB307_524 Depth=1
	s_or_b64 exec, exec, s[12:13]
	s_and_saveexec_b64 s[12:13], s[2:3]
	s_cbranch_execz .LBB307_604
.LBB307_603:                            ;   in Loop: Header=BB307_524 Depth=1
	v_bfe_u32 v6, v34, 16, 3
	v_ffbh_u32_e32 v4, v6
	v_min_u32_e32 v22, 32, v4
	v_subrev_u32_e32 v4, 28, v22
	v_bfe_u32 v16, v34, 19, 4
	v_lshlrev_b64 v[4:5], v4, v[20:21]
	v_sub_u32_e32 v5, 29, v22
	v_cmp_eq_u32_e64 s[2:3], 0, v16
	v_and_b32_e32 v4, 7, v4
	s_nop 0
	v_cndmask_b32_e64 v5, v16, v5, s[2:3]
	v_cndmask_b32_e64 v4, v6, v4, s[2:3]
	v_lshlrev_b32_e32 v6, 8, v20
	v_lshl_add_u32 v5, v5, 10, v55
	v_and_or_b32 v5, v6, s17, v5
	v_lshl_or_b32 v4, v4, 7, v5
	v_cvt_f32_f16_e32 v37, v4
.LBB307_604:                            ;   in Loop: Header=BB307_524 Depth=1
	s_or_b64 exec, exec, s[12:13]
	v_lshrrev_b32_e32 v20, 24, v34
	v_cmp_lt_i16_e64 s[2:3], s5, v20
	s_mov_b64 s[12:13], 0
                                        ; implicit-def: $sgpr24
	s_and_saveexec_b64 s[20:21], s[2:3]
	s_xor_b64 s[20:21], exec, s[20:21]
	s_cbranch_execnz .LBB307_873
; %bb.605:                              ;   in Loop: Header=BB307_524 Depth=1
	s_or_saveexec_b64 s[20:21], s[20:21]
	v_mov_b32_e32 v39, s24
	s_xor_b64 exec, exec, s[20:21]
	s_cbranch_execnz .LBB307_876
.LBB307_606:                            ;   in Loop: Header=BB307_524 Depth=1
	s_or_b64 exec, exec, s[20:21]
	s_and_saveexec_b64 s[20:21], s[12:13]
	s_cbranch_execz .LBB307_608
.LBB307_607:                            ;   in Loop: Header=BB307_524 Depth=1
	v_bfe_u32 v6, v34, 24, 3
	v_ffbh_u32_e32 v4, v6
	v_min_u32_e32 v22, 32, v4
	v_subrev_u32_e32 v4, 28, v22
	v_bfe_u32 v16, v34, 27, 4
	v_lshlrev_b64 v[4:5], v4, v[20:21]
	v_sub_u32_e32 v5, 29, v22
	v_cmp_eq_u32_e64 s[2:3], 0, v16
	v_and_b32_e32 v4, 7, v4
	s_nop 0
	v_cndmask_b32_e64 v5, v16, v5, s[2:3]
	v_cndmask_b32_e64 v4, v6, v4, s[2:3]
	v_lshlrev_b32_e32 v6, 8, v20
	v_lshl_add_u32 v5, v5, 10, v55
	v_and_or_b32 v5, v6, s17, v5
	v_lshl_or_b32 v4, v4, 7, v5
	v_cvt_f32_f16_e32 v39, v4
.LBB307_608:                            ;   in Loop: Header=BB307_524 Depth=1
	s_or_b64 exec, exec, s[20:21]
	v_cmp_gt_i16_sdwa s[12:13], v35, s5 src0_sel:BYTE_0 src1_sel:DWORD
	s_mov_b64 s[2:3], 0
                                        ; implicit-def: $sgpr22
	s_and_saveexec_b64 s[20:21], s[12:13]
	s_xor_b64 s[12:13], exec, s[20:21]
	s_cbranch_execnz .LBB307_877
; %bb.609:                              ;   in Loop: Header=BB307_524 Depth=1
	s_or_saveexec_b64 s[12:13], s[12:13]
	v_mov_b32_e32 v4, s22
	s_xor_b64 exec, exec, s[12:13]
	s_cbranch_execnz .LBB307_880
.LBB307_610:                            ;   in Loop: Header=BB307_524 Depth=1
	s_or_b64 exec, exec, s[12:13]
	v_mov_b32_e32 v20, v35
	s_and_saveexec_b64 s[12:13], s[2:3]
	s_cbranch_execz .LBB307_612
.LBB307_611:                            ;   in Loop: Header=BB307_524 Depth=1
	v_and_b32_e32 v4, 7, v35
	v_ffbh_u32_e32 v4, v4
	v_bfe_u32 v5, v35, 3, 4
	v_min_u32_e32 v4, 32, v4
	v_subrev_u32_e32 v6, 28, v4
	v_sub_u32_e32 v4, 29, v4
	v_cmp_eq_u32_e64 s[2:3], 0, v5
	s_nop 1
	v_cndmask_b32_e64 v16, v5, v4, s[2:3]
	v_cndmask_b32_e64 v4, 0, v6, s[2:3]
	v_lshlrev_b64 v[4:5], v4, v[20:21]
	v_lshlrev_b32_e32 v5, 8, v35
	v_lshl_add_u32 v6, v16, 10, v55
	v_lshlrev_b32_e32 v4, 7, v4
	v_and_or_b32 v5, v5, s17, v6
	v_and_or_b32 v4, v4, s26, v5
	v_cvt_f32_f16_e32 v4, v4
.LBB307_612:                            ;   in Loop: Header=BB307_524 Depth=1
	s_or_b64 exec, exec, s[12:13]
	v_lshrrev_b16_e32 v20, 8, v20
	v_cmp_lt_i16_e64 s[2:3], s5, v20
	s_mov_b64 s[12:13], 0
                                        ; implicit-def: $sgpr24
	s_and_saveexec_b64 s[20:21], s[2:3]
	s_xor_b64 s[20:21], exec, s[20:21]
	s_cbranch_execnz .LBB307_881
; %bb.613:                              ;   in Loop: Header=BB307_524 Depth=1
	s_or_saveexec_b64 s[20:21], s[20:21]
	v_mov_b32_e32 v5, s24
	s_xor_b64 exec, exec, s[20:21]
	s_cbranch_execnz .LBB307_884
.LBB307_614:                            ;   in Loop: Header=BB307_524 Depth=1
	s_or_b64 exec, exec, s[20:21]
	s_and_saveexec_b64 s[20:21], s[12:13]
	s_cbranch_execz .LBB307_616
.LBB307_615:                            ;   in Loop: Header=BB307_524 Depth=1
	v_and_b32_e32 v5, 7, v20
	v_ffbh_u32_e32 v16, v5
	v_bfe_u32 v6, v20, 3, 4
	v_min_u32_e32 v16, 32, v16
	v_subrev_u32_e32 v22, 28, v16
	v_sub_u32_e32 v16, 29, v16
	v_cmp_eq_u32_e64 s[2:3], 0, v6
	v_lshlrev_b64 v[26:27], v22, v[20:21]
	v_and_b32_e32 v22, 7, v26
	v_cndmask_b32_e64 v6, v6, v16, s[2:3]
	v_lshlrev_b32_e32 v16, 8, v20
	v_lshl_add_u32 v6, v6, 10, v55
	v_cndmask_b32_e64 v5, v5, v22, s[2:3]
	v_and_or_b32 v6, v16, s17, v6
	v_lshl_or_b32 v5, v5, 7, v6
	v_cvt_f32_f16_e32 v5, v5
.LBB307_616:                            ;   in Loop: Header=BB307_524 Depth=1
	s_or_b64 exec, exec, s[20:21]
	v_lshrrev_b32_e32 v20, 16, v35
	v_cmp_gt_i16_sdwa s[12:13], v20, s5 src0_sel:BYTE_0 src1_sel:DWORD
	s_mov_b64 s[2:3], 0
                                        ; implicit-def: $sgpr22
	s_and_saveexec_b64 s[20:21], s[12:13]
	s_xor_b64 s[12:13], exec, s[20:21]
	s_cbranch_execnz .LBB307_885
; %bb.617:                              ;   in Loop: Header=BB307_524 Depth=1
	s_or_saveexec_b64 s[12:13], s[12:13]
	v_mov_b32_e32 v6, s22
	s_xor_b64 exec, exec, s[12:13]
	s_cbranch_execnz .LBB307_888
.LBB307_618:                            ;   in Loop: Header=BB307_524 Depth=1
	s_or_b64 exec, exec, s[12:13]
	s_and_saveexec_b64 s[12:13], s[2:3]
	s_cbranch_execz .LBB307_620
.LBB307_619:                            ;   in Loop: Header=BB307_524 Depth=1
	v_bfe_u32 v6, v35, 16, 3
	v_ffbh_u32_e32 v22, v6
	v_bfe_u32 v16, v35, 19, 4
	v_min_u32_e32 v22, 32, v22
	v_subrev_u32_e32 v26, 28, v22
	v_sub_u32_e32 v22, 29, v22
	v_cmp_eq_u32_e64 s[2:3], 0, v16
	v_lshlrev_b64 v[26:27], v26, v[20:21]
	v_and_b32_e32 v26, 7, v26
	v_cndmask_b32_e64 v16, v16, v22, s[2:3]
	v_lshlrev_b32_e32 v20, 8, v20
	v_lshl_add_u32 v16, v16, 10, v55
	v_cndmask_b32_e64 v6, v6, v26, s[2:3]
	v_and_or_b32 v16, v20, s17, v16
	v_lshl_or_b32 v6, v6, 7, v16
	v_cvt_f32_f16_e32 v6, v6
.LBB307_620:                            ;   in Loop: Header=BB307_524 Depth=1
	s_or_b64 exec, exec, s[12:13]
	v_lshrrev_b32_e32 v20, 24, v35
	v_cmp_lt_i16_e64 s[2:3], s5, v20
	s_mov_b64 s[12:13], 0
                                        ; implicit-def: $sgpr24
	s_and_saveexec_b64 s[20:21], s[2:3]
	s_xor_b64 s[20:21], exec, s[20:21]
	s_cbranch_execnz .LBB307_889
; %bb.621:                              ;   in Loop: Header=BB307_524 Depth=1
	s_or_saveexec_b64 s[20:21], s[20:21]
	v_mov_b32_e32 v26, s24
	s_xor_b64 exec, exec, s[20:21]
	s_cbranch_execnz .LBB307_892
.LBB307_622:                            ;   in Loop: Header=BB307_524 Depth=1
	s_or_b64 exec, exec, s[20:21]
	s_and_saveexec_b64 s[20:21], s[12:13]
	s_cbranch_execz .LBB307_624
.LBB307_623:                            ;   in Loop: Header=BB307_524 Depth=1
	v_bfe_u32 v16, v35, 24, 3
	v_ffbh_u32_e32 v26, v16
	v_min_u32_e32 v33, 32, v26
	v_subrev_u32_e32 v26, 28, v33
	v_bfe_u32 v22, v35, 27, 4
	v_lshlrev_b64 v[26:27], v26, v[20:21]
	v_sub_u32_e32 v27, 29, v33
	v_cmp_eq_u32_e64 s[2:3], 0, v22
	v_and_b32_e32 v26, 7, v26
	v_lshlrev_b32_e32 v20, 8, v20
	v_cndmask_b32_e64 v22, v22, v27, s[2:3]
	v_lshl_add_u32 v22, v22, 10, v55
	v_cndmask_b32_e64 v16, v16, v26, s[2:3]
	v_and_or_b32 v20, v20, s17, v22
	v_lshl_or_b32 v16, v16, 7, v20
	v_cvt_f32_f16_e32 v26, v16
.LBB307_624:                            ;   in Loop: Header=BB307_524 Depth=1
	s_or_b64 exec, exec, s[20:21]
	v_pk_mul_f32 v[34:35], v[32:33], v[38:39] op_sel_hi:[0,1]
	v_pk_mul_f32 v[36:37], v[32:33], v[36:37] op_sel_hi:[0,1]
	v_cvt_f16_f32_e32 v16, v35
	v_cvt_f16_f32_e32 v20, v34
	;; [unrolled: 1-line block ×4, first 2 shown]
	v_fma_mixlo_f16 v5, v32, v5, 0
	v_lshlrev_b32_e32 v5, 16, v5
	v_fma_mixlo_f16 v4, v32, v4, 0
	v_or_b32_sdwa v4, v5, v4 dst_sel:DWORD dst_unused:UNUSED_PAD src0_sel:DWORD src1_sel:WORD_0
	v_fma_mixlo_f16 v5, v32, v26, 0
	v_pack_b32_f16 v16, v20, v16
	v_pack_b32_f16 v22, v27, v22
	v_fma_mixlo_f16 v6, v32, v6, 0
	v_lshlrev_b32_e32 v5, 16, v5
	v_perm_b32 v20, v22, v16, s27
	v_perm_b32 v22, v22, v16, s28
	v_or_b32_sdwa v5, v5, v6 dst_sel:DWORD dst_unused:UNUSED_PAD src0_sel:DWORD src1_sel:WORD_0
	s_and_saveexec_b64 s[12:13], s[0:1]
	s_cbranch_execz .LBB307_626
; %bb.625:                              ;   in Loop: Header=BB307_524 Depth=1
	v_add_u32_e32 v16, 1, v7
	v_lshrrev_b32_e32 v26, 16, v22
	v_cmp_lt_i32_e64 s[2:3], v16, v17
	v_accvgpr_read_b32 v32, a8
	v_lshrrev_b32_e32 v27, 16, v20
	v_cndmask_b32_e64 v16, 0, v26, s[2:3]
	v_cmp_lt_i32_e64 s[2:3], v7, v32
	v_or_b32_e32 v26, 2, v7
	v_lshrrev_b32_e32 v5, 16, v5
	v_cndmask_b32_e64 v22, 0, v22, s[2:3]
	v_perm_b32 v22, v16, v22, s29
	v_or_b32_e32 v16, 3, v7
	v_cmp_lt_i32_e64 s[2:3], v16, v17
	s_nop 1
	v_cndmask_b32_e64 v16, 0, v27, s[2:3]
	v_cmp_lt_i32_e64 s[2:3], v26, v32
	v_or_b32_e32 v26, 4, v7
	v_lshrrev_b32_e32 v27, 16, v4
	v_cndmask_b32_e64 v20, 0, v20, s[2:3]
	v_perm_b32 v20, v16, v20, s29
	v_or_b32_e32 v16, 5, v7
	v_cmp_lt_i32_e64 s[2:3], v16, v17
	s_nop 1
	v_cndmask_b32_e64 v16, 0, v27, s[2:3]
	v_cmp_lt_i32_e64 s[2:3], v26, v32
	v_or_b32_e32 v26, 6, v7
	s_nop 0
	v_cndmask_b32_e64 v4, 0, v4, s[2:3]
	v_perm_b32 v4, v16, v4, s29
	v_or_b32_e32 v16, 7, v7
	v_cmp_lt_i32_e64 s[2:3], v16, v17
	s_nop 1
	v_cndmask_b32_e64 v5, 0, v5, s[2:3]
	v_cmp_lt_i32_e64 s[2:3], v26, v32
	s_nop 1
	v_cndmask_b32_e64 v6, 0, v6, s[2:3]
	v_perm_b32 v5, v5, v6, s29
.LBB307_626:                            ;   in Loop: Header=BB307_524 Depth=1
	s_or_b64 exec, exec, s[12:13]
	;;#ASMSTART
	v_pk_mul_f16 v6, v43, v22;

	;;#ASMEND
	;;#ASMSTART
	v_pk_mul_f16 v16, v42, v20;

	;;#ASMEND
	;; [unrolled: 4-line block ×4, first 2 shown]
	v_accvgpr_read_b32 v27, a5
	;;#ASMSTART
	v_pk_add_f16 v6, v6, v16;

	;;#ASMEND
	v_accvgpr_read_b32 v26, a4
	;;#ASMSTART
	v_pk_add_f16 v4, v6, v4;

	;;#ASMEND
	s_mov_b64 s[2:3], 0
	;;#ASMSTART
	v_pk_add_f16 v4, v4, v5;

	;;#ASMEND
                                        ; implicit-def: $sgpr22
	s_nop 0
	v_lshrrev_b32_e32 v5, 16, v4
	v_and_b32_e32 v4, 0xffff, v4
	;;#ASMSTART
	v_cvt_f32_f16 v4, v4;
	;;#ASMEND
	;;#ASMSTART
	v_cvt_f32_f16 v5, v5;
	;;#ASMEND
	flat_load_dwordx2 v[34:35], v[30:31] offset:1536
	flat_load_dword v32, v[26:27]
	s_waitcnt vmcnt(0) lgkmcnt(0)
	v_cmp_gt_i16_sdwa s[12:13], v34, s5 src0_sel:BYTE_0 src1_sel:DWORD
	s_and_saveexec_b64 s[20:21], s[12:13]
	s_xor_b64 s[12:13], exec, s[20:21]
	s_cbranch_execnz .LBB307_893
; %bb.627:                              ;   in Loop: Header=BB307_524 Depth=1
	s_or_saveexec_b64 s[12:13], s[12:13]
	v_mov_b32_e32 v36, s22
	s_xor_b64 exec, exec, s[12:13]
	s_cbranch_execnz .LBB307_896
.LBB307_628:                            ;   in Loop: Header=BB307_524 Depth=1
	s_or_b64 exec, exec, s[12:13]
	s_and_saveexec_b64 s[12:13], s[2:3]
	s_cbranch_execz .LBB307_630
.LBB307_629:                            ;   in Loop: Header=BB307_524 Depth=1
	v_and_b32_e32 v6, 7, v34
	v_ffbh_u32_e32 v6, v6
	v_bfe_u32 v16, v34, 3, 4
	v_min_u32_e32 v6, 32, v6
	v_subrev_u32_e32 v20, 28, v6
	v_sub_u32_e32 v6, 29, v6
	v_cmp_eq_u32_e64 s[2:3], 0, v16
	s_nop 1
	v_cndmask_b32_e64 v6, v16, v6, s[2:3]
	v_cndmask_b32_e64 v16, 0, v20, s[2:3]
	v_lshlrev_b64 v[26:27], v16, v[34:35]
	v_lshlrev_b32_e32 v20, 8, v34
	v_lshl_add_u32 v6, v6, 10, v55
	v_lshlrev_b32_e32 v16, 7, v26
	v_and_or_b32 v6, v20, s17, v6
	v_and_or_b32 v6, v16, s26, v6
	v_cvt_f32_f16_e32 v36, v6
.LBB307_630:                            ;   in Loop: Header=BB307_524 Depth=1
	s_or_b64 exec, exec, s[12:13]
	v_lshrrev_b16_e32 v20, 8, v34
	v_cmp_lt_i16_e64 s[2:3], s5, v20
	s_mov_b64 s[12:13], 0
                                        ; implicit-def: $sgpr24
	s_and_saveexec_b64 s[20:21], s[2:3]
	s_xor_b64 s[20:21], exec, s[20:21]
	s_cbranch_execnz .LBB307_897
; %bb.631:                              ;   in Loop: Header=BB307_524 Depth=1
	s_or_saveexec_b64 s[20:21], s[20:21]
	v_mov_b32_e32 v38, s24
	s_xor_b64 exec, exec, s[20:21]
	s_cbranch_execnz .LBB307_900
.LBB307_632:                            ;   in Loop: Header=BB307_524 Depth=1
	s_or_b64 exec, exec, s[20:21]
	s_and_saveexec_b64 s[20:21], s[12:13]
	s_cbranch_execz .LBB307_634
.LBB307_633:                            ;   in Loop: Header=BB307_524 Depth=1
	v_and_b32_e32 v6, 7, v20
	v_ffbh_u32_e32 v22, v6
	v_bfe_u32 v16, v20, 3, 4
	v_min_u32_e32 v22, 32, v22
	v_subrev_u32_e32 v26, 28, v22
	v_sub_u32_e32 v22, 29, v22
	v_cmp_eq_u32_e64 s[2:3], 0, v16
	v_lshlrev_b64 v[26:27], v26, v[20:21]
	v_and_b32_e32 v26, 7, v26
	v_cndmask_b32_e64 v16, v16, v22, s[2:3]
	v_lshlrev_b32_e32 v20, 8, v20
	v_lshl_add_u32 v16, v16, 10, v55
	v_cndmask_b32_e64 v6, v6, v26, s[2:3]
	v_and_or_b32 v16, v20, s17, v16
	v_lshl_or_b32 v6, v6, 7, v16
	v_cvt_f32_f16_e32 v38, v6
.LBB307_634:                            ;   in Loop: Header=BB307_524 Depth=1
	s_or_b64 exec, exec, s[20:21]
	v_lshrrev_b32_e32 v20, 16, v34
	v_cmp_gt_i16_sdwa s[12:13], v20, s5 src0_sel:BYTE_0 src1_sel:DWORD
	s_mov_b64 s[2:3], 0
                                        ; implicit-def: $sgpr22
	s_and_saveexec_b64 s[20:21], s[12:13]
	s_xor_b64 s[12:13], exec, s[20:21]
	s_cbranch_execnz .LBB307_901
; %bb.635:                              ;   in Loop: Header=BB307_524 Depth=1
	s_or_saveexec_b64 s[12:13], s[12:13]
	v_mov_b32_e32 v37, s22
	s_xor_b64 exec, exec, s[12:13]
	s_cbranch_execnz .LBB307_904
.LBB307_636:                            ;   in Loop: Header=BB307_524 Depth=1
	s_or_b64 exec, exec, s[12:13]
	s_and_saveexec_b64 s[12:13], s[2:3]
	s_cbranch_execz .LBB307_638
.LBB307_637:                            ;   in Loop: Header=BB307_524 Depth=1
	v_bfe_u32 v6, v34, 16, 3
	v_ffbh_u32_e32 v22, v6
	v_bfe_u32 v16, v34, 19, 4
	v_min_u32_e32 v22, 32, v22
	v_subrev_u32_e32 v26, 28, v22
	v_sub_u32_e32 v22, 29, v22
	v_cmp_eq_u32_e64 s[2:3], 0, v16
	v_lshlrev_b64 v[26:27], v26, v[20:21]
	v_and_b32_e32 v26, 7, v26
	v_cndmask_b32_e64 v16, v16, v22, s[2:3]
	v_lshlrev_b32_e32 v20, 8, v20
	v_lshl_add_u32 v16, v16, 10, v55
	v_cndmask_b32_e64 v6, v6, v26, s[2:3]
	v_and_or_b32 v16, v20, s17, v16
	v_lshl_or_b32 v6, v6, 7, v16
	v_cvt_f32_f16_e32 v37, v6
.LBB307_638:                            ;   in Loop: Header=BB307_524 Depth=1
	s_or_b64 exec, exec, s[12:13]
	v_lshrrev_b32_e32 v20, 24, v34
	v_cmp_lt_i16_e64 s[2:3], s5, v20
	s_mov_b64 s[12:13], 0
                                        ; implicit-def: $sgpr24
	s_and_saveexec_b64 s[20:21], s[2:3]
	s_xor_b64 s[20:21], exec, s[20:21]
	s_cbranch_execnz .LBB307_905
; %bb.639:                              ;   in Loop: Header=BB307_524 Depth=1
	s_or_saveexec_b64 s[20:21], s[20:21]
	v_mov_b32_e32 v39, s24
	s_xor_b64 exec, exec, s[20:21]
	s_cbranch_execnz .LBB307_908
.LBB307_640:                            ;   in Loop: Header=BB307_524 Depth=1
	s_or_b64 exec, exec, s[20:21]
	s_and_saveexec_b64 s[20:21], s[12:13]
	s_cbranch_execz .LBB307_642
.LBB307_641:                            ;   in Loop: Header=BB307_524 Depth=1
	v_bfe_u32 v6, v34, 24, 3
	v_ffbh_u32_e32 v22, v6
	v_bfe_u32 v16, v34, 27, 4
	v_min_u32_e32 v22, 32, v22
	v_subrev_u32_e32 v26, 28, v22
	v_sub_u32_e32 v22, 29, v22
	v_cmp_eq_u32_e64 s[2:3], 0, v16
	v_lshlrev_b64 v[26:27], v26, v[20:21]
	v_and_b32_e32 v26, 7, v26
	v_cndmask_b32_e64 v16, v16, v22, s[2:3]
	v_lshlrev_b32_e32 v20, 8, v20
	v_lshl_add_u32 v16, v16, 10, v55
	v_cndmask_b32_e64 v6, v6, v26, s[2:3]
	v_and_or_b32 v16, v20, s17, v16
	v_lshl_or_b32 v6, v6, 7, v16
	v_cvt_f32_f16_e32 v39, v6
.LBB307_642:                            ;   in Loop: Header=BB307_524 Depth=1
	s_or_b64 exec, exec, s[20:21]
	v_cmp_gt_i16_sdwa s[12:13], v35, s5 src0_sel:BYTE_0 src1_sel:DWORD
	s_mov_b64 s[2:3], 0
                                        ; implicit-def: $sgpr22
	s_and_saveexec_b64 s[20:21], s[12:13]
	s_xor_b64 s[12:13], exec, s[20:21]
	s_cbranch_execnz .LBB307_909
; %bb.643:                              ;   in Loop: Header=BB307_524 Depth=1
	s_or_saveexec_b64 s[12:13], s[12:13]
	v_mov_b32_e32 v6, s22
	s_xor_b64 exec, exec, s[12:13]
	s_cbranch_execnz .LBB307_912
.LBB307_644:                            ;   in Loop: Header=BB307_524 Depth=1
	s_or_b64 exec, exec, s[12:13]
	v_mov_b32_e32 v20, v35
	s_and_saveexec_b64 s[12:13], s[2:3]
	s_cbranch_execz .LBB307_646
.LBB307_645:                            ;   in Loop: Header=BB307_524 Depth=1
	v_and_b32_e32 v6, 7, v35
	v_ffbh_u32_e32 v6, v6
	v_bfe_u32 v16, v35, 3, 4
	v_min_u32_e32 v6, 32, v6
	v_subrev_u32_e32 v22, 28, v6
	v_sub_u32_e32 v6, 29, v6
	v_cmp_eq_u32_e64 s[2:3], 0, v16
	s_nop 1
	v_cndmask_b32_e64 v6, v16, v6, s[2:3]
	v_cndmask_b32_e64 v16, 0, v22, s[2:3]
	v_lshlrev_b64 v[26:27], v16, v[20:21]
	v_lshlrev_b32_e32 v22, 8, v35
	v_lshl_add_u32 v6, v6, 10, v55
	v_lshlrev_b32_e32 v16, 7, v26
	v_and_or_b32 v6, v22, s17, v6
	v_and_or_b32 v6, v16, s26, v6
	v_cvt_f32_f16_e32 v6, v6
.LBB307_646:                            ;   in Loop: Header=BB307_524 Depth=1
	s_or_b64 exec, exec, s[12:13]
	v_lshrrev_b16_e32 v20, 8, v20
	v_cmp_lt_i16_e64 s[2:3], s5, v20
	s_mov_b64 s[12:13], 0
                                        ; implicit-def: $sgpr24
	s_and_saveexec_b64 s[20:21], s[2:3]
	s_xor_b64 s[20:21], exec, s[20:21]
	s_cbranch_execnz .LBB307_913
; %bb.647:                              ;   in Loop: Header=BB307_524 Depth=1
	s_or_saveexec_b64 s[20:21], s[20:21]
	v_mov_b32_e32 v22, s24
	s_xor_b64 exec, exec, s[20:21]
	s_cbranch_execnz .LBB307_916
.LBB307_648:                            ;   in Loop: Header=BB307_524 Depth=1
	s_or_b64 exec, exec, s[20:21]
	s_and_saveexec_b64 s[20:21], s[12:13]
	s_cbranch_execz .LBB307_650
.LBB307_649:                            ;   in Loop: Header=BB307_524 Depth=1
	v_and_b32_e32 v16, 7, v20
	v_ffbh_u32_e32 v26, v16
	v_min_u32_e32 v33, 32, v26
	v_subrev_u32_e32 v26, 28, v33
	v_bfe_u32 v22, v20, 3, 4
	v_lshlrev_b64 v[26:27], v26, v[20:21]
	v_sub_u32_e32 v27, 29, v33
	v_cmp_eq_u32_e64 s[2:3], 0, v22
	v_and_b32_e32 v26, 7, v26
	v_lshlrev_b32_e32 v20, 8, v20
	v_cndmask_b32_e64 v22, v22, v27, s[2:3]
	v_lshl_add_u32 v22, v22, 10, v55
	v_cndmask_b32_e64 v16, v16, v26, s[2:3]
	v_and_or_b32 v20, v20, s17, v22
	v_lshl_or_b32 v16, v16, 7, v20
	v_cvt_f32_f16_e32 v22, v16
.LBB307_650:                            ;   in Loop: Header=BB307_524 Depth=1
	s_or_b64 exec, exec, s[20:21]
	v_lshrrev_b32_e32 v20, 16, v35
	v_cmp_gt_i16_sdwa s[12:13], v20, s5 src0_sel:BYTE_0 src1_sel:DWORD
	s_mov_b64 s[2:3], 0
                                        ; implicit-def: $sgpr22
	s_and_saveexec_b64 s[20:21], s[12:13]
	s_xor_b64 s[12:13], exec, s[20:21]
	s_cbranch_execnz .LBB307_917
; %bb.651:                              ;   in Loop: Header=BB307_524 Depth=1
	s_or_saveexec_b64 s[12:13], s[12:13]
	v_mov_b32_e32 v26, s22
	s_xor_b64 exec, exec, s[12:13]
	s_cbranch_execnz .LBB307_920
.LBB307_652:                            ;   in Loop: Header=BB307_524 Depth=1
	s_or_b64 exec, exec, s[12:13]
	s_and_saveexec_b64 s[12:13], s[2:3]
	s_cbranch_execz .LBB307_654
.LBB307_653:                            ;   in Loop: Header=BB307_524 Depth=1
	v_bfe_u32 v16, v35, 16, 3
	v_ffbh_u32_e32 v26, v16
	v_min_u32_e32 v34, 32, v26
	v_subrev_u32_e32 v26, 28, v34
	v_bfe_u32 v33, v35, 19, 4
	v_lshlrev_b64 v[26:27], v26, v[20:21]
	v_sub_u32_e32 v27, 29, v34
	v_cmp_eq_u32_e64 s[2:3], 0, v33
	v_and_b32_e32 v26, 7, v26
	v_lshlrev_b32_e32 v20, 8, v20
	v_cndmask_b32_e64 v27, v33, v27, s[2:3]
	v_cndmask_b32_e64 v16, v16, v26, s[2:3]
	v_lshl_add_u32 v26, v27, 10, v55
	v_and_or_b32 v20, v20, s17, v26
	v_lshl_or_b32 v16, v16, 7, v20
	v_cvt_f32_f16_e32 v26, v16
.LBB307_654:                            ;   in Loop: Header=BB307_524 Depth=1
	s_or_b64 exec, exec, s[12:13]
	v_lshrrev_b32_e32 v20, 24, v35
	v_cmp_lt_i16_e64 s[2:3], s5, v20
	s_mov_b64 s[12:13], 0
                                        ; implicit-def: $sgpr24
	s_and_saveexec_b64 s[20:21], s[2:3]
	s_xor_b64 s[20:21], exec, s[20:21]
	s_cbranch_execnz .LBB307_921
; %bb.655:                              ;   in Loop: Header=BB307_524 Depth=1
	s_or_saveexec_b64 s[20:21], s[20:21]
	v_mov_b32_e32 v33, s24
	s_xor_b64 exec, exec, s[20:21]
	s_cbranch_execnz .LBB307_924
.LBB307_656:                            ;   in Loop: Header=BB307_524 Depth=1
	s_or_b64 exec, exec, s[20:21]
	s_and_saveexec_b64 s[20:21], s[12:13]
	s_cbranch_execz .LBB307_658
.LBB307_657:                            ;   in Loop: Header=BB307_524 Depth=1
	v_bfe_u32 v16, v35, 24, 3
	v_ffbh_u32_e32 v33, v16
	v_bfe_u32 v27, v35, 27, 4
	v_min_u32_e32 v33, 32, v33
	v_subrev_u32_e32 v34, 28, v33
	v_sub_u32_e32 v33, 29, v33
	v_cmp_eq_u32_e64 s[2:3], 0, v27
	v_lshlrev_b64 v[34:35], v34, v[20:21]
	v_and_b32_e32 v34, 7, v34
	v_cndmask_b32_e64 v27, v27, v33, s[2:3]
	v_lshlrev_b32_e32 v20, 8, v20
	v_lshl_add_u32 v27, v27, 10, v55
	v_cndmask_b32_e64 v16, v16, v34, s[2:3]
	v_and_or_b32 v20, v20, s17, v27
	v_lshl_or_b32 v16, v16, 7, v20
	v_cvt_f32_f16_e32 v33, v16
.LBB307_658:                            ;   in Loop: Header=BB307_524 Depth=1
	s_or_b64 exec, exec, s[20:21]
	v_pk_mul_f32 v[34:35], v[32:33], v[38:39] op_sel_hi:[0,1]
	v_pk_mul_f32 v[36:37], v[32:33], v[36:37] op_sel_hi:[0,1]
	v_cvt_f16_f32_e32 v16, v35
	v_cvt_f16_f32_e32 v20, v34
	;; [unrolled: 1-line block ×4, first 2 shown]
	v_fma_mixlo_f16 v6, v32, v6, 0
	v_pack_b32_f16 v16, v20, v16
	v_fma_mixlo_f16 v26, v32, v26, 0
	v_pack_b32_f16 v27, v34, v27
	v_perm_b32 v20, v27, v16, s27
	v_perm_b32 v27, v27, v16, s28
	v_fma_mixlo_f16 v16, v32, v22, 0
	v_lshlrev_b32_e32 v16, 16, v16
	v_or_b32_sdwa v6, v16, v6 dst_sel:DWORD dst_unused:UNUSED_PAD src0_sel:DWORD src1_sel:WORD_0
	v_fma_mixlo_f16 v16, v32, v33, 0
	v_lshlrev_b32_e32 v16, 16, v16
	v_or_b32_sdwa v22, v16, v26 dst_sel:DWORD dst_unused:UNUSED_PAD src0_sel:DWORD src1_sel:WORD_0
	s_and_saveexec_b64 s[12:13], s[0:1]
	s_cbranch_execz .LBB307_660
; %bb.659:                              ;   in Loop: Header=BB307_524 Depth=1
	v_add_u32_e32 v16, 1, v7
	v_lshrrev_b32_e32 v32, 16, v27
	v_cmp_lt_i32_e64 s[2:3], v16, v17
	v_accvgpr_read_b32 v34, a8
	v_lshrrev_b32_e32 v33, 16, v20
	v_cndmask_b32_e64 v16, 0, v32, s[2:3]
	v_cmp_lt_i32_e64 s[2:3], v7, v34
	v_or_b32_e32 v32, 2, v7
	v_lshrrev_b32_e32 v22, 16, v22
	v_cndmask_b32_e64 v27, 0, v27, s[2:3]
	v_perm_b32 v27, v16, v27, s29
	v_or_b32_e32 v16, 3, v7
	v_cmp_lt_i32_e64 s[2:3], v16, v17
	s_nop 1
	v_cndmask_b32_e64 v16, 0, v33, s[2:3]
	v_cmp_lt_i32_e64 s[2:3], v32, v34
	v_or_b32_e32 v32, 4, v7
	v_lshrrev_b32_e32 v33, 16, v6
	v_cndmask_b32_e64 v20, 0, v20, s[2:3]
	v_perm_b32 v20, v16, v20, s29
	v_or_b32_e32 v16, 5, v7
	v_cmp_lt_i32_e64 s[2:3], v16, v17
	s_nop 1
	v_cndmask_b32_e64 v16, 0, v33, s[2:3]
	v_cmp_lt_i32_e64 s[2:3], v32, v34
	v_or_b32_e32 v32, 6, v7
	s_nop 0
	v_cndmask_b32_e64 v6, 0, v6, s[2:3]
	v_perm_b32 v6, v16, v6, s29
	v_or_b32_e32 v16, 7, v7
	v_cmp_lt_i32_e64 s[2:3], v16, v17
	s_nop 1
	v_cndmask_b32_e64 v16, 0, v22, s[2:3]
	v_cmp_lt_i32_e64 s[2:3], v32, v34
	s_nop 1
	v_cndmask_b32_e64 v22, 0, v26, s[2:3]
	v_perm_b32 v22, v16, v22, s29
.LBB307_660:                            ;   in Loop: Header=BB307_524 Depth=1
	s_or_b64 exec, exec, s[12:13]
	;;#ASMSTART
	v_pk_mul_f16 v16, v43, v27;

	;;#ASMEND
	;;#ASMSTART
	v_pk_mul_f16 v20, v42, v20;

	;;#ASMEND
	;; [unrolled: 4-line block ×4, first 2 shown]
	v_accvgpr_read_b32 v27, a5
	;;#ASMSTART
	v_pk_add_f16 v16, v16, v20;

	;;#ASMEND
	v_accvgpr_read_b32 v26, a4
	;;#ASMSTART
	v_pk_add_f16 v6, v16, v6;

	;;#ASMEND
	s_mov_b64 s[2:3], 0
	;;#ASMSTART
	v_pk_add_f16 v6, v6, v22;

	;;#ASMEND
                                        ; implicit-def: $sgpr22
	s_nop 0
	v_lshrrev_b32_e32 v16, 16, v6
	v_and_b32_e32 v6, 0xffff, v6
	;;#ASMSTART
	v_cvt_f32_f16 v48, v6;
	;;#ASMEND
	;;#ASMSTART
	v_cvt_f32_f16 v49, v16;
	;;#ASMEND
	flat_load_dwordx2 v[34:35], v[30:31] offset:2048
	flat_load_dword v32, v[26:27]
	s_waitcnt vmcnt(0) lgkmcnt(0)
	v_cmp_gt_i16_sdwa s[12:13], v34, s5 src0_sel:BYTE_0 src1_sel:DWORD
	s_and_saveexec_b64 s[20:21], s[12:13]
	s_xor_b64 s[12:13], exec, s[20:21]
	s_cbranch_execnz .LBB307_925
; %bb.661:                              ;   in Loop: Header=BB307_524 Depth=1
	s_or_saveexec_b64 s[12:13], s[12:13]
	v_mov_b32_e32 v36, s22
	s_xor_b64 exec, exec, s[12:13]
	s_cbranch_execnz .LBB307_928
.LBB307_662:                            ;   in Loop: Header=BB307_524 Depth=1
	s_or_b64 exec, exec, s[12:13]
	s_and_saveexec_b64 s[12:13], s[2:3]
	s_cbranch_execz .LBB307_664
.LBB307_663:                            ;   in Loop: Header=BB307_524 Depth=1
	v_and_b32_e32 v6, 7, v34
	v_ffbh_u32_e32 v6, v6
	v_bfe_u32 v16, v34, 3, 4
	v_min_u32_e32 v6, 32, v6
	v_subrev_u32_e32 v20, 28, v6
	v_sub_u32_e32 v6, 29, v6
	v_cmp_eq_u32_e64 s[2:3], 0, v16
	s_nop 1
	v_cndmask_b32_e64 v6, v16, v6, s[2:3]
	v_cndmask_b32_e64 v16, 0, v20, s[2:3]
	v_lshlrev_b64 v[26:27], v16, v[34:35]
	v_lshlrev_b32_e32 v20, 8, v34
	v_lshl_add_u32 v6, v6, 10, v55
	v_lshlrev_b32_e32 v16, 7, v26
	v_and_or_b32 v6, v20, s17, v6
	v_and_or_b32 v6, v16, s26, v6
	v_cvt_f32_f16_e32 v36, v6
.LBB307_664:                            ;   in Loop: Header=BB307_524 Depth=1
	s_or_b64 exec, exec, s[12:13]
	v_lshrrev_b16_e32 v20, 8, v34
	v_cmp_lt_i16_e64 s[2:3], s5, v20
	s_mov_b64 s[12:13], 0
                                        ; implicit-def: $sgpr24
	s_and_saveexec_b64 s[20:21], s[2:3]
	s_xor_b64 s[20:21], exec, s[20:21]
	s_cbranch_execnz .LBB307_929
; %bb.665:                              ;   in Loop: Header=BB307_524 Depth=1
	s_or_saveexec_b64 s[20:21], s[20:21]
	v_mov_b32_e32 v38, s24
	s_xor_b64 exec, exec, s[20:21]
	s_cbranch_execnz .LBB307_932
.LBB307_666:                            ;   in Loop: Header=BB307_524 Depth=1
	s_or_b64 exec, exec, s[20:21]
	s_and_saveexec_b64 s[20:21], s[12:13]
	s_cbranch_execz .LBB307_668
.LBB307_667:                            ;   in Loop: Header=BB307_524 Depth=1
	v_and_b32_e32 v6, 7, v20
	v_ffbh_u32_e32 v22, v6
	v_bfe_u32 v16, v20, 3, 4
	v_min_u32_e32 v22, 32, v22
	v_subrev_u32_e32 v26, 28, v22
	v_sub_u32_e32 v22, 29, v22
	v_cmp_eq_u32_e64 s[2:3], 0, v16
	v_lshlrev_b64 v[26:27], v26, v[20:21]
	v_and_b32_e32 v26, 7, v26
	v_cndmask_b32_e64 v16, v16, v22, s[2:3]
	v_lshlrev_b32_e32 v20, 8, v20
	v_lshl_add_u32 v16, v16, 10, v55
	v_cndmask_b32_e64 v6, v6, v26, s[2:3]
	v_and_or_b32 v16, v20, s17, v16
	v_lshl_or_b32 v6, v6, 7, v16
	v_cvt_f32_f16_e32 v38, v6
.LBB307_668:                            ;   in Loop: Header=BB307_524 Depth=1
	s_or_b64 exec, exec, s[20:21]
	v_lshrrev_b32_e32 v20, 16, v34
	v_cmp_gt_i16_sdwa s[12:13], v20, s5 src0_sel:BYTE_0 src1_sel:DWORD
	s_mov_b64 s[2:3], 0
                                        ; implicit-def: $sgpr22
	s_and_saveexec_b64 s[20:21], s[12:13]
	s_xor_b64 s[12:13], exec, s[20:21]
	s_cbranch_execnz .LBB307_933
; %bb.669:                              ;   in Loop: Header=BB307_524 Depth=1
	s_or_saveexec_b64 s[12:13], s[12:13]
	v_mov_b32_e32 v37, s22
	s_xor_b64 exec, exec, s[12:13]
	s_cbranch_execnz .LBB307_936
.LBB307_670:                            ;   in Loop: Header=BB307_524 Depth=1
	s_or_b64 exec, exec, s[12:13]
	s_and_saveexec_b64 s[12:13], s[2:3]
	s_cbranch_execz .LBB307_672
.LBB307_671:                            ;   in Loop: Header=BB307_524 Depth=1
	v_bfe_u32 v6, v34, 16, 3
	v_ffbh_u32_e32 v22, v6
	v_bfe_u32 v16, v34, 19, 4
	v_min_u32_e32 v22, 32, v22
	v_subrev_u32_e32 v26, 28, v22
	v_sub_u32_e32 v22, 29, v22
	v_cmp_eq_u32_e64 s[2:3], 0, v16
	v_lshlrev_b64 v[26:27], v26, v[20:21]
	v_and_b32_e32 v26, 7, v26
	v_cndmask_b32_e64 v16, v16, v22, s[2:3]
	v_lshlrev_b32_e32 v20, 8, v20
	v_lshl_add_u32 v16, v16, 10, v55
	v_cndmask_b32_e64 v6, v6, v26, s[2:3]
	v_and_or_b32 v16, v20, s17, v16
	v_lshl_or_b32 v6, v6, 7, v16
	v_cvt_f32_f16_e32 v37, v6
.LBB307_672:                            ;   in Loop: Header=BB307_524 Depth=1
	s_or_b64 exec, exec, s[12:13]
	v_lshrrev_b32_e32 v20, 24, v34
	v_cmp_lt_i16_e64 s[2:3], s5, v20
	s_mov_b64 s[12:13], 0
                                        ; implicit-def: $sgpr24
	s_and_saveexec_b64 s[20:21], s[2:3]
	s_xor_b64 s[20:21], exec, s[20:21]
	s_cbranch_execnz .LBB307_937
; %bb.673:                              ;   in Loop: Header=BB307_524 Depth=1
	s_or_saveexec_b64 s[20:21], s[20:21]
	v_mov_b32_e32 v39, s24
	s_xor_b64 exec, exec, s[20:21]
	s_cbranch_execnz .LBB307_940
.LBB307_674:                            ;   in Loop: Header=BB307_524 Depth=1
	s_or_b64 exec, exec, s[20:21]
	s_and_saveexec_b64 s[20:21], s[12:13]
	s_cbranch_execz .LBB307_676
.LBB307_675:                            ;   in Loop: Header=BB307_524 Depth=1
	v_bfe_u32 v6, v34, 24, 3
	v_ffbh_u32_e32 v22, v6
	v_bfe_u32 v16, v34, 27, 4
	v_min_u32_e32 v22, 32, v22
	v_subrev_u32_e32 v26, 28, v22
	v_sub_u32_e32 v22, 29, v22
	v_cmp_eq_u32_e64 s[2:3], 0, v16
	v_lshlrev_b64 v[26:27], v26, v[20:21]
	v_and_b32_e32 v26, 7, v26
	v_cndmask_b32_e64 v16, v16, v22, s[2:3]
	v_lshlrev_b32_e32 v20, 8, v20
	v_lshl_add_u32 v16, v16, 10, v55
	v_cndmask_b32_e64 v6, v6, v26, s[2:3]
	v_and_or_b32 v16, v20, s17, v16
	v_lshl_or_b32 v6, v6, 7, v16
	v_cvt_f32_f16_e32 v39, v6
.LBB307_676:                            ;   in Loop: Header=BB307_524 Depth=1
	s_or_b64 exec, exec, s[20:21]
	v_cmp_gt_i16_sdwa s[12:13], v35, s5 src0_sel:BYTE_0 src1_sel:DWORD
	s_mov_b64 s[2:3], 0
                                        ; implicit-def: $sgpr22
	s_and_saveexec_b64 s[20:21], s[12:13]
	s_xor_b64 s[12:13], exec, s[20:21]
	s_cbranch_execnz .LBB307_941
; %bb.677:                              ;   in Loop: Header=BB307_524 Depth=1
	s_or_saveexec_b64 s[12:13], s[12:13]
	v_mov_b32_e32 v6, s22
	s_xor_b64 exec, exec, s[12:13]
	s_cbranch_execnz .LBB307_944
.LBB307_678:                            ;   in Loop: Header=BB307_524 Depth=1
	s_or_b64 exec, exec, s[12:13]
	v_mov_b32_e32 v20, v35
	s_and_saveexec_b64 s[12:13], s[2:3]
	s_cbranch_execz .LBB307_680
.LBB307_679:                            ;   in Loop: Header=BB307_524 Depth=1
	v_and_b32_e32 v6, 7, v35
	v_ffbh_u32_e32 v6, v6
	v_bfe_u32 v16, v35, 3, 4
	v_min_u32_e32 v6, 32, v6
	v_subrev_u32_e32 v22, 28, v6
	v_sub_u32_e32 v6, 29, v6
	v_cmp_eq_u32_e64 s[2:3], 0, v16
	s_nop 1
	v_cndmask_b32_e64 v6, v16, v6, s[2:3]
	v_cndmask_b32_e64 v16, 0, v22, s[2:3]
	v_lshlrev_b64 v[26:27], v16, v[20:21]
	v_lshlrev_b32_e32 v22, 8, v35
	v_lshl_add_u32 v6, v6, 10, v55
	v_lshlrev_b32_e32 v16, 7, v26
	v_and_or_b32 v6, v22, s17, v6
	v_and_or_b32 v6, v16, s26, v6
	v_cvt_f32_f16_e32 v6, v6
.LBB307_680:                            ;   in Loop: Header=BB307_524 Depth=1
	s_or_b64 exec, exec, s[12:13]
	v_lshrrev_b16_e32 v20, 8, v20
	v_cmp_lt_i16_e64 s[2:3], s5, v20
	s_mov_b64 s[12:13], 0
                                        ; implicit-def: $sgpr24
	s_and_saveexec_b64 s[20:21], s[2:3]
	s_xor_b64 s[20:21], exec, s[20:21]
	s_cbranch_execnz .LBB307_945
; %bb.681:                              ;   in Loop: Header=BB307_524 Depth=1
	s_or_saveexec_b64 s[20:21], s[20:21]
	v_mov_b32_e32 v22, s24
	s_xor_b64 exec, exec, s[20:21]
	s_cbranch_execnz .LBB307_948
.LBB307_682:                            ;   in Loop: Header=BB307_524 Depth=1
	s_or_b64 exec, exec, s[20:21]
	s_and_saveexec_b64 s[20:21], s[12:13]
	s_cbranch_execz .LBB307_684
.LBB307_683:                            ;   in Loop: Header=BB307_524 Depth=1
	v_and_b32_e32 v16, 7, v20
	v_ffbh_u32_e32 v26, v16
	v_min_u32_e32 v33, 32, v26
	v_subrev_u32_e32 v26, 28, v33
	v_bfe_u32 v22, v20, 3, 4
	v_lshlrev_b64 v[26:27], v26, v[20:21]
	v_sub_u32_e32 v27, 29, v33
	v_cmp_eq_u32_e64 s[2:3], 0, v22
	v_and_b32_e32 v26, 7, v26
	v_lshlrev_b32_e32 v20, 8, v20
	v_cndmask_b32_e64 v22, v22, v27, s[2:3]
	v_lshl_add_u32 v22, v22, 10, v55
	v_cndmask_b32_e64 v16, v16, v26, s[2:3]
	v_and_or_b32 v20, v20, s17, v22
	v_lshl_or_b32 v16, v16, 7, v20
	v_cvt_f32_f16_e32 v22, v16
.LBB307_684:                            ;   in Loop: Header=BB307_524 Depth=1
	s_or_b64 exec, exec, s[20:21]
	v_lshrrev_b32_e32 v20, 16, v35
	v_cmp_gt_i16_sdwa s[12:13], v20, s5 src0_sel:BYTE_0 src1_sel:DWORD
	s_mov_b64 s[2:3], 0
                                        ; implicit-def: $sgpr22
	s_and_saveexec_b64 s[20:21], s[12:13]
	s_xor_b64 s[12:13], exec, s[20:21]
	s_cbranch_execnz .LBB307_949
; %bb.685:                              ;   in Loop: Header=BB307_524 Depth=1
	s_or_saveexec_b64 s[12:13], s[12:13]
	v_mov_b32_e32 v26, s22
	s_xor_b64 exec, exec, s[12:13]
	s_cbranch_execnz .LBB307_952
.LBB307_686:                            ;   in Loop: Header=BB307_524 Depth=1
	s_or_b64 exec, exec, s[12:13]
	s_and_saveexec_b64 s[12:13], s[2:3]
	s_cbranch_execz .LBB307_688
.LBB307_687:                            ;   in Loop: Header=BB307_524 Depth=1
	v_bfe_u32 v16, v35, 16, 3
	v_ffbh_u32_e32 v26, v16
	v_min_u32_e32 v34, 32, v26
	v_subrev_u32_e32 v26, 28, v34
	v_bfe_u32 v33, v35, 19, 4
	v_lshlrev_b64 v[26:27], v26, v[20:21]
	v_sub_u32_e32 v27, 29, v34
	v_cmp_eq_u32_e64 s[2:3], 0, v33
	v_and_b32_e32 v26, 7, v26
	v_lshlrev_b32_e32 v20, 8, v20
	v_cndmask_b32_e64 v27, v33, v27, s[2:3]
	v_cndmask_b32_e64 v16, v16, v26, s[2:3]
	v_lshl_add_u32 v26, v27, 10, v55
	v_and_or_b32 v20, v20, s17, v26
	v_lshl_or_b32 v16, v16, 7, v20
	v_cvt_f32_f16_e32 v26, v16
.LBB307_688:                            ;   in Loop: Header=BB307_524 Depth=1
	s_or_b64 exec, exec, s[12:13]
	v_lshrrev_b32_e32 v20, 24, v35
	v_cmp_lt_i16_e64 s[2:3], s5, v20
	s_mov_b64 s[12:13], 0
                                        ; implicit-def: $sgpr24
	s_and_saveexec_b64 s[20:21], s[2:3]
	s_xor_b64 s[20:21], exec, s[20:21]
	s_cbranch_execnz .LBB307_953
; %bb.689:                              ;   in Loop: Header=BB307_524 Depth=1
	s_or_saveexec_b64 s[20:21], s[20:21]
	v_mov_b32_e32 v33, s24
	s_xor_b64 exec, exec, s[20:21]
	s_cbranch_execnz .LBB307_956
.LBB307_690:                            ;   in Loop: Header=BB307_524 Depth=1
	s_or_b64 exec, exec, s[20:21]
	s_and_saveexec_b64 s[20:21], s[12:13]
	s_cbranch_execz .LBB307_692
.LBB307_691:                            ;   in Loop: Header=BB307_524 Depth=1
	v_bfe_u32 v16, v35, 24, 3
	v_ffbh_u32_e32 v33, v16
	v_bfe_u32 v27, v35, 27, 4
	v_min_u32_e32 v33, 32, v33
	v_subrev_u32_e32 v34, 28, v33
	v_sub_u32_e32 v33, 29, v33
	v_cmp_eq_u32_e64 s[2:3], 0, v27
	v_lshlrev_b64 v[34:35], v34, v[20:21]
	v_and_b32_e32 v34, 7, v34
	v_cndmask_b32_e64 v27, v27, v33, s[2:3]
	v_lshlrev_b32_e32 v20, 8, v20
	v_lshl_add_u32 v27, v27, 10, v55
	v_cndmask_b32_e64 v16, v16, v34, s[2:3]
	v_and_or_b32 v20, v20, s17, v27
	v_lshl_or_b32 v16, v16, 7, v20
	v_cvt_f32_f16_e32 v33, v16
.LBB307_692:                            ;   in Loop: Header=BB307_524 Depth=1
	s_or_b64 exec, exec, s[20:21]
	v_pk_mul_f32 v[34:35], v[32:33], v[38:39] op_sel_hi:[0,1]
	v_pk_mul_f32 v[36:37], v[32:33], v[36:37] op_sel_hi:[0,1]
	v_cvt_f16_f32_e32 v16, v35
	v_cvt_f16_f32_e32 v20, v34
	;; [unrolled: 1-line block ×4, first 2 shown]
	v_fma_mixlo_f16 v6, v32, v6, 0
	v_pack_b32_f16 v16, v20, v16
	v_fma_mixlo_f16 v26, v32, v26, 0
	v_pack_b32_f16 v27, v34, v27
	v_perm_b32 v20, v27, v16, s27
	v_perm_b32 v27, v27, v16, s28
	v_fma_mixlo_f16 v16, v32, v22, 0
	v_lshlrev_b32_e32 v16, 16, v16
	v_or_b32_sdwa v6, v16, v6 dst_sel:DWORD dst_unused:UNUSED_PAD src0_sel:DWORD src1_sel:WORD_0
	v_fma_mixlo_f16 v16, v32, v33, 0
	v_lshlrev_b32_e32 v16, 16, v16
	v_or_b32_sdwa v22, v16, v26 dst_sel:DWORD dst_unused:UNUSED_PAD src0_sel:DWORD src1_sel:WORD_0
	s_and_saveexec_b64 s[12:13], s[0:1]
	s_cbranch_execz .LBB307_694
; %bb.693:                              ;   in Loop: Header=BB307_524 Depth=1
	v_add_u32_e32 v16, 1, v7
	v_lshrrev_b32_e32 v32, 16, v27
	v_cmp_lt_i32_e64 s[2:3], v16, v17
	v_accvgpr_read_b32 v34, a8
	v_lshrrev_b32_e32 v33, 16, v20
	v_cndmask_b32_e64 v16, 0, v32, s[2:3]
	v_cmp_lt_i32_e64 s[2:3], v7, v34
	v_or_b32_e32 v32, 2, v7
	v_lshrrev_b32_e32 v22, 16, v22
	v_cndmask_b32_e64 v27, 0, v27, s[2:3]
	v_perm_b32 v27, v16, v27, s29
	v_or_b32_e32 v16, 3, v7
	v_cmp_lt_i32_e64 s[2:3], v16, v17
	s_nop 1
	v_cndmask_b32_e64 v16, 0, v33, s[2:3]
	v_cmp_lt_i32_e64 s[2:3], v32, v34
	v_or_b32_e32 v32, 4, v7
	v_lshrrev_b32_e32 v33, 16, v6
	v_cndmask_b32_e64 v20, 0, v20, s[2:3]
	v_perm_b32 v20, v16, v20, s29
	v_or_b32_e32 v16, 5, v7
	v_cmp_lt_i32_e64 s[2:3], v16, v17
	s_nop 1
	v_cndmask_b32_e64 v16, 0, v33, s[2:3]
	v_cmp_lt_i32_e64 s[2:3], v32, v34
	v_or_b32_e32 v32, 6, v7
	s_nop 0
	v_cndmask_b32_e64 v6, 0, v6, s[2:3]
	v_perm_b32 v6, v16, v6, s29
	v_or_b32_e32 v16, 7, v7
	v_cmp_lt_i32_e64 s[2:3], v16, v17
	s_nop 1
	v_cndmask_b32_e64 v16, 0, v22, s[2:3]
	v_cmp_lt_i32_e64 s[2:3], v32, v34
	s_nop 1
	v_cndmask_b32_e64 v22, 0, v26, s[2:3]
	v_perm_b32 v22, v16, v22, s29
.LBB307_694:                            ;   in Loop: Header=BB307_524 Depth=1
	s_or_b64 exec, exec, s[12:13]
	;;#ASMSTART
	v_pk_mul_f16 v16, v43, v27;

	;;#ASMEND
	;;#ASMSTART
	v_pk_mul_f16 v20, v42, v20;

	;;#ASMEND
	;; [unrolled: 4-line block ×4, first 2 shown]
	v_accvgpr_read_b32 v27, a5
	;;#ASMSTART
	v_pk_add_f16 v16, v16, v20;

	;;#ASMEND
	v_accvgpr_read_b32 v26, a4
	;;#ASMSTART
	v_pk_add_f16 v6, v16, v6;

	;;#ASMEND
	s_mov_b64 s[2:3], 0
	;;#ASMSTART
	v_pk_add_f16 v6, v6, v22;

	;;#ASMEND
                                        ; implicit-def: $sgpr22
	s_nop 0
	v_lshrrev_b32_e32 v16, 16, v6
	v_and_b32_e32 v6, 0xffff, v6
	;;#ASMSTART
	v_cvt_f32_f16 v22, v6;
	;;#ASMEND
	;;#ASMSTART
	v_cvt_f32_f16 v56, v16;
	;;#ASMEND
	flat_load_dwordx2 v[34:35], v[30:31] offset:2560
	flat_load_dword v32, v[26:27]
	s_waitcnt vmcnt(0) lgkmcnt(0)
	v_cmp_gt_i16_sdwa s[12:13], v34, s5 src0_sel:BYTE_0 src1_sel:DWORD
	s_and_saveexec_b64 s[20:21], s[12:13]
	s_xor_b64 s[12:13], exec, s[20:21]
	s_cbranch_execnz .LBB307_957
; %bb.695:                              ;   in Loop: Header=BB307_524 Depth=1
	s_or_saveexec_b64 s[12:13], s[12:13]
	v_mov_b32_e32 v36, s22
	s_xor_b64 exec, exec, s[12:13]
	s_cbranch_execnz .LBB307_960
.LBB307_696:                            ;   in Loop: Header=BB307_524 Depth=1
	s_or_b64 exec, exec, s[12:13]
	s_and_saveexec_b64 s[12:13], s[2:3]
	s_cbranch_execz .LBB307_698
.LBB307_697:                            ;   in Loop: Header=BB307_524 Depth=1
	v_and_b32_e32 v6, 7, v34
	v_ffbh_u32_e32 v6, v6
	v_bfe_u32 v16, v34, 3, 4
	v_min_u32_e32 v6, 32, v6
	v_subrev_u32_e32 v20, 28, v6
	v_sub_u32_e32 v6, 29, v6
	v_cmp_eq_u32_e64 s[2:3], 0, v16
	s_nop 1
	v_cndmask_b32_e64 v6, v16, v6, s[2:3]
	v_cndmask_b32_e64 v16, 0, v20, s[2:3]
	v_lshlrev_b64 v[26:27], v16, v[34:35]
	v_lshlrev_b32_e32 v20, 8, v34
	v_lshl_add_u32 v6, v6, 10, v55
	v_lshlrev_b32_e32 v16, 7, v26
	v_and_or_b32 v6, v20, s17, v6
	v_and_or_b32 v6, v16, s26, v6
	v_cvt_f32_f16_e32 v36, v6
.LBB307_698:                            ;   in Loop: Header=BB307_524 Depth=1
	s_or_b64 exec, exec, s[12:13]
	v_lshrrev_b16_e32 v20, 8, v34
	v_cmp_lt_i16_e64 s[2:3], s5, v20
	s_mov_b64 s[12:13], 0
                                        ; implicit-def: $sgpr24
	s_and_saveexec_b64 s[20:21], s[2:3]
	s_xor_b64 s[20:21], exec, s[20:21]
	s_cbranch_execnz .LBB307_961
; %bb.699:                              ;   in Loop: Header=BB307_524 Depth=1
	s_or_saveexec_b64 s[20:21], s[20:21]
	v_mov_b32_e32 v38, s24
	s_xor_b64 exec, exec, s[20:21]
	s_cbranch_execnz .LBB307_964
.LBB307_700:                            ;   in Loop: Header=BB307_524 Depth=1
	s_or_b64 exec, exec, s[20:21]
	s_and_saveexec_b64 s[20:21], s[12:13]
	s_cbranch_execz .LBB307_702
.LBB307_701:                            ;   in Loop: Header=BB307_524 Depth=1
	v_and_b32_e32 v6, 7, v20
	v_ffbh_u32_e32 v26, v6
	v_min_u32_e32 v33, 32, v26
	v_subrev_u32_e32 v26, 28, v33
	v_bfe_u32 v16, v20, 3, 4
	v_lshlrev_b64 v[26:27], v26, v[20:21]
	v_sub_u32_e32 v27, 29, v33
	v_cmp_eq_u32_e64 s[2:3], 0, v16
	v_and_b32_e32 v26, 7, v26
	v_lshlrev_b32_e32 v20, 8, v20
	v_cndmask_b32_e64 v16, v16, v27, s[2:3]
	v_lshl_add_u32 v16, v16, 10, v55
	v_cndmask_b32_e64 v6, v6, v26, s[2:3]
	v_and_or_b32 v16, v20, s17, v16
	v_lshl_or_b32 v6, v6, 7, v16
	v_cvt_f32_f16_e32 v38, v6
.LBB307_702:                            ;   in Loop: Header=BB307_524 Depth=1
	s_or_b64 exec, exec, s[20:21]
	v_lshrrev_b32_e32 v20, 16, v34
	v_cmp_gt_i16_sdwa s[12:13], v20, s5 src0_sel:BYTE_0 src1_sel:DWORD
	s_mov_b64 s[2:3], 0
                                        ; implicit-def: $sgpr22
	s_and_saveexec_b64 s[20:21], s[12:13]
	s_xor_b64 s[12:13], exec, s[20:21]
	s_cbranch_execnz .LBB307_965
; %bb.703:                              ;   in Loop: Header=BB307_524 Depth=1
	s_or_saveexec_b64 s[12:13], s[12:13]
	v_mov_b32_e32 v37, s22
	s_xor_b64 exec, exec, s[12:13]
	s_cbranch_execnz .LBB307_968
.LBB307_704:                            ;   in Loop: Header=BB307_524 Depth=1
	s_or_b64 exec, exec, s[12:13]
	s_and_saveexec_b64 s[12:13], s[2:3]
	s_cbranch_execz .LBB307_706
.LBB307_705:                            ;   in Loop: Header=BB307_524 Depth=1
	v_bfe_u32 v6, v34, 16, 3
	v_ffbh_u32_e32 v26, v6
	v_min_u32_e32 v33, 32, v26
	v_subrev_u32_e32 v26, 28, v33
	v_bfe_u32 v16, v34, 19, 4
	v_lshlrev_b64 v[26:27], v26, v[20:21]
	v_sub_u32_e32 v27, 29, v33
	v_cmp_eq_u32_e64 s[2:3], 0, v16
	v_and_b32_e32 v26, 7, v26
	v_lshlrev_b32_e32 v20, 8, v20
	v_cndmask_b32_e64 v16, v16, v27, s[2:3]
	v_lshl_add_u32 v16, v16, 10, v55
	v_cndmask_b32_e64 v6, v6, v26, s[2:3]
	v_and_or_b32 v16, v20, s17, v16
	v_lshl_or_b32 v6, v6, 7, v16
	v_cvt_f32_f16_e32 v37, v6
.LBB307_706:                            ;   in Loop: Header=BB307_524 Depth=1
	s_or_b64 exec, exec, s[12:13]
	v_lshrrev_b32_e32 v20, 24, v34
	v_cmp_lt_i16_e64 s[2:3], s5, v20
	s_mov_b64 s[12:13], 0
                                        ; implicit-def: $sgpr24
	s_and_saveexec_b64 s[20:21], s[2:3]
	s_xor_b64 s[20:21], exec, s[20:21]
	s_cbranch_execnz .LBB307_969
; %bb.707:                              ;   in Loop: Header=BB307_524 Depth=1
	s_or_saveexec_b64 s[20:21], s[20:21]
	v_mov_b32_e32 v39, s24
	s_xor_b64 exec, exec, s[20:21]
	s_cbranch_execnz .LBB307_972
.LBB307_708:                            ;   in Loop: Header=BB307_524 Depth=1
	s_or_b64 exec, exec, s[20:21]
	s_and_saveexec_b64 s[20:21], s[12:13]
	s_cbranch_execz .LBB307_710
.LBB307_709:                            ;   in Loop: Header=BB307_524 Depth=1
	v_bfe_u32 v6, v34, 24, 3
	v_ffbh_u32_e32 v26, v6
	v_min_u32_e32 v33, 32, v26
	v_subrev_u32_e32 v26, 28, v33
	v_bfe_u32 v16, v34, 27, 4
	v_lshlrev_b64 v[26:27], v26, v[20:21]
	v_sub_u32_e32 v27, 29, v33
	v_cmp_eq_u32_e64 s[2:3], 0, v16
	v_and_b32_e32 v26, 7, v26
	v_lshlrev_b32_e32 v20, 8, v20
	v_cndmask_b32_e64 v16, v16, v27, s[2:3]
	v_lshl_add_u32 v16, v16, 10, v55
	v_cndmask_b32_e64 v6, v6, v26, s[2:3]
	v_and_or_b32 v16, v20, s17, v16
	v_lshl_or_b32 v6, v6, 7, v16
	v_cvt_f32_f16_e32 v39, v6
.LBB307_710:                            ;   in Loop: Header=BB307_524 Depth=1
	s_or_b64 exec, exec, s[20:21]
	v_cmp_gt_i16_sdwa s[12:13], v35, s5 src0_sel:BYTE_0 src1_sel:DWORD
	s_mov_b64 s[2:3], 0
                                        ; implicit-def: $sgpr22
	s_and_saveexec_b64 s[20:21], s[12:13]
	s_xor_b64 s[12:13], exec, s[20:21]
	s_cbranch_execnz .LBB307_973
; %bb.711:                              ;   in Loop: Header=BB307_524 Depth=1
	s_or_saveexec_b64 s[12:13], s[12:13]
	v_mov_b32_e32 v6, s22
	s_xor_b64 exec, exec, s[12:13]
	s_cbranch_execnz .LBB307_976
.LBB307_712:                            ;   in Loop: Header=BB307_524 Depth=1
	s_or_b64 exec, exec, s[12:13]
	v_mov_b32_e32 v20, v35
	s_and_saveexec_b64 s[12:13], s[2:3]
	s_cbranch_execz .LBB307_714
.LBB307_713:                            ;   in Loop: Header=BB307_524 Depth=1
	v_and_b32_e32 v6, 7, v35
	v_ffbh_u32_e32 v6, v6
	v_bfe_u32 v16, v35, 3, 4
	v_min_u32_e32 v6, 32, v6
	v_subrev_u32_e32 v26, 28, v6
	v_sub_u32_e32 v6, 29, v6
	v_cmp_eq_u32_e64 s[2:3], 0, v16
	s_nop 1
	v_cndmask_b32_e64 v6, v16, v6, s[2:3]
	v_cndmask_b32_e64 v16, 0, v26, s[2:3]
	v_lshlrev_b64 v[26:27], v16, v[20:21]
	v_lshlrev_b32_e32 v16, 7, v26
	v_lshlrev_b32_e32 v26, 8, v35
	v_lshl_add_u32 v6, v6, 10, v55
	v_and_or_b32 v6, v26, s17, v6
	v_and_or_b32 v6, v16, s26, v6
	v_cvt_f32_f16_e32 v6, v6
.LBB307_714:                            ;   in Loop: Header=BB307_524 Depth=1
	s_or_b64 exec, exec, s[12:13]
	v_lshrrev_b16_e32 v20, 8, v20
	v_cmp_lt_i16_e64 s[2:3], s5, v20
	s_mov_b64 s[12:13], 0
                                        ; implicit-def: $sgpr24
	s_and_saveexec_b64 s[20:21], s[2:3]
	s_xor_b64 s[20:21], exec, s[20:21]
	s_cbranch_execnz .LBB307_977
; %bb.715:                              ;   in Loop: Header=BB307_524 Depth=1
	s_or_saveexec_b64 s[20:21], s[20:21]
	v_mov_b32_e32 v26, s24
	s_xor_b64 exec, exec, s[20:21]
	s_cbranch_execnz .LBB307_980
.LBB307_716:                            ;   in Loop: Header=BB307_524 Depth=1
	s_or_b64 exec, exec, s[20:21]
	s_and_saveexec_b64 s[20:21], s[12:13]
	s_cbranch_execz .LBB307_718
.LBB307_717:                            ;   in Loop: Header=BB307_524 Depth=1
	v_and_b32_e32 v16, 7, v20
	v_ffbh_u32_e32 v26, v16
	v_min_u32_e32 v34, 32, v26
	v_subrev_u32_e32 v26, 28, v34
	v_bfe_u32 v33, v20, 3, 4
	v_lshlrev_b64 v[26:27], v26, v[20:21]
	v_sub_u32_e32 v27, 29, v34
	v_cmp_eq_u32_e64 s[2:3], 0, v33
	v_and_b32_e32 v26, 7, v26
	v_lshlrev_b32_e32 v20, 8, v20
	v_cndmask_b32_e64 v27, v33, v27, s[2:3]
	v_cndmask_b32_e64 v16, v16, v26, s[2:3]
	v_lshl_add_u32 v26, v27, 10, v55
	v_and_or_b32 v20, v20, s17, v26
	v_lshl_or_b32 v16, v16, 7, v20
	v_cvt_f32_f16_e32 v26, v16
.LBB307_718:                            ;   in Loop: Header=BB307_524 Depth=1
	s_or_b64 exec, exec, s[20:21]
	v_lshrrev_b32_e32 v20, 16, v35
	v_cmp_gt_i16_sdwa s[12:13], v20, s5 src0_sel:BYTE_0 src1_sel:DWORD
	s_mov_b64 s[2:3], 0
                                        ; implicit-def: $sgpr22
	s_and_saveexec_b64 s[20:21], s[12:13]
	s_xor_b64 s[12:13], exec, s[20:21]
	s_cbranch_execnz .LBB307_981
; %bb.719:                              ;   in Loop: Header=BB307_524 Depth=1
	s_or_saveexec_b64 s[12:13], s[12:13]
	v_mov_b32_e32 v27, s22
	s_xor_b64 exec, exec, s[12:13]
	s_cbranch_execnz .LBB307_984
.LBB307_720:                            ;   in Loop: Header=BB307_524 Depth=1
	s_or_b64 exec, exec, s[12:13]
	s_and_saveexec_b64 s[12:13], s[2:3]
	s_cbranch_execz .LBB307_722
.LBB307_721:                            ;   in Loop: Header=BB307_524 Depth=1
	v_bfe_u32 v16, v35, 16, 3
	v_ffbh_u32_e32 v33, v16
	v_bfe_u32 v27, v35, 19, 4
	v_min_u32_e32 v33, 32, v33
	v_subrev_u32_e32 v34, 28, v33
	v_sub_u32_e32 v33, 29, v33
	v_cmp_eq_u32_e64 s[2:3], 0, v27
	v_lshlrev_b64 v[58:59], v34, v[20:21]
	v_and_b32_e32 v34, 7, v58
	v_cndmask_b32_e64 v27, v27, v33, s[2:3]
	v_lshlrev_b32_e32 v20, 8, v20
	v_lshl_add_u32 v27, v27, 10, v55
	v_cndmask_b32_e64 v16, v16, v34, s[2:3]
	v_and_or_b32 v20, v20, s17, v27
	v_lshl_or_b32 v16, v16, 7, v20
	v_cvt_f32_f16_e32 v27, v16
.LBB307_722:                            ;   in Loop: Header=BB307_524 Depth=1
	s_or_b64 exec, exec, s[12:13]
	v_lshrrev_b32_e32 v20, 24, v35
	v_cmp_lt_i16_e64 s[2:3], s5, v20
	s_mov_b64 s[12:13], 0
                                        ; implicit-def: $sgpr24
	s_and_saveexec_b64 s[20:21], s[2:3]
	s_xor_b64 s[20:21], exec, s[20:21]
	s_cbranch_execnz .LBB307_985
; %bb.723:                              ;   in Loop: Header=BB307_524 Depth=1
	s_or_saveexec_b64 s[20:21], s[20:21]
	v_mov_b32_e32 v34, s24
	s_xor_b64 exec, exec, s[20:21]
	s_cbranch_execnz .LBB307_988
.LBB307_724:                            ;   in Loop: Header=BB307_524 Depth=1
	s_or_b64 exec, exec, s[20:21]
	s_and_saveexec_b64 s[20:21], s[12:13]
	s_cbranch_execz .LBB307_726
.LBB307_725:                            ;   in Loop: Header=BB307_524 Depth=1
	v_bfe_u32 v16, v35, 24, 3
	v_ffbh_u32_e32 v34, v16
	v_min_u32_e32 v57, 32, v34
	v_subrev_u32_e32 v34, 28, v57
	v_bfe_u32 v33, v35, 27, 4
	v_lshlrev_b64 v[34:35], v34, v[20:21]
	v_sub_u32_e32 v35, 29, v57
	v_cmp_eq_u32_e64 s[2:3], 0, v33
	v_and_b32_e32 v34, 7, v34
	v_lshlrev_b32_e32 v20, 8, v20
	v_cndmask_b32_e64 v33, v33, v35, s[2:3]
	v_lshl_add_u32 v33, v33, 10, v55
	v_cndmask_b32_e64 v16, v16, v34, s[2:3]
	v_and_or_b32 v20, v20, s17, v33
	v_lshl_or_b32 v16, v16, 7, v20
	v_cvt_f32_f16_e32 v34, v16
.LBB307_726:                            ;   in Loop: Header=BB307_524 Depth=1
	s_or_b64 exec, exec, s[20:21]
	v_pk_mul_f32 v[38:39], v[32:33], v[38:39] op_sel_hi:[0,1]
	v_pk_mul_f32 v[36:37], v[32:33], v[36:37] op_sel_hi:[0,1]
	v_cvt_f16_f32_e32 v16, v39
	v_cvt_f16_f32_e32 v20, v38
	;; [unrolled: 1-line block ×4, first 2 shown]
	v_fma_mixlo_f16 v6, v32, v6, 0
	v_pack_b32_f16 v16, v20, v16
	v_fma_mixlo_f16 v27, v32, v27, 0
	v_pack_b32_f16 v33, v35, v33
	v_perm_b32 v20, v33, v16, s27
	v_perm_b32 v33, v33, v16, s28
	v_fma_mixlo_f16 v16, v32, v26, 0
	v_lshlrev_b32_e32 v16, 16, v16
	v_or_b32_sdwa v6, v16, v6 dst_sel:DWORD dst_unused:UNUSED_PAD src0_sel:DWORD src1_sel:WORD_0
	v_fma_mixlo_f16 v16, v32, v34, 0
	v_lshlrev_b32_e32 v16, 16, v16
	v_or_b32_sdwa v26, v16, v27 dst_sel:DWORD dst_unused:UNUSED_PAD src0_sel:DWORD src1_sel:WORD_0
	s_and_saveexec_b64 s[12:13], s[0:1]
	s_cbranch_execz .LBB307_728
; %bb.727:                              ;   in Loop: Header=BB307_524 Depth=1
	v_add_u32_e32 v16, 1, v7
	v_lshrrev_b32_e32 v32, 16, v33
	v_cmp_lt_i32_e64 s[2:3], v16, v17
	v_accvgpr_read_b32 v36, a8
	v_lshrrev_b32_e32 v34, 16, v20
	v_cndmask_b32_e64 v16, 0, v32, s[2:3]
	v_cmp_lt_i32_e64 s[2:3], v7, v36
	v_lshrrev_b32_e32 v26, 16, v26
	s_nop 0
	v_cndmask_b32_e64 v32, 0, v33, s[2:3]
	v_perm_b32 v33, v16, v32, s29
	v_or_b32_e32 v16, 3, v7
	v_or_b32_e32 v32, 2, v7
	v_cmp_lt_i32_e64 s[2:3], v16, v17
	s_nop 1
	v_cndmask_b32_e64 v16, 0, v34, s[2:3]
	v_cmp_lt_i32_e64 s[2:3], v32, v36
	v_or_b32_e32 v32, 4, v7
	v_lshrrev_b32_e32 v34, 16, v6
	v_cndmask_b32_e64 v20, 0, v20, s[2:3]
	v_perm_b32 v20, v16, v20, s29
	v_or_b32_e32 v16, 5, v7
	v_cmp_lt_i32_e64 s[2:3], v16, v17
	s_nop 1
	v_cndmask_b32_e64 v16, 0, v34, s[2:3]
	v_cmp_lt_i32_e64 s[2:3], v32, v36
	v_or_b32_e32 v32, 6, v7
	s_nop 0
	v_cndmask_b32_e64 v6, 0, v6, s[2:3]
	v_perm_b32 v6, v16, v6, s29
	v_or_b32_e32 v16, 7, v7
	v_cmp_lt_i32_e64 s[2:3], v16, v17
	s_nop 1
	v_cndmask_b32_e64 v16, 0, v26, s[2:3]
	v_cmp_lt_i32_e64 s[2:3], v32, v36
	s_nop 1
	v_cndmask_b32_e64 v26, 0, v27, s[2:3]
	v_perm_b32 v26, v16, v26, s29
.LBB307_728:                            ;   in Loop: Header=BB307_524 Depth=1
	s_or_b64 exec, exec, s[12:13]
	;;#ASMSTART
	v_pk_mul_f16 v16, v43, v33;

	;;#ASMEND
	;;#ASMSTART
	v_pk_mul_f16 v20, v42, v20;

	;;#ASMEND
	;; [unrolled: 4-line block ×4, first 2 shown]
	s_mov_b64 s[2:3], 0
	;;#ASMSTART
	v_pk_add_f16 v16, v16, v20;

	;;#ASMEND
                                        ; implicit-def: $sgpr22
	s_nop 0
	;;#ASMSTART
	v_pk_add_f16 v6, v16, v6;

	;;#ASMEND
	s_nop 0
	;;#ASMSTART
	v_pk_add_f16 v6, v6, v26;

	;;#ASMEND
	s_nop 0
	v_lshrrev_b32_e32 v16, 16, v6
	v_and_b32_e32 v6, 0xffff, v6
	;;#ASMSTART
	v_cvt_f32_f16 v26, v6;
	;;#ASMEND
	;;#ASMSTART
	v_cvt_f32_f16 v27, v16;
	;;#ASMEND
	flat_load_dwordx2 v[32:33], v[30:31] offset:3072
	v_accvgpr_read_b32 v31, a5
	v_accvgpr_read_b32 v30, a4
	flat_load_dword v30, v[30:31]
	s_waitcnt vmcnt(0) lgkmcnt(0)
	v_cmp_gt_i16_sdwa s[12:13], v32, s5 src0_sel:BYTE_0 src1_sel:DWORD
	s_and_saveexec_b64 s[20:21], s[12:13]
	s_xor_b64 s[12:13], exec, s[20:21]
	s_cbranch_execnz .LBB307_989
; %bb.729:                              ;   in Loop: Header=BB307_524 Depth=1
	s_or_saveexec_b64 s[12:13], s[12:13]
	v_mov_b32_e32 v34, s22
	s_xor_b64 exec, exec, s[12:13]
	s_cbranch_execnz .LBB307_992
.LBB307_730:                            ;   in Loop: Header=BB307_524 Depth=1
	s_or_b64 exec, exec, s[12:13]
	s_and_saveexec_b64 s[12:13], s[2:3]
	s_cbranch_execz .LBB307_732
.LBB307_731:                            ;   in Loop: Header=BB307_524 Depth=1
	v_and_b32_e32 v6, 7, v32
	v_ffbh_u32_e32 v6, v6
	v_bfe_u32 v16, v32, 3, 4
	v_min_u32_e32 v6, 32, v6
	v_subrev_u32_e32 v20, 28, v6
	v_sub_u32_e32 v6, 29, v6
	v_cmp_eq_u32_e64 s[2:3], 0, v16
	s_nop 1
	v_cndmask_b32_e64 v6, v16, v6, s[2:3]
	v_cndmask_b32_e64 v16, 0, v20, s[2:3]
	v_lshlrev_b64 v[34:35], v16, v[32:33]
	v_lshlrev_b32_e32 v20, 8, v32
	v_lshl_add_u32 v6, v6, 10, v55
	v_lshlrev_b32_e32 v16, 7, v34
	v_and_or_b32 v6, v20, s17, v6
	v_and_or_b32 v6, v16, s26, v6
	v_cvt_f32_f16_e32 v34, v6
.LBB307_732:                            ;   in Loop: Header=BB307_524 Depth=1
	s_or_b64 exec, exec, s[12:13]
	v_lshrrev_b16_e32 v20, 8, v32
	v_cmp_lt_i16_e64 s[2:3], s5, v20
	s_mov_b64 s[12:13], 0
                                        ; implicit-def: $sgpr24
	s_and_saveexec_b64 s[20:21], s[2:3]
	s_xor_b64 s[20:21], exec, s[20:21]
	s_cbranch_execnz .LBB307_993
; %bb.733:                              ;   in Loop: Header=BB307_524 Depth=1
	s_or_saveexec_b64 s[20:21], s[20:21]
	v_mov_b32_e32 v36, s24
	s_xor_b64 exec, exec, s[20:21]
	s_cbranch_execnz .LBB307_996
.LBB307_734:                            ;   in Loop: Header=BB307_524 Depth=1
	s_or_b64 exec, exec, s[20:21]
	s_and_saveexec_b64 s[20:21], s[12:13]
	s_cbranch_execz .LBB307_736
.LBB307_735:                            ;   in Loop: Header=BB307_524 Depth=1
	v_and_b32_e32 v6, 7, v20
	v_ffbh_u32_e32 v31, v6
	v_bfe_u32 v16, v20, 3, 4
	v_min_u32_e32 v31, 32, v31
	v_subrev_u32_e32 v35, 28, v31
	v_sub_u32_e32 v31, 29, v31
	v_cmp_eq_u32_e64 s[2:3], 0, v16
	v_lshlrev_b64 v[36:37], v35, v[20:21]
	v_and_b32_e32 v35, 7, v36
	v_cndmask_b32_e64 v16, v16, v31, s[2:3]
	v_lshlrev_b32_e32 v20, 8, v20
	v_lshl_add_u32 v16, v16, 10, v55
	v_cndmask_b32_e64 v6, v6, v35, s[2:3]
	v_and_or_b32 v16, v20, s17, v16
	v_lshl_or_b32 v6, v6, 7, v16
	v_cvt_f32_f16_e32 v36, v6
.LBB307_736:                            ;   in Loop: Header=BB307_524 Depth=1
	s_or_b64 exec, exec, s[20:21]
	v_lshrrev_b32_e32 v20, 16, v32
	v_cmp_gt_i16_sdwa s[12:13], v20, s5 src0_sel:BYTE_0 src1_sel:DWORD
	s_mov_b64 s[2:3], 0
                                        ; implicit-def: $sgpr22
	s_and_saveexec_b64 s[20:21], s[12:13]
	s_xor_b64 s[12:13], exec, s[20:21]
	s_cbranch_execnz .LBB307_997
; %bb.737:                              ;   in Loop: Header=BB307_524 Depth=1
	s_or_saveexec_b64 s[12:13], s[12:13]
	v_mov_b32_e32 v35, s22
	s_xor_b64 exec, exec, s[12:13]
	s_cbranch_execnz .LBB307_1000
.LBB307_738:                            ;   in Loop: Header=BB307_524 Depth=1
	s_or_b64 exec, exec, s[12:13]
	s_and_saveexec_b64 s[12:13], s[2:3]
	s_cbranch_execz .LBB307_740
.LBB307_739:                            ;   in Loop: Header=BB307_524 Depth=1
	v_bfe_u32 v6, v32, 16, 3
	v_ffbh_u32_e32 v31, v6
	v_bfe_u32 v16, v32, 19, 4
	v_min_u32_e32 v31, 32, v31
	v_subrev_u32_e32 v35, 28, v31
	v_sub_u32_e32 v31, 29, v31
	v_cmp_eq_u32_e64 s[2:3], 0, v16
	v_lshlrev_b64 v[38:39], v35, v[20:21]
	v_and_b32_e32 v35, 7, v38
	v_cndmask_b32_e64 v16, v16, v31, s[2:3]
	v_lshlrev_b32_e32 v20, 8, v20
	v_lshl_add_u32 v16, v16, 10, v55
	v_cndmask_b32_e64 v6, v6, v35, s[2:3]
	v_and_or_b32 v16, v20, s17, v16
	v_lshl_or_b32 v6, v6, 7, v16
	v_cvt_f32_f16_e32 v35, v6
.LBB307_740:                            ;   in Loop: Header=BB307_524 Depth=1
	s_or_b64 exec, exec, s[12:13]
	v_lshrrev_b32_e32 v20, 24, v32
	v_cmp_lt_i16_e64 s[2:3], s5, v20
	s_mov_b64 s[12:13], 0
                                        ; implicit-def: $sgpr24
	s_and_saveexec_b64 s[20:21], s[2:3]
	s_xor_b64 s[20:21], exec, s[20:21]
	s_cbranch_execnz .LBB307_1001
; %bb.741:                              ;   in Loop: Header=BB307_524 Depth=1
	s_or_saveexec_b64 s[20:21], s[20:21]
	v_mov_b32_e32 v37, s24
	s_xor_b64 exec, exec, s[20:21]
	s_cbranch_execnz .LBB307_1004
.LBB307_742:                            ;   in Loop: Header=BB307_524 Depth=1
	s_or_b64 exec, exec, s[20:21]
	s_and_saveexec_b64 s[20:21], s[12:13]
	s_cbranch_execz .LBB307_744
.LBB307_743:                            ;   in Loop: Header=BB307_524 Depth=1
	v_bfe_u32 v6, v32, 24, 3
	v_ffbh_u32_e32 v31, v6
	v_bfe_u32 v16, v32, 27, 4
	v_min_u32_e32 v31, 32, v31
	v_subrev_u32_e32 v32, 28, v31
	v_sub_u32_e32 v31, 29, v31
	v_cmp_eq_u32_e64 s[2:3], 0, v16
	v_lshlrev_b64 v[38:39], v32, v[20:21]
	v_and_b32_e32 v32, 7, v38
	v_cndmask_b32_e64 v16, v16, v31, s[2:3]
	v_lshlrev_b32_e32 v20, 8, v20
	v_lshl_add_u32 v16, v16, 10, v55
	v_cndmask_b32_e64 v6, v6, v32, s[2:3]
	v_and_or_b32 v16, v20, s17, v16
	v_lshl_or_b32 v6, v6, 7, v16
	v_cvt_f32_f16_e32 v37, v6
.LBB307_744:                            ;   in Loop: Header=BB307_524 Depth=1
	s_or_b64 exec, exec, s[20:21]
	v_cmp_gt_i16_sdwa s[12:13], v33, s5 src0_sel:BYTE_0 src1_sel:DWORD
	s_mov_b64 s[2:3], 0
                                        ; implicit-def: $sgpr22
	s_and_saveexec_b64 s[20:21], s[12:13]
	s_xor_b64 s[12:13], exec, s[20:21]
	s_cbranch_execnz .LBB307_1005
; %bb.745:                              ;   in Loop: Header=BB307_524 Depth=1
	s_or_saveexec_b64 s[12:13], s[12:13]
	v_mov_b32_e32 v6, s22
	s_xor_b64 exec, exec, s[12:13]
	s_cbranch_execnz .LBB307_1008
.LBB307_746:                            ;   in Loop: Header=BB307_524 Depth=1
	s_or_b64 exec, exec, s[12:13]
	v_mov_b32_e32 v20, v33
	s_and_saveexec_b64 s[12:13], s[2:3]
	s_cbranch_execz .LBB307_748
.LBB307_747:                            ;   in Loop: Header=BB307_524 Depth=1
	v_and_b32_e32 v6, 7, v33
	v_ffbh_u32_e32 v6, v6
	v_bfe_u32 v16, v33, 3, 4
	v_min_u32_e32 v6, 32, v6
	v_subrev_u32_e32 v31, 28, v6
	v_sub_u32_e32 v6, 29, v6
	v_cmp_eq_u32_e64 s[2:3], 0, v16
	s_nop 1
	v_cndmask_b32_e64 v6, v16, v6, s[2:3]
	v_cndmask_b32_e64 v16, 0, v31, s[2:3]
	v_lshlrev_b64 v[38:39], v16, v[20:21]
	v_lshlrev_b32_e32 v31, 8, v33
	v_lshl_add_u32 v6, v6, 10, v55
	v_lshlrev_b32_e32 v16, 7, v38
	v_and_or_b32 v6, v31, s17, v6
	v_and_or_b32 v6, v16, s26, v6
	v_cvt_f32_f16_e32 v6, v6
.LBB307_748:                            ;   in Loop: Header=BB307_524 Depth=1
	s_or_b64 exec, exec, s[12:13]
	v_lshrrev_b16_e32 v20, 8, v20
	v_cmp_lt_i16_e64 s[2:3], s5, v20
	s_mov_b64 s[12:13], 0
                                        ; implicit-def: $sgpr24
	s_and_saveexec_b64 s[20:21], s[2:3]
	s_xor_b64 s[20:21], exec, s[20:21]
	s_cbranch_execnz .LBB307_1009
; %bb.749:                              ;   in Loop: Header=BB307_524 Depth=1
	s_or_saveexec_b64 s[20:21], s[20:21]
	v_mov_b32_e32 v31, s24
	s_xor_b64 exec, exec, s[20:21]
	s_cbranch_execnz .LBB307_1012
.LBB307_750:                            ;   in Loop: Header=BB307_524 Depth=1
	s_or_b64 exec, exec, s[20:21]
	s_and_saveexec_b64 s[20:21], s[12:13]
	s_cbranch_execz .LBB307_752
.LBB307_751:                            ;   in Loop: Header=BB307_524 Depth=1
	v_and_b32_e32 v16, 7, v20
	v_ffbh_u32_e32 v32, v16
	v_bfe_u32 v31, v20, 3, 4
	v_min_u32_e32 v32, 32, v32
	v_subrev_u32_e32 v38, 28, v32
	v_sub_u32_e32 v32, 29, v32
	v_cmp_eq_u32_e64 s[2:3], 0, v31
	v_lshlrev_b64 v[38:39], v38, v[20:21]
	v_and_b32_e32 v38, 7, v38
	v_cndmask_b32_e64 v31, v31, v32, s[2:3]
	v_lshlrev_b32_e32 v20, 8, v20
	v_lshl_add_u32 v31, v31, 10, v55
	v_cndmask_b32_e64 v16, v16, v38, s[2:3]
	v_and_or_b32 v20, v20, s17, v31
	v_lshl_or_b32 v16, v16, 7, v20
	v_cvt_f32_f16_e32 v31, v16
.LBB307_752:                            ;   in Loop: Header=BB307_524 Depth=1
	s_or_b64 exec, exec, s[20:21]
	v_lshrrev_b32_e32 v20, 16, v33
	v_cmp_gt_i16_sdwa s[12:13], v20, s5 src0_sel:BYTE_0 src1_sel:DWORD
	s_mov_b64 s[2:3], 0
                                        ; implicit-def: $sgpr22
	s_and_saveexec_b64 s[20:21], s[12:13]
	s_xor_b64 s[12:13], exec, s[20:21]
	s_cbranch_execnz .LBB307_1013
; %bb.753:                              ;   in Loop: Header=BB307_524 Depth=1
	s_or_saveexec_b64 s[12:13], s[12:13]
	v_mov_b32_e32 v32, s22
	s_xor_b64 exec, exec, s[12:13]
	s_cbranch_execnz .LBB307_1016
.LBB307_754:                            ;   in Loop: Header=BB307_524 Depth=1
	s_or_b64 exec, exec, s[12:13]
	s_and_saveexec_b64 s[12:13], s[2:3]
	s_cbranch_execz .LBB307_756
.LBB307_755:                            ;   in Loop: Header=BB307_524 Depth=1
	v_bfe_u32 v16, v33, 16, 3
	v_ffbh_u32_e32 v38, v16
	v_min_u32_e32 v57, 32, v38
	v_subrev_u32_e32 v38, 28, v57
	v_bfe_u32 v32, v33, 19, 4
	v_lshlrev_b64 v[38:39], v38, v[20:21]
	v_sub_u32_e32 v39, 29, v57
	v_cmp_eq_u32_e64 s[2:3], 0, v32
	v_and_b32_e32 v38, 7, v38
	v_lshlrev_b32_e32 v20, 8, v20
	v_cndmask_b32_e64 v32, v32, v39, s[2:3]
	v_lshl_add_u32 v32, v32, 10, v55
	v_cndmask_b32_e64 v16, v16, v38, s[2:3]
	v_and_or_b32 v20, v20, s17, v32
	v_lshl_or_b32 v16, v16, 7, v20
	v_cvt_f32_f16_e32 v32, v16
.LBB307_756:                            ;   in Loop: Header=BB307_524 Depth=1
	s_or_b64 exec, exec, s[12:13]
	v_lshrrev_b32_e32 v20, 24, v33
	v_cmp_lt_i16_e64 s[2:3], s5, v20
	s_mov_b64 s[12:13], 0
                                        ; implicit-def: $sgpr24
	s_and_saveexec_b64 s[20:21], s[2:3]
	s_xor_b64 s[20:21], exec, s[20:21]
	s_cbranch_execnz .LBB307_1017
; %bb.757:                              ;   in Loop: Header=BB307_524 Depth=1
	s_or_saveexec_b64 s[20:21], s[20:21]
	v_mov_b32_e32 v38, s24
	s_xor_b64 exec, exec, s[20:21]
	s_cbranch_execnz .LBB307_1020
.LBB307_758:                            ;   in Loop: Header=BB307_524 Depth=1
	s_or_b64 exec, exec, s[20:21]
	s_and_saveexec_b64 s[20:21], s[12:13]
	s_cbranch_execz .LBB307_760
.LBB307_759:                            ;   in Loop: Header=BB307_524 Depth=1
	v_bfe_u32 v16, v33, 24, 3
	v_ffbh_u32_e32 v38, v16
	v_min_u32_e32 v57, 32, v38
	v_subrev_u32_e32 v38, 28, v57
	v_bfe_u32 v33, v33, 27, 4
	v_lshlrev_b64 v[38:39], v38, v[20:21]
	v_sub_u32_e32 v39, 29, v57
	v_cmp_eq_u32_e64 s[2:3], 0, v33
	v_and_b32_e32 v38, 7, v38
	v_lshlrev_b32_e32 v20, 8, v20
	v_cndmask_b32_e64 v33, v33, v39, s[2:3]
	v_lshl_add_u32 v33, v33, 10, v55
	v_cndmask_b32_e64 v16, v16, v38, s[2:3]
	v_and_or_b32 v20, v20, s17, v33
	v_lshl_or_b32 v16, v16, 7, v20
	v_cvt_f32_f16_e32 v38, v16
.LBB307_760:                            ;   in Loop: Header=BB307_524 Depth=1
	s_or_b64 exec, exec, s[20:21]
	v_pk_mul_f32 v[36:37], v[30:31], v[36:37] op_sel_hi:[0,1]
	v_pk_mul_f32 v[34:35], v[30:31], v[34:35] op_sel_hi:[0,1]
	v_cvt_f16_f32_e32 v16, v37
	v_cvt_f16_f32_e32 v20, v36
	;; [unrolled: 1-line block ×4, first 2 shown]
	v_fma_mixlo_f16 v6, v30, v6, 0
	v_pack_b32_f16 v16, v20, v16
	v_pack_b32_f16 v33, v34, v33
	v_perm_b32 v20, v33, v16, s27
	v_perm_b32 v33, v33, v16, s28
	v_fma_mixlo_f16 v16, v30, v31, 0
	v_lshlrev_b32_e32 v16, 16, v16
	v_or_b32_sdwa v6, v16, v6 dst_sel:DWORD dst_unused:UNUSED_PAD src0_sel:DWORD src1_sel:WORD_0
	v_fma_mixlo_f16 v16, v30, v38, 0
	v_fma_mixlo_f16 v31, v30, v32, 0
	v_lshlrev_b32_e32 v16, 16, v16
	v_or_b32_sdwa v30, v16, v31 dst_sel:DWORD dst_unused:UNUSED_PAD src0_sel:DWORD src1_sel:WORD_0
	s_and_saveexec_b64 s[12:13], s[0:1]
	s_cbranch_execz .LBB307_762
; %bb.761:                              ;   in Loop: Header=BB307_524 Depth=1
	v_add_u32_e32 v16, 1, v7
	v_lshrrev_b32_e32 v32, 16, v33
	v_cmp_lt_i32_e64 s[2:3], v16, v17
	v_accvgpr_read_b32 v36, a8
	v_lshrrev_b32_e32 v34, 16, v20
	v_cndmask_b32_e64 v16, 0, v32, s[2:3]
	v_cmp_lt_i32_e64 s[2:3], v7, v36
	v_lshrrev_b32_e32 v30, 16, v30
	s_nop 0
	v_cndmask_b32_e64 v32, 0, v33, s[2:3]
	v_perm_b32 v33, v16, v32, s29
	v_or_b32_e32 v16, 3, v7
	v_or_b32_e32 v32, 2, v7
	v_cmp_lt_i32_e64 s[2:3], v16, v17
	s_nop 1
	v_cndmask_b32_e64 v16, 0, v34, s[2:3]
	v_cmp_lt_i32_e64 s[2:3], v32, v36
	v_or_b32_e32 v32, 4, v7
	v_lshrrev_b32_e32 v34, 16, v6
	v_cndmask_b32_e64 v20, 0, v20, s[2:3]
	v_perm_b32 v20, v16, v20, s29
	v_or_b32_e32 v16, 5, v7
	v_cmp_lt_i32_e64 s[2:3], v16, v17
	s_nop 1
	v_cndmask_b32_e64 v16, 0, v34, s[2:3]
	v_cmp_lt_i32_e64 s[2:3], v32, v36
	v_or_b32_e32 v32, 6, v7
	s_nop 0
	v_cndmask_b32_e64 v6, 0, v6, s[2:3]
	v_perm_b32 v6, v16, v6, s29
	v_or_b32_e32 v16, 7, v7
	v_cmp_lt_i32_e64 s[2:3], v16, v17
	s_nop 1
	v_cndmask_b32_e64 v16, 0, v30, s[2:3]
	v_cmp_lt_i32_e64 s[2:3], v32, v36
	s_nop 1
	v_cndmask_b32_e64 v30, 0, v31, s[2:3]
	v_perm_b32 v30, v16, v30, s29
.LBB307_762:                            ;   in Loop: Header=BB307_524 Depth=1
	s_or_b64 exec, exec, s[12:13]
	v_add_f32_e32 v4, v4, v5
	v_add_f32_e32 v8, v8, v4
	;; [unrolled: 1-line block ×11, first 2 shown]
	;;#ASMSTART
	v_pk_mul_f16 v4, v43, v33;

	;;#ASMEND
	v_add_f32_e32 v13, v13, v16
	;;#ASMSTART
	v_pk_mul_f16 v5, v42, v20;

	;;#ASMEND
	;;#ASMSTART
	v_pk_mul_f16 v6, v41, v6;

	;;#ASMEND
	;; [unrolled: 4-line block ×3, first 2 shown]
	s_nop 0
	;;#ASMSTART
	v_pk_add_f16 v4, v4, v5;

	;;#ASMEND
	s_nop 0
	;;#ASMSTART
	v_pk_add_f16 v4, v4, v6;

	;;#ASMEND
	;; [unrolled: 5-line block ×3, first 2 shown]
	s_nop 0
	v_lshrrev_b32_e32 v5, 16, v4
	v_and_b32_e32 v4, 0xffff, v4
	;;#ASMSTART
	v_cvt_f32_f16 v4, v4;
	;;#ASMEND
	;;#ASMSTART
	v_cvt_f32_f16 v5, v5;
	;;#ASMEND
	s_nop 0
	v_add_f32_e32 v4, v4, v5
	v_add_f32_e32 v0, v0, v4
	s_and_saveexec_b64 s[12:13], vcc
	s_cbranch_execz .LBB307_523
; %bb.763:                              ;   in Loop: Header=BB307_524 Depth=1
	v_lshl_add_u64 v[4:5], v[28:29], 0, v[24:25]
	flat_load_dwordx2 v[30:31], v[4:5]
	v_accvgpr_read_b32 v4, a4
	v_accvgpr_read_b32 v5, a5
	flat_load_dword v28, v[4:5]
	s_mov_b64 s[2:3], 0
                                        ; implicit-def: $sgpr24
	s_waitcnt vmcnt(0) lgkmcnt(0)
	v_cmp_gt_i16_sdwa s[20:21], v30, s5 src0_sel:BYTE_0 src1_sel:DWORD
	s_and_saveexec_b64 s[22:23], s[20:21]
	s_xor_b64 s[20:21], exec, s[22:23]
	s_cbranch_execnz .LBB307_1021
; %bb.764:                              ;   in Loop: Header=BB307_524 Depth=1
	s_or_saveexec_b64 s[20:21], s[20:21]
	v_mov_b32_e32 v32, s24
	s_xor_b64 exec, exec, s[20:21]
	s_cbranch_execnz .LBB307_1024
.LBB307_765:                            ;   in Loop: Header=BB307_524 Depth=1
	s_or_b64 exec, exec, s[20:21]
	s_and_saveexec_b64 s[20:21], s[2:3]
	s_cbranch_execz .LBB307_767
.LBB307_766:                            ;   in Loop: Header=BB307_524 Depth=1
	v_and_b32_e32 v4, 7, v30
	v_ffbh_u32_e32 v4, v4
	v_bfe_u32 v5, v30, 3, 4
	v_min_u32_e32 v4, 32, v4
	v_subrev_u32_e32 v6, 28, v4
	v_sub_u32_e32 v4, 29, v4
	v_cmp_eq_u32_e64 s[2:3], 0, v5
	s_nop 1
	v_cndmask_b32_e64 v16, v5, v4, s[2:3]
	v_cndmask_b32_e64 v4, 0, v6, s[2:3]
	v_lshlrev_b64 v[4:5], v4, v[30:31]
	v_lshlrev_b32_e32 v5, 8, v30
	v_lshl_add_u32 v6, v16, 10, v55
	v_lshlrev_b32_e32 v4, 7, v4
	v_and_or_b32 v5, v5, s17, v6
	v_and_or_b32 v4, v4, s26, v5
	v_cvt_f32_f16_e32 v32, v4
.LBB307_767:                            ;   in Loop: Header=BB307_524 Depth=1
	s_or_b64 exec, exec, s[20:21]
	v_lshrrev_b16_e32 v20, 8, v30
	v_cmp_lt_i16_e64 s[2:3], s5, v20
	s_mov_b64 s[20:21], 0
                                        ; implicit-def: $sgpr30
	s_and_saveexec_b64 s[22:23], s[2:3]
	s_xor_b64 s[22:23], exec, s[22:23]
	s_cbranch_execnz .LBB307_1025
; %bb.768:                              ;   in Loop: Header=BB307_524 Depth=1
	s_or_saveexec_b64 s[22:23], s[22:23]
	v_mov_b32_e32 v34, s30
	s_xor_b64 exec, exec, s[22:23]
	s_cbranch_execnz .LBB307_1028
.LBB307_769:                            ;   in Loop: Header=BB307_524 Depth=1
	s_or_b64 exec, exec, s[22:23]
	s_and_saveexec_b64 s[22:23], s[20:21]
	s_cbranch_execz .LBB307_771
.LBB307_770:                            ;   in Loop: Header=BB307_524 Depth=1
	v_and_b32_e32 v6, 7, v20
	v_ffbh_u32_e32 v4, v6
	v_min_u32_e32 v22, 32, v4
	v_subrev_u32_e32 v4, 28, v22
	v_bfe_u32 v16, v20, 3, 4
	v_lshlrev_b64 v[4:5], v4, v[20:21]
	v_sub_u32_e32 v5, 29, v22
	v_cmp_eq_u32_e64 s[2:3], 0, v16
	v_and_b32_e32 v4, 7, v4
	s_nop 0
	v_cndmask_b32_e64 v5, v16, v5, s[2:3]
	v_cndmask_b32_e64 v4, v6, v4, s[2:3]
	v_lshlrev_b32_e32 v6, 8, v20
	v_lshl_add_u32 v5, v5, 10, v55
	v_and_or_b32 v5, v6, s17, v5
	v_lshl_or_b32 v4, v4, 7, v5
	v_cvt_f32_f16_e32 v34, v4
.LBB307_771:                            ;   in Loop: Header=BB307_524 Depth=1
	s_or_b64 exec, exec, s[22:23]
	v_lshrrev_b32_e32 v20, 16, v30
	v_cmp_gt_i16_sdwa s[20:21], v20, s5 src0_sel:BYTE_0 src1_sel:DWORD
	s_mov_b64 s[2:3], 0
                                        ; implicit-def: $sgpr24
	s_and_saveexec_b64 s[22:23], s[20:21]
	s_xor_b64 s[20:21], exec, s[22:23]
	s_cbranch_execnz .LBB307_1029
; %bb.772:                              ;   in Loop: Header=BB307_524 Depth=1
	s_or_saveexec_b64 s[20:21], s[20:21]
	v_mov_b32_e32 v33, s24
	s_xor_b64 exec, exec, s[20:21]
	s_cbranch_execnz .LBB307_1032
.LBB307_773:                            ;   in Loop: Header=BB307_524 Depth=1
	s_or_b64 exec, exec, s[20:21]
	s_and_saveexec_b64 s[20:21], s[2:3]
	s_cbranch_execz .LBB307_775
.LBB307_774:                            ;   in Loop: Header=BB307_524 Depth=1
	v_bfe_u32 v6, v30, 16, 3
	v_ffbh_u32_e32 v4, v6
	v_min_u32_e32 v22, 32, v4
	v_subrev_u32_e32 v4, 28, v22
	v_bfe_u32 v16, v30, 19, 4
	v_lshlrev_b64 v[4:5], v4, v[20:21]
	v_sub_u32_e32 v5, 29, v22
	v_cmp_eq_u32_e64 s[2:3], 0, v16
	v_and_b32_e32 v4, 7, v4
	s_nop 0
	v_cndmask_b32_e64 v5, v16, v5, s[2:3]
	v_cndmask_b32_e64 v4, v6, v4, s[2:3]
	v_lshlrev_b32_e32 v6, 8, v20
	v_lshl_add_u32 v5, v5, 10, v55
	v_and_or_b32 v5, v6, s17, v5
	v_lshl_or_b32 v4, v4, 7, v5
	v_cvt_f32_f16_e32 v33, v4
.LBB307_775:                            ;   in Loop: Header=BB307_524 Depth=1
	s_or_b64 exec, exec, s[20:21]
	v_lshrrev_b32_e32 v20, 24, v30
	v_cmp_lt_i16_e64 s[2:3], s5, v20
	s_mov_b64 s[20:21], 0
                                        ; implicit-def: $sgpr30
	s_and_saveexec_b64 s[22:23], s[2:3]
	s_xor_b64 s[22:23], exec, s[22:23]
	s_cbranch_execnz .LBB307_1033
; %bb.776:                              ;   in Loop: Header=BB307_524 Depth=1
	s_or_saveexec_b64 s[22:23], s[22:23]
	v_mov_b32_e32 v35, s30
	s_xor_b64 exec, exec, s[22:23]
	s_cbranch_execnz .LBB307_1036
.LBB307_777:                            ;   in Loop: Header=BB307_524 Depth=1
	s_or_b64 exec, exec, s[22:23]
	s_and_saveexec_b64 s[22:23], s[20:21]
	s_cbranch_execz .LBB307_779
.LBB307_778:                            ;   in Loop: Header=BB307_524 Depth=1
	v_bfe_u32 v6, v30, 24, 3
	v_ffbh_u32_e32 v4, v6
	v_min_u32_e32 v22, 32, v4
	v_subrev_u32_e32 v4, 28, v22
	v_bfe_u32 v16, v30, 27, 4
	v_lshlrev_b64 v[4:5], v4, v[20:21]
	v_sub_u32_e32 v5, 29, v22
	v_cmp_eq_u32_e64 s[2:3], 0, v16
	v_and_b32_e32 v4, 7, v4
	s_nop 0
	v_cndmask_b32_e64 v5, v16, v5, s[2:3]
	v_cndmask_b32_e64 v4, v6, v4, s[2:3]
	v_lshlrev_b32_e32 v6, 8, v20
	v_lshl_add_u32 v5, v5, 10, v55
	v_and_or_b32 v5, v6, s17, v5
	v_lshl_or_b32 v4, v4, 7, v5
	v_cvt_f32_f16_e32 v35, v4
.LBB307_779:                            ;   in Loop: Header=BB307_524 Depth=1
	s_or_b64 exec, exec, s[22:23]
	v_cmp_gt_i16_sdwa s[20:21], v31, s5 src0_sel:BYTE_0 src1_sel:DWORD
	s_mov_b64 s[2:3], 0
                                        ; implicit-def: $sgpr24
	s_and_saveexec_b64 s[22:23], s[20:21]
	s_xor_b64 s[20:21], exec, s[22:23]
	s_cbranch_execnz .LBB307_1037
; %bb.780:                              ;   in Loop: Header=BB307_524 Depth=1
	s_or_saveexec_b64 s[20:21], s[20:21]
	v_mov_b32_e32 v4, s24
	s_xor_b64 exec, exec, s[20:21]
	s_cbranch_execnz .LBB307_1040
.LBB307_781:                            ;   in Loop: Header=BB307_524 Depth=1
	s_or_b64 exec, exec, s[20:21]
	v_mov_b32_e32 v20, v31
	s_and_saveexec_b64 s[20:21], s[2:3]
	s_cbranch_execz .LBB307_783
.LBB307_782:                            ;   in Loop: Header=BB307_524 Depth=1
	v_and_b32_e32 v4, 7, v31
	v_ffbh_u32_e32 v4, v4
	v_bfe_u32 v5, v31, 3, 4
	v_min_u32_e32 v4, 32, v4
	v_subrev_u32_e32 v6, 28, v4
	v_sub_u32_e32 v4, 29, v4
	v_cmp_eq_u32_e64 s[2:3], 0, v5
	s_nop 1
	v_cndmask_b32_e64 v16, v5, v4, s[2:3]
	v_cndmask_b32_e64 v4, 0, v6, s[2:3]
	v_lshlrev_b64 v[4:5], v4, v[20:21]
	v_lshlrev_b32_e32 v5, 8, v31
	v_lshl_add_u32 v6, v16, 10, v55
	v_lshlrev_b32_e32 v4, 7, v4
	v_and_or_b32 v5, v5, s17, v6
	v_and_or_b32 v4, v4, s26, v5
	v_cvt_f32_f16_e32 v4, v4
.LBB307_783:                            ;   in Loop: Header=BB307_524 Depth=1
	s_or_b64 exec, exec, s[20:21]
	v_lshrrev_b16_e32 v20, 8, v20
	v_cmp_lt_i16_e64 s[2:3], s5, v20
	s_mov_b64 s[20:21], 0
                                        ; implicit-def: $sgpr30
	s_and_saveexec_b64 s[22:23], s[2:3]
	s_xor_b64 s[22:23], exec, s[22:23]
	s_cbranch_execnz .LBB307_1041
; %bb.784:                              ;   in Loop: Header=BB307_524 Depth=1
	s_or_saveexec_b64 s[22:23], s[22:23]
	v_mov_b32_e32 v5, s30
	s_xor_b64 exec, exec, s[22:23]
	s_cbranch_execnz .LBB307_1044
.LBB307_785:                            ;   in Loop: Header=BB307_524 Depth=1
	s_or_b64 exec, exec, s[22:23]
	s_and_saveexec_b64 s[22:23], s[20:21]
	s_cbranch_execz .LBB307_787
.LBB307_786:                            ;   in Loop: Header=BB307_524 Depth=1
	v_and_b32_e32 v5, 7, v20
	v_ffbh_u32_e32 v16, v5
	v_bfe_u32 v6, v20, 3, 4
	v_min_u32_e32 v16, 32, v16
	v_subrev_u32_e32 v22, 28, v16
	v_sub_u32_e32 v16, 29, v16
	v_cmp_eq_u32_e64 s[2:3], 0, v6
	v_lshlrev_b64 v[26:27], v22, v[20:21]
	v_and_b32_e32 v22, 7, v26
	v_cndmask_b32_e64 v6, v6, v16, s[2:3]
	v_lshlrev_b32_e32 v16, 8, v20
	v_lshl_add_u32 v6, v6, 10, v55
	v_cndmask_b32_e64 v5, v5, v22, s[2:3]
	v_and_or_b32 v6, v16, s17, v6
	v_lshl_or_b32 v5, v5, 7, v6
	v_cvt_f32_f16_e32 v5, v5
.LBB307_787:                            ;   in Loop: Header=BB307_524 Depth=1
	s_or_b64 exec, exec, s[22:23]
	v_lshrrev_b32_e32 v20, 16, v31
	v_cmp_gt_i16_sdwa s[20:21], v20, s5 src0_sel:BYTE_0 src1_sel:DWORD
	s_mov_b64 s[2:3], 0
                                        ; implicit-def: $sgpr24
	s_and_saveexec_b64 s[22:23], s[20:21]
	s_xor_b64 s[20:21], exec, s[22:23]
	s_cbranch_execnz .LBB307_1045
; %bb.788:                              ;   in Loop: Header=BB307_524 Depth=1
	s_or_saveexec_b64 s[20:21], s[20:21]
	v_mov_b32_e32 v6, s24
	s_xor_b64 exec, exec, s[20:21]
	s_cbranch_execnz .LBB307_1048
.LBB307_789:                            ;   in Loop: Header=BB307_524 Depth=1
	s_or_b64 exec, exec, s[20:21]
	s_and_saveexec_b64 s[20:21], s[2:3]
	s_cbranch_execz .LBB307_791
.LBB307_790:                            ;   in Loop: Header=BB307_524 Depth=1
	v_bfe_u32 v6, v31, 16, 3
	v_ffbh_u32_e32 v22, v6
	v_bfe_u32 v16, v31, 19, 4
	v_min_u32_e32 v22, 32, v22
	v_subrev_u32_e32 v26, 28, v22
	v_sub_u32_e32 v22, 29, v22
	v_cmp_eq_u32_e64 s[2:3], 0, v16
	v_lshlrev_b64 v[26:27], v26, v[20:21]
	v_and_b32_e32 v26, 7, v26
	v_cndmask_b32_e64 v16, v16, v22, s[2:3]
	v_lshlrev_b32_e32 v20, 8, v20
	v_lshl_add_u32 v16, v16, 10, v55
	v_cndmask_b32_e64 v6, v6, v26, s[2:3]
	v_and_or_b32 v16, v20, s17, v16
	v_lshl_or_b32 v6, v6, 7, v16
	v_cvt_f32_f16_e32 v6, v6
.LBB307_791:                            ;   in Loop: Header=BB307_524 Depth=1
	s_or_b64 exec, exec, s[20:21]
	v_lshrrev_b32_e32 v20, 24, v31
	v_cmp_lt_i16_e64 s[2:3], s5, v20
	s_mov_b64 s[20:21], 0
                                        ; implicit-def: $sgpr30
	s_and_saveexec_b64 s[22:23], s[2:3]
	s_xor_b64 s[22:23], exec, s[22:23]
	s_cbranch_execnz .LBB307_1049
; %bb.792:                              ;   in Loop: Header=BB307_524 Depth=1
	s_or_saveexec_b64 s[22:23], s[22:23]
	v_mov_b32_e32 v26, s30
	s_xor_b64 exec, exec, s[22:23]
	s_cbranch_execnz .LBB307_1052
.LBB307_793:                            ;   in Loop: Header=BB307_524 Depth=1
	s_or_b64 exec, exec, s[22:23]
	s_and_saveexec_b64 s[22:23], s[20:21]
	s_cbranch_execz .LBB307_795
.LBB307_794:                            ;   in Loop: Header=BB307_524 Depth=1
	v_bfe_u32 v16, v31, 24, 3
	v_ffbh_u32_e32 v26, v16
	v_min_u32_e32 v29, 32, v26
	v_subrev_u32_e32 v26, 28, v29
	v_bfe_u32 v22, v31, 27, 4
	v_lshlrev_b64 v[26:27], v26, v[20:21]
	v_sub_u32_e32 v27, 29, v29
	v_cmp_eq_u32_e64 s[2:3], 0, v22
	v_and_b32_e32 v26, 7, v26
	v_lshlrev_b32_e32 v20, 8, v20
	v_cndmask_b32_e64 v22, v22, v27, s[2:3]
	v_lshl_add_u32 v22, v22, 10, v55
	v_cndmask_b32_e64 v16, v16, v26, s[2:3]
	v_and_or_b32 v20, v20, s17, v22
	v_lshl_or_b32 v16, v16, 7, v20
	v_cvt_f32_f16_e32 v26, v16
.LBB307_795:                            ;   in Loop: Header=BB307_524 Depth=1
	s_or_b64 exec, exec, s[22:23]
	v_pk_mul_f32 v[30:31], v[28:29], v[34:35] op_sel_hi:[0,1]
	v_pk_mul_f32 v[32:33], v[28:29], v[32:33] op_sel_hi:[0,1]
	v_cvt_f16_f32_e32 v16, v31
	v_cvt_f16_f32_e32 v20, v30
	;; [unrolled: 1-line block ×4, first 2 shown]
	v_fma_mixlo_f16 v5, v28, v5, 0
	v_lshlrev_b32_e32 v5, 16, v5
	v_fma_mixlo_f16 v4, v28, v4, 0
	v_or_b32_sdwa v4, v5, v4 dst_sel:DWORD dst_unused:UNUSED_PAD src0_sel:DWORD src1_sel:WORD_0
	v_fma_mixlo_f16 v5, v28, v26, 0
	v_pack_b32_f16 v16, v20, v16
	v_pack_b32_f16 v22, v27, v22
	v_fma_mixlo_f16 v6, v28, v6, 0
	v_lshlrev_b32_e32 v5, 16, v5
	v_perm_b32 v20, v22, v16, s27
	v_perm_b32 v22, v22, v16, s28
	v_or_b32_sdwa v5, v5, v6 dst_sel:DWORD dst_unused:UNUSED_PAD src0_sel:DWORD src1_sel:WORD_0
	s_and_saveexec_b64 s[2:3], s[0:1]
	s_cbranch_execz .LBB307_522
; %bb.796:                              ;   in Loop: Header=BB307_524 Depth=1
	v_add_u32_e32 v16, 1, v7
	v_lshrrev_b32_e32 v26, 16, v22
	v_cmp_lt_i32_e64 s[0:1], v16, v17
	v_accvgpr_read_b32 v28, a8
	v_lshrrev_b32_e32 v27, 16, v20
	v_cndmask_b32_e64 v16, 0, v26, s[0:1]
	v_cmp_lt_i32_e64 s[0:1], v7, v28
	v_or_b32_e32 v26, 2, v7
	v_lshrrev_b32_e32 v5, 16, v5
	v_cndmask_b32_e64 v22, 0, v22, s[0:1]
	v_perm_b32 v22, v16, v22, s29
	v_or_b32_e32 v16, 3, v7
	v_cmp_lt_i32_e64 s[0:1], v16, v17
	s_nop 1
	v_cndmask_b32_e64 v16, 0, v27, s[0:1]
	v_cmp_lt_i32_e64 s[0:1], v26, v28
	v_or_b32_e32 v26, 4, v7
	v_lshrrev_b32_e32 v27, 16, v4
	v_cndmask_b32_e64 v20, 0, v20, s[0:1]
	v_perm_b32 v20, v16, v20, s29
	v_or_b32_e32 v16, 5, v7
	v_cmp_lt_i32_e64 s[0:1], v16, v17
	s_nop 1
	v_cndmask_b32_e64 v16, 0, v27, s[0:1]
	v_cmp_lt_i32_e64 s[0:1], v26, v28
	v_or_b32_e32 v26, 6, v7
	s_nop 0
	v_cndmask_b32_e64 v4, 0, v4, s[0:1]
	v_perm_b32 v4, v16, v4, s29
	v_or_b32_e32 v16, 7, v7
	v_cmp_lt_i32_e64 s[0:1], v16, v17
	s_nop 1
	v_cndmask_b32_e64 v5, 0, v5, s[0:1]
	v_cmp_lt_i32_e64 s[0:1], v26, v28
	s_nop 1
	v_cndmask_b32_e64 v6, 0, v6, s[0:1]
	v_perm_b32 v5, v5, v6, s29
	s_branch .LBB307_522
.LBB307_797:                            ;   in Loop: Header=BB307_524 Depth=1
	v_cmp_eq_u16_sdwa s[22:23], v34, s15 src0_sel:BYTE_0 src1_sel:DWORD
	s_mov_b64 s[0:1], -1
                                        ; implicit-def: $sgpr20
	s_and_saveexec_b64 s[12:13], s[22:23]
; %bb.798:                              ;   in Loop: Header=BB307_524 Depth=1
	s_mov_b32 s20, 0x7fc02000
	s_xor_b64 s[0:1], exec, -1
; %bb.799:                              ;   in Loop: Header=BB307_524 Depth=1
	s_or_b64 exec, exec, s[12:13]
	s_and_b64 s[0:1], s[0:1], exec
	s_or_saveexec_b64 s[2:3], s[2:3]
	v_mov_b32_e32 v36, s20
	s_xor_b64 exec, exec, s[2:3]
	s_cbranch_execz .LBB307_526
.LBB307_800:                            ;   in Loop: Header=BB307_524 Depth=1
	v_cmp_ne_u16_sdwa s[12:13], v34, v21 src0_sel:BYTE_0 src1_sel:DWORD
	s_andn2_b64 s[0:1], s[0:1], exec
	s_and_b64 s[12:13], s[12:13], exec
	v_mov_b32_e32 v36, 0
	s_or_b64 s[0:1], s[0:1], s[12:13]
	s_or_b64 exec, exec, s[2:3]
	s_and_saveexec_b64 s[2:3], s[0:1]
	s_cbranch_execnz .LBB307_527
	s_branch .LBB307_528
.LBB307_801:                            ;   in Loop: Header=BB307_524 Depth=1
	v_cmp_eq_u16_e64 s[0:1], s15, v20
	s_mov_b64 s[2:3], -1
                                        ; implicit-def: $sgpr22
	s_and_saveexec_b64 s[20:21], s[0:1]
; %bb.802:                              ;   in Loop: Header=BB307_524 Depth=1
	s_mov_b32 s22, 0x7fc02000
	s_xor_b64 s[2:3], exec, -1
; %bb.803:                              ;   in Loop: Header=BB307_524 Depth=1
	s_or_b64 exec, exec, s[20:21]
	s_and_b64 s[2:3], s[2:3], exec
	s_or_saveexec_b64 s[12:13], s[12:13]
	v_mov_b32_e32 v38, s22
	s_xor_b64 exec, exec, s[12:13]
	s_cbranch_execz .LBB307_530
.LBB307_804:                            ;   in Loop: Header=BB307_524 Depth=1
	v_cmp_ne_u16_e64 s[0:1], 0, v20
	s_andn2_b64 s[2:3], s[2:3], exec
	s_and_b64 s[0:1], s[0:1], exec
	v_mov_b32_e32 v38, 0
	s_or_b64 s[2:3], s[2:3], s[0:1]
	s_or_b64 exec, exec, s[12:13]
	s_and_saveexec_b64 s[12:13], s[2:3]
	s_cbranch_execnz .LBB307_531
	s_branch .LBB307_532
.LBB307_805:                            ;   in Loop: Header=BB307_524 Depth=1
	v_cmp_eq_u16_sdwa s[22:23], v20, s15 src0_sel:BYTE_0 src1_sel:DWORD
	s_mov_b64 s[0:1], -1
                                        ; implicit-def: $sgpr20
	s_and_saveexec_b64 s[12:13], s[22:23]
; %bb.806:                              ;   in Loop: Header=BB307_524 Depth=1
	s_mov_b32 s20, 0x7fc02000
	s_xor_b64 s[0:1], exec, -1
; %bb.807:                              ;   in Loop: Header=BB307_524 Depth=1
	s_or_b64 exec, exec, s[12:13]
	s_and_b64 s[0:1], s[0:1], exec
	s_or_saveexec_b64 s[2:3], s[2:3]
	v_mov_b32_e32 v37, s20
	s_xor_b64 exec, exec, s[2:3]
	s_cbranch_execz .LBB307_534
.LBB307_808:                            ;   in Loop: Header=BB307_524 Depth=1
	v_cmp_ne_u16_sdwa s[12:13], v20, v21 src0_sel:BYTE_0 src1_sel:DWORD
	s_andn2_b64 s[0:1], s[0:1], exec
	s_and_b64 s[12:13], s[12:13], exec
	v_mov_b32_e32 v37, 0
	s_or_b64 s[0:1], s[0:1], s[12:13]
	s_or_b64 exec, exec, s[2:3]
	s_and_saveexec_b64 s[2:3], s[0:1]
	s_cbranch_execnz .LBB307_535
	s_branch .LBB307_536
.LBB307_809:                            ;   in Loop: Header=BB307_524 Depth=1
	v_cmp_eq_u16_e64 s[0:1], s15, v20
	s_mov_b64 s[2:3], -1
                                        ; implicit-def: $sgpr22
	s_and_saveexec_b64 s[20:21], s[0:1]
; %bb.810:                              ;   in Loop: Header=BB307_524 Depth=1
	s_mov_b32 s22, 0x7fc02000
	s_xor_b64 s[2:3], exec, -1
; %bb.811:                              ;   in Loop: Header=BB307_524 Depth=1
	s_or_b64 exec, exec, s[20:21]
	s_and_b64 s[2:3], s[2:3], exec
	s_or_saveexec_b64 s[12:13], s[12:13]
	v_mov_b32_e32 v39, s22
	s_xor_b64 exec, exec, s[12:13]
	s_cbranch_execz .LBB307_538
.LBB307_812:                            ;   in Loop: Header=BB307_524 Depth=1
	v_cmp_ne_u16_e64 s[0:1], 0, v20
	s_andn2_b64 s[2:3], s[2:3], exec
	s_and_b64 s[0:1], s[0:1], exec
	v_mov_b32_e32 v39, 0
	s_or_b64 s[2:3], s[2:3], s[0:1]
	s_or_b64 exec, exec, s[12:13]
	s_and_saveexec_b64 s[12:13], s[2:3]
	s_cbranch_execnz .LBB307_539
	s_branch .LBB307_540
.LBB307_813:                            ;   in Loop: Header=BB307_524 Depth=1
	v_cmp_eq_u16_sdwa s[22:23], v35, s15 src0_sel:BYTE_0 src1_sel:DWORD
	s_mov_b64 s[0:1], -1
                                        ; implicit-def: $sgpr20
	s_and_saveexec_b64 s[12:13], s[22:23]
; %bb.814:                              ;   in Loop: Header=BB307_524 Depth=1
	s_mov_b32 s20, 0x7fc02000
	s_xor_b64 s[0:1], exec, -1
; %bb.815:                              ;   in Loop: Header=BB307_524 Depth=1
	s_or_b64 exec, exec, s[12:13]
	s_and_b64 s[0:1], s[0:1], exec
	s_or_saveexec_b64 s[2:3], s[2:3]
	v_mov_b32_e32 v6, s20
	s_xor_b64 exec, exec, s[2:3]
	s_cbranch_execz .LBB307_542
.LBB307_816:                            ;   in Loop: Header=BB307_524 Depth=1
	v_cmp_ne_u16_sdwa s[12:13], v35, v21 src0_sel:BYTE_0 src1_sel:DWORD
	s_andn2_b64 s[0:1], s[0:1], exec
	s_and_b64 s[12:13], s[12:13], exec
	v_mov_b32_e32 v6, 0
	s_or_b64 s[0:1], s[0:1], s[12:13]
	s_or_b64 exec, exec, s[2:3]
	v_mov_b32_e32 v20, v35
	s_and_saveexec_b64 s[2:3], s[0:1]
	s_cbranch_execnz .LBB307_543
	s_branch .LBB307_544
.LBB307_817:                            ;   in Loop: Header=BB307_524 Depth=1
	v_cmp_eq_u16_e64 s[0:1], s15, v20
	s_mov_b64 s[2:3], -1
                                        ; implicit-def: $sgpr22
	s_and_saveexec_b64 s[20:21], s[0:1]
; %bb.818:                              ;   in Loop: Header=BB307_524 Depth=1
	s_mov_b32 s22, 0x7fc02000
	s_xor_b64 s[2:3], exec, -1
; %bb.819:                              ;   in Loop: Header=BB307_524 Depth=1
	s_or_b64 exec, exec, s[20:21]
	s_and_b64 s[2:3], s[2:3], exec
	s_or_saveexec_b64 s[12:13], s[12:13]
	v_mov_b32_e32 v34, s22
	s_xor_b64 exec, exec, s[12:13]
	s_cbranch_execz .LBB307_546
.LBB307_820:                            ;   in Loop: Header=BB307_524 Depth=1
	v_cmp_ne_u16_e64 s[0:1], 0, v20
	s_andn2_b64 s[2:3], s[2:3], exec
	s_and_b64 s[0:1], s[0:1], exec
	v_mov_b32_e32 v34, 0
	s_or_b64 s[2:3], s[2:3], s[0:1]
	s_or_b64 exec, exec, s[12:13]
	s_and_saveexec_b64 s[12:13], s[2:3]
	s_cbranch_execnz .LBB307_547
	s_branch .LBB307_548
.LBB307_821:                            ;   in Loop: Header=BB307_524 Depth=1
	v_cmp_eq_u16_sdwa s[22:23], v20, s15 src0_sel:BYTE_0 src1_sel:DWORD
	s_mov_b64 s[0:1], -1
                                        ; implicit-def: $sgpr20
	s_and_saveexec_b64 s[12:13], s[22:23]
; %bb.822:                              ;   in Loop: Header=BB307_524 Depth=1
	s_mov_b32 s20, 0x7fc02000
	s_xor_b64 s[0:1], exec, -1
; %bb.823:                              ;   in Loop: Header=BB307_524 Depth=1
	s_or_b64 exec, exec, s[12:13]
	s_and_b64 s[0:1], s[0:1], exec
	s_or_saveexec_b64 s[2:3], s[2:3]
	v_mov_b32_e32 v40, s20
	s_xor_b64 exec, exec, s[2:3]
	s_cbranch_execz .LBB307_550
.LBB307_824:                            ;   in Loop: Header=BB307_524 Depth=1
	v_cmp_ne_u16_sdwa s[12:13], v20, v21 src0_sel:BYTE_0 src1_sel:DWORD
	s_andn2_b64 s[0:1], s[0:1], exec
	s_and_b64 s[12:13], s[12:13], exec
	v_mov_b32_e32 v40, 0
	s_or_b64 s[0:1], s[0:1], s[12:13]
	s_or_b64 exec, exec, s[2:3]
	s_and_saveexec_b64 s[2:3], s[0:1]
	s_cbranch_execnz .LBB307_551
	s_branch .LBB307_552
.LBB307_825:                            ;   in Loop: Header=BB307_524 Depth=1
	v_cmp_eq_u16_e64 s[0:1], s15, v20
	s_mov_b64 s[2:3], -1
                                        ; implicit-def: $sgpr22
	s_and_saveexec_b64 s[20:21], s[0:1]
; %bb.826:                              ;   in Loop: Header=BB307_524 Depth=1
	s_mov_b32 s22, 0x7fc02000
	s_xor_b64 s[2:3], exec, -1
; %bb.827:                              ;   in Loop: Header=BB307_524 Depth=1
	s_or_b64 exec, exec, s[20:21]
	s_and_b64 s[2:3], s[2:3], exec
	s_or_saveexec_b64 s[12:13], s[12:13]
	v_mov_b32_e32 v41, s22
	s_xor_b64 exec, exec, s[12:13]
	s_cbranch_execz .LBB307_554
.LBB307_828:                            ;   in Loop: Header=BB307_524 Depth=1
	v_cmp_ne_u16_e64 s[0:1], 0, v20
	s_andn2_b64 s[2:3], s[2:3], exec
	s_and_b64 s[0:1], s[0:1], exec
	v_mov_b32_e32 v41, 0
	s_or_b64 s[2:3], s[2:3], s[0:1]
	s_or_b64 exec, exec, s[12:13]
	s_and_saveexec_b64 s[12:13], s[2:3]
	s_cbranch_execnz .LBB307_555
	s_branch .LBB307_556
.LBB307_829:                            ;   in Loop: Header=BB307_524 Depth=1
	v_cmp_eq_u16_sdwa s[24:25], v34, s15 src0_sel:BYTE_0 src1_sel:DWORD
	s_mov_b64 s[2:3], -1
                                        ; implicit-def: $sgpr22
	s_and_saveexec_b64 s[20:21], s[24:25]
; %bb.830:                              ;   in Loop: Header=BB307_524 Depth=1
	s_mov_b32 s22, 0x7fc02000
	s_xor_b64 s[2:3], exec, -1
; %bb.831:                              ;   in Loop: Header=BB307_524 Depth=1
	s_or_b64 exec, exec, s[20:21]
	s_and_b64 s[2:3], s[2:3], exec
	s_or_saveexec_b64 s[12:13], s[12:13]
	v_mov_b32_e32 v36, s22
	s_xor_b64 exec, exec, s[12:13]
	s_cbranch_execz .LBB307_560
.LBB307_832:                            ;   in Loop: Header=BB307_524 Depth=1
	v_cmp_ne_u16_sdwa s[20:21], v34, v21 src0_sel:BYTE_0 src1_sel:DWORD
	s_andn2_b64 s[2:3], s[2:3], exec
	s_and_b64 s[20:21], s[20:21], exec
	v_mov_b32_e32 v36, 0
	s_or_b64 s[2:3], s[2:3], s[20:21]
	s_or_b64 exec, exec, s[12:13]
	s_and_saveexec_b64 s[12:13], s[2:3]
	s_cbranch_execnz .LBB307_561
	s_branch .LBB307_562
.LBB307_833:                            ;   in Loop: Header=BB307_524 Depth=1
	v_cmp_eq_u16_e64 s[2:3], s15, v20
	s_mov_b64 s[12:13], -1
                                        ; implicit-def: $sgpr24
	s_and_saveexec_b64 s[22:23], s[2:3]
; %bb.834:                              ;   in Loop: Header=BB307_524 Depth=1
	s_mov_b32 s24, 0x7fc02000
	s_xor_b64 s[12:13], exec, -1
; %bb.835:                              ;   in Loop: Header=BB307_524 Depth=1
	s_or_b64 exec, exec, s[22:23]
	s_and_b64 s[12:13], s[12:13], exec
	s_or_saveexec_b64 s[20:21], s[20:21]
	v_mov_b32_e32 v38, s24
	s_xor_b64 exec, exec, s[20:21]
	s_cbranch_execz .LBB307_564
.LBB307_836:                            ;   in Loop: Header=BB307_524 Depth=1
	v_cmp_ne_u16_e64 s[2:3], 0, v20
	s_andn2_b64 s[12:13], s[12:13], exec
	s_and_b64 s[2:3], s[2:3], exec
	v_mov_b32_e32 v38, 0
	s_or_b64 s[12:13], s[12:13], s[2:3]
	s_or_b64 exec, exec, s[20:21]
	s_and_saveexec_b64 s[20:21], s[12:13]
	s_cbranch_execnz .LBB307_565
	s_branch .LBB307_566
.LBB307_837:                            ;   in Loop: Header=BB307_524 Depth=1
	v_cmp_eq_u16_sdwa s[24:25], v20, s15 src0_sel:BYTE_0 src1_sel:DWORD
	s_mov_b64 s[2:3], -1
                                        ; implicit-def: $sgpr22
	s_and_saveexec_b64 s[20:21], s[24:25]
; %bb.838:                              ;   in Loop: Header=BB307_524 Depth=1
	s_mov_b32 s22, 0x7fc02000
	s_xor_b64 s[2:3], exec, -1
; %bb.839:                              ;   in Loop: Header=BB307_524 Depth=1
	s_or_b64 exec, exec, s[20:21]
	s_and_b64 s[2:3], s[2:3], exec
	s_or_saveexec_b64 s[12:13], s[12:13]
	v_mov_b32_e32 v37, s22
	s_xor_b64 exec, exec, s[12:13]
	s_cbranch_execz .LBB307_568
.LBB307_840:                            ;   in Loop: Header=BB307_524 Depth=1
	v_cmp_ne_u16_sdwa s[20:21], v20, v21 src0_sel:BYTE_0 src1_sel:DWORD
	s_andn2_b64 s[2:3], s[2:3], exec
	s_and_b64 s[20:21], s[20:21], exec
	v_mov_b32_e32 v37, 0
	s_or_b64 s[2:3], s[2:3], s[20:21]
	s_or_b64 exec, exec, s[12:13]
	s_and_saveexec_b64 s[12:13], s[2:3]
	s_cbranch_execnz .LBB307_569
	s_branch .LBB307_570
.LBB307_841:                            ;   in Loop: Header=BB307_524 Depth=1
	v_cmp_eq_u16_e64 s[2:3], s15, v20
	s_mov_b64 s[12:13], -1
                                        ; implicit-def: $sgpr24
	s_and_saveexec_b64 s[22:23], s[2:3]
; %bb.842:                              ;   in Loop: Header=BB307_524 Depth=1
	s_mov_b32 s24, 0x7fc02000
	s_xor_b64 s[12:13], exec, -1
; %bb.843:                              ;   in Loop: Header=BB307_524 Depth=1
	s_or_b64 exec, exec, s[22:23]
	s_and_b64 s[12:13], s[12:13], exec
	s_or_saveexec_b64 s[20:21], s[20:21]
	v_mov_b32_e32 v39, s24
	s_xor_b64 exec, exec, s[20:21]
	s_cbranch_execz .LBB307_572
.LBB307_844:                            ;   in Loop: Header=BB307_524 Depth=1
	v_cmp_ne_u16_e64 s[2:3], 0, v20
	s_andn2_b64 s[12:13], s[12:13], exec
	s_and_b64 s[2:3], s[2:3], exec
	v_mov_b32_e32 v39, 0
	s_or_b64 s[12:13], s[12:13], s[2:3]
	s_or_b64 exec, exec, s[20:21]
	s_and_saveexec_b64 s[20:21], s[12:13]
	s_cbranch_execnz .LBB307_573
	s_branch .LBB307_574
.LBB307_845:                            ;   in Loop: Header=BB307_524 Depth=1
	v_cmp_eq_u16_sdwa s[24:25], v35, s15 src0_sel:BYTE_0 src1_sel:DWORD
	s_mov_b64 s[2:3], -1
                                        ; implicit-def: $sgpr22
	s_and_saveexec_b64 s[20:21], s[24:25]
; %bb.846:                              ;   in Loop: Header=BB307_524 Depth=1
	s_mov_b32 s22, 0x7fc02000
	s_xor_b64 s[2:3], exec, -1
; %bb.847:                              ;   in Loop: Header=BB307_524 Depth=1
	s_or_b64 exec, exec, s[20:21]
	s_and_b64 s[2:3], s[2:3], exec
	s_or_saveexec_b64 s[12:13], s[12:13]
	v_mov_b32_e32 v4, s22
	s_xor_b64 exec, exec, s[12:13]
	s_cbranch_execz .LBB307_576
.LBB307_848:                            ;   in Loop: Header=BB307_524 Depth=1
	v_cmp_ne_u16_sdwa s[20:21], v35, v21 src0_sel:BYTE_0 src1_sel:DWORD
	s_andn2_b64 s[2:3], s[2:3], exec
	s_and_b64 s[20:21], s[20:21], exec
	v_mov_b32_e32 v4, 0
	s_or_b64 s[2:3], s[2:3], s[20:21]
	s_or_b64 exec, exec, s[12:13]
	v_mov_b32_e32 v20, v35
	s_and_saveexec_b64 s[12:13], s[2:3]
	s_cbranch_execnz .LBB307_577
	s_branch .LBB307_578
.LBB307_849:                            ;   in Loop: Header=BB307_524 Depth=1
	v_cmp_eq_u16_e64 s[2:3], s15, v20
	s_mov_b64 s[12:13], -1
                                        ; implicit-def: $sgpr24
	s_and_saveexec_b64 s[22:23], s[2:3]
; %bb.850:                              ;   in Loop: Header=BB307_524 Depth=1
	s_mov_b32 s24, 0x7fc02000
	s_xor_b64 s[12:13], exec, -1
; %bb.851:                              ;   in Loop: Header=BB307_524 Depth=1
	s_or_b64 exec, exec, s[22:23]
	s_and_b64 s[12:13], s[12:13], exec
	s_or_saveexec_b64 s[20:21], s[20:21]
	v_mov_b32_e32 v5, s24
	s_xor_b64 exec, exec, s[20:21]
	s_cbranch_execz .LBB307_580
.LBB307_852:                            ;   in Loop: Header=BB307_524 Depth=1
	v_cmp_ne_u16_e64 s[2:3], 0, v20
	s_andn2_b64 s[12:13], s[12:13], exec
	s_and_b64 s[2:3], s[2:3], exec
	v_mov_b32_e32 v5, 0
	s_or_b64 s[12:13], s[12:13], s[2:3]
	s_or_b64 exec, exec, s[20:21]
	s_and_saveexec_b64 s[20:21], s[12:13]
	s_cbranch_execnz .LBB307_581
	s_branch .LBB307_582
.LBB307_853:                            ;   in Loop: Header=BB307_524 Depth=1
	v_cmp_eq_u16_sdwa s[24:25], v20, s15 src0_sel:BYTE_0 src1_sel:DWORD
	s_mov_b64 s[2:3], -1
                                        ; implicit-def: $sgpr22
	s_and_saveexec_b64 s[20:21], s[24:25]
; %bb.854:                              ;   in Loop: Header=BB307_524 Depth=1
	s_mov_b32 s22, 0x7fc02000
	s_xor_b64 s[2:3], exec, -1
; %bb.855:                              ;   in Loop: Header=BB307_524 Depth=1
	s_or_b64 exec, exec, s[20:21]
	s_and_b64 s[2:3], s[2:3], exec
	s_or_saveexec_b64 s[12:13], s[12:13]
	v_mov_b32_e32 v6, s22
	s_xor_b64 exec, exec, s[12:13]
	s_cbranch_execz .LBB307_584
.LBB307_856:                            ;   in Loop: Header=BB307_524 Depth=1
	v_cmp_ne_u16_sdwa s[20:21], v20, v21 src0_sel:BYTE_0 src1_sel:DWORD
	s_andn2_b64 s[2:3], s[2:3], exec
	s_and_b64 s[20:21], s[20:21], exec
	v_mov_b32_e32 v6, 0
	s_or_b64 s[2:3], s[2:3], s[20:21]
	s_or_b64 exec, exec, s[12:13]
	s_and_saveexec_b64 s[12:13], s[2:3]
	s_cbranch_execnz .LBB307_585
	s_branch .LBB307_586
.LBB307_857:                            ;   in Loop: Header=BB307_524 Depth=1
	v_cmp_eq_u16_e64 s[2:3], s15, v20
	s_mov_b64 s[12:13], -1
                                        ; implicit-def: $sgpr24
	s_and_saveexec_b64 s[22:23], s[2:3]
; %bb.858:                              ;   in Loop: Header=BB307_524 Depth=1
	s_mov_b32 s24, 0x7fc02000
	s_xor_b64 s[12:13], exec, -1
; %bb.859:                              ;   in Loop: Header=BB307_524 Depth=1
	s_or_b64 exec, exec, s[22:23]
	s_and_b64 s[12:13], s[12:13], exec
	s_or_saveexec_b64 s[20:21], s[20:21]
	v_mov_b32_e32 v26, s24
	s_xor_b64 exec, exec, s[20:21]
	s_cbranch_execz .LBB307_588
.LBB307_860:                            ;   in Loop: Header=BB307_524 Depth=1
	v_cmp_ne_u16_e64 s[2:3], 0, v20
	s_andn2_b64 s[12:13], s[12:13], exec
	s_and_b64 s[2:3], s[2:3], exec
	v_mov_b32_e32 v26, 0
	s_or_b64 s[12:13], s[12:13], s[2:3]
	s_or_b64 exec, exec, s[20:21]
	s_and_saveexec_b64 s[20:21], s[12:13]
	s_cbranch_execnz .LBB307_589
	s_branch .LBB307_590
.LBB307_861:                            ;   in Loop: Header=BB307_524 Depth=1
	v_cmp_eq_u16_sdwa s[24:25], v34, s15 src0_sel:BYTE_0 src1_sel:DWORD
	s_mov_b64 s[2:3], -1
                                        ; implicit-def: $sgpr22
	s_and_saveexec_b64 s[20:21], s[24:25]
; %bb.862:                              ;   in Loop: Header=BB307_524 Depth=1
	s_mov_b32 s22, 0x7fc02000
	s_xor_b64 s[2:3], exec, -1
; %bb.863:                              ;   in Loop: Header=BB307_524 Depth=1
	s_or_b64 exec, exec, s[20:21]
	s_and_b64 s[2:3], s[2:3], exec
	s_or_saveexec_b64 s[12:13], s[12:13]
	v_mov_b32_e32 v36, s22
	s_xor_b64 exec, exec, s[12:13]
	s_cbranch_execz .LBB307_594
.LBB307_864:                            ;   in Loop: Header=BB307_524 Depth=1
	v_cmp_ne_u16_sdwa s[20:21], v34, v21 src0_sel:BYTE_0 src1_sel:DWORD
	s_andn2_b64 s[2:3], s[2:3], exec
	s_and_b64 s[20:21], s[20:21], exec
	v_mov_b32_e32 v36, 0
	s_or_b64 s[2:3], s[2:3], s[20:21]
	s_or_b64 exec, exec, s[12:13]
	s_and_saveexec_b64 s[12:13], s[2:3]
	s_cbranch_execnz .LBB307_595
	s_branch .LBB307_596
.LBB307_865:                            ;   in Loop: Header=BB307_524 Depth=1
	v_cmp_eq_u16_e64 s[2:3], s15, v20
	s_mov_b64 s[12:13], -1
                                        ; implicit-def: $sgpr24
	s_and_saveexec_b64 s[22:23], s[2:3]
; %bb.866:                              ;   in Loop: Header=BB307_524 Depth=1
	s_mov_b32 s24, 0x7fc02000
	s_xor_b64 s[12:13], exec, -1
; %bb.867:                              ;   in Loop: Header=BB307_524 Depth=1
	s_or_b64 exec, exec, s[22:23]
	s_and_b64 s[12:13], s[12:13], exec
	s_or_saveexec_b64 s[20:21], s[20:21]
	v_mov_b32_e32 v38, s24
	s_xor_b64 exec, exec, s[20:21]
	s_cbranch_execz .LBB307_598
.LBB307_868:                            ;   in Loop: Header=BB307_524 Depth=1
	v_cmp_ne_u16_e64 s[2:3], 0, v20
	s_andn2_b64 s[12:13], s[12:13], exec
	s_and_b64 s[2:3], s[2:3], exec
	v_mov_b32_e32 v38, 0
	s_or_b64 s[12:13], s[12:13], s[2:3]
	s_or_b64 exec, exec, s[20:21]
	s_and_saveexec_b64 s[20:21], s[12:13]
	s_cbranch_execnz .LBB307_599
	s_branch .LBB307_600
.LBB307_869:                            ;   in Loop: Header=BB307_524 Depth=1
	v_cmp_eq_u16_sdwa s[24:25], v20, s15 src0_sel:BYTE_0 src1_sel:DWORD
	s_mov_b64 s[2:3], -1
                                        ; implicit-def: $sgpr22
	s_and_saveexec_b64 s[20:21], s[24:25]
; %bb.870:                              ;   in Loop: Header=BB307_524 Depth=1
	s_mov_b32 s22, 0x7fc02000
	s_xor_b64 s[2:3], exec, -1
; %bb.871:                              ;   in Loop: Header=BB307_524 Depth=1
	s_or_b64 exec, exec, s[20:21]
	s_and_b64 s[2:3], s[2:3], exec
	s_or_saveexec_b64 s[12:13], s[12:13]
	v_mov_b32_e32 v37, s22
	s_xor_b64 exec, exec, s[12:13]
	s_cbranch_execz .LBB307_602
.LBB307_872:                            ;   in Loop: Header=BB307_524 Depth=1
	v_cmp_ne_u16_sdwa s[20:21], v20, v21 src0_sel:BYTE_0 src1_sel:DWORD
	s_andn2_b64 s[2:3], s[2:3], exec
	s_and_b64 s[20:21], s[20:21], exec
	v_mov_b32_e32 v37, 0
	s_or_b64 s[2:3], s[2:3], s[20:21]
	s_or_b64 exec, exec, s[12:13]
	s_and_saveexec_b64 s[12:13], s[2:3]
	s_cbranch_execnz .LBB307_603
	s_branch .LBB307_604
.LBB307_873:                            ;   in Loop: Header=BB307_524 Depth=1
	v_cmp_eq_u16_e64 s[2:3], s15, v20
	s_mov_b64 s[12:13], -1
                                        ; implicit-def: $sgpr24
	s_and_saveexec_b64 s[22:23], s[2:3]
; %bb.874:                              ;   in Loop: Header=BB307_524 Depth=1
	s_mov_b32 s24, 0x7fc02000
	s_xor_b64 s[12:13], exec, -1
; %bb.875:                              ;   in Loop: Header=BB307_524 Depth=1
	s_or_b64 exec, exec, s[22:23]
	s_and_b64 s[12:13], s[12:13], exec
	s_or_saveexec_b64 s[20:21], s[20:21]
	v_mov_b32_e32 v39, s24
	s_xor_b64 exec, exec, s[20:21]
	s_cbranch_execz .LBB307_606
.LBB307_876:                            ;   in Loop: Header=BB307_524 Depth=1
	v_cmp_ne_u16_e64 s[2:3], 0, v20
	s_andn2_b64 s[12:13], s[12:13], exec
	s_and_b64 s[2:3], s[2:3], exec
	v_mov_b32_e32 v39, 0
	s_or_b64 s[12:13], s[12:13], s[2:3]
	s_or_b64 exec, exec, s[20:21]
	s_and_saveexec_b64 s[20:21], s[12:13]
	s_cbranch_execnz .LBB307_607
	s_branch .LBB307_608
.LBB307_877:                            ;   in Loop: Header=BB307_524 Depth=1
	v_cmp_eq_u16_sdwa s[24:25], v35, s15 src0_sel:BYTE_0 src1_sel:DWORD
	s_mov_b64 s[2:3], -1
                                        ; implicit-def: $sgpr22
	s_and_saveexec_b64 s[20:21], s[24:25]
; %bb.878:                              ;   in Loop: Header=BB307_524 Depth=1
	s_mov_b32 s22, 0x7fc02000
	s_xor_b64 s[2:3], exec, -1
; %bb.879:                              ;   in Loop: Header=BB307_524 Depth=1
	s_or_b64 exec, exec, s[20:21]
	s_and_b64 s[2:3], s[2:3], exec
	s_or_saveexec_b64 s[12:13], s[12:13]
	v_mov_b32_e32 v4, s22
	s_xor_b64 exec, exec, s[12:13]
	s_cbranch_execz .LBB307_610
.LBB307_880:                            ;   in Loop: Header=BB307_524 Depth=1
	v_cmp_ne_u16_sdwa s[20:21], v35, v21 src0_sel:BYTE_0 src1_sel:DWORD
	s_andn2_b64 s[2:3], s[2:3], exec
	s_and_b64 s[20:21], s[20:21], exec
	v_mov_b32_e32 v4, 0
	s_or_b64 s[2:3], s[2:3], s[20:21]
	s_or_b64 exec, exec, s[12:13]
	v_mov_b32_e32 v20, v35
	s_and_saveexec_b64 s[12:13], s[2:3]
	s_cbranch_execnz .LBB307_611
	s_branch .LBB307_612
.LBB307_881:                            ;   in Loop: Header=BB307_524 Depth=1
	v_cmp_eq_u16_e64 s[2:3], s15, v20
	s_mov_b64 s[12:13], -1
                                        ; implicit-def: $sgpr24
	s_and_saveexec_b64 s[22:23], s[2:3]
; %bb.882:                              ;   in Loop: Header=BB307_524 Depth=1
	s_mov_b32 s24, 0x7fc02000
	s_xor_b64 s[12:13], exec, -1
; %bb.883:                              ;   in Loop: Header=BB307_524 Depth=1
	s_or_b64 exec, exec, s[22:23]
	s_and_b64 s[12:13], s[12:13], exec
	s_or_saveexec_b64 s[20:21], s[20:21]
	v_mov_b32_e32 v5, s24
	s_xor_b64 exec, exec, s[20:21]
	s_cbranch_execz .LBB307_614
.LBB307_884:                            ;   in Loop: Header=BB307_524 Depth=1
	v_cmp_ne_u16_e64 s[2:3], 0, v20
	s_andn2_b64 s[12:13], s[12:13], exec
	s_and_b64 s[2:3], s[2:3], exec
	v_mov_b32_e32 v5, 0
	s_or_b64 s[12:13], s[12:13], s[2:3]
	s_or_b64 exec, exec, s[20:21]
	s_and_saveexec_b64 s[20:21], s[12:13]
	s_cbranch_execnz .LBB307_615
	s_branch .LBB307_616
.LBB307_885:                            ;   in Loop: Header=BB307_524 Depth=1
	v_cmp_eq_u16_sdwa s[24:25], v20, s15 src0_sel:BYTE_0 src1_sel:DWORD
	s_mov_b64 s[2:3], -1
                                        ; implicit-def: $sgpr22
	s_and_saveexec_b64 s[20:21], s[24:25]
; %bb.886:                              ;   in Loop: Header=BB307_524 Depth=1
	s_mov_b32 s22, 0x7fc02000
	s_xor_b64 s[2:3], exec, -1
; %bb.887:                              ;   in Loop: Header=BB307_524 Depth=1
	s_or_b64 exec, exec, s[20:21]
	s_and_b64 s[2:3], s[2:3], exec
	s_or_saveexec_b64 s[12:13], s[12:13]
	v_mov_b32_e32 v6, s22
	s_xor_b64 exec, exec, s[12:13]
	s_cbranch_execz .LBB307_618
.LBB307_888:                            ;   in Loop: Header=BB307_524 Depth=1
	v_cmp_ne_u16_sdwa s[20:21], v20, v21 src0_sel:BYTE_0 src1_sel:DWORD
	s_andn2_b64 s[2:3], s[2:3], exec
	s_and_b64 s[20:21], s[20:21], exec
	v_mov_b32_e32 v6, 0
	s_or_b64 s[2:3], s[2:3], s[20:21]
	s_or_b64 exec, exec, s[12:13]
	s_and_saveexec_b64 s[12:13], s[2:3]
	s_cbranch_execnz .LBB307_619
	s_branch .LBB307_620
.LBB307_889:                            ;   in Loop: Header=BB307_524 Depth=1
	v_cmp_eq_u16_e64 s[2:3], s15, v20
	s_mov_b64 s[12:13], -1
                                        ; implicit-def: $sgpr24
	s_and_saveexec_b64 s[22:23], s[2:3]
; %bb.890:                              ;   in Loop: Header=BB307_524 Depth=1
	s_mov_b32 s24, 0x7fc02000
	s_xor_b64 s[12:13], exec, -1
; %bb.891:                              ;   in Loop: Header=BB307_524 Depth=1
	s_or_b64 exec, exec, s[22:23]
	s_and_b64 s[12:13], s[12:13], exec
	s_or_saveexec_b64 s[20:21], s[20:21]
	v_mov_b32_e32 v26, s24
	s_xor_b64 exec, exec, s[20:21]
	s_cbranch_execz .LBB307_622
.LBB307_892:                            ;   in Loop: Header=BB307_524 Depth=1
	v_cmp_ne_u16_e64 s[2:3], 0, v20
	s_andn2_b64 s[12:13], s[12:13], exec
	s_and_b64 s[2:3], s[2:3], exec
	v_mov_b32_e32 v26, 0
	s_or_b64 s[12:13], s[12:13], s[2:3]
	s_or_b64 exec, exec, s[20:21]
	s_and_saveexec_b64 s[20:21], s[12:13]
	s_cbranch_execnz .LBB307_623
	s_branch .LBB307_624
.LBB307_893:                            ;   in Loop: Header=BB307_524 Depth=1
	v_cmp_eq_u16_sdwa s[24:25], v34, s15 src0_sel:BYTE_0 src1_sel:DWORD
	s_mov_b64 s[2:3], -1
                                        ; implicit-def: $sgpr22
	s_and_saveexec_b64 s[20:21], s[24:25]
; %bb.894:                              ;   in Loop: Header=BB307_524 Depth=1
	s_mov_b32 s22, 0x7fc02000
	s_xor_b64 s[2:3], exec, -1
; %bb.895:                              ;   in Loop: Header=BB307_524 Depth=1
	s_or_b64 exec, exec, s[20:21]
	s_and_b64 s[2:3], s[2:3], exec
	s_or_saveexec_b64 s[12:13], s[12:13]
	v_mov_b32_e32 v36, s22
	s_xor_b64 exec, exec, s[12:13]
	s_cbranch_execz .LBB307_628
.LBB307_896:                            ;   in Loop: Header=BB307_524 Depth=1
	v_cmp_ne_u16_sdwa s[20:21], v34, v21 src0_sel:BYTE_0 src1_sel:DWORD
	s_andn2_b64 s[2:3], s[2:3], exec
	s_and_b64 s[20:21], s[20:21], exec
	v_mov_b32_e32 v36, 0
	s_or_b64 s[2:3], s[2:3], s[20:21]
	s_or_b64 exec, exec, s[12:13]
	s_and_saveexec_b64 s[12:13], s[2:3]
	s_cbranch_execnz .LBB307_629
	s_branch .LBB307_630
.LBB307_897:                            ;   in Loop: Header=BB307_524 Depth=1
	v_cmp_eq_u16_e64 s[2:3], s15, v20
	s_mov_b64 s[12:13], -1
                                        ; implicit-def: $sgpr24
	s_and_saveexec_b64 s[22:23], s[2:3]
; %bb.898:                              ;   in Loop: Header=BB307_524 Depth=1
	s_mov_b32 s24, 0x7fc02000
	s_xor_b64 s[12:13], exec, -1
; %bb.899:                              ;   in Loop: Header=BB307_524 Depth=1
	s_or_b64 exec, exec, s[22:23]
	s_and_b64 s[12:13], s[12:13], exec
	s_or_saveexec_b64 s[20:21], s[20:21]
	v_mov_b32_e32 v38, s24
	s_xor_b64 exec, exec, s[20:21]
	s_cbranch_execz .LBB307_632
.LBB307_900:                            ;   in Loop: Header=BB307_524 Depth=1
	v_cmp_ne_u16_e64 s[2:3], 0, v20
	s_andn2_b64 s[12:13], s[12:13], exec
	s_and_b64 s[2:3], s[2:3], exec
	v_mov_b32_e32 v38, 0
	s_or_b64 s[12:13], s[12:13], s[2:3]
	s_or_b64 exec, exec, s[20:21]
	s_and_saveexec_b64 s[20:21], s[12:13]
	s_cbranch_execnz .LBB307_633
	s_branch .LBB307_634
.LBB307_901:                            ;   in Loop: Header=BB307_524 Depth=1
	v_cmp_eq_u16_sdwa s[24:25], v20, s15 src0_sel:BYTE_0 src1_sel:DWORD
	s_mov_b64 s[2:3], -1
                                        ; implicit-def: $sgpr22
	s_and_saveexec_b64 s[20:21], s[24:25]
; %bb.902:                              ;   in Loop: Header=BB307_524 Depth=1
	s_mov_b32 s22, 0x7fc02000
	s_xor_b64 s[2:3], exec, -1
; %bb.903:                              ;   in Loop: Header=BB307_524 Depth=1
	s_or_b64 exec, exec, s[20:21]
	s_and_b64 s[2:3], s[2:3], exec
	s_or_saveexec_b64 s[12:13], s[12:13]
	v_mov_b32_e32 v37, s22
	s_xor_b64 exec, exec, s[12:13]
	s_cbranch_execz .LBB307_636
.LBB307_904:                            ;   in Loop: Header=BB307_524 Depth=1
	v_cmp_ne_u16_sdwa s[20:21], v20, v21 src0_sel:BYTE_0 src1_sel:DWORD
	s_andn2_b64 s[2:3], s[2:3], exec
	s_and_b64 s[20:21], s[20:21], exec
	v_mov_b32_e32 v37, 0
	s_or_b64 s[2:3], s[2:3], s[20:21]
	s_or_b64 exec, exec, s[12:13]
	s_and_saveexec_b64 s[12:13], s[2:3]
	s_cbranch_execnz .LBB307_637
	s_branch .LBB307_638
.LBB307_905:                            ;   in Loop: Header=BB307_524 Depth=1
	v_cmp_eq_u16_e64 s[2:3], s15, v20
	s_mov_b64 s[12:13], -1
                                        ; implicit-def: $sgpr24
	s_and_saveexec_b64 s[22:23], s[2:3]
; %bb.906:                              ;   in Loop: Header=BB307_524 Depth=1
	s_mov_b32 s24, 0x7fc02000
	s_xor_b64 s[12:13], exec, -1
; %bb.907:                              ;   in Loop: Header=BB307_524 Depth=1
	s_or_b64 exec, exec, s[22:23]
	s_and_b64 s[12:13], s[12:13], exec
	s_or_saveexec_b64 s[20:21], s[20:21]
	v_mov_b32_e32 v39, s24
	s_xor_b64 exec, exec, s[20:21]
	s_cbranch_execz .LBB307_640
.LBB307_908:                            ;   in Loop: Header=BB307_524 Depth=1
	v_cmp_ne_u16_e64 s[2:3], 0, v20
	s_andn2_b64 s[12:13], s[12:13], exec
	s_and_b64 s[2:3], s[2:3], exec
	v_mov_b32_e32 v39, 0
	s_or_b64 s[12:13], s[12:13], s[2:3]
	s_or_b64 exec, exec, s[20:21]
	s_and_saveexec_b64 s[20:21], s[12:13]
	s_cbranch_execnz .LBB307_641
	s_branch .LBB307_642
.LBB307_909:                            ;   in Loop: Header=BB307_524 Depth=1
	v_cmp_eq_u16_sdwa s[24:25], v35, s15 src0_sel:BYTE_0 src1_sel:DWORD
	s_mov_b64 s[2:3], -1
                                        ; implicit-def: $sgpr22
	s_and_saveexec_b64 s[20:21], s[24:25]
; %bb.910:                              ;   in Loop: Header=BB307_524 Depth=1
	s_mov_b32 s22, 0x7fc02000
	s_xor_b64 s[2:3], exec, -1
; %bb.911:                              ;   in Loop: Header=BB307_524 Depth=1
	s_or_b64 exec, exec, s[20:21]
	s_and_b64 s[2:3], s[2:3], exec
	s_or_saveexec_b64 s[12:13], s[12:13]
	v_mov_b32_e32 v6, s22
	s_xor_b64 exec, exec, s[12:13]
	s_cbranch_execz .LBB307_644
.LBB307_912:                            ;   in Loop: Header=BB307_524 Depth=1
	v_cmp_ne_u16_sdwa s[20:21], v35, v21 src0_sel:BYTE_0 src1_sel:DWORD
	s_andn2_b64 s[2:3], s[2:3], exec
	s_and_b64 s[20:21], s[20:21], exec
	v_mov_b32_e32 v6, 0
	s_or_b64 s[2:3], s[2:3], s[20:21]
	s_or_b64 exec, exec, s[12:13]
	v_mov_b32_e32 v20, v35
	s_and_saveexec_b64 s[12:13], s[2:3]
	s_cbranch_execnz .LBB307_645
	s_branch .LBB307_646
.LBB307_913:                            ;   in Loop: Header=BB307_524 Depth=1
	v_cmp_eq_u16_e64 s[2:3], s15, v20
	s_mov_b64 s[12:13], -1
                                        ; implicit-def: $sgpr24
	s_and_saveexec_b64 s[22:23], s[2:3]
; %bb.914:                              ;   in Loop: Header=BB307_524 Depth=1
	s_mov_b32 s24, 0x7fc02000
	s_xor_b64 s[12:13], exec, -1
; %bb.915:                              ;   in Loop: Header=BB307_524 Depth=1
	s_or_b64 exec, exec, s[22:23]
	s_and_b64 s[12:13], s[12:13], exec
	s_or_saveexec_b64 s[20:21], s[20:21]
	v_mov_b32_e32 v22, s24
	s_xor_b64 exec, exec, s[20:21]
	s_cbranch_execz .LBB307_648
.LBB307_916:                            ;   in Loop: Header=BB307_524 Depth=1
	v_cmp_ne_u16_e64 s[2:3], 0, v20
	s_andn2_b64 s[12:13], s[12:13], exec
	s_and_b64 s[2:3], s[2:3], exec
	v_mov_b32_e32 v22, 0
	s_or_b64 s[12:13], s[12:13], s[2:3]
	s_or_b64 exec, exec, s[20:21]
	s_and_saveexec_b64 s[20:21], s[12:13]
	s_cbranch_execnz .LBB307_649
	s_branch .LBB307_650
.LBB307_917:                            ;   in Loop: Header=BB307_524 Depth=1
	v_cmp_eq_u16_sdwa s[24:25], v20, s15 src0_sel:BYTE_0 src1_sel:DWORD
	s_mov_b64 s[2:3], -1
                                        ; implicit-def: $sgpr22
	s_and_saveexec_b64 s[20:21], s[24:25]
; %bb.918:                              ;   in Loop: Header=BB307_524 Depth=1
	s_mov_b32 s22, 0x7fc02000
	s_xor_b64 s[2:3], exec, -1
; %bb.919:                              ;   in Loop: Header=BB307_524 Depth=1
	s_or_b64 exec, exec, s[20:21]
	s_and_b64 s[2:3], s[2:3], exec
	s_or_saveexec_b64 s[12:13], s[12:13]
	v_mov_b32_e32 v26, s22
	s_xor_b64 exec, exec, s[12:13]
	s_cbranch_execz .LBB307_652
.LBB307_920:                            ;   in Loop: Header=BB307_524 Depth=1
	v_cmp_ne_u16_sdwa s[20:21], v20, v21 src0_sel:BYTE_0 src1_sel:DWORD
	s_andn2_b64 s[2:3], s[2:3], exec
	s_and_b64 s[20:21], s[20:21], exec
	v_mov_b32_e32 v26, 0
	s_or_b64 s[2:3], s[2:3], s[20:21]
	s_or_b64 exec, exec, s[12:13]
	s_and_saveexec_b64 s[12:13], s[2:3]
	s_cbranch_execnz .LBB307_653
	s_branch .LBB307_654
.LBB307_921:                            ;   in Loop: Header=BB307_524 Depth=1
	v_cmp_eq_u16_e64 s[2:3], s15, v20
	s_mov_b64 s[12:13], -1
                                        ; implicit-def: $sgpr24
	s_and_saveexec_b64 s[22:23], s[2:3]
; %bb.922:                              ;   in Loop: Header=BB307_524 Depth=1
	s_mov_b32 s24, 0x7fc02000
	s_xor_b64 s[12:13], exec, -1
; %bb.923:                              ;   in Loop: Header=BB307_524 Depth=1
	s_or_b64 exec, exec, s[22:23]
	s_and_b64 s[12:13], s[12:13], exec
	s_or_saveexec_b64 s[20:21], s[20:21]
	v_mov_b32_e32 v33, s24
	s_xor_b64 exec, exec, s[20:21]
	s_cbranch_execz .LBB307_656
.LBB307_924:                            ;   in Loop: Header=BB307_524 Depth=1
	v_cmp_ne_u16_e64 s[2:3], 0, v20
	s_andn2_b64 s[12:13], s[12:13], exec
	s_and_b64 s[2:3], s[2:3], exec
	v_mov_b32_e32 v33, 0
	s_or_b64 s[12:13], s[12:13], s[2:3]
	s_or_b64 exec, exec, s[20:21]
	s_and_saveexec_b64 s[20:21], s[12:13]
	s_cbranch_execnz .LBB307_657
	s_branch .LBB307_658
.LBB307_925:                            ;   in Loop: Header=BB307_524 Depth=1
	v_cmp_eq_u16_sdwa s[24:25], v34, s15 src0_sel:BYTE_0 src1_sel:DWORD
	s_mov_b64 s[2:3], -1
                                        ; implicit-def: $sgpr22
	s_and_saveexec_b64 s[20:21], s[24:25]
; %bb.926:                              ;   in Loop: Header=BB307_524 Depth=1
	s_mov_b32 s22, 0x7fc02000
	s_xor_b64 s[2:3], exec, -1
; %bb.927:                              ;   in Loop: Header=BB307_524 Depth=1
	s_or_b64 exec, exec, s[20:21]
	s_and_b64 s[2:3], s[2:3], exec
	s_or_saveexec_b64 s[12:13], s[12:13]
	v_mov_b32_e32 v36, s22
	s_xor_b64 exec, exec, s[12:13]
	s_cbranch_execz .LBB307_662
.LBB307_928:                            ;   in Loop: Header=BB307_524 Depth=1
	v_cmp_ne_u16_sdwa s[20:21], v34, v21 src0_sel:BYTE_0 src1_sel:DWORD
	s_andn2_b64 s[2:3], s[2:3], exec
	s_and_b64 s[20:21], s[20:21], exec
	v_mov_b32_e32 v36, 0
	s_or_b64 s[2:3], s[2:3], s[20:21]
	s_or_b64 exec, exec, s[12:13]
	s_and_saveexec_b64 s[12:13], s[2:3]
	s_cbranch_execnz .LBB307_663
	s_branch .LBB307_664
.LBB307_929:                            ;   in Loop: Header=BB307_524 Depth=1
	v_cmp_eq_u16_e64 s[2:3], s15, v20
	s_mov_b64 s[12:13], -1
                                        ; implicit-def: $sgpr24
	s_and_saveexec_b64 s[22:23], s[2:3]
; %bb.930:                              ;   in Loop: Header=BB307_524 Depth=1
	s_mov_b32 s24, 0x7fc02000
	s_xor_b64 s[12:13], exec, -1
; %bb.931:                              ;   in Loop: Header=BB307_524 Depth=1
	s_or_b64 exec, exec, s[22:23]
	s_and_b64 s[12:13], s[12:13], exec
	s_or_saveexec_b64 s[20:21], s[20:21]
	v_mov_b32_e32 v38, s24
	s_xor_b64 exec, exec, s[20:21]
	s_cbranch_execz .LBB307_666
.LBB307_932:                            ;   in Loop: Header=BB307_524 Depth=1
	v_cmp_ne_u16_e64 s[2:3], 0, v20
	s_andn2_b64 s[12:13], s[12:13], exec
	s_and_b64 s[2:3], s[2:3], exec
	v_mov_b32_e32 v38, 0
	s_or_b64 s[12:13], s[12:13], s[2:3]
	s_or_b64 exec, exec, s[20:21]
	s_and_saveexec_b64 s[20:21], s[12:13]
	s_cbranch_execnz .LBB307_667
	s_branch .LBB307_668
.LBB307_933:                            ;   in Loop: Header=BB307_524 Depth=1
	v_cmp_eq_u16_sdwa s[24:25], v20, s15 src0_sel:BYTE_0 src1_sel:DWORD
	s_mov_b64 s[2:3], -1
                                        ; implicit-def: $sgpr22
	s_and_saveexec_b64 s[20:21], s[24:25]
; %bb.934:                              ;   in Loop: Header=BB307_524 Depth=1
	s_mov_b32 s22, 0x7fc02000
	s_xor_b64 s[2:3], exec, -1
; %bb.935:                              ;   in Loop: Header=BB307_524 Depth=1
	s_or_b64 exec, exec, s[20:21]
	s_and_b64 s[2:3], s[2:3], exec
	s_or_saveexec_b64 s[12:13], s[12:13]
	v_mov_b32_e32 v37, s22
	s_xor_b64 exec, exec, s[12:13]
	s_cbranch_execz .LBB307_670
.LBB307_936:                            ;   in Loop: Header=BB307_524 Depth=1
	v_cmp_ne_u16_sdwa s[20:21], v20, v21 src0_sel:BYTE_0 src1_sel:DWORD
	s_andn2_b64 s[2:3], s[2:3], exec
	s_and_b64 s[20:21], s[20:21], exec
	v_mov_b32_e32 v37, 0
	s_or_b64 s[2:3], s[2:3], s[20:21]
	s_or_b64 exec, exec, s[12:13]
	s_and_saveexec_b64 s[12:13], s[2:3]
	s_cbranch_execnz .LBB307_671
	s_branch .LBB307_672
.LBB307_937:                            ;   in Loop: Header=BB307_524 Depth=1
	v_cmp_eq_u16_e64 s[2:3], s15, v20
	s_mov_b64 s[12:13], -1
                                        ; implicit-def: $sgpr24
	s_and_saveexec_b64 s[22:23], s[2:3]
; %bb.938:                              ;   in Loop: Header=BB307_524 Depth=1
	s_mov_b32 s24, 0x7fc02000
	s_xor_b64 s[12:13], exec, -1
; %bb.939:                              ;   in Loop: Header=BB307_524 Depth=1
	s_or_b64 exec, exec, s[22:23]
	s_and_b64 s[12:13], s[12:13], exec
	s_or_saveexec_b64 s[20:21], s[20:21]
	v_mov_b32_e32 v39, s24
	s_xor_b64 exec, exec, s[20:21]
	s_cbranch_execz .LBB307_674
.LBB307_940:                            ;   in Loop: Header=BB307_524 Depth=1
	v_cmp_ne_u16_e64 s[2:3], 0, v20
	s_andn2_b64 s[12:13], s[12:13], exec
	s_and_b64 s[2:3], s[2:3], exec
	v_mov_b32_e32 v39, 0
	s_or_b64 s[12:13], s[12:13], s[2:3]
	s_or_b64 exec, exec, s[20:21]
	s_and_saveexec_b64 s[20:21], s[12:13]
	s_cbranch_execnz .LBB307_675
	s_branch .LBB307_676
.LBB307_941:                            ;   in Loop: Header=BB307_524 Depth=1
	v_cmp_eq_u16_sdwa s[24:25], v35, s15 src0_sel:BYTE_0 src1_sel:DWORD
	s_mov_b64 s[2:3], -1
                                        ; implicit-def: $sgpr22
	s_and_saveexec_b64 s[20:21], s[24:25]
; %bb.942:                              ;   in Loop: Header=BB307_524 Depth=1
	s_mov_b32 s22, 0x7fc02000
	s_xor_b64 s[2:3], exec, -1
; %bb.943:                              ;   in Loop: Header=BB307_524 Depth=1
	s_or_b64 exec, exec, s[20:21]
	s_and_b64 s[2:3], s[2:3], exec
	s_or_saveexec_b64 s[12:13], s[12:13]
	v_mov_b32_e32 v6, s22
	s_xor_b64 exec, exec, s[12:13]
	s_cbranch_execz .LBB307_678
.LBB307_944:                            ;   in Loop: Header=BB307_524 Depth=1
	v_cmp_ne_u16_sdwa s[20:21], v35, v21 src0_sel:BYTE_0 src1_sel:DWORD
	s_andn2_b64 s[2:3], s[2:3], exec
	s_and_b64 s[20:21], s[20:21], exec
	v_mov_b32_e32 v6, 0
	s_or_b64 s[2:3], s[2:3], s[20:21]
	s_or_b64 exec, exec, s[12:13]
	v_mov_b32_e32 v20, v35
	s_and_saveexec_b64 s[12:13], s[2:3]
	s_cbranch_execnz .LBB307_679
	s_branch .LBB307_680
.LBB307_945:                            ;   in Loop: Header=BB307_524 Depth=1
	v_cmp_eq_u16_e64 s[2:3], s15, v20
	s_mov_b64 s[12:13], -1
                                        ; implicit-def: $sgpr24
	s_and_saveexec_b64 s[22:23], s[2:3]
; %bb.946:                              ;   in Loop: Header=BB307_524 Depth=1
	s_mov_b32 s24, 0x7fc02000
	s_xor_b64 s[12:13], exec, -1
; %bb.947:                              ;   in Loop: Header=BB307_524 Depth=1
	s_or_b64 exec, exec, s[22:23]
	s_and_b64 s[12:13], s[12:13], exec
	s_or_saveexec_b64 s[20:21], s[20:21]
	v_mov_b32_e32 v22, s24
	s_xor_b64 exec, exec, s[20:21]
	s_cbranch_execz .LBB307_682
.LBB307_948:                            ;   in Loop: Header=BB307_524 Depth=1
	v_cmp_ne_u16_e64 s[2:3], 0, v20
	s_andn2_b64 s[12:13], s[12:13], exec
	s_and_b64 s[2:3], s[2:3], exec
	v_mov_b32_e32 v22, 0
	s_or_b64 s[12:13], s[12:13], s[2:3]
	s_or_b64 exec, exec, s[20:21]
	s_and_saveexec_b64 s[20:21], s[12:13]
	s_cbranch_execnz .LBB307_683
	s_branch .LBB307_684
.LBB307_949:                            ;   in Loop: Header=BB307_524 Depth=1
	v_cmp_eq_u16_sdwa s[24:25], v20, s15 src0_sel:BYTE_0 src1_sel:DWORD
	s_mov_b64 s[2:3], -1
                                        ; implicit-def: $sgpr22
	s_and_saveexec_b64 s[20:21], s[24:25]
; %bb.950:                              ;   in Loop: Header=BB307_524 Depth=1
	s_mov_b32 s22, 0x7fc02000
	s_xor_b64 s[2:3], exec, -1
; %bb.951:                              ;   in Loop: Header=BB307_524 Depth=1
	s_or_b64 exec, exec, s[20:21]
	s_and_b64 s[2:3], s[2:3], exec
	s_or_saveexec_b64 s[12:13], s[12:13]
	v_mov_b32_e32 v26, s22
	s_xor_b64 exec, exec, s[12:13]
	s_cbranch_execz .LBB307_686
.LBB307_952:                            ;   in Loop: Header=BB307_524 Depth=1
	v_cmp_ne_u16_sdwa s[20:21], v20, v21 src0_sel:BYTE_0 src1_sel:DWORD
	s_andn2_b64 s[2:3], s[2:3], exec
	s_and_b64 s[20:21], s[20:21], exec
	v_mov_b32_e32 v26, 0
	s_or_b64 s[2:3], s[2:3], s[20:21]
	s_or_b64 exec, exec, s[12:13]
	s_and_saveexec_b64 s[12:13], s[2:3]
	s_cbranch_execnz .LBB307_687
	s_branch .LBB307_688
.LBB307_953:                            ;   in Loop: Header=BB307_524 Depth=1
	v_cmp_eq_u16_e64 s[2:3], s15, v20
	s_mov_b64 s[12:13], -1
                                        ; implicit-def: $sgpr24
	s_and_saveexec_b64 s[22:23], s[2:3]
; %bb.954:                              ;   in Loop: Header=BB307_524 Depth=1
	s_mov_b32 s24, 0x7fc02000
	s_xor_b64 s[12:13], exec, -1
; %bb.955:                              ;   in Loop: Header=BB307_524 Depth=1
	s_or_b64 exec, exec, s[22:23]
	s_and_b64 s[12:13], s[12:13], exec
	s_or_saveexec_b64 s[20:21], s[20:21]
	v_mov_b32_e32 v33, s24
	s_xor_b64 exec, exec, s[20:21]
	s_cbranch_execz .LBB307_690
.LBB307_956:                            ;   in Loop: Header=BB307_524 Depth=1
	v_cmp_ne_u16_e64 s[2:3], 0, v20
	s_andn2_b64 s[12:13], s[12:13], exec
	s_and_b64 s[2:3], s[2:3], exec
	v_mov_b32_e32 v33, 0
	s_or_b64 s[12:13], s[12:13], s[2:3]
	s_or_b64 exec, exec, s[20:21]
	s_and_saveexec_b64 s[20:21], s[12:13]
	s_cbranch_execnz .LBB307_691
	s_branch .LBB307_692
.LBB307_957:                            ;   in Loop: Header=BB307_524 Depth=1
	v_cmp_eq_u16_sdwa s[24:25], v34, s15 src0_sel:BYTE_0 src1_sel:DWORD
	s_mov_b64 s[2:3], -1
                                        ; implicit-def: $sgpr22
	s_and_saveexec_b64 s[20:21], s[24:25]
; %bb.958:                              ;   in Loop: Header=BB307_524 Depth=1
	s_mov_b32 s22, 0x7fc02000
	s_xor_b64 s[2:3], exec, -1
; %bb.959:                              ;   in Loop: Header=BB307_524 Depth=1
	s_or_b64 exec, exec, s[20:21]
	s_and_b64 s[2:3], s[2:3], exec
	s_or_saveexec_b64 s[12:13], s[12:13]
	v_mov_b32_e32 v36, s22
	s_xor_b64 exec, exec, s[12:13]
	s_cbranch_execz .LBB307_696
.LBB307_960:                            ;   in Loop: Header=BB307_524 Depth=1
	v_cmp_ne_u16_sdwa s[20:21], v34, v21 src0_sel:BYTE_0 src1_sel:DWORD
	s_andn2_b64 s[2:3], s[2:3], exec
	s_and_b64 s[20:21], s[20:21], exec
	v_mov_b32_e32 v36, 0
	s_or_b64 s[2:3], s[2:3], s[20:21]
	s_or_b64 exec, exec, s[12:13]
	s_and_saveexec_b64 s[12:13], s[2:3]
	s_cbranch_execnz .LBB307_697
	s_branch .LBB307_698
.LBB307_961:                            ;   in Loop: Header=BB307_524 Depth=1
	v_cmp_eq_u16_e64 s[2:3], s15, v20
	s_mov_b64 s[12:13], -1
                                        ; implicit-def: $sgpr24
	s_and_saveexec_b64 s[22:23], s[2:3]
; %bb.962:                              ;   in Loop: Header=BB307_524 Depth=1
	s_mov_b32 s24, 0x7fc02000
	s_xor_b64 s[12:13], exec, -1
; %bb.963:                              ;   in Loop: Header=BB307_524 Depth=1
	s_or_b64 exec, exec, s[22:23]
	s_and_b64 s[12:13], s[12:13], exec
	s_or_saveexec_b64 s[20:21], s[20:21]
	v_mov_b32_e32 v38, s24
	s_xor_b64 exec, exec, s[20:21]
	s_cbranch_execz .LBB307_700
.LBB307_964:                            ;   in Loop: Header=BB307_524 Depth=1
	v_cmp_ne_u16_e64 s[2:3], 0, v20
	s_andn2_b64 s[12:13], s[12:13], exec
	s_and_b64 s[2:3], s[2:3], exec
	v_mov_b32_e32 v38, 0
	s_or_b64 s[12:13], s[12:13], s[2:3]
	s_or_b64 exec, exec, s[20:21]
	s_and_saveexec_b64 s[20:21], s[12:13]
	s_cbranch_execnz .LBB307_701
	s_branch .LBB307_702
.LBB307_965:                            ;   in Loop: Header=BB307_524 Depth=1
	v_cmp_eq_u16_sdwa s[24:25], v20, s15 src0_sel:BYTE_0 src1_sel:DWORD
	s_mov_b64 s[2:3], -1
                                        ; implicit-def: $sgpr22
	s_and_saveexec_b64 s[20:21], s[24:25]
; %bb.966:                              ;   in Loop: Header=BB307_524 Depth=1
	s_mov_b32 s22, 0x7fc02000
	s_xor_b64 s[2:3], exec, -1
; %bb.967:                              ;   in Loop: Header=BB307_524 Depth=1
	s_or_b64 exec, exec, s[20:21]
	s_and_b64 s[2:3], s[2:3], exec
	s_or_saveexec_b64 s[12:13], s[12:13]
	v_mov_b32_e32 v37, s22
	s_xor_b64 exec, exec, s[12:13]
	s_cbranch_execz .LBB307_704
.LBB307_968:                            ;   in Loop: Header=BB307_524 Depth=1
	v_cmp_ne_u16_sdwa s[20:21], v20, v21 src0_sel:BYTE_0 src1_sel:DWORD
	s_andn2_b64 s[2:3], s[2:3], exec
	s_and_b64 s[20:21], s[20:21], exec
	v_mov_b32_e32 v37, 0
	s_or_b64 s[2:3], s[2:3], s[20:21]
	s_or_b64 exec, exec, s[12:13]
	s_and_saveexec_b64 s[12:13], s[2:3]
	s_cbranch_execnz .LBB307_705
	s_branch .LBB307_706
.LBB307_969:                            ;   in Loop: Header=BB307_524 Depth=1
	v_cmp_eq_u16_e64 s[2:3], s15, v20
	s_mov_b64 s[12:13], -1
                                        ; implicit-def: $sgpr24
	s_and_saveexec_b64 s[22:23], s[2:3]
; %bb.970:                              ;   in Loop: Header=BB307_524 Depth=1
	s_mov_b32 s24, 0x7fc02000
	s_xor_b64 s[12:13], exec, -1
; %bb.971:                              ;   in Loop: Header=BB307_524 Depth=1
	s_or_b64 exec, exec, s[22:23]
	s_and_b64 s[12:13], s[12:13], exec
	s_or_saveexec_b64 s[20:21], s[20:21]
	v_mov_b32_e32 v39, s24
	s_xor_b64 exec, exec, s[20:21]
	s_cbranch_execz .LBB307_708
.LBB307_972:                            ;   in Loop: Header=BB307_524 Depth=1
	v_cmp_ne_u16_e64 s[2:3], 0, v20
	s_andn2_b64 s[12:13], s[12:13], exec
	s_and_b64 s[2:3], s[2:3], exec
	v_mov_b32_e32 v39, 0
	s_or_b64 s[12:13], s[12:13], s[2:3]
	s_or_b64 exec, exec, s[20:21]
	s_and_saveexec_b64 s[20:21], s[12:13]
	s_cbranch_execnz .LBB307_709
	s_branch .LBB307_710
.LBB307_973:                            ;   in Loop: Header=BB307_524 Depth=1
	v_cmp_eq_u16_sdwa s[24:25], v35, s15 src0_sel:BYTE_0 src1_sel:DWORD
	s_mov_b64 s[2:3], -1
                                        ; implicit-def: $sgpr22
	s_and_saveexec_b64 s[20:21], s[24:25]
; %bb.974:                              ;   in Loop: Header=BB307_524 Depth=1
	s_mov_b32 s22, 0x7fc02000
	s_xor_b64 s[2:3], exec, -1
; %bb.975:                              ;   in Loop: Header=BB307_524 Depth=1
	s_or_b64 exec, exec, s[20:21]
	s_and_b64 s[2:3], s[2:3], exec
	s_or_saveexec_b64 s[12:13], s[12:13]
	v_mov_b32_e32 v6, s22
	s_xor_b64 exec, exec, s[12:13]
	s_cbranch_execz .LBB307_712
.LBB307_976:                            ;   in Loop: Header=BB307_524 Depth=1
	v_cmp_ne_u16_sdwa s[20:21], v35, v21 src0_sel:BYTE_0 src1_sel:DWORD
	s_andn2_b64 s[2:3], s[2:3], exec
	s_and_b64 s[20:21], s[20:21], exec
	v_mov_b32_e32 v6, 0
	s_or_b64 s[2:3], s[2:3], s[20:21]
	s_or_b64 exec, exec, s[12:13]
	v_mov_b32_e32 v20, v35
	s_and_saveexec_b64 s[12:13], s[2:3]
	s_cbranch_execnz .LBB307_713
	s_branch .LBB307_714
.LBB307_977:                            ;   in Loop: Header=BB307_524 Depth=1
	v_cmp_eq_u16_e64 s[2:3], s15, v20
	s_mov_b64 s[12:13], -1
                                        ; implicit-def: $sgpr24
	s_and_saveexec_b64 s[22:23], s[2:3]
; %bb.978:                              ;   in Loop: Header=BB307_524 Depth=1
	s_mov_b32 s24, 0x7fc02000
	s_xor_b64 s[12:13], exec, -1
; %bb.979:                              ;   in Loop: Header=BB307_524 Depth=1
	s_or_b64 exec, exec, s[22:23]
	s_and_b64 s[12:13], s[12:13], exec
	s_or_saveexec_b64 s[20:21], s[20:21]
	v_mov_b32_e32 v26, s24
	s_xor_b64 exec, exec, s[20:21]
	s_cbranch_execz .LBB307_716
.LBB307_980:                            ;   in Loop: Header=BB307_524 Depth=1
	v_cmp_ne_u16_e64 s[2:3], 0, v20
	s_andn2_b64 s[12:13], s[12:13], exec
	s_and_b64 s[2:3], s[2:3], exec
	v_mov_b32_e32 v26, 0
	s_or_b64 s[12:13], s[12:13], s[2:3]
	s_or_b64 exec, exec, s[20:21]
	s_and_saveexec_b64 s[20:21], s[12:13]
	s_cbranch_execnz .LBB307_717
	s_branch .LBB307_718
.LBB307_981:                            ;   in Loop: Header=BB307_524 Depth=1
	v_cmp_eq_u16_sdwa s[24:25], v20, s15 src0_sel:BYTE_0 src1_sel:DWORD
	s_mov_b64 s[2:3], -1
                                        ; implicit-def: $sgpr22
	s_and_saveexec_b64 s[20:21], s[24:25]
; %bb.982:                              ;   in Loop: Header=BB307_524 Depth=1
	s_mov_b32 s22, 0x7fc02000
	s_xor_b64 s[2:3], exec, -1
; %bb.983:                              ;   in Loop: Header=BB307_524 Depth=1
	s_or_b64 exec, exec, s[20:21]
	s_and_b64 s[2:3], s[2:3], exec
	s_or_saveexec_b64 s[12:13], s[12:13]
	v_mov_b32_e32 v27, s22
	s_xor_b64 exec, exec, s[12:13]
	s_cbranch_execz .LBB307_720
.LBB307_984:                            ;   in Loop: Header=BB307_524 Depth=1
	v_cmp_ne_u16_sdwa s[20:21], v20, v21 src0_sel:BYTE_0 src1_sel:DWORD
	s_andn2_b64 s[2:3], s[2:3], exec
	s_and_b64 s[20:21], s[20:21], exec
	v_mov_b32_e32 v27, 0
	s_or_b64 s[2:3], s[2:3], s[20:21]
	s_or_b64 exec, exec, s[12:13]
	s_and_saveexec_b64 s[12:13], s[2:3]
	s_cbranch_execnz .LBB307_721
	s_branch .LBB307_722
.LBB307_985:                            ;   in Loop: Header=BB307_524 Depth=1
	v_cmp_eq_u16_e64 s[2:3], s15, v20
	s_mov_b64 s[12:13], -1
                                        ; implicit-def: $sgpr24
	s_and_saveexec_b64 s[22:23], s[2:3]
; %bb.986:                              ;   in Loop: Header=BB307_524 Depth=1
	s_mov_b32 s24, 0x7fc02000
	s_xor_b64 s[12:13], exec, -1
; %bb.987:                              ;   in Loop: Header=BB307_524 Depth=1
	s_or_b64 exec, exec, s[22:23]
	s_and_b64 s[12:13], s[12:13], exec
	s_or_saveexec_b64 s[20:21], s[20:21]
	v_mov_b32_e32 v34, s24
	s_xor_b64 exec, exec, s[20:21]
	s_cbranch_execz .LBB307_724
.LBB307_988:                            ;   in Loop: Header=BB307_524 Depth=1
	v_cmp_ne_u16_e64 s[2:3], 0, v20
	s_andn2_b64 s[12:13], s[12:13], exec
	s_and_b64 s[2:3], s[2:3], exec
	v_mov_b32_e32 v34, 0
	s_or_b64 s[12:13], s[12:13], s[2:3]
	s_or_b64 exec, exec, s[20:21]
	s_and_saveexec_b64 s[20:21], s[12:13]
	s_cbranch_execnz .LBB307_725
	s_branch .LBB307_726
.LBB307_989:                            ;   in Loop: Header=BB307_524 Depth=1
	v_cmp_eq_u16_sdwa s[24:25], v32, s15 src0_sel:BYTE_0 src1_sel:DWORD
	s_mov_b64 s[2:3], -1
                                        ; implicit-def: $sgpr22
	s_and_saveexec_b64 s[20:21], s[24:25]
; %bb.990:                              ;   in Loop: Header=BB307_524 Depth=1
	s_mov_b32 s22, 0x7fc02000
	s_xor_b64 s[2:3], exec, -1
; %bb.991:                              ;   in Loop: Header=BB307_524 Depth=1
	s_or_b64 exec, exec, s[20:21]
	s_and_b64 s[2:3], s[2:3], exec
	s_or_saveexec_b64 s[12:13], s[12:13]
	v_mov_b32_e32 v34, s22
	s_xor_b64 exec, exec, s[12:13]
	s_cbranch_execz .LBB307_730
.LBB307_992:                            ;   in Loop: Header=BB307_524 Depth=1
	v_cmp_ne_u16_sdwa s[20:21], v32, v21 src0_sel:BYTE_0 src1_sel:DWORD
	s_andn2_b64 s[2:3], s[2:3], exec
	s_and_b64 s[20:21], s[20:21], exec
	v_mov_b32_e32 v34, 0
	s_or_b64 s[2:3], s[2:3], s[20:21]
	s_or_b64 exec, exec, s[12:13]
	s_and_saveexec_b64 s[12:13], s[2:3]
	s_cbranch_execnz .LBB307_731
	s_branch .LBB307_732
.LBB307_993:                            ;   in Loop: Header=BB307_524 Depth=1
	v_cmp_eq_u16_e64 s[2:3], s15, v20
	s_mov_b64 s[12:13], -1
                                        ; implicit-def: $sgpr24
	s_and_saveexec_b64 s[22:23], s[2:3]
; %bb.994:                              ;   in Loop: Header=BB307_524 Depth=1
	s_mov_b32 s24, 0x7fc02000
	s_xor_b64 s[12:13], exec, -1
; %bb.995:                              ;   in Loop: Header=BB307_524 Depth=1
	s_or_b64 exec, exec, s[22:23]
	s_and_b64 s[12:13], s[12:13], exec
	s_or_saveexec_b64 s[20:21], s[20:21]
	v_mov_b32_e32 v36, s24
	s_xor_b64 exec, exec, s[20:21]
	s_cbranch_execz .LBB307_734
.LBB307_996:                            ;   in Loop: Header=BB307_524 Depth=1
	v_cmp_ne_u16_e64 s[2:3], 0, v20
	s_andn2_b64 s[12:13], s[12:13], exec
	s_and_b64 s[2:3], s[2:3], exec
	v_mov_b32_e32 v36, 0
	s_or_b64 s[12:13], s[12:13], s[2:3]
	s_or_b64 exec, exec, s[20:21]
	s_and_saveexec_b64 s[20:21], s[12:13]
	s_cbranch_execnz .LBB307_735
	s_branch .LBB307_736
.LBB307_997:                            ;   in Loop: Header=BB307_524 Depth=1
	v_cmp_eq_u16_sdwa s[24:25], v20, s15 src0_sel:BYTE_0 src1_sel:DWORD
	s_mov_b64 s[2:3], -1
                                        ; implicit-def: $sgpr22
	s_and_saveexec_b64 s[20:21], s[24:25]
; %bb.998:                              ;   in Loop: Header=BB307_524 Depth=1
	s_mov_b32 s22, 0x7fc02000
	s_xor_b64 s[2:3], exec, -1
; %bb.999:                              ;   in Loop: Header=BB307_524 Depth=1
	s_or_b64 exec, exec, s[20:21]
	s_and_b64 s[2:3], s[2:3], exec
	s_or_saveexec_b64 s[12:13], s[12:13]
	v_mov_b32_e32 v35, s22
	s_xor_b64 exec, exec, s[12:13]
	s_cbranch_execz .LBB307_738
.LBB307_1000:                           ;   in Loop: Header=BB307_524 Depth=1
	v_cmp_ne_u16_sdwa s[20:21], v20, v21 src0_sel:BYTE_0 src1_sel:DWORD
	s_andn2_b64 s[2:3], s[2:3], exec
	s_and_b64 s[20:21], s[20:21], exec
	v_mov_b32_e32 v35, 0
	s_or_b64 s[2:3], s[2:3], s[20:21]
	s_or_b64 exec, exec, s[12:13]
	s_and_saveexec_b64 s[12:13], s[2:3]
	s_cbranch_execnz .LBB307_739
	s_branch .LBB307_740
.LBB307_1001:                           ;   in Loop: Header=BB307_524 Depth=1
	v_cmp_eq_u16_e64 s[2:3], s15, v20
	s_mov_b64 s[12:13], -1
                                        ; implicit-def: $sgpr24
	s_and_saveexec_b64 s[22:23], s[2:3]
; %bb.1002:                             ;   in Loop: Header=BB307_524 Depth=1
	s_mov_b32 s24, 0x7fc02000
	s_xor_b64 s[12:13], exec, -1
; %bb.1003:                             ;   in Loop: Header=BB307_524 Depth=1
	s_or_b64 exec, exec, s[22:23]
	s_and_b64 s[12:13], s[12:13], exec
	s_or_saveexec_b64 s[20:21], s[20:21]
	v_mov_b32_e32 v37, s24
	s_xor_b64 exec, exec, s[20:21]
	s_cbranch_execz .LBB307_742
.LBB307_1004:                           ;   in Loop: Header=BB307_524 Depth=1
	v_cmp_ne_u16_e64 s[2:3], 0, v20
	s_andn2_b64 s[12:13], s[12:13], exec
	s_and_b64 s[2:3], s[2:3], exec
	v_mov_b32_e32 v37, 0
	s_or_b64 s[12:13], s[12:13], s[2:3]
	s_or_b64 exec, exec, s[20:21]
	s_and_saveexec_b64 s[20:21], s[12:13]
	s_cbranch_execnz .LBB307_743
	s_branch .LBB307_744
.LBB307_1005:                           ;   in Loop: Header=BB307_524 Depth=1
	v_cmp_eq_u16_sdwa s[24:25], v33, s15 src0_sel:BYTE_0 src1_sel:DWORD
	s_mov_b64 s[2:3], -1
                                        ; implicit-def: $sgpr22
	s_and_saveexec_b64 s[20:21], s[24:25]
; %bb.1006:                             ;   in Loop: Header=BB307_524 Depth=1
	s_mov_b32 s22, 0x7fc02000
	s_xor_b64 s[2:3], exec, -1
; %bb.1007:                             ;   in Loop: Header=BB307_524 Depth=1
	s_or_b64 exec, exec, s[20:21]
	s_and_b64 s[2:3], s[2:3], exec
	s_or_saveexec_b64 s[12:13], s[12:13]
	v_mov_b32_e32 v6, s22
	s_xor_b64 exec, exec, s[12:13]
	s_cbranch_execz .LBB307_746
.LBB307_1008:                           ;   in Loop: Header=BB307_524 Depth=1
	v_cmp_ne_u16_sdwa s[20:21], v33, v21 src0_sel:BYTE_0 src1_sel:DWORD
	s_andn2_b64 s[2:3], s[2:3], exec
	s_and_b64 s[20:21], s[20:21], exec
	v_mov_b32_e32 v6, 0
	s_or_b64 s[2:3], s[2:3], s[20:21]
	s_or_b64 exec, exec, s[12:13]
	v_mov_b32_e32 v20, v33
	s_and_saveexec_b64 s[12:13], s[2:3]
	s_cbranch_execnz .LBB307_747
	s_branch .LBB307_748
.LBB307_1009:                           ;   in Loop: Header=BB307_524 Depth=1
	v_cmp_eq_u16_e64 s[2:3], s15, v20
	s_mov_b64 s[12:13], -1
                                        ; implicit-def: $sgpr24
	s_and_saveexec_b64 s[22:23], s[2:3]
; %bb.1010:                             ;   in Loop: Header=BB307_524 Depth=1
	s_mov_b32 s24, 0x7fc02000
	s_xor_b64 s[12:13], exec, -1
; %bb.1011:                             ;   in Loop: Header=BB307_524 Depth=1
	s_or_b64 exec, exec, s[22:23]
	s_and_b64 s[12:13], s[12:13], exec
	s_or_saveexec_b64 s[20:21], s[20:21]
	v_mov_b32_e32 v31, s24
	s_xor_b64 exec, exec, s[20:21]
	s_cbranch_execz .LBB307_750
.LBB307_1012:                           ;   in Loop: Header=BB307_524 Depth=1
	v_cmp_ne_u16_e64 s[2:3], 0, v20
	s_andn2_b64 s[12:13], s[12:13], exec
	s_and_b64 s[2:3], s[2:3], exec
	v_mov_b32_e32 v31, 0
	s_or_b64 s[12:13], s[12:13], s[2:3]
	s_or_b64 exec, exec, s[20:21]
	s_and_saveexec_b64 s[20:21], s[12:13]
	s_cbranch_execnz .LBB307_751
	s_branch .LBB307_752
.LBB307_1013:                           ;   in Loop: Header=BB307_524 Depth=1
	v_cmp_eq_u16_sdwa s[24:25], v20, s15 src0_sel:BYTE_0 src1_sel:DWORD
	s_mov_b64 s[2:3], -1
                                        ; implicit-def: $sgpr22
	s_and_saveexec_b64 s[20:21], s[24:25]
; %bb.1014:                             ;   in Loop: Header=BB307_524 Depth=1
	s_mov_b32 s22, 0x7fc02000
	s_xor_b64 s[2:3], exec, -1
; %bb.1015:                             ;   in Loop: Header=BB307_524 Depth=1
	s_or_b64 exec, exec, s[20:21]
	s_and_b64 s[2:3], s[2:3], exec
	s_or_saveexec_b64 s[12:13], s[12:13]
	v_mov_b32_e32 v32, s22
	s_xor_b64 exec, exec, s[12:13]
	s_cbranch_execz .LBB307_754
.LBB307_1016:                           ;   in Loop: Header=BB307_524 Depth=1
	v_cmp_ne_u16_sdwa s[20:21], v20, v21 src0_sel:BYTE_0 src1_sel:DWORD
	s_andn2_b64 s[2:3], s[2:3], exec
	s_and_b64 s[20:21], s[20:21], exec
	v_mov_b32_e32 v32, 0
	s_or_b64 s[2:3], s[2:3], s[20:21]
	s_or_b64 exec, exec, s[12:13]
	s_and_saveexec_b64 s[12:13], s[2:3]
	s_cbranch_execnz .LBB307_755
	s_branch .LBB307_756
.LBB307_1017:                           ;   in Loop: Header=BB307_524 Depth=1
	v_cmp_eq_u16_e64 s[2:3], s15, v20
	s_mov_b64 s[12:13], -1
                                        ; implicit-def: $sgpr24
	s_and_saveexec_b64 s[22:23], s[2:3]
; %bb.1018:                             ;   in Loop: Header=BB307_524 Depth=1
	s_mov_b32 s24, 0x7fc02000
	s_xor_b64 s[12:13], exec, -1
; %bb.1019:                             ;   in Loop: Header=BB307_524 Depth=1
	s_or_b64 exec, exec, s[22:23]
	s_and_b64 s[12:13], s[12:13], exec
	s_or_saveexec_b64 s[20:21], s[20:21]
	v_mov_b32_e32 v38, s24
	s_xor_b64 exec, exec, s[20:21]
	s_cbranch_execz .LBB307_758
.LBB307_1020:                           ;   in Loop: Header=BB307_524 Depth=1
	v_cmp_ne_u16_e64 s[2:3], 0, v20
	s_andn2_b64 s[12:13], s[12:13], exec
	s_and_b64 s[2:3], s[2:3], exec
	v_mov_b32_e32 v38, 0
	s_or_b64 s[12:13], s[12:13], s[2:3]
	s_or_b64 exec, exec, s[20:21]
	s_and_saveexec_b64 s[20:21], s[12:13]
	s_cbranch_execnz .LBB307_759
	s_branch .LBB307_760
.LBB307_1021:                           ;   in Loop: Header=BB307_524 Depth=1
	v_cmp_eq_u16_sdwa s[30:31], v30, s15 src0_sel:BYTE_0 src1_sel:DWORD
	s_mov_b64 s[2:3], -1
                                        ; implicit-def: $sgpr24
	s_and_saveexec_b64 s[22:23], s[30:31]
; %bb.1022:                             ;   in Loop: Header=BB307_524 Depth=1
	s_mov_b32 s24, 0x7fc02000
	s_xor_b64 s[2:3], exec, -1
; %bb.1023:                             ;   in Loop: Header=BB307_524 Depth=1
	s_or_b64 exec, exec, s[22:23]
	s_and_b64 s[2:3], s[2:3], exec
	s_or_saveexec_b64 s[20:21], s[20:21]
	v_mov_b32_e32 v32, s24
	s_xor_b64 exec, exec, s[20:21]
	s_cbranch_execz .LBB307_765
.LBB307_1024:                           ;   in Loop: Header=BB307_524 Depth=1
	v_cmp_ne_u16_sdwa s[22:23], v30, v21 src0_sel:BYTE_0 src1_sel:DWORD
	s_andn2_b64 s[2:3], s[2:3], exec
	s_and_b64 s[22:23], s[22:23], exec
	v_mov_b32_e32 v32, 0
	s_or_b64 s[2:3], s[2:3], s[22:23]
	s_or_b64 exec, exec, s[20:21]
	s_and_saveexec_b64 s[20:21], s[2:3]
	s_cbranch_execnz .LBB307_766
	s_branch .LBB307_767
.LBB307_1025:                           ;   in Loop: Header=BB307_524 Depth=1
	v_cmp_eq_u16_e64 s[2:3], s15, v20
	s_mov_b64 s[20:21], -1
                                        ; implicit-def: $sgpr30
	s_and_saveexec_b64 s[24:25], s[2:3]
; %bb.1026:                             ;   in Loop: Header=BB307_524 Depth=1
	s_mov_b32 s30, 0x7fc02000
	s_xor_b64 s[20:21], exec, -1
; %bb.1027:                             ;   in Loop: Header=BB307_524 Depth=1
	s_or_b64 exec, exec, s[24:25]
	s_and_b64 s[20:21], s[20:21], exec
	s_or_saveexec_b64 s[22:23], s[22:23]
	v_mov_b32_e32 v34, s30
	s_xor_b64 exec, exec, s[22:23]
	s_cbranch_execz .LBB307_769
.LBB307_1028:                           ;   in Loop: Header=BB307_524 Depth=1
	v_cmp_ne_u16_e64 s[2:3], 0, v20
	s_andn2_b64 s[20:21], s[20:21], exec
	s_and_b64 s[2:3], s[2:3], exec
	v_mov_b32_e32 v34, 0
	s_or_b64 s[20:21], s[20:21], s[2:3]
	s_or_b64 exec, exec, s[22:23]
	s_and_saveexec_b64 s[22:23], s[20:21]
	s_cbranch_execnz .LBB307_770
	s_branch .LBB307_771
.LBB307_1029:                           ;   in Loop: Header=BB307_524 Depth=1
	v_cmp_eq_u16_sdwa s[30:31], v20, s15 src0_sel:BYTE_0 src1_sel:DWORD
	s_mov_b64 s[2:3], -1
                                        ; implicit-def: $sgpr24
	s_and_saveexec_b64 s[22:23], s[30:31]
; %bb.1030:                             ;   in Loop: Header=BB307_524 Depth=1
	s_mov_b32 s24, 0x7fc02000
	s_xor_b64 s[2:3], exec, -1
; %bb.1031:                             ;   in Loop: Header=BB307_524 Depth=1
	s_or_b64 exec, exec, s[22:23]
	s_and_b64 s[2:3], s[2:3], exec
	s_or_saveexec_b64 s[20:21], s[20:21]
	v_mov_b32_e32 v33, s24
	s_xor_b64 exec, exec, s[20:21]
	s_cbranch_execz .LBB307_773
.LBB307_1032:                           ;   in Loop: Header=BB307_524 Depth=1
	v_cmp_ne_u16_sdwa s[22:23], v20, v21 src0_sel:BYTE_0 src1_sel:DWORD
	s_andn2_b64 s[2:3], s[2:3], exec
	s_and_b64 s[22:23], s[22:23], exec
	v_mov_b32_e32 v33, 0
	s_or_b64 s[2:3], s[2:3], s[22:23]
	s_or_b64 exec, exec, s[20:21]
	s_and_saveexec_b64 s[20:21], s[2:3]
	s_cbranch_execnz .LBB307_774
	s_branch .LBB307_775
.LBB307_1033:                           ;   in Loop: Header=BB307_524 Depth=1
	v_cmp_eq_u16_e64 s[2:3], s15, v20
	s_mov_b64 s[20:21], -1
                                        ; implicit-def: $sgpr30
	s_and_saveexec_b64 s[24:25], s[2:3]
; %bb.1034:                             ;   in Loop: Header=BB307_524 Depth=1
	s_mov_b32 s30, 0x7fc02000
	s_xor_b64 s[20:21], exec, -1
; %bb.1035:                             ;   in Loop: Header=BB307_524 Depth=1
	s_or_b64 exec, exec, s[24:25]
	s_and_b64 s[20:21], s[20:21], exec
	s_or_saveexec_b64 s[22:23], s[22:23]
	v_mov_b32_e32 v35, s30
	s_xor_b64 exec, exec, s[22:23]
	s_cbranch_execz .LBB307_777
.LBB307_1036:                           ;   in Loop: Header=BB307_524 Depth=1
	v_cmp_ne_u16_e64 s[2:3], 0, v20
	s_andn2_b64 s[20:21], s[20:21], exec
	s_and_b64 s[2:3], s[2:3], exec
	v_mov_b32_e32 v35, 0
	s_or_b64 s[20:21], s[20:21], s[2:3]
	s_or_b64 exec, exec, s[22:23]
	s_and_saveexec_b64 s[22:23], s[20:21]
	s_cbranch_execnz .LBB307_778
	s_branch .LBB307_779
.LBB307_1037:                           ;   in Loop: Header=BB307_524 Depth=1
	v_cmp_eq_u16_sdwa s[30:31], v31, s15 src0_sel:BYTE_0 src1_sel:DWORD
	s_mov_b64 s[2:3], -1
                                        ; implicit-def: $sgpr24
	s_and_saveexec_b64 s[22:23], s[30:31]
; %bb.1038:                             ;   in Loop: Header=BB307_524 Depth=1
	s_mov_b32 s24, 0x7fc02000
	s_xor_b64 s[2:3], exec, -1
; %bb.1039:                             ;   in Loop: Header=BB307_524 Depth=1
	s_or_b64 exec, exec, s[22:23]
	s_and_b64 s[2:3], s[2:3], exec
	s_or_saveexec_b64 s[20:21], s[20:21]
	v_mov_b32_e32 v4, s24
	s_xor_b64 exec, exec, s[20:21]
	s_cbranch_execz .LBB307_781
.LBB307_1040:                           ;   in Loop: Header=BB307_524 Depth=1
	v_cmp_ne_u16_sdwa s[22:23], v31, v21 src0_sel:BYTE_0 src1_sel:DWORD
	s_andn2_b64 s[2:3], s[2:3], exec
	s_and_b64 s[22:23], s[22:23], exec
	v_mov_b32_e32 v4, 0
	s_or_b64 s[2:3], s[2:3], s[22:23]
	s_or_b64 exec, exec, s[20:21]
	v_mov_b32_e32 v20, v31
	s_and_saveexec_b64 s[20:21], s[2:3]
	s_cbranch_execnz .LBB307_782
	s_branch .LBB307_783
.LBB307_1041:                           ;   in Loop: Header=BB307_524 Depth=1
	v_cmp_eq_u16_e64 s[2:3], s15, v20
	s_mov_b64 s[20:21], -1
                                        ; implicit-def: $sgpr30
	s_and_saveexec_b64 s[24:25], s[2:3]
; %bb.1042:                             ;   in Loop: Header=BB307_524 Depth=1
	s_mov_b32 s30, 0x7fc02000
	s_xor_b64 s[20:21], exec, -1
; %bb.1043:                             ;   in Loop: Header=BB307_524 Depth=1
	s_or_b64 exec, exec, s[24:25]
	s_and_b64 s[20:21], s[20:21], exec
	s_or_saveexec_b64 s[22:23], s[22:23]
	v_mov_b32_e32 v5, s30
	s_xor_b64 exec, exec, s[22:23]
	s_cbranch_execz .LBB307_785
.LBB307_1044:                           ;   in Loop: Header=BB307_524 Depth=1
	v_cmp_ne_u16_e64 s[2:3], 0, v20
	s_andn2_b64 s[20:21], s[20:21], exec
	s_and_b64 s[2:3], s[2:3], exec
	v_mov_b32_e32 v5, 0
	s_or_b64 s[20:21], s[20:21], s[2:3]
	s_or_b64 exec, exec, s[22:23]
	s_and_saveexec_b64 s[22:23], s[20:21]
	s_cbranch_execnz .LBB307_786
	s_branch .LBB307_787
.LBB307_1045:                           ;   in Loop: Header=BB307_524 Depth=1
	v_cmp_eq_u16_sdwa s[30:31], v20, s15 src0_sel:BYTE_0 src1_sel:DWORD
	s_mov_b64 s[2:3], -1
                                        ; implicit-def: $sgpr24
	s_and_saveexec_b64 s[22:23], s[30:31]
; %bb.1046:                             ;   in Loop: Header=BB307_524 Depth=1
	s_mov_b32 s24, 0x7fc02000
	s_xor_b64 s[2:3], exec, -1
; %bb.1047:                             ;   in Loop: Header=BB307_524 Depth=1
	s_or_b64 exec, exec, s[22:23]
	s_and_b64 s[2:3], s[2:3], exec
	s_or_saveexec_b64 s[20:21], s[20:21]
	v_mov_b32_e32 v6, s24
	s_xor_b64 exec, exec, s[20:21]
	s_cbranch_execz .LBB307_789
.LBB307_1048:                           ;   in Loop: Header=BB307_524 Depth=1
	v_cmp_ne_u16_sdwa s[22:23], v20, v21 src0_sel:BYTE_0 src1_sel:DWORD
	s_andn2_b64 s[2:3], s[2:3], exec
	s_and_b64 s[22:23], s[22:23], exec
	v_mov_b32_e32 v6, 0
	s_or_b64 s[2:3], s[2:3], s[22:23]
	s_or_b64 exec, exec, s[20:21]
	s_and_saveexec_b64 s[20:21], s[2:3]
	s_cbranch_execnz .LBB307_790
	s_branch .LBB307_791
.LBB307_1049:                           ;   in Loop: Header=BB307_524 Depth=1
	v_cmp_eq_u16_e64 s[2:3], s15, v20
	s_mov_b64 s[20:21], -1
                                        ; implicit-def: $sgpr30
	s_and_saveexec_b64 s[24:25], s[2:3]
; %bb.1050:                             ;   in Loop: Header=BB307_524 Depth=1
	s_mov_b32 s30, 0x7fc02000
	s_xor_b64 s[20:21], exec, -1
; %bb.1051:                             ;   in Loop: Header=BB307_524 Depth=1
	s_or_b64 exec, exec, s[24:25]
	s_and_b64 s[20:21], s[20:21], exec
	s_or_saveexec_b64 s[22:23], s[22:23]
	v_mov_b32_e32 v26, s30
	s_xor_b64 exec, exec, s[22:23]
	s_cbranch_execz .LBB307_793
.LBB307_1052:                           ;   in Loop: Header=BB307_524 Depth=1
	v_cmp_ne_u16_e64 s[2:3], 0, v20
	s_andn2_b64 s[20:21], s[20:21], exec
	s_and_b64 s[2:3], s[2:3], exec
	v_mov_b32_e32 v26, 0
	s_or_b64 s[20:21], s[20:21], s[2:3]
	s_or_b64 exec, exec, s[22:23]
	s_and_saveexec_b64 s[22:23], s[20:21]
	s_cbranch_execnz .LBB307_794
	s_branch .LBB307_795
.LBB307_1053:
	s_or_b64 exec, exec, s[8:9]
.LBB307_1054:
	s_or_b64 exec, exec, s[6:7]
	ds_bpermute_b32 v6, v23, v8
	ds_bpermute_b32 v7, v23, v9
	;; [unrolled: 1-line block ×6, first 2 shown]
	s_waitcnt lgkmcnt(0)
	v_pk_add_f32 v[6:7], v[8:9], v[6:7]
	ds_bpermute_b32 v8, v23, v2
	ds_bpermute_b32 v9, v23, v3
	v_pk_add_f32 v[4:5], v[12:13], v[4:5]
	ds_bpermute_b32 v10, v50, v4
	ds_bpermute_b32 v11, v50, v5
	v_pk_add_f32 v[0:1], v[0:1], v[14:15]
	s_waitcnt lgkmcnt(0)
	v_pk_add_f32 v[2:3], v[2:3], v[8:9]
	ds_bpermute_b32 v12, v50, v6
	ds_bpermute_b32 v13, v50, v7
	ds_bpermute_b32 v16, v50, v2
	ds_bpermute_b32 v17, v50, v3
	ds_bpermute_b32 v14, v50, v0
	ds_bpermute_b32 v15, v50, v1
	v_pk_add_f32 v[8:9], v[4:5], v[10:11]
	v_accvgpr_read_b32 v4, a2
	v_and_b32_e32 v4, 0x3c0, v4
	s_waitcnt lgkmcnt(0)
	v_pk_add_f32 v[6:7], v[6:7], v[12:13]
	v_pk_add_f32 v[2:3], v[2:3], v[16:17]
	v_pk_add_f32 v[0:1], v[0:1], v[14:15]
	v_cmp_eq_u32_e32 vcc, 64, v4
	s_barrier
	s_and_saveexec_b64 s[2:3], vcc
	s_cbranch_execz .LBB307_1059
; %bb.1055:
	v_cmp_eq_u32_e32 vcc, 0, v51
	s_and_saveexec_b64 s[0:1], vcc
	s_cbranch_execz .LBB307_1057
; %bb.1056:
	s_ashr_i32 s17, s16, 31
	s_lshl_b64 s[6:7], s[16:17], 2
	s_getpc_b64 s[8:9]
	s_add_u32 s8, s8, llvm.amdgcn.dynlds.offset.table@rel32@lo+4
	s_addc_u32 s9, s9, llvm.amdgcn.dynlds.offset.table@rel32@hi+12
	s_add_u32 s6, s6, s8
	s_addc_u32 s7, s7, s9
	s_load_dword s5, s[6:7], 0x0
	s_waitcnt lgkmcnt(0)
	v_lshl_add_u32 v4, v52, 2, s5
	ds_write2_b32 v4, v8, v9 offset1:16
	ds_write2_b32 v4, v6, v7 offset0:32 offset1:48
	ds_write2_b32 v4, v2, v3 offset0:64 offset1:80
	ds_write_b32 v4, v0 offset:384
.LBB307_1057:
	s_or_b64 exec, exec, s[0:1]
	v_or_b32_e32 v4, 0x70, v52
	s_movk_i32 s0, 0x78
	v_cmp_gt_u32_e64 s[0:1], s0, v4
	s_and_b64 s[0:1], vcc, s[0:1]
	s_and_b64 exec, exec, s[0:1]
	s_cbranch_execz .LBB307_1059
; %bb.1058:
	s_ashr_i32 s17, s16, 31
	s_lshl_b64 s[0:1], s[16:17], 2
	s_getpc_b64 s[6:7]
	s_add_u32 s6, s6, llvm.amdgcn.dynlds.offset.table@rel32@lo+4
	s_addc_u32 s7, s7, llvm.amdgcn.dynlds.offset.table@rel32@hi+12
	s_add_u32 s0, s0, s6
	s_addc_u32 s1, s1, s7
	s_load_dword s0, s[0:1], 0x0
	s_waitcnt lgkmcnt(0)
	v_lshl_add_u32 v4, v52, 2, s0
	ds_write_b32 v4, v1 offset:448
.LBB307_1059:
	s_or_b64 exec, exec, s[2:3]
	v_accvgpr_read_b32 v4, a2
	v_cmp_gt_u32_e32 vcc, 64, v4
	v_lshrrev_b32_e32 v12, 2, v4
	s_waitcnt lgkmcnt(0)
	s_barrier
	s_and_saveexec_b64 s[6:7], vcc
	s_cbranch_execz .LBB307_1071
; %bb.1060:
	v_cmp_eq_u32_e64 s[0:1], 0, v51
	s_and_saveexec_b64 s[2:3], s[0:1]
	s_cbranch_execnz .LBB307_1077
; %bb.1061:
	s_or_b64 exec, exec, s[2:3]
	s_and_saveexec_b64 s[2:3], s[0:1]
	s_cbranch_execnz .LBB307_1078
.LBB307_1062:
	s_or_b64 exec, exec, s[2:3]
	s_and_saveexec_b64 s[2:3], s[0:1]
	s_cbranch_execnz .LBB307_1079
.LBB307_1063:
	s_or_b64 exec, exec, s[2:3]
	s_and_saveexec_b64 s[2:3], s[0:1]
	s_cbranch_execnz .LBB307_1080
.LBB307_1064:
	s_or_b64 exec, exec, s[2:3]
	s_and_saveexec_b64 s[2:3], s[0:1]
	s_cbranch_execnz .LBB307_1081
.LBB307_1065:
	s_or_b64 exec, exec, s[2:3]
	s_and_saveexec_b64 s[2:3], s[0:1]
	s_cbranch_execnz .LBB307_1082
.LBB307_1066:
	s_or_b64 exec, exec, s[2:3]
	s_and_saveexec_b64 s[2:3], s[0:1]
	s_cbranch_execz .LBB307_1068
.LBB307_1067:
	s_ashr_i32 s17, s16, 31
	s_lshl_b64 s[8:9], s[16:17], 2
	s_getpc_b64 s[12:13]
	s_add_u32 s12, s12, llvm.amdgcn.dynlds.offset.table@rel32@lo+4
	s_addc_u32 s13, s13, llvm.amdgcn.dynlds.offset.table@rel32@hi+12
	s_add_u32 s8, s8, s12
	s_addc_u32 s9, s9, s13
	s_load_dword s5, s[8:9], 0x0
	s_waitcnt lgkmcnt(0)
	v_lshl_add_u32 v4, v12, 2, s5
	ds_read_b32 v4, v4 offset:384
	s_waitcnt lgkmcnt(0)
	v_add_f32_e32 v0, v0, v4
.LBB307_1068:
	s_or_b64 exec, exec, s[2:3]
	v_or_b32_e32 v4, 0x70, v12
	s_movk_i32 s2, 0x78
	v_cmp_gt_u32_e64 s[2:3], s2, v4
	s_and_b64 s[2:3], s[0:1], s[2:3]
	s_and_saveexec_b64 s[0:1], s[2:3]
	s_cbranch_execz .LBB307_1070
; %bb.1069:
	s_ashr_i32 s17, s16, 31
	s_lshl_b64 s[2:3], s[16:17], 2
	s_getpc_b64 s[8:9]
	s_add_u32 s8, s8, llvm.amdgcn.dynlds.offset.table@rel32@lo+4
	s_addc_u32 s9, s9, llvm.amdgcn.dynlds.offset.table@rel32@hi+12
	s_add_u32 s2, s2, s8
	s_addc_u32 s3, s3, s9
	s_load_dword s2, s[2:3], 0x0
	s_waitcnt lgkmcnt(0)
	v_lshl_add_u32 v4, v12, 2, s2
	ds_read_b32 v4, v4 offset:448
	s_waitcnt lgkmcnt(0)
	v_add_f32_e32 v1, v1, v4
.LBB307_1070:
	s_or_b64 exec, exec, s[0:1]
.LBB307_1071:
	s_or_b64 exec, exec, s[6:7]
	s_barrier
	s_and_b64 exec, exec, vcc
	s_cbranch_execz .LBB307_1076
; %bb.1072:
	s_mul_i32 s0, s4, 0x78
	s_mul_i32 s4, s18, s19
	;; [unrolled: 1-line block ×3, first 2 shown]
	s_ashr_i32 s1, s0, 31
	s_ashr_i32 s5, s4, 31
	;; [unrolled: 1-line block ×3, first 2 shown]
	s_lshl_b64 s[0:1], s[0:1], 1
	s_lshl_b64 s[4:5], s[4:5], 1
	;; [unrolled: 1-line block ×3, first 2 shown]
	s_add_u32 s3, s6, s4
	s_addc_u32 s4, s7, s5
	s_add_u32 s0, s3, s0
	v_accvgpr_read_b32 v5, a1
	s_addc_u32 s1, s4, s1
	v_accvgpr_read_b32 v4, a0
	s_movk_i32 s2, 0x78
	v_lshl_add_u64 v[4:5], s[0:1], 0, v[4:5]
	v_cmp_eq_u32_e32 vcc, 0, v51
	v_lshlrev_b32_e32 v10, 1, v12
	s_and_saveexec_b64 s[0:1], vcc
	s_cbranch_execz .LBB307_1074
; %bb.1073:
	v_mov_b32_e32 v11, 0
	v_lshl_add_u64 v[14:15], v[4:5], 0, v[10:11]
	;;#ASMSTART
	v_cvt_f16_f32 v8, v8;

	;;#ASMEND
	flat_store_short v[14:15], v8
	;;#ASMSTART
	v_cvt_f16_f32 v8, v9;

	;;#ASMEND
	flat_store_short v[14:15], v8 offset:32
	;;#ASMSTART
	v_cvt_f16_f32 v6, v6;

	;;#ASMEND
	flat_store_short v[14:15], v6 offset:64
	;; [unrolled: 5-line block ×6, first 2 shown]
.LBB307_1074:
	s_or_b64 exec, exec, s[0:1]
	v_or_b32_e32 v0, 0x70, v12
	v_cmp_gt_u32_e64 s[0:1], s2, v0
	s_and_b64 s[0:1], vcc, s[0:1]
	s_and_b64 exec, exec, s[0:1]
	s_cbranch_execz .LBB307_1076
; %bb.1075:
	v_mov_b32_e32 v11, 0
	v_lshl_add_u64 v[2:3], v[4:5], 0, v[10:11]
	;;#ASMSTART
	v_cvt_f16_f32 v0, v1;

	;;#ASMEND
	flat_store_short v[2:3], v0 offset:224
.LBB307_1076:
	s_or_b64 exec, exec, s[10:11]
	scratch_load_dword a49, off, s32        ; 4-byte Folded Reload
	scratch_load_dword a48, off, s32 offset:4 ; 4-byte Folded Reload
	scratch_load_dword a47, off, s32 offset:8 ; 4-byte Folded Reload
	;; [unrolled: 1-line block ×32, first 2 shown]
	v_readlane_b32 s30, v63, 4
	v_readlane_b32 s31, v63, 5
	;; [unrolled: 1-line block ×6, first 2 shown]
	s_or_saveexec_b64 s[0:1], -1
	scratch_load_dword v63, off, s32 offset:148 ; 4-byte Folded Reload
	s_mov_b64 exec, s[0:1]
	s_waitcnt vmcnt(0) lgkmcnt(0)
	s_setpc_b64 s[30:31]
.LBB307_1077:
	s_ashr_i32 s17, s16, 31
	s_lshl_b64 s[8:9], s[16:17], 2
	s_getpc_b64 s[12:13]
	s_add_u32 s12, s12, llvm.amdgcn.dynlds.offset.table@rel32@lo+4
	s_addc_u32 s13, s13, llvm.amdgcn.dynlds.offset.table@rel32@hi+12
	s_add_u32 s8, s8, s12
	s_addc_u32 s9, s9, s13
	s_load_dword s5, s[8:9], 0x0
	s_waitcnt lgkmcnt(0)
	v_lshl_add_u32 v4, v12, 2, s5
	ds_read_b32 v4, v4
	s_waitcnt lgkmcnt(0)
	v_add_f32_e32 v8, v8, v4
	s_or_b64 exec, exec, s[2:3]
	s_and_saveexec_b64 s[2:3], s[0:1]
	s_cbranch_execz .LBB307_1062
.LBB307_1078:
	s_ashr_i32 s17, s16, 31
	s_lshl_b64 s[8:9], s[16:17], 2
	s_getpc_b64 s[12:13]
	s_add_u32 s12, s12, llvm.amdgcn.dynlds.offset.table@rel32@lo+4
	s_addc_u32 s13, s13, llvm.amdgcn.dynlds.offset.table@rel32@hi+12
	s_add_u32 s8, s8, s12
	s_addc_u32 s9, s9, s13
	s_load_dword s5, s[8:9], 0x0
	s_waitcnt lgkmcnt(0)
	v_lshl_add_u32 v4, v12, 2, s5
	ds_read_b32 v4, v4 offset:64
	s_waitcnt lgkmcnt(0)
	v_add_f32_e32 v9, v9, v4
	s_or_b64 exec, exec, s[2:3]
	s_and_saveexec_b64 s[2:3], s[0:1]
	s_cbranch_execz .LBB307_1063
.LBB307_1079:
	s_ashr_i32 s17, s16, 31
	s_lshl_b64 s[8:9], s[16:17], 2
	s_getpc_b64 s[12:13]
	s_add_u32 s12, s12, llvm.amdgcn.dynlds.offset.table@rel32@lo+4
	s_addc_u32 s13, s13, llvm.amdgcn.dynlds.offset.table@rel32@hi+12
	s_add_u32 s8, s8, s12
	s_addc_u32 s9, s9, s13
	s_load_dword s5, s[8:9], 0x0
	s_waitcnt lgkmcnt(0)
	v_lshl_add_u32 v4, v12, 2, s5
	ds_read_b32 v4, v4 offset:128
	s_waitcnt lgkmcnt(0)
	v_add_f32_e32 v6, v6, v4
	s_or_b64 exec, exec, s[2:3]
	s_and_saveexec_b64 s[2:3], s[0:1]
	s_cbranch_execz .LBB307_1064
.LBB307_1080:
	s_ashr_i32 s17, s16, 31
	s_lshl_b64 s[8:9], s[16:17], 2
	s_getpc_b64 s[12:13]
	s_add_u32 s12, s12, llvm.amdgcn.dynlds.offset.table@rel32@lo+4
	s_addc_u32 s13, s13, llvm.amdgcn.dynlds.offset.table@rel32@hi+12
	s_add_u32 s8, s8, s12
	s_addc_u32 s9, s9, s13
	s_load_dword s5, s[8:9], 0x0
	s_waitcnt lgkmcnt(0)
	v_lshl_add_u32 v4, v12, 2, s5
	ds_read_b32 v4, v4 offset:192
	s_waitcnt lgkmcnt(0)
	v_add_f32_e32 v7, v7, v4
	s_or_b64 exec, exec, s[2:3]
	s_and_saveexec_b64 s[2:3], s[0:1]
	s_cbranch_execz .LBB307_1065
.LBB307_1081:
	s_ashr_i32 s17, s16, 31
	s_lshl_b64 s[8:9], s[16:17], 2
	s_getpc_b64 s[12:13]
	s_add_u32 s12, s12, llvm.amdgcn.dynlds.offset.table@rel32@lo+4
	s_addc_u32 s13, s13, llvm.amdgcn.dynlds.offset.table@rel32@hi+12
	s_add_u32 s8, s8, s12
	s_addc_u32 s9, s9, s13
	s_load_dword s5, s[8:9], 0x0
	s_waitcnt lgkmcnt(0)
	v_lshl_add_u32 v4, v12, 2, s5
	ds_read_b32 v4, v4 offset:256
	s_waitcnt lgkmcnt(0)
	v_add_f32_e32 v2, v2, v4
	s_or_b64 exec, exec, s[2:3]
	s_and_saveexec_b64 s[2:3], s[0:1]
	s_cbranch_execz .LBB307_1066
.LBB307_1082:
	s_ashr_i32 s17, s16, 31
	s_lshl_b64 s[8:9], s[16:17], 2
	s_getpc_b64 s[12:13]
	s_add_u32 s12, s12, llvm.amdgcn.dynlds.offset.table@rel32@lo+4
	s_addc_u32 s13, s13, llvm.amdgcn.dynlds.offset.table@rel32@hi+12
	s_add_u32 s8, s8, s12
	s_addc_u32 s9, s9, s13
	s_load_dword s5, s[8:9], 0x0
	s_waitcnt lgkmcnt(0)
	v_lshl_add_u32 v4, v12, 2, s5
	ds_read_b32 v4, v4 offset:320
	s_waitcnt lgkmcnt(0)
	v_add_f32_e32 v3, v3, v4
	s_or_b64 exec, exec, s[2:3]
	s_and_saveexec_b64 s[2:3], s[0:1]
	s_cbranch_execnz .LBB307_1067
	s_branch .LBB307_1068
.Lfunc_end307:
	.size	_ZN4vllm22paged_attention_kernelIthLi120ELi32ELi128ELNS_18Fp8KVCacheDataTypeE1ELb0ELi512EEEvPfS2_PT_PKS3_PKT0_S9_ifPKiSB_iPKfiiiSD_SD_iiiii, .Lfunc_end307-_ZN4vllm22paged_attention_kernelIthLi120ELi32ELi128ELNS_18Fp8KVCacheDataTypeE1ELb0ELi512EEEvPfS2_PT_PKS3_PKT0_S9_ifPKiSB_iPKfiiiSD_SD_iiiii
                                        ; -- End function
	.section	.AMDGPU.csdata,"",@progbits
; Function info:
; codeLenInByte = 45316
; NumSgprs: 44
; NumVgprs: 64
; NumAgprs: 50
; TotalNumVgprs: 114
; ScratchSize: 156
; MemoryBound: 0
	.section	.text._ZN4vllm25paged_attention_v2_kernelIthLi120ELi32ELi128ELNS_18Fp8KVCacheDataTypeE1ELb0ELi512EEEvPfS2_PT_PKS3_PKT0_S9_ifPKiSB_iPKfiiiSD_SD_iiiii,"axG",@progbits,_ZN4vllm25paged_attention_v2_kernelIthLi120ELi32ELi128ELNS_18Fp8KVCacheDataTypeE1ELb0ELi512EEEvPfS2_PT_PKS3_PKT0_S9_ifPKiSB_iPKfiiiSD_SD_iiiii,comdat
	.protected	_ZN4vllm25paged_attention_v2_kernelIthLi120ELi32ELi128ELNS_18Fp8KVCacheDataTypeE1ELb0ELi512EEEvPfS2_PT_PKS3_PKT0_S9_ifPKiSB_iPKfiiiSD_SD_iiiii ; -- Begin function _ZN4vllm25paged_attention_v2_kernelIthLi120ELi32ELi128ELNS_18Fp8KVCacheDataTypeE1ELb0ELi512EEEvPfS2_PT_PKS3_PKT0_S9_ifPKiSB_iPKfiiiSD_SD_iiiii
	.globl	_ZN4vllm25paged_attention_v2_kernelIthLi120ELi32ELi128ELNS_18Fp8KVCacheDataTypeE1ELb0ELi512EEEvPfS2_PT_PKS3_PKT0_S9_ifPKiSB_iPKfiiiSD_SD_iiiii
	.p2align	8
	.type	_ZN4vllm25paged_attention_v2_kernelIthLi120ELi32ELi128ELNS_18Fp8KVCacheDataTypeE1ELb0ELi512EEEvPfS2_PT_PKS3_PKT0_S9_ifPKiSB_iPKfiiiSD_SD_iiiii,@function
_ZN4vllm25paged_attention_v2_kernelIthLi120ELi32ELi128ELNS_18Fp8KVCacheDataTypeE1ELb0ELi512EEEvPfS2_PT_PKS3_PKT0_S9_ifPKiSB_iPKfiiiSD_SD_iiiii: ; @_ZN4vllm25paged_attention_v2_kernelIthLi120ELi32ELi128ELNS_18Fp8KVCacheDataTypeE1ELb0ELi512EEEvPfS2_PT_PKS3_PKT0_S9_ifPKiSB_iPKfiiiSD_SD_iiiii
; %bb.0:
	s_load_dwordx8 s[24:31], s[0:1], 0x0
	s_load_dwordx8 s[16:23], s[0:1], 0x20
	s_load_dwordx2 s[6:7], s[0:1], 0x40
	s_load_dwordx2 s[10:11], s[0:1], 0x50
	s_load_dword s5, s[0:1], 0x48
	s_load_dwordx8 s[36:43], s[0:1], 0x58
	s_add_u32 s8, s0, 0x90
	s_addc_u32 s9, s1, 0
	s_mov_b32 s12, s2
	s_mov_b32 s13, s3
	;; [unrolled: 1-line block ×4, first 2 shown]
	v_mov_b32_e32 v31, v0
	s_waitcnt lgkmcnt(0)
	v_mov_b32_e32 v0, s24
	v_mov_b32_e32 v1, s25
	;; [unrolled: 1-line block ×28, first 2 shown]
	s_mov_b32 s32, 0
	s_getpc_b64 s[0:1]
	s_add_u32 s0, s0, _ZN4vllm22paged_attention_kernelIthLi120ELi32ELi128ELNS_18Fp8KVCacheDataTypeE1ELb0ELi512EEEvPfS2_PT_PKS3_PKT0_S9_ifPKiSB_iPKfiiiSD_SD_iiiii@rel32@lo+4
	s_addc_u32 s1, s1, _ZN4vllm22paged_attention_kernelIthLi120ELi32ELi128ELNS_18Fp8KVCacheDataTypeE1ELb0ELi512EEEvPfS2_PT_PKS3_PKT0_S9_ifPKiSB_iPKfiiiSD_SD_iiiii@rel32@hi+12
	s_swappc_b64 s[30:31], s[0:1]
	s_endpgm
	.section	.rodata,"a",@progbits
	.p2align	6, 0x0
	.amdhsa_kernel _ZN4vllm25paged_attention_v2_kernelIthLi120ELi32ELi128ELNS_18Fp8KVCacheDataTypeE1ELb0ELi512EEEvPfS2_PT_PKS3_PKT0_S9_ifPKiSB_iPKfiiiSD_SD_iiiii
		.amdhsa_group_segment_fixed_size 256
		.amdhsa_private_segment_fixed_size 156
		.amdhsa_kernarg_size 400
		.amdhsa_user_sgpr_count 2
		.amdhsa_user_sgpr_dispatch_ptr 0
		.amdhsa_user_sgpr_queue_ptr 0
		.amdhsa_user_sgpr_kernarg_segment_ptr 1
		.amdhsa_user_sgpr_dispatch_id 0
		.amdhsa_user_sgpr_kernarg_preload_length 0
		.amdhsa_user_sgpr_kernarg_preload_offset 0
		.amdhsa_user_sgpr_private_segment_size 0
		.amdhsa_uses_dynamic_stack 0
		.amdhsa_enable_private_segment 1
		.amdhsa_system_sgpr_workgroup_id_x 1
		.amdhsa_system_sgpr_workgroup_id_y 1
		.amdhsa_system_sgpr_workgroup_id_z 1
		.amdhsa_system_sgpr_workgroup_info 0
		.amdhsa_system_vgpr_workitem_id 0
		.amdhsa_next_free_vgpr 114
		.amdhsa_next_free_sgpr 44
		.amdhsa_accum_offset 64
		.amdhsa_reserve_vcc 1
		.amdhsa_float_round_mode_32 0
		.amdhsa_float_round_mode_16_64 0
		.amdhsa_float_denorm_mode_32 3
		.amdhsa_float_denorm_mode_16_64 3
		.amdhsa_dx10_clamp 1
		.amdhsa_ieee_mode 1
		.amdhsa_fp16_overflow 0
		.amdhsa_tg_split 0
		.amdhsa_exception_fp_ieee_invalid_op 0
		.amdhsa_exception_fp_denorm_src 0
		.amdhsa_exception_fp_ieee_div_zero 0
		.amdhsa_exception_fp_ieee_overflow 0
		.amdhsa_exception_fp_ieee_underflow 0
		.amdhsa_exception_fp_ieee_inexact 0
		.amdhsa_exception_int_div_zero 0
	.end_amdhsa_kernel
	.section	.text._ZN4vllm25paged_attention_v2_kernelIthLi120ELi32ELi128ELNS_18Fp8KVCacheDataTypeE1ELb0ELi512EEEvPfS2_PT_PKS3_PKT0_S9_ifPKiSB_iPKfiiiSD_SD_iiiii,"axG",@progbits,_ZN4vllm25paged_attention_v2_kernelIthLi120ELi32ELi128ELNS_18Fp8KVCacheDataTypeE1ELb0ELi512EEEvPfS2_PT_PKS3_PKT0_S9_ifPKiSB_iPKfiiiSD_SD_iiiii,comdat
.Lfunc_end308:
	.size	_ZN4vllm25paged_attention_v2_kernelIthLi120ELi32ELi128ELNS_18Fp8KVCacheDataTypeE1ELb0ELi512EEEvPfS2_PT_PKS3_PKT0_S9_ifPKiSB_iPKfiiiSD_SD_iiiii, .Lfunc_end308-_ZN4vllm25paged_attention_v2_kernelIthLi120ELi32ELi128ELNS_18Fp8KVCacheDataTypeE1ELb0ELi512EEEvPfS2_PT_PKS3_PKT0_S9_ifPKiSB_iPKfiiiSD_SD_iiiii
                                        ; -- End function
	.section	.AMDGPU.csdata,"",@progbits
; Kernel info:
; codeLenInByte = 228
; NumSgprs: 50
; NumVgprs: 64
; NumAgprs: 50
; TotalNumVgprs: 114
; ScratchSize: 156
; MemoryBound: 0
; FloatMode: 240
; IeeeMode: 1
; LDSByteSize: 256 bytes/workgroup (compile time only)
; SGPRBlocks: 6
; VGPRBlocks: 14
; NumSGPRsForWavesPerEU: 50
; NumVGPRsForWavesPerEU: 114
; AccumOffset: 64
; Occupancy: 4
; WaveLimiterHint : 1
; COMPUTE_PGM_RSRC2:SCRATCH_EN: 1
; COMPUTE_PGM_RSRC2:USER_SGPR: 2
; COMPUTE_PGM_RSRC2:TRAP_HANDLER: 0
; COMPUTE_PGM_RSRC2:TGID_X_EN: 1
; COMPUTE_PGM_RSRC2:TGID_Y_EN: 1
; COMPUTE_PGM_RSRC2:TGID_Z_EN: 1
; COMPUTE_PGM_RSRC2:TIDIG_COMP_CNT: 0
; COMPUTE_PGM_RSRC3_GFX90A:ACCUM_OFFSET: 15
; COMPUTE_PGM_RSRC3_GFX90A:TG_SPLIT: 0
	.text
	.p2align	2                               ; -- Begin function _ZN4vllm22paged_attention_kernelIthLi128ELi32ELi128ELNS_18Fp8KVCacheDataTypeE1ELb0ELi512EEEvPfS2_PT_PKS3_PKT0_S9_ifPKiSB_iPKfiiiSD_SD_iiiii
	.type	_ZN4vllm22paged_attention_kernelIthLi128ELi32ELi128ELNS_18Fp8KVCacheDataTypeE1ELb0ELi512EEEvPfS2_PT_PKS3_PKT0_S9_ifPKiSB_iPKfiiiSD_SD_iiiii,@function
_ZN4vllm22paged_attention_kernelIthLi128ELi32ELi128ELNS_18Fp8KVCacheDataTypeE1ELb0ELi512EEEvPfS2_PT_PKS3_PKT0_S9_ifPKiSB_iPKfiiiSD_SD_iiiii: ; @_ZN4vllm22paged_attention_kernelIthLi128ELi32ELi128ELNS_18Fp8KVCacheDataTypeE1ELb0ELi512EEEvPfS2_PT_PKS3_PKT0_S9_ifPKiSB_iPKfiiiSD_SD_iiiii
; %bb.0:
	s_waitcnt vmcnt(0) expcnt(0) lgkmcnt(0)
	s_or_saveexec_b64 s[0:1], -1
	scratch_store_dword off, v63, s32 offset:168 ; 4-byte Folded Spill
	s_mov_b64 exec, s[0:1]
	scratch_store_dword off, v40, s32 offset:136 ; 4-byte Folded Spill
	scratch_store_dword off, v41, s32 offset:132 ; 4-byte Folded Spill
	;; [unrolled: 1-line block ×34, first 2 shown]
	scratch_store_dword off, a51, s32       ; 4-byte Folded Spill
	v_writelane_b32 v63, s34, 0
	v_writelane_b32 v63, s35, 1
	;; [unrolled: 1-line block ×5, first 2 shown]
	s_nop 1
	v_writelane_b32 v63, s31, 5
	s_mov_b32 s20, s13
	v_accvgpr_write_b32 a0, v4
	s_ashr_i32 s21, s13, 31
	v_accvgpr_write_b32 a1, v5
	v_lshl_add_u64 v[4:5], s[20:21], 2, v[16:17]
	flat_load_dword v4, v[4:5]
	v_accvgpr_write_b32 a4, v26
	v_accvgpr_write_b32 a27, v25
	v_accvgpr_write_b32 a12, v14
	v_accvgpr_write_b32 a15, v11
	s_lshl_b32 s21, s14, 9
	v_accvgpr_write_b32 a5, v27
	v_accvgpr_write_b32 a26, v24
	;; [unrolled: 1-line block ×3, first 2 shown]
	v_mov_b32_e32 v29, v20
	v_mov_b32_e32 v28, v19
	v_accvgpr_write_b32 a13, v15
	v_accvgpr_write_b32 a28, v13
	;; [unrolled: 1-line block ×3, first 2 shown]
	s_waitcnt vmcnt(0) lgkmcnt(0)
	v_accvgpr_write_b32 a8, v4
	v_cmp_lt_i32_e32 vcc, s21, v4
	s_and_saveexec_b64 s[10:11], vcc
	s_cbranch_execz .LBB309_1099
; %bb.1:
	v_accvgpr_write_b32 a17, v1
	v_accvgpr_write_b32 a16, v0
	v_sub_u32_e32 v0, 0, v12
	v_max_i32_e32 v0, v12, v0
	v_cvt_f32_u32_e32 v1, v0
	s_load_dword s0, s[8:9], 0x10
	s_load_dword s2, s[8:9], 0x0
	v_accvgpr_write_b32 a19, v3
	v_accvgpr_write_b32 a18, v2
	v_rcp_iflag_f32_e32 v1, v1
	s_waitcnt lgkmcnt(0)
	s_lshr_b32 s0, s0, 16
	s_cmp_lg_u32 s0, 0
	s_cselect_b64 s[0:1], -1, 0
	v_mul_f32_e32 v1, 0x4f7ffffe, v1
	v_cvt_u32_f32_e32 v1, v1
	v_sub_u32_e32 v3, 0, v0
	s_cmp_lg_u64 s[0:1], 0
	s_mov_b32 s16, s15
	v_mul_lo_u32 v3, v3, v1
	s_addc_u32 s15, s2, 0
	v_mul_hi_u32 v3, v1, v3
	s_abs_i32 s0, s15
	v_add_u32_e32 v1, v1, v3
	v_mul_hi_u32 v1, s0, v1
	v_mul_lo_u32 v3, v1, v0
	v_sub_u32_e32 v3, s0, v3
	v_add_u32_e32 v4, 1, v1
	v_cmp_ge_u32_e32 vcc, v3, v0
	v_xor_b32_e32 v2, s15, v12
	v_ashrrev_i32_e32 v2, 31, v2
	v_cndmask_b32_e32 v1, v1, v4, vcc
	v_sub_u32_e32 v4, v3, v0
	v_cndmask_b32_e32 v3, v3, v4, vcc
	v_add_u32_e32 v4, 1, v1
	v_cmp_ge_u32_e32 vcc, v3, v0
	s_abs_i32 s2, s12
	s_nop 0
	v_cndmask_b32_e32 v0, v1, v4, vcc
	v_xor_b32_e32 v0, v0, v2
	v_sub_u32_e32 v1, v0, v2
	v_sub_u32_e32 v0, 0, v1
	v_max_i32_e32 v0, v1, v0
	v_cvt_f32_u32_e32 v2, v0
	v_sub_u32_e32 v3, 0, v0
	v_cmp_ne_u64_e32 vcc, 0, v[28:29]
	v_rcp_iflag_f32_e32 v2, v2
	s_nop 0
	v_mul_f32_e32 v2, 0x4f7ffffe, v2
	v_cvt_u32_f32_e32 v2, v2
	v_mul_lo_u32 v3, v3, v2
	v_mul_hi_u32 v3, v2, v3
	v_add_u32_e32 v2, v2, v3
	v_mad_u64_u32 v[32:33], s[0:1], s2, v2, 0
	v_mov_b32_e32 v2, 0
	scratch_store_dword off, v2, s32 offset:164 ; 4-byte Folded Spill
	s_and_saveexec_b64 s[0:1], vcc
	s_cbranch_execz .LBB309_3
; %bb.2:
	s_ashr_i32 s13, s12, 31
	v_lshl_add_u64 v[2:3], s[12:13], 2, v[28:29]
	flat_load_dword v2, v[2:3]
	s_waitcnt vmcnt(0) lgkmcnt(0)
	scratch_store_dword off, v2, s32 offset:164 ; 4-byte Folded Spill
.LBB309_3:
	s_or_b64 exec, exec, s[0:1]
	v_and_b32_e32 v10, 0x3ff, v31
	v_lshlrev_b32_e32 v4, 3, v10
	s_ashr_i32 s3, s12, 31
	v_ashrrev_i32_e32 v2, 31, v1
	v_and_b32_e32 v1, 1, v10
	s_lshl_b32 s18, s12, 7
	v_cmp_gt_u32_e32 vcc, 32, v10
	v_accvgpr_write_b32 a20, v4
	s_and_saveexec_b64 s[0:1], vcc
	s_cbranch_execz .LBB309_5
; %bb.4:
	v_mul_lo_u32 v4, s20, v21
	v_ashrrev_i32_e32 v5, 31, v4
	v_lshl_add_u64 v[4:5], v[4:5], 1, v[6:7]
	s_ashr_i32 s19, s18, 31
	v_lshl_add_u64 v[4:5], s[18:19], 1, v[4:5]
	v_accvgpr_read_b32 v6, a20
	v_mov_b32_e32 v7, 0
	v_lshl_add_u64 v[4:5], v[4:5], 0, v[6:7]
	flat_load_dwordx2 v[4:5], v[4:5]
	v_lshlrev_b32_e32 v3, 2, v10
	v_and_b32_e32 v3, 0xff8, v3
	v_lshl_add_u32 v3, v1, 7, v3
	s_waitcnt vmcnt(0) lgkmcnt(0)
	ds_write_b64 v3, v[4:5]
.LBB309_5:
	s_or_b64 exec, exec, s[0:1]
	v_accvgpr_read_b32 v4, a8
	v_add_u32_e32 v3, 31, v4
	v_ashrrev_i32_e32 v4, 31, v3
	v_lshrrev_b32_e32 v4, 27, v4
	v_add_u32_e32 v3, v3, v4
	s_lshl_b32 s19, s14, 4
	v_ashrrev_i32_e32 v3, 5, v3
	s_add_i32 s0, s19, 16
	v_accvgpr_write_b32 a9, v3
	v_min_i32_e32 v6, s0, v3
	v_mul_lo_u32 v3, v33, v0
	v_sub_u32_e32 v3, s2, v3
	v_add_u32_e32 v4, 1, v33
	v_cmp_ge_u32_e32 vcc, v3, v0
	v_sub_u32_e32 v5, v3, v0
	v_xor_b32_e32 v2, s3, v2
	v_cndmask_b32_e32 v4, v33, v4, vcc
	v_cndmask_b32_e32 v3, v3, v5, vcc
	v_add_u32_e32 v5, 1, v4
	v_cmp_ge_u32_e32 vcc, v3, v0
	v_lshrrev_b32_e32 v7, 6, v10
	v_accvgpr_write_b32 a2, v10
	v_cndmask_b32_e32 v0, v4, v5, vcc
	v_mul_lo_u32 v4, s20, v18
	v_xor_b32_e32 v0, v0, v2
	v_ashrrev_i32_e32 v5, 31, v4
	v_sub_u32_e32 v3, v0, v2
	v_accvgpr_write_b32 a23, v5
	v_or_b32_e32 v0, s19, v7
	v_accvgpr_write_b32 a22, v4
	v_accvgpr_write_b32 a7, v7
	v_cmp_lt_i32_e64 s[0:1], v0, v6
	v_accvgpr_write_b32 a3, v6
	v_mov_b32_e32 v4, v0
	v_cmp_ge_i32_e32 vcc, v0, v6
	v_mbcnt_lo_u32_b32 v2, -1, 0
	s_waitcnt lgkmcnt(0)
	s_barrier
	s_waitcnt lgkmcnt(0)
                                        ; implicit-def: $sgpr4
                                        ; implicit-def: $agpr29
                                        ; implicit-def: $vgpr0
	s_and_saveexec_b64 s[2:3], vcc
	s_xor_b64 s[2:3], exec, s[2:3]
; %bb.6:
	v_mbcnt_hi_u32_b32 v0, -1, v2
	v_accvgpr_write_b32 a29, v0
	v_and_b32_e32 v0, 64, v0
	v_add_u32_e32 v0, 64, v0
	s_mov_b32 s4, 0xff7fffff
                                        ; implicit-def: $vgpr1
                                        ; kill: killed $vgpr1
                                        ; implicit-def: $agpr28
                                        ; implicit-def: $agpr26
                                        ; implicit-def: $vgpr8
                                        ; implicit-def: $vgpr1
                                        ; implicit-def: $vgpr2
; %bb.7:
	s_or_saveexec_b64 s[6:7], s[2:3]
	s_load_dword s30, s[8:9], 0x14
	s_load_dword s13, s[8:9], 0x8
	v_mov_b32_e32 v5, s4
	v_mul_lo_u32 v6, v3, v23
	scratch_store_dword off, v5, s32 offset:160 ; 4-byte Folded Spill
	v_ashrrev_i32_e32 v5, 31, v4
	v_ashrrev_i32_e32 v7, 31, v6
	v_accvgpr_read_b32 v3, a7
	v_accvgpr_write_b32 a11, v5
	v_accvgpr_write_b32 a25, v7
	v_lshlrev_b32_e32 v3, 5, v3
	v_accvgpr_write_b32 a10, v4
	v_accvgpr_write_b32 a24, v6
	;; [unrolled: 1-line block ×3, first 2 shown]
	s_xor_b64 exec, exec, s[6:7]
	s_cbranch_execz .LBB309_525
; %bb.8:
	v_accvgpr_read_b32 v0, a2
	v_bfe_u32 v3, v0, 1, 5
	v_lshlrev_b32_e32 v0, 7, v1
	v_accvgpr_write_b32 a34, v0
	scratch_load_dword v0, off, s32 offset:164 ; 4-byte Folded Reload
	v_accvgpr_read_b32 v4, a24
	v_accvgpr_read_b32 v5, a25
	v_lshl_add_u64 v[4:5], v[8:9], 0, v[4:5]
	v_lshlrev_b32_e32 v8, 4, v3
	v_mov_b32_e32 v9, 0
	v_lshl_add_u64 v[4:5], v[4:5], 0, v[8:9]
	v_accvgpr_write_b32 a31, v5
	v_accvgpr_write_b32 a30, v4
	v_mov_b32_e32 v5, v9
	v_lshlrev_b32_e32 v4, 2, v1
	v_accvgpr_write_b32 a33, v5
	v_accvgpr_write_b32 a32, v4
	v_accvgpr_read_b32 v4, a10
	v_accvgpr_read_b32 v5, a11
	;; [unrolled: 1-line block ×3, first 2 shown]
	v_cmp_eq_u32_e32 vcc, 0, v1
	v_accvgpr_read_b32 v7, a23
	s_ashr_i32 s17, s16, 31
	s_lshl_b64 s[4:5], s[16:17], 2
	s_getpc_b64 s[8:9]
	s_add_u32 s8, s8, llvm.amdgcn.dynlds.offset.table@rel32@lo+4
	s_addc_u32 s9, s9, llvm.amdgcn.dynlds.offset.table@rel32@hi+12
	s_add_u32 s8, s4, s8
	s_addc_u32 s9, s5, s9
	s_mov_b64 s[22:23], 0
	s_movk_i32 s17, 0x7f
	s_movk_i32 s31, 0x80
	s_mov_b32 s34, 0x8000
	s_waitcnt vmcnt(0)
	v_cmp_neq_f32_e64 s[2:3], 0, v0
	v_lshlrev_b64 v[0:1], 2, v[4:5]
	v_lshl_add_u64 v[0:1], v[6:7], 2, v[0:1]
	v_accvgpr_read_b32 v6, a12
	v_accvgpr_read_b32 v7, a13
	v_lshl_add_u64 v[0:1], v[6:7], 0, v[0:1]
	v_accvgpr_write_b32 a37, v1
	v_accvgpr_write_b32 a36, v0
	v_accvgpr_read_b32 v0, a8
	v_sub_u32_e32 v0, 1, v0
	v_accvgpr_write_b32 a35, v0
	v_accvgpr_read_b32 v0, a21
	v_add3_u32 v0, s21, v0, v3
	v_accvgpr_write_b32 a38, v0
	v_lshlrev_b32_e32 v0, 2, v3
	v_accvgpr_read_b32 v1, a7
	v_lshl_or_b32 v0, v1, 7, v0
	v_accvgpr_write_b32 a39, v0
	v_mov_b32_e32 v0, 0xff7fffff
	scratch_store_dword off, v0, s32 offset:160 ; 4-byte Folded Spill
	v_mbcnt_hi_u32_b32 v0, -1, v2
	v_accvgpr_write_b32 a29, v0
	v_mov_b32_e32 v6, v4
	s_branch .LBB309_10
.LBB309_9:                              ;   in Loop: Header=BB309_10 Depth=1
	s_or_b64 exec, exec, s[24:25]
	v_accvgpr_read_b32 v1, a38
	s_waitcnt lgkmcnt(0)
	v_accvgpr_read_b32 v2, a36
	v_add_u32_e32 v1, 64, v1
	v_add_u32_e32 v6, 2, v6
	v_accvgpr_read_b32 v3, a37
	v_accvgpr_write_b32 a38, v1
	v_accvgpr_read_b32 v1, a3
	v_lshl_add_u64 v[2:3], v[2:3], 0, 8
	v_cmp_ge_i32_e64 s[4:5], v6, v1
	v_accvgpr_read_b32 v1, a39
	v_accvgpr_write_b32 a37, v3
	v_add_u32_e32 v1, 0x100, v1
	v_accvgpr_write_b32 a36, v2
	s_or_b64 s[22:23], s[4:5], s[22:23]
	v_accvgpr_write_b32 a39, v1
	s_andn2_b64 exec, exec, s[22:23]
	s_cbranch_execz .LBB309_524
.LBB309_10:                             ; =>This Inner Loop Header: Depth=1
	v_accvgpr_read_b32 v0, a36
	v_accvgpr_read_b32 v1, a37
	flat_load_dword v0, v[0:1]
	v_accvgpr_read_b32 v4, a30
	v_accvgpr_read_b32 v2, a6
	;; [unrolled: 1-line block ×3, first 2 shown]
	v_accvgpr_write_b32 a40, v6
                                        ; implicit-def: $sgpr28
	s_waitcnt vmcnt(0) lgkmcnt(0)
	v_mad_i64_i32 v[0:1], s[4:5], v0, v2, v[4:5]
	v_accvgpr_read_b32 v2, a32
	v_accvgpr_read_b32 v3, a33
	v_lshl_add_u64 v[36:37], v[0:1], 0, v[2:3]
	v_accvgpr_read_b32 v0, a26
	flat_load_dword v12, v[36:37]
	v_accvgpr_read_b32 v1, a27
	flat_load_dword v41, v[0:1]
	s_mov_b64 s[4:5], 0
	s_waitcnt vmcnt(0) lgkmcnt(0)
	v_cmp_gt_i16_sdwa s[24:25], v12, s17 src0_sel:BYTE_0 src1_sel:DWORD
	s_and_saveexec_b64 s[26:27], s[24:25]
	s_xor_b64 s[24:25], exec, s[26:27]
	s_cbranch_execnz .LBB309_292
; %bb.11:                               ;   in Loop: Header=BB309_10 Depth=1
	s_or_saveexec_b64 s[24:25], s[24:25]
	v_mov_b32_e32 v0, s28
	s_xor_b64 exec, exec, s[24:25]
	s_cbranch_execnz .LBB309_295
.LBB309_12:                             ;   in Loop: Header=BB309_10 Depth=1
	s_or_b64 exec, exec, s[24:25]
	s_and_saveexec_b64 s[24:25], s[4:5]
	s_cbranch_execz .LBB309_14
.LBB309_13:                             ;   in Loop: Header=BB309_10 Depth=1
	v_and_b32_e32 v2, 7, v12
	v_ffbh_u32_e32 v0, v2
	v_min_u32_e32 v4, 32, v0
	v_subrev_u32_e32 v0, 28, v4
	v_bfe_u32 v3, v12, 3, 4
	v_lshlrev_b64 v[0:1], v0, v[12:13]
	v_sub_u32_e32 v1, 29, v4
	v_cmp_eq_u32_e64 s[4:5], 0, v3
	v_and_b32_e32 v0, 7, v0
	s_nop 0
	v_cndmask_b32_e64 v1, v3, v1, s[4:5]
	v_mov_b32_e32 v3, 0x1c00
	v_cndmask_b32_e64 v0, v2, v0, s[4:5]
	v_lshlrev_b32_e32 v2, 8, v12
	v_lshl_add_u32 v1, v1, 10, v3
	v_and_or_b32 v1, v2, s34, v1
	v_lshl_or_b32 v0, v0, 7, v1
	v_cvt_f32_f16_e32 v0, v0
.LBB309_14:                             ;   in Loop: Header=BB309_10 Depth=1
	s_or_b64 exec, exec, s[24:25]
	v_lshrrev_b16_e32 v8, 8, v12
	v_accvgpr_write_b32 a46, v0
	v_cmp_lt_i16_e64 s[4:5], s17, v8
	s_mov_b64 s[24:25], 0
                                        ; implicit-def: $sgpr35
	s_and_saveexec_b64 s[26:27], s[4:5]
	s_xor_b64 s[26:27], exec, s[26:27]
	s_cbranch_execz .LBB309_18
; %bb.15:                               ;   in Loop: Header=BB309_10 Depth=1
	v_cmp_eq_u16_e64 s[4:5], s31, v8
	s_mov_b64 s[24:25], -1
                                        ; implicit-def: $sgpr35
	s_and_saveexec_b64 s[28:29], s[4:5]
; %bb.16:                               ;   in Loop: Header=BB309_10 Depth=1
	s_mov_b32 s35, 0x7fc02000
	s_xor_b64 s[24:25], exec, -1
; %bb.17:                               ;   in Loop: Header=BB309_10 Depth=1
	s_or_b64 exec, exec, s[28:29]
	s_and_b64 s[24:25], s[24:25], exec
.LBB309_18:                             ;   in Loop: Header=BB309_10 Depth=1
	s_or_saveexec_b64 s[26:27], s[26:27]
	v_mov_b32_e32 v0, s35
	scratch_store_dword off, v0, s32 offset:140 ; 4-byte Folded Spill
	s_xor_b64 exec, exec, s[26:27]
	s_cbranch_execz .LBB309_20
; %bb.19:                               ;   in Loop: Header=BB309_10 Depth=1
	v_cmp_ne_u16_e64 s[4:5], 0, v8
	s_andn2_b64 s[24:25], s[24:25], exec
	s_and_b64 s[4:5], s[4:5], exec
	v_mov_b32_e32 v0, 0
	s_or_b64 s[24:25], s[24:25], s[4:5]
	scratch_store_dword off, v0, s32 offset:140 ; 4-byte Folded Spill
.LBB309_20:                             ;   in Loop: Header=BB309_10 Depth=1
	s_or_b64 exec, exec, s[26:27]
	s_and_saveexec_b64 s[26:27], s[24:25]
	s_cbranch_execz .LBB309_22
; %bb.21:                               ;   in Loop: Header=BB309_10 Depth=1
	v_and_b32_e32 v2, 7, v8
	v_ffbh_u32_e32 v0, v2
	v_min_u32_e32 v4, 32, v0
	v_subrev_u32_e32 v0, 28, v4
	v_bfe_u32 v3, v8, 3, 4
	v_lshlrev_b64 v[0:1], v0, v[8:9]
	v_sub_u32_e32 v1, 29, v4
	v_cmp_eq_u32_e64 s[4:5], 0, v3
	v_and_b32_e32 v0, 7, v0
	s_nop 0
	v_cndmask_b32_e64 v1, v3, v1, s[4:5]
	v_mov_b32_e32 v3, 0x1c00
	v_cndmask_b32_e64 v0, v2, v0, s[4:5]
	v_lshlrev_b32_e32 v2, 8, v8
	v_lshl_add_u32 v1, v1, 10, v3
	v_and_or_b32 v1, v2, s34, v1
	v_lshl_or_b32 v0, v0, 7, v1
	v_cvt_f32_f16_e32 v0, v0
	scratch_store_dword off, v0, s32 offset:140 ; 4-byte Folded Spill
.LBB309_22:                             ;   in Loop: Header=BB309_10 Depth=1
	s_or_b64 exec, exec, s[26:27]
	v_lshrrev_b32_e32 v8, 16, v12
	v_cmp_gt_i16_sdwa s[24:25], v8, s17 src0_sel:BYTE_0 src1_sel:DWORD
	s_mov_b64 s[4:5], 0
                                        ; implicit-def: $sgpr28
	s_and_saveexec_b64 s[26:27], s[24:25]
	s_xor_b64 s[24:25], exec, s[26:27]
	s_cbranch_execnz .LBB309_296
; %bb.23:                               ;   in Loop: Header=BB309_10 Depth=1
	s_or_saveexec_b64 s[24:25], s[24:25]
	v_mov_b32_e32 v29, s28
	s_xor_b64 exec, exec, s[24:25]
	s_cbranch_execnz .LBB309_299
.LBB309_24:                             ;   in Loop: Header=BB309_10 Depth=1
	s_or_b64 exec, exec, s[24:25]
	s_and_saveexec_b64 s[24:25], s[4:5]
	s_cbranch_execz .LBB309_26
.LBB309_25:                             ;   in Loop: Header=BB309_10 Depth=1
	v_bfe_u32 v2, v12, 16, 3
	v_ffbh_u32_e32 v0, v2
	v_min_u32_e32 v4, 32, v0
	v_subrev_u32_e32 v0, 28, v4
	v_bfe_u32 v3, v12, 19, 4
	v_lshlrev_b64 v[0:1], v0, v[8:9]
	v_sub_u32_e32 v1, 29, v4
	v_cmp_eq_u32_e64 s[4:5], 0, v3
	v_and_b32_e32 v0, 7, v0
	s_nop 0
	v_cndmask_b32_e64 v1, v3, v1, s[4:5]
	v_mov_b32_e32 v3, 0x1c00
	v_cndmask_b32_e64 v0, v2, v0, s[4:5]
	v_lshlrev_b32_e32 v2, 8, v8
	v_lshl_add_u32 v1, v1, 10, v3
	v_and_or_b32 v1, v2, s34, v1
	v_lshl_or_b32 v0, v0, 7, v1
	v_cvt_f32_f16_e32 v29, v0
.LBB309_26:                             ;   in Loop: Header=BB309_10 Depth=1
	s_or_b64 exec, exec, s[24:25]
	v_lshrrev_b32_e32 v8, 24, v12
	v_cmp_lt_i16_e64 s[4:5], s17, v8
	s_mov_b64 s[24:25], 0
                                        ; implicit-def: $sgpr35
	s_and_saveexec_b64 s[26:27], s[4:5]
	s_xor_b64 s[26:27], exec, s[26:27]
	s_cbranch_execnz .LBB309_300
; %bb.27:                               ;   in Loop: Header=BB309_10 Depth=1
	s_or_saveexec_b64 s[26:27], s[26:27]
	v_mov_b32_e32 v28, s35
	s_xor_b64 exec, exec, s[26:27]
	s_cbranch_execnz .LBB309_303
.LBB309_28:                             ;   in Loop: Header=BB309_10 Depth=1
	s_or_b64 exec, exec, s[26:27]
	s_and_saveexec_b64 s[26:27], s[24:25]
	s_cbranch_execz .LBB309_30
.LBB309_29:                             ;   in Loop: Header=BB309_10 Depth=1
	v_bfe_u32 v2, v12, 24, 3
	v_ffbh_u32_e32 v0, v2
	v_min_u32_e32 v4, 32, v0
	v_subrev_u32_e32 v0, 28, v4
	v_bfe_u32 v3, v12, 27, 4
	v_lshlrev_b64 v[0:1], v0, v[8:9]
	v_sub_u32_e32 v1, 29, v4
	v_cmp_eq_u32_e64 s[4:5], 0, v3
	v_and_b32_e32 v0, 7, v0
	s_nop 0
	v_cndmask_b32_e64 v1, v3, v1, s[4:5]
	v_mov_b32_e32 v3, 0x1c00
	v_cndmask_b32_e64 v0, v2, v0, s[4:5]
	v_lshlrev_b32_e32 v2, 8, v8
	v_lshl_add_u32 v1, v1, 10, v3
	v_and_or_b32 v1, v2, s34, v1
	v_lshl_or_b32 v0, v0, 7, v1
	v_cvt_f32_f16_e32 v28, v0
.LBB309_30:                             ;   in Loop: Header=BB309_10 Depth=1
	s_or_b64 exec, exec, s[26:27]
	flat_load_dword v12, v[36:37] offset:8
	s_mov_b64 s[4:5], 0
                                        ; implicit-def: $sgpr28
	s_waitcnt vmcnt(0) lgkmcnt(0)
	v_cmp_gt_i16_sdwa s[24:25], v12, s17 src0_sel:BYTE_0 src1_sel:DWORD
	s_and_saveexec_b64 s[26:27], s[24:25]
	s_xor_b64 s[24:25], exec, s[26:27]
	s_cbranch_execnz .LBB309_304
; %bb.31:                               ;   in Loop: Header=BB309_10 Depth=1
	s_or_saveexec_b64 s[24:25], s[24:25]
	v_mov_b32_e32 v0, s28
	s_xor_b64 exec, exec, s[24:25]
	s_cbranch_execnz .LBB309_307
.LBB309_32:                             ;   in Loop: Header=BB309_10 Depth=1
	s_or_b64 exec, exec, s[24:25]
	s_and_saveexec_b64 s[24:25], s[4:5]
	s_cbranch_execz .LBB309_34
.LBB309_33:                             ;   in Loop: Header=BB309_10 Depth=1
	v_and_b32_e32 v2, 7, v12
	v_ffbh_u32_e32 v0, v2
	v_min_u32_e32 v4, 32, v0
	v_subrev_u32_e32 v0, 28, v4
	v_bfe_u32 v3, v12, 3, 4
	v_lshlrev_b64 v[0:1], v0, v[12:13]
	v_sub_u32_e32 v1, 29, v4
	v_cmp_eq_u32_e64 s[4:5], 0, v3
	v_and_b32_e32 v0, 7, v0
	s_nop 0
	v_cndmask_b32_e64 v1, v3, v1, s[4:5]
	v_mov_b32_e32 v3, 0x1c00
	v_cndmask_b32_e64 v0, v2, v0, s[4:5]
	v_lshlrev_b32_e32 v2, 8, v12
	v_lshl_add_u32 v1, v1, 10, v3
	v_and_or_b32 v1, v2, s34, v1
	v_lshl_or_b32 v0, v0, 7, v1
	v_cvt_f32_f16_e32 v0, v0
.LBB309_34:                             ;   in Loop: Header=BB309_10 Depth=1
	s_or_b64 exec, exec, s[24:25]
	v_lshrrev_b16_e32 v8, 8, v12
	v_accvgpr_write_b32 a48, v0
	v_cmp_lt_i16_e64 s[4:5], s17, v8
	s_mov_b64 s[24:25], 0
                                        ; implicit-def: $sgpr35
	s_and_saveexec_b64 s[26:27], s[4:5]
	s_xor_b64 s[26:27], exec, s[26:27]
	s_cbranch_execz .LBB309_38
; %bb.35:                               ;   in Loop: Header=BB309_10 Depth=1
	v_cmp_eq_u16_e64 s[4:5], s31, v8
	s_mov_b64 s[24:25], -1
                                        ; implicit-def: $sgpr35
	s_and_saveexec_b64 s[28:29], s[4:5]
; %bb.36:                               ;   in Loop: Header=BB309_10 Depth=1
	s_mov_b32 s35, 0x7fc02000
	s_xor_b64 s[24:25], exec, -1
; %bb.37:                               ;   in Loop: Header=BB309_10 Depth=1
	s_or_b64 exec, exec, s[28:29]
	s_and_b64 s[24:25], s[24:25], exec
.LBB309_38:                             ;   in Loop: Header=BB309_10 Depth=1
	s_or_saveexec_b64 s[26:27], s[26:27]
	v_mov_b32_e32 v0, s35
	scratch_store_dword off, v0, s32 offset:148 ; 4-byte Folded Spill
	s_xor_b64 exec, exec, s[26:27]
	s_cbranch_execz .LBB309_40
; %bb.39:                               ;   in Loop: Header=BB309_10 Depth=1
	v_cmp_ne_u16_e64 s[4:5], 0, v8
	s_andn2_b64 s[24:25], s[24:25], exec
	s_and_b64 s[4:5], s[4:5], exec
	v_mov_b32_e32 v0, 0
	s_or_b64 s[24:25], s[24:25], s[4:5]
	scratch_store_dword off, v0, s32 offset:148 ; 4-byte Folded Spill
.LBB309_40:                             ;   in Loop: Header=BB309_10 Depth=1
	s_or_b64 exec, exec, s[26:27]
	s_and_saveexec_b64 s[26:27], s[24:25]
	s_cbranch_execz .LBB309_42
; %bb.41:                               ;   in Loop: Header=BB309_10 Depth=1
	v_and_b32_e32 v2, 7, v8
	v_ffbh_u32_e32 v0, v2
	v_min_u32_e32 v4, 32, v0
	v_subrev_u32_e32 v0, 28, v4
	v_bfe_u32 v3, v8, 3, 4
	v_lshlrev_b64 v[0:1], v0, v[8:9]
	v_sub_u32_e32 v1, 29, v4
	v_cmp_eq_u32_e64 s[4:5], 0, v3
	v_and_b32_e32 v0, 7, v0
	s_nop 0
	v_cndmask_b32_e64 v1, v3, v1, s[4:5]
	v_mov_b32_e32 v3, 0x1c00
	v_cndmask_b32_e64 v0, v2, v0, s[4:5]
	v_lshlrev_b32_e32 v2, 8, v8
	v_lshl_add_u32 v1, v1, 10, v3
	v_and_or_b32 v1, v2, s34, v1
	v_lshl_or_b32 v0, v0, 7, v1
	v_cvt_f32_f16_e32 v0, v0
	scratch_store_dword off, v0, s32 offset:148 ; 4-byte Folded Spill
.LBB309_42:                             ;   in Loop: Header=BB309_10 Depth=1
	s_or_b64 exec, exec, s[26:27]
	v_lshrrev_b32_e32 v8, 16, v12
	v_cmp_gt_i16_sdwa s[24:25], v8, s17 src0_sel:BYTE_0 src1_sel:DWORD
	s_mov_b64 s[4:5], 0
                                        ; implicit-def: $sgpr28
	s_and_saveexec_b64 s[26:27], s[24:25]
	s_xor_b64 s[24:25], exec, s[26:27]
	s_cbranch_execz .LBB309_46
; %bb.43:                               ;   in Loop: Header=BB309_10 Depth=1
	v_cmp_eq_u16_sdwa s[36:37], v8, s31 src0_sel:BYTE_0 src1_sel:DWORD
	s_mov_b64 s[4:5], -1
                                        ; implicit-def: $sgpr28
	s_and_saveexec_b64 s[26:27], s[36:37]
; %bb.44:                               ;   in Loop: Header=BB309_10 Depth=1
	s_mov_b32 s28, 0x7fc02000
	s_xor_b64 s[4:5], exec, -1
; %bb.45:                               ;   in Loop: Header=BB309_10 Depth=1
	s_or_b64 exec, exec, s[26:27]
	s_and_b64 s[4:5], s[4:5], exec
.LBB309_46:                             ;   in Loop: Header=BB309_10 Depth=1
	s_or_saveexec_b64 s[24:25], s[24:25]
	v_mov_b32_e32 v0, s28
	scratch_store_dword off, v0, s32 offset:152 ; 4-byte Folded Spill
	s_xor_b64 exec, exec, s[24:25]
	s_cbranch_execz .LBB309_48
; %bb.47:                               ;   in Loop: Header=BB309_10 Depth=1
	v_cmp_ne_u16_sdwa s[26:27], v8, v9 src0_sel:BYTE_0 src1_sel:DWORD
	s_andn2_b64 s[4:5], s[4:5], exec
	s_and_b64 s[26:27], s[26:27], exec
	v_mov_b32_e32 v0, 0
	s_or_b64 s[4:5], s[4:5], s[26:27]
	scratch_store_dword off, v0, s32 offset:152 ; 4-byte Folded Spill
.LBB309_48:                             ;   in Loop: Header=BB309_10 Depth=1
	s_or_b64 exec, exec, s[24:25]
	s_and_saveexec_b64 s[24:25], s[4:5]
	s_cbranch_execz .LBB309_50
; %bb.49:                               ;   in Loop: Header=BB309_10 Depth=1
	v_bfe_u32 v2, v12, 16, 3
	v_ffbh_u32_e32 v0, v2
	v_min_u32_e32 v4, 32, v0
	v_subrev_u32_e32 v0, 28, v4
	v_bfe_u32 v3, v12, 19, 4
	v_lshlrev_b64 v[0:1], v0, v[8:9]
	v_sub_u32_e32 v1, 29, v4
	v_cmp_eq_u32_e64 s[4:5], 0, v3
	v_and_b32_e32 v0, 7, v0
	s_nop 0
	v_cndmask_b32_e64 v1, v3, v1, s[4:5]
	v_mov_b32_e32 v3, 0x1c00
	v_cndmask_b32_e64 v0, v2, v0, s[4:5]
	v_lshlrev_b32_e32 v2, 8, v8
	v_lshl_add_u32 v1, v1, 10, v3
	v_and_or_b32 v1, v2, s34, v1
	v_lshl_or_b32 v0, v0, 7, v1
	v_cvt_f32_f16_e32 v0, v0
	scratch_store_dword off, v0, s32 offset:152 ; 4-byte Folded Spill
.LBB309_50:                             ;   in Loop: Header=BB309_10 Depth=1
	s_or_b64 exec, exec, s[24:25]
	v_lshrrev_b32_e32 v8, 24, v12
	v_cmp_lt_i16_e64 s[4:5], s17, v8
	s_mov_b64 s[24:25], 0
                                        ; implicit-def: $sgpr35
	s_and_saveexec_b64 s[26:27], s[4:5]
	s_xor_b64 s[26:27], exec, s[26:27]
	s_cbranch_execnz .LBB309_308
; %bb.51:                               ;   in Loop: Header=BB309_10 Depth=1
	s_or_saveexec_b64 s[26:27], s[26:27]
	v_mov_b32_e32 v34, s35
	s_xor_b64 exec, exec, s[26:27]
	s_cbranch_execnz .LBB309_311
.LBB309_52:                             ;   in Loop: Header=BB309_10 Depth=1
	s_or_b64 exec, exec, s[26:27]
	s_and_saveexec_b64 s[26:27], s[24:25]
	s_cbranch_execz .LBB309_54
.LBB309_53:                             ;   in Loop: Header=BB309_10 Depth=1
	v_bfe_u32 v2, v12, 24, 3
	v_ffbh_u32_e32 v0, v2
	v_min_u32_e32 v4, 32, v0
	v_subrev_u32_e32 v0, 28, v4
	v_bfe_u32 v3, v12, 27, 4
	v_lshlrev_b64 v[0:1], v0, v[8:9]
	v_sub_u32_e32 v1, 29, v4
	v_cmp_eq_u32_e64 s[4:5], 0, v3
	v_and_b32_e32 v0, 7, v0
	s_nop 0
	v_cndmask_b32_e64 v1, v3, v1, s[4:5]
	v_mov_b32_e32 v3, 0x1c00
	v_cndmask_b32_e64 v0, v2, v0, s[4:5]
	v_lshlrev_b32_e32 v2, 8, v8
	v_lshl_add_u32 v1, v1, 10, v3
	v_and_or_b32 v1, v2, s34, v1
	v_lshl_or_b32 v0, v0, 7, v1
	v_cvt_f32_f16_e32 v34, v0
.LBB309_54:                             ;   in Loop: Header=BB309_10 Depth=1
	s_or_b64 exec, exec, s[26:27]
	flat_load_dword v12, v[36:37] offset:512
	s_mov_b64 s[4:5], 0
                                        ; implicit-def: $sgpr28
	s_waitcnt vmcnt(0) lgkmcnt(0)
	v_cmp_gt_i16_sdwa s[24:25], v12, s17 src0_sel:BYTE_0 src1_sel:DWORD
	s_and_saveexec_b64 s[26:27], s[24:25]
	s_xor_b64 s[24:25], exec, s[26:27]
	s_cbranch_execnz .LBB309_312
; %bb.55:                               ;   in Loop: Header=BB309_10 Depth=1
	s_or_saveexec_b64 s[24:25], s[24:25]
	v_mov_b32_e32 v0, s28
	s_xor_b64 exec, exec, s[24:25]
	s_cbranch_execnz .LBB309_315
.LBB309_56:                             ;   in Loop: Header=BB309_10 Depth=1
	s_or_b64 exec, exec, s[24:25]
	s_and_saveexec_b64 s[24:25], s[4:5]
	s_cbranch_execz .LBB309_58
.LBB309_57:                             ;   in Loop: Header=BB309_10 Depth=1
	v_and_b32_e32 v2, 7, v12
	v_ffbh_u32_e32 v0, v2
	v_min_u32_e32 v4, 32, v0
	v_subrev_u32_e32 v0, 28, v4
	v_bfe_u32 v3, v12, 3, 4
	v_lshlrev_b64 v[0:1], v0, v[12:13]
	v_sub_u32_e32 v1, 29, v4
	v_cmp_eq_u32_e64 s[4:5], 0, v3
	v_and_b32_e32 v0, 7, v0
	s_nop 0
	v_cndmask_b32_e64 v1, v3, v1, s[4:5]
	v_mov_b32_e32 v3, 0x1c00
	v_cndmask_b32_e64 v0, v2, v0, s[4:5]
	v_lshlrev_b32_e32 v2, 8, v12
	v_lshl_add_u32 v1, v1, 10, v3
	v_and_or_b32 v1, v2, s34, v1
	v_lshl_or_b32 v0, v0, 7, v1
	v_cvt_f32_f16_e32 v0, v0
.LBB309_58:                             ;   in Loop: Header=BB309_10 Depth=1
	s_or_b64 exec, exec, s[24:25]
	v_lshrrev_b16_e32 v8, 8, v12
	v_accvgpr_write_b32 a49, v0
	v_cmp_lt_i16_e64 s[4:5], s17, v8
	s_mov_b64 s[24:25], 0
                                        ; implicit-def: $sgpr35
	s_and_saveexec_b64 s[26:27], s[4:5]
	s_xor_b64 s[26:27], exec, s[26:27]
	s_cbranch_execnz .LBB309_316
; %bb.59:                               ;   in Loop: Header=BB309_10 Depth=1
	s_or_saveexec_b64 s[26:27], s[26:27]
	v_mov_b32_e32 v38, s35
	s_xor_b64 exec, exec, s[26:27]
	s_cbranch_execnz .LBB309_319
.LBB309_60:                             ;   in Loop: Header=BB309_10 Depth=1
	s_or_b64 exec, exec, s[26:27]
	s_and_saveexec_b64 s[26:27], s[24:25]
	s_cbranch_execz .LBB309_62
.LBB309_61:                             ;   in Loop: Header=BB309_10 Depth=1
	v_and_b32_e32 v2, 7, v8
	v_ffbh_u32_e32 v0, v2
	v_min_u32_e32 v4, 32, v0
	v_subrev_u32_e32 v0, 28, v4
	v_bfe_u32 v3, v8, 3, 4
	v_lshlrev_b64 v[0:1], v0, v[8:9]
	v_sub_u32_e32 v1, 29, v4
	v_cmp_eq_u32_e64 s[4:5], 0, v3
	v_and_b32_e32 v0, 7, v0
	s_nop 0
	v_cndmask_b32_e64 v1, v3, v1, s[4:5]
	v_mov_b32_e32 v3, 0x1c00
	v_cndmask_b32_e64 v0, v2, v0, s[4:5]
	v_lshlrev_b32_e32 v2, 8, v8
	v_lshl_add_u32 v1, v1, 10, v3
	v_and_or_b32 v1, v2, s34, v1
	v_lshl_or_b32 v0, v0, 7, v1
	v_cvt_f32_f16_e32 v38, v0
.LBB309_62:                             ;   in Loop: Header=BB309_10 Depth=1
	s_or_b64 exec, exec, s[26:27]
	v_lshrrev_b32_e32 v8, 16, v12
	v_cmp_gt_i16_sdwa s[24:25], v8, s17 src0_sel:BYTE_0 src1_sel:DWORD
	s_mov_b64 s[4:5], 0
                                        ; implicit-def: $sgpr28
	s_and_saveexec_b64 s[26:27], s[24:25]
	s_xor_b64 s[24:25], exec, s[26:27]
	s_cbranch_execnz .LBB309_320
; %bb.63:                               ;   in Loop: Header=BB309_10 Depth=1
	s_or_saveexec_b64 s[24:25], s[24:25]
	v_mov_b32_e32 v49, s28
	s_xor_b64 exec, exec, s[24:25]
	s_cbranch_execnz .LBB309_323
.LBB309_64:                             ;   in Loop: Header=BB309_10 Depth=1
	s_or_b64 exec, exec, s[24:25]
	s_and_saveexec_b64 s[24:25], s[4:5]
	s_cbranch_execz .LBB309_66
.LBB309_65:                             ;   in Loop: Header=BB309_10 Depth=1
	v_bfe_u32 v2, v12, 16, 3
	v_ffbh_u32_e32 v0, v2
	v_min_u32_e32 v4, 32, v0
	v_subrev_u32_e32 v0, 28, v4
	v_bfe_u32 v3, v12, 19, 4
	v_lshlrev_b64 v[0:1], v0, v[8:9]
	v_sub_u32_e32 v1, 29, v4
	v_cmp_eq_u32_e64 s[4:5], 0, v3
	v_and_b32_e32 v0, 7, v0
	s_nop 0
	v_cndmask_b32_e64 v1, v3, v1, s[4:5]
	v_mov_b32_e32 v3, 0x1c00
	v_cndmask_b32_e64 v0, v2, v0, s[4:5]
	v_lshlrev_b32_e32 v2, 8, v8
	v_lshl_add_u32 v1, v1, 10, v3
	v_and_or_b32 v1, v2, s34, v1
	v_lshl_or_b32 v0, v0, 7, v1
	v_cvt_f32_f16_e32 v49, v0
.LBB309_66:                             ;   in Loop: Header=BB309_10 Depth=1
	s_or_b64 exec, exec, s[24:25]
	v_lshrrev_b32_e32 v8, 24, v12
	v_cmp_lt_i16_e64 s[4:5], s17, v8
	s_mov_b64 s[24:25], 0
                                        ; implicit-def: $sgpr35
	s_and_saveexec_b64 s[26:27], s[4:5]
	s_xor_b64 s[26:27], exec, s[26:27]
	s_cbranch_execnz .LBB309_324
; %bb.67:                               ;   in Loop: Header=BB309_10 Depth=1
	s_or_saveexec_b64 s[26:27], s[26:27]
	v_mov_b32_e32 v52, s35
	s_xor_b64 exec, exec, s[26:27]
	s_cbranch_execnz .LBB309_327
.LBB309_68:                             ;   in Loop: Header=BB309_10 Depth=1
	s_or_b64 exec, exec, s[26:27]
	s_and_saveexec_b64 s[26:27], s[24:25]
	s_cbranch_execz .LBB309_70
.LBB309_69:                             ;   in Loop: Header=BB309_10 Depth=1
	v_bfe_u32 v2, v12, 24, 3
	v_ffbh_u32_e32 v0, v2
	v_min_u32_e32 v4, 32, v0
	v_subrev_u32_e32 v0, 28, v4
	v_bfe_u32 v3, v12, 27, 4
	v_lshlrev_b64 v[0:1], v0, v[8:9]
	v_sub_u32_e32 v1, 29, v4
	v_cmp_eq_u32_e64 s[4:5], 0, v3
	v_and_b32_e32 v0, 7, v0
	s_nop 0
	v_cndmask_b32_e64 v1, v3, v1, s[4:5]
	v_mov_b32_e32 v3, 0x1c00
	v_cndmask_b32_e64 v0, v2, v0, s[4:5]
	v_lshlrev_b32_e32 v2, 8, v8
	v_lshl_add_u32 v1, v1, 10, v3
	v_and_or_b32 v1, v2, s34, v1
	v_lshl_or_b32 v0, v0, 7, v1
	v_cvt_f32_f16_e32 v52, v0
.LBB309_70:                             ;   in Loop: Header=BB309_10 Depth=1
	s_or_b64 exec, exec, s[26:27]
	flat_load_dword v12, v[36:37] offset:520
	s_mov_b64 s[4:5], 0
                                        ; implicit-def: $sgpr28
	s_waitcnt vmcnt(0) lgkmcnt(0)
	v_cmp_gt_i16_sdwa s[24:25], v12, s17 src0_sel:BYTE_0 src1_sel:DWORD
	s_and_saveexec_b64 s[26:27], s[24:25]
	s_xor_b64 s[24:25], exec, s[26:27]
	s_cbranch_execnz .LBB309_328
; %bb.71:                               ;   in Loop: Header=BB309_10 Depth=1
	s_or_saveexec_b64 s[24:25], s[24:25]
	v_mov_b32_e32 v0, s28
	s_xor_b64 exec, exec, s[24:25]
	s_cbranch_execnz .LBB309_331
.LBB309_72:                             ;   in Loop: Header=BB309_10 Depth=1
	s_or_b64 exec, exec, s[24:25]
	s_and_saveexec_b64 s[24:25], s[4:5]
	s_cbranch_execz .LBB309_74
.LBB309_73:                             ;   in Loop: Header=BB309_10 Depth=1
	v_and_b32_e32 v2, 7, v12
	v_ffbh_u32_e32 v0, v2
	v_min_u32_e32 v4, 32, v0
	v_subrev_u32_e32 v0, 28, v4
	v_bfe_u32 v3, v12, 3, 4
	v_lshlrev_b64 v[0:1], v0, v[12:13]
	v_sub_u32_e32 v1, 29, v4
	v_cmp_eq_u32_e64 s[4:5], 0, v3
	v_and_b32_e32 v0, 7, v0
	s_nop 0
	v_cndmask_b32_e64 v1, v3, v1, s[4:5]
	v_mov_b32_e32 v3, 0x1c00
	v_cndmask_b32_e64 v0, v2, v0, s[4:5]
	v_lshlrev_b32_e32 v2, 8, v12
	v_lshl_add_u32 v1, v1, 10, v3
	v_and_or_b32 v1, v2, s34, v1
	v_lshl_or_b32 v0, v0, 7, v1
	v_cvt_f32_f16_e32 v0, v0
.LBB309_74:                             ;   in Loop: Header=BB309_10 Depth=1
	s_or_b64 exec, exec, s[24:25]
	v_lshrrev_b16_e32 v8, 8, v12
	v_accvgpr_write_b32 a44, v0
	v_cmp_lt_i16_e64 s[4:5], s17, v8
	s_mov_b64 s[24:25], 0
                                        ; implicit-def: $sgpr35
	s_and_saveexec_b64 s[26:27], s[4:5]
	s_xor_b64 s[26:27], exec, s[26:27]
	s_cbranch_execnz .LBB309_332
; %bb.75:                               ;   in Loop: Header=BB309_10 Depth=1
	s_or_saveexec_b64 s[26:27], s[26:27]
	v_mov_b32_e32 v62, s35
	s_xor_b64 exec, exec, s[26:27]
	s_cbranch_execnz .LBB309_335
.LBB309_76:                             ;   in Loop: Header=BB309_10 Depth=1
	s_or_b64 exec, exec, s[26:27]
	s_and_saveexec_b64 s[26:27], s[24:25]
	s_cbranch_execz .LBB309_78
.LBB309_77:                             ;   in Loop: Header=BB309_10 Depth=1
	v_and_b32_e32 v2, 7, v8
	v_ffbh_u32_e32 v0, v2
	v_min_u32_e32 v4, 32, v0
	v_subrev_u32_e32 v0, 28, v4
	v_bfe_u32 v3, v8, 3, 4
	v_lshlrev_b64 v[0:1], v0, v[8:9]
	v_sub_u32_e32 v1, 29, v4
	v_cmp_eq_u32_e64 s[4:5], 0, v3
	v_and_b32_e32 v0, 7, v0
	s_nop 0
	v_cndmask_b32_e64 v1, v3, v1, s[4:5]
	v_mov_b32_e32 v3, 0x1c00
	v_cndmask_b32_e64 v0, v2, v0, s[4:5]
	v_lshlrev_b32_e32 v2, 8, v8
	v_lshl_add_u32 v1, v1, 10, v3
	v_and_or_b32 v1, v2, s34, v1
	v_lshl_or_b32 v0, v0, 7, v1
	v_cvt_f32_f16_e32 v62, v0
.LBB309_78:                             ;   in Loop: Header=BB309_10 Depth=1
	s_or_b64 exec, exec, s[26:27]
	v_lshrrev_b32_e32 v8, 16, v12
	v_cmp_gt_i16_sdwa s[24:25], v8, s17 src0_sel:BYTE_0 src1_sel:DWORD
	s_mov_b64 s[4:5], 0
                                        ; implicit-def: $sgpr28
	s_and_saveexec_b64 s[26:27], s[24:25]
	s_xor_b64 s[24:25], exec, s[26:27]
	s_cbranch_execz .LBB309_82
; %bb.79:                               ;   in Loop: Header=BB309_10 Depth=1
	v_cmp_eq_u16_sdwa s[36:37], v8, s31 src0_sel:BYTE_0 src1_sel:DWORD
	s_mov_b64 s[4:5], -1
                                        ; implicit-def: $sgpr28
	s_and_saveexec_b64 s[26:27], s[36:37]
; %bb.80:                               ;   in Loop: Header=BB309_10 Depth=1
	s_mov_b32 s28, 0x7fc02000
	s_xor_b64 s[4:5], exec, -1
; %bb.81:                               ;   in Loop: Header=BB309_10 Depth=1
	s_or_b64 exec, exec, s[26:27]
	s_and_b64 s[4:5], s[4:5], exec
.LBB309_82:                             ;   in Loop: Header=BB309_10 Depth=1
	s_or_saveexec_b64 s[24:25], s[24:25]
	v_mov_b32_e32 v0, s28
	scratch_store_dword off, v0, s32 offset:144 ; 4-byte Folded Spill
	s_xor_b64 exec, exec, s[24:25]
	s_cbranch_execz .LBB309_84
; %bb.83:                               ;   in Loop: Header=BB309_10 Depth=1
	v_cmp_ne_u16_sdwa s[26:27], v8, v9 src0_sel:BYTE_0 src1_sel:DWORD
	s_andn2_b64 s[4:5], s[4:5], exec
	s_and_b64 s[26:27], s[26:27], exec
	v_mov_b32_e32 v0, 0
	s_or_b64 s[4:5], s[4:5], s[26:27]
	scratch_store_dword off, v0, s32 offset:144 ; 4-byte Folded Spill
.LBB309_84:                             ;   in Loop: Header=BB309_10 Depth=1
	s_or_b64 exec, exec, s[24:25]
	s_and_saveexec_b64 s[24:25], s[4:5]
	s_cbranch_execz .LBB309_86
; %bb.85:                               ;   in Loop: Header=BB309_10 Depth=1
	v_bfe_u32 v2, v12, 16, 3
	v_ffbh_u32_e32 v0, v2
	v_min_u32_e32 v4, 32, v0
	v_subrev_u32_e32 v0, 28, v4
	v_bfe_u32 v3, v12, 19, 4
	v_lshlrev_b64 v[0:1], v0, v[8:9]
	v_sub_u32_e32 v1, 29, v4
	v_cmp_eq_u32_e64 s[4:5], 0, v3
	v_and_b32_e32 v0, 7, v0
	s_nop 0
	v_cndmask_b32_e64 v1, v3, v1, s[4:5]
	v_mov_b32_e32 v3, 0x1c00
	v_cndmask_b32_e64 v0, v2, v0, s[4:5]
	v_lshlrev_b32_e32 v2, 8, v8
	v_lshl_add_u32 v1, v1, 10, v3
	v_and_or_b32 v1, v2, s34, v1
	v_lshl_or_b32 v0, v0, 7, v1
	v_cvt_f32_f16_e32 v0, v0
	scratch_store_dword off, v0, s32 offset:144 ; 4-byte Folded Spill
.LBB309_86:                             ;   in Loop: Header=BB309_10 Depth=1
	s_or_b64 exec, exec, s[24:25]
	v_lshrrev_b32_e32 v8, 24, v12
	v_cmp_lt_i16_e64 s[4:5], s17, v8
	s_mov_b64 s[24:25], 0
                                        ; implicit-def: $sgpr35
	s_and_saveexec_b64 s[26:27], s[4:5]
	s_xor_b64 s[26:27], exec, s[26:27]
	s_cbranch_execz .LBB309_90
; %bb.87:                               ;   in Loop: Header=BB309_10 Depth=1
	v_cmp_eq_u16_e64 s[4:5], s31, v8
	s_mov_b64 s[24:25], -1
                                        ; implicit-def: $sgpr35
	s_and_saveexec_b64 s[28:29], s[4:5]
; %bb.88:                               ;   in Loop: Header=BB309_10 Depth=1
	s_mov_b32 s35, 0x7fc02000
	s_xor_b64 s[24:25], exec, -1
; %bb.89:                               ;   in Loop: Header=BB309_10 Depth=1
	s_or_b64 exec, exec, s[28:29]
	s_and_b64 s[24:25], s[24:25], exec
.LBB309_90:                             ;   in Loop: Header=BB309_10 Depth=1
	s_or_saveexec_b64 s[26:27], s[26:27]
	v_mov_b32_e32 v0, s35
	scratch_store_dword off, v0, s32 offset:156 ; 4-byte Folded Spill
	s_xor_b64 exec, exec, s[26:27]
	s_cbranch_execz .LBB309_92
; %bb.91:                               ;   in Loop: Header=BB309_10 Depth=1
	v_cmp_ne_u16_e64 s[4:5], 0, v8
	s_andn2_b64 s[24:25], s[24:25], exec
	s_and_b64 s[4:5], s[4:5], exec
	v_mov_b32_e32 v0, 0
	s_or_b64 s[24:25], s[24:25], s[4:5]
	scratch_store_dword off, v0, s32 offset:156 ; 4-byte Folded Spill
.LBB309_92:                             ;   in Loop: Header=BB309_10 Depth=1
	s_or_b64 exec, exec, s[26:27]
	s_and_saveexec_b64 s[26:27], s[24:25]
	s_cbranch_execz .LBB309_94
; %bb.93:                               ;   in Loop: Header=BB309_10 Depth=1
	v_bfe_u32 v2, v12, 24, 3
	v_ffbh_u32_e32 v0, v2
	v_min_u32_e32 v4, 32, v0
	v_subrev_u32_e32 v0, 28, v4
	v_bfe_u32 v3, v12, 27, 4
	v_lshlrev_b64 v[0:1], v0, v[8:9]
	v_sub_u32_e32 v1, 29, v4
	v_cmp_eq_u32_e64 s[4:5], 0, v3
	v_and_b32_e32 v0, 7, v0
	s_nop 0
	v_cndmask_b32_e64 v1, v3, v1, s[4:5]
	v_mov_b32_e32 v3, 0x1c00
	v_cndmask_b32_e64 v0, v2, v0, s[4:5]
	v_lshlrev_b32_e32 v2, 8, v8
	v_lshl_add_u32 v1, v1, 10, v3
	v_and_or_b32 v1, v2, s34, v1
	v_lshl_or_b32 v0, v0, 7, v1
	v_cvt_f32_f16_e32 v0, v0
	scratch_store_dword off, v0, s32 offset:156 ; 4-byte Folded Spill
.LBB309_94:                             ;   in Loop: Header=BB309_10 Depth=1
	s_or_b64 exec, exec, s[26:27]
	flat_load_dword v12, v[36:37] offset:1024
	s_mov_b64 s[4:5], 0
                                        ; implicit-def: $sgpr28
	s_waitcnt vmcnt(0) lgkmcnt(0)
	v_cmp_gt_i16_sdwa s[24:25], v12, s17 src0_sel:BYTE_0 src1_sel:DWORD
	s_and_saveexec_b64 s[26:27], s[24:25]
	s_xor_b64 s[24:25], exec, s[26:27]
	s_cbranch_execnz .LBB309_336
; %bb.95:                               ;   in Loop: Header=BB309_10 Depth=1
	s_or_saveexec_b64 s[24:25], s[24:25]
	v_mov_b32_e32 v0, s28
	s_xor_b64 exec, exec, s[24:25]
	s_cbranch_execnz .LBB309_339
.LBB309_96:                             ;   in Loop: Header=BB309_10 Depth=1
	s_or_b64 exec, exec, s[24:25]
	s_and_saveexec_b64 s[24:25], s[4:5]
	s_cbranch_execz .LBB309_98
.LBB309_97:                             ;   in Loop: Header=BB309_10 Depth=1
	v_and_b32_e32 v2, 7, v12
	v_ffbh_u32_e32 v0, v2
	v_min_u32_e32 v4, 32, v0
	v_subrev_u32_e32 v0, 28, v4
	v_bfe_u32 v3, v12, 3, 4
	v_lshlrev_b64 v[0:1], v0, v[12:13]
	v_sub_u32_e32 v1, 29, v4
	v_cmp_eq_u32_e64 s[4:5], 0, v3
	v_and_b32_e32 v0, 7, v0
	s_nop 0
	v_cndmask_b32_e64 v1, v3, v1, s[4:5]
	v_mov_b32_e32 v3, 0x1c00
	v_cndmask_b32_e64 v0, v2, v0, s[4:5]
	v_lshlrev_b32_e32 v2, 8, v12
	v_lshl_add_u32 v1, v1, 10, v3
	v_and_or_b32 v1, v2, s34, v1
	v_lshl_or_b32 v0, v0, 7, v1
	v_cvt_f32_f16_e32 v0, v0
.LBB309_98:                             ;   in Loop: Header=BB309_10 Depth=1
	s_or_b64 exec, exec, s[24:25]
	v_lshrrev_b16_e32 v8, 8, v12
	v_accvgpr_write_b32 a47, v0
	v_cmp_lt_i16_e64 s[4:5], s17, v8
	s_mov_b64 s[24:25], 0
                                        ; implicit-def: $sgpr35
	s_and_saveexec_b64 s[26:27], s[4:5]
	s_xor_b64 s[26:27], exec, s[26:27]
	s_cbranch_execnz .LBB309_340
; %bb.99:                               ;   in Loop: Header=BB309_10 Depth=1
	s_or_saveexec_b64 s[26:27], s[26:27]
	v_mov_b32_e32 v35, s35
	s_xor_b64 exec, exec, s[26:27]
	s_cbranch_execnz .LBB309_343
.LBB309_100:                            ;   in Loop: Header=BB309_10 Depth=1
	s_or_b64 exec, exec, s[26:27]
	s_and_saveexec_b64 s[26:27], s[24:25]
	s_cbranch_execz .LBB309_102
.LBB309_101:                            ;   in Loop: Header=BB309_10 Depth=1
	v_and_b32_e32 v2, 7, v8
	v_ffbh_u32_e32 v0, v2
	v_min_u32_e32 v4, 32, v0
	v_subrev_u32_e32 v0, 28, v4
	v_bfe_u32 v3, v8, 3, 4
	v_lshlrev_b64 v[0:1], v0, v[8:9]
	v_sub_u32_e32 v1, 29, v4
	v_cmp_eq_u32_e64 s[4:5], 0, v3
	v_and_b32_e32 v0, 7, v0
	s_nop 0
	v_cndmask_b32_e64 v1, v3, v1, s[4:5]
	v_mov_b32_e32 v3, 0x1c00
	v_cndmask_b32_e64 v0, v2, v0, s[4:5]
	v_lshlrev_b32_e32 v2, 8, v8
	v_lshl_add_u32 v1, v1, 10, v3
	v_and_or_b32 v1, v2, s34, v1
	v_lshl_or_b32 v0, v0, 7, v1
	v_cvt_f32_f16_e32 v35, v0
.LBB309_102:                            ;   in Loop: Header=BB309_10 Depth=1
	s_or_b64 exec, exec, s[26:27]
	v_lshrrev_b32_e32 v8, 16, v12
	v_cmp_gt_i16_sdwa s[24:25], v8, s17 src0_sel:BYTE_0 src1_sel:DWORD
	s_mov_b64 s[4:5], 0
                                        ; implicit-def: $sgpr28
	s_and_saveexec_b64 s[26:27], s[24:25]
	s_xor_b64 s[24:25], exec, s[26:27]
	s_cbranch_execnz .LBB309_344
; %bb.103:                              ;   in Loop: Header=BB309_10 Depth=1
	s_or_saveexec_b64 s[24:25], s[24:25]
	v_mov_b32_e32 v40, s28
	s_xor_b64 exec, exec, s[24:25]
	s_cbranch_execnz .LBB309_347
.LBB309_104:                            ;   in Loop: Header=BB309_10 Depth=1
	s_or_b64 exec, exec, s[24:25]
	s_and_saveexec_b64 s[24:25], s[4:5]
	s_cbranch_execz .LBB309_106
.LBB309_105:                            ;   in Loop: Header=BB309_10 Depth=1
	v_bfe_u32 v2, v12, 16, 3
	v_ffbh_u32_e32 v0, v2
	v_min_u32_e32 v4, 32, v0
	v_subrev_u32_e32 v0, 28, v4
	v_bfe_u32 v3, v12, 19, 4
	v_lshlrev_b64 v[0:1], v0, v[8:9]
	v_sub_u32_e32 v1, 29, v4
	v_cmp_eq_u32_e64 s[4:5], 0, v3
	v_and_b32_e32 v0, 7, v0
	s_nop 0
	v_cndmask_b32_e64 v1, v3, v1, s[4:5]
	v_mov_b32_e32 v3, 0x1c00
	v_cndmask_b32_e64 v0, v2, v0, s[4:5]
	v_lshlrev_b32_e32 v2, 8, v8
	v_lshl_add_u32 v1, v1, 10, v3
	v_and_or_b32 v1, v2, s34, v1
	v_lshl_or_b32 v0, v0, 7, v1
	v_cvt_f32_f16_e32 v40, v0
.LBB309_106:                            ;   in Loop: Header=BB309_10 Depth=1
	s_or_b64 exec, exec, s[24:25]
	v_lshrrev_b32_e32 v8, 24, v12
	v_cmp_lt_i16_e64 s[4:5], s17, v8
	s_mov_b64 s[24:25], 0
                                        ; implicit-def: $sgpr35
	s_and_saveexec_b64 s[26:27], s[4:5]
	s_xor_b64 s[26:27], exec, s[26:27]
	s_cbranch_execnz .LBB309_348
; %bb.107:                              ;   in Loop: Header=BB309_10 Depth=1
	s_or_saveexec_b64 s[26:27], s[26:27]
	v_mov_b32_e32 v23, s35
	s_xor_b64 exec, exec, s[26:27]
	s_cbranch_execnz .LBB309_351
.LBB309_108:                            ;   in Loop: Header=BB309_10 Depth=1
	s_or_b64 exec, exec, s[26:27]
	s_and_saveexec_b64 s[26:27], s[24:25]
	s_cbranch_execz .LBB309_110
.LBB309_109:                            ;   in Loop: Header=BB309_10 Depth=1
	v_bfe_u32 v2, v12, 24, 3
	v_ffbh_u32_e32 v0, v2
	v_min_u32_e32 v4, 32, v0
	v_subrev_u32_e32 v0, 28, v4
	v_bfe_u32 v3, v12, 27, 4
	v_lshlrev_b64 v[0:1], v0, v[8:9]
	v_sub_u32_e32 v1, 29, v4
	v_cmp_eq_u32_e64 s[4:5], 0, v3
	v_and_b32_e32 v0, 7, v0
	s_nop 0
	v_cndmask_b32_e64 v1, v3, v1, s[4:5]
	v_mov_b32_e32 v3, 0x1c00
	v_cndmask_b32_e64 v0, v2, v0, s[4:5]
	v_lshlrev_b32_e32 v2, 8, v8
	v_lshl_add_u32 v1, v1, 10, v3
	v_and_or_b32 v1, v2, s34, v1
	v_lshl_or_b32 v0, v0, 7, v1
	v_cvt_f32_f16_e32 v23, v0
.LBB309_110:                            ;   in Loop: Header=BB309_10 Depth=1
	s_or_b64 exec, exec, s[26:27]
	flat_load_dword v12, v[36:37] offset:1032
	s_mov_b64 s[4:5], 0
                                        ; implicit-def: $sgpr28
	s_waitcnt vmcnt(0) lgkmcnt(0)
	v_cmp_gt_i16_sdwa s[24:25], v12, s17 src0_sel:BYTE_0 src1_sel:DWORD
	s_and_saveexec_b64 s[26:27], s[24:25]
	s_xor_b64 s[24:25], exec, s[26:27]
	s_cbranch_execnz .LBB309_352
; %bb.111:                              ;   in Loop: Header=BB309_10 Depth=1
	s_or_saveexec_b64 s[24:25], s[24:25]
	v_mov_b32_e32 v0, s28
	s_xor_b64 exec, exec, s[24:25]
	s_cbranch_execnz .LBB309_355
.LBB309_112:                            ;   in Loop: Header=BB309_10 Depth=1
	s_or_b64 exec, exec, s[24:25]
	s_and_saveexec_b64 s[24:25], s[4:5]
	s_cbranch_execz .LBB309_114
.LBB309_113:                            ;   in Loop: Header=BB309_10 Depth=1
	v_and_b32_e32 v2, 7, v12
	v_ffbh_u32_e32 v0, v2
	v_min_u32_e32 v4, 32, v0
	v_subrev_u32_e32 v0, 28, v4
	v_bfe_u32 v3, v12, 3, 4
	v_lshlrev_b64 v[0:1], v0, v[12:13]
	v_sub_u32_e32 v1, 29, v4
	v_cmp_eq_u32_e64 s[4:5], 0, v3
	v_and_b32_e32 v0, 7, v0
	s_nop 0
	v_cndmask_b32_e64 v1, v3, v1, s[4:5]
	v_mov_b32_e32 v3, 0x1c00
	v_cndmask_b32_e64 v0, v2, v0, s[4:5]
	v_lshlrev_b32_e32 v2, 8, v12
	v_lshl_add_u32 v1, v1, 10, v3
	v_and_or_b32 v1, v2, s34, v1
	v_lshl_or_b32 v0, v0, 7, v1
	v_cvt_f32_f16_e32 v0, v0
.LBB309_114:                            ;   in Loop: Header=BB309_10 Depth=1
	s_or_b64 exec, exec, s[24:25]
	v_lshrrev_b16_e32 v8, 8, v12
	v_accvgpr_write_b32 a50, v0
	v_cmp_lt_i16_e64 s[4:5], s17, v8
	s_mov_b64 s[24:25], 0
                                        ; implicit-def: $sgpr35
	s_and_saveexec_b64 s[26:27], s[4:5]
	s_xor_b64 s[26:27], exec, s[26:27]
	s_cbranch_execnz .LBB309_356
; %bb.115:                              ;   in Loop: Header=BB309_10 Depth=1
	s_or_saveexec_b64 s[26:27], s[26:27]
	v_mov_b32_e32 v53, s35
	s_xor_b64 exec, exec, s[26:27]
	s_cbranch_execnz .LBB309_359
.LBB309_116:                            ;   in Loop: Header=BB309_10 Depth=1
	s_or_b64 exec, exec, s[26:27]
	s_and_saveexec_b64 s[26:27], s[24:25]
	s_cbranch_execz .LBB309_118
.LBB309_117:                            ;   in Loop: Header=BB309_10 Depth=1
	v_and_b32_e32 v2, 7, v8
	v_ffbh_u32_e32 v0, v2
	v_min_u32_e32 v5, 32, v0
	v_subrev_u32_e32 v0, 28, v5
	v_bfe_u32 v3, v8, 3, 4
	v_lshlrev_b64 v[0:1], v0, v[8:9]
	v_sub_u32_e32 v1, 29, v5
	v_cmp_eq_u32_e64 s[4:5], 0, v3
	v_and_b32_e32 v0, 7, v0
	s_nop 0
	v_cndmask_b32_e64 v1, v3, v1, s[4:5]
	v_mov_b32_e32 v3, 0x1c00
	v_cndmask_b32_e64 v0, v2, v0, s[4:5]
	v_lshlrev_b32_e32 v2, 8, v8
	v_lshl_add_u32 v1, v1, 10, v3
	v_and_or_b32 v1, v2, s34, v1
	v_lshl_or_b32 v0, v0, 7, v1
	v_cvt_f32_f16_e32 v53, v0
.LBB309_118:                            ;   in Loop: Header=BB309_10 Depth=1
	s_or_b64 exec, exec, s[26:27]
	v_lshrrev_b32_e32 v8, 16, v12
	v_cmp_gt_i16_sdwa s[24:25], v8, s17 src0_sel:BYTE_0 src1_sel:DWORD
	s_mov_b64 s[4:5], 0
                                        ; implicit-def: $sgpr28
	s_and_saveexec_b64 s[26:27], s[24:25]
	s_xor_b64 s[24:25], exec, s[26:27]
	s_cbranch_execnz .LBB309_360
; %bb.119:                              ;   in Loop: Header=BB309_10 Depth=1
	s_or_saveexec_b64 s[24:25], s[24:25]
	v_mov_b32_e32 v54, s28
	s_xor_b64 exec, exec, s[24:25]
	s_cbranch_execnz .LBB309_363
.LBB309_120:                            ;   in Loop: Header=BB309_10 Depth=1
	s_or_b64 exec, exec, s[24:25]
	s_and_saveexec_b64 s[24:25], s[4:5]
	s_cbranch_execz .LBB309_122
.LBB309_121:                            ;   in Loop: Header=BB309_10 Depth=1
	v_bfe_u32 v2, v12, 16, 3
	v_ffbh_u32_e32 v0, v2
	v_min_u32_e32 v5, 32, v0
	v_subrev_u32_e32 v0, 28, v5
	v_bfe_u32 v3, v12, 19, 4
	v_lshlrev_b64 v[0:1], v0, v[8:9]
	v_sub_u32_e32 v1, 29, v5
	v_cmp_eq_u32_e64 s[4:5], 0, v3
	v_and_b32_e32 v0, 7, v0
	s_nop 0
	v_cndmask_b32_e64 v1, v3, v1, s[4:5]
	v_mov_b32_e32 v3, 0x1c00
	v_cndmask_b32_e64 v0, v2, v0, s[4:5]
	v_lshlrev_b32_e32 v2, 8, v8
	v_lshl_add_u32 v1, v1, 10, v3
	v_and_or_b32 v1, v2, s34, v1
	v_lshl_or_b32 v0, v0, 7, v1
	v_cvt_f32_f16_e32 v54, v0
.LBB309_122:                            ;   in Loop: Header=BB309_10 Depth=1
	s_or_b64 exec, exec, s[24:25]
	v_lshrrev_b32_e32 v8, 24, v12
	v_cmp_lt_i16_e64 s[4:5], s17, v8
	s_mov_b64 s[24:25], 0
                                        ; implicit-def: $sgpr35
	s_and_saveexec_b64 s[26:27], s[4:5]
	s_xor_b64 s[26:27], exec, s[26:27]
	s_cbranch_execnz .LBB309_364
; %bb.123:                              ;   in Loop: Header=BB309_10 Depth=1
	s_or_saveexec_b64 s[26:27], s[26:27]
	v_mov_b32_e32 v55, s35
	s_xor_b64 exec, exec, s[26:27]
	s_cbranch_execnz .LBB309_367
.LBB309_124:                            ;   in Loop: Header=BB309_10 Depth=1
	s_or_b64 exec, exec, s[26:27]
	s_and_saveexec_b64 s[26:27], s[24:25]
	s_cbranch_execz .LBB309_126
.LBB309_125:                            ;   in Loop: Header=BB309_10 Depth=1
	v_bfe_u32 v2, v12, 24, 3
	v_ffbh_u32_e32 v0, v2
	v_min_u32_e32 v5, 32, v0
	v_subrev_u32_e32 v0, 28, v5
	v_bfe_u32 v3, v12, 27, 4
	v_lshlrev_b64 v[0:1], v0, v[8:9]
	v_sub_u32_e32 v1, 29, v5
	v_cmp_eq_u32_e64 s[4:5], 0, v3
	v_and_b32_e32 v0, 7, v0
	s_nop 0
	v_cndmask_b32_e64 v1, v3, v1, s[4:5]
	v_mov_b32_e32 v3, 0x1c00
	v_cndmask_b32_e64 v0, v2, v0, s[4:5]
	v_lshlrev_b32_e32 v2, 8, v8
	v_lshl_add_u32 v1, v1, 10, v3
	v_and_or_b32 v1, v2, s34, v1
	v_lshl_or_b32 v0, v0, 7, v1
	v_cvt_f32_f16_e32 v55, v0
.LBB309_126:                            ;   in Loop: Header=BB309_10 Depth=1
	s_or_b64 exec, exec, s[26:27]
	flat_load_dword v12, v[36:37] offset:1536
	s_mov_b64 s[4:5], 0
                                        ; implicit-def: $sgpr28
	s_waitcnt vmcnt(0) lgkmcnt(0)
	v_cmp_gt_i16_sdwa s[24:25], v12, s17 src0_sel:BYTE_0 src1_sel:DWORD
	s_and_saveexec_b64 s[26:27], s[24:25]
	s_xor_b64 s[24:25], exec, s[26:27]
	s_cbranch_execnz .LBB309_368
; %bb.127:                              ;   in Loop: Header=BB309_10 Depth=1
	s_or_saveexec_b64 s[24:25], s[24:25]
	v_mov_b32_e32 v0, s28
	s_xor_b64 exec, exec, s[24:25]
	s_cbranch_execnz .LBB309_371
.LBB309_128:                            ;   in Loop: Header=BB309_10 Depth=1
	s_or_b64 exec, exec, s[24:25]
	s_and_saveexec_b64 s[24:25], s[4:5]
	s_cbranch_execz .LBB309_130
.LBB309_129:                            ;   in Loop: Header=BB309_10 Depth=1
	v_and_b32_e32 v2, 7, v12
	v_ffbh_u32_e32 v0, v2
	v_min_u32_e32 v5, 32, v0
	v_subrev_u32_e32 v0, 28, v5
	v_bfe_u32 v3, v12, 3, 4
	v_lshlrev_b64 v[0:1], v0, v[12:13]
	v_sub_u32_e32 v1, 29, v5
	v_cmp_eq_u32_e64 s[4:5], 0, v3
	v_and_b32_e32 v0, 7, v0
	s_nop 0
	v_cndmask_b32_e64 v1, v3, v1, s[4:5]
	v_mov_b32_e32 v3, 0x1c00
	v_cndmask_b32_e64 v0, v2, v0, s[4:5]
	v_lshlrev_b32_e32 v2, 8, v12
	v_lshl_add_u32 v1, v1, 10, v3
	v_and_or_b32 v1, v2, s34, v1
	v_lshl_or_b32 v0, v0, 7, v1
	v_cvt_f32_f16_e32 v0, v0
.LBB309_130:                            ;   in Loop: Header=BB309_10 Depth=1
	s_or_b64 exec, exec, s[24:25]
	v_lshrrev_b16_e32 v8, 8, v12
	v_accvgpr_write_b32 a51, v0
	v_cmp_lt_i16_e64 s[4:5], s17, v8
	s_mov_b64 s[24:25], 0
                                        ; implicit-def: $sgpr35
	s_and_saveexec_b64 s[26:27], s[4:5]
	s_xor_b64 s[26:27], exec, s[26:27]
	s_cbranch_execnz .LBB309_372
; %bb.131:                              ;   in Loop: Header=BB309_10 Depth=1
	s_or_saveexec_b64 s[26:27], s[26:27]
	v_mov_b32_e32 v39, s35
	s_xor_b64 exec, exec, s[26:27]
	s_cbranch_execnz .LBB309_375
.LBB309_132:                            ;   in Loop: Header=BB309_10 Depth=1
	s_or_b64 exec, exec, s[26:27]
	s_and_saveexec_b64 s[26:27], s[24:25]
	s_cbranch_execz .LBB309_134
.LBB309_133:                            ;   in Loop: Header=BB309_10 Depth=1
	v_and_b32_e32 v2, 7, v8
	v_ffbh_u32_e32 v0, v2
	v_min_u32_e32 v5, 32, v0
	v_subrev_u32_e32 v0, 28, v5
	v_bfe_u32 v3, v8, 3, 4
	v_lshlrev_b64 v[0:1], v0, v[8:9]
	v_sub_u32_e32 v1, 29, v5
	v_cmp_eq_u32_e64 s[4:5], 0, v3
	v_and_b32_e32 v0, 7, v0
	s_nop 0
	v_cndmask_b32_e64 v1, v3, v1, s[4:5]
	v_mov_b32_e32 v3, 0x1c00
	v_cndmask_b32_e64 v0, v2, v0, s[4:5]
	v_lshlrev_b32_e32 v2, 8, v8
	v_lshl_add_u32 v1, v1, 10, v3
	v_and_or_b32 v1, v2, s34, v1
	v_lshl_or_b32 v0, v0, 7, v1
	v_cvt_f32_f16_e32 v39, v0
.LBB309_134:                            ;   in Loop: Header=BB309_10 Depth=1
	s_or_b64 exec, exec, s[26:27]
	v_lshrrev_b32_e32 v8, 16, v12
	v_cmp_gt_i16_sdwa s[24:25], v8, s17 src0_sel:BYTE_0 src1_sel:DWORD
	s_mov_b64 s[4:5], 0
                                        ; implicit-def: $sgpr28
	s_and_saveexec_b64 s[26:27], s[24:25]
	s_xor_b64 s[24:25], exec, s[26:27]
	s_cbranch_execnz .LBB309_376
; %bb.135:                              ;   in Loop: Header=BB309_10 Depth=1
	s_or_saveexec_b64 s[24:25], s[24:25]
	v_mov_b32_e32 v50, s28
	s_xor_b64 exec, exec, s[24:25]
	s_cbranch_execnz .LBB309_379
.LBB309_136:                            ;   in Loop: Header=BB309_10 Depth=1
	s_or_b64 exec, exec, s[24:25]
	s_and_saveexec_b64 s[24:25], s[4:5]
	s_cbranch_execz .LBB309_138
.LBB309_137:                            ;   in Loop: Header=BB309_10 Depth=1
	v_bfe_u32 v2, v12, 16, 3
	v_ffbh_u32_e32 v0, v2
	v_min_u32_e32 v5, 32, v0
	v_subrev_u32_e32 v0, 28, v5
	v_bfe_u32 v3, v12, 19, 4
	v_lshlrev_b64 v[0:1], v0, v[8:9]
	v_sub_u32_e32 v1, 29, v5
	v_cmp_eq_u32_e64 s[4:5], 0, v3
	v_and_b32_e32 v0, 7, v0
	s_nop 0
	v_cndmask_b32_e64 v1, v3, v1, s[4:5]
	v_mov_b32_e32 v3, 0x1c00
	v_cndmask_b32_e64 v0, v2, v0, s[4:5]
	v_lshlrev_b32_e32 v2, 8, v8
	v_lshl_add_u32 v1, v1, 10, v3
	v_and_or_b32 v1, v2, s34, v1
	v_lshl_or_b32 v0, v0, 7, v1
	v_cvt_f32_f16_e32 v50, v0
.LBB309_138:                            ;   in Loop: Header=BB309_10 Depth=1
	s_or_b64 exec, exec, s[24:25]
	v_lshrrev_b32_e32 v8, 24, v12
	v_cmp_lt_i16_e64 s[4:5], s17, v8
	s_mov_b64 s[24:25], 0
                                        ; implicit-def: $sgpr35
	s_and_saveexec_b64 s[26:27], s[4:5]
	s_xor_b64 s[26:27], exec, s[26:27]
	s_cbranch_execnz .LBB309_380
; %bb.139:                              ;   in Loop: Header=BB309_10 Depth=1
	s_or_saveexec_b64 s[26:27], s[26:27]
	v_mov_b32_e32 v11, s35
	s_xor_b64 exec, exec, s[26:27]
	s_cbranch_execnz .LBB309_383
.LBB309_140:                            ;   in Loop: Header=BB309_10 Depth=1
	s_or_b64 exec, exec, s[26:27]
	s_and_saveexec_b64 s[26:27], s[24:25]
	s_cbranch_execz .LBB309_142
.LBB309_141:                            ;   in Loop: Header=BB309_10 Depth=1
	v_bfe_u32 v2, v12, 24, 3
	v_ffbh_u32_e32 v0, v2
	v_min_u32_e32 v5, 32, v0
	v_subrev_u32_e32 v0, 28, v5
	v_bfe_u32 v3, v12, 27, 4
	v_lshlrev_b64 v[0:1], v0, v[8:9]
	v_sub_u32_e32 v1, 29, v5
	v_cmp_eq_u32_e64 s[4:5], 0, v3
	v_and_b32_e32 v0, 7, v0
	s_nop 0
	v_cndmask_b32_e64 v1, v3, v1, s[4:5]
	v_mov_b32_e32 v3, 0x1c00
	v_cndmask_b32_e64 v0, v2, v0, s[4:5]
	v_lshlrev_b32_e32 v2, 8, v8
	v_lshl_add_u32 v1, v1, 10, v3
	v_and_or_b32 v1, v2, s34, v1
	v_lshl_or_b32 v0, v0, 7, v1
	v_cvt_f32_f16_e32 v11, v0
.LBB309_142:                            ;   in Loop: Header=BB309_10 Depth=1
	s_or_b64 exec, exec, s[26:27]
	flat_load_dword v12, v[36:37] offset:1544
	s_mov_b64 s[4:5], 0
                                        ; implicit-def: $sgpr28
	s_waitcnt vmcnt(0) lgkmcnt(0)
	v_cmp_gt_i16_sdwa s[24:25], v12, s17 src0_sel:BYTE_0 src1_sel:DWORD
	s_and_saveexec_b64 s[26:27], s[24:25]
	s_xor_b64 s[24:25], exec, s[26:27]
	s_cbranch_execnz .LBB309_384
; %bb.143:                              ;   in Loop: Header=BB309_10 Depth=1
	s_or_saveexec_b64 s[24:25], s[24:25]
	v_mov_b32_e32 v10, s28
	s_xor_b64 exec, exec, s[24:25]
	s_cbranch_execnz .LBB309_387
.LBB309_144:                            ;   in Loop: Header=BB309_10 Depth=1
	s_or_b64 exec, exec, s[24:25]
	s_and_saveexec_b64 s[24:25], s[4:5]
	s_cbranch_execz .LBB309_146
.LBB309_145:                            ;   in Loop: Header=BB309_10 Depth=1
	v_and_b32_e32 v2, 7, v12
	v_ffbh_u32_e32 v0, v2
	v_min_u32_e32 v5, 32, v0
	v_subrev_u32_e32 v0, 28, v5
	v_bfe_u32 v3, v12, 3, 4
	v_lshlrev_b64 v[0:1], v0, v[12:13]
	v_sub_u32_e32 v1, 29, v5
	v_cmp_eq_u32_e64 s[4:5], 0, v3
	v_and_b32_e32 v0, 7, v0
	s_nop 0
	v_cndmask_b32_e64 v1, v3, v1, s[4:5]
	v_mov_b32_e32 v3, 0x1c00
	v_cndmask_b32_e64 v0, v2, v0, s[4:5]
	v_lshlrev_b32_e32 v2, 8, v12
	v_lshl_add_u32 v1, v1, 10, v3
	v_and_or_b32 v1, v2, s34, v1
	v_lshl_or_b32 v0, v0, 7, v1
	v_cvt_f32_f16_e32 v10, v0
.LBB309_146:                            ;   in Loop: Header=BB309_10 Depth=1
	s_or_b64 exec, exec, s[24:25]
	v_lshrrev_b16_e32 v8, 8, v12
	v_cmp_lt_i16_e64 s[4:5], s17, v8
	s_mov_b64 s[24:25], 0
                                        ; implicit-def: $sgpr35
	s_and_saveexec_b64 s[26:27], s[4:5]
	s_xor_b64 s[26:27], exec, s[26:27]
	s_cbranch_execnz .LBB309_388
; %bb.147:                              ;   in Loop: Header=BB309_10 Depth=1
	s_or_saveexec_b64 s[26:27], s[26:27]
	v_mov_b32_e32 v1, s35
	s_xor_b64 exec, exec, s[26:27]
	s_cbranch_execnz .LBB309_391
.LBB309_148:                            ;   in Loop: Header=BB309_10 Depth=1
	s_or_b64 exec, exec, s[26:27]
	s_and_saveexec_b64 s[26:27], s[24:25]
	s_cbranch_execz .LBB309_150
.LBB309_149:                            ;   in Loop: Header=BB309_10 Depth=1
	v_and_b32_e32 v2, 7, v8
	v_ffbh_u32_e32 v0, v2
	v_min_u32_e32 v5, 32, v0
	v_subrev_u32_e32 v0, 28, v5
	v_bfe_u32 v3, v8, 3, 4
	v_lshlrev_b64 v[0:1], v0, v[8:9]
	v_sub_u32_e32 v1, 29, v5
	v_cmp_eq_u32_e64 s[4:5], 0, v3
	v_and_b32_e32 v0, 7, v0
	s_nop 0
	v_cndmask_b32_e64 v1, v3, v1, s[4:5]
	v_mov_b32_e32 v3, 0x1c00
	v_cndmask_b32_e64 v0, v2, v0, s[4:5]
	v_lshlrev_b32_e32 v2, 8, v8
	v_lshl_add_u32 v1, v1, 10, v3
	v_and_or_b32 v1, v2, s34, v1
	v_lshl_or_b32 v0, v0, 7, v1
	v_cvt_f32_f16_e32 v1, v0
.LBB309_150:                            ;   in Loop: Header=BB309_10 Depth=1
	s_or_b64 exec, exec, s[26:27]
	v_lshrrev_b32_e32 v8, 16, v12
	v_cmp_gt_i16_sdwa s[24:25], v8, s17 src0_sel:BYTE_0 src1_sel:DWORD
	s_mov_b64 s[4:5], 0
                                        ; implicit-def: $sgpr28
	s_and_saveexec_b64 s[26:27], s[24:25]
	s_xor_b64 s[24:25], exec, s[26:27]
	s_cbranch_execnz .LBB309_392
; %bb.151:                              ;   in Loop: Header=BB309_10 Depth=1
	s_or_saveexec_b64 s[24:25], s[24:25]
	v_mov_b32_e32 v16, s28
	s_xor_b64 exec, exec, s[24:25]
	s_cbranch_execnz .LBB309_395
.LBB309_152:                            ;   in Loop: Header=BB309_10 Depth=1
	s_or_b64 exec, exec, s[24:25]
	s_and_saveexec_b64 s[24:25], s[4:5]
	s_cbranch_execz .LBB309_154
.LBB309_153:                            ;   in Loop: Header=BB309_10 Depth=1
	v_bfe_u32 v0, v12, 16, 3
	v_ffbh_u32_e32 v2, v0
	v_min_u32_e32 v6, 32, v2
	v_subrev_u32_e32 v2, 28, v6
	v_bfe_u32 v5, v12, 19, 4
	v_lshlrev_b64 v[2:3], v2, v[8:9]
	v_sub_u32_e32 v3, 29, v6
	v_cmp_eq_u32_e64 s[4:5], 0, v5
	v_and_b32_e32 v2, 7, v2
	v_mov_b32_e32 v4, 0x1c00
	v_cndmask_b32_e64 v3, v5, v3, s[4:5]
	v_cndmask_b32_e64 v0, v0, v2, s[4:5]
	v_lshlrev_b32_e32 v2, 8, v8
	v_lshl_add_u32 v3, v3, 10, v4
	v_and_or_b32 v2, v2, s34, v3
	v_lshl_or_b32 v0, v0, 7, v2
	v_cvt_f32_f16_e32 v16, v0
.LBB309_154:                            ;   in Loop: Header=BB309_10 Depth=1
	s_or_b64 exec, exec, s[24:25]
	v_lshrrev_b32_e32 v8, 24, v12
	v_cmp_lt_i16_e64 s[4:5], s17, v8
	s_mov_b64 s[24:25], 0
                                        ; implicit-def: $sgpr35
	s_and_saveexec_b64 s[26:27], s[4:5]
	s_xor_b64 s[26:27], exec, s[26:27]
	s_cbranch_execnz .LBB309_396
; %bb.155:                              ;   in Loop: Header=BB309_10 Depth=1
	s_or_saveexec_b64 s[26:27], s[26:27]
	v_mov_b32_e32 v3, s35
	s_xor_b64 exec, exec, s[26:27]
	s_cbranch_execnz .LBB309_399
.LBB309_156:                            ;   in Loop: Header=BB309_10 Depth=1
	s_or_b64 exec, exec, s[26:27]
	s_and_saveexec_b64 s[26:27], s[24:25]
	s_cbranch_execz .LBB309_158
.LBB309_157:                            ;   in Loop: Header=BB309_10 Depth=1
	v_bfe_u32 v5, v12, 24, 3
	v_ffbh_u32_e32 v2, v5
	v_min_u32_e32 v7, 32, v2
	v_subrev_u32_e32 v2, 28, v7
	v_bfe_u32 v6, v12, 27, 4
	v_lshlrev_b64 v[2:3], v2, v[8:9]
	v_sub_u32_e32 v3, 29, v7
	v_cmp_eq_u32_e64 s[4:5], 0, v6
	v_and_b32_e32 v2, 7, v2
	v_mov_b32_e32 v0, 0x1c00
	v_cndmask_b32_e64 v3, v6, v3, s[4:5]
	v_cndmask_b32_e64 v2, v5, v2, s[4:5]
	v_lshlrev_b32_e32 v5, 8, v8
	v_lshl_add_u32 v3, v3, 10, v0
	v_and_or_b32 v3, v5, s34, v3
	v_lshl_or_b32 v2, v2, 7, v3
	v_cvt_f32_f16_e32 v3, v2
.LBB309_158:                            ;   in Loop: Header=BB309_10 Depth=1
	s_or_b64 exec, exec, s[26:27]
	flat_load_dword v12, v[36:37] offset:2048
	s_mov_b64 s[4:5], 0
                                        ; implicit-def: $sgpr28
	s_waitcnt vmcnt(0) lgkmcnt(0)
	v_cmp_gt_i16_sdwa s[24:25], v12, s17 src0_sel:BYTE_0 src1_sel:DWORD
	s_and_saveexec_b64 s[26:27], s[24:25]
	s_xor_b64 s[24:25], exec, s[26:27]
	s_cbranch_execnz .LBB309_400
; %bb.159:                              ;   in Loop: Header=BB309_10 Depth=1
	s_or_saveexec_b64 s[24:25], s[24:25]
	v_mov_b32_e32 v2, s28
	s_xor_b64 exec, exec, s[24:25]
	s_cbranch_execnz .LBB309_403
.LBB309_160:                            ;   in Loop: Header=BB309_10 Depth=1
	s_or_b64 exec, exec, s[24:25]
	s_and_saveexec_b64 s[24:25], s[4:5]
	s_cbranch_execz .LBB309_162
.LBB309_161:                            ;   in Loop: Header=BB309_10 Depth=1
	v_and_b32_e32 v2, 7, v12
	v_ffbh_u32_e32 v6, v2
	v_min_u32_e32 v8, 32, v6
	v_subrev_u32_e32 v6, 28, v8
	v_bfe_u32 v5, v12, 3, 4
	v_lshlrev_b64 v[6:7], v6, v[12:13]
	v_sub_u32_e32 v7, 29, v8
	v_cmp_eq_u32_e64 s[4:5], 0, v5
	v_and_b32_e32 v6, 7, v6
	v_mov_b32_e32 v0, 0x1c00
	v_cndmask_b32_e64 v5, v5, v7, s[4:5]
	v_cndmask_b32_e64 v2, v2, v6, s[4:5]
	v_lshlrev_b32_e32 v6, 8, v12
	v_lshl_add_u32 v5, v5, 10, v0
	v_and_or_b32 v5, v6, s34, v5
	v_lshl_or_b32 v2, v2, 7, v5
	v_cvt_f32_f16_e32 v2, v2
.LBB309_162:                            ;   in Loop: Header=BB309_10 Depth=1
	s_or_b64 exec, exec, s[24:25]
	v_lshrrev_b16_e32 v8, 8, v12
	v_cmp_lt_i16_e64 s[4:5], s17, v8
	s_mov_b64 s[24:25], 0
                                        ; implicit-def: $sgpr35
	s_and_saveexec_b64 s[26:27], s[4:5]
	s_xor_b64 s[26:27], exec, s[26:27]
	s_cbranch_execnz .LBB309_404
; %bb.163:                              ;   in Loop: Header=BB309_10 Depth=1
	s_or_saveexec_b64 s[26:27], s[26:27]
	v_mov_b32_e32 v15, s35
	s_xor_b64 exec, exec, s[26:27]
	s_cbranch_execnz .LBB309_407
.LBB309_164:                            ;   in Loop: Header=BB309_10 Depth=1
	s_or_b64 exec, exec, s[26:27]
	s_and_saveexec_b64 s[26:27], s[24:25]
	s_cbranch_execz .LBB309_166
.LBB309_165:                            ;   in Loop: Header=BB309_10 Depth=1
	v_and_b32_e32 v5, 7, v8
	v_ffbh_u32_e32 v6, v5
	v_min_u32_e32 v14, 32, v6
	v_subrev_u32_e32 v6, 28, v14
	v_bfe_u32 v13, v8, 3, 4
	v_lshlrev_b64 v[6:7], v6, v[8:9]
	v_sub_u32_e32 v7, 29, v14
	v_cmp_eq_u32_e64 s[4:5], 0, v13
	v_and_b32_e32 v6, 7, v6
	v_mov_b32_e32 v0, 0x1c00
	v_cndmask_b32_e64 v7, v13, v7, s[4:5]
	v_cndmask_b32_e64 v5, v5, v6, s[4:5]
	v_lshlrev_b32_e32 v6, 8, v8
	v_lshl_add_u32 v7, v7, 10, v0
	v_and_or_b32 v6, v6, s34, v7
	v_lshl_or_b32 v5, v5, 7, v6
	v_cvt_f32_f16_e32 v15, v5
.LBB309_166:                            ;   in Loop: Header=BB309_10 Depth=1
	s_or_b64 exec, exec, s[26:27]
	v_lshrrev_b32_e32 v8, 16, v12
	v_cmp_gt_i16_sdwa s[24:25], v8, s17 src0_sel:BYTE_0 src1_sel:DWORD
	s_mov_b64 s[4:5], 0
                                        ; implicit-def: $sgpr28
	s_and_saveexec_b64 s[26:27], s[24:25]
	s_xor_b64 s[24:25], exec, s[26:27]
	s_cbranch_execnz .LBB309_408
; %bb.167:                              ;   in Loop: Header=BB309_10 Depth=1
	s_or_saveexec_b64 s[24:25], s[24:25]
	v_mov_b32_e32 v14, s28
	s_xor_b64 exec, exec, s[24:25]
	s_cbranch_execnz .LBB309_411
.LBB309_168:                            ;   in Loop: Header=BB309_10 Depth=1
	s_or_b64 exec, exec, s[24:25]
	s_and_saveexec_b64 s[24:25], s[4:5]
	s_cbranch_execz .LBB309_170
.LBB309_169:                            ;   in Loop: Header=BB309_10 Depth=1
	v_bfe_u32 v5, v12, 16, 3
	v_ffbh_u32_e32 v6, v5
	v_min_u32_e32 v14, 32, v6
	v_subrev_u32_e32 v6, 28, v14
	v_bfe_u32 v13, v12, 19, 4
	v_lshlrev_b64 v[6:7], v6, v[8:9]
	v_sub_u32_e32 v7, 29, v14
	v_cmp_eq_u32_e64 s[4:5], 0, v13
	v_and_b32_e32 v6, 7, v6
	v_mov_b32_e32 v0, 0x1c00
	v_cndmask_b32_e64 v7, v13, v7, s[4:5]
	v_cndmask_b32_e64 v5, v5, v6, s[4:5]
	v_lshlrev_b32_e32 v6, 8, v8
	v_lshl_add_u32 v7, v7, 10, v0
	v_and_or_b32 v6, v6, s34, v7
	v_lshl_or_b32 v5, v5, 7, v6
	v_cvt_f32_f16_e32 v14, v5
.LBB309_170:                            ;   in Loop: Header=BB309_10 Depth=1
	s_or_b64 exec, exec, s[24:25]
	v_lshrrev_b32_e32 v8, 24, v12
	v_cmp_lt_i16_e64 s[4:5], s17, v8
	s_mov_b64 s[24:25], 0
                                        ; implicit-def: $sgpr35
	s_and_saveexec_b64 s[26:27], s[4:5]
	s_xor_b64 s[26:27], exec, s[26:27]
	s_cbranch_execnz .LBB309_412
; %bb.171:                              ;   in Loop: Header=BB309_10 Depth=1
	s_or_saveexec_b64 s[26:27], s[26:27]
	v_mov_b32_e32 v13, s35
	s_xor_b64 exec, exec, s[26:27]
	s_cbranch_execnz .LBB309_415
.LBB309_172:                            ;   in Loop: Header=BB309_10 Depth=1
	s_or_b64 exec, exec, s[26:27]
	s_and_saveexec_b64 s[26:27], s[24:25]
	s_cbranch_execz .LBB309_174
.LBB309_173:                            ;   in Loop: Header=BB309_10 Depth=1
	v_bfe_u32 v5, v12, 24, 3
	v_ffbh_u32_e32 v6, v5
	v_min_u32_e32 v13, 32, v6
	v_subrev_u32_e32 v6, 28, v13
	v_bfe_u32 v12, v12, 27, 4
	v_lshlrev_b64 v[6:7], v6, v[8:9]
	v_sub_u32_e32 v7, 29, v13
	v_cmp_eq_u32_e64 s[4:5], 0, v12
	v_and_b32_e32 v6, 7, v6
	v_mov_b32_e32 v0, 0x1c00
	v_cndmask_b32_e64 v7, v12, v7, s[4:5]
	v_cndmask_b32_e64 v5, v5, v6, s[4:5]
	v_lshlrev_b32_e32 v6, 8, v8
	v_lshl_add_u32 v7, v7, 10, v0
	v_and_or_b32 v6, v6, s34, v7
	v_lshl_or_b32 v5, v5, 7, v6
	v_cvt_f32_f16_e32 v13, v5
.LBB309_174:                            ;   in Loop: Header=BB309_10 Depth=1
	s_or_b64 exec, exec, s[26:27]
	flat_load_dword v12, v[36:37] offset:2056
	s_mov_b64 s[4:5], 0
                                        ; implicit-def: $sgpr28
	s_waitcnt vmcnt(0) lgkmcnt(0)
	v_cmp_gt_i16_sdwa s[24:25], v12, s17 src0_sel:BYTE_0 src1_sel:DWORD
	s_and_saveexec_b64 s[26:27], s[24:25]
	s_xor_b64 s[24:25], exec, s[26:27]
	s_cbranch_execnz .LBB309_416
; %bb.175:                              ;   in Loop: Header=BB309_10 Depth=1
	s_or_saveexec_b64 s[24:25], s[24:25]
	v_mov_b32_e32 v30, s28
	s_xor_b64 exec, exec, s[24:25]
	s_cbranch_execnz .LBB309_419
.LBB309_176:                            ;   in Loop: Header=BB309_10 Depth=1
	s_or_b64 exec, exec, s[24:25]
	s_and_saveexec_b64 s[24:25], s[4:5]
	s_cbranch_execz .LBB309_178
.LBB309_177:                            ;   in Loop: Header=BB309_10 Depth=1
	v_and_b32_e32 v5, 7, v12
	v_ffbh_u32_e32 v6, v5
	v_min_u32_e32 v17, 32, v6
	v_subrev_u32_e32 v6, 28, v17
	v_bfe_u32 v8, v12, 3, 4
	v_lshlrev_b64 v[6:7], v6, v[12:13]
	v_sub_u32_e32 v7, 29, v17
	v_cmp_eq_u32_e64 s[4:5], 0, v8
	v_and_b32_e32 v6, 7, v6
	v_mov_b32_e32 v0, 0x1c00
	v_cndmask_b32_e64 v7, v8, v7, s[4:5]
	v_cndmask_b32_e64 v5, v5, v6, s[4:5]
	v_lshlrev_b32_e32 v6, 8, v12
	v_lshl_add_u32 v7, v7, 10, v0
	v_and_or_b32 v6, v6, s34, v7
	v_lshl_or_b32 v5, v5, 7, v6
	v_cvt_f32_f16_e32 v30, v5
.LBB309_178:                            ;   in Loop: Header=BB309_10 Depth=1
	s_or_b64 exec, exec, s[24:25]
	v_lshrrev_b16_e32 v8, 8, v12
	v_cmp_lt_i16_e64 s[4:5], s17, v8
	s_mov_b64 s[24:25], 0
                                        ; implicit-def: $sgpr35
	s_and_saveexec_b64 s[26:27], s[4:5]
	s_xor_b64 s[26:27], exec, s[26:27]
	s_cbranch_execnz .LBB309_420
; %bb.179:                              ;   in Loop: Header=BB309_10 Depth=1
	s_or_saveexec_b64 s[26:27], s[26:27]
	v_mov_b32_e32 v31, s35
	s_xor_b64 exec, exec, s[26:27]
	s_cbranch_execnz .LBB309_423
.LBB309_180:                            ;   in Loop: Header=BB309_10 Depth=1
	s_or_b64 exec, exec, s[26:27]
	s_and_saveexec_b64 s[26:27], s[24:25]
	s_cbranch_execz .LBB309_182
.LBB309_181:                            ;   in Loop: Header=BB309_10 Depth=1
	v_and_b32_e32 v5, 7, v8
	v_ffbh_u32_e32 v6, v5
	v_min_u32_e32 v18, 32, v6
	v_subrev_u32_e32 v6, 28, v18
	v_bfe_u32 v17, v8, 3, 4
	v_lshlrev_b64 v[6:7], v6, v[8:9]
	v_sub_u32_e32 v7, 29, v18
	v_cmp_eq_u32_e64 s[4:5], 0, v17
	v_and_b32_e32 v6, 7, v6
	v_mov_b32_e32 v0, 0x1c00
	v_cndmask_b32_e64 v7, v17, v7, s[4:5]
	v_cndmask_b32_e64 v5, v5, v6, s[4:5]
	v_lshlrev_b32_e32 v6, 8, v8
	v_lshl_add_u32 v7, v7, 10, v0
	v_and_or_b32 v6, v6, s34, v7
	v_lshl_or_b32 v5, v5, 7, v6
	v_cvt_f32_f16_e32 v31, v5
.LBB309_182:                            ;   in Loop: Header=BB309_10 Depth=1
	s_or_b64 exec, exec, s[26:27]
	v_lshrrev_b32_e32 v8, 16, v12
	v_cmp_gt_i16_sdwa s[24:25], v8, s17 src0_sel:BYTE_0 src1_sel:DWORD
	s_mov_b64 s[4:5], 0
                                        ; implicit-def: $sgpr28
	s_and_saveexec_b64 s[26:27], s[24:25]
	s_xor_b64 s[24:25], exec, s[26:27]
	s_cbranch_execnz .LBB309_424
; %bb.183:                              ;   in Loop: Header=BB309_10 Depth=1
	s_or_saveexec_b64 s[24:25], s[24:25]
	v_mov_b32_e32 v32, s28
	s_xor_b64 exec, exec, s[24:25]
	s_cbranch_execnz .LBB309_427
.LBB309_184:                            ;   in Loop: Header=BB309_10 Depth=1
	s_or_b64 exec, exec, s[24:25]
	s_and_saveexec_b64 s[24:25], s[4:5]
	s_cbranch_execz .LBB309_186
.LBB309_185:                            ;   in Loop: Header=BB309_10 Depth=1
	v_bfe_u32 v5, v12, 16, 3
	v_ffbh_u32_e32 v6, v5
	v_min_u32_e32 v18, 32, v6
	v_subrev_u32_e32 v6, 28, v18
	v_bfe_u32 v17, v12, 19, 4
	v_lshlrev_b64 v[6:7], v6, v[8:9]
	v_sub_u32_e32 v7, 29, v18
	v_cmp_eq_u32_e64 s[4:5], 0, v17
	v_and_b32_e32 v6, 7, v6
	v_mov_b32_e32 v0, 0x1c00
	v_cndmask_b32_e64 v7, v17, v7, s[4:5]
	v_cndmask_b32_e64 v5, v5, v6, s[4:5]
	v_lshlrev_b32_e32 v6, 8, v8
	v_lshl_add_u32 v7, v7, 10, v0
	v_and_or_b32 v6, v6, s34, v7
	v_lshl_or_b32 v5, v5, 7, v6
	v_cvt_f32_f16_e32 v32, v5
.LBB309_186:                            ;   in Loop: Header=BB309_10 Depth=1
	s_or_b64 exec, exec, s[24:25]
	v_lshrrev_b32_e32 v8, 24, v12
	v_cmp_lt_i16_e64 s[4:5], s17, v8
	s_mov_b64 s[24:25], 0
                                        ; implicit-def: $sgpr35
	s_and_saveexec_b64 s[26:27], s[4:5]
	s_xor_b64 s[26:27], exec, s[26:27]
	s_cbranch_execnz .LBB309_428
; %bb.187:                              ;   in Loop: Header=BB309_10 Depth=1
	s_or_saveexec_b64 s[26:27], s[26:27]
	v_mov_b32_e32 v33, s35
	s_xor_b64 exec, exec, s[26:27]
	s_cbranch_execnz .LBB309_431
.LBB309_188:                            ;   in Loop: Header=BB309_10 Depth=1
	s_or_b64 exec, exec, s[26:27]
	s_and_saveexec_b64 s[26:27], s[24:25]
	s_cbranch_execz .LBB309_190
.LBB309_189:                            ;   in Loop: Header=BB309_10 Depth=1
	v_bfe_u32 v5, v12, 24, 3
	v_ffbh_u32_e32 v6, v5
	v_min_u32_e32 v17, 32, v6
	v_subrev_u32_e32 v6, 28, v17
	v_bfe_u32 v12, v12, 27, 4
	v_lshlrev_b64 v[6:7], v6, v[8:9]
	v_sub_u32_e32 v7, 29, v17
	v_cmp_eq_u32_e64 s[4:5], 0, v12
	v_and_b32_e32 v6, 7, v6
	v_mov_b32_e32 v0, 0x1c00
	v_cndmask_b32_e64 v7, v12, v7, s[4:5]
	v_cndmask_b32_e64 v5, v5, v6, s[4:5]
	v_lshlrev_b32_e32 v6, 8, v8
	v_lshl_add_u32 v7, v7, 10, v0
	v_and_or_b32 v6, v6, s34, v7
	v_lshl_or_b32 v5, v5, 7, v6
	v_cvt_f32_f16_e32 v33, v5
.LBB309_190:                            ;   in Loop: Header=BB309_10 Depth=1
	s_or_b64 exec, exec, s[26:27]
	flat_load_dword v12, v[36:37] offset:2560
	s_mov_b64 s[4:5], 0
                                        ; implicit-def: $sgpr28
	s_waitcnt vmcnt(0) lgkmcnt(0)
	v_cmp_gt_i16_sdwa s[24:25], v12, s17 src0_sel:BYTE_0 src1_sel:DWORD
	s_and_saveexec_b64 s[26:27], s[24:25]
	s_xor_b64 s[24:25], exec, s[26:27]
	s_cbranch_execnz .LBB309_432
; %bb.191:                              ;   in Loop: Header=BB309_10 Depth=1
	s_or_saveexec_b64 s[24:25], s[24:25]
	v_mov_b32_e32 v51, s28
	s_xor_b64 exec, exec, s[24:25]
	s_cbranch_execnz .LBB309_435
.LBB309_192:                            ;   in Loop: Header=BB309_10 Depth=1
	s_or_b64 exec, exec, s[24:25]
	s_and_saveexec_b64 s[24:25], s[4:5]
	s_cbranch_execz .LBB309_194
.LBB309_193:                            ;   in Loop: Header=BB309_10 Depth=1
	v_and_b32_e32 v5, 7, v12
	v_ffbh_u32_e32 v6, v5
	v_min_u32_e32 v17, 32, v6
	v_subrev_u32_e32 v6, 28, v17
	v_bfe_u32 v8, v12, 3, 4
	v_lshlrev_b64 v[6:7], v6, v[12:13]
	v_sub_u32_e32 v7, 29, v17
	v_cmp_eq_u32_e64 s[4:5], 0, v8
	v_and_b32_e32 v6, 7, v6
	v_mov_b32_e32 v0, 0x1c00
	v_cndmask_b32_e64 v7, v8, v7, s[4:5]
	v_cndmask_b32_e64 v5, v5, v6, s[4:5]
	v_lshlrev_b32_e32 v6, 8, v12
	v_lshl_add_u32 v7, v7, 10, v0
	v_and_or_b32 v6, v6, s34, v7
	v_lshl_or_b32 v5, v5, 7, v6
	v_cvt_f32_f16_e32 v51, v5
.LBB309_194:                            ;   in Loop: Header=BB309_10 Depth=1
	s_or_b64 exec, exec, s[24:25]
	v_lshrrev_b16_e32 v8, 8, v12
	v_cmp_lt_i16_e64 s[4:5], s17, v8
	s_mov_b64 s[24:25], 0
                                        ; implicit-def: $sgpr35
	s_and_saveexec_b64 s[26:27], s[4:5]
	s_xor_b64 s[26:27], exec, s[26:27]
	s_cbranch_execnz .LBB309_436
; %bb.195:                              ;   in Loop: Header=BB309_10 Depth=1
	s_or_saveexec_b64 s[26:27], s[26:27]
	v_mov_b32_e32 v22, s35
	s_xor_b64 exec, exec, s[26:27]
	s_cbranch_execnz .LBB309_439
.LBB309_196:                            ;   in Loop: Header=BB309_10 Depth=1
	s_or_b64 exec, exec, s[26:27]
	s_and_saveexec_b64 s[26:27], s[24:25]
	s_cbranch_execz .LBB309_198
.LBB309_197:                            ;   in Loop: Header=BB309_10 Depth=1
	v_and_b32_e32 v5, 7, v8
	v_ffbh_u32_e32 v6, v5
	v_min_u32_e32 v18, 32, v6
	v_subrev_u32_e32 v6, 28, v18
	v_bfe_u32 v17, v8, 3, 4
	v_lshlrev_b64 v[6:7], v6, v[8:9]
	v_sub_u32_e32 v7, 29, v18
	v_cmp_eq_u32_e64 s[4:5], 0, v17
	v_and_b32_e32 v6, 7, v6
	v_mov_b32_e32 v0, 0x1c00
	v_cndmask_b32_e64 v7, v17, v7, s[4:5]
	v_cndmask_b32_e64 v5, v5, v6, s[4:5]
	v_lshlrev_b32_e32 v6, 8, v8
	v_lshl_add_u32 v7, v7, 10, v0
	v_and_or_b32 v6, v6, s34, v7
	v_lshl_or_b32 v5, v5, 7, v6
	v_cvt_f32_f16_e32 v22, v5
.LBB309_198:                            ;   in Loop: Header=BB309_10 Depth=1
	s_or_b64 exec, exec, s[26:27]
	v_lshrrev_b32_e32 v8, 16, v12
	v_cmp_gt_i16_sdwa s[24:25], v8, s17 src0_sel:BYTE_0 src1_sel:DWORD
	s_mov_b64 s[4:5], 0
                                        ; implicit-def: $sgpr28
	s_and_saveexec_b64 s[26:27], s[24:25]
	s_xor_b64 s[24:25], exec, s[26:27]
	s_cbranch_execnz .LBB309_440
; %bb.199:                              ;   in Loop: Header=BB309_10 Depth=1
	s_or_saveexec_b64 s[24:25], s[24:25]
	v_mov_b32_e32 v25, s28
	s_xor_b64 exec, exec, s[24:25]
	s_cbranch_execnz .LBB309_443
.LBB309_200:                            ;   in Loop: Header=BB309_10 Depth=1
	s_or_b64 exec, exec, s[24:25]
	s_and_saveexec_b64 s[24:25], s[4:5]
	s_cbranch_execz .LBB309_202
.LBB309_201:                            ;   in Loop: Header=BB309_10 Depth=1
	v_bfe_u32 v5, v12, 16, 3
	v_ffbh_u32_e32 v6, v5
	v_min_u32_e32 v18, 32, v6
	v_subrev_u32_e32 v6, 28, v18
	v_bfe_u32 v17, v12, 19, 4
	v_lshlrev_b64 v[6:7], v6, v[8:9]
	v_sub_u32_e32 v7, 29, v18
	v_cmp_eq_u32_e64 s[4:5], 0, v17
	v_and_b32_e32 v6, 7, v6
	v_mov_b32_e32 v0, 0x1c00
	v_cndmask_b32_e64 v7, v17, v7, s[4:5]
	v_cndmask_b32_e64 v5, v5, v6, s[4:5]
	v_lshlrev_b32_e32 v6, 8, v8
	v_lshl_add_u32 v7, v7, 10, v0
	v_and_or_b32 v6, v6, s34, v7
	v_lshl_or_b32 v5, v5, 7, v6
	v_cvt_f32_f16_e32 v25, v5
.LBB309_202:                            ;   in Loop: Header=BB309_10 Depth=1
	s_or_b64 exec, exec, s[24:25]
	v_lshrrev_b32_e32 v8, 24, v12
	v_cmp_lt_i16_e64 s[4:5], s17, v8
	s_mov_b64 s[24:25], 0
                                        ; implicit-def: $sgpr35
	s_and_saveexec_b64 s[26:27], s[4:5]
	s_xor_b64 s[26:27], exec, s[26:27]
	s_cbranch_execnz .LBB309_444
; %bb.203:                              ;   in Loop: Header=BB309_10 Depth=1
	s_or_saveexec_b64 s[26:27], s[26:27]
	v_mov_b32_e32 v24, s35
	s_xor_b64 exec, exec, s[26:27]
	s_cbranch_execnz .LBB309_447
.LBB309_204:                            ;   in Loop: Header=BB309_10 Depth=1
	s_or_b64 exec, exec, s[26:27]
	s_and_saveexec_b64 s[26:27], s[24:25]
	s_cbranch_execz .LBB309_206
.LBB309_205:                            ;   in Loop: Header=BB309_10 Depth=1
	v_bfe_u32 v5, v12, 24, 3
	v_ffbh_u32_e32 v6, v5
	v_min_u32_e32 v17, 32, v6
	v_subrev_u32_e32 v6, 28, v17
	v_bfe_u32 v12, v12, 27, 4
	v_lshlrev_b64 v[6:7], v6, v[8:9]
	v_sub_u32_e32 v7, 29, v17
	v_cmp_eq_u32_e64 s[4:5], 0, v12
	v_and_b32_e32 v6, 7, v6
	v_mov_b32_e32 v0, 0x1c00
	v_cndmask_b32_e64 v7, v12, v7, s[4:5]
	v_cndmask_b32_e64 v5, v5, v6, s[4:5]
	v_lshlrev_b32_e32 v6, 8, v8
	v_lshl_add_u32 v7, v7, 10, v0
	v_and_or_b32 v6, v6, s34, v7
	v_lshl_or_b32 v5, v5, 7, v6
	v_cvt_f32_f16_e32 v24, v5
.LBB309_206:                            ;   in Loop: Header=BB309_10 Depth=1
	s_or_b64 exec, exec, s[26:27]
	flat_load_dword v12, v[36:37] offset:2568
	s_mov_b64 s[4:5], 0
                                        ; implicit-def: $sgpr28
	s_waitcnt vmcnt(0) lgkmcnt(0)
	v_cmp_gt_i16_sdwa s[24:25], v12, s17 src0_sel:BYTE_0 src1_sel:DWORD
	s_and_saveexec_b64 s[26:27], s[24:25]
	s_xor_b64 s[24:25], exec, s[26:27]
	s_cbranch_execnz .LBB309_448
; %bb.207:                              ;   in Loop: Header=BB309_10 Depth=1
	s_or_saveexec_b64 s[24:25], s[24:25]
	v_mov_b32_e32 v42, s28
	s_xor_b64 exec, exec, s[24:25]
	s_cbranch_execnz .LBB309_451
.LBB309_208:                            ;   in Loop: Header=BB309_10 Depth=1
	s_or_b64 exec, exec, s[24:25]
	s_and_saveexec_b64 s[24:25], s[4:5]
	s_cbranch_execz .LBB309_210
.LBB309_209:                            ;   in Loop: Header=BB309_10 Depth=1
	v_and_b32_e32 v5, 7, v12
	v_ffbh_u32_e32 v6, v5
	v_min_u32_e32 v17, 32, v6
	v_subrev_u32_e32 v6, 28, v17
	v_bfe_u32 v8, v12, 3, 4
	v_lshlrev_b64 v[6:7], v6, v[12:13]
	v_sub_u32_e32 v7, 29, v17
	v_cmp_eq_u32_e64 s[4:5], 0, v8
	v_and_b32_e32 v6, 7, v6
	v_mov_b32_e32 v0, 0x1c00
	v_cndmask_b32_e64 v7, v8, v7, s[4:5]
	v_cndmask_b32_e64 v5, v5, v6, s[4:5]
	v_lshlrev_b32_e32 v6, 8, v12
	v_lshl_add_u32 v7, v7, 10, v0
	v_and_or_b32 v6, v6, s34, v7
	v_lshl_or_b32 v5, v5, 7, v6
	v_cvt_f32_f16_e32 v42, v5
.LBB309_210:                            ;   in Loop: Header=BB309_10 Depth=1
	s_or_b64 exec, exec, s[24:25]
	v_lshrrev_b16_e32 v8, 8, v12
	v_cmp_lt_i16_e64 s[4:5], s17, v8
	s_mov_b64 s[24:25], 0
                                        ; implicit-def: $sgpr35
	s_and_saveexec_b64 s[26:27], s[4:5]
	s_xor_b64 s[26:27], exec, s[26:27]
	s_cbranch_execnz .LBB309_452
; %bb.211:                              ;   in Loop: Header=BB309_10 Depth=1
	s_or_saveexec_b64 s[26:27], s[26:27]
	v_mov_b32_e32 v43, s35
	s_xor_b64 exec, exec, s[26:27]
	s_cbranch_execnz .LBB309_455
.LBB309_212:                            ;   in Loop: Header=BB309_10 Depth=1
	s_or_b64 exec, exec, s[26:27]
	s_and_saveexec_b64 s[26:27], s[24:25]
	s_cbranch_execz .LBB309_214
.LBB309_213:                            ;   in Loop: Header=BB309_10 Depth=1
	v_and_b32_e32 v5, 7, v8
	v_ffbh_u32_e32 v6, v5
	v_min_u32_e32 v18, 32, v6
	v_subrev_u32_e32 v6, 28, v18
	v_bfe_u32 v17, v8, 3, 4
	v_lshlrev_b64 v[6:7], v6, v[8:9]
	v_sub_u32_e32 v7, 29, v18
	v_cmp_eq_u32_e64 s[4:5], 0, v17
	v_and_b32_e32 v6, 7, v6
	v_mov_b32_e32 v0, 0x1c00
	v_cndmask_b32_e64 v7, v17, v7, s[4:5]
	v_cndmask_b32_e64 v5, v5, v6, s[4:5]
	v_lshlrev_b32_e32 v6, 8, v8
	v_lshl_add_u32 v7, v7, 10, v0
	v_and_or_b32 v6, v6, s34, v7
	v_lshl_or_b32 v5, v5, 7, v6
	v_cvt_f32_f16_e32 v43, v5
.LBB309_214:                            ;   in Loop: Header=BB309_10 Depth=1
	s_or_b64 exec, exec, s[26:27]
	v_lshrrev_b32_e32 v8, 16, v12
	v_cmp_gt_i16_sdwa s[24:25], v8, s17 src0_sel:BYTE_0 src1_sel:DWORD
	s_mov_b64 s[4:5], 0
                                        ; implicit-def: $sgpr28
	s_and_saveexec_b64 s[26:27], s[24:25]
	s_xor_b64 s[24:25], exec, s[26:27]
	s_cbranch_execnz .LBB309_456
; %bb.215:                              ;   in Loop: Header=BB309_10 Depth=1
	s_or_saveexec_b64 s[24:25], s[24:25]
	v_mov_b32_e32 v44, s28
	s_xor_b64 exec, exec, s[24:25]
	s_cbranch_execnz .LBB309_459
.LBB309_216:                            ;   in Loop: Header=BB309_10 Depth=1
	s_or_b64 exec, exec, s[24:25]
	s_and_saveexec_b64 s[24:25], s[4:5]
	s_cbranch_execz .LBB309_218
.LBB309_217:                            ;   in Loop: Header=BB309_10 Depth=1
	v_bfe_u32 v5, v12, 16, 3
	v_ffbh_u32_e32 v6, v5
	v_min_u32_e32 v18, 32, v6
	v_subrev_u32_e32 v6, 28, v18
	v_bfe_u32 v17, v12, 19, 4
	v_lshlrev_b64 v[6:7], v6, v[8:9]
	v_sub_u32_e32 v7, 29, v18
	v_cmp_eq_u32_e64 s[4:5], 0, v17
	v_and_b32_e32 v6, 7, v6
	v_mov_b32_e32 v0, 0x1c00
	v_cndmask_b32_e64 v7, v17, v7, s[4:5]
	v_cndmask_b32_e64 v5, v5, v6, s[4:5]
	v_lshlrev_b32_e32 v6, 8, v8
	v_lshl_add_u32 v7, v7, 10, v0
	v_and_or_b32 v6, v6, s34, v7
	v_lshl_or_b32 v5, v5, 7, v6
	v_cvt_f32_f16_e32 v44, v5
.LBB309_218:                            ;   in Loop: Header=BB309_10 Depth=1
	s_or_b64 exec, exec, s[24:25]
	v_lshrrev_b32_e32 v8, 24, v12
	v_cmp_lt_i16_e64 s[4:5], s17, v8
	s_mov_b64 s[24:25], 0
                                        ; implicit-def: $sgpr35
	s_and_saveexec_b64 s[26:27], s[4:5]
	s_xor_b64 s[26:27], exec, s[26:27]
	s_cbranch_execnz .LBB309_460
; %bb.219:                              ;   in Loop: Header=BB309_10 Depth=1
	s_or_saveexec_b64 s[26:27], s[26:27]
	v_mov_b32_e32 v45, s35
	s_xor_b64 exec, exec, s[26:27]
	s_cbranch_execnz .LBB309_463
.LBB309_220:                            ;   in Loop: Header=BB309_10 Depth=1
	s_or_b64 exec, exec, s[26:27]
	s_and_saveexec_b64 s[26:27], s[24:25]
	s_cbranch_execz .LBB309_222
.LBB309_221:                            ;   in Loop: Header=BB309_10 Depth=1
	v_bfe_u32 v5, v12, 24, 3
	v_ffbh_u32_e32 v6, v5
	v_min_u32_e32 v17, 32, v6
	v_subrev_u32_e32 v6, 28, v17
	v_bfe_u32 v12, v12, 27, 4
	v_lshlrev_b64 v[6:7], v6, v[8:9]
	v_sub_u32_e32 v7, 29, v17
	v_cmp_eq_u32_e64 s[4:5], 0, v12
	v_and_b32_e32 v6, 7, v6
	v_mov_b32_e32 v0, 0x1c00
	v_cndmask_b32_e64 v7, v12, v7, s[4:5]
	v_cndmask_b32_e64 v5, v5, v6, s[4:5]
	v_lshlrev_b32_e32 v6, 8, v8
	v_lshl_add_u32 v7, v7, 10, v0
	v_and_or_b32 v6, v6, s34, v7
	v_lshl_or_b32 v5, v5, 7, v6
	v_cvt_f32_f16_e32 v45, v5
.LBB309_222:                            ;   in Loop: Header=BB309_10 Depth=1
	s_or_b64 exec, exec, s[26:27]
	flat_load_dword v12, v[36:37] offset:3072
	s_mov_b64 s[4:5], 0
                                        ; implicit-def: $sgpr28
	s_waitcnt vmcnt(0) lgkmcnt(0)
	v_cmp_gt_i16_sdwa s[24:25], v12, s17 src0_sel:BYTE_0 src1_sel:DWORD
	s_and_saveexec_b64 s[26:27], s[24:25]
	s_xor_b64 s[24:25], exec, s[26:27]
	s_cbranch_execnz .LBB309_464
; %bb.223:                              ;   in Loop: Header=BB309_10 Depth=1
	s_or_saveexec_b64 s[24:25], s[24:25]
	v_mov_b32_e32 v46, s28
	s_xor_b64 exec, exec, s[24:25]
	s_cbranch_execnz .LBB309_467
.LBB309_224:                            ;   in Loop: Header=BB309_10 Depth=1
	s_or_b64 exec, exec, s[24:25]
	s_and_saveexec_b64 s[24:25], s[4:5]
	s_cbranch_execz .LBB309_226
.LBB309_225:                            ;   in Loop: Header=BB309_10 Depth=1
	v_and_b32_e32 v5, 7, v12
	v_ffbh_u32_e32 v6, v5
	v_min_u32_e32 v17, 32, v6
	v_subrev_u32_e32 v6, 28, v17
	v_bfe_u32 v8, v12, 3, 4
	v_lshlrev_b64 v[6:7], v6, v[12:13]
	v_sub_u32_e32 v7, 29, v17
	v_cmp_eq_u32_e64 s[4:5], 0, v8
	v_and_b32_e32 v6, 7, v6
	v_mov_b32_e32 v0, 0x1c00
	v_cndmask_b32_e64 v7, v8, v7, s[4:5]
	v_cndmask_b32_e64 v5, v5, v6, s[4:5]
	v_lshlrev_b32_e32 v6, 8, v12
	v_lshl_add_u32 v7, v7, 10, v0
	v_and_or_b32 v6, v6, s34, v7
	v_lshl_or_b32 v5, v5, 7, v6
	v_cvt_f32_f16_e32 v46, v5
.LBB309_226:                            ;   in Loop: Header=BB309_10 Depth=1
	s_or_b64 exec, exec, s[24:25]
	v_lshrrev_b16_e32 v8, 8, v12
	v_cmp_lt_i16_e64 s[4:5], s17, v8
	s_mov_b64 s[24:25], 0
                                        ; implicit-def: $sgpr35
	s_and_saveexec_b64 s[26:27], s[4:5]
	s_xor_b64 s[26:27], exec, s[26:27]
	s_cbranch_execnz .LBB309_468
; %bb.227:                              ;   in Loop: Header=BB309_10 Depth=1
	s_or_saveexec_b64 s[26:27], s[26:27]
	v_mov_b32_e32 v47, s35
	s_xor_b64 exec, exec, s[26:27]
	s_cbranch_execnz .LBB309_471
.LBB309_228:                            ;   in Loop: Header=BB309_10 Depth=1
	s_or_b64 exec, exec, s[26:27]
	s_and_saveexec_b64 s[26:27], s[24:25]
	s_cbranch_execz .LBB309_230
.LBB309_229:                            ;   in Loop: Header=BB309_10 Depth=1
	v_and_b32_e32 v5, 7, v8
	v_ffbh_u32_e32 v6, v5
	v_min_u32_e32 v18, 32, v6
	v_subrev_u32_e32 v6, 28, v18
	v_bfe_u32 v17, v8, 3, 4
	v_lshlrev_b64 v[6:7], v6, v[8:9]
	v_sub_u32_e32 v7, 29, v18
	v_cmp_eq_u32_e64 s[4:5], 0, v17
	v_and_b32_e32 v6, 7, v6
	v_mov_b32_e32 v0, 0x1c00
	v_cndmask_b32_e64 v7, v17, v7, s[4:5]
	v_cndmask_b32_e64 v5, v5, v6, s[4:5]
	v_lshlrev_b32_e32 v6, 8, v8
	v_lshl_add_u32 v7, v7, 10, v0
	v_and_or_b32 v6, v6, s34, v7
	v_lshl_or_b32 v5, v5, 7, v6
	v_cvt_f32_f16_e32 v47, v5
.LBB309_230:                            ;   in Loop: Header=BB309_10 Depth=1
	s_or_b64 exec, exec, s[26:27]
	v_lshrrev_b32_e32 v8, 16, v12
	v_cmp_gt_i16_sdwa s[24:25], v8, s17 src0_sel:BYTE_0 src1_sel:DWORD
	s_mov_b64 s[4:5], 0
                                        ; implicit-def: $sgpr28
	s_and_saveexec_b64 s[26:27], s[24:25]
	s_xor_b64 s[24:25], exec, s[26:27]
	s_cbranch_execnz .LBB309_472
; %bb.231:                              ;   in Loop: Header=BB309_10 Depth=1
	s_or_saveexec_b64 s[24:25], s[24:25]
	v_mov_b32_e32 v56, s28
	s_xor_b64 exec, exec, s[24:25]
	s_cbranch_execnz .LBB309_475
.LBB309_232:                            ;   in Loop: Header=BB309_10 Depth=1
	s_or_b64 exec, exec, s[24:25]
	s_and_saveexec_b64 s[24:25], s[4:5]
	s_cbranch_execz .LBB309_234
.LBB309_233:                            ;   in Loop: Header=BB309_10 Depth=1
	v_bfe_u32 v5, v12, 16, 3
	v_ffbh_u32_e32 v6, v5
	v_min_u32_e32 v18, 32, v6
	v_subrev_u32_e32 v6, 28, v18
	v_bfe_u32 v17, v12, 19, 4
	v_lshlrev_b64 v[6:7], v6, v[8:9]
	v_sub_u32_e32 v7, 29, v18
	v_cmp_eq_u32_e64 s[4:5], 0, v17
	v_and_b32_e32 v6, 7, v6
	v_mov_b32_e32 v0, 0x1c00
	v_cndmask_b32_e64 v7, v17, v7, s[4:5]
	v_cndmask_b32_e64 v5, v5, v6, s[4:5]
	v_lshlrev_b32_e32 v6, 8, v8
	v_lshl_add_u32 v7, v7, 10, v0
	v_and_or_b32 v6, v6, s34, v7
	v_lshl_or_b32 v5, v5, 7, v6
	v_cvt_f32_f16_e32 v56, v5
.LBB309_234:                            ;   in Loop: Header=BB309_10 Depth=1
	s_or_b64 exec, exec, s[24:25]
	v_lshrrev_b32_e32 v8, 24, v12
	v_cmp_lt_i16_e64 s[4:5], s17, v8
	s_mov_b64 s[24:25], 0
                                        ; implicit-def: $sgpr35
	s_and_saveexec_b64 s[26:27], s[4:5]
	s_xor_b64 s[26:27], exec, s[26:27]
	s_cbranch_execnz .LBB309_476
; %bb.235:                              ;   in Loop: Header=BB309_10 Depth=1
	s_or_saveexec_b64 s[26:27], s[26:27]
	v_mov_b32_e32 v57, s35
	s_xor_b64 exec, exec, s[26:27]
	s_cbranch_execnz .LBB309_479
.LBB309_236:                            ;   in Loop: Header=BB309_10 Depth=1
	s_or_b64 exec, exec, s[26:27]
	s_and_saveexec_b64 s[26:27], s[24:25]
	s_cbranch_execz .LBB309_238
.LBB309_237:                            ;   in Loop: Header=BB309_10 Depth=1
	v_bfe_u32 v5, v12, 24, 3
	v_ffbh_u32_e32 v6, v5
	v_min_u32_e32 v17, 32, v6
	v_subrev_u32_e32 v6, 28, v17
	v_bfe_u32 v12, v12, 27, 4
	v_lshlrev_b64 v[6:7], v6, v[8:9]
	v_sub_u32_e32 v7, 29, v17
	v_cmp_eq_u32_e64 s[4:5], 0, v12
	v_and_b32_e32 v6, 7, v6
	v_mov_b32_e32 v0, 0x1c00
	v_cndmask_b32_e64 v7, v12, v7, s[4:5]
	v_cndmask_b32_e64 v5, v5, v6, s[4:5]
	v_lshlrev_b32_e32 v6, 8, v8
	v_lshl_add_u32 v7, v7, 10, v0
	v_and_or_b32 v6, v6, s34, v7
	v_lshl_or_b32 v5, v5, 7, v6
	v_cvt_f32_f16_e32 v57, v5
.LBB309_238:                            ;   in Loop: Header=BB309_10 Depth=1
	s_or_b64 exec, exec, s[26:27]
	flat_load_dword v12, v[36:37] offset:3080
	s_mov_b64 s[4:5], 0
                                        ; implicit-def: $sgpr28
	s_waitcnt vmcnt(0) lgkmcnt(0)
	v_cmp_gt_i16_sdwa s[24:25], v12, s17 src0_sel:BYTE_0 src1_sel:DWORD
	s_and_saveexec_b64 s[26:27], s[24:25]
	s_xor_b64 s[24:25], exec, s[26:27]
	s_cbranch_execnz .LBB309_480
; %bb.239:                              ;   in Loop: Header=BB309_10 Depth=1
	s_or_saveexec_b64 s[24:25], s[24:25]
	v_mov_b32_e32 v58, s28
	s_xor_b64 exec, exec, s[24:25]
	s_cbranch_execnz .LBB309_483
.LBB309_240:                            ;   in Loop: Header=BB309_10 Depth=1
	s_or_b64 exec, exec, s[24:25]
	s_and_saveexec_b64 s[24:25], s[4:5]
	s_cbranch_execz .LBB309_242
.LBB309_241:                            ;   in Loop: Header=BB309_10 Depth=1
	v_and_b32_e32 v5, 7, v12
	v_ffbh_u32_e32 v6, v5
	v_min_u32_e32 v17, 32, v6
	v_subrev_u32_e32 v6, 28, v17
	v_bfe_u32 v8, v12, 3, 4
	v_lshlrev_b64 v[6:7], v6, v[12:13]
	v_sub_u32_e32 v7, 29, v17
	v_cmp_eq_u32_e64 s[4:5], 0, v8
	v_and_b32_e32 v6, 7, v6
	v_mov_b32_e32 v0, 0x1c00
	v_cndmask_b32_e64 v7, v8, v7, s[4:5]
	v_cndmask_b32_e64 v5, v5, v6, s[4:5]
	v_lshlrev_b32_e32 v6, 8, v12
	v_lshl_add_u32 v7, v7, 10, v0
	v_and_or_b32 v6, v6, s34, v7
	v_lshl_or_b32 v5, v5, 7, v6
	v_cvt_f32_f16_e32 v58, v5
.LBB309_242:                            ;   in Loop: Header=BB309_10 Depth=1
	s_or_b64 exec, exec, s[24:25]
	v_lshrrev_b16_e32 v8, 8, v12
	v_cmp_lt_i16_e64 s[4:5], s17, v8
	s_mov_b64 s[24:25], 0
                                        ; implicit-def: $sgpr35
	s_and_saveexec_b64 s[26:27], s[4:5]
	s_xor_b64 s[26:27], exec, s[26:27]
	s_cbranch_execnz .LBB309_484
; %bb.243:                              ;   in Loop: Header=BB309_10 Depth=1
	s_or_saveexec_b64 s[26:27], s[26:27]
	v_mov_b32_e32 v21, s35
	s_xor_b64 exec, exec, s[26:27]
	s_cbranch_execnz .LBB309_487
.LBB309_244:                            ;   in Loop: Header=BB309_10 Depth=1
	s_or_b64 exec, exec, s[26:27]
	s_and_saveexec_b64 s[26:27], s[24:25]
	s_cbranch_execz .LBB309_246
.LBB309_245:                            ;   in Loop: Header=BB309_10 Depth=1
	v_and_b32_e32 v5, 7, v8
	v_ffbh_u32_e32 v6, v5
	v_min_u32_e32 v18, 32, v6
	v_subrev_u32_e32 v6, 28, v18
	v_bfe_u32 v17, v8, 3, 4
	v_lshlrev_b64 v[6:7], v6, v[8:9]
	v_sub_u32_e32 v7, 29, v18
	v_cmp_eq_u32_e64 s[4:5], 0, v17
	v_and_b32_e32 v6, 7, v6
	v_mov_b32_e32 v0, 0x1c00
	v_cndmask_b32_e64 v7, v17, v7, s[4:5]
	v_cndmask_b32_e64 v5, v5, v6, s[4:5]
	v_lshlrev_b32_e32 v6, 8, v8
	v_lshl_add_u32 v7, v7, 10, v0
	v_and_or_b32 v6, v6, s34, v7
	v_lshl_or_b32 v5, v5, 7, v6
	v_cvt_f32_f16_e32 v21, v5
.LBB309_246:                            ;   in Loop: Header=BB309_10 Depth=1
	s_or_b64 exec, exec, s[26:27]
	v_lshrrev_b32_e32 v8, 16, v12
	v_cmp_gt_i16_sdwa s[24:25], v8, s17 src0_sel:BYTE_0 src1_sel:DWORD
	s_mov_b64 s[4:5], 0
                                        ; implicit-def: $sgpr28
	s_and_saveexec_b64 s[26:27], s[24:25]
	s_xor_b64 s[24:25], exec, s[26:27]
	s_cbranch_execnz .LBB309_488
; %bb.247:                              ;   in Loop: Header=BB309_10 Depth=1
	s_or_saveexec_b64 s[24:25], s[24:25]
	v_mov_b32_e32 v59, s28
	s_xor_b64 exec, exec, s[24:25]
	s_cbranch_execnz .LBB309_491
.LBB309_248:                            ;   in Loop: Header=BB309_10 Depth=1
	s_or_b64 exec, exec, s[24:25]
	s_and_saveexec_b64 s[24:25], s[4:5]
	s_cbranch_execz .LBB309_250
.LBB309_249:                            ;   in Loop: Header=BB309_10 Depth=1
	v_bfe_u32 v5, v12, 16, 3
	v_ffbh_u32_e32 v6, v5
	v_min_u32_e32 v18, 32, v6
	v_subrev_u32_e32 v6, 28, v18
	v_bfe_u32 v17, v12, 19, 4
	v_lshlrev_b64 v[6:7], v6, v[8:9]
	v_sub_u32_e32 v7, 29, v18
	v_cmp_eq_u32_e64 s[4:5], 0, v17
	v_and_b32_e32 v6, 7, v6
	v_mov_b32_e32 v0, 0x1c00
	v_cndmask_b32_e64 v7, v17, v7, s[4:5]
	v_cndmask_b32_e64 v5, v5, v6, s[4:5]
	v_lshlrev_b32_e32 v6, 8, v8
	v_lshl_add_u32 v7, v7, 10, v0
	v_and_or_b32 v6, v6, s34, v7
	v_lshl_or_b32 v5, v5, 7, v6
	v_cvt_f32_f16_e32 v59, v5
.LBB309_250:                            ;   in Loop: Header=BB309_10 Depth=1
	s_or_b64 exec, exec, s[24:25]
	v_lshrrev_b32_e32 v8, 24, v12
	v_cmp_lt_i16_e64 s[4:5], s17, v8
	s_mov_b64 s[24:25], 0
                                        ; implicit-def: $sgpr35
	s_and_saveexec_b64 s[26:27], s[4:5]
	s_xor_b64 s[26:27], exec, s[26:27]
	s_cbranch_execnz .LBB309_492
; %bb.251:                              ;   in Loop: Header=BB309_10 Depth=1
	s_or_saveexec_b64 s[26:27], s[26:27]
	v_mov_b32_e32 v60, s35
	s_xor_b64 exec, exec, s[26:27]
	s_cbranch_execnz .LBB309_495
.LBB309_252:                            ;   in Loop: Header=BB309_10 Depth=1
	s_or_b64 exec, exec, s[26:27]
	s_and_saveexec_b64 s[26:27], s[24:25]
	s_cbranch_execz .LBB309_254
.LBB309_253:                            ;   in Loop: Header=BB309_10 Depth=1
	v_bfe_u32 v5, v12, 24, 3
	v_ffbh_u32_e32 v6, v5
	v_min_u32_e32 v17, 32, v6
	v_subrev_u32_e32 v6, 28, v17
	v_bfe_u32 v12, v12, 27, 4
	v_lshlrev_b64 v[6:7], v6, v[8:9]
	v_sub_u32_e32 v7, 29, v17
	v_cmp_eq_u32_e64 s[4:5], 0, v12
	v_and_b32_e32 v6, 7, v6
	v_mov_b32_e32 v0, 0x1c00
	v_cndmask_b32_e64 v7, v12, v7, s[4:5]
	v_cndmask_b32_e64 v5, v5, v6, s[4:5]
	v_lshlrev_b32_e32 v6, 8, v8
	v_lshl_add_u32 v7, v7, 10, v0
	v_and_or_b32 v6, v6, s34, v7
	v_lshl_or_b32 v5, v5, 7, v6
	v_cvt_f32_f16_e32 v60, v5
.LBB309_254:                            ;   in Loop: Header=BB309_10 Depth=1
	s_or_b64 exec, exec, s[26:27]
	flat_load_dword v12, v[36:37] offset:3584
	s_mov_b64 s[4:5], 0
                                        ; implicit-def: $sgpr28
	s_waitcnt vmcnt(0) lgkmcnt(0)
	v_cmp_gt_i16_sdwa s[24:25], v12, s17 src0_sel:BYTE_0 src1_sel:DWORD
	s_and_saveexec_b64 s[26:27], s[24:25]
	s_xor_b64 s[24:25], exec, s[26:27]
	s_cbranch_execnz .LBB309_496
; %bb.255:                              ;   in Loop: Header=BB309_10 Depth=1
	s_or_saveexec_b64 s[24:25], s[24:25]
	v_mov_b32_e32 v6, s28
	s_xor_b64 exec, exec, s[24:25]
	s_cbranch_execnz .LBB309_499
.LBB309_256:                            ;   in Loop: Header=BB309_10 Depth=1
	s_or_b64 exec, exec, s[24:25]
	s_and_saveexec_b64 s[24:25], s[4:5]
	s_cbranch_execz .LBB309_258
.LBB309_257:                            ;   in Loop: Header=BB309_10 Depth=1
	v_and_b32_e32 v5, 7, v12
	v_ffbh_u32_e32 v6, v5
	v_min_u32_e32 v17, 32, v6
	v_subrev_u32_e32 v6, 28, v17
	v_bfe_u32 v8, v12, 3, 4
	v_lshlrev_b64 v[6:7], v6, v[12:13]
	v_sub_u32_e32 v7, 29, v17
	v_cmp_eq_u32_e64 s[4:5], 0, v8
	v_and_b32_e32 v6, 7, v6
	v_mov_b32_e32 v0, 0x1c00
	v_cndmask_b32_e64 v7, v8, v7, s[4:5]
	v_cndmask_b32_e64 v5, v5, v6, s[4:5]
	v_lshlrev_b32_e32 v6, 8, v12
	v_lshl_add_u32 v7, v7, 10, v0
	v_and_or_b32 v6, v6, s34, v7
	v_lshl_or_b32 v5, v5, 7, v6
	v_cvt_f32_f16_e32 v6, v5
.LBB309_258:                            ;   in Loop: Header=BB309_10 Depth=1
	s_or_b64 exec, exec, s[24:25]
	v_lshrrev_b16_e32 v8, 8, v12
	v_cmp_lt_i16_e64 s[4:5], s17, v8
	s_mov_b64 s[24:25], 0
                                        ; implicit-def: $sgpr35
	s_and_saveexec_b64 s[26:27], s[4:5]
	s_xor_b64 s[26:27], exec, s[26:27]
	s_cbranch_execnz .LBB309_500
; %bb.259:                              ;   in Loop: Header=BB309_10 Depth=1
	s_or_saveexec_b64 s[26:27], s[26:27]
	v_mov_b32_e32 v7, s35
	s_xor_b64 exec, exec, s[26:27]
	s_cbranch_execnz .LBB309_503
.LBB309_260:                            ;   in Loop: Header=BB309_10 Depth=1
	s_or_b64 exec, exec, s[26:27]
	s_and_saveexec_b64 s[26:27], s[24:25]
	s_cbranch_execz .LBB309_262
.LBB309_261:                            ;   in Loop: Header=BB309_10 Depth=1
	v_and_b32_e32 v5, 7, v8
	v_ffbh_u32_e32 v17, v5
	v_bfe_u32 v7, v8, 3, 4
	v_min_u32_e32 v17, 32, v17
	v_subrev_u32_e32 v18, 28, v17
	v_sub_u32_e32 v17, 29, v17
	v_cmp_eq_u32_e64 s[4:5], 0, v7
	v_lshlrev_b64 v[18:19], v18, v[8:9]
	v_mov_b32_e32 v0, 0x1c00
	v_cndmask_b32_e64 v7, v7, v17, s[4:5]
	v_and_b32_e32 v18, 7, v18
	v_lshlrev_b32_e32 v8, 8, v8
	v_lshl_add_u32 v7, v7, 10, v0
	v_cndmask_b32_e64 v5, v5, v18, s[4:5]
	v_and_or_b32 v7, v8, s34, v7
	v_lshl_or_b32 v5, v5, 7, v7
	v_cvt_f32_f16_e32 v7, v5
.LBB309_262:                            ;   in Loop: Header=BB309_10 Depth=1
	s_or_b64 exec, exec, s[26:27]
	v_lshrrev_b32_e32 v8, 16, v12
	v_cmp_gt_i16_sdwa s[24:25], v8, s17 src0_sel:BYTE_0 src1_sel:DWORD
	s_mov_b64 s[4:5], 0
                                        ; implicit-def: $sgpr28
	s_and_saveexec_b64 s[26:27], s[24:25]
	s_xor_b64 s[24:25], exec, s[26:27]
	s_cbranch_execnz .LBB309_504
; %bb.263:                              ;   in Loop: Header=BB309_10 Depth=1
	s_or_saveexec_b64 s[24:25], s[24:25]
	v_mov_b32_e32 v26, s28
	s_xor_b64 exec, exec, s[24:25]
	s_cbranch_execnz .LBB309_507
.LBB309_264:                            ;   in Loop: Header=BB309_10 Depth=1
	s_or_b64 exec, exec, s[24:25]
	s_and_saveexec_b64 s[24:25], s[4:5]
	s_cbranch_execz .LBB309_266
.LBB309_265:                            ;   in Loop: Header=BB309_10 Depth=1
	v_bfe_u32 v5, v12, 16, 3
	v_ffbh_u32_e32 v18, v5
	v_min_u32_e32 v20, 32, v18
	v_subrev_u32_e32 v18, 28, v20
	v_bfe_u32 v17, v12, 19, 4
	v_lshlrev_b64 v[18:19], v18, v[8:9]
	v_sub_u32_e32 v19, 29, v20
	v_cmp_eq_u32_e64 s[4:5], 0, v17
	v_mov_b32_e32 v0, 0x1c00
	v_and_b32_e32 v18, 7, v18
	v_cndmask_b32_e64 v17, v17, v19, s[4:5]
	v_lshlrev_b32_e32 v8, 8, v8
	v_lshl_add_u32 v17, v17, 10, v0
	v_cndmask_b32_e64 v5, v5, v18, s[4:5]
	v_and_or_b32 v8, v8, s34, v17
	v_lshl_or_b32 v5, v5, 7, v8
	v_cvt_f32_f16_e32 v26, v5
.LBB309_266:                            ;   in Loop: Header=BB309_10 Depth=1
	s_or_b64 exec, exec, s[24:25]
	v_lshrrev_b32_e32 v8, 24, v12
	v_cmp_lt_i16_e64 s[4:5], s17, v8
	s_mov_b64 s[24:25], 0
                                        ; implicit-def: $sgpr35
	s_and_saveexec_b64 s[26:27], s[4:5]
	s_xor_b64 s[26:27], exec, s[26:27]
	s_cbranch_execnz .LBB309_508
; %bb.267:                              ;   in Loop: Header=BB309_10 Depth=1
	s_or_saveexec_b64 s[26:27], s[26:27]
	v_mov_b32_e32 v27, s35
	s_xor_b64 exec, exec, s[26:27]
	s_cbranch_execnz .LBB309_511
.LBB309_268:                            ;   in Loop: Header=BB309_10 Depth=1
	s_or_b64 exec, exec, s[26:27]
	s_and_saveexec_b64 s[26:27], s[24:25]
	s_cbranch_execz .LBB309_270
.LBB309_269:                            ;   in Loop: Header=BB309_10 Depth=1
	v_bfe_u32 v5, v12, 24, 3
	v_ffbh_u32_e32 v17, v5
	v_bfe_u32 v12, v12, 27, 4
	v_min_u32_e32 v17, 32, v17
	v_subrev_u32_e32 v18, 28, v17
	v_sub_u32_e32 v17, 29, v17
	v_cmp_eq_u32_e64 s[4:5], 0, v12
	v_lshlrev_b64 v[18:19], v18, v[8:9]
	v_mov_b32_e32 v0, 0x1c00
	v_cndmask_b32_e64 v12, v12, v17, s[4:5]
	v_and_b32_e32 v18, 7, v18
	v_lshlrev_b32_e32 v8, 8, v8
	v_lshl_add_u32 v12, v12, 10, v0
	v_cndmask_b32_e64 v5, v5, v18, s[4:5]
	v_and_or_b32 v8, v8, s34, v12
	v_lshl_or_b32 v5, v5, 7, v8
	v_cvt_f32_f16_e32 v27, v5
.LBB309_270:                            ;   in Loop: Header=BB309_10 Depth=1
	s_or_b64 exec, exec, s[26:27]
	flat_load_dword v12, v[36:37] offset:3592
	s_mov_b64 s[4:5], 0
                                        ; implicit-def: $sgpr28
	s_waitcnt vmcnt(0) lgkmcnt(0)
	v_cmp_gt_i16_sdwa s[24:25], v12, s17 src0_sel:BYTE_0 src1_sel:DWORD
	s_and_saveexec_b64 s[26:27], s[24:25]
	s_xor_b64 s[24:25], exec, s[26:27]
	s_cbranch_execnz .LBB309_512
; %bb.271:                              ;   in Loop: Header=BB309_10 Depth=1
	s_or_saveexec_b64 s[24:25], s[24:25]
	v_mov_b32_e32 v61, s28
	s_xor_b64 exec, exec, s[24:25]
	s_cbranch_execnz .LBB309_515
.LBB309_272:                            ;   in Loop: Header=BB309_10 Depth=1
	s_or_b64 exec, exec, s[24:25]
	s_and_saveexec_b64 s[24:25], s[4:5]
	s_cbranch_execz .LBB309_274
.LBB309_273:                            ;   in Loop: Header=BB309_10 Depth=1
	v_and_b32_e32 v5, 7, v12
	v_ffbh_u32_e32 v17, v5
	v_bfe_u32 v8, v12, 3, 4
	v_min_u32_e32 v17, 32, v17
	v_subrev_u32_e32 v18, 28, v17
	v_sub_u32_e32 v17, 29, v17
	v_cmp_eq_u32_e64 s[4:5], 0, v8
	v_lshlrev_b64 v[18:19], v18, v[12:13]
	v_mov_b32_e32 v0, 0x1c00
	v_cndmask_b32_e64 v8, v8, v17, s[4:5]
	v_and_b32_e32 v18, 7, v18
	v_lshlrev_b32_e32 v17, 8, v12
	v_lshl_add_u32 v8, v8, 10, v0
	v_cndmask_b32_e64 v5, v5, v18, s[4:5]
	v_and_or_b32 v8, v17, s34, v8
	v_lshl_or_b32 v5, v5, 7, v8
	v_cvt_f32_f16_e32 v61, v5
.LBB309_274:                            ;   in Loop: Header=BB309_10 Depth=1
	s_or_b64 exec, exec, s[24:25]
	v_lshrrev_b16_e32 v8, 8, v12
	v_cmp_lt_i16_e64 s[4:5], s17, v8
	s_mov_b64 s[24:25], 0
                                        ; implicit-def: $sgpr35
	s_and_saveexec_b64 s[26:27], s[4:5]
	s_xor_b64 s[26:27], exec, s[26:27]
	s_cbranch_execnz .LBB309_516
; %bb.275:                              ;   in Loop: Header=BB309_10 Depth=1
	s_or_saveexec_b64 s[26:27], s[26:27]
	v_mov_b32_e32 v17, s35
	s_xor_b64 exec, exec, s[26:27]
	s_cbranch_execnz .LBB309_519
.LBB309_276:                            ;   in Loop: Header=BB309_10 Depth=1
	s_or_b64 exec, exec, s[26:27]
	s_and_saveexec_b64 s[26:27], s[24:25]
	s_cbranch_execz .LBB309_278
.LBB309_277:                            ;   in Loop: Header=BB309_10 Depth=1
	v_and_b32_e32 v5, 7, v8
	v_ffbh_u32_e32 v18, v5
	v_min_u32_e32 v20, 32, v18
	v_subrev_u32_e32 v18, 28, v20
	v_bfe_u32 v17, v8, 3, 4
	v_lshlrev_b64 v[18:19], v18, v[8:9]
	v_sub_u32_e32 v19, 29, v20
	v_cmp_eq_u32_e64 s[4:5], 0, v17
	v_mov_b32_e32 v0, 0x1c00
	v_and_b32_e32 v18, 7, v18
	v_cndmask_b32_e64 v17, v17, v19, s[4:5]
	v_lshlrev_b32_e32 v8, 8, v8
	v_lshl_add_u32 v17, v17, 10, v0
	v_cndmask_b32_e64 v5, v5, v18, s[4:5]
	v_and_or_b32 v8, v8, s34, v17
	v_lshl_or_b32 v5, v5, 7, v8
	v_cvt_f32_f16_e32 v17, v5
.LBB309_278:                            ;   in Loop: Header=BB309_10 Depth=1
	s_or_b64 exec, exec, s[26:27]
	v_lshrrev_b32_e32 v8, 16, v12
	v_cmp_gt_i16_sdwa s[24:25], v8, s17 src0_sel:BYTE_0 src1_sel:DWORD
	s_mov_b64 s[4:5], 0
                                        ; implicit-def: $sgpr28
	s_and_saveexec_b64 s[26:27], s[24:25]
	s_xor_b64 s[24:25], exec, s[26:27]
	s_cbranch_execnz .LBB309_520
; %bb.279:                              ;   in Loop: Header=BB309_10 Depth=1
	s_or_saveexec_b64 s[24:25], s[24:25]
	v_mov_b32_e32 v19, s28
	s_xor_b64 exec, exec, s[24:25]
	s_cbranch_execnz .LBB309_523
.LBB309_280:                            ;   in Loop: Header=BB309_10 Depth=1
	s_or_b64 exec, exec, s[24:25]
	s_and_saveexec_b64 s[24:25], s[4:5]
	s_cbranch_execz .LBB309_282
.LBB309_281:                            ;   in Loop: Header=BB309_10 Depth=1
	v_bfe_u32 v5, v12, 16, 3
	v_ffbh_u32_e32 v18, v5
	v_min_u32_e32 v36, 32, v18
	v_subrev_u32_e32 v18, 28, v36
	v_bfe_u32 v20, v12, 19, 4
	v_lshlrev_b64 v[18:19], v18, v[8:9]
	v_sub_u32_e32 v19, 29, v36
	v_cmp_eq_u32_e64 s[4:5], 0, v20
	v_and_b32_e32 v18, 7, v18
	v_mov_b32_e32 v0, 0x1c00
	v_cndmask_b32_e64 v19, v20, v19, s[4:5]
	v_cndmask_b32_e64 v5, v5, v18, s[4:5]
	v_lshlrev_b32_e32 v8, 8, v8
	v_lshl_add_u32 v18, v19, 10, v0
	v_and_or_b32 v8, v8, s34, v18
	v_lshl_or_b32 v5, v5, 7, v8
	v_cvt_f32_f16_e32 v19, v5
.LBB309_282:                            ;   in Loop: Header=BB309_10 Depth=1
	s_or_b64 exec, exec, s[24:25]
	v_lshrrev_b32_e32 v8, 24, v12
	v_cmp_lt_i16_e64 s[4:5], s17, v8
	s_mov_b64 s[24:25], 0
                                        ; implicit-def: $sgpr35
	s_and_saveexec_b64 s[26:27], s[4:5]
	s_xor_b64 s[26:27], exec, s[26:27]
	s_cbranch_execz .LBB309_286
; %bb.283:                              ;   in Loop: Header=BB309_10 Depth=1
	v_cmp_eq_u16_e64 s[4:5], s31, v8
	s_mov_b64 s[24:25], -1
                                        ; implicit-def: $sgpr35
	s_and_saveexec_b64 s[28:29], s[4:5]
; %bb.284:                              ;   in Loop: Header=BB309_10 Depth=1
	s_mov_b32 s35, 0x7fc02000
	s_xor_b64 s[24:25], exec, -1
; %bb.285:                              ;   in Loop: Header=BB309_10 Depth=1
	s_or_b64 exec, exec, s[28:29]
	s_and_b64 s[24:25], s[24:25], exec
.LBB309_286:                            ;   in Loop: Header=BB309_10 Depth=1
	s_or_saveexec_b64 s[26:27], s[26:27]
	v_mov_b32_e32 v48, s35
	s_xor_b64 exec, exec, s[26:27]
; %bb.287:                              ;   in Loop: Header=BB309_10 Depth=1
	v_cmp_ne_u16_e64 s[4:5], 0, v8
	s_andn2_b64 s[24:25], s[24:25], exec
	s_and_b64 s[4:5], s[4:5], exec
	v_mov_b32_e32 v48, 0
	s_or_b64 s[24:25], s[24:25], s[4:5]
; %bb.288:                              ;   in Loop: Header=BB309_10 Depth=1
	s_or_b64 exec, exec, s[26:27]
	v_accvgpr_write_b32 a45, v62
	v_accvgpr_write_b32 a43, v52
	;; [unrolled: 1-line block ×4, first 2 shown]
	s_and_saveexec_b64 s[26:27], s[24:25]
	s_cbranch_execz .LBB309_290
; %bb.289:                              ;   in Loop: Header=BB309_10 Depth=1
	v_bfe_u32 v5, v12, 24, 3
	v_ffbh_u32_e32 v18, v5
	v_bfe_u32 v12, v12, 27, 4
	v_min_u32_e32 v18, 32, v18
	v_subrev_u32_e32 v20, 28, v18
	v_sub_u32_e32 v18, 29, v18
	v_cmp_eq_u32_e64 s[4:5], 0, v12
	v_lshlrev_b64 v[36:37], v20, v[8:9]
	v_mov_b32_e32 v0, 0x1c00
	v_cndmask_b32_e64 v12, v12, v18, s[4:5]
	v_and_b32_e32 v20, 7, v36
	v_lshlrev_b32_e32 v8, 8, v8
	v_lshl_add_u32 v12, v12, 10, v0
	v_cndmask_b32_e64 v5, v5, v20, s[4:5]
	v_and_or_b32 v8, v8, s34, v12
	v_lshl_or_b32 v5, v5, 7, v8
	v_cvt_f32_f16_e32 v48, v5
.LBB309_290:                            ;   in Loop: Header=BB309_10 Depth=1
	s_or_b64 exec, exec, s[26:27]
	v_accvgpr_read_b32 v4, a48
	v_fma_mixlo_f16 v20, v41, v4, 0
	scratch_load_dword v4, off, s32 offset:140 ; 4-byte Folded Reload
	v_accvgpr_read_b32 v0, a34
	ds_read_b64 v[36:37], v0
	v_fma_mixlo_f16 v49, v41, v29, 0
	v_fma_mixlo_f16 v62, v41, v28, 0
	v_and_b32_e32 v20, 0xffff, v20
	v_fma_mixlo_f16 v35, v41, v35, 0
	s_waitcnt lgkmcnt(0)
	v_lshrrev_b32_e32 v5, 16, v36
	v_and_b32_e32 v8, 0xffff, v36
	v_lshrrev_b32_e32 v12, 16, v37
	v_and_b32_e32 v18, 0xffff, v37
	v_fma_mixlo_f16 v40, v41, v40, 0
	v_fma_mixlo_f16 v58, v41, v58, 0
	;; [unrolled: 1-line block ×10, first 2 shown]
	v_and_b32_e32 v11, 0xffff, v11
	s_waitcnt vmcnt(0)
	v_fma_mixlo_f16 v36, v41, v4, 0
	v_accvgpr_read_b32 v4, a46
	v_fma_mixlo_f16 v37, v41, v4, 0
	;;#ASMSTART
	v_cvt_f32_f16 v4, v8;
	;;#ASMEND
	v_and_b32_e32 v8, 0xffff, v37
	;;#ASMSTART
	v_cvt_f32_f16 v5, v5;
	;;#ASMEND
	;;#ASMSTART
	v_cvt_f32_f16 v38, v8;
	;;#ASMEND
	v_and_b32_e32 v8, 0xffff, v36
	;;#ASMSTART
	v_cvt_f32_f16 v28, v8;
	;;#ASMEND
	v_and_b32_e32 v8, 0xffff, v49
	;;#ASMSTART
	v_cvt_f32_f16 v18, v18;
	;;#ASMEND
	;;#ASMSTART
	v_cvt_f32_f16 v29, v12;
	;;#ASMEND
	;; [unrolled: 3-line block ×3, first 2 shown]
	v_and_b32_e32 v8, 0xffff, v62
	;;#ASMSTART
	v_cvt_f32_f16 v52, v8;
	;;#ASMEND
	ds_read_b64 v[36:37], v0 offset:8
	s_waitcnt lgkmcnt(0)
	v_and_b32_e32 v8, 0xffff, v36
	;;#ASMSTART
	v_cvt_f32_f16 v8, v8;
	;;#ASMEND
	v_lshrrev_b32_e32 v12, 16, v36
	;;#ASMSTART
	v_cvt_f32_f16 v12, v12;
	;;#ASMEND
	;;#ASMSTART
	v_cvt_f32_f16 v20, v20;
	;;#ASMEND
	s_nop 0
	v_mul_f32_e32 v8, v8, v20
	v_fmac_f32_e32 v8, v4, v38
	scratch_load_dword v4, off, s32 offset:148 ; 4-byte Folded Reload
	s_waitcnt vmcnt(0)
	v_fma_mixlo_f16 v4, v41, v4, 0
	v_and_b32_e32 v4, 0xffff, v4
	;;#ASMSTART
	v_cvt_f32_f16 v4, v4;
	;;#ASMEND
	scratch_load_dword v20, off, s32 offset:152 ; 4-byte Folded Reload
	v_mul_f32_e32 v12, v12, v4
	v_fmac_f32_e32 v12, v5, v28
	v_and_b32_e32 v5, 0xffff, v37
	v_lshrrev_b32_e32 v4, 16, v37
	;;#ASMSTART
	v_cvt_f32_f16 v5, v5;
	;;#ASMEND
	;;#ASMSTART
	v_cvt_f32_f16 v4, v4;
	;;#ASMEND
	s_waitcnt vmcnt(0)
	v_fma_mixlo_f16 v20, v41, v20, 0
	v_and_b32_e32 v20, 0xffff, v20
	;;#ASMSTART
	v_cvt_f32_f16 v20, v20;
	;;#ASMEND
	s_nop 0
	v_mul_f32_e32 v62, v5, v20
	v_fma_mixlo_f16 v5, v41, v34, 0
	v_and_b32_e32 v5, 0xffff, v5
	;;#ASMSTART
	v_cvt_f32_f16 v5, v5;
	;;#ASMEND
	ds_read_b64 v[36:37], v0 offset:16
	v_fmac_f32_e32 v62, v18, v49
	v_mul_f32_e32 v49, v4, v5
	v_accvgpr_read_b32 v4, a49
	v_fma_mixlo_f16 v4, v41, v4, 0
	s_waitcnt lgkmcnt(0)
	v_and_b32_e32 v5, 0xffff, v36
	v_lshrrev_b32_e32 v18, 16, v36
	v_and_b32_e32 v4, 0xffff, v4
	;;#ASMSTART
	v_cvt_f32_f16 v5, v5;
	;;#ASMEND
	;;#ASMSTART
	v_cvt_f32_f16 v18, v18;
	;;#ASMEND
	;;#ASMSTART
	v_cvt_f32_f16 v4, v4;
	;;#ASMEND
	v_fmac_f32_e32 v49, v29, v52
	v_fmac_f32_e32 v8, v5, v4
	v_accvgpr_read_b32 v4, a41
	v_fma_mixlo_f16 v4, v41, v4, 0
	v_and_b32_e32 v4, 0xffff, v4
	;;#ASMSTART
	v_cvt_f32_f16 v4, v4;
	;;#ASMEND
	v_and_b32_e32 v5, 0xffff, v37
	v_fmac_f32_e32 v12, v18, v4
	v_accvgpr_read_b32 v18, a42
	v_fma_mixlo_f16 v18, v41, v18, 0
	v_lshrrev_b32_e32 v4, 16, v37
	;;#ASMSTART
	v_cvt_f32_f16 v5, v5;
	;;#ASMEND
	v_and_b32_e32 v18, 0xffff, v18
	;;#ASMSTART
	v_cvt_f32_f16 v4, v4;
	;;#ASMEND
	;;#ASMSTART
	v_cvt_f32_f16 v18, v18;
	;;#ASMEND
	v_fma_mixlo_f16 v20, v41, v1, 0
	v_fmac_f32_e32 v62, v5, v18
	v_accvgpr_read_b32 v5, a43
	v_fma_mixlo_f16 v5, v41, v5, 0
	v_and_b32_e32 v5, 0xffff, v5
	;;#ASMSTART
	v_cvt_f32_f16 v5, v5;
	;;#ASMEND
	ds_read_b64 v[36:37], v0 offset:24
	v_fmac_f32_e32 v49, v4, v5
	v_accvgpr_read_b32 v4, a44
	v_fma_mixlo_f16 v4, v41, v4, 0
	v_accvgpr_read_b32 v1, a51
	s_waitcnt lgkmcnt(0)
	v_and_b32_e32 v5, 0xffff, v36
	v_and_b32_e32 v4, 0xffff, v4
	v_fma_mixlo_f16 v38, v41, v1, 0
	v_accvgpr_read_b32 v1, a50
	;;#ASMSTART
	v_cvt_f32_f16 v5, v5;
	;;#ASMEND
	v_lshrrev_b32_e32 v18, 16, v36
	;;#ASMSTART
	v_cvt_f32_f16 v28, v18;
	;;#ASMEND
	;;#ASMSTART
	v_cvt_f32_f16 v4, v4;
	;;#ASMEND
	v_fma_mixlo_f16 v52, v41, v1, 0
	v_accvgpr_read_b32 v1, a47
	v_fmac_f32_e32 v8, v5, v4
	v_fma_mixlo_f16 v4, v41, v39, 0
	v_fma_mixlo_f16 v39, v41, v50, 0
	;; [unrolled: 1-line block ×4, first 2 shown]
	v_accvgpr_read_b32 v1, a45
	v_fma_mixlo_f16 v29, v41, v1, 0
	scratch_load_dword v1, off, s32 offset:144 ; 4-byte Folded Reload
	v_fma_mixlo_f16 v36, v41, v7, 0
	v_fma_mixlo_f16 v7, v41, v26, 0
	;; [unrolled: 1-line block ×24, first 2 shown]
	v_and_b32_e32 v17, 0xffff, v29
	v_fma_mixlo_f16 v34, v41, v55, 0
	v_fma_mixlo_f16 v5, v41, v10, 0
	;; [unrolled: 1-line block ×4, first 2 shown]
	v_and_b32_e32 v16, 0xffff, v16
	v_and_b32_e32 v4, 0xffff, v4
	;; [unrolled: 1-line block ×4, first 2 shown]
	s_waitcnt vmcnt(0)
	v_fma_mixlo_f16 v23, v41, v1, 0
	scratch_load_dword v1, off, s32 offset:156 ; 4-byte Folded Reload
	;;#ASMSTART
	v_cvt_f32_f16 v17, v17;
	;;#ASMEND
	v_and_b32_e32 v23, 0xffff, v23
	v_fmac_f32_e32 v12, v28, v17
	v_lshrrev_b32_e32 v17, 16, v37
	s_waitcnt vmcnt(0)
	v_fma_mixlo_f16 v55, v41, v1, 0
	v_fma_mixlo_f16 v1, v41, v19, 0
	v_and_b32_e32 v19, 0xffff, v37
	v_and_b32_e32 v28, 0xffff, v55
	;;#ASMSTART
	v_cvt_f32_f16 v19, v19;
	;;#ASMEND
	;;#ASMSTART
	v_cvt_f32_f16 v17, v17;
	;;#ASMEND
	;; [unrolled: 3-line block ×4, first 2 shown]
	ds_read_b64 v[28:29], v0 offset:32
	v_fmac_f32_e32 v62, v19, v23
	v_fmac_f32_e32 v49, v17, v37
	v_and_b32_e32 v23, 0xffff, v53
	v_fma_mixlo_f16 v41, v41, v48, 0
	s_waitcnt lgkmcnt(0)
	v_lshrrev_b32_e32 v17, 16, v28
	v_and_b32_e32 v19, 0xffff, v28
	v_and_b32_e32 v28, 0xffff, v35
	;;#ASMSTART
	v_cvt_f32_f16 v19, v19;
	;;#ASMEND
	;;#ASMSTART
	v_cvt_f32_f16 v17, v17;
	;;#ASMEND
	;; [unrolled: 3-line block ×4, first 2 shown]
	v_lshrrev_b32_e32 v28, 16, v29
	v_and_b32_e32 v29, 0xffff, v29
	;;#ASMSTART
	v_cvt_f32_f16 v37, v29;
	;;#ASMEND
	;;#ASMSTART
	v_cvt_f32_f16 v48, v28;
	;;#ASMEND
	v_and_b32_e32 v28, 0xffff, v40
	;;#ASMSTART
	v_cvt_f32_f16 v53, v28;
	;;#ASMEND
	;;#ASMSTART
	v_cvt_f32_f16 v16, v16;
	;;#ASMEND
	ds_read_b64 v[28:29], v0 offset:40
	v_fmac_f32_e32 v8, v19, v23
	v_fmac_f32_e32 v12, v17, v35
	v_fmac_f32_e32 v49, v48, v16
	v_and_b32_e32 v19, 0xffff, v52
	s_waitcnt lgkmcnt(0)
	v_lshrrev_b32_e32 v16, 16, v28
	v_and_b32_e32 v17, 0xffff, v28
	v_and_b32_e32 v23, 0xffff, v50
	v_lshrrev_b32_e32 v28, 16, v29
	v_fmac_f32_e32 v62, v37, v53
	;;#ASMSTART
	v_cvt_f32_f16 v17, v17;
	;;#ASMEND
	;;#ASMSTART
	v_cvt_f32_f16 v16, v16;
	;;#ASMEND
	;; [unrolled: 3-line block ×4, first 2 shown]
	v_and_b32_e32 v29, 0xffff, v29
	;;#ASMSTART
	v_cvt_f32_f16 v35, v29;
	;;#ASMEND
	;;#ASMSTART
	v_cvt_f32_f16 v37, v28;
	;;#ASMEND
	v_and_b32_e32 v28, 0xffff, v54
	;;#ASMSTART
	v_cvt_f32_f16 v48, v28;
	;;#ASMEND
	v_and_b32_e32 v28, 0xffff, v34
	;;#ASMSTART
	v_cvt_f32_f16 v34, v28;
	;;#ASMEND
	ds_read_b64 v[28:29], v0 offset:48
	v_fmac_f32_e32 v8, v17, v19
	v_fmac_f32_e32 v12, v16, v23
	v_and_b32_e32 v19, 0xffff, v38
	v_fmac_f32_e32 v49, v37, v34
	s_waitcnt lgkmcnt(0)
	v_lshrrev_b32_e32 v16, 16, v28
	v_and_b32_e32 v17, 0xffff, v28
	v_and_b32_e32 v28, 0xffff, v29
	;;#ASMSTART
	v_cvt_f32_f16 v17, v17;
	;;#ASMEND
	;;#ASMSTART
	v_cvt_f32_f16 v16, v16;
	;;#ASMEND
	;; [unrolled: 3-line block ×4, first 2 shown]
	v_lshrrev_b32_e32 v23, 16, v29
	;;#ASMSTART
	v_cvt_f32_f16 v34, v28;
	;;#ASMEND
	v_and_b32_e32 v28, 0xffff, v39
	v_fmac_f32_e32 v62, v35, v48
	;;#ASMSTART
	v_cvt_f32_f16 v23, v23;
	;;#ASMEND
	;;#ASMSTART
	v_cvt_f32_f16 v35, v28;
	;;#ASMEND
	;; [unrolled: 3-line block ×3, first 2 shown]
	ds_read_b64 v[28:29], v0 offset:56
	v_fmac_f32_e32 v12, v16, v4
	v_fmac_f32_e32 v49, v23, v11
	;; [unrolled: 1-line block ×4, first 2 shown]
	s_waitcnt lgkmcnt(0)
	v_lshrrev_b32_e32 v4, 16, v28
	v_and_b32_e32 v11, 0xffff, v28
	;;#ASMSTART
	v_cvt_f32_f16 v11, v11;
	;;#ASMEND
	;;#ASMSTART
	v_cvt_f32_f16 v16, v4;
	;;#ASMEND
	v_and_b32_e32 v4, 0xffff, v5
	;;#ASMSTART
	v_cvt_f32_f16 v17, v4;
	;;#ASMEND
	v_and_b32_e32 v4, 0xffff, v20
	;;#ASMSTART
	v_cvt_f32_f16 v19, v4;
	;;#ASMEND
	v_lshrrev_b32_e32 v4, 16, v29
	v_and_b32_e32 v5, 0xffff, v29
	;;#ASMSTART
	v_cvt_f32_f16 v20, v5;
	;;#ASMEND
	;;#ASMSTART
	v_cvt_f32_f16 v23, v4;
	;;#ASMEND
	v_and_b32_e32 v4, 0xffff, v33
	;;#ASMSTART
	v_cvt_f32_f16 v28, v4;
	;;#ASMEND
	v_and_b32_e32 v4, 0xffff, v10
	;;#ASMSTART
	v_cvt_f32_f16 v10, v4;
	;;#ASMEND
	ds_read_b64 v[4:5], v0 offset:64
	v_fmac_f32_e32 v49, v23, v10
	v_fmac_f32_e32 v8, v11, v17
	v_fmac_f32_e32 v12, v16, v19
	v_fmac_f32_e32 v62, v20, v28
	s_waitcnt lgkmcnt(0)
	v_lshrrev_b32_e32 v10, 16, v4
	v_and_b32_e32 v4, 0xffff, v4
	;;#ASMSTART
	v_cvt_f32_f16 v11, v4;
	;;#ASMEND
	v_and_b32_e32 v4, 0xffff, v32
	;;#ASMSTART
	v_cvt_f32_f16 v10, v10;
	;;#ASMEND
	;;#ASMSTART
	v_cvt_f32_f16 v16, v4;
	;;#ASMEND
	v_and_b32_e32 v4, 0xffff, v15
	;;#ASMSTART
	v_cvt_f32_f16 v15, v4;
	;;#ASMEND
	v_lshrrev_b32_e32 v4, 16, v5
	v_and_b32_e32 v5, 0xffff, v5
	;;#ASMSTART
	v_cvt_f32_f16 v17, v5;
	;;#ASMEND
	;;#ASMSTART
	v_cvt_f32_f16 v19, v4;
	;;#ASMEND
	v_and_b32_e32 v4, 0xffff, v14
	;;#ASMSTART
	v_cvt_f32_f16 v14, v4;
	;;#ASMEND
	v_and_b32_e32 v4, 0xffff, v13
	;;#ASMSTART
	v_cvt_f32_f16 v13, v4;
	;;#ASMEND
	ds_read_b64 v[4:5], v0 offset:72
	v_fmac_f32_e32 v12, v10, v15
	v_fmac_f32_e32 v8, v11, v16
	v_fmac_f32_e32 v49, v19, v13
	v_fmac_f32_e32 v62, v17, v14
	s_waitcnt lgkmcnt(0)
	v_lshrrev_b32_e32 v10, 16, v4
	v_and_b32_e32 v4, 0xffff, v4
	;;#ASMSTART
	v_cvt_f32_f16 v11, v4;
	;;#ASMEND
	v_and_b32_e32 v4, 0xffff, v45
	;;#ASMSTART
	v_cvt_f32_f16 v10, v10;
	;;#ASMEND
	;; [unrolled: 38-line block ×7, first 2 shown]
	;;#ASMSTART
	v_cvt_f32_f16 v13, v4;
	;;#ASMEND
	v_and_b32_e32 v4, 0xffff, v36
	;;#ASMSTART
	v_cvt_f32_f16 v14, v4;
	;;#ASMEND
	v_lshrrev_b32_e32 v4, 16, v5
	v_and_b32_e32 v5, 0xffff, v5
	;;#ASMSTART
	v_cvt_f32_f16 v15, v5;
	;;#ASMEND
	;;#ASMSTART
	v_cvt_f32_f16 v16, v4;
	;;#ASMEND
	v_and_b32_e32 v4, 0xffff, v7
	;;#ASMSTART
	v_cvt_f32_f16 v7, v4;
	;;#ASMEND
	v_and_b32_e32 v4, 0xffff, v6
	;;#ASMSTART
	v_cvt_f32_f16 v6, v4;
	;;#ASMEND
	ds_read_b64 v[4:5], v0 offset:120
	v_fmac_f32_e32 v49, v16, v6
	v_fmac_f32_e32 v8, v11, v13
	;; [unrolled: 1-line block ×3, first 2 shown]
	v_and_b32_e32 v1, 0xffff, v1
	s_waitcnt lgkmcnt(0)
	v_lshrrev_b32_e32 v6, 16, v4
	v_and_b32_e32 v4, 0xffff, v4
	;;#ASMSTART
	v_cvt_f32_f16 v4, v4;
	;;#ASMEND
	;;#ASMSTART
	v_cvt_f32_f16 v6, v6;
	;;#ASMEND
	;; [unrolled: 3-line block ×4, first 2 shown]
	v_and_b32_e32 v0, 0xffff, v41
	v_fmac_f32_e32 v8, v4, v3
	v_fmac_f32_e32 v12, v6, v2
	v_lshrrev_b32_e32 v2, 16, v5
	v_and_b32_e32 v3, 0xffff, v5
	v_fmac_f32_e32 v62, v15, v7
	;;#ASMSTART
	v_cvt_f32_f16 v3, v3;
	;;#ASMEND
	;;#ASMSTART
	v_cvt_f32_f16 v2, v2;
	;;#ASMEND
	;; [unrolled: 3-line block ×4, first 2 shown]
	s_nop 0
	v_fmac_f32_e32 v62, v3, v1
	v_fmac_f32_e32 v49, v2, v0
	v_add_f32_e32 v0, v8, v12
	v_add_f32_e32 v0, v0, v62
	v_accvgpr_read_b32 v3, a29
	v_add_f32_e32 v1, v49, v0
	v_and_b32_e32 v0, 64, v3
	v_xor_b32_e32 v2, 1, v3
	v_add_u32_e32 v0, 64, v0
	v_cmp_lt_i32_e64 s[4:5], v2, v0
	s_nop 1
	v_cndmask_b32_e64 v2, v3, v2, s[4:5]
	v_lshlrev_b32_e32 v2, 2, v2
	ds_bpermute_b32 v2, v2, v1
	s_mov_b64 s[24:25], exec
	s_and_b64 s[4:5], s[24:25], vcc
	v_accvgpr_read_b32 v6, a40
	s_mov_b64 exec, s[4:5]
	s_cbranch_execz .LBB309_9
; %bb.291:                              ;   in Loop: Header=BB309_10 Depth=1
	s_waitcnt lgkmcnt(0)
	v_add_f32_e32 v1, v1, v2
	scratch_load_dword v2, off, s32 offset:164 ; 4-byte Folded Reload
	v_accvgpr_read_b32 v3, a35
	v_accvgpr_read_b32 v5, a38
	v_add_u32_e32 v3, v3, v5
	v_cvt_f32_i32_e32 v3, v3
	s_load_dword s4, s[8:9], 0x0
	v_accvgpr_read_b32 v4, a28
	s_waitcnt vmcnt(0)
	v_mul_f32_e32 v2, v2, v3
	v_cndmask_b32_e64 v2, 0, v2, s[2:3]
	v_accvgpr_read_b32 v3, a39
	v_fmac_f32_e32 v2, v1, v4
	v_accvgpr_read_b32 v4, a8
	s_waitcnt lgkmcnt(0)
	v_add_u32_e32 v3, s4, v3
	v_cmp_lt_i32_e64 s[4:5], v5, v4
	s_nop 1
	v_cndmask_b32_e64 v1, 0, v2, s[4:5]
	ds_write_b32 v3, v1
	scratch_load_dword v3, off, s32 offset:160 ; 4-byte Folded Reload
	s_waitcnt vmcnt(0)
	v_max_f32_e32 v1, v3, v3
	v_max_f32_e32 v1, v1, v2
	v_cndmask_b32_e64 v3, v3, v1, s[4:5]
	scratch_store_dword off, v3, s32 offset:160 ; 4-byte Folded Spill
	s_branch .LBB309_9
.LBB309_292:                            ;   in Loop: Header=BB309_10 Depth=1
	v_cmp_eq_u16_sdwa s[36:37], v12, s31 src0_sel:BYTE_0 src1_sel:DWORD
	s_mov_b64 s[4:5], -1
                                        ; implicit-def: $sgpr28
	s_and_saveexec_b64 s[26:27], s[36:37]
; %bb.293:                              ;   in Loop: Header=BB309_10 Depth=1
	s_mov_b32 s28, 0x7fc02000
	s_xor_b64 s[4:5], exec, -1
; %bb.294:                              ;   in Loop: Header=BB309_10 Depth=1
	s_or_b64 exec, exec, s[26:27]
	s_and_b64 s[4:5], s[4:5], exec
	s_or_saveexec_b64 s[24:25], s[24:25]
	v_mov_b32_e32 v0, s28
	s_xor_b64 exec, exec, s[24:25]
	s_cbranch_execz .LBB309_12
.LBB309_295:                            ;   in Loop: Header=BB309_10 Depth=1
	v_cmp_ne_u16_sdwa s[26:27], v12, v9 src0_sel:BYTE_0 src1_sel:DWORD
	s_andn2_b64 s[4:5], s[4:5], exec
	s_and_b64 s[26:27], s[26:27], exec
	v_mov_b32_e32 v0, 0
	s_or_b64 s[4:5], s[4:5], s[26:27]
	s_or_b64 exec, exec, s[24:25]
	s_and_saveexec_b64 s[24:25], s[4:5]
	s_cbranch_execnz .LBB309_13
	s_branch .LBB309_14
.LBB309_296:                            ;   in Loop: Header=BB309_10 Depth=1
	v_cmp_eq_u16_sdwa s[36:37], v8, s31 src0_sel:BYTE_0 src1_sel:DWORD
	s_mov_b64 s[4:5], -1
                                        ; implicit-def: $sgpr28
	s_and_saveexec_b64 s[26:27], s[36:37]
; %bb.297:                              ;   in Loop: Header=BB309_10 Depth=1
	s_mov_b32 s28, 0x7fc02000
	s_xor_b64 s[4:5], exec, -1
; %bb.298:                              ;   in Loop: Header=BB309_10 Depth=1
	s_or_b64 exec, exec, s[26:27]
	s_and_b64 s[4:5], s[4:5], exec
	s_or_saveexec_b64 s[24:25], s[24:25]
	v_mov_b32_e32 v29, s28
	s_xor_b64 exec, exec, s[24:25]
	s_cbranch_execz .LBB309_24
.LBB309_299:                            ;   in Loop: Header=BB309_10 Depth=1
	v_cmp_ne_u16_sdwa s[26:27], v8, v9 src0_sel:BYTE_0 src1_sel:DWORD
	s_andn2_b64 s[4:5], s[4:5], exec
	s_and_b64 s[26:27], s[26:27], exec
	v_mov_b32_e32 v29, 0
	s_or_b64 s[4:5], s[4:5], s[26:27]
	s_or_b64 exec, exec, s[24:25]
	s_and_saveexec_b64 s[24:25], s[4:5]
	s_cbranch_execnz .LBB309_25
	s_branch .LBB309_26
.LBB309_300:                            ;   in Loop: Header=BB309_10 Depth=1
	v_cmp_eq_u16_e64 s[4:5], s31, v8
	s_mov_b64 s[24:25], -1
                                        ; implicit-def: $sgpr35
	s_and_saveexec_b64 s[28:29], s[4:5]
; %bb.301:                              ;   in Loop: Header=BB309_10 Depth=1
	s_mov_b32 s35, 0x7fc02000
	s_xor_b64 s[24:25], exec, -1
; %bb.302:                              ;   in Loop: Header=BB309_10 Depth=1
	s_or_b64 exec, exec, s[28:29]
	s_and_b64 s[24:25], s[24:25], exec
	s_or_saveexec_b64 s[26:27], s[26:27]
	v_mov_b32_e32 v28, s35
	s_xor_b64 exec, exec, s[26:27]
	s_cbranch_execz .LBB309_28
.LBB309_303:                            ;   in Loop: Header=BB309_10 Depth=1
	v_cmp_ne_u16_e64 s[4:5], 0, v8
	s_andn2_b64 s[24:25], s[24:25], exec
	s_and_b64 s[4:5], s[4:5], exec
	v_mov_b32_e32 v28, 0
	s_or_b64 s[24:25], s[24:25], s[4:5]
	s_or_b64 exec, exec, s[26:27]
	s_and_saveexec_b64 s[26:27], s[24:25]
	s_cbranch_execnz .LBB309_29
	s_branch .LBB309_30
.LBB309_304:                            ;   in Loop: Header=BB309_10 Depth=1
	v_cmp_eq_u16_sdwa s[36:37], v12, s31 src0_sel:BYTE_0 src1_sel:DWORD
	s_mov_b64 s[4:5], -1
                                        ; implicit-def: $sgpr28
	s_and_saveexec_b64 s[26:27], s[36:37]
; %bb.305:                              ;   in Loop: Header=BB309_10 Depth=1
	s_mov_b32 s28, 0x7fc02000
	s_xor_b64 s[4:5], exec, -1
; %bb.306:                              ;   in Loop: Header=BB309_10 Depth=1
	s_or_b64 exec, exec, s[26:27]
	s_and_b64 s[4:5], s[4:5], exec
	s_or_saveexec_b64 s[24:25], s[24:25]
	v_mov_b32_e32 v0, s28
	s_xor_b64 exec, exec, s[24:25]
	s_cbranch_execz .LBB309_32
.LBB309_307:                            ;   in Loop: Header=BB309_10 Depth=1
	v_cmp_ne_u16_sdwa s[26:27], v12, v9 src0_sel:BYTE_0 src1_sel:DWORD
	s_andn2_b64 s[4:5], s[4:5], exec
	s_and_b64 s[26:27], s[26:27], exec
	v_mov_b32_e32 v0, 0
	s_or_b64 s[4:5], s[4:5], s[26:27]
	s_or_b64 exec, exec, s[24:25]
	s_and_saveexec_b64 s[24:25], s[4:5]
	s_cbranch_execnz .LBB309_33
	s_branch .LBB309_34
.LBB309_308:                            ;   in Loop: Header=BB309_10 Depth=1
	v_cmp_eq_u16_e64 s[4:5], s31, v8
	s_mov_b64 s[24:25], -1
                                        ; implicit-def: $sgpr35
	s_and_saveexec_b64 s[28:29], s[4:5]
; %bb.309:                              ;   in Loop: Header=BB309_10 Depth=1
	s_mov_b32 s35, 0x7fc02000
	s_xor_b64 s[24:25], exec, -1
; %bb.310:                              ;   in Loop: Header=BB309_10 Depth=1
	s_or_b64 exec, exec, s[28:29]
	s_and_b64 s[24:25], s[24:25], exec
	s_or_saveexec_b64 s[26:27], s[26:27]
	v_mov_b32_e32 v34, s35
	s_xor_b64 exec, exec, s[26:27]
	s_cbranch_execz .LBB309_52
.LBB309_311:                            ;   in Loop: Header=BB309_10 Depth=1
	v_cmp_ne_u16_e64 s[4:5], 0, v8
	s_andn2_b64 s[24:25], s[24:25], exec
	s_and_b64 s[4:5], s[4:5], exec
	v_mov_b32_e32 v34, 0
	s_or_b64 s[24:25], s[24:25], s[4:5]
	s_or_b64 exec, exec, s[26:27]
	s_and_saveexec_b64 s[26:27], s[24:25]
	s_cbranch_execnz .LBB309_53
	s_branch .LBB309_54
.LBB309_312:                            ;   in Loop: Header=BB309_10 Depth=1
	v_cmp_eq_u16_sdwa s[36:37], v12, s31 src0_sel:BYTE_0 src1_sel:DWORD
	s_mov_b64 s[4:5], -1
                                        ; implicit-def: $sgpr28
	s_and_saveexec_b64 s[26:27], s[36:37]
; %bb.313:                              ;   in Loop: Header=BB309_10 Depth=1
	s_mov_b32 s28, 0x7fc02000
	s_xor_b64 s[4:5], exec, -1
; %bb.314:                              ;   in Loop: Header=BB309_10 Depth=1
	s_or_b64 exec, exec, s[26:27]
	s_and_b64 s[4:5], s[4:5], exec
	s_or_saveexec_b64 s[24:25], s[24:25]
	v_mov_b32_e32 v0, s28
	s_xor_b64 exec, exec, s[24:25]
	s_cbranch_execz .LBB309_56
.LBB309_315:                            ;   in Loop: Header=BB309_10 Depth=1
	v_cmp_ne_u16_sdwa s[26:27], v12, v9 src0_sel:BYTE_0 src1_sel:DWORD
	s_andn2_b64 s[4:5], s[4:5], exec
	s_and_b64 s[26:27], s[26:27], exec
	v_mov_b32_e32 v0, 0
	s_or_b64 s[4:5], s[4:5], s[26:27]
	s_or_b64 exec, exec, s[24:25]
	s_and_saveexec_b64 s[24:25], s[4:5]
	s_cbranch_execnz .LBB309_57
	s_branch .LBB309_58
.LBB309_316:                            ;   in Loop: Header=BB309_10 Depth=1
	v_cmp_eq_u16_e64 s[4:5], s31, v8
	s_mov_b64 s[24:25], -1
                                        ; implicit-def: $sgpr35
	s_and_saveexec_b64 s[28:29], s[4:5]
; %bb.317:                              ;   in Loop: Header=BB309_10 Depth=1
	s_mov_b32 s35, 0x7fc02000
	s_xor_b64 s[24:25], exec, -1
; %bb.318:                              ;   in Loop: Header=BB309_10 Depth=1
	s_or_b64 exec, exec, s[28:29]
	s_and_b64 s[24:25], s[24:25], exec
	s_or_saveexec_b64 s[26:27], s[26:27]
	v_mov_b32_e32 v38, s35
	s_xor_b64 exec, exec, s[26:27]
	s_cbranch_execz .LBB309_60
.LBB309_319:                            ;   in Loop: Header=BB309_10 Depth=1
	v_cmp_ne_u16_e64 s[4:5], 0, v8
	s_andn2_b64 s[24:25], s[24:25], exec
	s_and_b64 s[4:5], s[4:5], exec
	v_mov_b32_e32 v38, 0
	s_or_b64 s[24:25], s[24:25], s[4:5]
	s_or_b64 exec, exec, s[26:27]
	s_and_saveexec_b64 s[26:27], s[24:25]
	s_cbranch_execnz .LBB309_61
	s_branch .LBB309_62
.LBB309_320:                            ;   in Loop: Header=BB309_10 Depth=1
	v_cmp_eq_u16_sdwa s[36:37], v8, s31 src0_sel:BYTE_0 src1_sel:DWORD
	s_mov_b64 s[4:5], -1
                                        ; implicit-def: $sgpr28
	s_and_saveexec_b64 s[26:27], s[36:37]
; %bb.321:                              ;   in Loop: Header=BB309_10 Depth=1
	s_mov_b32 s28, 0x7fc02000
	s_xor_b64 s[4:5], exec, -1
; %bb.322:                              ;   in Loop: Header=BB309_10 Depth=1
	s_or_b64 exec, exec, s[26:27]
	s_and_b64 s[4:5], s[4:5], exec
	s_or_saveexec_b64 s[24:25], s[24:25]
	v_mov_b32_e32 v49, s28
	s_xor_b64 exec, exec, s[24:25]
	s_cbranch_execz .LBB309_64
.LBB309_323:                            ;   in Loop: Header=BB309_10 Depth=1
	v_cmp_ne_u16_sdwa s[26:27], v8, v9 src0_sel:BYTE_0 src1_sel:DWORD
	s_andn2_b64 s[4:5], s[4:5], exec
	s_and_b64 s[26:27], s[26:27], exec
	v_mov_b32_e32 v49, 0
	s_or_b64 s[4:5], s[4:5], s[26:27]
	s_or_b64 exec, exec, s[24:25]
	s_and_saveexec_b64 s[24:25], s[4:5]
	s_cbranch_execnz .LBB309_65
	s_branch .LBB309_66
.LBB309_324:                            ;   in Loop: Header=BB309_10 Depth=1
	v_cmp_eq_u16_e64 s[4:5], s31, v8
	s_mov_b64 s[24:25], -1
                                        ; implicit-def: $sgpr35
	s_and_saveexec_b64 s[28:29], s[4:5]
; %bb.325:                              ;   in Loop: Header=BB309_10 Depth=1
	s_mov_b32 s35, 0x7fc02000
	s_xor_b64 s[24:25], exec, -1
; %bb.326:                              ;   in Loop: Header=BB309_10 Depth=1
	s_or_b64 exec, exec, s[28:29]
	s_and_b64 s[24:25], s[24:25], exec
	s_or_saveexec_b64 s[26:27], s[26:27]
	v_mov_b32_e32 v52, s35
	s_xor_b64 exec, exec, s[26:27]
	s_cbranch_execz .LBB309_68
.LBB309_327:                            ;   in Loop: Header=BB309_10 Depth=1
	v_cmp_ne_u16_e64 s[4:5], 0, v8
	s_andn2_b64 s[24:25], s[24:25], exec
	s_and_b64 s[4:5], s[4:5], exec
	v_mov_b32_e32 v52, 0
	s_or_b64 s[24:25], s[24:25], s[4:5]
	s_or_b64 exec, exec, s[26:27]
	s_and_saveexec_b64 s[26:27], s[24:25]
	s_cbranch_execnz .LBB309_69
	s_branch .LBB309_70
.LBB309_328:                            ;   in Loop: Header=BB309_10 Depth=1
	v_cmp_eq_u16_sdwa s[36:37], v12, s31 src0_sel:BYTE_0 src1_sel:DWORD
	s_mov_b64 s[4:5], -1
                                        ; implicit-def: $sgpr28
	s_and_saveexec_b64 s[26:27], s[36:37]
; %bb.329:                              ;   in Loop: Header=BB309_10 Depth=1
	s_mov_b32 s28, 0x7fc02000
	s_xor_b64 s[4:5], exec, -1
; %bb.330:                              ;   in Loop: Header=BB309_10 Depth=1
	s_or_b64 exec, exec, s[26:27]
	s_and_b64 s[4:5], s[4:5], exec
	s_or_saveexec_b64 s[24:25], s[24:25]
	v_mov_b32_e32 v0, s28
	s_xor_b64 exec, exec, s[24:25]
	s_cbranch_execz .LBB309_72
.LBB309_331:                            ;   in Loop: Header=BB309_10 Depth=1
	v_cmp_ne_u16_sdwa s[26:27], v12, v9 src0_sel:BYTE_0 src1_sel:DWORD
	s_andn2_b64 s[4:5], s[4:5], exec
	s_and_b64 s[26:27], s[26:27], exec
	v_mov_b32_e32 v0, 0
	s_or_b64 s[4:5], s[4:5], s[26:27]
	s_or_b64 exec, exec, s[24:25]
	s_and_saveexec_b64 s[24:25], s[4:5]
	s_cbranch_execnz .LBB309_73
	s_branch .LBB309_74
.LBB309_332:                            ;   in Loop: Header=BB309_10 Depth=1
	v_cmp_eq_u16_e64 s[4:5], s31, v8
	s_mov_b64 s[24:25], -1
                                        ; implicit-def: $sgpr35
	s_and_saveexec_b64 s[28:29], s[4:5]
; %bb.333:                              ;   in Loop: Header=BB309_10 Depth=1
	s_mov_b32 s35, 0x7fc02000
	s_xor_b64 s[24:25], exec, -1
; %bb.334:                              ;   in Loop: Header=BB309_10 Depth=1
	s_or_b64 exec, exec, s[28:29]
	s_and_b64 s[24:25], s[24:25], exec
	s_or_saveexec_b64 s[26:27], s[26:27]
	v_mov_b32_e32 v62, s35
	s_xor_b64 exec, exec, s[26:27]
	s_cbranch_execz .LBB309_76
.LBB309_335:                            ;   in Loop: Header=BB309_10 Depth=1
	v_cmp_ne_u16_e64 s[4:5], 0, v8
	s_andn2_b64 s[24:25], s[24:25], exec
	s_and_b64 s[4:5], s[4:5], exec
	v_mov_b32_e32 v62, 0
	s_or_b64 s[24:25], s[24:25], s[4:5]
	s_or_b64 exec, exec, s[26:27]
	s_and_saveexec_b64 s[26:27], s[24:25]
	s_cbranch_execnz .LBB309_77
	s_branch .LBB309_78
.LBB309_336:                            ;   in Loop: Header=BB309_10 Depth=1
	v_cmp_eq_u16_sdwa s[36:37], v12, s31 src0_sel:BYTE_0 src1_sel:DWORD
	s_mov_b64 s[4:5], -1
                                        ; implicit-def: $sgpr28
	s_and_saveexec_b64 s[26:27], s[36:37]
; %bb.337:                              ;   in Loop: Header=BB309_10 Depth=1
	s_mov_b32 s28, 0x7fc02000
	s_xor_b64 s[4:5], exec, -1
; %bb.338:                              ;   in Loop: Header=BB309_10 Depth=1
	s_or_b64 exec, exec, s[26:27]
	s_and_b64 s[4:5], s[4:5], exec
	s_or_saveexec_b64 s[24:25], s[24:25]
	v_mov_b32_e32 v0, s28
	s_xor_b64 exec, exec, s[24:25]
	s_cbranch_execz .LBB309_96
.LBB309_339:                            ;   in Loop: Header=BB309_10 Depth=1
	v_cmp_ne_u16_sdwa s[26:27], v12, v9 src0_sel:BYTE_0 src1_sel:DWORD
	s_andn2_b64 s[4:5], s[4:5], exec
	s_and_b64 s[26:27], s[26:27], exec
	v_mov_b32_e32 v0, 0
	s_or_b64 s[4:5], s[4:5], s[26:27]
	s_or_b64 exec, exec, s[24:25]
	s_and_saveexec_b64 s[24:25], s[4:5]
	s_cbranch_execnz .LBB309_97
	s_branch .LBB309_98
.LBB309_340:                            ;   in Loop: Header=BB309_10 Depth=1
	v_cmp_eq_u16_e64 s[4:5], s31, v8
	s_mov_b64 s[24:25], -1
                                        ; implicit-def: $sgpr35
	s_and_saveexec_b64 s[28:29], s[4:5]
; %bb.341:                              ;   in Loop: Header=BB309_10 Depth=1
	s_mov_b32 s35, 0x7fc02000
	s_xor_b64 s[24:25], exec, -1
; %bb.342:                              ;   in Loop: Header=BB309_10 Depth=1
	s_or_b64 exec, exec, s[28:29]
	s_and_b64 s[24:25], s[24:25], exec
	s_or_saveexec_b64 s[26:27], s[26:27]
	v_mov_b32_e32 v35, s35
	s_xor_b64 exec, exec, s[26:27]
	s_cbranch_execz .LBB309_100
.LBB309_343:                            ;   in Loop: Header=BB309_10 Depth=1
	v_cmp_ne_u16_e64 s[4:5], 0, v8
	s_andn2_b64 s[24:25], s[24:25], exec
	s_and_b64 s[4:5], s[4:5], exec
	v_mov_b32_e32 v35, 0
	s_or_b64 s[24:25], s[24:25], s[4:5]
	s_or_b64 exec, exec, s[26:27]
	s_and_saveexec_b64 s[26:27], s[24:25]
	s_cbranch_execnz .LBB309_101
	s_branch .LBB309_102
.LBB309_344:                            ;   in Loop: Header=BB309_10 Depth=1
	v_cmp_eq_u16_sdwa s[36:37], v8, s31 src0_sel:BYTE_0 src1_sel:DWORD
	s_mov_b64 s[4:5], -1
                                        ; implicit-def: $sgpr28
	s_and_saveexec_b64 s[26:27], s[36:37]
; %bb.345:                              ;   in Loop: Header=BB309_10 Depth=1
	s_mov_b32 s28, 0x7fc02000
	s_xor_b64 s[4:5], exec, -1
; %bb.346:                              ;   in Loop: Header=BB309_10 Depth=1
	s_or_b64 exec, exec, s[26:27]
	s_and_b64 s[4:5], s[4:5], exec
	s_or_saveexec_b64 s[24:25], s[24:25]
	v_mov_b32_e32 v40, s28
	s_xor_b64 exec, exec, s[24:25]
	s_cbranch_execz .LBB309_104
.LBB309_347:                            ;   in Loop: Header=BB309_10 Depth=1
	v_cmp_ne_u16_sdwa s[26:27], v8, v9 src0_sel:BYTE_0 src1_sel:DWORD
	s_andn2_b64 s[4:5], s[4:5], exec
	s_and_b64 s[26:27], s[26:27], exec
	v_mov_b32_e32 v40, 0
	s_or_b64 s[4:5], s[4:5], s[26:27]
	s_or_b64 exec, exec, s[24:25]
	s_and_saveexec_b64 s[24:25], s[4:5]
	s_cbranch_execnz .LBB309_105
	s_branch .LBB309_106
.LBB309_348:                            ;   in Loop: Header=BB309_10 Depth=1
	v_cmp_eq_u16_e64 s[4:5], s31, v8
	s_mov_b64 s[24:25], -1
                                        ; implicit-def: $sgpr35
	s_and_saveexec_b64 s[28:29], s[4:5]
; %bb.349:                              ;   in Loop: Header=BB309_10 Depth=1
	s_mov_b32 s35, 0x7fc02000
	s_xor_b64 s[24:25], exec, -1
; %bb.350:                              ;   in Loop: Header=BB309_10 Depth=1
	s_or_b64 exec, exec, s[28:29]
	s_and_b64 s[24:25], s[24:25], exec
	s_or_saveexec_b64 s[26:27], s[26:27]
	v_mov_b32_e32 v23, s35
	s_xor_b64 exec, exec, s[26:27]
	s_cbranch_execz .LBB309_108
.LBB309_351:                            ;   in Loop: Header=BB309_10 Depth=1
	v_cmp_ne_u16_e64 s[4:5], 0, v8
	s_andn2_b64 s[24:25], s[24:25], exec
	s_and_b64 s[4:5], s[4:5], exec
	v_mov_b32_e32 v23, 0
	s_or_b64 s[24:25], s[24:25], s[4:5]
	s_or_b64 exec, exec, s[26:27]
	s_and_saveexec_b64 s[26:27], s[24:25]
	s_cbranch_execnz .LBB309_109
	s_branch .LBB309_110
.LBB309_352:                            ;   in Loop: Header=BB309_10 Depth=1
	v_cmp_eq_u16_sdwa s[36:37], v12, s31 src0_sel:BYTE_0 src1_sel:DWORD
	s_mov_b64 s[4:5], -1
                                        ; implicit-def: $sgpr28
	s_and_saveexec_b64 s[26:27], s[36:37]
; %bb.353:                              ;   in Loop: Header=BB309_10 Depth=1
	s_mov_b32 s28, 0x7fc02000
	s_xor_b64 s[4:5], exec, -1
; %bb.354:                              ;   in Loop: Header=BB309_10 Depth=1
	s_or_b64 exec, exec, s[26:27]
	s_and_b64 s[4:5], s[4:5], exec
	s_or_saveexec_b64 s[24:25], s[24:25]
	v_mov_b32_e32 v0, s28
	s_xor_b64 exec, exec, s[24:25]
	s_cbranch_execz .LBB309_112
.LBB309_355:                            ;   in Loop: Header=BB309_10 Depth=1
	v_cmp_ne_u16_sdwa s[26:27], v12, v9 src0_sel:BYTE_0 src1_sel:DWORD
	s_andn2_b64 s[4:5], s[4:5], exec
	s_and_b64 s[26:27], s[26:27], exec
	v_mov_b32_e32 v0, 0
	s_or_b64 s[4:5], s[4:5], s[26:27]
	s_or_b64 exec, exec, s[24:25]
	s_and_saveexec_b64 s[24:25], s[4:5]
	s_cbranch_execnz .LBB309_113
	s_branch .LBB309_114
.LBB309_356:                            ;   in Loop: Header=BB309_10 Depth=1
	v_cmp_eq_u16_e64 s[4:5], s31, v8
	s_mov_b64 s[24:25], -1
                                        ; implicit-def: $sgpr35
	s_and_saveexec_b64 s[28:29], s[4:5]
; %bb.357:                              ;   in Loop: Header=BB309_10 Depth=1
	s_mov_b32 s35, 0x7fc02000
	s_xor_b64 s[24:25], exec, -1
; %bb.358:                              ;   in Loop: Header=BB309_10 Depth=1
	s_or_b64 exec, exec, s[28:29]
	s_and_b64 s[24:25], s[24:25], exec
	s_or_saveexec_b64 s[26:27], s[26:27]
	v_mov_b32_e32 v53, s35
	s_xor_b64 exec, exec, s[26:27]
	s_cbranch_execz .LBB309_116
.LBB309_359:                            ;   in Loop: Header=BB309_10 Depth=1
	v_cmp_ne_u16_e64 s[4:5], 0, v8
	s_andn2_b64 s[24:25], s[24:25], exec
	s_and_b64 s[4:5], s[4:5], exec
	v_mov_b32_e32 v53, 0
	s_or_b64 s[24:25], s[24:25], s[4:5]
	s_or_b64 exec, exec, s[26:27]
	s_and_saveexec_b64 s[26:27], s[24:25]
	s_cbranch_execnz .LBB309_117
	s_branch .LBB309_118
.LBB309_360:                            ;   in Loop: Header=BB309_10 Depth=1
	v_cmp_eq_u16_sdwa s[36:37], v8, s31 src0_sel:BYTE_0 src1_sel:DWORD
	s_mov_b64 s[4:5], -1
                                        ; implicit-def: $sgpr28
	s_and_saveexec_b64 s[26:27], s[36:37]
; %bb.361:                              ;   in Loop: Header=BB309_10 Depth=1
	s_mov_b32 s28, 0x7fc02000
	s_xor_b64 s[4:5], exec, -1
; %bb.362:                              ;   in Loop: Header=BB309_10 Depth=1
	s_or_b64 exec, exec, s[26:27]
	s_and_b64 s[4:5], s[4:5], exec
	s_or_saveexec_b64 s[24:25], s[24:25]
	v_mov_b32_e32 v54, s28
	s_xor_b64 exec, exec, s[24:25]
	s_cbranch_execz .LBB309_120
.LBB309_363:                            ;   in Loop: Header=BB309_10 Depth=1
	v_cmp_ne_u16_sdwa s[26:27], v8, v9 src0_sel:BYTE_0 src1_sel:DWORD
	s_andn2_b64 s[4:5], s[4:5], exec
	s_and_b64 s[26:27], s[26:27], exec
	v_mov_b32_e32 v54, 0
	s_or_b64 s[4:5], s[4:5], s[26:27]
	s_or_b64 exec, exec, s[24:25]
	s_and_saveexec_b64 s[24:25], s[4:5]
	s_cbranch_execnz .LBB309_121
	s_branch .LBB309_122
.LBB309_364:                            ;   in Loop: Header=BB309_10 Depth=1
	v_cmp_eq_u16_e64 s[4:5], s31, v8
	s_mov_b64 s[24:25], -1
                                        ; implicit-def: $sgpr35
	s_and_saveexec_b64 s[28:29], s[4:5]
; %bb.365:                              ;   in Loop: Header=BB309_10 Depth=1
	s_mov_b32 s35, 0x7fc02000
	s_xor_b64 s[24:25], exec, -1
; %bb.366:                              ;   in Loop: Header=BB309_10 Depth=1
	s_or_b64 exec, exec, s[28:29]
	s_and_b64 s[24:25], s[24:25], exec
	s_or_saveexec_b64 s[26:27], s[26:27]
	v_mov_b32_e32 v55, s35
	s_xor_b64 exec, exec, s[26:27]
	s_cbranch_execz .LBB309_124
.LBB309_367:                            ;   in Loop: Header=BB309_10 Depth=1
	v_cmp_ne_u16_e64 s[4:5], 0, v8
	s_andn2_b64 s[24:25], s[24:25], exec
	s_and_b64 s[4:5], s[4:5], exec
	v_mov_b32_e32 v55, 0
	s_or_b64 s[24:25], s[24:25], s[4:5]
	s_or_b64 exec, exec, s[26:27]
	s_and_saveexec_b64 s[26:27], s[24:25]
	s_cbranch_execnz .LBB309_125
	s_branch .LBB309_126
.LBB309_368:                            ;   in Loop: Header=BB309_10 Depth=1
	v_cmp_eq_u16_sdwa s[36:37], v12, s31 src0_sel:BYTE_0 src1_sel:DWORD
	s_mov_b64 s[4:5], -1
                                        ; implicit-def: $sgpr28
	s_and_saveexec_b64 s[26:27], s[36:37]
; %bb.369:                              ;   in Loop: Header=BB309_10 Depth=1
	s_mov_b32 s28, 0x7fc02000
	s_xor_b64 s[4:5], exec, -1
; %bb.370:                              ;   in Loop: Header=BB309_10 Depth=1
	s_or_b64 exec, exec, s[26:27]
	s_and_b64 s[4:5], s[4:5], exec
	s_or_saveexec_b64 s[24:25], s[24:25]
	v_mov_b32_e32 v0, s28
	s_xor_b64 exec, exec, s[24:25]
	s_cbranch_execz .LBB309_128
.LBB309_371:                            ;   in Loop: Header=BB309_10 Depth=1
	v_cmp_ne_u16_sdwa s[26:27], v12, v9 src0_sel:BYTE_0 src1_sel:DWORD
	s_andn2_b64 s[4:5], s[4:5], exec
	s_and_b64 s[26:27], s[26:27], exec
	v_mov_b32_e32 v0, 0
	s_or_b64 s[4:5], s[4:5], s[26:27]
	s_or_b64 exec, exec, s[24:25]
	s_and_saveexec_b64 s[24:25], s[4:5]
	s_cbranch_execnz .LBB309_129
	s_branch .LBB309_130
.LBB309_372:                            ;   in Loop: Header=BB309_10 Depth=1
	v_cmp_eq_u16_e64 s[4:5], s31, v8
	s_mov_b64 s[24:25], -1
                                        ; implicit-def: $sgpr35
	s_and_saveexec_b64 s[28:29], s[4:5]
; %bb.373:                              ;   in Loop: Header=BB309_10 Depth=1
	s_mov_b32 s35, 0x7fc02000
	s_xor_b64 s[24:25], exec, -1
; %bb.374:                              ;   in Loop: Header=BB309_10 Depth=1
	s_or_b64 exec, exec, s[28:29]
	s_and_b64 s[24:25], s[24:25], exec
	s_or_saveexec_b64 s[26:27], s[26:27]
	v_mov_b32_e32 v39, s35
	s_xor_b64 exec, exec, s[26:27]
	s_cbranch_execz .LBB309_132
.LBB309_375:                            ;   in Loop: Header=BB309_10 Depth=1
	v_cmp_ne_u16_e64 s[4:5], 0, v8
	s_andn2_b64 s[24:25], s[24:25], exec
	s_and_b64 s[4:5], s[4:5], exec
	v_mov_b32_e32 v39, 0
	s_or_b64 s[24:25], s[24:25], s[4:5]
	s_or_b64 exec, exec, s[26:27]
	s_and_saveexec_b64 s[26:27], s[24:25]
	s_cbranch_execnz .LBB309_133
	s_branch .LBB309_134
.LBB309_376:                            ;   in Loop: Header=BB309_10 Depth=1
	v_cmp_eq_u16_sdwa s[36:37], v8, s31 src0_sel:BYTE_0 src1_sel:DWORD
	s_mov_b64 s[4:5], -1
                                        ; implicit-def: $sgpr28
	s_and_saveexec_b64 s[26:27], s[36:37]
; %bb.377:                              ;   in Loop: Header=BB309_10 Depth=1
	s_mov_b32 s28, 0x7fc02000
	s_xor_b64 s[4:5], exec, -1
; %bb.378:                              ;   in Loop: Header=BB309_10 Depth=1
	s_or_b64 exec, exec, s[26:27]
	s_and_b64 s[4:5], s[4:5], exec
	s_or_saveexec_b64 s[24:25], s[24:25]
	v_mov_b32_e32 v50, s28
	s_xor_b64 exec, exec, s[24:25]
	s_cbranch_execz .LBB309_136
.LBB309_379:                            ;   in Loop: Header=BB309_10 Depth=1
	v_cmp_ne_u16_sdwa s[26:27], v8, v9 src0_sel:BYTE_0 src1_sel:DWORD
	s_andn2_b64 s[4:5], s[4:5], exec
	s_and_b64 s[26:27], s[26:27], exec
	v_mov_b32_e32 v50, 0
	s_or_b64 s[4:5], s[4:5], s[26:27]
	s_or_b64 exec, exec, s[24:25]
	s_and_saveexec_b64 s[24:25], s[4:5]
	s_cbranch_execnz .LBB309_137
	s_branch .LBB309_138
.LBB309_380:                            ;   in Loop: Header=BB309_10 Depth=1
	v_cmp_eq_u16_e64 s[4:5], s31, v8
	s_mov_b64 s[24:25], -1
                                        ; implicit-def: $sgpr35
	s_and_saveexec_b64 s[28:29], s[4:5]
; %bb.381:                              ;   in Loop: Header=BB309_10 Depth=1
	s_mov_b32 s35, 0x7fc02000
	s_xor_b64 s[24:25], exec, -1
; %bb.382:                              ;   in Loop: Header=BB309_10 Depth=1
	s_or_b64 exec, exec, s[28:29]
	s_and_b64 s[24:25], s[24:25], exec
	s_or_saveexec_b64 s[26:27], s[26:27]
	v_mov_b32_e32 v11, s35
	s_xor_b64 exec, exec, s[26:27]
	s_cbranch_execz .LBB309_140
.LBB309_383:                            ;   in Loop: Header=BB309_10 Depth=1
	v_cmp_ne_u16_e64 s[4:5], 0, v8
	s_andn2_b64 s[24:25], s[24:25], exec
	s_and_b64 s[4:5], s[4:5], exec
	v_mov_b32_e32 v11, 0
	s_or_b64 s[24:25], s[24:25], s[4:5]
	s_or_b64 exec, exec, s[26:27]
	s_and_saveexec_b64 s[26:27], s[24:25]
	s_cbranch_execnz .LBB309_141
	s_branch .LBB309_142
.LBB309_384:                            ;   in Loop: Header=BB309_10 Depth=1
	v_cmp_eq_u16_sdwa s[36:37], v12, s31 src0_sel:BYTE_0 src1_sel:DWORD
	s_mov_b64 s[4:5], -1
                                        ; implicit-def: $sgpr28
	s_and_saveexec_b64 s[26:27], s[36:37]
; %bb.385:                              ;   in Loop: Header=BB309_10 Depth=1
	s_mov_b32 s28, 0x7fc02000
	s_xor_b64 s[4:5], exec, -1
; %bb.386:                              ;   in Loop: Header=BB309_10 Depth=1
	s_or_b64 exec, exec, s[26:27]
	s_and_b64 s[4:5], s[4:5], exec
	s_or_saveexec_b64 s[24:25], s[24:25]
	v_mov_b32_e32 v10, s28
	s_xor_b64 exec, exec, s[24:25]
	s_cbranch_execz .LBB309_144
.LBB309_387:                            ;   in Loop: Header=BB309_10 Depth=1
	v_cmp_ne_u16_sdwa s[26:27], v12, v9 src0_sel:BYTE_0 src1_sel:DWORD
	s_andn2_b64 s[4:5], s[4:5], exec
	s_and_b64 s[26:27], s[26:27], exec
	v_mov_b32_e32 v10, 0
	s_or_b64 s[4:5], s[4:5], s[26:27]
	s_or_b64 exec, exec, s[24:25]
	s_and_saveexec_b64 s[24:25], s[4:5]
	s_cbranch_execnz .LBB309_145
	s_branch .LBB309_146
.LBB309_388:                            ;   in Loop: Header=BB309_10 Depth=1
	v_cmp_eq_u16_e64 s[4:5], s31, v8
	s_mov_b64 s[24:25], -1
                                        ; implicit-def: $sgpr35
	s_and_saveexec_b64 s[28:29], s[4:5]
; %bb.389:                              ;   in Loop: Header=BB309_10 Depth=1
	s_mov_b32 s35, 0x7fc02000
	s_xor_b64 s[24:25], exec, -1
; %bb.390:                              ;   in Loop: Header=BB309_10 Depth=1
	s_or_b64 exec, exec, s[28:29]
	s_and_b64 s[24:25], s[24:25], exec
	s_or_saveexec_b64 s[26:27], s[26:27]
	v_mov_b32_e32 v1, s35
	s_xor_b64 exec, exec, s[26:27]
	s_cbranch_execz .LBB309_148
.LBB309_391:                            ;   in Loop: Header=BB309_10 Depth=1
	v_cmp_ne_u16_e64 s[4:5], 0, v8
	s_andn2_b64 s[24:25], s[24:25], exec
	s_and_b64 s[4:5], s[4:5], exec
	v_mov_b32_e32 v1, 0
	s_or_b64 s[24:25], s[24:25], s[4:5]
	s_or_b64 exec, exec, s[26:27]
	s_and_saveexec_b64 s[26:27], s[24:25]
	s_cbranch_execnz .LBB309_149
	s_branch .LBB309_150
.LBB309_392:                            ;   in Loop: Header=BB309_10 Depth=1
	v_cmp_eq_u16_sdwa s[36:37], v8, s31 src0_sel:BYTE_0 src1_sel:DWORD
	s_mov_b64 s[4:5], -1
                                        ; implicit-def: $sgpr28
	s_and_saveexec_b64 s[26:27], s[36:37]
; %bb.393:                              ;   in Loop: Header=BB309_10 Depth=1
	s_mov_b32 s28, 0x7fc02000
	s_xor_b64 s[4:5], exec, -1
; %bb.394:                              ;   in Loop: Header=BB309_10 Depth=1
	s_or_b64 exec, exec, s[26:27]
	s_and_b64 s[4:5], s[4:5], exec
	s_or_saveexec_b64 s[24:25], s[24:25]
	v_mov_b32_e32 v16, s28
	s_xor_b64 exec, exec, s[24:25]
	s_cbranch_execz .LBB309_152
.LBB309_395:                            ;   in Loop: Header=BB309_10 Depth=1
	v_cmp_ne_u16_sdwa s[26:27], v8, v9 src0_sel:BYTE_0 src1_sel:DWORD
	s_andn2_b64 s[4:5], s[4:5], exec
	s_and_b64 s[26:27], s[26:27], exec
	v_mov_b32_e32 v16, 0
	s_or_b64 s[4:5], s[4:5], s[26:27]
	s_or_b64 exec, exec, s[24:25]
	s_and_saveexec_b64 s[24:25], s[4:5]
	s_cbranch_execnz .LBB309_153
	s_branch .LBB309_154
.LBB309_396:                            ;   in Loop: Header=BB309_10 Depth=1
	v_cmp_eq_u16_e64 s[4:5], s31, v8
	s_mov_b64 s[24:25], -1
                                        ; implicit-def: $sgpr35
	s_and_saveexec_b64 s[28:29], s[4:5]
; %bb.397:                              ;   in Loop: Header=BB309_10 Depth=1
	s_mov_b32 s35, 0x7fc02000
	s_xor_b64 s[24:25], exec, -1
; %bb.398:                              ;   in Loop: Header=BB309_10 Depth=1
	s_or_b64 exec, exec, s[28:29]
	s_and_b64 s[24:25], s[24:25], exec
	s_or_saveexec_b64 s[26:27], s[26:27]
	v_mov_b32_e32 v3, s35
	s_xor_b64 exec, exec, s[26:27]
	s_cbranch_execz .LBB309_156
.LBB309_399:                            ;   in Loop: Header=BB309_10 Depth=1
	v_cmp_ne_u16_e64 s[4:5], 0, v8
	s_andn2_b64 s[24:25], s[24:25], exec
	s_and_b64 s[4:5], s[4:5], exec
	v_mov_b32_e32 v3, 0
	s_or_b64 s[24:25], s[24:25], s[4:5]
	s_or_b64 exec, exec, s[26:27]
	s_and_saveexec_b64 s[26:27], s[24:25]
	s_cbranch_execnz .LBB309_157
	s_branch .LBB309_158
.LBB309_400:                            ;   in Loop: Header=BB309_10 Depth=1
	v_cmp_eq_u16_sdwa s[36:37], v12, s31 src0_sel:BYTE_0 src1_sel:DWORD
	s_mov_b64 s[4:5], -1
                                        ; implicit-def: $sgpr28
	s_and_saveexec_b64 s[26:27], s[36:37]
; %bb.401:                              ;   in Loop: Header=BB309_10 Depth=1
	s_mov_b32 s28, 0x7fc02000
	s_xor_b64 s[4:5], exec, -1
; %bb.402:                              ;   in Loop: Header=BB309_10 Depth=1
	s_or_b64 exec, exec, s[26:27]
	s_and_b64 s[4:5], s[4:5], exec
	s_or_saveexec_b64 s[24:25], s[24:25]
	v_mov_b32_e32 v2, s28
	s_xor_b64 exec, exec, s[24:25]
	s_cbranch_execz .LBB309_160
.LBB309_403:                            ;   in Loop: Header=BB309_10 Depth=1
	v_cmp_ne_u16_sdwa s[26:27], v12, v9 src0_sel:BYTE_0 src1_sel:DWORD
	s_andn2_b64 s[4:5], s[4:5], exec
	s_and_b64 s[26:27], s[26:27], exec
	v_mov_b32_e32 v2, 0
	s_or_b64 s[4:5], s[4:5], s[26:27]
	s_or_b64 exec, exec, s[24:25]
	s_and_saveexec_b64 s[24:25], s[4:5]
	s_cbranch_execnz .LBB309_161
	s_branch .LBB309_162
.LBB309_404:                            ;   in Loop: Header=BB309_10 Depth=1
	v_cmp_eq_u16_e64 s[4:5], s31, v8
	s_mov_b64 s[24:25], -1
                                        ; implicit-def: $sgpr35
	s_and_saveexec_b64 s[28:29], s[4:5]
; %bb.405:                              ;   in Loop: Header=BB309_10 Depth=1
	s_mov_b32 s35, 0x7fc02000
	s_xor_b64 s[24:25], exec, -1
; %bb.406:                              ;   in Loop: Header=BB309_10 Depth=1
	s_or_b64 exec, exec, s[28:29]
	s_and_b64 s[24:25], s[24:25], exec
	s_or_saveexec_b64 s[26:27], s[26:27]
	v_mov_b32_e32 v15, s35
	s_xor_b64 exec, exec, s[26:27]
	s_cbranch_execz .LBB309_164
.LBB309_407:                            ;   in Loop: Header=BB309_10 Depth=1
	v_cmp_ne_u16_e64 s[4:5], 0, v8
	s_andn2_b64 s[24:25], s[24:25], exec
	s_and_b64 s[4:5], s[4:5], exec
	v_mov_b32_e32 v15, 0
	s_or_b64 s[24:25], s[24:25], s[4:5]
	s_or_b64 exec, exec, s[26:27]
	s_and_saveexec_b64 s[26:27], s[24:25]
	s_cbranch_execnz .LBB309_165
	s_branch .LBB309_166
.LBB309_408:                            ;   in Loop: Header=BB309_10 Depth=1
	v_cmp_eq_u16_sdwa s[36:37], v8, s31 src0_sel:BYTE_0 src1_sel:DWORD
	s_mov_b64 s[4:5], -1
                                        ; implicit-def: $sgpr28
	s_and_saveexec_b64 s[26:27], s[36:37]
; %bb.409:                              ;   in Loop: Header=BB309_10 Depth=1
	s_mov_b32 s28, 0x7fc02000
	s_xor_b64 s[4:5], exec, -1
; %bb.410:                              ;   in Loop: Header=BB309_10 Depth=1
	s_or_b64 exec, exec, s[26:27]
	s_and_b64 s[4:5], s[4:5], exec
	s_or_saveexec_b64 s[24:25], s[24:25]
	v_mov_b32_e32 v14, s28
	s_xor_b64 exec, exec, s[24:25]
	s_cbranch_execz .LBB309_168
.LBB309_411:                            ;   in Loop: Header=BB309_10 Depth=1
	v_cmp_ne_u16_sdwa s[26:27], v8, v9 src0_sel:BYTE_0 src1_sel:DWORD
	s_andn2_b64 s[4:5], s[4:5], exec
	s_and_b64 s[26:27], s[26:27], exec
	v_mov_b32_e32 v14, 0
	s_or_b64 s[4:5], s[4:5], s[26:27]
	s_or_b64 exec, exec, s[24:25]
	s_and_saveexec_b64 s[24:25], s[4:5]
	s_cbranch_execnz .LBB309_169
	s_branch .LBB309_170
.LBB309_412:                            ;   in Loop: Header=BB309_10 Depth=1
	v_cmp_eq_u16_e64 s[4:5], s31, v8
	s_mov_b64 s[24:25], -1
                                        ; implicit-def: $sgpr35
	s_and_saveexec_b64 s[28:29], s[4:5]
; %bb.413:                              ;   in Loop: Header=BB309_10 Depth=1
	s_mov_b32 s35, 0x7fc02000
	s_xor_b64 s[24:25], exec, -1
; %bb.414:                              ;   in Loop: Header=BB309_10 Depth=1
	s_or_b64 exec, exec, s[28:29]
	s_and_b64 s[24:25], s[24:25], exec
	s_or_saveexec_b64 s[26:27], s[26:27]
	v_mov_b32_e32 v13, s35
	s_xor_b64 exec, exec, s[26:27]
	s_cbranch_execz .LBB309_172
.LBB309_415:                            ;   in Loop: Header=BB309_10 Depth=1
	v_cmp_ne_u16_e64 s[4:5], 0, v8
	s_andn2_b64 s[24:25], s[24:25], exec
	s_and_b64 s[4:5], s[4:5], exec
	v_mov_b32_e32 v13, 0
	s_or_b64 s[24:25], s[24:25], s[4:5]
	s_or_b64 exec, exec, s[26:27]
	s_and_saveexec_b64 s[26:27], s[24:25]
	s_cbranch_execnz .LBB309_173
	s_branch .LBB309_174
.LBB309_416:                            ;   in Loop: Header=BB309_10 Depth=1
	v_cmp_eq_u16_sdwa s[36:37], v12, s31 src0_sel:BYTE_0 src1_sel:DWORD
	s_mov_b64 s[4:5], -1
                                        ; implicit-def: $sgpr28
	s_and_saveexec_b64 s[26:27], s[36:37]
; %bb.417:                              ;   in Loop: Header=BB309_10 Depth=1
	s_mov_b32 s28, 0x7fc02000
	s_xor_b64 s[4:5], exec, -1
; %bb.418:                              ;   in Loop: Header=BB309_10 Depth=1
	s_or_b64 exec, exec, s[26:27]
	s_and_b64 s[4:5], s[4:5], exec
	s_or_saveexec_b64 s[24:25], s[24:25]
	v_mov_b32_e32 v30, s28
	s_xor_b64 exec, exec, s[24:25]
	s_cbranch_execz .LBB309_176
.LBB309_419:                            ;   in Loop: Header=BB309_10 Depth=1
	v_cmp_ne_u16_sdwa s[26:27], v12, v9 src0_sel:BYTE_0 src1_sel:DWORD
	s_andn2_b64 s[4:5], s[4:5], exec
	s_and_b64 s[26:27], s[26:27], exec
	v_mov_b32_e32 v30, 0
	s_or_b64 s[4:5], s[4:5], s[26:27]
	s_or_b64 exec, exec, s[24:25]
	s_and_saveexec_b64 s[24:25], s[4:5]
	s_cbranch_execnz .LBB309_177
	s_branch .LBB309_178
.LBB309_420:                            ;   in Loop: Header=BB309_10 Depth=1
	v_cmp_eq_u16_e64 s[4:5], s31, v8
	s_mov_b64 s[24:25], -1
                                        ; implicit-def: $sgpr35
	s_and_saveexec_b64 s[28:29], s[4:5]
; %bb.421:                              ;   in Loop: Header=BB309_10 Depth=1
	s_mov_b32 s35, 0x7fc02000
	s_xor_b64 s[24:25], exec, -1
; %bb.422:                              ;   in Loop: Header=BB309_10 Depth=1
	s_or_b64 exec, exec, s[28:29]
	s_and_b64 s[24:25], s[24:25], exec
	s_or_saveexec_b64 s[26:27], s[26:27]
	v_mov_b32_e32 v31, s35
	s_xor_b64 exec, exec, s[26:27]
	s_cbranch_execz .LBB309_180
.LBB309_423:                            ;   in Loop: Header=BB309_10 Depth=1
	v_cmp_ne_u16_e64 s[4:5], 0, v8
	s_andn2_b64 s[24:25], s[24:25], exec
	s_and_b64 s[4:5], s[4:5], exec
	v_mov_b32_e32 v31, 0
	s_or_b64 s[24:25], s[24:25], s[4:5]
	s_or_b64 exec, exec, s[26:27]
	s_and_saveexec_b64 s[26:27], s[24:25]
	s_cbranch_execnz .LBB309_181
	s_branch .LBB309_182
.LBB309_424:                            ;   in Loop: Header=BB309_10 Depth=1
	v_cmp_eq_u16_sdwa s[36:37], v8, s31 src0_sel:BYTE_0 src1_sel:DWORD
	s_mov_b64 s[4:5], -1
                                        ; implicit-def: $sgpr28
	s_and_saveexec_b64 s[26:27], s[36:37]
; %bb.425:                              ;   in Loop: Header=BB309_10 Depth=1
	s_mov_b32 s28, 0x7fc02000
	s_xor_b64 s[4:5], exec, -1
; %bb.426:                              ;   in Loop: Header=BB309_10 Depth=1
	s_or_b64 exec, exec, s[26:27]
	s_and_b64 s[4:5], s[4:5], exec
	s_or_saveexec_b64 s[24:25], s[24:25]
	v_mov_b32_e32 v32, s28
	s_xor_b64 exec, exec, s[24:25]
	s_cbranch_execz .LBB309_184
.LBB309_427:                            ;   in Loop: Header=BB309_10 Depth=1
	v_cmp_ne_u16_sdwa s[26:27], v8, v9 src0_sel:BYTE_0 src1_sel:DWORD
	s_andn2_b64 s[4:5], s[4:5], exec
	s_and_b64 s[26:27], s[26:27], exec
	v_mov_b32_e32 v32, 0
	s_or_b64 s[4:5], s[4:5], s[26:27]
	s_or_b64 exec, exec, s[24:25]
	s_and_saveexec_b64 s[24:25], s[4:5]
	s_cbranch_execnz .LBB309_185
	s_branch .LBB309_186
.LBB309_428:                            ;   in Loop: Header=BB309_10 Depth=1
	v_cmp_eq_u16_e64 s[4:5], s31, v8
	s_mov_b64 s[24:25], -1
                                        ; implicit-def: $sgpr35
	s_and_saveexec_b64 s[28:29], s[4:5]
; %bb.429:                              ;   in Loop: Header=BB309_10 Depth=1
	s_mov_b32 s35, 0x7fc02000
	s_xor_b64 s[24:25], exec, -1
; %bb.430:                              ;   in Loop: Header=BB309_10 Depth=1
	s_or_b64 exec, exec, s[28:29]
	s_and_b64 s[24:25], s[24:25], exec
	s_or_saveexec_b64 s[26:27], s[26:27]
	v_mov_b32_e32 v33, s35
	s_xor_b64 exec, exec, s[26:27]
	s_cbranch_execz .LBB309_188
.LBB309_431:                            ;   in Loop: Header=BB309_10 Depth=1
	v_cmp_ne_u16_e64 s[4:5], 0, v8
	s_andn2_b64 s[24:25], s[24:25], exec
	s_and_b64 s[4:5], s[4:5], exec
	v_mov_b32_e32 v33, 0
	s_or_b64 s[24:25], s[24:25], s[4:5]
	s_or_b64 exec, exec, s[26:27]
	s_and_saveexec_b64 s[26:27], s[24:25]
	s_cbranch_execnz .LBB309_189
	s_branch .LBB309_190
.LBB309_432:                            ;   in Loop: Header=BB309_10 Depth=1
	v_cmp_eq_u16_sdwa s[36:37], v12, s31 src0_sel:BYTE_0 src1_sel:DWORD
	s_mov_b64 s[4:5], -1
                                        ; implicit-def: $sgpr28
	s_and_saveexec_b64 s[26:27], s[36:37]
; %bb.433:                              ;   in Loop: Header=BB309_10 Depth=1
	s_mov_b32 s28, 0x7fc02000
	s_xor_b64 s[4:5], exec, -1
; %bb.434:                              ;   in Loop: Header=BB309_10 Depth=1
	s_or_b64 exec, exec, s[26:27]
	s_and_b64 s[4:5], s[4:5], exec
	s_or_saveexec_b64 s[24:25], s[24:25]
	v_mov_b32_e32 v51, s28
	s_xor_b64 exec, exec, s[24:25]
	s_cbranch_execz .LBB309_192
.LBB309_435:                            ;   in Loop: Header=BB309_10 Depth=1
	v_cmp_ne_u16_sdwa s[26:27], v12, v9 src0_sel:BYTE_0 src1_sel:DWORD
	s_andn2_b64 s[4:5], s[4:5], exec
	s_and_b64 s[26:27], s[26:27], exec
	v_mov_b32_e32 v51, 0
	s_or_b64 s[4:5], s[4:5], s[26:27]
	s_or_b64 exec, exec, s[24:25]
	s_and_saveexec_b64 s[24:25], s[4:5]
	s_cbranch_execnz .LBB309_193
	s_branch .LBB309_194
.LBB309_436:                            ;   in Loop: Header=BB309_10 Depth=1
	v_cmp_eq_u16_e64 s[4:5], s31, v8
	s_mov_b64 s[24:25], -1
                                        ; implicit-def: $sgpr35
	s_and_saveexec_b64 s[28:29], s[4:5]
; %bb.437:                              ;   in Loop: Header=BB309_10 Depth=1
	s_mov_b32 s35, 0x7fc02000
	s_xor_b64 s[24:25], exec, -1
; %bb.438:                              ;   in Loop: Header=BB309_10 Depth=1
	s_or_b64 exec, exec, s[28:29]
	s_and_b64 s[24:25], s[24:25], exec
	s_or_saveexec_b64 s[26:27], s[26:27]
	v_mov_b32_e32 v22, s35
	s_xor_b64 exec, exec, s[26:27]
	s_cbranch_execz .LBB309_196
.LBB309_439:                            ;   in Loop: Header=BB309_10 Depth=1
	v_cmp_ne_u16_e64 s[4:5], 0, v8
	s_andn2_b64 s[24:25], s[24:25], exec
	s_and_b64 s[4:5], s[4:5], exec
	v_mov_b32_e32 v22, 0
	s_or_b64 s[24:25], s[24:25], s[4:5]
	s_or_b64 exec, exec, s[26:27]
	s_and_saveexec_b64 s[26:27], s[24:25]
	s_cbranch_execnz .LBB309_197
	s_branch .LBB309_198
.LBB309_440:                            ;   in Loop: Header=BB309_10 Depth=1
	v_cmp_eq_u16_sdwa s[36:37], v8, s31 src0_sel:BYTE_0 src1_sel:DWORD
	s_mov_b64 s[4:5], -1
                                        ; implicit-def: $sgpr28
	s_and_saveexec_b64 s[26:27], s[36:37]
; %bb.441:                              ;   in Loop: Header=BB309_10 Depth=1
	s_mov_b32 s28, 0x7fc02000
	s_xor_b64 s[4:5], exec, -1
; %bb.442:                              ;   in Loop: Header=BB309_10 Depth=1
	s_or_b64 exec, exec, s[26:27]
	s_and_b64 s[4:5], s[4:5], exec
	s_or_saveexec_b64 s[24:25], s[24:25]
	v_mov_b32_e32 v25, s28
	s_xor_b64 exec, exec, s[24:25]
	s_cbranch_execz .LBB309_200
.LBB309_443:                            ;   in Loop: Header=BB309_10 Depth=1
	v_cmp_ne_u16_sdwa s[26:27], v8, v9 src0_sel:BYTE_0 src1_sel:DWORD
	s_andn2_b64 s[4:5], s[4:5], exec
	s_and_b64 s[26:27], s[26:27], exec
	v_mov_b32_e32 v25, 0
	s_or_b64 s[4:5], s[4:5], s[26:27]
	s_or_b64 exec, exec, s[24:25]
	s_and_saveexec_b64 s[24:25], s[4:5]
	s_cbranch_execnz .LBB309_201
	s_branch .LBB309_202
.LBB309_444:                            ;   in Loop: Header=BB309_10 Depth=1
	v_cmp_eq_u16_e64 s[4:5], s31, v8
	s_mov_b64 s[24:25], -1
                                        ; implicit-def: $sgpr35
	s_and_saveexec_b64 s[28:29], s[4:5]
; %bb.445:                              ;   in Loop: Header=BB309_10 Depth=1
	s_mov_b32 s35, 0x7fc02000
	s_xor_b64 s[24:25], exec, -1
; %bb.446:                              ;   in Loop: Header=BB309_10 Depth=1
	s_or_b64 exec, exec, s[28:29]
	s_and_b64 s[24:25], s[24:25], exec
	s_or_saveexec_b64 s[26:27], s[26:27]
	v_mov_b32_e32 v24, s35
	s_xor_b64 exec, exec, s[26:27]
	s_cbranch_execz .LBB309_204
.LBB309_447:                            ;   in Loop: Header=BB309_10 Depth=1
	v_cmp_ne_u16_e64 s[4:5], 0, v8
	s_andn2_b64 s[24:25], s[24:25], exec
	s_and_b64 s[4:5], s[4:5], exec
	v_mov_b32_e32 v24, 0
	s_or_b64 s[24:25], s[24:25], s[4:5]
	s_or_b64 exec, exec, s[26:27]
	s_and_saveexec_b64 s[26:27], s[24:25]
	s_cbranch_execnz .LBB309_205
	s_branch .LBB309_206
.LBB309_448:                            ;   in Loop: Header=BB309_10 Depth=1
	v_cmp_eq_u16_sdwa s[36:37], v12, s31 src0_sel:BYTE_0 src1_sel:DWORD
	s_mov_b64 s[4:5], -1
                                        ; implicit-def: $sgpr28
	s_and_saveexec_b64 s[26:27], s[36:37]
; %bb.449:                              ;   in Loop: Header=BB309_10 Depth=1
	s_mov_b32 s28, 0x7fc02000
	s_xor_b64 s[4:5], exec, -1
; %bb.450:                              ;   in Loop: Header=BB309_10 Depth=1
	s_or_b64 exec, exec, s[26:27]
	s_and_b64 s[4:5], s[4:5], exec
	s_or_saveexec_b64 s[24:25], s[24:25]
	v_mov_b32_e32 v42, s28
	s_xor_b64 exec, exec, s[24:25]
	s_cbranch_execz .LBB309_208
.LBB309_451:                            ;   in Loop: Header=BB309_10 Depth=1
	v_cmp_ne_u16_sdwa s[26:27], v12, v9 src0_sel:BYTE_0 src1_sel:DWORD
	s_andn2_b64 s[4:5], s[4:5], exec
	s_and_b64 s[26:27], s[26:27], exec
	v_mov_b32_e32 v42, 0
	s_or_b64 s[4:5], s[4:5], s[26:27]
	s_or_b64 exec, exec, s[24:25]
	s_and_saveexec_b64 s[24:25], s[4:5]
	s_cbranch_execnz .LBB309_209
	s_branch .LBB309_210
.LBB309_452:                            ;   in Loop: Header=BB309_10 Depth=1
	v_cmp_eq_u16_e64 s[4:5], s31, v8
	s_mov_b64 s[24:25], -1
                                        ; implicit-def: $sgpr35
	s_and_saveexec_b64 s[28:29], s[4:5]
; %bb.453:                              ;   in Loop: Header=BB309_10 Depth=1
	s_mov_b32 s35, 0x7fc02000
	s_xor_b64 s[24:25], exec, -1
; %bb.454:                              ;   in Loop: Header=BB309_10 Depth=1
	s_or_b64 exec, exec, s[28:29]
	s_and_b64 s[24:25], s[24:25], exec
	s_or_saveexec_b64 s[26:27], s[26:27]
	v_mov_b32_e32 v43, s35
	s_xor_b64 exec, exec, s[26:27]
	s_cbranch_execz .LBB309_212
.LBB309_455:                            ;   in Loop: Header=BB309_10 Depth=1
	v_cmp_ne_u16_e64 s[4:5], 0, v8
	s_andn2_b64 s[24:25], s[24:25], exec
	s_and_b64 s[4:5], s[4:5], exec
	v_mov_b32_e32 v43, 0
	s_or_b64 s[24:25], s[24:25], s[4:5]
	s_or_b64 exec, exec, s[26:27]
	s_and_saveexec_b64 s[26:27], s[24:25]
	s_cbranch_execnz .LBB309_213
	s_branch .LBB309_214
.LBB309_456:                            ;   in Loop: Header=BB309_10 Depth=1
	v_cmp_eq_u16_sdwa s[36:37], v8, s31 src0_sel:BYTE_0 src1_sel:DWORD
	s_mov_b64 s[4:5], -1
                                        ; implicit-def: $sgpr28
	s_and_saveexec_b64 s[26:27], s[36:37]
; %bb.457:                              ;   in Loop: Header=BB309_10 Depth=1
	s_mov_b32 s28, 0x7fc02000
	s_xor_b64 s[4:5], exec, -1
; %bb.458:                              ;   in Loop: Header=BB309_10 Depth=1
	s_or_b64 exec, exec, s[26:27]
	s_and_b64 s[4:5], s[4:5], exec
	s_or_saveexec_b64 s[24:25], s[24:25]
	v_mov_b32_e32 v44, s28
	s_xor_b64 exec, exec, s[24:25]
	s_cbranch_execz .LBB309_216
.LBB309_459:                            ;   in Loop: Header=BB309_10 Depth=1
	v_cmp_ne_u16_sdwa s[26:27], v8, v9 src0_sel:BYTE_0 src1_sel:DWORD
	s_andn2_b64 s[4:5], s[4:5], exec
	s_and_b64 s[26:27], s[26:27], exec
	v_mov_b32_e32 v44, 0
	s_or_b64 s[4:5], s[4:5], s[26:27]
	s_or_b64 exec, exec, s[24:25]
	s_and_saveexec_b64 s[24:25], s[4:5]
	s_cbranch_execnz .LBB309_217
	s_branch .LBB309_218
.LBB309_460:                            ;   in Loop: Header=BB309_10 Depth=1
	v_cmp_eq_u16_e64 s[4:5], s31, v8
	s_mov_b64 s[24:25], -1
                                        ; implicit-def: $sgpr35
	s_and_saveexec_b64 s[28:29], s[4:5]
; %bb.461:                              ;   in Loop: Header=BB309_10 Depth=1
	s_mov_b32 s35, 0x7fc02000
	s_xor_b64 s[24:25], exec, -1
; %bb.462:                              ;   in Loop: Header=BB309_10 Depth=1
	s_or_b64 exec, exec, s[28:29]
	s_and_b64 s[24:25], s[24:25], exec
	s_or_saveexec_b64 s[26:27], s[26:27]
	v_mov_b32_e32 v45, s35
	s_xor_b64 exec, exec, s[26:27]
	s_cbranch_execz .LBB309_220
.LBB309_463:                            ;   in Loop: Header=BB309_10 Depth=1
	v_cmp_ne_u16_e64 s[4:5], 0, v8
	s_andn2_b64 s[24:25], s[24:25], exec
	s_and_b64 s[4:5], s[4:5], exec
	v_mov_b32_e32 v45, 0
	s_or_b64 s[24:25], s[24:25], s[4:5]
	s_or_b64 exec, exec, s[26:27]
	s_and_saveexec_b64 s[26:27], s[24:25]
	s_cbranch_execnz .LBB309_221
	s_branch .LBB309_222
.LBB309_464:                            ;   in Loop: Header=BB309_10 Depth=1
	v_cmp_eq_u16_sdwa s[36:37], v12, s31 src0_sel:BYTE_0 src1_sel:DWORD
	s_mov_b64 s[4:5], -1
                                        ; implicit-def: $sgpr28
	s_and_saveexec_b64 s[26:27], s[36:37]
; %bb.465:                              ;   in Loop: Header=BB309_10 Depth=1
	s_mov_b32 s28, 0x7fc02000
	s_xor_b64 s[4:5], exec, -1
; %bb.466:                              ;   in Loop: Header=BB309_10 Depth=1
	s_or_b64 exec, exec, s[26:27]
	s_and_b64 s[4:5], s[4:5], exec
	s_or_saveexec_b64 s[24:25], s[24:25]
	v_mov_b32_e32 v46, s28
	s_xor_b64 exec, exec, s[24:25]
	s_cbranch_execz .LBB309_224
.LBB309_467:                            ;   in Loop: Header=BB309_10 Depth=1
	v_cmp_ne_u16_sdwa s[26:27], v12, v9 src0_sel:BYTE_0 src1_sel:DWORD
	s_andn2_b64 s[4:5], s[4:5], exec
	s_and_b64 s[26:27], s[26:27], exec
	v_mov_b32_e32 v46, 0
	s_or_b64 s[4:5], s[4:5], s[26:27]
	s_or_b64 exec, exec, s[24:25]
	s_and_saveexec_b64 s[24:25], s[4:5]
	s_cbranch_execnz .LBB309_225
	s_branch .LBB309_226
.LBB309_468:                            ;   in Loop: Header=BB309_10 Depth=1
	v_cmp_eq_u16_e64 s[4:5], s31, v8
	s_mov_b64 s[24:25], -1
                                        ; implicit-def: $sgpr35
	s_and_saveexec_b64 s[28:29], s[4:5]
; %bb.469:                              ;   in Loop: Header=BB309_10 Depth=1
	s_mov_b32 s35, 0x7fc02000
	s_xor_b64 s[24:25], exec, -1
; %bb.470:                              ;   in Loop: Header=BB309_10 Depth=1
	s_or_b64 exec, exec, s[28:29]
	s_and_b64 s[24:25], s[24:25], exec
	s_or_saveexec_b64 s[26:27], s[26:27]
	v_mov_b32_e32 v47, s35
	s_xor_b64 exec, exec, s[26:27]
	s_cbranch_execz .LBB309_228
.LBB309_471:                            ;   in Loop: Header=BB309_10 Depth=1
	v_cmp_ne_u16_e64 s[4:5], 0, v8
	s_andn2_b64 s[24:25], s[24:25], exec
	s_and_b64 s[4:5], s[4:5], exec
	v_mov_b32_e32 v47, 0
	s_or_b64 s[24:25], s[24:25], s[4:5]
	s_or_b64 exec, exec, s[26:27]
	s_and_saveexec_b64 s[26:27], s[24:25]
	s_cbranch_execnz .LBB309_229
	s_branch .LBB309_230
.LBB309_472:                            ;   in Loop: Header=BB309_10 Depth=1
	v_cmp_eq_u16_sdwa s[36:37], v8, s31 src0_sel:BYTE_0 src1_sel:DWORD
	s_mov_b64 s[4:5], -1
                                        ; implicit-def: $sgpr28
	s_and_saveexec_b64 s[26:27], s[36:37]
; %bb.473:                              ;   in Loop: Header=BB309_10 Depth=1
	s_mov_b32 s28, 0x7fc02000
	s_xor_b64 s[4:5], exec, -1
; %bb.474:                              ;   in Loop: Header=BB309_10 Depth=1
	s_or_b64 exec, exec, s[26:27]
	s_and_b64 s[4:5], s[4:5], exec
	s_or_saveexec_b64 s[24:25], s[24:25]
	v_mov_b32_e32 v56, s28
	s_xor_b64 exec, exec, s[24:25]
	s_cbranch_execz .LBB309_232
.LBB309_475:                            ;   in Loop: Header=BB309_10 Depth=1
	v_cmp_ne_u16_sdwa s[26:27], v8, v9 src0_sel:BYTE_0 src1_sel:DWORD
	s_andn2_b64 s[4:5], s[4:5], exec
	s_and_b64 s[26:27], s[26:27], exec
	v_mov_b32_e32 v56, 0
	s_or_b64 s[4:5], s[4:5], s[26:27]
	s_or_b64 exec, exec, s[24:25]
	s_and_saveexec_b64 s[24:25], s[4:5]
	s_cbranch_execnz .LBB309_233
	s_branch .LBB309_234
.LBB309_476:                            ;   in Loop: Header=BB309_10 Depth=1
	v_cmp_eq_u16_e64 s[4:5], s31, v8
	s_mov_b64 s[24:25], -1
                                        ; implicit-def: $sgpr35
	s_and_saveexec_b64 s[28:29], s[4:5]
; %bb.477:                              ;   in Loop: Header=BB309_10 Depth=1
	s_mov_b32 s35, 0x7fc02000
	s_xor_b64 s[24:25], exec, -1
; %bb.478:                              ;   in Loop: Header=BB309_10 Depth=1
	s_or_b64 exec, exec, s[28:29]
	s_and_b64 s[24:25], s[24:25], exec
	s_or_saveexec_b64 s[26:27], s[26:27]
	v_mov_b32_e32 v57, s35
	s_xor_b64 exec, exec, s[26:27]
	s_cbranch_execz .LBB309_236
.LBB309_479:                            ;   in Loop: Header=BB309_10 Depth=1
	v_cmp_ne_u16_e64 s[4:5], 0, v8
	s_andn2_b64 s[24:25], s[24:25], exec
	s_and_b64 s[4:5], s[4:5], exec
	v_mov_b32_e32 v57, 0
	s_or_b64 s[24:25], s[24:25], s[4:5]
	s_or_b64 exec, exec, s[26:27]
	s_and_saveexec_b64 s[26:27], s[24:25]
	s_cbranch_execnz .LBB309_237
	s_branch .LBB309_238
.LBB309_480:                            ;   in Loop: Header=BB309_10 Depth=1
	v_cmp_eq_u16_sdwa s[36:37], v12, s31 src0_sel:BYTE_0 src1_sel:DWORD
	s_mov_b64 s[4:5], -1
                                        ; implicit-def: $sgpr28
	s_and_saveexec_b64 s[26:27], s[36:37]
; %bb.481:                              ;   in Loop: Header=BB309_10 Depth=1
	s_mov_b32 s28, 0x7fc02000
	s_xor_b64 s[4:5], exec, -1
; %bb.482:                              ;   in Loop: Header=BB309_10 Depth=1
	s_or_b64 exec, exec, s[26:27]
	s_and_b64 s[4:5], s[4:5], exec
	s_or_saveexec_b64 s[24:25], s[24:25]
	v_mov_b32_e32 v58, s28
	s_xor_b64 exec, exec, s[24:25]
	s_cbranch_execz .LBB309_240
.LBB309_483:                            ;   in Loop: Header=BB309_10 Depth=1
	v_cmp_ne_u16_sdwa s[26:27], v12, v9 src0_sel:BYTE_0 src1_sel:DWORD
	s_andn2_b64 s[4:5], s[4:5], exec
	s_and_b64 s[26:27], s[26:27], exec
	v_mov_b32_e32 v58, 0
	s_or_b64 s[4:5], s[4:5], s[26:27]
	s_or_b64 exec, exec, s[24:25]
	s_and_saveexec_b64 s[24:25], s[4:5]
	s_cbranch_execnz .LBB309_241
	s_branch .LBB309_242
.LBB309_484:                            ;   in Loop: Header=BB309_10 Depth=1
	v_cmp_eq_u16_e64 s[4:5], s31, v8
	s_mov_b64 s[24:25], -1
                                        ; implicit-def: $sgpr35
	s_and_saveexec_b64 s[28:29], s[4:5]
; %bb.485:                              ;   in Loop: Header=BB309_10 Depth=1
	s_mov_b32 s35, 0x7fc02000
	s_xor_b64 s[24:25], exec, -1
; %bb.486:                              ;   in Loop: Header=BB309_10 Depth=1
	s_or_b64 exec, exec, s[28:29]
	s_and_b64 s[24:25], s[24:25], exec
	s_or_saveexec_b64 s[26:27], s[26:27]
	v_mov_b32_e32 v21, s35
	s_xor_b64 exec, exec, s[26:27]
	s_cbranch_execz .LBB309_244
.LBB309_487:                            ;   in Loop: Header=BB309_10 Depth=1
	v_cmp_ne_u16_e64 s[4:5], 0, v8
	s_andn2_b64 s[24:25], s[24:25], exec
	s_and_b64 s[4:5], s[4:5], exec
	v_mov_b32_e32 v21, 0
	s_or_b64 s[24:25], s[24:25], s[4:5]
	s_or_b64 exec, exec, s[26:27]
	s_and_saveexec_b64 s[26:27], s[24:25]
	s_cbranch_execnz .LBB309_245
	s_branch .LBB309_246
.LBB309_488:                            ;   in Loop: Header=BB309_10 Depth=1
	v_cmp_eq_u16_sdwa s[36:37], v8, s31 src0_sel:BYTE_0 src1_sel:DWORD
	s_mov_b64 s[4:5], -1
                                        ; implicit-def: $sgpr28
	s_and_saveexec_b64 s[26:27], s[36:37]
; %bb.489:                              ;   in Loop: Header=BB309_10 Depth=1
	s_mov_b32 s28, 0x7fc02000
	s_xor_b64 s[4:5], exec, -1
; %bb.490:                              ;   in Loop: Header=BB309_10 Depth=1
	s_or_b64 exec, exec, s[26:27]
	s_and_b64 s[4:5], s[4:5], exec
	s_or_saveexec_b64 s[24:25], s[24:25]
	v_mov_b32_e32 v59, s28
	s_xor_b64 exec, exec, s[24:25]
	s_cbranch_execz .LBB309_248
.LBB309_491:                            ;   in Loop: Header=BB309_10 Depth=1
	v_cmp_ne_u16_sdwa s[26:27], v8, v9 src0_sel:BYTE_0 src1_sel:DWORD
	s_andn2_b64 s[4:5], s[4:5], exec
	s_and_b64 s[26:27], s[26:27], exec
	v_mov_b32_e32 v59, 0
	s_or_b64 s[4:5], s[4:5], s[26:27]
	s_or_b64 exec, exec, s[24:25]
	s_and_saveexec_b64 s[24:25], s[4:5]
	s_cbranch_execnz .LBB309_249
	s_branch .LBB309_250
.LBB309_492:                            ;   in Loop: Header=BB309_10 Depth=1
	v_cmp_eq_u16_e64 s[4:5], s31, v8
	s_mov_b64 s[24:25], -1
                                        ; implicit-def: $sgpr35
	s_and_saveexec_b64 s[28:29], s[4:5]
; %bb.493:                              ;   in Loop: Header=BB309_10 Depth=1
	s_mov_b32 s35, 0x7fc02000
	s_xor_b64 s[24:25], exec, -1
; %bb.494:                              ;   in Loop: Header=BB309_10 Depth=1
	s_or_b64 exec, exec, s[28:29]
	s_and_b64 s[24:25], s[24:25], exec
	s_or_saveexec_b64 s[26:27], s[26:27]
	v_mov_b32_e32 v60, s35
	s_xor_b64 exec, exec, s[26:27]
	s_cbranch_execz .LBB309_252
.LBB309_495:                            ;   in Loop: Header=BB309_10 Depth=1
	v_cmp_ne_u16_e64 s[4:5], 0, v8
	s_andn2_b64 s[24:25], s[24:25], exec
	s_and_b64 s[4:5], s[4:5], exec
	v_mov_b32_e32 v60, 0
	s_or_b64 s[24:25], s[24:25], s[4:5]
	s_or_b64 exec, exec, s[26:27]
	s_and_saveexec_b64 s[26:27], s[24:25]
	s_cbranch_execnz .LBB309_253
	s_branch .LBB309_254
.LBB309_496:                            ;   in Loop: Header=BB309_10 Depth=1
	v_cmp_eq_u16_sdwa s[36:37], v12, s31 src0_sel:BYTE_0 src1_sel:DWORD
	s_mov_b64 s[4:5], -1
                                        ; implicit-def: $sgpr28
	s_and_saveexec_b64 s[26:27], s[36:37]
; %bb.497:                              ;   in Loop: Header=BB309_10 Depth=1
	s_mov_b32 s28, 0x7fc02000
	s_xor_b64 s[4:5], exec, -1
; %bb.498:                              ;   in Loop: Header=BB309_10 Depth=1
	s_or_b64 exec, exec, s[26:27]
	s_and_b64 s[4:5], s[4:5], exec
	s_or_saveexec_b64 s[24:25], s[24:25]
	v_mov_b32_e32 v6, s28
	s_xor_b64 exec, exec, s[24:25]
	s_cbranch_execz .LBB309_256
.LBB309_499:                            ;   in Loop: Header=BB309_10 Depth=1
	v_cmp_ne_u16_sdwa s[26:27], v12, v9 src0_sel:BYTE_0 src1_sel:DWORD
	s_andn2_b64 s[4:5], s[4:5], exec
	s_and_b64 s[26:27], s[26:27], exec
	v_mov_b32_e32 v6, 0
	s_or_b64 s[4:5], s[4:5], s[26:27]
	s_or_b64 exec, exec, s[24:25]
	s_and_saveexec_b64 s[24:25], s[4:5]
	s_cbranch_execnz .LBB309_257
	s_branch .LBB309_258
.LBB309_500:                            ;   in Loop: Header=BB309_10 Depth=1
	v_cmp_eq_u16_e64 s[4:5], s31, v8
	s_mov_b64 s[24:25], -1
                                        ; implicit-def: $sgpr35
	s_and_saveexec_b64 s[28:29], s[4:5]
; %bb.501:                              ;   in Loop: Header=BB309_10 Depth=1
	s_mov_b32 s35, 0x7fc02000
	s_xor_b64 s[24:25], exec, -1
; %bb.502:                              ;   in Loop: Header=BB309_10 Depth=1
	s_or_b64 exec, exec, s[28:29]
	s_and_b64 s[24:25], s[24:25], exec
	s_or_saveexec_b64 s[26:27], s[26:27]
	v_mov_b32_e32 v7, s35
	s_xor_b64 exec, exec, s[26:27]
	s_cbranch_execz .LBB309_260
.LBB309_503:                            ;   in Loop: Header=BB309_10 Depth=1
	v_cmp_ne_u16_e64 s[4:5], 0, v8
	s_andn2_b64 s[24:25], s[24:25], exec
	s_and_b64 s[4:5], s[4:5], exec
	v_mov_b32_e32 v7, 0
	s_or_b64 s[24:25], s[24:25], s[4:5]
	s_or_b64 exec, exec, s[26:27]
	s_and_saveexec_b64 s[26:27], s[24:25]
	s_cbranch_execnz .LBB309_261
	s_branch .LBB309_262
.LBB309_504:                            ;   in Loop: Header=BB309_10 Depth=1
	v_cmp_eq_u16_sdwa s[36:37], v8, s31 src0_sel:BYTE_0 src1_sel:DWORD
	s_mov_b64 s[4:5], -1
                                        ; implicit-def: $sgpr28
	s_and_saveexec_b64 s[26:27], s[36:37]
; %bb.505:                              ;   in Loop: Header=BB309_10 Depth=1
	s_mov_b32 s28, 0x7fc02000
	s_xor_b64 s[4:5], exec, -1
; %bb.506:                              ;   in Loop: Header=BB309_10 Depth=1
	s_or_b64 exec, exec, s[26:27]
	s_and_b64 s[4:5], s[4:5], exec
	s_or_saveexec_b64 s[24:25], s[24:25]
	v_mov_b32_e32 v26, s28
	s_xor_b64 exec, exec, s[24:25]
	s_cbranch_execz .LBB309_264
.LBB309_507:                            ;   in Loop: Header=BB309_10 Depth=1
	v_cmp_ne_u16_sdwa s[26:27], v8, v9 src0_sel:BYTE_0 src1_sel:DWORD
	s_andn2_b64 s[4:5], s[4:5], exec
	s_and_b64 s[26:27], s[26:27], exec
	v_mov_b32_e32 v26, 0
	s_or_b64 s[4:5], s[4:5], s[26:27]
	s_or_b64 exec, exec, s[24:25]
	s_and_saveexec_b64 s[24:25], s[4:5]
	s_cbranch_execnz .LBB309_265
	s_branch .LBB309_266
.LBB309_508:                            ;   in Loop: Header=BB309_10 Depth=1
	v_cmp_eq_u16_e64 s[4:5], s31, v8
	s_mov_b64 s[24:25], -1
                                        ; implicit-def: $sgpr35
	s_and_saveexec_b64 s[28:29], s[4:5]
; %bb.509:                              ;   in Loop: Header=BB309_10 Depth=1
	s_mov_b32 s35, 0x7fc02000
	s_xor_b64 s[24:25], exec, -1
; %bb.510:                              ;   in Loop: Header=BB309_10 Depth=1
	s_or_b64 exec, exec, s[28:29]
	s_and_b64 s[24:25], s[24:25], exec
	s_or_saveexec_b64 s[26:27], s[26:27]
	v_mov_b32_e32 v27, s35
	s_xor_b64 exec, exec, s[26:27]
	s_cbranch_execz .LBB309_268
.LBB309_511:                            ;   in Loop: Header=BB309_10 Depth=1
	v_cmp_ne_u16_e64 s[4:5], 0, v8
	s_andn2_b64 s[24:25], s[24:25], exec
	s_and_b64 s[4:5], s[4:5], exec
	v_mov_b32_e32 v27, 0
	s_or_b64 s[24:25], s[24:25], s[4:5]
	s_or_b64 exec, exec, s[26:27]
	s_and_saveexec_b64 s[26:27], s[24:25]
	s_cbranch_execnz .LBB309_269
	s_branch .LBB309_270
.LBB309_512:                            ;   in Loop: Header=BB309_10 Depth=1
	v_cmp_eq_u16_sdwa s[36:37], v12, s31 src0_sel:BYTE_0 src1_sel:DWORD
	s_mov_b64 s[4:5], -1
                                        ; implicit-def: $sgpr28
	s_and_saveexec_b64 s[26:27], s[36:37]
; %bb.513:                              ;   in Loop: Header=BB309_10 Depth=1
	s_mov_b32 s28, 0x7fc02000
	s_xor_b64 s[4:5], exec, -1
; %bb.514:                              ;   in Loop: Header=BB309_10 Depth=1
	s_or_b64 exec, exec, s[26:27]
	s_and_b64 s[4:5], s[4:5], exec
	s_or_saveexec_b64 s[24:25], s[24:25]
	v_mov_b32_e32 v61, s28
	s_xor_b64 exec, exec, s[24:25]
	s_cbranch_execz .LBB309_272
.LBB309_515:                            ;   in Loop: Header=BB309_10 Depth=1
	v_cmp_ne_u16_sdwa s[26:27], v12, v9 src0_sel:BYTE_0 src1_sel:DWORD
	s_andn2_b64 s[4:5], s[4:5], exec
	s_and_b64 s[26:27], s[26:27], exec
	v_mov_b32_e32 v61, 0
	s_or_b64 s[4:5], s[4:5], s[26:27]
	s_or_b64 exec, exec, s[24:25]
	s_and_saveexec_b64 s[24:25], s[4:5]
	s_cbranch_execnz .LBB309_273
	s_branch .LBB309_274
.LBB309_516:                            ;   in Loop: Header=BB309_10 Depth=1
	v_cmp_eq_u16_e64 s[4:5], s31, v8
	s_mov_b64 s[24:25], -1
                                        ; implicit-def: $sgpr35
	s_and_saveexec_b64 s[28:29], s[4:5]
; %bb.517:                              ;   in Loop: Header=BB309_10 Depth=1
	s_mov_b32 s35, 0x7fc02000
	s_xor_b64 s[24:25], exec, -1
; %bb.518:                              ;   in Loop: Header=BB309_10 Depth=1
	s_or_b64 exec, exec, s[28:29]
	s_and_b64 s[24:25], s[24:25], exec
	s_or_saveexec_b64 s[26:27], s[26:27]
	v_mov_b32_e32 v17, s35
	s_xor_b64 exec, exec, s[26:27]
	s_cbranch_execz .LBB309_276
.LBB309_519:                            ;   in Loop: Header=BB309_10 Depth=1
	v_cmp_ne_u16_e64 s[4:5], 0, v8
	s_andn2_b64 s[24:25], s[24:25], exec
	s_and_b64 s[4:5], s[4:5], exec
	v_mov_b32_e32 v17, 0
	s_or_b64 s[24:25], s[24:25], s[4:5]
	s_or_b64 exec, exec, s[26:27]
	s_and_saveexec_b64 s[26:27], s[24:25]
	s_cbranch_execnz .LBB309_277
	s_branch .LBB309_278
.LBB309_520:                            ;   in Loop: Header=BB309_10 Depth=1
	v_cmp_eq_u16_sdwa s[36:37], v8, s31 src0_sel:BYTE_0 src1_sel:DWORD
	s_mov_b64 s[4:5], -1
                                        ; implicit-def: $sgpr28
	s_and_saveexec_b64 s[26:27], s[36:37]
; %bb.521:                              ;   in Loop: Header=BB309_10 Depth=1
	s_mov_b32 s28, 0x7fc02000
	s_xor_b64 s[4:5], exec, -1
; %bb.522:                              ;   in Loop: Header=BB309_10 Depth=1
	s_or_b64 exec, exec, s[26:27]
	s_and_b64 s[4:5], s[4:5], exec
	s_or_saveexec_b64 s[24:25], s[24:25]
	v_mov_b32_e32 v19, s28
	s_xor_b64 exec, exec, s[24:25]
	s_cbranch_execz .LBB309_280
.LBB309_523:                            ;   in Loop: Header=BB309_10 Depth=1
	v_cmp_ne_u16_sdwa s[26:27], v8, v9 src0_sel:BYTE_0 src1_sel:DWORD
	s_andn2_b64 s[4:5], s[4:5], exec
	s_and_b64 s[26:27], s[26:27], exec
	v_mov_b32_e32 v19, 0
	s_or_b64 s[4:5], s[4:5], s[26:27]
	s_or_b64 exec, exec, s[24:25]
	s_and_saveexec_b64 s[24:25], s[4:5]
	s_cbranch_execnz .LBB309_281
	s_branch .LBB309_282
.LBB309_524:
	s_or_b64 exec, exec, s[22:23]
.LBB309_525:
	s_or_b64 exec, exec, s[6:7]
	scratch_load_dword v3, off, s32 offset:160 ; 4-byte Folded Reload
	v_accvgpr_read_b32 v8, a29
	v_xor_b32_e32 v1, 32, v8
	v_cmp_lt_i32_e32 vcc, v1, v0
	v_xor_b32_e32 v4, 16, v8
	v_xor_b32_e32 v5, 8, v8
	v_cndmask_b32_e32 v1, v8, v1, vcc
	v_lshlrev_b32_e32 v2, 2, v1
	v_cmp_lt_i32_e32 vcc, v4, v0
	v_xor_b32_e32 v6, 4, v8
	v_xor_b32_e32 v7, 2, v8
	s_waitcnt lgkmcnt(0)
	s_lshr_b32 s24, s30, 16
	s_waitcnt vmcnt(0)
	ds_bpermute_b32 v1, v2, v3
	v_max_f32_e32 v3, v3, v3
	s_waitcnt lgkmcnt(0)
	v_max_f32_e32 v1, v1, v1
	v_max_f32_e32 v1, v3, v1
	v_cndmask_b32_e32 v3, v8, v4, vcc
	v_lshlrev_b32_e32 v3, 2, v3
	ds_bpermute_b32 v4, v3, v1
	v_cmp_lt_i32_e32 vcc, v5, v0
	s_waitcnt lgkmcnt(0)
	v_max_f32_e32 v4, v4, v4
	v_max_f32_e32 v1, v1, v4
	v_cndmask_b32_e32 v4, v8, v5, vcc
	v_lshlrev_b32_e32 v4, 2, v4
	ds_bpermute_b32 v5, v4, v1
	v_cmp_lt_i32_e32 vcc, v6, v0
	;; [unrolled: 7-line block ×3, first 2 shown]
	s_waitcnt lgkmcnt(0)
	v_max_f32_e32 v6, v6, v6
	v_max_f32_e32 v1, v1, v6
	v_cndmask_b32_e32 v6, v8, v7, vcc
	v_lshlrev_b32_e32 v34, 2, v6
	ds_bpermute_b32 v7, v34, v1
	v_accvgpr_read_b32 v6, a2
	v_and_b32_e32 v23, 63, v6
	v_accvgpr_read_b32 v6, a7
	v_cmp_eq_u32_e32 vcc, 0, v23
	v_lshlrev_b32_e32 v6, 2, v6
	s_and_saveexec_b64 s[2:3], vcc
	s_cbranch_execz .LBB309_527
; %bb.526:
	s_waitcnt lgkmcnt(0)
	v_max_f32_e32 v7, v7, v7
	v_max_f32_e32 v1, v1, v1
	;; [unrolled: 1-line block ×3, first 2 shown]
	ds_write_b32 v6, v1 offset:256
.LBB309_527:
	s_or_b64 exec, exec, s[2:3]
	v_cmp_gt_u32_e64 s[2:3], 2, v23
	v_mov_b32_e32 v1, 0xff7fffff
	s_waitcnt lgkmcnt(0)
	v_lshlrev_b32_e32 v7, 2, v23
	s_barrier
	s_and_saveexec_b64 s[4:5], s[2:3]
	s_cbranch_execz .LBB309_529
; %bb.528:
	ds_read_b32 v1, v7 offset:256
.LBB309_529:
	s_or_b64 exec, exec, s[4:5]
	v_accvgpr_read_b32 v10, a29
	v_xor_b32_e32 v8, 1, v10
	v_cmp_lt_i32_e64 s[4:5], v8, v0
	s_nop 1
	v_cndmask_b32_e64 v0, v10, v8, s[4:5]
	v_lshlrev_b32_e32 v35, 2, v0
	s_waitcnt lgkmcnt(0)
	ds_bpermute_b32 v0, v35, v1
	v_accvgpr_read_b32 v8, a3
	v_max_f32_e32 v1, v1, v1
	v_subrev_u32_e32 v8, s19, v8
	v_lshl_add_u32 v9, v8, 5, s21
	s_waitcnt lgkmcnt(0)
	v_max_f32_e32 v0, v0, v0
	v_max_f32_e32 v0, v1, v0
	v_lshlrev_b32_e32 v1, 2, v10
	v_and_b32_e32 v8, 0xffffff00, v1
	ds_bpermute_b32 v0, v8, v0
	v_accvgpr_read_b32 v10, a8
	v_min_i32_e32 v9, v9, v10
	v_subrev_u32_e32 v1, s21, v9
	v_accvgpr_read_b32 v10, a2
	v_cmp_lt_i32_e64 s[4:5], v10, v1
	v_mov_b32_e32 v10, 0
	s_and_saveexec_b64 s[8:9], s[4:5]
	s_cbranch_execz .LBB309_533
; %bb.530:
	s_ashr_i32 s17, s16, 31
	s_lshl_b64 s[6:7], s[16:17], 2
	s_getpc_b64 s[22:23]
	s_add_u32 s22, s22, llvm.amdgcn.dynlds.offset.table@rel32@lo+4
	s_addc_u32 s23, s23, llvm.amdgcn.dynlds.offset.table@rel32@hi+12
	s_add_u32 s6, s6, s22
	s_addc_u32 s7, s7, s23
	s_load_dword s6, s[6:7], 0x0
	v_accvgpr_read_b32 v12, a2
	s_mov_b64 s[22:23], 0
	v_mov_b32_e32 v10, 0
	s_waitcnt lgkmcnt(0)
	v_lshl_add_u32 v11, v12, 2, s6
.LBB309_531:                            ; =>This Inner Loop Header: Depth=1
	ds_read_b32 v13, v11
	v_add_u32_e32 v12, 0x80, v12
	v_cmp_ge_i32_e64 s[6:7], v12, v1
	s_or_b64 s[22:23], s[6:7], s[22:23]
	s_waitcnt lgkmcnt(0)
	v_sub_f32_e32 v13, v13, v0
	v_mul_f32_e32 v13, 0x3fb8aa3b, v13
	v_exp_f32_e32 v13, v13
	ds_write_b32 v11, v13
	v_add_f32_e32 v10, v10, v13
	v_add_u32_e32 v11, 0x200, v11
	s_andn2_b64 exec, exec, s[22:23]
	s_cbranch_execnz .LBB309_531
; %bb.532:
	s_or_b64 exec, exec, s[22:23]
.LBB309_533:
	s_or_b64 exec, exec, s[8:9]
	ds_bpermute_b32 v2, v2, v10
	s_waitcnt lgkmcnt(0)
	v_add_f32_e32 v2, v10, v2
	ds_bpermute_b32 v3, v3, v2
	s_waitcnt lgkmcnt(0)
	v_add_f32_e32 v2, v2, v3
	;; [unrolled: 3-line block ×6, first 2 shown]
	s_and_saveexec_b64 s[6:7], vcc
	s_cbranch_execz .LBB309_535
; %bb.534:
	ds_write_b32 v6, v2 offset:264
.LBB309_535:
	s_or_b64 exec, exec, s[6:7]
	s_waitcnt lgkmcnt(0)
	s_barrier
	s_and_saveexec_b64 s[6:7], s[2:3]
	s_cbranch_execz .LBB309_537
; %bb.536:
	ds_read_b32 v2, v7 offset:264
.LBB309_537:
	s_or_b64 exec, exec, s[6:7]
	s_waitcnt lgkmcnt(0)
	ds_bpermute_b32 v3, v35, v2
	s_waitcnt lgkmcnt(0)
	v_add_f32_e32 v2, v2, v3
	ds_bpermute_b32 v2, v8, v2
	s_and_saveexec_b64 s[2:3], s[4:5]
	s_cbranch_execz .LBB309_550
; %bb.538:
	s_waitcnt lgkmcnt(0)
	v_add_f32_e32 v3, 0x358637bd, v2
	v_div_scale_f32 v4, s[4:5], v3, v3, 1.0
	v_rcp_f32_e32 v5, v4
	v_div_scale_f32 v6, vcc, 1.0, v3, 1.0
	s_movk_i32 s4, 0x7f
	v_fma_f32 v7, -v4, v5, 1.0
	v_fmac_f32_e32 v5, v7, v5
	v_mul_f32_e32 v7, v6, v5
	v_fma_f32 v8, -v4, v7, v6
	v_fmac_f32_e32 v7, v8, v5
	v_fma_f32 v4, -v4, v7, v6
	v_div_fmas_f32 v4, v4, v5, v7
	v_accvgpr_read_b32 v5, a2
	v_div_fixup_f32 v8, v4, v3, 1.0
	v_xad_u32 v3, v5, -1, v9
	v_subrev_u32_e32 v4, s21, v3
	v_cmp_lt_u32_e32 vcc, s4, v4
	s_mov_b64 s[6:7], -1
	v_accvgpr_read_b32 v3, a2
	s_and_saveexec_b64 s[4:5], vcc
	s_cbranch_execz .LBB309_547
; %bb.539:
	v_lshrrev_b32_e32 v3, 7, v4
	v_add_u32_e32 v5, -1, v3
	v_lshrrev_b32_e32 v4, 1, v5
	v_mov_b32_e32 v9, v8
	v_add_u32_e32 v4, 1, v4
	v_cmp_lt_u32_e32 vcc, 13, v5
	v_mov_b32_e32 v7, 0
	s_and_saveexec_b64 s[6:7], vcc
	s_cbranch_execz .LBB309_543
; %bb.540:
	s_ashr_i32 s17, s16, 31
	s_lshl_b64 s[8:9], s[16:17], 2
	s_getpc_b64 s[22:23]
	s_add_u32 s22, s22, llvm.amdgcn.dynlds.offset.table@rel32@lo+4
	s_addc_u32 s23, s23, llvm.amdgcn.dynlds.offset.table@rel32@hi+12
	s_add_u32 s8, s8, s22
	s_addc_u32 s9, s9, s23
	s_load_dword s8, s[8:9], 0x0
	v_accvgpr_read_b32 v6, a2
	v_and_b32_e32 v5, -8, v4
	s_mov_b32 s17, 0
	s_waitcnt lgkmcnt(0)
	v_lshl_add_u32 v6, v6, 2, s8
	s_mov_b64 s[8:9], 0
.LBB309_541:                            ; =>This Inner Loop Header: Depth=1
	ds_read2st64_b32 v[10:11], v6 offset1:2
	ds_read2st64_b32 v[12:13], v6 offset0:4 offset1:6
	ds_read2st64_b32 v[14:15], v6 offset0:8 offset1:10
	;; [unrolled: 1-line block ×3, first 2 shown]
	v_add_u32_e32 v5, -8, v5
	s_waitcnt lgkmcnt(3)
	v_pk_mul_f32 v[10:11], v[8:9], v[10:11]
	s_waitcnt lgkmcnt(2)
	v_pk_mul_f32 v[12:13], v[8:9], v[12:13]
	ds_write2st64_b32 v6, v10, v11 offset1:2
	ds_write2st64_b32 v6, v12, v13 offset0:4 offset1:6
	ds_read2st64_b32 v[12:13], v6 offset0:16 offset1:18
	s_waitcnt lgkmcnt(4)
	v_pk_mul_f32 v[10:11], v[8:9], v[14:15]
	ds_write2st64_b32 v6, v10, v11 offset0:8 offset1:10
	s_waitcnt lgkmcnt(4)
	v_pk_mul_f32 v[10:11], v[8:9], v[18:19]
	ds_write2st64_b32 v6, v10, v11 offset0:12 offset1:14
	ds_read2st64_b32 v[10:11], v6 offset0:20 offset1:22
	s_waitcnt lgkmcnt(3)
	v_pk_mul_f32 v[12:13], v[8:9], v[12:13]
	ds_read2st64_b32 v[14:15], v6 offset0:24 offset1:26
	ds_write2st64_b32 v6, v12, v13 offset0:16 offset1:18
	ds_read2st64_b32 v[12:13], v6 offset0:28 offset1:30
	s_waitcnt lgkmcnt(3)
	v_pk_mul_f32 v[10:11], v[8:9], v[10:11]
	ds_write2st64_b32 v6, v10, v11 offset0:20 offset1:22
	s_waitcnt lgkmcnt(3)
	v_pk_mul_f32 v[10:11], v[8:9], v[14:15]
	ds_write2st64_b32 v6, v10, v11 offset0:24 offset1:26
	s_waitcnt lgkmcnt(2)
	v_pk_mul_f32 v[10:11], v[8:9], v[12:13]
	s_add_i32 s17, s17, 16
	v_cmp_eq_u32_e32 vcc, 0, v5
	ds_write2st64_b32 v6, v10, v11 offset0:28 offset1:30
	v_add_u32_e32 v6, 0x2000, v6
	s_or_b64 s[8:9], vcc, s[8:9]
	v_mov_b32_e32 v7, s17
	s_andn2_b64 exec, exec, s[8:9]
	s_cbranch_execnz .LBB309_541
; %bb.542:
	s_or_b64 exec, exec, s[8:9]
.LBB309_543:
	s_or_b64 exec, exec, s[6:7]
	v_and_b32_e32 v4, 7, v4
	v_cmp_ne_u32_e32 vcc, 0, v4
	s_and_saveexec_b64 s[6:7], vcc
	s_cbranch_execz .LBB309_546
; %bb.544:
	s_ashr_i32 s17, s16, 31
	s_lshl_b64 s[8:9], s[16:17], 2
	s_getpc_b64 s[22:23]
	s_add_u32 s22, s22, llvm.amdgcn.dynlds.offset.table@rel32@lo+4
	s_addc_u32 s23, s23, llvm.amdgcn.dynlds.offset.table@rel32@hi+12
	s_add_u32 s8, s8, s22
	s_addc_u32 s9, s9, s23
	s_load_dword s8, s[8:9], 0x0
	v_accvgpr_read_b32 v6, a2
	v_lshlrev_b32_e32 v5, 9, v7
	v_lshlrev_b32_e32 v6, 2, v6
	s_waitcnt lgkmcnt(0)
	v_add3_u32 v5, v5, v6, s8
	s_mov_b64 s[8:9], 0
.LBB309_545:                            ; =>This Inner Loop Header: Depth=1
	ds_read2st64_b32 v[6:7], v5 offset1:2
	v_add_u32_e32 v4, -1, v4
	v_cmp_eq_u32_e32 vcc, 0, v4
	s_or_b64 s[8:9], vcc, s[8:9]
	s_waitcnt lgkmcnt(0)
	v_pk_mul_f32 v[6:7], v[8:9], v[6:7]
	ds_write2st64_b32 v5, v6, v7 offset1:2
	v_add_u32_e32 v5, 0x400, v5
	s_andn2_b64 exec, exec, s[8:9]
	s_cbranch_execnz .LBB309_545
.LBB309_546:
	s_or_b64 exec, exec, s[6:7]
	v_add_u32_e32 v4, 1, v3
	v_and_b32_e32 v5, 0x3fffffe, v4
	v_accvgpr_read_b32 v3, a2
	v_cmp_ne_u32_e32 vcc, v4, v5
	v_lshl_add_u32 v3, v5, 7, v3
	s_orn2_b64 s[6:7], vcc, exec
.LBB309_547:
	s_or_b64 exec, exec, s[4:5]
	s_and_b64 exec, exec, s[6:7]
	s_cbranch_execz .LBB309_550
; %bb.548:
	s_ashr_i32 s17, s16, 31
	s_lshl_b64 s[4:5], s[16:17], 2
	s_getpc_b64 s[6:7]
	s_add_u32 s6, s6, llvm.amdgcn.dynlds.offset.table@rel32@lo+4
	s_addc_u32 s7, s7, llvm.amdgcn.dynlds.offset.table@rel32@hi+12
	s_add_u32 s4, s4, s6
	s_addc_u32 s5, s5, s7
	s_load_dword s4, s[4:5], 0x0
	s_waitcnt lgkmcnt(0)
	v_lshl_add_u32 v4, v3, 2, s4
	s_mov_b64 s[4:5], 0
.LBB309_549:                            ; =>This Inner Loop Header: Depth=1
	ds_read_b32 v5, v4
	v_add_u32_e32 v3, 0x80, v3
	v_cmp_ge_i32_e32 vcc, v3, v1
	s_or_b64 s[4:5], vcc, s[4:5]
	s_waitcnt lgkmcnt(0)
	v_mul_f32_e32 v5, v8, v5
	ds_write_b32 v4, v5
	v_add_u32_e32 v4, 0x200, v4
	s_andn2_b64 exec, exec, s[4:5]
	s_cbranch_execnz .LBB309_549
.LBB309_550:
	s_or_b64 exec, exec, s[2:3]
	v_cmp_ne_u16_e64 s[2:3], s24, 0
	s_cmp_lg_u64 s[2:3], 0
	s_addc_u32 s19, s13, 0
	v_accvgpr_read_b32 v3, a2
	s_mul_i32 s2, s19, s20
	v_cmp_eq_u32_e32 vcc, 0, v3
	s_mul_i32 s2, s2, s15
	s_waitcnt lgkmcnt(0)
	s_barrier
	s_and_saveexec_b64 s[4:5], vcc
	s_cbranch_execz .LBB309_552
; %bb.551:
	s_mul_i32 s8, s19, s12
	s_ashr_i32 s3, s2, 31
	s_ashr_i32 s9, s8, 31
	;; [unrolled: 1-line block ×3, first 2 shown]
	s_lshl_b64 s[6:7], s[2:3], 2
	s_lshl_b64 s[8:9], s[8:9], 2
	;; [unrolled: 1-line block ×3, first 2 shown]
	s_add_u32 s3, s12, s8
	s_addc_u32 s8, s13, s9
	s_add_u32 s6, s3, s6
	v_accvgpr_read_b32 v4, a18
	s_addc_u32 s7, s8, s7
	v_accvgpr_read_b32 v5, a19
	v_lshl_add_u64 v[4:5], s[6:7], 0, v[4:5]
	flat_store_dword v[4:5], v0
	v_accvgpr_read_b32 v0, a16
	v_accvgpr_read_b32 v1, a17
	v_lshl_add_u64 v[0:1], s[6:7], 0, v[0:1]
	flat_store_dword v[0:1], v2
.LBB309_552:
	s_or_b64 exec, exec, s[4:5]
	v_mov_b32_e32 v1, 0
	v_and_b32_e32 v36, 3, v3
	v_mov_b32_e32 v0, 0
	v_mov_b32_e32 v3, 0
	;; [unrolled: 1-line block ×7, first 2 shown]
	s_and_saveexec_b64 s[4:5], s[0:1]
	s_cbranch_execz .LBB309_1084
; %bb.553:
	v_accvgpr_read_b32 v0, a14
	v_accvgpr_read_b32 v6, a24
	;; [unrolled: 1-line block ×3, first 2 shown]
	s_ashr_i32 s17, s16, 31
	v_accvgpr_read_b32 v1, a15
	v_accvgpr_read_b32 v7, a25
	s_lshl_b64 s[0:1], s[16:17], 2
	v_lshl_add_u64 v[0:1], v[0:1], 0, v[6:7]
	v_and_b32_e32 v10, 0x1f8, v4
	v_mov_b32_e32 v11, 0
	s_getpc_b64 s[6:7]
	s_add_u32 s6, s6, llvm.amdgcn.dynlds.offset.table@rel32@lo+4
	s_addc_u32 s7, s7, llvm.amdgcn.dynlds.offset.table@rel32@hi+12
	v_lshl_add_u64 v[20:21], v[0:1], 0, v[10:11]
	v_accvgpr_read_b32 v0, a10
	v_and_b32_e32 v2, 24, v4
	s_add_u32 s0, s0, s6
	v_accvgpr_read_b32 v1, a11
	v_accvgpr_read_b32 v4, a22
	s_addc_u32 s1, s1, s7
	v_lshlrev_b64 v[0:1], 2, v[0:1]
	v_accvgpr_read_b32 v5, a23
	s_load_dword s0, s[0:1], 0x0
	v_lshl_add_u64 v[0:1], v[4:5], 2, v[0:1]
	v_accvgpr_read_b32 v4, a12
	v_accvgpr_read_b32 v5, a13
	v_lshl_add_u64 v[14:15], v[4:5], 0, v[0:1]
	v_accvgpr_read_b32 v0, a21
	v_add3_u32 v7, s21, v0, v2
	v_lshlrev_b32_e32 v0, 5, v36
	v_accvgpr_read_b32 v1, a7
	v_accvgpr_read_b32 v3, a9
	v_lshl_or_b32 v0, v1, 7, v0
	v_add_u32_e32 v37, -1, v3
	v_accvgpr_read_b32 v17, a8
	s_waitcnt lgkmcnt(0)
	v_add_u32_e32 v48, s0, v0
	s_mov_b64 s[6:7], 0
	s_movk_i32 s3, 0x7f
	s_movk_i32 s15, 0x80
	s_mov_b32 s17, 0x8000
	s_movk_i32 s22, 0x380
	s_mov_b32 s23, 0x3020706
	s_mov_b32 s24, 0x1000504
	;; [unrolled: 1-line block ×3, first 2 shown]
	v_mov_b32_e32 v49, 0x1c00
	v_mov_b32_e32 v12, 0
	;; [unrolled: 1-line block ×9, first 2 shown]
	s_branch .LBB309_555
.LBB309_554:                            ;   in Loop: Header=BB309_555 Depth=1
	s_or_b64 exec, exec, s[0:1]
	v_add_f32_e32 v4, v4, v5
	v_add_f32_e32 v8, v8, v4
	;; [unrolled: 1-line block ×10, first 2 shown]
	;;#ASMSTART
	v_pk_mul_f16 v4, v40, v25;

	;;#ASMEND
	;;#ASMSTART
	v_pk_mul_f16 v5, v41, v10;

	;;#ASMEND
	;; [unrolled: 4-line block ×4, first 2 shown]
	v_add_f32_e32 v16, v45, v46
	;;#ASMSTART
	v_pk_add_f16 v4, v4, v5;

	;;#ASMEND
	v_add_f32_e32 v12, v12, v16
	;;#ASMSTART
	v_pk_add_f16 v4, v4, v6;

	;;#ASMEND
	v_accvgpr_read_b32 v6, a10
	;;#ASMSTART
	v_pk_add_f16 v4, v4, v10;

	;;#ASMEND
	v_add_u32_e32 v6, 2, v6
	v_lshrrev_b32_e32 v5, 16, v4
	v_and_b32_e32 v4, 0xffff, v4
	;;#ASMSTART
	v_cvt_f32_f16 v4, v4;
	;;#ASMEND
	;;#ASMSTART
	v_cvt_f32_f16 v5, v5;
	;;#ASMEND
	v_add_f32_e32 v16, v47, v56
	v_add_f32_e32 v4, v4, v5
	;; [unrolled: 1-line block ×3, first 2 shown]
	v_accvgpr_read_b32 v4, a3
	v_cmp_ge_i32_e32 vcc, v6, v4
	v_add_f32_e32 v13, v13, v16
	v_lshl_add_u64 v[14:15], v[14:15], 0, 8
	v_add_u32_e32 v7, 64, v7
	v_accvgpr_write_b32 a10, v6
	s_or_b64 s[6:7], vcc, s[6:7]
	v_add_u32_e32 v48, 0x100, v48
	s_andn2_b64 exec, exec, s[6:7]
	s_cbranch_execz .LBB309_1083
.LBB309_555:                            ; =>This Inner Loop Header: Depth=1
	ds_read2_b64 v[24:27], v48 offset1:1
	ds_read2_b64 v[28:31], v48 offset0:2 offset1:3
	v_accvgpr_read_b32 v16, a6
                                        ; implicit-def: $sgpr20
	s_waitcnt lgkmcnt(0)
	;;#ASMSTART
	v_cvt_f16_f32 v4, v24;

	;;#ASMEND
	;;#ASMSTART
	v_cvt_f16_f32 v5, v25;

	;;#ASMEND
	;; [unrolled: 4-line block ×8, first 2 shown]
	flat_load_dword v10, v[14:15]
	v_accvgpr_read_b32 v31, a5
	v_accvgpr_read_b32 v30, a4
	flat_load_dword v24, v[30:31]
	s_waitcnt vmcnt(0) lgkmcnt(0)
	v_mad_i64_i32 v[18:19], s[0:1], v10, v16, v[20:21]
	flat_load_dwordx2 v[28:29], v[18:19]
	s_mov_b64 s[0:1], 0
	s_waitcnt vmcnt(0) lgkmcnt(0)
	v_cmp_gt_i16_sdwa s[8:9], v28, s3 src0_sel:BYTE_0 src1_sel:DWORD
	s_and_saveexec_b64 s[12:13], s[8:9]
	s_xor_b64 s[8:9], exec, s[12:13]
	s_cbranch_execnz .LBB309_827
; %bb.556:                              ;   in Loop: Header=BB309_555 Depth=1
	s_or_saveexec_b64 s[8:9], s[8:9]
	v_mov_b32_e32 v30, s20
	s_xor_b64 exec, exec, s[8:9]
	s_cbranch_execnz .LBB309_830
.LBB309_557:                            ;   in Loop: Header=BB309_555 Depth=1
	s_or_b64 exec, exec, s[8:9]
	s_and_saveexec_b64 s[8:9], s[0:1]
	s_cbranch_execz .LBB309_559
.LBB309_558:                            ;   in Loop: Header=BB309_555 Depth=1
	v_and_b32_e32 v10, 7, v28
	v_ffbh_u32_e32 v10, v10
	v_bfe_u32 v16, v28, 3, 4
	v_min_u32_e32 v10, 32, v10
	v_subrev_u32_e32 v26, 28, v10
	v_sub_u32_e32 v10, 29, v10
	v_cmp_eq_u32_e32 vcc, 0, v16
	s_nop 1
	v_cndmask_b32_e32 v10, v16, v10, vcc
	v_cndmask_b32_e32 v16, 0, v26, vcc
	v_lshlrev_b64 v[30:31], v16, v[28:29]
	v_lshlrev_b32_e32 v26, 8, v28
	v_lshl_add_u32 v10, v10, 10, v49
	v_lshlrev_b32_e32 v16, 7, v30
	v_and_or_b32 v10, v26, s17, v10
	v_and_or_b32 v10, v16, s22, v10
	v_cvt_f32_f16_e32 v30, v10
.LBB309_559:                            ;   in Loop: Header=BB309_555 Depth=1
	s_or_b64 exec, exec, s[8:9]
	v_lshrrev_b16_e32 v10, 8, v28
	v_cmp_lt_i16_e32 vcc, s3, v10
	s_mov_b64 s[0:1], 0
                                        ; implicit-def: $sgpr20
	s_and_saveexec_b64 s[8:9], vcc
	s_xor_b64 s[8:9], exec, s[8:9]
	s_cbranch_execnz .LBB309_831
; %bb.560:                              ;   in Loop: Header=BB309_555 Depth=1
	s_or_saveexec_b64 s[8:9], s[8:9]
	v_mov_b32_e32 v32, s20
	s_xor_b64 exec, exec, s[8:9]
	s_cbranch_execnz .LBB309_834
.LBB309_561:                            ;   in Loop: Header=BB309_555 Depth=1
	s_or_b64 exec, exec, s[8:9]
	s_and_saveexec_b64 s[8:9], s[0:1]
	s_cbranch_execz .LBB309_563
.LBB309_562:                            ;   in Loop: Header=BB309_555 Depth=1
	v_and_b32_e32 v16, 7, v10
	v_ffbh_u32_e32 v31, v16
	v_bfe_u32 v26, v10, 3, 4
	v_min_u32_e32 v31, 32, v31
	v_subrev_u32_e32 v32, 28, v31
	v_sub_u32_e32 v31, 29, v31
	v_cmp_eq_u32_e32 vcc, 0, v26
	v_lshlrev_b64 v[32:33], v32, v[10:11]
	v_and_b32_e32 v32, 7, v32
	v_cndmask_b32_e32 v26, v26, v31, vcc
	v_lshlrev_b32_e32 v10, 8, v10
	v_lshl_add_u32 v26, v26, 10, v49
	v_cndmask_b32_e32 v16, v16, v32, vcc
	v_and_or_b32 v10, v10, s17, v26
	v_lshl_or_b32 v10, v16, 7, v10
	v_cvt_f32_f16_e32 v32, v10
.LBB309_563:                            ;   in Loop: Header=BB309_555 Depth=1
	s_or_b64 exec, exec, s[8:9]
	v_lshrrev_b32_e32 v10, 16, v28
	v_cmp_gt_i16_sdwa s[8:9], v10, s3 src0_sel:BYTE_0 src1_sel:DWORD
	s_mov_b64 s[0:1], 0
                                        ; implicit-def: $sgpr20
	s_and_saveexec_b64 s[12:13], s[8:9]
	s_xor_b64 s[8:9], exec, s[12:13]
	s_cbranch_execnz .LBB309_835
; %bb.564:                              ;   in Loop: Header=BB309_555 Depth=1
	s_or_saveexec_b64 s[8:9], s[8:9]
	v_mov_b32_e32 v31, s20
	s_xor_b64 exec, exec, s[8:9]
	s_cbranch_execnz .LBB309_838
.LBB309_565:                            ;   in Loop: Header=BB309_555 Depth=1
	s_or_b64 exec, exec, s[8:9]
	s_and_saveexec_b64 s[8:9], s[0:1]
	s_cbranch_execz .LBB309_567
.LBB309_566:                            ;   in Loop: Header=BB309_555 Depth=1
	v_bfe_u32 v16, v28, 16, 3
	v_ffbh_u32_e32 v31, v16
	v_bfe_u32 v26, v28, 19, 4
	v_min_u32_e32 v31, 32, v31
	v_subrev_u32_e32 v33, 28, v31
	v_sub_u32_e32 v31, 29, v31
	v_cmp_eq_u32_e32 vcc, 0, v26
	v_lshlrev_b64 v[50:51], v33, v[10:11]
	v_and_b32_e32 v33, 7, v50
	v_cndmask_b32_e32 v26, v26, v31, vcc
	v_lshlrev_b32_e32 v10, 8, v10
	v_lshl_add_u32 v26, v26, 10, v49
	v_cndmask_b32_e32 v16, v16, v33, vcc
	v_and_or_b32 v10, v10, s17, v26
	v_lshl_or_b32 v10, v16, 7, v10
	v_cvt_f32_f16_e32 v31, v10
.LBB309_567:                            ;   in Loop: Header=BB309_555 Depth=1
	s_or_b64 exec, exec, s[8:9]
	v_lshrrev_b32_e32 v10, 24, v28
	v_cmp_lt_i16_e32 vcc, s3, v10
	s_mov_b64 s[0:1], 0
                                        ; implicit-def: $sgpr20
	s_and_saveexec_b64 s[8:9], vcc
	s_xor_b64 s[8:9], exec, s[8:9]
	s_cbranch_execnz .LBB309_839
; %bb.568:                              ;   in Loop: Header=BB309_555 Depth=1
	s_or_saveexec_b64 s[8:9], s[8:9]
	v_mov_b32_e32 v33, s20
	s_xor_b64 exec, exec, s[8:9]
	s_cbranch_execnz .LBB309_842
.LBB309_569:                            ;   in Loop: Header=BB309_555 Depth=1
	s_or_b64 exec, exec, s[8:9]
	s_and_saveexec_b64 s[8:9], s[0:1]
	s_cbranch_execz .LBB309_571
.LBB309_570:                            ;   in Loop: Header=BB309_555 Depth=1
	v_bfe_u32 v16, v28, 24, 3
	v_bfe_u32 v26, v28, 27, 4
	v_ffbh_u32_e32 v28, v16
	v_min_u32_e32 v28, 32, v28
	v_subrev_u32_e32 v33, 28, v28
	v_sub_u32_e32 v28, 29, v28
	v_cmp_eq_u32_e32 vcc, 0, v26
	v_lshlrev_b64 v[50:51], v33, v[10:11]
	v_and_b32_e32 v33, 7, v50
	v_cndmask_b32_e32 v26, v26, v28, vcc
	v_lshlrev_b32_e32 v10, 8, v10
	v_lshl_add_u32 v26, v26, 10, v49
	v_cndmask_b32_e32 v16, v16, v33, vcc
	v_and_or_b32 v10, v10, s17, v26
	v_lshl_or_b32 v10, v16, 7, v10
	v_cvt_f32_f16_e32 v33, v10
.LBB309_571:                            ;   in Loop: Header=BB309_555 Depth=1
	s_or_b64 exec, exec, s[8:9]
	v_cmp_gt_i16_sdwa s[8:9], v29, s3 src0_sel:BYTE_0 src1_sel:DWORD
	s_mov_b64 s[0:1], 0
                                        ; implicit-def: $sgpr20
	s_and_saveexec_b64 s[12:13], s[8:9]
	s_xor_b64 s[8:9], exec, s[12:13]
	s_cbranch_execnz .LBB309_843
; %bb.572:                              ;   in Loop: Header=BB309_555 Depth=1
	s_or_saveexec_b64 s[8:9], s[8:9]
	v_mov_b32_e32 v26, s20
	s_xor_b64 exec, exec, s[8:9]
	s_cbranch_execnz .LBB309_846
.LBB309_573:                            ;   in Loop: Header=BB309_555 Depth=1
	s_or_b64 exec, exec, s[8:9]
	v_mov_b32_e32 v10, v29
	s_and_saveexec_b64 s[8:9], s[0:1]
	s_cbranch_execz .LBB309_575
.LBB309_574:                            ;   in Loop: Header=BB309_555 Depth=1
	v_and_b32_e32 v16, 7, v29
	v_ffbh_u32_e32 v16, v16
	v_bfe_u32 v26, v29, 3, 4
	v_min_u32_e32 v16, 32, v16
	v_subrev_u32_e32 v28, 28, v16
	v_sub_u32_e32 v16, 29, v16
	v_cmp_eq_u32_e32 vcc, 0, v26
	s_nop 1
	v_cndmask_b32_e32 v16, v26, v16, vcc
	v_cndmask_b32_e32 v26, 0, v28, vcc
	v_lshlrev_b64 v[50:51], v26, v[10:11]
	v_lshlrev_b32_e32 v28, 8, v29
	v_lshl_add_u32 v16, v16, 10, v49
	v_lshlrev_b32_e32 v26, 7, v50
	v_and_or_b32 v16, v28, s17, v16
	v_and_or_b32 v16, v26, s22, v16
	v_cvt_f32_f16_e32 v26, v16
.LBB309_575:                            ;   in Loop: Header=BB309_555 Depth=1
	s_or_b64 exec, exec, s[8:9]
	v_lshrrev_b16_e32 v10, 8, v10
	v_cmp_lt_i16_e32 vcc, s3, v10
	s_mov_b64 s[0:1], 0
                                        ; implicit-def: $sgpr20
	s_and_saveexec_b64 s[8:9], vcc
	s_xor_b64 s[8:9], exec, s[8:9]
	s_cbranch_execnz .LBB309_847
; %bb.576:                              ;   in Loop: Header=BB309_555 Depth=1
	s_or_saveexec_b64 s[8:9], s[8:9]
	v_mov_b32_e32 v28, s20
	s_xor_b64 exec, exec, s[8:9]
	s_cbranch_execnz .LBB309_850
.LBB309_577:                            ;   in Loop: Header=BB309_555 Depth=1
	s_or_b64 exec, exec, s[8:9]
	s_and_saveexec_b64 s[8:9], s[0:1]
	s_cbranch_execz .LBB309_579
.LBB309_578:                            ;   in Loop: Header=BB309_555 Depth=1
	v_and_b32_e32 v16, 7, v10
	v_ffbh_u32_e32 v50, v16
	v_min_u32_e32 v52, 32, v50
	v_subrev_u32_e32 v50, 28, v52
	v_bfe_u32 v28, v10, 3, 4
	v_lshlrev_b64 v[50:51], v50, v[10:11]
	v_sub_u32_e32 v51, 29, v52
	v_cmp_eq_u32_e32 vcc, 0, v28
	v_and_b32_e32 v50, 7, v50
	v_lshlrev_b32_e32 v10, 8, v10
	v_cndmask_b32_e32 v28, v28, v51, vcc
	v_lshl_add_u32 v28, v28, 10, v49
	v_cndmask_b32_e32 v16, v16, v50, vcc
	v_and_or_b32 v10, v10, s17, v28
	v_lshl_or_b32 v10, v16, 7, v10
	v_cvt_f32_f16_e32 v28, v10
.LBB309_579:                            ;   in Loop: Header=BB309_555 Depth=1
	s_or_b64 exec, exec, s[8:9]
	v_lshrrev_b32_e32 v10, 16, v29
	v_cmp_gt_i16_sdwa s[8:9], v10, s3 src0_sel:BYTE_0 src1_sel:DWORD
	s_mov_b64 s[0:1], 0
                                        ; implicit-def: $sgpr20
	s_and_saveexec_b64 s[12:13], s[8:9]
	s_xor_b64 s[8:9], exec, s[12:13]
	s_cbranch_execnz .LBB309_851
; %bb.580:                              ;   in Loop: Header=BB309_555 Depth=1
	s_or_saveexec_b64 s[8:9], s[8:9]
	v_mov_b32_e32 v50, s20
	s_xor_b64 exec, exec, s[8:9]
	s_cbranch_execnz .LBB309_854
.LBB309_581:                            ;   in Loop: Header=BB309_555 Depth=1
	s_or_b64 exec, exec, s[8:9]
	s_and_saveexec_b64 s[8:9], s[0:1]
	s_cbranch_execz .LBB309_583
.LBB309_582:                            ;   in Loop: Header=BB309_555 Depth=1
	v_bfe_u32 v16, v29, 16, 3
	v_ffbh_u32_e32 v50, v16
	v_min_u32_e32 v53, 32, v50
	v_subrev_u32_e32 v50, 28, v53
	v_bfe_u32 v52, v29, 19, 4
	v_lshlrev_b64 v[50:51], v50, v[10:11]
	v_sub_u32_e32 v51, 29, v53
	v_cmp_eq_u32_e32 vcc, 0, v52
	v_and_b32_e32 v50, 7, v50
	v_lshlrev_b32_e32 v10, 8, v10
	v_cndmask_b32_e32 v51, v52, v51, vcc
	v_cndmask_b32_e32 v16, v16, v50, vcc
	v_lshl_add_u32 v50, v51, 10, v49
	v_and_or_b32 v10, v10, s17, v50
	v_lshl_or_b32 v10, v16, 7, v10
	v_cvt_f32_f16_e32 v50, v10
.LBB309_583:                            ;   in Loop: Header=BB309_555 Depth=1
	s_or_b64 exec, exec, s[8:9]
	v_lshrrev_b32_e32 v10, 24, v29
	v_cmp_lt_i16_e32 vcc, s3, v10
	s_mov_b64 s[0:1], 0
                                        ; implicit-def: $sgpr20
	s_and_saveexec_b64 s[8:9], vcc
	s_xor_b64 s[8:9], exec, s[8:9]
	s_cbranch_execnz .LBB309_855
; %bb.584:                              ;   in Loop: Header=BB309_555 Depth=1
	s_or_saveexec_b64 s[8:9], s[8:9]
	v_mov_b32_e32 v51, s20
	s_xor_b64 exec, exec, s[8:9]
	s_cbranch_execnz .LBB309_858
.LBB309_585:                            ;   in Loop: Header=BB309_555 Depth=1
	s_or_b64 exec, exec, s[8:9]
	s_and_saveexec_b64 s[8:9], s[0:1]
	s_cbranch_execz .LBB309_587
.LBB309_586:                            ;   in Loop: Header=BB309_555 Depth=1
	v_bfe_u32 v16, v29, 24, 3
	v_ffbh_u32_e32 v51, v16
	v_bfe_u32 v29, v29, 27, 4
	v_min_u32_e32 v51, 32, v51
	v_subrev_u32_e32 v52, 28, v51
	v_sub_u32_e32 v51, 29, v51
	v_cmp_eq_u32_e32 vcc, 0, v29
	v_lshlrev_b64 v[52:53], v52, v[10:11]
	v_and_b32_e32 v52, 7, v52
	v_cndmask_b32_e32 v29, v29, v51, vcc
	v_lshlrev_b32_e32 v10, 8, v10
	v_lshl_add_u32 v29, v29, 10, v49
	v_cndmask_b32_e32 v16, v16, v52, vcc
	v_and_or_b32 v10, v10, s17, v29
	v_lshl_or_b32 v10, v16, 7, v10
	v_cvt_f32_f16_e32 v51, v10
.LBB309_587:                            ;   in Loop: Header=BB309_555 Depth=1
	s_or_b64 exec, exec, s[8:9]
	v_pk_mul_f32 v[32:33], v[24:25], v[32:33] op_sel_hi:[0,1]
	v_pk_mul_f32 v[30:31], v[24:25], v[30:31] op_sel_hi:[0,1]
	v_cvt_f16_f32_e32 v10, v33
	v_cvt_f16_f32_e32 v16, v32
	;; [unrolled: 1-line block ×4, first 2 shown]
	v_fma_mixlo_f16 v26, v24, v26, 0
	v_pack_b32_f16 v16, v16, v10
	v_accvgpr_read_b32 v32, a10
	v_pack_b32_f16 v29, v30, v29
	v_perm_b32 v10, v29, v16, s23
	v_perm_b32 v29, v29, v16, s24
	v_fma_mixlo_f16 v16, v24, v28, 0
	v_lshlrev_b32_e32 v16, 16, v16
	v_or_b32_sdwa v26, v16, v26 dst_sel:DWORD dst_unused:UNUSED_PAD src0_sel:DWORD src1_sel:WORD_0
	v_fma_mixlo_f16 v16, v24, v51, 0
	v_fma_mixlo_f16 v28, v24, v50, 0
	v_lshlrev_b32_e32 v16, 16, v16
	v_cmp_eq_u32_e32 vcc, v37, v32
	v_or_b32_sdwa v24, v16, v28 dst_sel:DWORD dst_unused:UNUSED_PAD src0_sel:DWORD src1_sel:WORD_0
	v_add_u32_e32 v44, 1, v7
	v_or_b32_e32 v55, 3, v7
	v_or_b32_e32 v54, 2, v7
	;; [unrolled: 1-line block ×6, first 2 shown]
	s_and_saveexec_b64 s[8:9], vcc
	s_cbranch_execz .LBB309_589
; %bb.588:                              ;   in Loop: Header=BB309_555 Depth=1
	v_lshrrev_b32_e32 v16, 16, v29
	v_cmp_lt_i32_e64 s[0:1], v44, v17
	v_accvgpr_read_b32 v30, a8
	s_nop 0
	v_cndmask_b32_e64 v16, 0, v16, s[0:1]
	v_cmp_lt_i32_e64 s[0:1], v7, v30
	s_nop 1
	v_cndmask_b32_e64 v29, 0, v29, s[0:1]
	v_perm_b32 v29, v16, v29, s25
	v_lshrrev_b32_e32 v16, 16, v10
	v_cmp_lt_i32_e64 s[0:1], v55, v17
	s_nop 1
	v_cndmask_b32_e64 v16, 0, v16, s[0:1]
	v_cmp_lt_i32_e64 s[0:1], v54, v30
	s_nop 1
	v_cndmask_b32_e64 v10, 0, v10, s[0:1]
	v_perm_b32 v10, v16, v10, s25
	v_lshrrev_b32_e32 v16, 16, v26
	v_cmp_lt_i32_e64 s[0:1], v53, v17
	;; [unrolled: 8-line block ×3, first 2 shown]
	s_nop 1
	v_cndmask_b32_e64 v16, 0, v16, s[0:1]
	v_cmp_lt_i32_e64 s[0:1], v50, v30
	s_nop 1
	v_cndmask_b32_e64 v24, 0, v28, s[0:1]
	v_perm_b32 v24, v16, v24, s25
.LBB309_589:                            ;   in Loop: Header=BB309_555 Depth=1
	s_or_b64 exec, exec, s[8:9]
	v_and_b32_e32 v4, 0xffff, v4
	v_lshl_or_b32 v40, v5, 16, v4
	v_and_b32_e32 v4, 0xffff, v6
	v_lshl_or_b32 v41, v22, 16, v4
	;; [unrolled: 2-line block ×4, first 2 shown]
	;;#ASMSTART
	v_pk_mul_f16 v4, v40, v29;

	;;#ASMEND
	;;#ASMSTART
	v_pk_mul_f16 v5, v41, v10;

	;;#ASMEND
	;; [unrolled: 4-line block ×4, first 2 shown]
	s_mov_b64 s[0:1], 0
	;;#ASMSTART
	v_pk_add_f16 v4, v4, v5;

	;;#ASMEND
                                        ; implicit-def: $sgpr20
	s_nop 0
	;;#ASMSTART
	v_pk_add_f16 v4, v4, v6;

	;;#ASMEND
	s_nop 0
	;;#ASMSTART
	v_pk_add_f16 v4, v4, v10;

	;;#ASMEND
	s_nop 0
	v_lshrrev_b32_e32 v5, 16, v4
	v_and_b32_e32 v4, 0xffff, v4
	;;#ASMSTART
	v_cvt_f32_f16 v45, v4;
	;;#ASMEND
	;;#ASMSTART
	v_cvt_f32_f16 v46, v5;
	;;#ASMEND
	v_accvgpr_read_b32 v4, a4
	flat_load_dwordx2 v[28:29], v[18:19] offset:512
	v_accvgpr_read_b32 v5, a5
	flat_load_dword v24, v[4:5]
	s_waitcnt vmcnt(0) lgkmcnt(0)
	v_cmp_gt_i16_sdwa s[8:9], v28, s3 src0_sel:BYTE_0 src1_sel:DWORD
	s_and_saveexec_b64 s[12:13], s[8:9]
	s_xor_b64 s[8:9], exec, s[12:13]
	s_cbranch_execnz .LBB309_859
; %bb.590:                              ;   in Loop: Header=BB309_555 Depth=1
	s_or_saveexec_b64 s[8:9], s[8:9]
	v_mov_b32_e32 v30, s20
	s_xor_b64 exec, exec, s[8:9]
	s_cbranch_execnz .LBB309_862
.LBB309_591:                            ;   in Loop: Header=BB309_555 Depth=1
	s_or_b64 exec, exec, s[8:9]
	s_and_saveexec_b64 s[8:9], s[0:1]
	s_cbranch_execz .LBB309_593
.LBB309_592:                            ;   in Loop: Header=BB309_555 Depth=1
	v_and_b32_e32 v4, 7, v28
	v_ffbh_u32_e32 v4, v4
	v_bfe_u32 v5, v28, 3, 4
	v_min_u32_e32 v4, 32, v4
	v_subrev_u32_e32 v6, 28, v4
	v_sub_u32_e32 v4, 29, v4
	v_cmp_eq_u32_e64 s[0:1], 0, v5
	s_nop 1
	v_cndmask_b32_e64 v10, v5, v4, s[0:1]
	v_cndmask_b32_e64 v4, 0, v6, s[0:1]
	v_lshlrev_b64 v[4:5], v4, v[28:29]
	v_lshlrev_b32_e32 v5, 8, v28
	v_lshl_add_u32 v6, v10, 10, v49
	v_lshlrev_b32_e32 v4, 7, v4
	v_and_or_b32 v5, v5, s17, v6
	v_and_or_b32 v4, v4, s22, v5
	v_cvt_f32_f16_e32 v30, v4
.LBB309_593:                            ;   in Loop: Header=BB309_555 Depth=1
	s_or_b64 exec, exec, s[8:9]
	v_lshrrev_b16_e32 v10, 8, v28
	v_cmp_lt_i16_e64 s[0:1], s3, v10
	s_mov_b64 s[8:9], 0
                                        ; implicit-def: $sgpr26
	s_and_saveexec_b64 s[12:13], s[0:1]
	s_xor_b64 s[12:13], exec, s[12:13]
	s_cbranch_execnz .LBB309_863
; %bb.594:                              ;   in Loop: Header=BB309_555 Depth=1
	s_or_saveexec_b64 s[12:13], s[12:13]
	v_mov_b32_e32 v32, s26
	s_xor_b64 exec, exec, s[12:13]
	s_cbranch_execnz .LBB309_866
.LBB309_595:                            ;   in Loop: Header=BB309_555 Depth=1
	s_or_b64 exec, exec, s[12:13]
	s_and_saveexec_b64 s[12:13], s[8:9]
	s_cbranch_execz .LBB309_597
.LBB309_596:                            ;   in Loop: Header=BB309_555 Depth=1
	v_and_b32_e32 v6, 7, v10
	v_ffbh_u32_e32 v4, v6
	v_min_u32_e32 v22, 32, v4
	v_subrev_u32_e32 v4, 28, v22
	v_bfe_u32 v16, v10, 3, 4
	v_lshlrev_b64 v[4:5], v4, v[10:11]
	v_sub_u32_e32 v5, 29, v22
	v_cmp_eq_u32_e64 s[0:1], 0, v16
	v_and_b32_e32 v4, 7, v4
	s_nop 0
	v_cndmask_b32_e64 v5, v16, v5, s[0:1]
	v_cndmask_b32_e64 v4, v6, v4, s[0:1]
	v_lshlrev_b32_e32 v6, 8, v10
	v_lshl_add_u32 v5, v5, 10, v49
	v_and_or_b32 v5, v6, s17, v5
	v_lshl_or_b32 v4, v4, 7, v5
	v_cvt_f32_f16_e32 v32, v4
.LBB309_597:                            ;   in Loop: Header=BB309_555 Depth=1
	s_or_b64 exec, exec, s[12:13]
	v_lshrrev_b32_e32 v10, 16, v28
	v_cmp_gt_i16_sdwa s[8:9], v10, s3 src0_sel:BYTE_0 src1_sel:DWORD
	s_mov_b64 s[0:1], 0
                                        ; implicit-def: $sgpr20
	s_and_saveexec_b64 s[12:13], s[8:9]
	s_xor_b64 s[8:9], exec, s[12:13]
	s_cbranch_execnz .LBB309_867
; %bb.598:                              ;   in Loop: Header=BB309_555 Depth=1
	s_or_saveexec_b64 s[8:9], s[8:9]
	v_mov_b32_e32 v31, s20
	s_xor_b64 exec, exec, s[8:9]
	s_cbranch_execnz .LBB309_870
.LBB309_599:                            ;   in Loop: Header=BB309_555 Depth=1
	s_or_b64 exec, exec, s[8:9]
	s_and_saveexec_b64 s[8:9], s[0:1]
	s_cbranch_execz .LBB309_601
.LBB309_600:                            ;   in Loop: Header=BB309_555 Depth=1
	v_bfe_u32 v6, v28, 16, 3
	v_ffbh_u32_e32 v4, v6
	v_min_u32_e32 v22, 32, v4
	v_subrev_u32_e32 v4, 28, v22
	v_bfe_u32 v16, v28, 19, 4
	v_lshlrev_b64 v[4:5], v4, v[10:11]
	v_sub_u32_e32 v5, 29, v22
	v_cmp_eq_u32_e64 s[0:1], 0, v16
	v_and_b32_e32 v4, 7, v4
	s_nop 0
	v_cndmask_b32_e64 v5, v16, v5, s[0:1]
	v_cndmask_b32_e64 v4, v6, v4, s[0:1]
	v_lshlrev_b32_e32 v6, 8, v10
	v_lshl_add_u32 v5, v5, 10, v49
	v_and_or_b32 v5, v6, s17, v5
	v_lshl_or_b32 v4, v4, 7, v5
	v_cvt_f32_f16_e32 v31, v4
.LBB309_601:                            ;   in Loop: Header=BB309_555 Depth=1
	s_or_b64 exec, exec, s[8:9]
	v_lshrrev_b32_e32 v10, 24, v28
	v_cmp_lt_i16_e64 s[0:1], s3, v10
	s_mov_b64 s[8:9], 0
                                        ; implicit-def: $sgpr26
	s_and_saveexec_b64 s[12:13], s[0:1]
	s_xor_b64 s[12:13], exec, s[12:13]
	s_cbranch_execnz .LBB309_871
; %bb.602:                              ;   in Loop: Header=BB309_555 Depth=1
	s_or_saveexec_b64 s[12:13], s[12:13]
	v_mov_b32_e32 v33, s26
	s_xor_b64 exec, exec, s[12:13]
	s_cbranch_execnz .LBB309_874
.LBB309_603:                            ;   in Loop: Header=BB309_555 Depth=1
	s_or_b64 exec, exec, s[12:13]
	s_and_saveexec_b64 s[12:13], s[8:9]
	s_cbranch_execz .LBB309_605
.LBB309_604:                            ;   in Loop: Header=BB309_555 Depth=1
	v_bfe_u32 v6, v28, 24, 3
	v_ffbh_u32_e32 v4, v6
	v_min_u32_e32 v22, 32, v4
	v_subrev_u32_e32 v4, 28, v22
	v_bfe_u32 v16, v28, 27, 4
	v_lshlrev_b64 v[4:5], v4, v[10:11]
	v_sub_u32_e32 v5, 29, v22
	v_cmp_eq_u32_e64 s[0:1], 0, v16
	v_and_b32_e32 v4, 7, v4
	s_nop 0
	v_cndmask_b32_e64 v5, v16, v5, s[0:1]
	v_cndmask_b32_e64 v4, v6, v4, s[0:1]
	v_lshlrev_b32_e32 v6, 8, v10
	v_lshl_add_u32 v5, v5, 10, v49
	v_and_or_b32 v5, v6, s17, v5
	v_lshl_or_b32 v4, v4, 7, v5
	v_cvt_f32_f16_e32 v33, v4
.LBB309_605:                            ;   in Loop: Header=BB309_555 Depth=1
	s_or_b64 exec, exec, s[12:13]
	v_cmp_gt_i16_sdwa s[8:9], v29, s3 src0_sel:BYTE_0 src1_sel:DWORD
	s_mov_b64 s[0:1], 0
                                        ; implicit-def: $sgpr20
	s_and_saveexec_b64 s[12:13], s[8:9]
	s_xor_b64 s[8:9], exec, s[12:13]
	s_cbranch_execnz .LBB309_875
; %bb.606:                              ;   in Loop: Header=BB309_555 Depth=1
	s_or_saveexec_b64 s[8:9], s[8:9]
	v_mov_b32_e32 v4, s20
	s_xor_b64 exec, exec, s[8:9]
	s_cbranch_execnz .LBB309_878
.LBB309_607:                            ;   in Loop: Header=BB309_555 Depth=1
	s_or_b64 exec, exec, s[8:9]
	v_mov_b32_e32 v10, v29
	s_and_saveexec_b64 s[8:9], s[0:1]
	s_cbranch_execz .LBB309_609
.LBB309_608:                            ;   in Loop: Header=BB309_555 Depth=1
	v_and_b32_e32 v4, 7, v29
	v_ffbh_u32_e32 v4, v4
	v_bfe_u32 v5, v29, 3, 4
	v_min_u32_e32 v4, 32, v4
	v_subrev_u32_e32 v6, 28, v4
	v_sub_u32_e32 v4, 29, v4
	v_cmp_eq_u32_e64 s[0:1], 0, v5
	s_nop 1
	v_cndmask_b32_e64 v16, v5, v4, s[0:1]
	v_cndmask_b32_e64 v4, 0, v6, s[0:1]
	v_lshlrev_b64 v[4:5], v4, v[10:11]
	v_lshlrev_b32_e32 v5, 8, v29
	v_lshl_add_u32 v6, v16, 10, v49
	v_lshlrev_b32_e32 v4, 7, v4
	v_and_or_b32 v5, v5, s17, v6
	v_and_or_b32 v4, v4, s22, v5
	v_cvt_f32_f16_e32 v4, v4
.LBB309_609:                            ;   in Loop: Header=BB309_555 Depth=1
	s_or_b64 exec, exec, s[8:9]
	v_lshrrev_b16_e32 v10, 8, v10
	v_cmp_lt_i16_e64 s[0:1], s3, v10
	s_mov_b64 s[8:9], 0
                                        ; implicit-def: $sgpr26
	s_and_saveexec_b64 s[12:13], s[0:1]
	s_xor_b64 s[12:13], exec, s[12:13]
	s_cbranch_execnz .LBB309_879
; %bb.610:                              ;   in Loop: Header=BB309_555 Depth=1
	s_or_saveexec_b64 s[12:13], s[12:13]
	v_mov_b32_e32 v5, s26
	s_xor_b64 exec, exec, s[12:13]
	s_cbranch_execnz .LBB309_882
.LBB309_611:                            ;   in Loop: Header=BB309_555 Depth=1
	s_or_b64 exec, exec, s[12:13]
	s_and_saveexec_b64 s[12:13], s[8:9]
	s_cbranch_execz .LBB309_613
.LBB309_612:                            ;   in Loop: Header=BB309_555 Depth=1
	v_and_b32_e32 v5, 7, v10
	v_ffbh_u32_e32 v16, v5
	v_bfe_u32 v6, v10, 3, 4
	v_min_u32_e32 v16, 32, v16
	v_subrev_u32_e32 v22, 28, v16
	v_sub_u32_e32 v16, 29, v16
	v_cmp_eq_u32_e64 s[0:1], 0, v6
	v_lshlrev_b64 v[26:27], v22, v[10:11]
	v_and_b32_e32 v22, 7, v26
	v_cndmask_b32_e64 v6, v6, v16, s[0:1]
	v_lshlrev_b32_e32 v10, 8, v10
	v_lshl_add_u32 v6, v6, 10, v49
	v_cndmask_b32_e64 v5, v5, v22, s[0:1]
	v_and_or_b32 v6, v10, s17, v6
	v_lshl_or_b32 v5, v5, 7, v6
	v_cvt_f32_f16_e32 v5, v5
.LBB309_613:                            ;   in Loop: Header=BB309_555 Depth=1
	s_or_b64 exec, exec, s[12:13]
	v_lshrrev_b32_e32 v10, 16, v29
	v_cmp_gt_i16_sdwa s[8:9], v10, s3 src0_sel:BYTE_0 src1_sel:DWORD
	s_mov_b64 s[0:1], 0
                                        ; implicit-def: $sgpr20
	s_and_saveexec_b64 s[12:13], s[8:9]
	s_xor_b64 s[8:9], exec, s[12:13]
	s_cbranch_execnz .LBB309_883
; %bb.614:                              ;   in Loop: Header=BB309_555 Depth=1
	s_or_saveexec_b64 s[8:9], s[8:9]
	v_mov_b32_e32 v6, s20
	s_xor_b64 exec, exec, s[8:9]
	s_cbranch_execnz .LBB309_886
.LBB309_615:                            ;   in Loop: Header=BB309_555 Depth=1
	s_or_b64 exec, exec, s[8:9]
	s_and_saveexec_b64 s[8:9], s[0:1]
	s_cbranch_execz .LBB309_617
.LBB309_616:                            ;   in Loop: Header=BB309_555 Depth=1
	v_bfe_u32 v6, v29, 16, 3
	v_ffbh_u32_e32 v22, v6
	v_bfe_u32 v16, v29, 19, 4
	v_min_u32_e32 v22, 32, v22
	v_subrev_u32_e32 v25, 28, v22
	v_sub_u32_e32 v22, 29, v22
	v_cmp_eq_u32_e64 s[0:1], 0, v16
	v_lshlrev_b64 v[26:27], v25, v[10:11]
	v_and_b32_e32 v25, 7, v26
	v_cndmask_b32_e64 v16, v16, v22, s[0:1]
	v_lshlrev_b32_e32 v10, 8, v10
	v_lshl_add_u32 v16, v16, 10, v49
	v_cndmask_b32_e64 v6, v6, v25, s[0:1]
	v_and_or_b32 v10, v10, s17, v16
	v_lshl_or_b32 v6, v6, 7, v10
	v_cvt_f32_f16_e32 v6, v6
.LBB309_617:                            ;   in Loop: Header=BB309_555 Depth=1
	s_or_b64 exec, exec, s[8:9]
	v_lshrrev_b32_e32 v10, 24, v29
	v_cmp_lt_i16_e64 s[0:1], s3, v10
	s_mov_b64 s[8:9], 0
                                        ; implicit-def: $sgpr26
	s_and_saveexec_b64 s[12:13], s[0:1]
	s_xor_b64 s[12:13], exec, s[12:13]
	s_cbranch_execnz .LBB309_887
; %bb.618:                              ;   in Loop: Header=BB309_555 Depth=1
	s_or_saveexec_b64 s[12:13], s[12:13]
	v_mov_b32_e32 v25, s26
	s_xor_b64 exec, exec, s[12:13]
	s_cbranch_execnz .LBB309_890
.LBB309_619:                            ;   in Loop: Header=BB309_555 Depth=1
	s_or_b64 exec, exec, s[12:13]
	s_and_saveexec_b64 s[12:13], s[8:9]
	s_cbranch_execz .LBB309_621
.LBB309_620:                            ;   in Loop: Header=BB309_555 Depth=1
	v_bfe_u32 v16, v29, 24, 3
	v_ffbh_u32_e32 v25, v16
	v_bfe_u32 v22, v29, 27, 4
	v_min_u32_e32 v25, 32, v25
	v_subrev_u32_e32 v26, 28, v25
	v_sub_u32_e32 v25, 29, v25
	v_cmp_eq_u32_e64 s[0:1], 0, v22
	v_lshlrev_b64 v[26:27], v26, v[10:11]
	v_and_b32_e32 v26, 7, v26
	v_cndmask_b32_e64 v22, v22, v25, s[0:1]
	v_lshlrev_b32_e32 v10, 8, v10
	v_lshl_add_u32 v22, v22, 10, v49
	v_cndmask_b32_e64 v16, v16, v26, s[0:1]
	v_and_or_b32 v10, v10, s17, v22
	v_lshl_or_b32 v10, v16, 7, v10
	v_cvt_f32_f16_e32 v25, v10
.LBB309_621:                            ;   in Loop: Header=BB309_555 Depth=1
	s_or_b64 exec, exec, s[12:13]
	v_pk_mul_f32 v[26:27], v[24:25], v[32:33] op_sel_hi:[0,1]
	v_pk_mul_f32 v[28:29], v[24:25], v[30:31] op_sel_hi:[0,1]
	v_cvt_f16_f32_e32 v10, v27
	v_cvt_f16_f32_e32 v16, v26
	;; [unrolled: 1-line block ×4, first 2 shown]
	v_fma_mixlo_f16 v5, v24, v5, 0
	v_lshlrev_b32_e32 v5, 16, v5
	v_fma_mixlo_f16 v4, v24, v4, 0
	v_or_b32_sdwa v4, v5, v4 dst_sel:DWORD dst_unused:UNUSED_PAD src0_sel:DWORD src1_sel:WORD_0
	v_fma_mixlo_f16 v5, v24, v25, 0
	v_pack_b32_f16 v16, v16, v10
	v_pack_b32_f16 v22, v26, v22
	v_fma_mixlo_f16 v6, v24, v6, 0
	v_lshlrev_b32_e32 v5, 16, v5
	v_perm_b32 v10, v22, v16, s23
	v_perm_b32 v22, v22, v16, s24
	v_or_b32_sdwa v5, v5, v6 dst_sel:DWORD dst_unused:UNUSED_PAD src0_sel:DWORD src1_sel:WORD_0
	s_and_saveexec_b64 s[8:9], vcc
	s_cbranch_execz .LBB309_623
; %bb.622:                              ;   in Loop: Header=BB309_555 Depth=1
	v_lshrrev_b32_e32 v16, 16, v22
	v_cmp_lt_i32_e64 s[0:1], v44, v17
	v_accvgpr_read_b32 v24, a8
	v_lshrrev_b32_e32 v5, 16, v5
	v_cndmask_b32_e64 v16, 0, v16, s[0:1]
	v_cmp_lt_i32_e64 s[0:1], v7, v24
	s_nop 1
	v_cndmask_b32_e64 v22, 0, v22, s[0:1]
	v_perm_b32 v22, v16, v22, s25
	v_lshrrev_b32_e32 v16, 16, v10
	v_cmp_lt_i32_e64 s[0:1], v55, v17
	s_nop 1
	v_cndmask_b32_e64 v16, 0, v16, s[0:1]
	v_cmp_lt_i32_e64 s[0:1], v54, v24
	s_nop 1
	v_cndmask_b32_e64 v10, 0, v10, s[0:1]
	v_perm_b32 v10, v16, v10, s25
	v_lshrrev_b32_e32 v16, 16, v4
	v_cmp_lt_i32_e64 s[0:1], v53, v17
	s_nop 1
	v_cndmask_b32_e64 v16, 0, v16, s[0:1]
	v_cmp_lt_i32_e64 s[0:1], v52, v24
	s_nop 1
	v_cndmask_b32_e64 v4, 0, v4, s[0:1]
	v_cmp_lt_i32_e64 s[0:1], v51, v17
	v_perm_b32 v4, v16, v4, s25
	s_nop 0
	v_cndmask_b32_e64 v5, 0, v5, s[0:1]
	v_cmp_lt_i32_e64 s[0:1], v50, v24
	s_nop 1
	v_cndmask_b32_e64 v6, 0, v6, s[0:1]
	v_perm_b32 v5, v5, v6, s25
.LBB309_623:                            ;   in Loop: Header=BB309_555 Depth=1
	s_or_b64 exec, exec, s[8:9]
	;;#ASMSTART
	v_pk_mul_f16 v6, v40, v22;

	;;#ASMEND
	;;#ASMSTART
	v_pk_mul_f16 v10, v41, v10;

	;;#ASMEND
	;; [unrolled: 4-line block ×4, first 2 shown]
	s_mov_b64 s[0:1], 0
	;;#ASMSTART
	v_pk_add_f16 v6, v6, v10;

	;;#ASMEND
                                        ; implicit-def: $sgpr20
	s_nop 0
	;;#ASMSTART
	v_pk_add_f16 v4, v6, v4;

	;;#ASMEND
	s_nop 0
	;;#ASMSTART
	v_pk_add_f16 v4, v4, v5;

	;;#ASMEND
	s_nop 0
	v_lshrrev_b32_e32 v5, 16, v4
	v_and_b32_e32 v4, 0xffff, v4
	;;#ASMSTART
	v_cvt_f32_f16 v47, v4;
	;;#ASMEND
	;;#ASMSTART
	v_cvt_f32_f16 v56, v5;
	;;#ASMEND
	v_accvgpr_read_b32 v4, a4
	flat_load_dwordx2 v[28:29], v[18:19] offset:1024
	v_accvgpr_read_b32 v5, a5
	flat_load_dword v24, v[4:5]
	s_waitcnt vmcnt(0) lgkmcnt(0)
	v_cmp_gt_i16_sdwa s[8:9], v28, s3 src0_sel:BYTE_0 src1_sel:DWORD
	s_and_saveexec_b64 s[12:13], s[8:9]
	s_xor_b64 s[8:9], exec, s[12:13]
	s_cbranch_execnz .LBB309_891
; %bb.624:                              ;   in Loop: Header=BB309_555 Depth=1
	s_or_saveexec_b64 s[8:9], s[8:9]
	v_mov_b32_e32 v30, s20
	s_xor_b64 exec, exec, s[8:9]
	s_cbranch_execnz .LBB309_894
.LBB309_625:                            ;   in Loop: Header=BB309_555 Depth=1
	s_or_b64 exec, exec, s[8:9]
	s_and_saveexec_b64 s[8:9], s[0:1]
	s_cbranch_execz .LBB309_627
.LBB309_626:                            ;   in Loop: Header=BB309_555 Depth=1
	v_and_b32_e32 v4, 7, v28
	v_ffbh_u32_e32 v4, v4
	v_bfe_u32 v5, v28, 3, 4
	v_min_u32_e32 v4, 32, v4
	v_subrev_u32_e32 v6, 28, v4
	v_sub_u32_e32 v4, 29, v4
	v_cmp_eq_u32_e64 s[0:1], 0, v5
	s_nop 1
	v_cndmask_b32_e64 v10, v5, v4, s[0:1]
	v_cndmask_b32_e64 v4, 0, v6, s[0:1]
	v_lshlrev_b64 v[4:5], v4, v[28:29]
	v_lshlrev_b32_e32 v5, 8, v28
	v_lshl_add_u32 v6, v10, 10, v49
	v_lshlrev_b32_e32 v4, 7, v4
	v_and_or_b32 v5, v5, s17, v6
	v_and_or_b32 v4, v4, s22, v5
	v_cvt_f32_f16_e32 v30, v4
.LBB309_627:                            ;   in Loop: Header=BB309_555 Depth=1
	s_or_b64 exec, exec, s[8:9]
	v_lshrrev_b16_e32 v10, 8, v28
	v_cmp_lt_i16_e64 s[0:1], s3, v10
	s_mov_b64 s[8:9], 0
                                        ; implicit-def: $sgpr26
	s_and_saveexec_b64 s[12:13], s[0:1]
	s_xor_b64 s[12:13], exec, s[12:13]
	s_cbranch_execnz .LBB309_895
; %bb.628:                              ;   in Loop: Header=BB309_555 Depth=1
	s_or_saveexec_b64 s[12:13], s[12:13]
	v_mov_b32_e32 v32, s26
	s_xor_b64 exec, exec, s[12:13]
	s_cbranch_execnz .LBB309_898
.LBB309_629:                            ;   in Loop: Header=BB309_555 Depth=1
	s_or_b64 exec, exec, s[12:13]
	s_and_saveexec_b64 s[12:13], s[8:9]
	s_cbranch_execz .LBB309_631
.LBB309_630:                            ;   in Loop: Header=BB309_555 Depth=1
	v_and_b32_e32 v6, 7, v10
	v_ffbh_u32_e32 v4, v6
	v_min_u32_e32 v22, 32, v4
	v_subrev_u32_e32 v4, 28, v22
	v_bfe_u32 v16, v10, 3, 4
	v_lshlrev_b64 v[4:5], v4, v[10:11]
	v_sub_u32_e32 v5, 29, v22
	v_cmp_eq_u32_e64 s[0:1], 0, v16
	v_and_b32_e32 v4, 7, v4
	s_nop 0
	v_cndmask_b32_e64 v5, v16, v5, s[0:1]
	v_cndmask_b32_e64 v4, v6, v4, s[0:1]
	v_lshlrev_b32_e32 v6, 8, v10
	v_lshl_add_u32 v5, v5, 10, v49
	v_and_or_b32 v5, v6, s17, v5
	v_lshl_or_b32 v4, v4, 7, v5
	v_cvt_f32_f16_e32 v32, v4
.LBB309_631:                            ;   in Loop: Header=BB309_555 Depth=1
	s_or_b64 exec, exec, s[12:13]
	v_lshrrev_b32_e32 v10, 16, v28
	v_cmp_gt_i16_sdwa s[8:9], v10, s3 src0_sel:BYTE_0 src1_sel:DWORD
	s_mov_b64 s[0:1], 0
                                        ; implicit-def: $sgpr20
	s_and_saveexec_b64 s[12:13], s[8:9]
	s_xor_b64 s[8:9], exec, s[12:13]
	s_cbranch_execnz .LBB309_899
; %bb.632:                              ;   in Loop: Header=BB309_555 Depth=1
	s_or_saveexec_b64 s[8:9], s[8:9]
	v_mov_b32_e32 v31, s20
	s_xor_b64 exec, exec, s[8:9]
	s_cbranch_execnz .LBB309_902
.LBB309_633:                            ;   in Loop: Header=BB309_555 Depth=1
	s_or_b64 exec, exec, s[8:9]
	s_and_saveexec_b64 s[8:9], s[0:1]
	s_cbranch_execz .LBB309_635
.LBB309_634:                            ;   in Loop: Header=BB309_555 Depth=1
	v_bfe_u32 v6, v28, 16, 3
	v_ffbh_u32_e32 v4, v6
	v_min_u32_e32 v22, 32, v4
	v_subrev_u32_e32 v4, 28, v22
	v_bfe_u32 v16, v28, 19, 4
	v_lshlrev_b64 v[4:5], v4, v[10:11]
	v_sub_u32_e32 v5, 29, v22
	v_cmp_eq_u32_e64 s[0:1], 0, v16
	v_and_b32_e32 v4, 7, v4
	s_nop 0
	v_cndmask_b32_e64 v5, v16, v5, s[0:1]
	v_cndmask_b32_e64 v4, v6, v4, s[0:1]
	v_lshlrev_b32_e32 v6, 8, v10
	v_lshl_add_u32 v5, v5, 10, v49
	v_and_or_b32 v5, v6, s17, v5
	v_lshl_or_b32 v4, v4, 7, v5
	v_cvt_f32_f16_e32 v31, v4
.LBB309_635:                            ;   in Loop: Header=BB309_555 Depth=1
	s_or_b64 exec, exec, s[8:9]
	v_lshrrev_b32_e32 v10, 24, v28
	v_cmp_lt_i16_e64 s[0:1], s3, v10
	s_mov_b64 s[8:9], 0
                                        ; implicit-def: $sgpr26
	s_and_saveexec_b64 s[12:13], s[0:1]
	s_xor_b64 s[12:13], exec, s[12:13]
	s_cbranch_execnz .LBB309_903
; %bb.636:                              ;   in Loop: Header=BB309_555 Depth=1
	s_or_saveexec_b64 s[12:13], s[12:13]
	v_mov_b32_e32 v33, s26
	s_xor_b64 exec, exec, s[12:13]
	s_cbranch_execnz .LBB309_906
.LBB309_637:                            ;   in Loop: Header=BB309_555 Depth=1
	s_or_b64 exec, exec, s[12:13]
	s_and_saveexec_b64 s[12:13], s[8:9]
	s_cbranch_execz .LBB309_639
.LBB309_638:                            ;   in Loop: Header=BB309_555 Depth=1
	v_bfe_u32 v6, v28, 24, 3
	v_ffbh_u32_e32 v4, v6
	v_min_u32_e32 v22, 32, v4
	v_subrev_u32_e32 v4, 28, v22
	v_bfe_u32 v16, v28, 27, 4
	v_lshlrev_b64 v[4:5], v4, v[10:11]
	v_sub_u32_e32 v5, 29, v22
	v_cmp_eq_u32_e64 s[0:1], 0, v16
	v_and_b32_e32 v4, 7, v4
	s_nop 0
	v_cndmask_b32_e64 v5, v16, v5, s[0:1]
	v_cndmask_b32_e64 v4, v6, v4, s[0:1]
	v_lshlrev_b32_e32 v6, 8, v10
	v_lshl_add_u32 v5, v5, 10, v49
	v_and_or_b32 v5, v6, s17, v5
	v_lshl_or_b32 v4, v4, 7, v5
	v_cvt_f32_f16_e32 v33, v4
.LBB309_639:                            ;   in Loop: Header=BB309_555 Depth=1
	s_or_b64 exec, exec, s[12:13]
	v_cmp_gt_i16_sdwa s[8:9], v29, s3 src0_sel:BYTE_0 src1_sel:DWORD
	s_mov_b64 s[0:1], 0
                                        ; implicit-def: $sgpr20
	s_and_saveexec_b64 s[12:13], s[8:9]
	s_xor_b64 s[8:9], exec, s[12:13]
	s_cbranch_execnz .LBB309_907
; %bb.640:                              ;   in Loop: Header=BB309_555 Depth=1
	s_or_saveexec_b64 s[8:9], s[8:9]
	v_mov_b32_e32 v4, s20
	s_xor_b64 exec, exec, s[8:9]
	s_cbranch_execnz .LBB309_910
.LBB309_641:                            ;   in Loop: Header=BB309_555 Depth=1
	s_or_b64 exec, exec, s[8:9]
	v_mov_b32_e32 v10, v29
	s_and_saveexec_b64 s[8:9], s[0:1]
	s_cbranch_execz .LBB309_643
.LBB309_642:                            ;   in Loop: Header=BB309_555 Depth=1
	v_and_b32_e32 v4, 7, v29
	v_ffbh_u32_e32 v4, v4
	v_bfe_u32 v5, v29, 3, 4
	v_min_u32_e32 v4, 32, v4
	v_subrev_u32_e32 v6, 28, v4
	v_sub_u32_e32 v4, 29, v4
	v_cmp_eq_u32_e64 s[0:1], 0, v5
	s_nop 1
	v_cndmask_b32_e64 v16, v5, v4, s[0:1]
	v_cndmask_b32_e64 v4, 0, v6, s[0:1]
	v_lshlrev_b64 v[4:5], v4, v[10:11]
	v_lshlrev_b32_e32 v5, 8, v29
	v_lshl_add_u32 v6, v16, 10, v49
	v_lshlrev_b32_e32 v4, 7, v4
	v_and_or_b32 v5, v5, s17, v6
	v_and_or_b32 v4, v4, s22, v5
	v_cvt_f32_f16_e32 v4, v4
.LBB309_643:                            ;   in Loop: Header=BB309_555 Depth=1
	s_or_b64 exec, exec, s[8:9]
	v_lshrrev_b16_e32 v10, 8, v10
	v_cmp_lt_i16_e64 s[0:1], s3, v10
	s_mov_b64 s[8:9], 0
                                        ; implicit-def: $sgpr26
	s_and_saveexec_b64 s[12:13], s[0:1]
	s_xor_b64 s[12:13], exec, s[12:13]
	s_cbranch_execnz .LBB309_911
; %bb.644:                              ;   in Loop: Header=BB309_555 Depth=1
	s_or_saveexec_b64 s[12:13], s[12:13]
	v_mov_b32_e32 v5, s26
	s_xor_b64 exec, exec, s[12:13]
	s_cbranch_execnz .LBB309_914
.LBB309_645:                            ;   in Loop: Header=BB309_555 Depth=1
	s_or_b64 exec, exec, s[12:13]
	s_and_saveexec_b64 s[12:13], s[8:9]
	s_cbranch_execz .LBB309_647
.LBB309_646:                            ;   in Loop: Header=BB309_555 Depth=1
	v_and_b32_e32 v5, 7, v10
	v_ffbh_u32_e32 v16, v5
	v_bfe_u32 v6, v10, 3, 4
	v_min_u32_e32 v16, 32, v16
	v_subrev_u32_e32 v22, 28, v16
	v_sub_u32_e32 v16, 29, v16
	v_cmp_eq_u32_e64 s[0:1], 0, v6
	v_lshlrev_b64 v[26:27], v22, v[10:11]
	v_and_b32_e32 v22, 7, v26
	v_cndmask_b32_e64 v6, v6, v16, s[0:1]
	v_lshlrev_b32_e32 v10, 8, v10
	v_lshl_add_u32 v6, v6, 10, v49
	v_cndmask_b32_e64 v5, v5, v22, s[0:1]
	v_and_or_b32 v6, v10, s17, v6
	v_lshl_or_b32 v5, v5, 7, v6
	v_cvt_f32_f16_e32 v5, v5
.LBB309_647:                            ;   in Loop: Header=BB309_555 Depth=1
	s_or_b64 exec, exec, s[12:13]
	v_lshrrev_b32_e32 v10, 16, v29
	v_cmp_gt_i16_sdwa s[8:9], v10, s3 src0_sel:BYTE_0 src1_sel:DWORD
	s_mov_b64 s[0:1], 0
                                        ; implicit-def: $sgpr20
	s_and_saveexec_b64 s[12:13], s[8:9]
	s_xor_b64 s[8:9], exec, s[12:13]
	s_cbranch_execnz .LBB309_915
; %bb.648:                              ;   in Loop: Header=BB309_555 Depth=1
	s_or_saveexec_b64 s[8:9], s[8:9]
	v_mov_b32_e32 v6, s20
	s_xor_b64 exec, exec, s[8:9]
	s_cbranch_execnz .LBB309_918
.LBB309_649:                            ;   in Loop: Header=BB309_555 Depth=1
	s_or_b64 exec, exec, s[8:9]
	s_and_saveexec_b64 s[8:9], s[0:1]
	s_cbranch_execz .LBB309_651
.LBB309_650:                            ;   in Loop: Header=BB309_555 Depth=1
	v_bfe_u32 v6, v29, 16, 3
	v_ffbh_u32_e32 v22, v6
	v_bfe_u32 v16, v29, 19, 4
	v_min_u32_e32 v22, 32, v22
	v_subrev_u32_e32 v25, 28, v22
	v_sub_u32_e32 v22, 29, v22
	v_cmp_eq_u32_e64 s[0:1], 0, v16
	v_lshlrev_b64 v[26:27], v25, v[10:11]
	v_and_b32_e32 v25, 7, v26
	v_cndmask_b32_e64 v16, v16, v22, s[0:1]
	v_lshlrev_b32_e32 v10, 8, v10
	v_lshl_add_u32 v16, v16, 10, v49
	v_cndmask_b32_e64 v6, v6, v25, s[0:1]
	v_and_or_b32 v10, v10, s17, v16
	v_lshl_or_b32 v6, v6, 7, v10
	v_cvt_f32_f16_e32 v6, v6
.LBB309_651:                            ;   in Loop: Header=BB309_555 Depth=1
	s_or_b64 exec, exec, s[8:9]
	v_lshrrev_b32_e32 v10, 24, v29
	v_cmp_lt_i16_e64 s[0:1], s3, v10
	s_mov_b64 s[8:9], 0
                                        ; implicit-def: $sgpr26
	s_and_saveexec_b64 s[12:13], s[0:1]
	s_xor_b64 s[12:13], exec, s[12:13]
	s_cbranch_execnz .LBB309_919
; %bb.652:                              ;   in Loop: Header=BB309_555 Depth=1
	s_or_saveexec_b64 s[12:13], s[12:13]
	v_mov_b32_e32 v25, s26
	s_xor_b64 exec, exec, s[12:13]
	s_cbranch_execnz .LBB309_922
.LBB309_653:                            ;   in Loop: Header=BB309_555 Depth=1
	s_or_b64 exec, exec, s[12:13]
	s_and_saveexec_b64 s[12:13], s[8:9]
	s_cbranch_execz .LBB309_655
.LBB309_654:                            ;   in Loop: Header=BB309_555 Depth=1
	v_bfe_u32 v16, v29, 24, 3
	v_ffbh_u32_e32 v25, v16
	v_bfe_u32 v22, v29, 27, 4
	v_min_u32_e32 v25, 32, v25
	v_subrev_u32_e32 v26, 28, v25
	v_sub_u32_e32 v25, 29, v25
	v_cmp_eq_u32_e64 s[0:1], 0, v22
	v_lshlrev_b64 v[26:27], v26, v[10:11]
	v_and_b32_e32 v26, 7, v26
	v_cndmask_b32_e64 v22, v22, v25, s[0:1]
	v_lshlrev_b32_e32 v10, 8, v10
	v_lshl_add_u32 v22, v22, 10, v49
	v_cndmask_b32_e64 v16, v16, v26, s[0:1]
	v_and_or_b32 v10, v10, s17, v22
	v_lshl_or_b32 v10, v16, 7, v10
	v_cvt_f32_f16_e32 v25, v10
.LBB309_655:                            ;   in Loop: Header=BB309_555 Depth=1
	s_or_b64 exec, exec, s[12:13]
	v_pk_mul_f32 v[26:27], v[24:25], v[32:33] op_sel_hi:[0,1]
	v_pk_mul_f32 v[28:29], v[24:25], v[30:31] op_sel_hi:[0,1]
	v_cvt_f16_f32_e32 v10, v27
	v_cvt_f16_f32_e32 v16, v26
	;; [unrolled: 1-line block ×4, first 2 shown]
	v_fma_mixlo_f16 v5, v24, v5, 0
	v_lshlrev_b32_e32 v5, 16, v5
	v_fma_mixlo_f16 v4, v24, v4, 0
	v_or_b32_sdwa v4, v5, v4 dst_sel:DWORD dst_unused:UNUSED_PAD src0_sel:DWORD src1_sel:WORD_0
	v_fma_mixlo_f16 v5, v24, v25, 0
	v_pack_b32_f16 v16, v16, v10
	v_pack_b32_f16 v22, v26, v22
	v_fma_mixlo_f16 v6, v24, v6, 0
	v_lshlrev_b32_e32 v5, 16, v5
	v_perm_b32 v10, v22, v16, s23
	v_perm_b32 v22, v22, v16, s24
	v_or_b32_sdwa v5, v5, v6 dst_sel:DWORD dst_unused:UNUSED_PAD src0_sel:DWORD src1_sel:WORD_0
	s_and_saveexec_b64 s[8:9], vcc
	s_cbranch_execz .LBB309_657
; %bb.656:                              ;   in Loop: Header=BB309_555 Depth=1
	v_lshrrev_b32_e32 v16, 16, v22
	v_cmp_lt_i32_e64 s[0:1], v44, v17
	v_accvgpr_read_b32 v24, a8
	v_lshrrev_b32_e32 v5, 16, v5
	v_cndmask_b32_e64 v16, 0, v16, s[0:1]
	v_cmp_lt_i32_e64 s[0:1], v7, v24
	s_nop 1
	v_cndmask_b32_e64 v22, 0, v22, s[0:1]
	v_perm_b32 v22, v16, v22, s25
	v_lshrrev_b32_e32 v16, 16, v10
	v_cmp_lt_i32_e64 s[0:1], v55, v17
	s_nop 1
	v_cndmask_b32_e64 v16, 0, v16, s[0:1]
	v_cmp_lt_i32_e64 s[0:1], v54, v24
	s_nop 1
	v_cndmask_b32_e64 v10, 0, v10, s[0:1]
	v_perm_b32 v10, v16, v10, s25
	v_lshrrev_b32_e32 v16, 16, v4
	v_cmp_lt_i32_e64 s[0:1], v53, v17
	s_nop 1
	v_cndmask_b32_e64 v16, 0, v16, s[0:1]
	v_cmp_lt_i32_e64 s[0:1], v52, v24
	s_nop 1
	v_cndmask_b32_e64 v4, 0, v4, s[0:1]
	v_cmp_lt_i32_e64 s[0:1], v51, v17
	v_perm_b32 v4, v16, v4, s25
	s_nop 0
	v_cndmask_b32_e64 v5, 0, v5, s[0:1]
	v_cmp_lt_i32_e64 s[0:1], v50, v24
	s_nop 1
	v_cndmask_b32_e64 v6, 0, v6, s[0:1]
	v_perm_b32 v5, v5, v6, s25
.LBB309_657:                            ;   in Loop: Header=BB309_555 Depth=1
	s_or_b64 exec, exec, s[8:9]
	;;#ASMSTART
	v_pk_mul_f16 v6, v40, v22;

	;;#ASMEND
	;;#ASMSTART
	v_pk_mul_f16 v10, v41, v10;

	;;#ASMEND
	;; [unrolled: 4-line block ×4, first 2 shown]
	v_accvgpr_read_b32 v25, a5
	;;#ASMSTART
	v_pk_add_f16 v6, v6, v10;

	;;#ASMEND
	v_accvgpr_read_b32 v24, a4
	;;#ASMSTART
	v_pk_add_f16 v4, v6, v4;

	;;#ASMEND
	s_mov_b64 s[0:1], 0
	;;#ASMSTART
	v_pk_add_f16 v4, v4, v5;

	;;#ASMEND
                                        ; implicit-def: $sgpr20
	s_nop 0
	v_lshrrev_b32_e32 v5, 16, v4
	v_and_b32_e32 v4, 0xffff, v4
	;;#ASMSTART
	v_cvt_f32_f16 v4, v4;
	;;#ASMEND
	;;#ASMSTART
	v_cvt_f32_f16 v5, v5;
	;;#ASMEND
	flat_load_dwordx2 v[28:29], v[18:19] offset:1536
	s_waitcnt vmcnt(0) lgkmcnt(0)
	v_cmp_gt_i16_sdwa s[8:9], v28, s3 src0_sel:BYTE_0 src1_sel:DWORD
	flat_load_dword v24, v[24:25]
	s_and_saveexec_b64 s[12:13], s[8:9]
	s_xor_b64 s[8:9], exec, s[12:13]
	s_cbranch_execnz .LBB309_923
; %bb.658:                              ;   in Loop: Header=BB309_555 Depth=1
	s_or_saveexec_b64 s[8:9], s[8:9]
	v_mov_b32_e32 v30, s20
	s_xor_b64 exec, exec, s[8:9]
	s_cbranch_execnz .LBB309_926
.LBB309_659:                            ;   in Loop: Header=BB309_555 Depth=1
	s_or_b64 exec, exec, s[8:9]
	s_and_saveexec_b64 s[8:9], s[0:1]
	s_cbranch_execz .LBB309_661
.LBB309_660:                            ;   in Loop: Header=BB309_555 Depth=1
	v_and_b32_e32 v6, 7, v28
	v_ffbh_u32_e32 v6, v6
	v_bfe_u32 v10, v28, 3, 4
	v_min_u32_e32 v6, 32, v6
	v_subrev_u32_e32 v16, 28, v6
	v_sub_u32_e32 v6, 29, v6
	v_cmp_eq_u32_e64 s[0:1], 0, v10
	s_nop 1
	v_cndmask_b32_e64 v6, v10, v6, s[0:1]
	v_cndmask_b32_e64 v10, 0, v16, s[0:1]
	v_lshlrev_b64 v[26:27], v10, v[28:29]
	v_lshlrev_b32_e32 v16, 8, v28
	v_lshl_add_u32 v6, v6, 10, v49
	v_lshlrev_b32_e32 v10, 7, v26
	v_and_or_b32 v6, v16, s17, v6
	v_and_or_b32 v6, v10, s22, v6
	v_cvt_f32_f16_e32 v30, v6
.LBB309_661:                            ;   in Loop: Header=BB309_555 Depth=1
	s_or_b64 exec, exec, s[8:9]
	v_lshrrev_b16_e32 v10, 8, v28
	v_cmp_lt_i16_e64 s[0:1], s3, v10
	s_mov_b64 s[8:9], 0
                                        ; implicit-def: $sgpr26
	s_and_saveexec_b64 s[12:13], s[0:1]
	s_xor_b64 s[12:13], exec, s[12:13]
	s_cbranch_execnz .LBB309_927
; %bb.662:                              ;   in Loop: Header=BB309_555 Depth=1
	s_or_saveexec_b64 s[12:13], s[12:13]
	v_mov_b32_e32 v32, s26
	s_xor_b64 exec, exec, s[12:13]
	s_cbranch_execnz .LBB309_930
.LBB309_663:                            ;   in Loop: Header=BB309_555 Depth=1
	s_or_b64 exec, exec, s[12:13]
	s_and_saveexec_b64 s[12:13], s[8:9]
	s_cbranch_execz .LBB309_665
.LBB309_664:                            ;   in Loop: Header=BB309_555 Depth=1
	v_and_b32_e32 v6, 7, v10
	v_ffbh_u32_e32 v22, v6
	v_bfe_u32 v16, v10, 3, 4
	v_min_u32_e32 v22, 32, v22
	v_subrev_u32_e32 v25, 28, v22
	v_sub_u32_e32 v22, 29, v22
	v_cmp_eq_u32_e64 s[0:1], 0, v16
	v_lshlrev_b64 v[26:27], v25, v[10:11]
	v_and_b32_e32 v25, 7, v26
	v_cndmask_b32_e64 v16, v16, v22, s[0:1]
	v_lshlrev_b32_e32 v10, 8, v10
	v_lshl_add_u32 v16, v16, 10, v49
	v_cndmask_b32_e64 v6, v6, v25, s[0:1]
	v_and_or_b32 v10, v10, s17, v16
	v_lshl_or_b32 v6, v6, 7, v10
	v_cvt_f32_f16_e32 v32, v6
.LBB309_665:                            ;   in Loop: Header=BB309_555 Depth=1
	s_or_b64 exec, exec, s[12:13]
	v_lshrrev_b32_e32 v10, 16, v28
	v_cmp_gt_i16_sdwa s[8:9], v10, s3 src0_sel:BYTE_0 src1_sel:DWORD
	s_mov_b64 s[0:1], 0
                                        ; implicit-def: $sgpr20
	s_and_saveexec_b64 s[12:13], s[8:9]
	s_xor_b64 s[8:9], exec, s[12:13]
	s_cbranch_execnz .LBB309_931
; %bb.666:                              ;   in Loop: Header=BB309_555 Depth=1
	s_or_saveexec_b64 s[8:9], s[8:9]
	v_mov_b32_e32 v31, s20
	s_xor_b64 exec, exec, s[8:9]
	s_cbranch_execnz .LBB309_934
.LBB309_667:                            ;   in Loop: Header=BB309_555 Depth=1
	s_or_b64 exec, exec, s[8:9]
	s_and_saveexec_b64 s[8:9], s[0:1]
	s_cbranch_execz .LBB309_669
.LBB309_668:                            ;   in Loop: Header=BB309_555 Depth=1
	v_bfe_u32 v6, v28, 16, 3
	v_ffbh_u32_e32 v22, v6
	v_bfe_u32 v16, v28, 19, 4
	v_min_u32_e32 v22, 32, v22
	v_subrev_u32_e32 v25, 28, v22
	v_sub_u32_e32 v22, 29, v22
	v_cmp_eq_u32_e64 s[0:1], 0, v16
	v_lshlrev_b64 v[26:27], v25, v[10:11]
	v_and_b32_e32 v25, 7, v26
	v_cndmask_b32_e64 v16, v16, v22, s[0:1]
	v_lshlrev_b32_e32 v10, 8, v10
	v_lshl_add_u32 v16, v16, 10, v49
	v_cndmask_b32_e64 v6, v6, v25, s[0:1]
	v_and_or_b32 v10, v10, s17, v16
	v_lshl_or_b32 v6, v6, 7, v10
	v_cvt_f32_f16_e32 v31, v6
.LBB309_669:                            ;   in Loop: Header=BB309_555 Depth=1
	s_or_b64 exec, exec, s[8:9]
	v_lshrrev_b32_e32 v10, 24, v28
	v_cmp_lt_i16_e64 s[0:1], s3, v10
	s_mov_b64 s[8:9], 0
                                        ; implicit-def: $sgpr26
	s_and_saveexec_b64 s[12:13], s[0:1]
	s_xor_b64 s[12:13], exec, s[12:13]
	s_cbranch_execnz .LBB309_935
; %bb.670:                              ;   in Loop: Header=BB309_555 Depth=1
	s_or_saveexec_b64 s[12:13], s[12:13]
	v_mov_b32_e32 v33, s26
	s_xor_b64 exec, exec, s[12:13]
	s_cbranch_execnz .LBB309_938
.LBB309_671:                            ;   in Loop: Header=BB309_555 Depth=1
	s_or_b64 exec, exec, s[12:13]
	s_and_saveexec_b64 s[12:13], s[8:9]
	s_cbranch_execz .LBB309_673
.LBB309_672:                            ;   in Loop: Header=BB309_555 Depth=1
	v_bfe_u32 v6, v28, 24, 3
	v_ffbh_u32_e32 v22, v6
	v_bfe_u32 v16, v28, 27, 4
	v_min_u32_e32 v22, 32, v22
	v_subrev_u32_e32 v25, 28, v22
	v_sub_u32_e32 v22, 29, v22
	v_cmp_eq_u32_e64 s[0:1], 0, v16
	v_lshlrev_b64 v[26:27], v25, v[10:11]
	v_and_b32_e32 v25, 7, v26
	v_cndmask_b32_e64 v16, v16, v22, s[0:1]
	v_lshlrev_b32_e32 v10, 8, v10
	v_lshl_add_u32 v16, v16, 10, v49
	v_cndmask_b32_e64 v6, v6, v25, s[0:1]
	v_and_or_b32 v10, v10, s17, v16
	v_lshl_or_b32 v6, v6, 7, v10
	v_cvt_f32_f16_e32 v33, v6
.LBB309_673:                            ;   in Loop: Header=BB309_555 Depth=1
	s_or_b64 exec, exec, s[12:13]
	v_cmp_gt_i16_sdwa s[8:9], v29, s3 src0_sel:BYTE_0 src1_sel:DWORD
	s_mov_b64 s[0:1], 0
                                        ; implicit-def: $sgpr20
	s_and_saveexec_b64 s[12:13], s[8:9]
	s_xor_b64 s[8:9], exec, s[12:13]
	s_cbranch_execnz .LBB309_939
; %bb.674:                              ;   in Loop: Header=BB309_555 Depth=1
	s_or_saveexec_b64 s[8:9], s[8:9]
	v_mov_b32_e32 v6, s20
	s_xor_b64 exec, exec, s[8:9]
	s_cbranch_execnz .LBB309_942
.LBB309_675:                            ;   in Loop: Header=BB309_555 Depth=1
	s_or_b64 exec, exec, s[8:9]
	v_mov_b32_e32 v10, v29
	s_and_saveexec_b64 s[8:9], s[0:1]
	s_cbranch_execz .LBB309_677
.LBB309_676:                            ;   in Loop: Header=BB309_555 Depth=1
	v_and_b32_e32 v6, 7, v29
	v_ffbh_u32_e32 v6, v6
	v_bfe_u32 v16, v29, 3, 4
	v_min_u32_e32 v6, 32, v6
	v_subrev_u32_e32 v22, 28, v6
	v_sub_u32_e32 v6, 29, v6
	v_cmp_eq_u32_e64 s[0:1], 0, v16
	s_nop 1
	v_cndmask_b32_e64 v6, v16, v6, s[0:1]
	v_cndmask_b32_e64 v16, 0, v22, s[0:1]
	v_lshlrev_b64 v[26:27], v16, v[10:11]
	v_lshlrev_b32_e32 v22, 8, v29
	v_lshl_add_u32 v6, v6, 10, v49
	v_lshlrev_b32_e32 v16, 7, v26
	v_and_or_b32 v6, v22, s17, v6
	v_and_or_b32 v6, v16, s22, v6
	v_cvt_f32_f16_e32 v6, v6
.LBB309_677:                            ;   in Loop: Header=BB309_555 Depth=1
	s_or_b64 exec, exec, s[8:9]
	v_lshrrev_b16_e32 v10, 8, v10
	v_cmp_lt_i16_e64 s[0:1], s3, v10
	s_mov_b64 s[8:9], 0
                                        ; implicit-def: $sgpr26
	s_and_saveexec_b64 s[12:13], s[0:1]
	s_xor_b64 s[12:13], exec, s[12:13]
	s_cbranch_execnz .LBB309_943
; %bb.678:                              ;   in Loop: Header=BB309_555 Depth=1
	s_or_saveexec_b64 s[12:13], s[12:13]
	v_mov_b32_e32 v22, s26
	s_xor_b64 exec, exec, s[12:13]
	s_cbranch_execnz .LBB309_946
.LBB309_679:                            ;   in Loop: Header=BB309_555 Depth=1
	s_or_b64 exec, exec, s[12:13]
	s_and_saveexec_b64 s[12:13], s[8:9]
	s_cbranch_execz .LBB309_681
.LBB309_680:                            ;   in Loop: Header=BB309_555 Depth=1
	v_and_b32_e32 v16, 7, v10
	v_ffbh_u32_e32 v25, v16
	v_bfe_u32 v22, v10, 3, 4
	v_min_u32_e32 v25, 32, v25
	v_subrev_u32_e32 v26, 28, v25
	v_sub_u32_e32 v25, 29, v25
	v_cmp_eq_u32_e64 s[0:1], 0, v22
	v_lshlrev_b64 v[26:27], v26, v[10:11]
	v_and_b32_e32 v26, 7, v26
	v_cndmask_b32_e64 v22, v22, v25, s[0:1]
	v_lshlrev_b32_e32 v10, 8, v10
	v_lshl_add_u32 v22, v22, 10, v49
	v_cndmask_b32_e64 v16, v16, v26, s[0:1]
	v_and_or_b32 v10, v10, s17, v22
	v_lshl_or_b32 v10, v16, 7, v10
	v_cvt_f32_f16_e32 v22, v10
.LBB309_681:                            ;   in Loop: Header=BB309_555 Depth=1
	s_or_b64 exec, exec, s[12:13]
	v_lshrrev_b32_e32 v10, 16, v29
	v_cmp_gt_i16_sdwa s[8:9], v10, s3 src0_sel:BYTE_0 src1_sel:DWORD
	s_mov_b64 s[0:1], 0
                                        ; implicit-def: $sgpr20
	s_and_saveexec_b64 s[12:13], s[8:9]
	s_xor_b64 s[8:9], exec, s[12:13]
	s_cbranch_execnz .LBB309_947
; %bb.682:                              ;   in Loop: Header=BB309_555 Depth=1
	s_or_saveexec_b64 s[8:9], s[8:9]
	v_mov_b32_e32 v25, s20
	s_xor_b64 exec, exec, s[8:9]
	s_cbranch_execnz .LBB309_950
.LBB309_683:                            ;   in Loop: Header=BB309_555 Depth=1
	s_or_b64 exec, exec, s[8:9]
	s_and_saveexec_b64 s[8:9], s[0:1]
	s_cbranch_execz .LBB309_685
.LBB309_684:                            ;   in Loop: Header=BB309_555 Depth=1
	v_bfe_u32 v16, v29, 16, 3
	v_ffbh_u32_e32 v26, v16
	v_min_u32_e32 v28, 32, v26
	v_subrev_u32_e32 v26, 28, v28
	v_bfe_u32 v25, v29, 19, 4
	v_lshlrev_b64 v[26:27], v26, v[10:11]
	v_sub_u32_e32 v27, 29, v28
	v_cmp_eq_u32_e64 s[0:1], 0, v25
	v_and_b32_e32 v26, 7, v26
	v_lshlrev_b32_e32 v10, 8, v10
	v_cndmask_b32_e64 v25, v25, v27, s[0:1]
	v_lshl_add_u32 v25, v25, 10, v49
	v_cndmask_b32_e64 v16, v16, v26, s[0:1]
	v_and_or_b32 v10, v10, s17, v25
	v_lshl_or_b32 v10, v16, 7, v10
	v_cvt_f32_f16_e32 v25, v10
.LBB309_685:                            ;   in Loop: Header=BB309_555 Depth=1
	s_or_b64 exec, exec, s[8:9]
	v_lshrrev_b32_e32 v10, 24, v29
	v_cmp_lt_i16_e64 s[0:1], s3, v10
	s_mov_b64 s[8:9], 0
                                        ; implicit-def: $sgpr26
	s_and_saveexec_b64 s[12:13], s[0:1]
	s_xor_b64 s[12:13], exec, s[12:13]
	s_cbranch_execnz .LBB309_951
; %bb.686:                              ;   in Loop: Header=BB309_555 Depth=1
	s_or_saveexec_b64 s[12:13], s[12:13]
	v_mov_b32_e32 v27, s26
	s_xor_b64 exec, exec, s[12:13]
	s_cbranch_execnz .LBB309_954
.LBB309_687:                            ;   in Loop: Header=BB309_555 Depth=1
	s_or_b64 exec, exec, s[12:13]
	s_and_saveexec_b64 s[12:13], s[8:9]
	s_cbranch_execz .LBB309_689
.LBB309_688:                            ;   in Loop: Header=BB309_555 Depth=1
	v_bfe_u32 v16, v29, 24, 3
	v_ffbh_u32_e32 v26, v16
	v_bfe_u32 v28, v29, 27, 4
	v_min_u32_e32 v29, 32, v26
	v_subrev_u32_e32 v26, 28, v29
	v_lshlrev_b64 v[26:27], v26, v[10:11]
	v_sub_u32_e32 v27, 29, v29
	v_cmp_eq_u32_e64 s[0:1], 0, v28
	v_and_b32_e32 v26, 7, v26
	v_lshlrev_b32_e32 v10, 8, v10
	v_cndmask_b32_e64 v27, v28, v27, s[0:1]
	v_cndmask_b32_e64 v16, v16, v26, s[0:1]
	v_lshl_add_u32 v26, v27, 10, v49
	v_and_or_b32 v10, v10, s17, v26
	v_lshl_or_b32 v10, v16, 7, v10
	v_cvt_f32_f16_e32 v27, v10
.LBB309_689:                            ;   in Loop: Header=BB309_555 Depth=1
	s_or_b64 exec, exec, s[12:13]
	s_waitcnt vmcnt(0) lgkmcnt(0)
	v_pk_mul_f32 v[28:29], v[24:25], v[32:33] op_sel_hi:[0,1]
	v_pk_mul_f32 v[30:31], v[24:25], v[30:31] op_sel_hi:[0,1]
	v_cvt_f16_f32_e32 v10, v29
	v_cvt_f16_f32_e32 v16, v28
	;; [unrolled: 1-line block ×4, first 2 shown]
	v_fma_mixlo_f16 v6, v24, v6, 0
	v_pack_b32_f16 v16, v16, v10
	v_fma_mixlo_f16 v25, v24, v25, 0
	v_pack_b32_f16 v26, v28, v26
	v_perm_b32 v10, v26, v16, s23
	v_perm_b32 v26, v26, v16, s24
	v_fma_mixlo_f16 v16, v24, v22, 0
	v_lshlrev_b32_e32 v16, 16, v16
	v_or_b32_sdwa v6, v16, v6 dst_sel:DWORD dst_unused:UNUSED_PAD src0_sel:DWORD src1_sel:WORD_0
	v_fma_mixlo_f16 v16, v24, v27, 0
	v_lshlrev_b32_e32 v16, 16, v16
	v_or_b32_sdwa v22, v16, v25 dst_sel:DWORD dst_unused:UNUSED_PAD src0_sel:DWORD src1_sel:WORD_0
	s_and_saveexec_b64 s[8:9], vcc
	s_cbranch_execz .LBB309_691
; %bb.690:                              ;   in Loop: Header=BB309_555 Depth=1
	v_lshrrev_b32_e32 v16, 16, v26
	v_cmp_lt_i32_e64 s[0:1], v44, v17
	v_accvgpr_read_b32 v28, a8
	s_nop 0
	v_cndmask_b32_e64 v16, 0, v16, s[0:1]
	v_cmp_lt_i32_e64 s[0:1], v7, v28
	s_nop 1
	v_cndmask_b32_e64 v24, 0, v26, s[0:1]
	v_perm_b32 v26, v16, v24, s25
	v_lshrrev_b32_e32 v16, 16, v10
	v_cmp_lt_i32_e64 s[0:1], v55, v17
	s_nop 1
	v_cndmask_b32_e64 v16, 0, v16, s[0:1]
	v_cmp_lt_i32_e64 s[0:1], v54, v28
	s_nop 1
	v_cndmask_b32_e64 v10, 0, v10, s[0:1]
	v_perm_b32 v10, v16, v10, s25
	v_lshrrev_b32_e32 v16, 16, v6
	v_cmp_lt_i32_e64 s[0:1], v53, v17
	;; [unrolled: 8-line block ×3, first 2 shown]
	s_nop 1
	v_cndmask_b32_e64 v16, 0, v16, s[0:1]
	v_cmp_lt_i32_e64 s[0:1], v50, v28
	s_nop 1
	v_cndmask_b32_e64 v22, 0, v25, s[0:1]
	v_perm_b32 v22, v16, v22, s25
.LBB309_691:                            ;   in Loop: Header=BB309_555 Depth=1
	s_or_b64 exec, exec, s[8:9]
	;;#ASMSTART
	v_pk_mul_f16 v16, v40, v26;

	;;#ASMEND
	;;#ASMSTART
	v_pk_mul_f16 v10, v41, v10;

	;;#ASMEND
	;; [unrolled: 4-line block ×4, first 2 shown]
	v_accvgpr_read_b32 v25, a5
	;;#ASMSTART
	v_pk_add_f16 v10, v16, v10;

	;;#ASMEND
	v_accvgpr_read_b32 v24, a4
	;;#ASMSTART
	v_pk_add_f16 v6, v10, v6;

	;;#ASMEND
	s_mov_b64 s[0:1], 0
	;;#ASMSTART
	v_pk_add_f16 v6, v6, v22;

	;;#ASMEND
                                        ; implicit-def: $sgpr20
	s_nop 0
	v_lshrrev_b32_e32 v10, 16, v6
	v_and_b32_e32 v6, 0xffff, v6
	;;#ASMSTART
	v_cvt_f32_f16 v38, v6;
	;;#ASMEND
	;;#ASMSTART
	v_cvt_f32_f16 v39, v10;
	;;#ASMEND
	flat_load_dwordx2 v[28:29], v[18:19] offset:2048
	s_waitcnt vmcnt(0) lgkmcnt(0)
	v_cmp_gt_i16_sdwa s[8:9], v28, s3 src0_sel:BYTE_0 src1_sel:DWORD
	flat_load_dword v24, v[24:25]
	s_and_saveexec_b64 s[12:13], s[8:9]
	s_xor_b64 s[8:9], exec, s[12:13]
	s_cbranch_execnz .LBB309_955
; %bb.692:                              ;   in Loop: Header=BB309_555 Depth=1
	s_or_saveexec_b64 s[8:9], s[8:9]
	v_mov_b32_e32 v30, s20
	s_xor_b64 exec, exec, s[8:9]
	s_cbranch_execnz .LBB309_958
.LBB309_693:                            ;   in Loop: Header=BB309_555 Depth=1
	s_or_b64 exec, exec, s[8:9]
	s_and_saveexec_b64 s[8:9], s[0:1]
	s_cbranch_execz .LBB309_695
.LBB309_694:                            ;   in Loop: Header=BB309_555 Depth=1
	v_and_b32_e32 v6, 7, v28
	v_ffbh_u32_e32 v6, v6
	v_bfe_u32 v10, v28, 3, 4
	v_min_u32_e32 v6, 32, v6
	v_subrev_u32_e32 v16, 28, v6
	v_sub_u32_e32 v6, 29, v6
	v_cmp_eq_u32_e64 s[0:1], 0, v10
	s_nop 1
	v_cndmask_b32_e64 v6, v10, v6, s[0:1]
	v_cndmask_b32_e64 v10, 0, v16, s[0:1]
	v_lshlrev_b64 v[26:27], v10, v[28:29]
	v_lshlrev_b32_e32 v16, 8, v28
	v_lshl_add_u32 v6, v6, 10, v49
	v_lshlrev_b32_e32 v10, 7, v26
	v_and_or_b32 v6, v16, s17, v6
	v_and_or_b32 v6, v10, s22, v6
	v_cvt_f32_f16_e32 v30, v6
.LBB309_695:                            ;   in Loop: Header=BB309_555 Depth=1
	s_or_b64 exec, exec, s[8:9]
	v_lshrrev_b16_e32 v10, 8, v28
	v_cmp_lt_i16_e64 s[0:1], s3, v10
	s_mov_b64 s[8:9], 0
                                        ; implicit-def: $sgpr26
	s_and_saveexec_b64 s[12:13], s[0:1]
	s_xor_b64 s[12:13], exec, s[12:13]
	s_cbranch_execnz .LBB309_959
; %bb.696:                              ;   in Loop: Header=BB309_555 Depth=1
	s_or_saveexec_b64 s[12:13], s[12:13]
	v_mov_b32_e32 v32, s26
	s_xor_b64 exec, exec, s[12:13]
	s_cbranch_execnz .LBB309_962
.LBB309_697:                            ;   in Loop: Header=BB309_555 Depth=1
	s_or_b64 exec, exec, s[12:13]
	s_and_saveexec_b64 s[12:13], s[8:9]
	s_cbranch_execz .LBB309_699
.LBB309_698:                            ;   in Loop: Header=BB309_555 Depth=1
	v_and_b32_e32 v6, 7, v10
	v_ffbh_u32_e32 v22, v6
	v_bfe_u32 v16, v10, 3, 4
	v_min_u32_e32 v22, 32, v22
	v_subrev_u32_e32 v25, 28, v22
	v_sub_u32_e32 v22, 29, v22
	v_cmp_eq_u32_e64 s[0:1], 0, v16
	v_lshlrev_b64 v[26:27], v25, v[10:11]
	v_and_b32_e32 v25, 7, v26
	v_cndmask_b32_e64 v16, v16, v22, s[0:1]
	v_lshlrev_b32_e32 v10, 8, v10
	v_lshl_add_u32 v16, v16, 10, v49
	v_cndmask_b32_e64 v6, v6, v25, s[0:1]
	v_and_or_b32 v10, v10, s17, v16
	v_lshl_or_b32 v6, v6, 7, v10
	v_cvt_f32_f16_e32 v32, v6
.LBB309_699:                            ;   in Loop: Header=BB309_555 Depth=1
	s_or_b64 exec, exec, s[12:13]
	v_lshrrev_b32_e32 v10, 16, v28
	v_cmp_gt_i16_sdwa s[8:9], v10, s3 src0_sel:BYTE_0 src1_sel:DWORD
	s_mov_b64 s[0:1], 0
                                        ; implicit-def: $sgpr20
	s_and_saveexec_b64 s[12:13], s[8:9]
	s_xor_b64 s[8:9], exec, s[12:13]
	s_cbranch_execnz .LBB309_963
; %bb.700:                              ;   in Loop: Header=BB309_555 Depth=1
	s_or_saveexec_b64 s[8:9], s[8:9]
	v_mov_b32_e32 v31, s20
	s_xor_b64 exec, exec, s[8:9]
	s_cbranch_execnz .LBB309_966
.LBB309_701:                            ;   in Loop: Header=BB309_555 Depth=1
	s_or_b64 exec, exec, s[8:9]
	s_and_saveexec_b64 s[8:9], s[0:1]
	s_cbranch_execz .LBB309_703
.LBB309_702:                            ;   in Loop: Header=BB309_555 Depth=1
	v_bfe_u32 v6, v28, 16, 3
	v_ffbh_u32_e32 v22, v6
	v_bfe_u32 v16, v28, 19, 4
	v_min_u32_e32 v22, 32, v22
	v_subrev_u32_e32 v25, 28, v22
	v_sub_u32_e32 v22, 29, v22
	v_cmp_eq_u32_e64 s[0:1], 0, v16
	v_lshlrev_b64 v[26:27], v25, v[10:11]
	v_and_b32_e32 v25, 7, v26
	v_cndmask_b32_e64 v16, v16, v22, s[0:1]
	v_lshlrev_b32_e32 v10, 8, v10
	v_lshl_add_u32 v16, v16, 10, v49
	v_cndmask_b32_e64 v6, v6, v25, s[0:1]
	v_and_or_b32 v10, v10, s17, v16
	v_lshl_or_b32 v6, v6, 7, v10
	v_cvt_f32_f16_e32 v31, v6
.LBB309_703:                            ;   in Loop: Header=BB309_555 Depth=1
	s_or_b64 exec, exec, s[8:9]
	v_lshrrev_b32_e32 v10, 24, v28
	v_cmp_lt_i16_e64 s[0:1], s3, v10
	s_mov_b64 s[8:9], 0
                                        ; implicit-def: $sgpr26
	s_and_saveexec_b64 s[12:13], s[0:1]
	s_xor_b64 s[12:13], exec, s[12:13]
	s_cbranch_execnz .LBB309_967
; %bb.704:                              ;   in Loop: Header=BB309_555 Depth=1
	s_or_saveexec_b64 s[12:13], s[12:13]
	v_mov_b32_e32 v33, s26
	s_xor_b64 exec, exec, s[12:13]
	s_cbranch_execnz .LBB309_970
.LBB309_705:                            ;   in Loop: Header=BB309_555 Depth=1
	s_or_b64 exec, exec, s[12:13]
	s_and_saveexec_b64 s[12:13], s[8:9]
	s_cbranch_execz .LBB309_707
.LBB309_706:                            ;   in Loop: Header=BB309_555 Depth=1
	v_bfe_u32 v6, v28, 24, 3
	v_ffbh_u32_e32 v22, v6
	v_bfe_u32 v16, v28, 27, 4
	v_min_u32_e32 v22, 32, v22
	v_subrev_u32_e32 v25, 28, v22
	v_sub_u32_e32 v22, 29, v22
	v_cmp_eq_u32_e64 s[0:1], 0, v16
	v_lshlrev_b64 v[26:27], v25, v[10:11]
	v_and_b32_e32 v25, 7, v26
	v_cndmask_b32_e64 v16, v16, v22, s[0:1]
	v_lshlrev_b32_e32 v10, 8, v10
	v_lshl_add_u32 v16, v16, 10, v49
	v_cndmask_b32_e64 v6, v6, v25, s[0:1]
	v_and_or_b32 v10, v10, s17, v16
	v_lshl_or_b32 v6, v6, 7, v10
	v_cvt_f32_f16_e32 v33, v6
.LBB309_707:                            ;   in Loop: Header=BB309_555 Depth=1
	s_or_b64 exec, exec, s[12:13]
	v_cmp_gt_i16_sdwa s[8:9], v29, s3 src0_sel:BYTE_0 src1_sel:DWORD
	s_mov_b64 s[0:1], 0
                                        ; implicit-def: $sgpr20
	s_and_saveexec_b64 s[12:13], s[8:9]
	s_xor_b64 s[8:9], exec, s[12:13]
	s_cbranch_execnz .LBB309_971
; %bb.708:                              ;   in Loop: Header=BB309_555 Depth=1
	s_or_saveexec_b64 s[8:9], s[8:9]
	v_mov_b32_e32 v6, s20
	s_xor_b64 exec, exec, s[8:9]
	s_cbranch_execnz .LBB309_974
.LBB309_709:                            ;   in Loop: Header=BB309_555 Depth=1
	s_or_b64 exec, exec, s[8:9]
	v_mov_b32_e32 v10, v29
	s_and_saveexec_b64 s[8:9], s[0:1]
	s_cbranch_execz .LBB309_711
.LBB309_710:                            ;   in Loop: Header=BB309_555 Depth=1
	v_and_b32_e32 v6, 7, v29
	v_ffbh_u32_e32 v6, v6
	v_bfe_u32 v16, v29, 3, 4
	v_min_u32_e32 v6, 32, v6
	v_subrev_u32_e32 v22, 28, v6
	v_sub_u32_e32 v6, 29, v6
	v_cmp_eq_u32_e64 s[0:1], 0, v16
	s_nop 1
	v_cndmask_b32_e64 v6, v16, v6, s[0:1]
	v_cndmask_b32_e64 v16, 0, v22, s[0:1]
	v_lshlrev_b64 v[26:27], v16, v[10:11]
	v_lshlrev_b32_e32 v22, 8, v29
	v_lshl_add_u32 v6, v6, 10, v49
	v_lshlrev_b32_e32 v16, 7, v26
	v_and_or_b32 v6, v22, s17, v6
	v_and_or_b32 v6, v16, s22, v6
	v_cvt_f32_f16_e32 v6, v6
.LBB309_711:                            ;   in Loop: Header=BB309_555 Depth=1
	s_or_b64 exec, exec, s[8:9]
	v_lshrrev_b16_e32 v10, 8, v10
	v_cmp_lt_i16_e64 s[0:1], s3, v10
	s_mov_b64 s[8:9], 0
                                        ; implicit-def: $sgpr26
	s_and_saveexec_b64 s[12:13], s[0:1]
	s_xor_b64 s[12:13], exec, s[12:13]
	s_cbranch_execnz .LBB309_975
; %bb.712:                              ;   in Loop: Header=BB309_555 Depth=1
	s_or_saveexec_b64 s[12:13], s[12:13]
	v_mov_b32_e32 v22, s26
	s_xor_b64 exec, exec, s[12:13]
	s_cbranch_execnz .LBB309_978
.LBB309_713:                            ;   in Loop: Header=BB309_555 Depth=1
	s_or_b64 exec, exec, s[12:13]
	s_and_saveexec_b64 s[12:13], s[8:9]
	s_cbranch_execz .LBB309_715
.LBB309_714:                            ;   in Loop: Header=BB309_555 Depth=1
	v_and_b32_e32 v16, 7, v10
	v_ffbh_u32_e32 v25, v16
	v_bfe_u32 v22, v10, 3, 4
	v_min_u32_e32 v25, 32, v25
	v_subrev_u32_e32 v26, 28, v25
	v_sub_u32_e32 v25, 29, v25
	v_cmp_eq_u32_e64 s[0:1], 0, v22
	v_lshlrev_b64 v[26:27], v26, v[10:11]
	v_and_b32_e32 v26, 7, v26
	v_cndmask_b32_e64 v22, v22, v25, s[0:1]
	v_lshlrev_b32_e32 v10, 8, v10
	v_lshl_add_u32 v22, v22, 10, v49
	v_cndmask_b32_e64 v16, v16, v26, s[0:1]
	v_and_or_b32 v10, v10, s17, v22
	v_lshl_or_b32 v10, v16, 7, v10
	v_cvt_f32_f16_e32 v22, v10
.LBB309_715:                            ;   in Loop: Header=BB309_555 Depth=1
	s_or_b64 exec, exec, s[12:13]
	v_lshrrev_b32_e32 v10, 16, v29
	v_cmp_gt_i16_sdwa s[8:9], v10, s3 src0_sel:BYTE_0 src1_sel:DWORD
	s_mov_b64 s[0:1], 0
                                        ; implicit-def: $sgpr20
	s_and_saveexec_b64 s[12:13], s[8:9]
	s_xor_b64 s[8:9], exec, s[12:13]
	s_cbranch_execnz .LBB309_979
; %bb.716:                              ;   in Loop: Header=BB309_555 Depth=1
	s_or_saveexec_b64 s[8:9], s[8:9]
	v_mov_b32_e32 v25, s20
	s_xor_b64 exec, exec, s[8:9]
	s_cbranch_execnz .LBB309_982
.LBB309_717:                            ;   in Loop: Header=BB309_555 Depth=1
	s_or_b64 exec, exec, s[8:9]
	s_and_saveexec_b64 s[8:9], s[0:1]
	s_cbranch_execz .LBB309_719
.LBB309_718:                            ;   in Loop: Header=BB309_555 Depth=1
	v_bfe_u32 v16, v29, 16, 3
	v_ffbh_u32_e32 v26, v16
	v_min_u32_e32 v28, 32, v26
	v_subrev_u32_e32 v26, 28, v28
	v_bfe_u32 v25, v29, 19, 4
	v_lshlrev_b64 v[26:27], v26, v[10:11]
	v_sub_u32_e32 v27, 29, v28
	v_cmp_eq_u32_e64 s[0:1], 0, v25
	v_and_b32_e32 v26, 7, v26
	v_lshlrev_b32_e32 v10, 8, v10
	v_cndmask_b32_e64 v25, v25, v27, s[0:1]
	v_lshl_add_u32 v25, v25, 10, v49
	v_cndmask_b32_e64 v16, v16, v26, s[0:1]
	v_and_or_b32 v10, v10, s17, v25
	v_lshl_or_b32 v10, v16, 7, v10
	v_cvt_f32_f16_e32 v25, v10
.LBB309_719:                            ;   in Loop: Header=BB309_555 Depth=1
	s_or_b64 exec, exec, s[8:9]
	v_lshrrev_b32_e32 v10, 24, v29
	v_cmp_lt_i16_e64 s[0:1], s3, v10
	s_mov_b64 s[8:9], 0
                                        ; implicit-def: $sgpr26
	s_and_saveexec_b64 s[12:13], s[0:1]
	s_xor_b64 s[12:13], exec, s[12:13]
	s_cbranch_execnz .LBB309_983
; %bb.720:                              ;   in Loop: Header=BB309_555 Depth=1
	s_or_saveexec_b64 s[12:13], s[12:13]
	v_mov_b32_e32 v27, s26
	s_xor_b64 exec, exec, s[12:13]
	s_cbranch_execnz .LBB309_986
.LBB309_721:                            ;   in Loop: Header=BB309_555 Depth=1
	s_or_b64 exec, exec, s[12:13]
	s_and_saveexec_b64 s[12:13], s[8:9]
	s_cbranch_execz .LBB309_723
.LBB309_722:                            ;   in Loop: Header=BB309_555 Depth=1
	v_bfe_u32 v16, v29, 24, 3
	v_ffbh_u32_e32 v26, v16
	v_bfe_u32 v28, v29, 27, 4
	v_min_u32_e32 v29, 32, v26
	v_subrev_u32_e32 v26, 28, v29
	v_lshlrev_b64 v[26:27], v26, v[10:11]
	v_sub_u32_e32 v27, 29, v29
	v_cmp_eq_u32_e64 s[0:1], 0, v28
	v_and_b32_e32 v26, 7, v26
	v_lshlrev_b32_e32 v10, 8, v10
	v_cndmask_b32_e64 v27, v28, v27, s[0:1]
	v_cndmask_b32_e64 v16, v16, v26, s[0:1]
	v_lshl_add_u32 v26, v27, 10, v49
	v_and_or_b32 v10, v10, s17, v26
	v_lshl_or_b32 v10, v16, 7, v10
	v_cvt_f32_f16_e32 v27, v10
.LBB309_723:                            ;   in Loop: Header=BB309_555 Depth=1
	s_or_b64 exec, exec, s[12:13]
	s_waitcnt vmcnt(0) lgkmcnt(0)
	v_pk_mul_f32 v[28:29], v[24:25], v[32:33] op_sel_hi:[0,1]
	v_pk_mul_f32 v[30:31], v[24:25], v[30:31] op_sel_hi:[0,1]
	v_cvt_f16_f32_e32 v10, v29
	v_cvt_f16_f32_e32 v16, v28
	;; [unrolled: 1-line block ×4, first 2 shown]
	v_fma_mixlo_f16 v6, v24, v6, 0
	v_pack_b32_f16 v16, v16, v10
	v_fma_mixlo_f16 v25, v24, v25, 0
	v_pack_b32_f16 v26, v28, v26
	v_perm_b32 v10, v26, v16, s23
	v_perm_b32 v26, v26, v16, s24
	v_fma_mixlo_f16 v16, v24, v22, 0
	v_lshlrev_b32_e32 v16, 16, v16
	v_or_b32_sdwa v6, v16, v6 dst_sel:DWORD dst_unused:UNUSED_PAD src0_sel:DWORD src1_sel:WORD_0
	v_fma_mixlo_f16 v16, v24, v27, 0
	v_lshlrev_b32_e32 v16, 16, v16
	v_or_b32_sdwa v22, v16, v25 dst_sel:DWORD dst_unused:UNUSED_PAD src0_sel:DWORD src1_sel:WORD_0
	s_and_saveexec_b64 s[8:9], vcc
	s_cbranch_execz .LBB309_725
; %bb.724:                              ;   in Loop: Header=BB309_555 Depth=1
	v_lshrrev_b32_e32 v16, 16, v26
	v_cmp_lt_i32_e64 s[0:1], v44, v17
	v_accvgpr_read_b32 v28, a8
	s_nop 0
	v_cndmask_b32_e64 v16, 0, v16, s[0:1]
	v_cmp_lt_i32_e64 s[0:1], v7, v28
	s_nop 1
	v_cndmask_b32_e64 v24, 0, v26, s[0:1]
	v_perm_b32 v26, v16, v24, s25
	v_lshrrev_b32_e32 v16, 16, v10
	v_cmp_lt_i32_e64 s[0:1], v55, v17
	s_nop 1
	v_cndmask_b32_e64 v16, 0, v16, s[0:1]
	v_cmp_lt_i32_e64 s[0:1], v54, v28
	s_nop 1
	v_cndmask_b32_e64 v10, 0, v10, s[0:1]
	v_perm_b32 v10, v16, v10, s25
	v_lshrrev_b32_e32 v16, 16, v6
	v_cmp_lt_i32_e64 s[0:1], v53, v17
	;; [unrolled: 8-line block ×3, first 2 shown]
	s_nop 1
	v_cndmask_b32_e64 v16, 0, v16, s[0:1]
	v_cmp_lt_i32_e64 s[0:1], v50, v28
	s_nop 1
	v_cndmask_b32_e64 v22, 0, v25, s[0:1]
	v_perm_b32 v22, v16, v22, s25
.LBB309_725:                            ;   in Loop: Header=BB309_555 Depth=1
	s_or_b64 exec, exec, s[8:9]
	;;#ASMSTART
	v_pk_mul_f16 v16, v40, v26;

	;;#ASMEND
	;;#ASMSTART
	v_pk_mul_f16 v10, v41, v10;

	;;#ASMEND
	;; [unrolled: 4-line block ×4, first 2 shown]
	v_accvgpr_read_b32 v25, a5
	;;#ASMSTART
	v_pk_add_f16 v10, v16, v10;

	;;#ASMEND
	v_accvgpr_read_b32 v24, a4
	;;#ASMSTART
	v_pk_add_f16 v6, v10, v6;

	;;#ASMEND
	s_mov_b64 s[0:1], 0
	;;#ASMSTART
	v_pk_add_f16 v6, v6, v22;

	;;#ASMEND
                                        ; implicit-def: $sgpr20
	s_nop 0
	v_lshrrev_b32_e32 v10, 16, v6
	v_and_b32_e32 v6, 0xffff, v6
	;;#ASMSTART
	v_cvt_f32_f16 v57, v6;
	;;#ASMEND
	;;#ASMSTART
	v_cvt_f32_f16 v58, v10;
	;;#ASMEND
	flat_load_dwordx2 v[28:29], v[18:19] offset:2560
	s_waitcnt vmcnt(0) lgkmcnt(0)
	v_cmp_gt_i16_sdwa s[8:9], v28, s3 src0_sel:BYTE_0 src1_sel:DWORD
	flat_load_dword v24, v[24:25]
	s_and_saveexec_b64 s[12:13], s[8:9]
	s_xor_b64 s[8:9], exec, s[12:13]
	s_cbranch_execnz .LBB309_987
; %bb.726:                              ;   in Loop: Header=BB309_555 Depth=1
	s_or_saveexec_b64 s[8:9], s[8:9]
	v_mov_b32_e32 v30, s20
	s_xor_b64 exec, exec, s[8:9]
	s_cbranch_execnz .LBB309_990
.LBB309_727:                            ;   in Loop: Header=BB309_555 Depth=1
	s_or_b64 exec, exec, s[8:9]
	s_and_saveexec_b64 s[8:9], s[0:1]
	s_cbranch_execz .LBB309_729
.LBB309_728:                            ;   in Loop: Header=BB309_555 Depth=1
	v_and_b32_e32 v6, 7, v28
	v_ffbh_u32_e32 v6, v6
	v_bfe_u32 v10, v28, 3, 4
	v_min_u32_e32 v6, 32, v6
	v_subrev_u32_e32 v16, 28, v6
	v_sub_u32_e32 v6, 29, v6
	v_cmp_eq_u32_e64 s[0:1], 0, v10
	s_nop 1
	v_cndmask_b32_e64 v6, v10, v6, s[0:1]
	v_cndmask_b32_e64 v10, 0, v16, s[0:1]
	v_lshlrev_b64 v[26:27], v10, v[28:29]
	v_lshlrev_b32_e32 v16, 8, v28
	v_lshl_add_u32 v6, v6, 10, v49
	v_lshlrev_b32_e32 v10, 7, v26
	v_and_or_b32 v6, v16, s17, v6
	v_and_or_b32 v6, v10, s22, v6
	v_cvt_f32_f16_e32 v30, v6
.LBB309_729:                            ;   in Loop: Header=BB309_555 Depth=1
	s_or_b64 exec, exec, s[8:9]
	v_lshrrev_b16_e32 v10, 8, v28
	v_cmp_lt_i16_e64 s[0:1], s3, v10
	s_mov_b64 s[8:9], 0
                                        ; implicit-def: $sgpr26
	s_and_saveexec_b64 s[12:13], s[0:1]
	s_xor_b64 s[12:13], exec, s[12:13]
	s_cbranch_execnz .LBB309_991
; %bb.730:                              ;   in Loop: Header=BB309_555 Depth=1
	s_or_saveexec_b64 s[12:13], s[12:13]
	v_mov_b32_e32 v32, s26
	s_xor_b64 exec, exec, s[12:13]
	s_cbranch_execnz .LBB309_994
.LBB309_731:                            ;   in Loop: Header=BB309_555 Depth=1
	s_or_b64 exec, exec, s[12:13]
	s_and_saveexec_b64 s[12:13], s[8:9]
	s_cbranch_execz .LBB309_733
.LBB309_732:                            ;   in Loop: Header=BB309_555 Depth=1
	v_and_b32_e32 v6, 7, v10
	v_ffbh_u32_e32 v22, v6
	v_bfe_u32 v16, v10, 3, 4
	v_min_u32_e32 v22, 32, v22
	v_subrev_u32_e32 v25, 28, v22
	v_sub_u32_e32 v22, 29, v22
	v_cmp_eq_u32_e64 s[0:1], 0, v16
	v_lshlrev_b64 v[26:27], v25, v[10:11]
	v_and_b32_e32 v25, 7, v26
	v_cndmask_b32_e64 v16, v16, v22, s[0:1]
	v_lshlrev_b32_e32 v10, 8, v10
	v_lshl_add_u32 v16, v16, 10, v49
	v_cndmask_b32_e64 v6, v6, v25, s[0:1]
	v_and_or_b32 v10, v10, s17, v16
	v_lshl_or_b32 v6, v6, 7, v10
	v_cvt_f32_f16_e32 v32, v6
.LBB309_733:                            ;   in Loop: Header=BB309_555 Depth=1
	s_or_b64 exec, exec, s[12:13]
	v_lshrrev_b32_e32 v10, 16, v28
	v_cmp_gt_i16_sdwa s[8:9], v10, s3 src0_sel:BYTE_0 src1_sel:DWORD
	s_mov_b64 s[0:1], 0
                                        ; implicit-def: $sgpr20
	s_and_saveexec_b64 s[12:13], s[8:9]
	s_xor_b64 s[8:9], exec, s[12:13]
	s_cbranch_execnz .LBB309_995
; %bb.734:                              ;   in Loop: Header=BB309_555 Depth=1
	s_or_saveexec_b64 s[8:9], s[8:9]
	v_mov_b32_e32 v31, s20
	s_xor_b64 exec, exec, s[8:9]
	s_cbranch_execnz .LBB309_998
.LBB309_735:                            ;   in Loop: Header=BB309_555 Depth=1
	s_or_b64 exec, exec, s[8:9]
	s_and_saveexec_b64 s[8:9], s[0:1]
	s_cbranch_execz .LBB309_737
.LBB309_736:                            ;   in Loop: Header=BB309_555 Depth=1
	v_bfe_u32 v6, v28, 16, 3
	v_ffbh_u32_e32 v22, v6
	v_bfe_u32 v16, v28, 19, 4
	v_min_u32_e32 v22, 32, v22
	v_subrev_u32_e32 v25, 28, v22
	v_sub_u32_e32 v22, 29, v22
	v_cmp_eq_u32_e64 s[0:1], 0, v16
	v_lshlrev_b64 v[26:27], v25, v[10:11]
	v_and_b32_e32 v25, 7, v26
	v_cndmask_b32_e64 v16, v16, v22, s[0:1]
	v_lshlrev_b32_e32 v10, 8, v10
	v_lshl_add_u32 v16, v16, 10, v49
	v_cndmask_b32_e64 v6, v6, v25, s[0:1]
	v_and_or_b32 v10, v10, s17, v16
	v_lshl_or_b32 v6, v6, 7, v10
	v_cvt_f32_f16_e32 v31, v6
.LBB309_737:                            ;   in Loop: Header=BB309_555 Depth=1
	s_or_b64 exec, exec, s[8:9]
	v_lshrrev_b32_e32 v10, 24, v28
	v_cmp_lt_i16_e64 s[0:1], s3, v10
	s_mov_b64 s[8:9], 0
                                        ; implicit-def: $sgpr26
	s_and_saveexec_b64 s[12:13], s[0:1]
	s_xor_b64 s[12:13], exec, s[12:13]
	s_cbranch_execnz .LBB309_999
; %bb.738:                              ;   in Loop: Header=BB309_555 Depth=1
	s_or_saveexec_b64 s[12:13], s[12:13]
	v_mov_b32_e32 v33, s26
	s_xor_b64 exec, exec, s[12:13]
	s_cbranch_execnz .LBB309_1002
.LBB309_739:                            ;   in Loop: Header=BB309_555 Depth=1
	s_or_b64 exec, exec, s[12:13]
	s_and_saveexec_b64 s[12:13], s[8:9]
	s_cbranch_execz .LBB309_741
.LBB309_740:                            ;   in Loop: Header=BB309_555 Depth=1
	v_bfe_u32 v6, v28, 24, 3
	v_ffbh_u32_e32 v22, v6
	v_bfe_u32 v16, v28, 27, 4
	v_min_u32_e32 v22, 32, v22
	v_subrev_u32_e32 v25, 28, v22
	v_sub_u32_e32 v22, 29, v22
	v_cmp_eq_u32_e64 s[0:1], 0, v16
	v_lshlrev_b64 v[26:27], v25, v[10:11]
	v_and_b32_e32 v25, 7, v26
	v_cndmask_b32_e64 v16, v16, v22, s[0:1]
	v_lshlrev_b32_e32 v10, 8, v10
	v_lshl_add_u32 v16, v16, 10, v49
	v_cndmask_b32_e64 v6, v6, v25, s[0:1]
	v_and_or_b32 v10, v10, s17, v16
	v_lshl_or_b32 v6, v6, 7, v10
	v_cvt_f32_f16_e32 v33, v6
.LBB309_741:                            ;   in Loop: Header=BB309_555 Depth=1
	s_or_b64 exec, exec, s[12:13]
	v_cmp_gt_i16_sdwa s[8:9], v29, s3 src0_sel:BYTE_0 src1_sel:DWORD
	s_mov_b64 s[0:1], 0
                                        ; implicit-def: $sgpr20
	s_and_saveexec_b64 s[12:13], s[8:9]
	s_xor_b64 s[8:9], exec, s[12:13]
	s_cbranch_execnz .LBB309_1003
; %bb.742:                              ;   in Loop: Header=BB309_555 Depth=1
	s_or_saveexec_b64 s[8:9], s[8:9]
	v_mov_b32_e32 v6, s20
	s_xor_b64 exec, exec, s[8:9]
	s_cbranch_execnz .LBB309_1006
.LBB309_743:                            ;   in Loop: Header=BB309_555 Depth=1
	s_or_b64 exec, exec, s[8:9]
	v_mov_b32_e32 v10, v29
	s_and_saveexec_b64 s[8:9], s[0:1]
	s_cbranch_execz .LBB309_745
.LBB309_744:                            ;   in Loop: Header=BB309_555 Depth=1
	v_and_b32_e32 v6, 7, v29
	v_ffbh_u32_e32 v6, v6
	v_bfe_u32 v16, v29, 3, 4
	v_min_u32_e32 v6, 32, v6
	v_subrev_u32_e32 v22, 28, v6
	v_sub_u32_e32 v6, 29, v6
	v_cmp_eq_u32_e64 s[0:1], 0, v16
	s_nop 1
	v_cndmask_b32_e64 v6, v16, v6, s[0:1]
	v_cndmask_b32_e64 v16, 0, v22, s[0:1]
	v_lshlrev_b64 v[26:27], v16, v[10:11]
	v_lshlrev_b32_e32 v22, 8, v29
	v_lshl_add_u32 v6, v6, 10, v49
	v_lshlrev_b32_e32 v16, 7, v26
	v_and_or_b32 v6, v22, s17, v6
	v_and_or_b32 v6, v16, s22, v6
	v_cvt_f32_f16_e32 v6, v6
.LBB309_745:                            ;   in Loop: Header=BB309_555 Depth=1
	s_or_b64 exec, exec, s[8:9]
	v_lshrrev_b16_e32 v10, 8, v10
	v_cmp_lt_i16_e64 s[0:1], s3, v10
	s_mov_b64 s[8:9], 0
                                        ; implicit-def: $sgpr26
	s_and_saveexec_b64 s[12:13], s[0:1]
	s_xor_b64 s[12:13], exec, s[12:13]
	s_cbranch_execnz .LBB309_1007
; %bb.746:                              ;   in Loop: Header=BB309_555 Depth=1
	s_or_saveexec_b64 s[12:13], s[12:13]
	v_mov_b32_e32 v22, s26
	s_xor_b64 exec, exec, s[12:13]
	s_cbranch_execnz .LBB309_1010
.LBB309_747:                            ;   in Loop: Header=BB309_555 Depth=1
	s_or_b64 exec, exec, s[12:13]
	s_and_saveexec_b64 s[12:13], s[8:9]
	s_cbranch_execz .LBB309_749
.LBB309_748:                            ;   in Loop: Header=BB309_555 Depth=1
	v_and_b32_e32 v16, 7, v10
	v_ffbh_u32_e32 v25, v16
	v_bfe_u32 v22, v10, 3, 4
	v_min_u32_e32 v25, 32, v25
	v_subrev_u32_e32 v26, 28, v25
	v_sub_u32_e32 v25, 29, v25
	v_cmp_eq_u32_e64 s[0:1], 0, v22
	v_lshlrev_b64 v[26:27], v26, v[10:11]
	v_and_b32_e32 v26, 7, v26
	v_cndmask_b32_e64 v22, v22, v25, s[0:1]
	v_lshlrev_b32_e32 v10, 8, v10
	v_lshl_add_u32 v22, v22, 10, v49
	v_cndmask_b32_e64 v16, v16, v26, s[0:1]
	v_and_or_b32 v10, v10, s17, v22
	v_lshl_or_b32 v10, v16, 7, v10
	v_cvt_f32_f16_e32 v22, v10
.LBB309_749:                            ;   in Loop: Header=BB309_555 Depth=1
	s_or_b64 exec, exec, s[12:13]
	v_lshrrev_b32_e32 v10, 16, v29
	v_cmp_gt_i16_sdwa s[8:9], v10, s3 src0_sel:BYTE_0 src1_sel:DWORD
	s_mov_b64 s[0:1], 0
                                        ; implicit-def: $sgpr20
	s_and_saveexec_b64 s[12:13], s[8:9]
	s_xor_b64 s[8:9], exec, s[12:13]
	s_cbranch_execnz .LBB309_1011
; %bb.750:                              ;   in Loop: Header=BB309_555 Depth=1
	s_or_saveexec_b64 s[8:9], s[8:9]
	v_mov_b32_e32 v25, s20
	s_xor_b64 exec, exec, s[8:9]
	s_cbranch_execnz .LBB309_1014
.LBB309_751:                            ;   in Loop: Header=BB309_555 Depth=1
	s_or_b64 exec, exec, s[8:9]
	s_and_saveexec_b64 s[8:9], s[0:1]
	s_cbranch_execz .LBB309_753
.LBB309_752:                            ;   in Loop: Header=BB309_555 Depth=1
	v_bfe_u32 v16, v29, 16, 3
	v_ffbh_u32_e32 v26, v16
	v_min_u32_e32 v28, 32, v26
	v_subrev_u32_e32 v26, 28, v28
	v_bfe_u32 v25, v29, 19, 4
	v_lshlrev_b64 v[26:27], v26, v[10:11]
	v_sub_u32_e32 v27, 29, v28
	v_cmp_eq_u32_e64 s[0:1], 0, v25
	v_and_b32_e32 v26, 7, v26
	v_lshlrev_b32_e32 v10, 8, v10
	v_cndmask_b32_e64 v25, v25, v27, s[0:1]
	v_lshl_add_u32 v25, v25, 10, v49
	v_cndmask_b32_e64 v16, v16, v26, s[0:1]
	v_and_or_b32 v10, v10, s17, v25
	v_lshl_or_b32 v10, v16, 7, v10
	v_cvt_f32_f16_e32 v25, v10
.LBB309_753:                            ;   in Loop: Header=BB309_555 Depth=1
	s_or_b64 exec, exec, s[8:9]
	v_lshrrev_b32_e32 v10, 24, v29
	v_cmp_lt_i16_e64 s[0:1], s3, v10
	s_mov_b64 s[8:9], 0
                                        ; implicit-def: $sgpr26
	s_and_saveexec_b64 s[12:13], s[0:1]
	s_xor_b64 s[12:13], exec, s[12:13]
	s_cbranch_execnz .LBB309_1015
; %bb.754:                              ;   in Loop: Header=BB309_555 Depth=1
	s_or_saveexec_b64 s[12:13], s[12:13]
	v_mov_b32_e32 v27, s26
	s_xor_b64 exec, exec, s[12:13]
	s_cbranch_execnz .LBB309_1018
.LBB309_755:                            ;   in Loop: Header=BB309_555 Depth=1
	s_or_b64 exec, exec, s[12:13]
	s_and_saveexec_b64 s[12:13], s[8:9]
	s_cbranch_execz .LBB309_757
.LBB309_756:                            ;   in Loop: Header=BB309_555 Depth=1
	v_bfe_u32 v16, v29, 24, 3
	v_ffbh_u32_e32 v26, v16
	v_bfe_u32 v28, v29, 27, 4
	v_min_u32_e32 v29, 32, v26
	v_subrev_u32_e32 v26, 28, v29
	v_lshlrev_b64 v[26:27], v26, v[10:11]
	v_sub_u32_e32 v27, 29, v29
	v_cmp_eq_u32_e64 s[0:1], 0, v28
	v_and_b32_e32 v26, 7, v26
	v_lshlrev_b32_e32 v10, 8, v10
	v_cndmask_b32_e64 v27, v28, v27, s[0:1]
	v_cndmask_b32_e64 v16, v16, v26, s[0:1]
	v_lshl_add_u32 v26, v27, 10, v49
	v_and_or_b32 v10, v10, s17, v26
	v_lshl_or_b32 v10, v16, 7, v10
	v_cvt_f32_f16_e32 v27, v10
.LBB309_757:                            ;   in Loop: Header=BB309_555 Depth=1
	s_or_b64 exec, exec, s[12:13]
	s_waitcnt vmcnt(0) lgkmcnt(0)
	v_pk_mul_f32 v[28:29], v[24:25], v[32:33] op_sel_hi:[0,1]
	v_pk_mul_f32 v[30:31], v[24:25], v[30:31] op_sel_hi:[0,1]
	v_cvt_f16_f32_e32 v10, v29
	v_cvt_f16_f32_e32 v16, v28
	;; [unrolled: 1-line block ×4, first 2 shown]
	v_fma_mixlo_f16 v6, v24, v6, 0
	v_pack_b32_f16 v16, v16, v10
	v_fma_mixlo_f16 v25, v24, v25, 0
	v_pack_b32_f16 v26, v28, v26
	v_perm_b32 v10, v26, v16, s23
	v_perm_b32 v26, v26, v16, s24
	v_fma_mixlo_f16 v16, v24, v22, 0
	v_lshlrev_b32_e32 v16, 16, v16
	v_or_b32_sdwa v6, v16, v6 dst_sel:DWORD dst_unused:UNUSED_PAD src0_sel:DWORD src1_sel:WORD_0
	v_fma_mixlo_f16 v16, v24, v27, 0
	v_lshlrev_b32_e32 v16, 16, v16
	v_or_b32_sdwa v22, v16, v25 dst_sel:DWORD dst_unused:UNUSED_PAD src0_sel:DWORD src1_sel:WORD_0
	s_and_saveexec_b64 s[8:9], vcc
	s_cbranch_execz .LBB309_759
; %bb.758:                              ;   in Loop: Header=BB309_555 Depth=1
	v_lshrrev_b32_e32 v16, 16, v26
	v_cmp_lt_i32_e64 s[0:1], v44, v17
	v_accvgpr_read_b32 v28, a8
	s_nop 0
	v_cndmask_b32_e64 v16, 0, v16, s[0:1]
	v_cmp_lt_i32_e64 s[0:1], v7, v28
	s_nop 1
	v_cndmask_b32_e64 v24, 0, v26, s[0:1]
	v_perm_b32 v26, v16, v24, s25
	v_lshrrev_b32_e32 v16, 16, v10
	v_cmp_lt_i32_e64 s[0:1], v55, v17
	s_nop 1
	v_cndmask_b32_e64 v16, 0, v16, s[0:1]
	v_cmp_lt_i32_e64 s[0:1], v54, v28
	s_nop 1
	v_cndmask_b32_e64 v10, 0, v10, s[0:1]
	v_perm_b32 v10, v16, v10, s25
	v_lshrrev_b32_e32 v16, 16, v6
	v_cmp_lt_i32_e64 s[0:1], v53, v17
	;; [unrolled: 8-line block ×3, first 2 shown]
	s_nop 1
	v_cndmask_b32_e64 v16, 0, v16, s[0:1]
	v_cmp_lt_i32_e64 s[0:1], v50, v28
	s_nop 1
	v_cndmask_b32_e64 v22, 0, v25, s[0:1]
	v_perm_b32 v22, v16, v22, s25
.LBB309_759:                            ;   in Loop: Header=BB309_555 Depth=1
	s_or_b64 exec, exec, s[8:9]
	;;#ASMSTART
	v_pk_mul_f16 v16, v40, v26;

	;;#ASMEND
	;;#ASMSTART
	v_pk_mul_f16 v10, v41, v10;

	;;#ASMEND
	;; [unrolled: 4-line block ×4, first 2 shown]
	v_accvgpr_read_b32 v25, a5
	;;#ASMSTART
	v_pk_add_f16 v10, v16, v10;

	;;#ASMEND
	v_accvgpr_read_b32 v24, a4
	;;#ASMSTART
	v_pk_add_f16 v6, v10, v6;

	;;#ASMEND
	s_mov_b64 s[0:1], 0
	;;#ASMSTART
	v_pk_add_f16 v6, v6, v22;

	;;#ASMEND
                                        ; implicit-def: $sgpr20
	s_nop 0
	v_lshrrev_b32_e32 v10, 16, v6
	v_and_b32_e32 v6, 0xffff, v6
	;;#ASMSTART
	v_cvt_f32_f16 v22, v6;
	;;#ASMEND
	;;#ASMSTART
	v_cvt_f32_f16 v59, v10;
	;;#ASMEND
	flat_load_dwordx2 v[28:29], v[18:19] offset:3072
	s_waitcnt vmcnt(0) lgkmcnt(0)
	v_cmp_gt_i16_sdwa s[8:9], v28, s3 src0_sel:BYTE_0 src1_sel:DWORD
	flat_load_dword v24, v[24:25]
	s_and_saveexec_b64 s[12:13], s[8:9]
	s_xor_b64 s[8:9], exec, s[12:13]
	s_cbranch_execnz .LBB309_1019
; %bb.760:                              ;   in Loop: Header=BB309_555 Depth=1
	s_or_saveexec_b64 s[8:9], s[8:9]
	v_mov_b32_e32 v30, s20
	s_xor_b64 exec, exec, s[8:9]
	s_cbranch_execnz .LBB309_1022
.LBB309_761:                            ;   in Loop: Header=BB309_555 Depth=1
	s_or_b64 exec, exec, s[8:9]
	s_and_saveexec_b64 s[8:9], s[0:1]
	s_cbranch_execz .LBB309_763
.LBB309_762:                            ;   in Loop: Header=BB309_555 Depth=1
	v_and_b32_e32 v6, 7, v28
	v_ffbh_u32_e32 v6, v6
	v_bfe_u32 v10, v28, 3, 4
	v_min_u32_e32 v6, 32, v6
	v_subrev_u32_e32 v16, 28, v6
	v_sub_u32_e32 v6, 29, v6
	v_cmp_eq_u32_e64 s[0:1], 0, v10
	s_nop 1
	v_cndmask_b32_e64 v6, v10, v6, s[0:1]
	v_cndmask_b32_e64 v10, 0, v16, s[0:1]
	v_lshlrev_b64 v[26:27], v10, v[28:29]
	v_lshlrev_b32_e32 v16, 8, v28
	v_lshl_add_u32 v6, v6, 10, v49
	v_lshlrev_b32_e32 v10, 7, v26
	v_and_or_b32 v6, v16, s17, v6
	v_and_or_b32 v6, v10, s22, v6
	v_cvt_f32_f16_e32 v30, v6
.LBB309_763:                            ;   in Loop: Header=BB309_555 Depth=1
	s_or_b64 exec, exec, s[8:9]
	v_lshrrev_b16_e32 v10, 8, v28
	v_cmp_lt_i16_e64 s[0:1], s3, v10
	s_mov_b64 s[8:9], 0
                                        ; implicit-def: $sgpr26
	s_and_saveexec_b64 s[12:13], s[0:1]
	s_xor_b64 s[12:13], exec, s[12:13]
	s_cbranch_execnz .LBB309_1023
; %bb.764:                              ;   in Loop: Header=BB309_555 Depth=1
	s_or_saveexec_b64 s[12:13], s[12:13]
	v_mov_b32_e32 v32, s26
	s_xor_b64 exec, exec, s[12:13]
	s_cbranch_execnz .LBB309_1026
.LBB309_765:                            ;   in Loop: Header=BB309_555 Depth=1
	s_or_b64 exec, exec, s[12:13]
	s_and_saveexec_b64 s[12:13], s[8:9]
	s_cbranch_execz .LBB309_767
.LBB309_766:                            ;   in Loop: Header=BB309_555 Depth=1
	v_and_b32_e32 v6, 7, v10
	v_ffbh_u32_e32 v25, v6
	v_bfe_u32 v16, v10, 3, 4
	v_min_u32_e32 v25, 32, v25
	v_subrev_u32_e32 v26, 28, v25
	v_sub_u32_e32 v25, 29, v25
	v_cmp_eq_u32_e64 s[0:1], 0, v16
	v_lshlrev_b64 v[26:27], v26, v[10:11]
	v_and_b32_e32 v26, 7, v26
	v_cndmask_b32_e64 v16, v16, v25, s[0:1]
	v_lshlrev_b32_e32 v10, 8, v10
	v_lshl_add_u32 v16, v16, 10, v49
	v_cndmask_b32_e64 v6, v6, v26, s[0:1]
	v_and_or_b32 v10, v10, s17, v16
	v_lshl_or_b32 v6, v6, 7, v10
	v_cvt_f32_f16_e32 v32, v6
.LBB309_767:                            ;   in Loop: Header=BB309_555 Depth=1
	s_or_b64 exec, exec, s[12:13]
	v_lshrrev_b32_e32 v10, 16, v28
	v_cmp_gt_i16_sdwa s[8:9], v10, s3 src0_sel:BYTE_0 src1_sel:DWORD
	s_mov_b64 s[0:1], 0
                                        ; implicit-def: $sgpr20
	s_and_saveexec_b64 s[12:13], s[8:9]
	s_xor_b64 s[8:9], exec, s[12:13]
	s_cbranch_execnz .LBB309_1027
; %bb.768:                              ;   in Loop: Header=BB309_555 Depth=1
	s_or_saveexec_b64 s[8:9], s[8:9]
	v_mov_b32_e32 v31, s20
	s_xor_b64 exec, exec, s[8:9]
	s_cbranch_execnz .LBB309_1030
.LBB309_769:                            ;   in Loop: Header=BB309_555 Depth=1
	s_or_b64 exec, exec, s[8:9]
	s_and_saveexec_b64 s[8:9], s[0:1]
	s_cbranch_execz .LBB309_771
.LBB309_770:                            ;   in Loop: Header=BB309_555 Depth=1
	v_bfe_u32 v6, v28, 16, 3
	v_ffbh_u32_e32 v25, v6
	v_bfe_u32 v16, v28, 19, 4
	v_min_u32_e32 v25, 32, v25
	v_subrev_u32_e32 v26, 28, v25
	v_sub_u32_e32 v25, 29, v25
	v_cmp_eq_u32_e64 s[0:1], 0, v16
	v_lshlrev_b64 v[26:27], v26, v[10:11]
	v_and_b32_e32 v26, 7, v26
	v_cndmask_b32_e64 v16, v16, v25, s[0:1]
	v_lshlrev_b32_e32 v10, 8, v10
	v_lshl_add_u32 v16, v16, 10, v49
	v_cndmask_b32_e64 v6, v6, v26, s[0:1]
	v_and_or_b32 v10, v10, s17, v16
	v_lshl_or_b32 v6, v6, 7, v10
	v_cvt_f32_f16_e32 v31, v6
.LBB309_771:                            ;   in Loop: Header=BB309_555 Depth=1
	s_or_b64 exec, exec, s[8:9]
	v_lshrrev_b32_e32 v10, 24, v28
	v_cmp_lt_i16_e64 s[0:1], s3, v10
	s_mov_b64 s[8:9], 0
                                        ; implicit-def: $sgpr26
	s_and_saveexec_b64 s[12:13], s[0:1]
	s_xor_b64 s[12:13], exec, s[12:13]
	s_cbranch_execnz .LBB309_1031
; %bb.772:                              ;   in Loop: Header=BB309_555 Depth=1
	s_or_saveexec_b64 s[12:13], s[12:13]
	v_mov_b32_e32 v33, s26
	s_xor_b64 exec, exec, s[12:13]
	s_cbranch_execnz .LBB309_1034
.LBB309_773:                            ;   in Loop: Header=BB309_555 Depth=1
	s_or_b64 exec, exec, s[12:13]
	s_and_saveexec_b64 s[12:13], s[8:9]
	s_cbranch_execz .LBB309_775
.LBB309_774:                            ;   in Loop: Header=BB309_555 Depth=1
	v_bfe_u32 v6, v28, 24, 3
	v_ffbh_u32_e32 v25, v6
	v_bfe_u32 v16, v28, 27, 4
	v_min_u32_e32 v25, 32, v25
	v_subrev_u32_e32 v26, 28, v25
	v_sub_u32_e32 v25, 29, v25
	v_cmp_eq_u32_e64 s[0:1], 0, v16
	v_lshlrev_b64 v[26:27], v26, v[10:11]
	v_and_b32_e32 v26, 7, v26
	v_cndmask_b32_e64 v16, v16, v25, s[0:1]
	v_lshlrev_b32_e32 v10, 8, v10
	v_lshl_add_u32 v16, v16, 10, v49
	v_cndmask_b32_e64 v6, v6, v26, s[0:1]
	v_and_or_b32 v10, v10, s17, v16
	v_lshl_or_b32 v6, v6, 7, v10
	v_cvt_f32_f16_e32 v33, v6
.LBB309_775:                            ;   in Loop: Header=BB309_555 Depth=1
	s_or_b64 exec, exec, s[12:13]
	v_cmp_gt_i16_sdwa s[8:9], v29, s3 src0_sel:BYTE_0 src1_sel:DWORD
	s_mov_b64 s[0:1], 0
                                        ; implicit-def: $sgpr20
	s_and_saveexec_b64 s[12:13], s[8:9]
	s_xor_b64 s[8:9], exec, s[12:13]
	s_cbranch_execnz .LBB309_1035
; %bb.776:                              ;   in Loop: Header=BB309_555 Depth=1
	s_or_saveexec_b64 s[8:9], s[8:9]
	v_mov_b32_e32 v6, s20
	s_xor_b64 exec, exec, s[8:9]
	s_cbranch_execnz .LBB309_1038
.LBB309_777:                            ;   in Loop: Header=BB309_555 Depth=1
	s_or_b64 exec, exec, s[8:9]
	v_mov_b32_e32 v10, v29
	s_and_saveexec_b64 s[8:9], s[0:1]
	s_cbranch_execz .LBB309_779
.LBB309_778:                            ;   in Loop: Header=BB309_555 Depth=1
	v_and_b32_e32 v6, 7, v29
	v_ffbh_u32_e32 v6, v6
	v_bfe_u32 v16, v29, 3, 4
	v_min_u32_e32 v6, 32, v6
	v_subrev_u32_e32 v25, 28, v6
	v_sub_u32_e32 v6, 29, v6
	v_cmp_eq_u32_e64 s[0:1], 0, v16
	s_nop 1
	v_cndmask_b32_e64 v6, v16, v6, s[0:1]
	v_cndmask_b32_e64 v16, 0, v25, s[0:1]
	v_lshlrev_b64 v[26:27], v16, v[10:11]
	v_lshlrev_b32_e32 v25, 8, v29
	v_lshl_add_u32 v6, v6, 10, v49
	v_lshlrev_b32_e32 v16, 7, v26
	v_and_or_b32 v6, v25, s17, v6
	v_and_or_b32 v6, v16, s22, v6
	v_cvt_f32_f16_e32 v6, v6
.LBB309_779:                            ;   in Loop: Header=BB309_555 Depth=1
	s_or_b64 exec, exec, s[8:9]
	v_lshrrev_b16_e32 v10, 8, v10
	v_cmp_lt_i16_e64 s[0:1], s3, v10
	s_mov_b64 s[8:9], 0
                                        ; implicit-def: $sgpr26
	s_and_saveexec_b64 s[12:13], s[0:1]
	s_xor_b64 s[12:13], exec, s[12:13]
	s_cbranch_execnz .LBB309_1039
; %bb.780:                              ;   in Loop: Header=BB309_555 Depth=1
	s_or_saveexec_b64 s[12:13], s[12:13]
	v_mov_b32_e32 v25, s26
	s_xor_b64 exec, exec, s[12:13]
	s_cbranch_execnz .LBB309_1042
.LBB309_781:                            ;   in Loop: Header=BB309_555 Depth=1
	s_or_b64 exec, exec, s[12:13]
	s_and_saveexec_b64 s[12:13], s[8:9]
	s_cbranch_execz .LBB309_783
.LBB309_782:                            ;   in Loop: Header=BB309_555 Depth=1
	v_and_b32_e32 v16, 7, v10
	v_ffbh_u32_e32 v26, v16
	v_min_u32_e32 v28, 32, v26
	v_subrev_u32_e32 v26, 28, v28
	v_bfe_u32 v25, v10, 3, 4
	v_lshlrev_b64 v[26:27], v26, v[10:11]
	v_sub_u32_e32 v27, 29, v28
	v_cmp_eq_u32_e64 s[0:1], 0, v25
	v_and_b32_e32 v26, 7, v26
	v_lshlrev_b32_e32 v10, 8, v10
	v_cndmask_b32_e64 v25, v25, v27, s[0:1]
	v_lshl_add_u32 v25, v25, 10, v49
	v_cndmask_b32_e64 v16, v16, v26, s[0:1]
	v_and_or_b32 v10, v10, s17, v25
	v_lshl_or_b32 v10, v16, 7, v10
	v_cvt_f32_f16_e32 v25, v10
.LBB309_783:                            ;   in Loop: Header=BB309_555 Depth=1
	s_or_b64 exec, exec, s[12:13]
	v_lshrrev_b32_e32 v10, 16, v29
	v_cmp_gt_i16_sdwa s[8:9], v10, s3 src0_sel:BYTE_0 src1_sel:DWORD
	s_mov_b64 s[0:1], 0
                                        ; implicit-def: $sgpr20
	s_and_saveexec_b64 s[12:13], s[8:9]
	s_xor_b64 s[8:9], exec, s[12:13]
	s_cbranch_execnz .LBB309_1043
; %bb.784:                              ;   in Loop: Header=BB309_555 Depth=1
	s_or_saveexec_b64 s[8:9], s[8:9]
	v_mov_b32_e32 v26, s20
	s_xor_b64 exec, exec, s[8:9]
	s_cbranch_execnz .LBB309_1046
.LBB309_785:                            ;   in Loop: Header=BB309_555 Depth=1
	s_or_b64 exec, exec, s[8:9]
	s_and_saveexec_b64 s[8:9], s[0:1]
	s_cbranch_execz .LBB309_787
.LBB309_786:                            ;   in Loop: Header=BB309_555 Depth=1
	v_bfe_u32 v16, v29, 16, 3
	v_ffbh_u32_e32 v26, v16
	v_min_u32_e32 v60, 32, v26
	v_subrev_u32_e32 v26, 28, v60
	v_bfe_u32 v28, v29, 19, 4
	v_lshlrev_b64 v[26:27], v26, v[10:11]
	v_sub_u32_e32 v27, 29, v60
	v_cmp_eq_u32_e64 s[0:1], 0, v28
	v_and_b32_e32 v26, 7, v26
	v_lshlrev_b32_e32 v10, 8, v10
	v_cndmask_b32_e64 v27, v28, v27, s[0:1]
	v_cndmask_b32_e64 v16, v16, v26, s[0:1]
	v_lshl_add_u32 v26, v27, 10, v49
	v_and_or_b32 v10, v10, s17, v26
	v_lshl_or_b32 v10, v16, 7, v10
	v_cvt_f32_f16_e32 v26, v10
.LBB309_787:                            ;   in Loop: Header=BB309_555 Depth=1
	s_or_b64 exec, exec, s[8:9]
	v_lshrrev_b32_e32 v10, 24, v29
	v_cmp_lt_i16_e64 s[0:1], s3, v10
	s_mov_b64 s[8:9], 0
                                        ; implicit-def: $sgpr26
	s_and_saveexec_b64 s[12:13], s[0:1]
	s_xor_b64 s[12:13], exec, s[12:13]
	s_cbranch_execnz .LBB309_1047
; %bb.788:                              ;   in Loop: Header=BB309_555 Depth=1
	s_or_saveexec_b64 s[12:13], s[12:13]
	v_mov_b32_e32 v28, s26
	s_xor_b64 exec, exec, s[12:13]
	s_cbranch_execnz .LBB309_1050
.LBB309_789:                            ;   in Loop: Header=BB309_555 Depth=1
	s_or_b64 exec, exec, s[12:13]
	s_and_saveexec_b64 s[12:13], s[8:9]
	s_cbranch_execz .LBB309_791
.LBB309_790:                            ;   in Loop: Header=BB309_555 Depth=1
	v_bfe_u32 v16, v29, 24, 3
	v_ffbh_u32_e32 v28, v16
	v_min_u32_e32 v60, 32, v28
	v_subrev_u32_e32 v28, 28, v60
	v_bfe_u32 v27, v29, 27, 4
	v_lshlrev_b64 v[28:29], v28, v[10:11]
	v_sub_u32_e32 v29, 29, v60
	v_cmp_eq_u32_e64 s[0:1], 0, v27
	v_and_b32_e32 v28, 7, v28
	v_lshlrev_b32_e32 v10, 8, v10
	v_cndmask_b32_e64 v27, v27, v29, s[0:1]
	v_lshl_add_u32 v27, v27, 10, v49
	v_cndmask_b32_e64 v16, v16, v28, s[0:1]
	v_and_or_b32 v10, v10, s17, v27
	v_lshl_or_b32 v10, v16, 7, v10
	v_cvt_f32_f16_e32 v28, v10
.LBB309_791:                            ;   in Loop: Header=BB309_555 Depth=1
	s_or_b64 exec, exec, s[12:13]
	s_waitcnt vmcnt(0) lgkmcnt(0)
	v_pk_mul_f32 v[32:33], v[24:25], v[32:33] op_sel_hi:[0,1]
	v_pk_mul_f32 v[30:31], v[24:25], v[30:31] op_sel_hi:[0,1]
	v_cvt_f16_f32_e32 v10, v33
	v_cvt_f16_f32_e32 v16, v32
	v_cvt_f16_f32_e32 v27, v31
	v_cvt_f16_f32_e32 v29, v30
	v_fma_mixlo_f16 v6, v24, v6, 0
	v_pack_b32_f16 v16, v16, v10
	v_pack_b32_f16 v27, v29, v27
	v_perm_b32 v10, v27, v16, s23
	v_perm_b32 v27, v27, v16, s24
	v_fma_mixlo_f16 v16, v24, v25, 0
	v_lshlrev_b32_e32 v16, 16, v16
	v_or_b32_sdwa v6, v16, v6 dst_sel:DWORD dst_unused:UNUSED_PAD src0_sel:DWORD src1_sel:WORD_0
	v_fma_mixlo_f16 v16, v24, v28, 0
	v_fma_mixlo_f16 v25, v24, v26, 0
	v_lshlrev_b32_e32 v16, 16, v16
	v_or_b32_sdwa v24, v16, v25 dst_sel:DWORD dst_unused:UNUSED_PAD src0_sel:DWORD src1_sel:WORD_0
	s_and_saveexec_b64 s[8:9], vcc
	s_cbranch_execz .LBB309_793
; %bb.792:                              ;   in Loop: Header=BB309_555 Depth=1
	v_lshrrev_b32_e32 v16, 16, v27
	v_cmp_lt_i32_e64 s[0:1], v44, v17
	v_accvgpr_read_b32 v28, a8
	s_nop 0
	v_cndmask_b32_e64 v16, 0, v16, s[0:1]
	v_cmp_lt_i32_e64 s[0:1], v7, v28
	s_nop 1
	v_cndmask_b32_e64 v26, 0, v27, s[0:1]
	v_perm_b32 v27, v16, v26, s25
	v_lshrrev_b32_e32 v16, 16, v10
	v_cmp_lt_i32_e64 s[0:1], v55, v17
	s_nop 1
	v_cndmask_b32_e64 v16, 0, v16, s[0:1]
	v_cmp_lt_i32_e64 s[0:1], v54, v28
	s_nop 1
	v_cndmask_b32_e64 v10, 0, v10, s[0:1]
	v_perm_b32 v10, v16, v10, s25
	v_lshrrev_b32_e32 v16, 16, v6
	v_cmp_lt_i32_e64 s[0:1], v53, v17
	;; [unrolled: 8-line block ×3, first 2 shown]
	s_nop 1
	v_cndmask_b32_e64 v16, 0, v16, s[0:1]
	v_cmp_lt_i32_e64 s[0:1], v50, v28
	s_nop 1
	v_cndmask_b32_e64 v24, 0, v25, s[0:1]
	v_perm_b32 v24, v16, v24, s25
.LBB309_793:                            ;   in Loop: Header=BB309_555 Depth=1
	s_or_b64 exec, exec, s[8:9]
	;;#ASMSTART
	v_pk_mul_f16 v16, v40, v27;

	;;#ASMEND
	;;#ASMSTART
	v_pk_mul_f16 v10, v41, v10;

	;;#ASMEND
	;; [unrolled: 4-line block ×4, first 2 shown]
	s_mov_b64 s[0:1], 0
	;;#ASMSTART
	v_pk_add_f16 v10, v16, v10;

	;;#ASMEND
                                        ; implicit-def: $sgpr20
	s_nop 0
	;;#ASMSTART
	v_pk_add_f16 v6, v10, v6;

	;;#ASMEND
	s_nop 0
	;;#ASMSTART
	v_pk_add_f16 v6, v6, v24;

	;;#ASMEND
	s_nop 0
	v_lshrrev_b32_e32 v10, 16, v6
	v_and_b32_e32 v6, 0xffff, v6
	;;#ASMSTART
	v_cvt_f32_f16 v6, v6;
	;;#ASMEND
	;;#ASMSTART
	v_cvt_f32_f16 v27, v10;
	;;#ASMEND
	flat_load_dwordx2 v[24:25], v[18:19] offset:3584
	v_accvgpr_read_b32 v19, a5
	v_accvgpr_read_b32 v18, a4
	flat_load_dword v18, v[18:19]
	s_waitcnt vmcnt(0) lgkmcnt(0)
	v_cmp_gt_i16_sdwa s[8:9], v24, s3 src0_sel:BYTE_0 src1_sel:DWORD
	s_and_saveexec_b64 s[12:13], s[8:9]
	s_xor_b64 s[8:9], exec, s[12:13]
	s_cbranch_execnz .LBB309_1051
; %bb.794:                              ;   in Loop: Header=BB309_555 Depth=1
	s_or_saveexec_b64 s[8:9], s[8:9]
	v_mov_b32_e32 v28, s20
	s_xor_b64 exec, exec, s[8:9]
	s_cbranch_execnz .LBB309_1054
.LBB309_795:                            ;   in Loop: Header=BB309_555 Depth=1
	s_or_b64 exec, exec, s[8:9]
	s_and_saveexec_b64 s[8:9], s[0:1]
	s_cbranch_execz .LBB309_797
.LBB309_796:                            ;   in Loop: Header=BB309_555 Depth=1
	v_and_b32_e32 v10, 7, v24
	v_ffbh_u32_e32 v10, v10
	v_bfe_u32 v16, v24, 3, 4
	v_min_u32_e32 v10, 32, v10
	v_subrev_u32_e32 v19, 28, v10
	v_sub_u32_e32 v10, 29, v10
	v_cmp_eq_u32_e64 s[0:1], 0, v16
	s_nop 1
	v_cndmask_b32_e64 v10, v16, v10, s[0:1]
	v_cndmask_b32_e64 v16, 0, v19, s[0:1]
	v_lshlrev_b64 v[28:29], v16, v[24:25]
	v_lshlrev_b32_e32 v19, 8, v24
	v_lshl_add_u32 v10, v10, 10, v49
	v_lshlrev_b32_e32 v16, 7, v28
	v_and_or_b32 v10, v19, s17, v10
	v_and_or_b32 v10, v16, s22, v10
	v_cvt_f32_f16_e32 v28, v10
.LBB309_797:                            ;   in Loop: Header=BB309_555 Depth=1
	s_or_b64 exec, exec, s[8:9]
	v_lshrrev_b16_e32 v10, 8, v24
	v_cmp_lt_i16_e64 s[0:1], s3, v10
	s_mov_b64 s[8:9], 0
                                        ; implicit-def: $sgpr26
	s_and_saveexec_b64 s[12:13], s[0:1]
	s_xor_b64 s[12:13], exec, s[12:13]
	s_cbranch_execnz .LBB309_1055
; %bb.798:                              ;   in Loop: Header=BB309_555 Depth=1
	s_or_saveexec_b64 s[12:13], s[12:13]
	v_mov_b32_e32 v30, s26
	s_xor_b64 exec, exec, s[12:13]
	s_cbranch_execnz .LBB309_1058
.LBB309_799:                            ;   in Loop: Header=BB309_555 Depth=1
	s_or_b64 exec, exec, s[12:13]
	s_and_saveexec_b64 s[12:13], s[8:9]
	s_cbranch_execz .LBB309_801
.LBB309_800:                            ;   in Loop: Header=BB309_555 Depth=1
	v_and_b32_e32 v16, 7, v10
	v_ffbh_u32_e32 v26, v16
	v_bfe_u32 v19, v10, 3, 4
	v_min_u32_e32 v26, 32, v26
	v_subrev_u32_e32 v29, 28, v26
	v_sub_u32_e32 v26, 29, v26
	v_cmp_eq_u32_e64 s[0:1], 0, v19
	v_lshlrev_b64 v[30:31], v29, v[10:11]
	v_and_b32_e32 v29, 7, v30
	v_cndmask_b32_e64 v19, v19, v26, s[0:1]
	v_lshlrev_b32_e32 v10, 8, v10
	v_lshl_add_u32 v19, v19, 10, v49
	v_cndmask_b32_e64 v16, v16, v29, s[0:1]
	v_and_or_b32 v10, v10, s17, v19
	v_lshl_or_b32 v10, v16, 7, v10
	v_cvt_f32_f16_e32 v30, v10
.LBB309_801:                            ;   in Loop: Header=BB309_555 Depth=1
	s_or_b64 exec, exec, s[12:13]
	v_lshrrev_b32_e32 v10, 16, v24
	v_cmp_gt_i16_sdwa s[8:9], v10, s3 src0_sel:BYTE_0 src1_sel:DWORD
	s_mov_b64 s[0:1], 0
                                        ; implicit-def: $sgpr20
	s_and_saveexec_b64 s[12:13], s[8:9]
	s_xor_b64 s[8:9], exec, s[12:13]
	s_cbranch_execnz .LBB309_1059
; %bb.802:                              ;   in Loop: Header=BB309_555 Depth=1
	s_or_saveexec_b64 s[8:9], s[8:9]
	v_mov_b32_e32 v29, s20
	s_xor_b64 exec, exec, s[8:9]
	s_cbranch_execnz .LBB309_1062
.LBB309_803:                            ;   in Loop: Header=BB309_555 Depth=1
	s_or_b64 exec, exec, s[8:9]
	s_and_saveexec_b64 s[8:9], s[0:1]
	s_cbranch_execz .LBB309_805
.LBB309_804:                            ;   in Loop: Header=BB309_555 Depth=1
	v_bfe_u32 v16, v24, 16, 3
	v_ffbh_u32_e32 v26, v16
	v_bfe_u32 v19, v24, 19, 4
	v_min_u32_e32 v26, 32, v26
	v_subrev_u32_e32 v29, 28, v26
	v_sub_u32_e32 v26, 29, v26
	v_cmp_eq_u32_e64 s[0:1], 0, v19
	v_lshlrev_b64 v[32:33], v29, v[10:11]
	v_and_b32_e32 v29, 7, v32
	v_cndmask_b32_e64 v19, v19, v26, s[0:1]
	v_lshlrev_b32_e32 v10, 8, v10
	v_lshl_add_u32 v19, v19, 10, v49
	v_cndmask_b32_e64 v16, v16, v29, s[0:1]
	v_and_or_b32 v10, v10, s17, v19
	v_lshl_or_b32 v10, v16, 7, v10
	v_cvt_f32_f16_e32 v29, v10
.LBB309_805:                            ;   in Loop: Header=BB309_555 Depth=1
	s_or_b64 exec, exec, s[8:9]
	v_lshrrev_b32_e32 v10, 24, v24
	v_cmp_lt_i16_e64 s[0:1], s3, v10
	s_mov_b64 s[8:9], 0
                                        ; implicit-def: $sgpr26
	s_and_saveexec_b64 s[12:13], s[0:1]
	s_xor_b64 s[12:13], exec, s[12:13]
	s_cbranch_execnz .LBB309_1063
; %bb.806:                              ;   in Loop: Header=BB309_555 Depth=1
	s_or_saveexec_b64 s[12:13], s[12:13]
	v_mov_b32_e32 v31, s26
	s_xor_b64 exec, exec, s[12:13]
	s_cbranch_execnz .LBB309_1066
.LBB309_807:                            ;   in Loop: Header=BB309_555 Depth=1
	s_or_b64 exec, exec, s[12:13]
	s_and_saveexec_b64 s[12:13], s[8:9]
	s_cbranch_execz .LBB309_809
.LBB309_808:                            ;   in Loop: Header=BB309_555 Depth=1
	v_bfe_u32 v16, v24, 24, 3
	v_bfe_u32 v19, v24, 27, 4
	v_ffbh_u32_e32 v24, v16
	v_min_u32_e32 v24, 32, v24
	v_subrev_u32_e32 v26, 28, v24
	v_sub_u32_e32 v24, 29, v24
	v_cmp_eq_u32_e64 s[0:1], 0, v19
	v_lshlrev_b64 v[32:33], v26, v[10:11]
	v_and_b32_e32 v26, 7, v32
	v_cndmask_b32_e64 v19, v19, v24, s[0:1]
	v_lshlrev_b32_e32 v10, 8, v10
	v_lshl_add_u32 v19, v19, 10, v49
	v_cndmask_b32_e64 v16, v16, v26, s[0:1]
	v_and_or_b32 v10, v10, s17, v19
	v_lshl_or_b32 v10, v16, 7, v10
	v_cvt_f32_f16_e32 v31, v10
.LBB309_809:                            ;   in Loop: Header=BB309_555 Depth=1
	s_or_b64 exec, exec, s[12:13]
	v_cmp_gt_i16_sdwa s[8:9], v25, s3 src0_sel:BYTE_0 src1_sel:DWORD
	s_mov_b64 s[0:1], 0
                                        ; implicit-def: $sgpr20
	s_and_saveexec_b64 s[12:13], s[8:9]
	s_xor_b64 s[8:9], exec, s[12:13]
	s_cbranch_execnz .LBB309_1067
; %bb.810:                              ;   in Loop: Header=BB309_555 Depth=1
	s_or_saveexec_b64 s[8:9], s[8:9]
	v_mov_b32_e32 v19, s20
	s_xor_b64 exec, exec, s[8:9]
	s_cbranch_execnz .LBB309_1070
.LBB309_811:                            ;   in Loop: Header=BB309_555 Depth=1
	s_or_b64 exec, exec, s[8:9]
	v_mov_b32_e32 v10, v25
	s_and_saveexec_b64 s[8:9], s[0:1]
	s_cbranch_execz .LBB309_813
.LBB309_812:                            ;   in Loop: Header=BB309_555 Depth=1
	v_and_b32_e32 v16, 7, v25
	v_ffbh_u32_e32 v16, v16
	v_bfe_u32 v19, v25, 3, 4
	v_min_u32_e32 v16, 32, v16
	v_subrev_u32_e32 v24, 28, v16
	v_sub_u32_e32 v16, 29, v16
	v_cmp_eq_u32_e64 s[0:1], 0, v19
	s_nop 1
	v_cndmask_b32_e64 v16, v19, v16, s[0:1]
	v_cndmask_b32_e64 v19, 0, v24, s[0:1]
	v_lshlrev_b64 v[32:33], v19, v[10:11]
	v_lshlrev_b32_e32 v24, 8, v25
	v_lshl_add_u32 v16, v16, 10, v49
	v_lshlrev_b32_e32 v19, 7, v32
	v_and_or_b32 v16, v24, s17, v16
	v_and_or_b32 v16, v19, s22, v16
	v_cvt_f32_f16_e32 v19, v16
.LBB309_813:                            ;   in Loop: Header=BB309_555 Depth=1
	s_or_b64 exec, exec, s[8:9]
	v_lshrrev_b16_e32 v10, 8, v10
	v_cmp_lt_i16_e64 s[0:1], s3, v10
	s_mov_b64 s[8:9], 0
                                        ; implicit-def: $sgpr26
	s_and_saveexec_b64 s[12:13], s[0:1]
	s_xor_b64 s[12:13], exec, s[12:13]
	s_cbranch_execnz .LBB309_1071
; %bb.814:                              ;   in Loop: Header=BB309_555 Depth=1
	s_or_saveexec_b64 s[12:13], s[12:13]
	v_mov_b32_e32 v24, s26
	s_xor_b64 exec, exec, s[12:13]
	s_cbranch_execnz .LBB309_1074
.LBB309_815:                            ;   in Loop: Header=BB309_555 Depth=1
	s_or_b64 exec, exec, s[12:13]
	s_and_saveexec_b64 s[12:13], s[8:9]
	s_cbranch_execz .LBB309_817
.LBB309_816:                            ;   in Loop: Header=BB309_555 Depth=1
	v_and_b32_e32 v16, 7, v10
	v_ffbh_u32_e32 v26, v16
	v_bfe_u32 v24, v10, 3, 4
	v_min_u32_e32 v26, 32, v26
	v_subrev_u32_e32 v32, 28, v26
	v_sub_u32_e32 v26, 29, v26
	v_cmp_eq_u32_e64 s[0:1], 0, v24
	v_lshlrev_b64 v[32:33], v32, v[10:11]
	v_and_b32_e32 v32, 7, v32
	v_cndmask_b32_e64 v24, v24, v26, s[0:1]
	v_lshlrev_b32_e32 v10, 8, v10
	v_lshl_add_u32 v24, v24, 10, v49
	v_cndmask_b32_e64 v16, v16, v32, s[0:1]
	v_and_or_b32 v10, v10, s17, v24
	v_lshl_or_b32 v10, v16, 7, v10
	v_cvt_f32_f16_e32 v24, v10
.LBB309_817:                            ;   in Loop: Header=BB309_555 Depth=1
	s_or_b64 exec, exec, s[12:13]
	v_lshrrev_b32_e32 v10, 16, v25
	v_cmp_gt_i16_sdwa s[8:9], v10, s3 src0_sel:BYTE_0 src1_sel:DWORD
	s_mov_b64 s[0:1], 0
                                        ; implicit-def: $sgpr20
	s_and_saveexec_b64 s[12:13], s[8:9]
	s_xor_b64 s[8:9], exec, s[12:13]
	s_cbranch_execnz .LBB309_1075
; %bb.818:                              ;   in Loop: Header=BB309_555 Depth=1
	s_or_saveexec_b64 s[8:9], s[8:9]
	v_mov_b32_e32 v26, s20
	s_xor_b64 exec, exec, s[8:9]
	s_cbranch_execnz .LBB309_1078
.LBB309_819:                            ;   in Loop: Header=BB309_555 Depth=1
	s_or_b64 exec, exec, s[8:9]
	s_and_saveexec_b64 s[8:9], s[0:1]
	s_cbranch_execz .LBB309_821
.LBB309_820:                            ;   in Loop: Header=BB309_555 Depth=1
	v_bfe_u32 v16, v25, 16, 3
	v_ffbh_u32_e32 v32, v16
	v_min_u32_e32 v60, 32, v32
	v_subrev_u32_e32 v32, 28, v60
	v_bfe_u32 v26, v25, 19, 4
	v_lshlrev_b64 v[32:33], v32, v[10:11]
	v_sub_u32_e32 v33, 29, v60
	v_cmp_eq_u32_e64 s[0:1], 0, v26
	v_and_b32_e32 v32, 7, v32
	v_lshlrev_b32_e32 v10, 8, v10
	v_cndmask_b32_e64 v26, v26, v33, s[0:1]
	v_lshl_add_u32 v26, v26, 10, v49
	v_cndmask_b32_e64 v16, v16, v32, s[0:1]
	v_and_or_b32 v10, v10, s17, v26
	v_lshl_or_b32 v10, v16, 7, v10
	v_cvt_f32_f16_e32 v26, v10
.LBB309_821:                            ;   in Loop: Header=BB309_555 Depth=1
	s_or_b64 exec, exec, s[8:9]
	v_lshrrev_b32_e32 v10, 24, v25
	v_cmp_lt_i16_e64 s[0:1], s3, v10
	s_mov_b64 s[8:9], 0
                                        ; implicit-def: $sgpr26
	s_and_saveexec_b64 s[12:13], s[0:1]
	s_xor_b64 s[12:13], exec, s[12:13]
	s_cbranch_execnz .LBB309_1079
; %bb.822:                              ;   in Loop: Header=BB309_555 Depth=1
	s_or_saveexec_b64 s[12:13], s[12:13]
	v_mov_b32_e32 v32, s26
	s_xor_b64 exec, exec, s[12:13]
	s_cbranch_execnz .LBB309_1082
.LBB309_823:                            ;   in Loop: Header=BB309_555 Depth=1
	s_or_b64 exec, exec, s[12:13]
	s_and_saveexec_b64 s[12:13], s[8:9]
	s_cbranch_execz .LBB309_825
.LBB309_824:                            ;   in Loop: Header=BB309_555 Depth=1
	v_bfe_u32 v16, v25, 24, 3
	v_ffbh_u32_e32 v32, v16
	v_min_u32_e32 v60, 32, v32
	v_subrev_u32_e32 v32, 28, v60
	v_bfe_u32 v25, v25, 27, 4
	v_lshlrev_b64 v[32:33], v32, v[10:11]
	v_sub_u32_e32 v33, 29, v60
	v_cmp_eq_u32_e64 s[0:1], 0, v25
	v_and_b32_e32 v32, 7, v32
	v_lshlrev_b32_e32 v10, 8, v10
	v_cndmask_b32_e64 v25, v25, v33, s[0:1]
	v_lshl_add_u32 v25, v25, 10, v49
	v_cndmask_b32_e64 v16, v16, v32, s[0:1]
	v_and_or_b32 v10, v10, s17, v25
	v_lshl_or_b32 v10, v16, 7, v10
	v_cvt_f32_f16_e32 v32, v10
.LBB309_825:                            ;   in Loop: Header=BB309_555 Depth=1
	s_or_b64 exec, exec, s[12:13]
	v_pk_mul_f32 v[30:31], v[18:19], v[30:31] op_sel_hi:[0,1]
	v_pk_mul_f32 v[28:29], v[18:19], v[28:29] op_sel_hi:[0,1]
	v_cvt_f16_f32_e32 v10, v31
	v_cvt_f16_f32_e32 v16, v30
	;; [unrolled: 1-line block ×4, first 2 shown]
	v_fma_mixlo_f16 v19, v18, v19, 0
	v_pack_b32_f16 v16, v16, v10
	v_pack_b32_f16 v25, v28, v25
	v_perm_b32 v10, v25, v16, s23
	v_perm_b32 v25, v25, v16, s24
	v_fma_mixlo_f16 v16, v18, v24, 0
	v_lshlrev_b32_e32 v16, 16, v16
	v_or_b32_sdwa v19, v16, v19 dst_sel:DWORD dst_unused:UNUSED_PAD src0_sel:DWORD src1_sel:WORD_0
	v_fma_mixlo_f16 v16, v18, v32, 0
	v_fma_mixlo_f16 v24, v18, v26, 0
	v_lshlrev_b32_e32 v16, 16, v16
	v_or_b32_sdwa v18, v16, v24 dst_sel:DWORD dst_unused:UNUSED_PAD src0_sel:DWORD src1_sel:WORD_0
	s_and_saveexec_b64 s[0:1], vcc
	s_cbranch_execz .LBB309_554
; %bb.826:                              ;   in Loop: Header=BB309_555 Depth=1
	v_lshrrev_b32_e32 v16, 16, v25
	v_cmp_lt_i32_e32 vcc, v44, v17
	v_accvgpr_read_b32 v26, a8
	s_nop 0
	v_cndmask_b32_e32 v16, 0, v16, vcc
	v_cmp_lt_i32_e32 vcc, v7, v26
	s_nop 1
	v_cndmask_b32_e32 v25, 0, v25, vcc
	v_perm_b32 v25, v16, v25, s25
	v_lshrrev_b32_e32 v16, 16, v10
	v_cmp_lt_i32_e32 vcc, v55, v17
	s_nop 1
	v_cndmask_b32_e32 v16, 0, v16, vcc
	v_cmp_lt_i32_e32 vcc, v54, v26
	s_nop 1
	v_cndmask_b32_e32 v10, 0, v10, vcc
	v_perm_b32 v10, v16, v10, s25
	v_lshrrev_b32_e32 v16, 16, v19
	v_cmp_lt_i32_e32 vcc, v53, v17
	;; [unrolled: 8-line block ×3, first 2 shown]
	s_nop 1
	v_cndmask_b32_e32 v16, 0, v16, vcc
	v_cmp_lt_i32_e32 vcc, v50, v26
	s_nop 1
	v_cndmask_b32_e32 v18, 0, v24, vcc
	v_perm_b32 v18, v16, v18, s25
	s_branch .LBB309_554
.LBB309_827:                            ;   in Loop: Header=BB309_555 Depth=1
	v_cmp_eq_u16_sdwa s[26:27], v28, s15 src0_sel:BYTE_0 src1_sel:DWORD
	s_mov_b64 s[0:1], -1
                                        ; implicit-def: $sgpr20
	s_and_saveexec_b64 s[12:13], s[26:27]
; %bb.828:                              ;   in Loop: Header=BB309_555 Depth=1
	s_mov_b32 s20, 0x7fc02000
	s_xor_b64 s[0:1], exec, -1
; %bb.829:                              ;   in Loop: Header=BB309_555 Depth=1
	s_or_b64 exec, exec, s[12:13]
	s_and_b64 s[0:1], s[0:1], exec
	s_or_saveexec_b64 s[8:9], s[8:9]
	v_mov_b32_e32 v30, s20
	s_xor_b64 exec, exec, s[8:9]
	s_cbranch_execz .LBB309_557
.LBB309_830:                            ;   in Loop: Header=BB309_555 Depth=1
	v_cmp_ne_u16_sdwa s[12:13], v28, v11 src0_sel:BYTE_0 src1_sel:DWORD
	s_andn2_b64 s[0:1], s[0:1], exec
	s_and_b64 s[12:13], s[12:13], exec
	v_mov_b32_e32 v30, 0
	s_or_b64 s[0:1], s[0:1], s[12:13]
	s_or_b64 exec, exec, s[8:9]
	s_and_saveexec_b64 s[8:9], s[0:1]
	s_cbranch_execnz .LBB309_558
	s_branch .LBB309_559
.LBB309_831:                            ;   in Loop: Header=BB309_555 Depth=1
	v_cmp_eq_u16_e32 vcc, s15, v10
	s_mov_b64 s[0:1], -1
                                        ; implicit-def: $sgpr20
	s_and_saveexec_b64 s[12:13], vcc
; %bb.832:                              ;   in Loop: Header=BB309_555 Depth=1
	s_mov_b32 s20, 0x7fc02000
	s_xor_b64 s[0:1], exec, -1
; %bb.833:                              ;   in Loop: Header=BB309_555 Depth=1
	s_or_b64 exec, exec, s[12:13]
	s_and_b64 s[0:1], s[0:1], exec
	s_or_saveexec_b64 s[8:9], s[8:9]
	v_mov_b32_e32 v32, s20
	s_xor_b64 exec, exec, s[8:9]
	s_cbranch_execz .LBB309_561
.LBB309_834:                            ;   in Loop: Header=BB309_555 Depth=1
	v_cmp_ne_u16_e32 vcc, 0, v10
	s_andn2_b64 s[0:1], s[0:1], exec
	s_and_b64 s[12:13], vcc, exec
	v_mov_b32_e32 v32, 0
	s_or_b64 s[0:1], s[0:1], s[12:13]
	s_or_b64 exec, exec, s[8:9]
	s_and_saveexec_b64 s[8:9], s[0:1]
	s_cbranch_execnz .LBB309_562
	s_branch .LBB309_563
.LBB309_835:                            ;   in Loop: Header=BB309_555 Depth=1
	v_cmp_eq_u16_sdwa s[26:27], v10, s15 src0_sel:BYTE_0 src1_sel:DWORD
	s_mov_b64 s[0:1], -1
                                        ; implicit-def: $sgpr20
	s_and_saveexec_b64 s[12:13], s[26:27]
; %bb.836:                              ;   in Loop: Header=BB309_555 Depth=1
	s_mov_b32 s20, 0x7fc02000
	s_xor_b64 s[0:1], exec, -1
; %bb.837:                              ;   in Loop: Header=BB309_555 Depth=1
	s_or_b64 exec, exec, s[12:13]
	s_and_b64 s[0:1], s[0:1], exec
	s_or_saveexec_b64 s[8:9], s[8:9]
	v_mov_b32_e32 v31, s20
	s_xor_b64 exec, exec, s[8:9]
	s_cbranch_execz .LBB309_565
.LBB309_838:                            ;   in Loop: Header=BB309_555 Depth=1
	v_cmp_ne_u16_sdwa s[12:13], v10, v11 src0_sel:BYTE_0 src1_sel:DWORD
	s_andn2_b64 s[0:1], s[0:1], exec
	s_and_b64 s[12:13], s[12:13], exec
	v_mov_b32_e32 v31, 0
	s_or_b64 s[0:1], s[0:1], s[12:13]
	s_or_b64 exec, exec, s[8:9]
	s_and_saveexec_b64 s[8:9], s[0:1]
	s_cbranch_execnz .LBB309_566
	s_branch .LBB309_567
.LBB309_839:                            ;   in Loop: Header=BB309_555 Depth=1
	v_cmp_eq_u16_e32 vcc, s15, v10
	s_mov_b64 s[0:1], -1
                                        ; implicit-def: $sgpr20
	s_and_saveexec_b64 s[12:13], vcc
; %bb.840:                              ;   in Loop: Header=BB309_555 Depth=1
	s_mov_b32 s20, 0x7fc02000
	s_xor_b64 s[0:1], exec, -1
; %bb.841:                              ;   in Loop: Header=BB309_555 Depth=1
	s_or_b64 exec, exec, s[12:13]
	s_and_b64 s[0:1], s[0:1], exec
	s_or_saveexec_b64 s[8:9], s[8:9]
	v_mov_b32_e32 v33, s20
	s_xor_b64 exec, exec, s[8:9]
	s_cbranch_execz .LBB309_569
.LBB309_842:                            ;   in Loop: Header=BB309_555 Depth=1
	v_cmp_ne_u16_e32 vcc, 0, v10
	s_andn2_b64 s[0:1], s[0:1], exec
	s_and_b64 s[12:13], vcc, exec
	v_mov_b32_e32 v33, 0
	s_or_b64 s[0:1], s[0:1], s[12:13]
	s_or_b64 exec, exec, s[8:9]
	s_and_saveexec_b64 s[8:9], s[0:1]
	s_cbranch_execnz .LBB309_570
	s_branch .LBB309_571
.LBB309_843:                            ;   in Loop: Header=BB309_555 Depth=1
	v_cmp_eq_u16_sdwa s[26:27], v29, s15 src0_sel:BYTE_0 src1_sel:DWORD
	s_mov_b64 s[0:1], -1
                                        ; implicit-def: $sgpr20
	s_and_saveexec_b64 s[12:13], s[26:27]
; %bb.844:                              ;   in Loop: Header=BB309_555 Depth=1
	s_mov_b32 s20, 0x7fc02000
	s_xor_b64 s[0:1], exec, -1
; %bb.845:                              ;   in Loop: Header=BB309_555 Depth=1
	s_or_b64 exec, exec, s[12:13]
	s_and_b64 s[0:1], s[0:1], exec
	s_or_saveexec_b64 s[8:9], s[8:9]
	v_mov_b32_e32 v26, s20
	s_xor_b64 exec, exec, s[8:9]
	s_cbranch_execz .LBB309_573
.LBB309_846:                            ;   in Loop: Header=BB309_555 Depth=1
	v_cmp_ne_u16_sdwa s[12:13], v29, v11 src0_sel:BYTE_0 src1_sel:DWORD
	s_andn2_b64 s[0:1], s[0:1], exec
	s_and_b64 s[12:13], s[12:13], exec
	v_mov_b32_e32 v26, 0
	s_or_b64 s[0:1], s[0:1], s[12:13]
	s_or_b64 exec, exec, s[8:9]
	v_mov_b32_e32 v10, v29
	s_and_saveexec_b64 s[8:9], s[0:1]
	s_cbranch_execnz .LBB309_574
	s_branch .LBB309_575
.LBB309_847:                            ;   in Loop: Header=BB309_555 Depth=1
	v_cmp_eq_u16_e32 vcc, s15, v10
	s_mov_b64 s[0:1], -1
                                        ; implicit-def: $sgpr20
	s_and_saveexec_b64 s[12:13], vcc
; %bb.848:                              ;   in Loop: Header=BB309_555 Depth=1
	s_mov_b32 s20, 0x7fc02000
	s_xor_b64 s[0:1], exec, -1
; %bb.849:                              ;   in Loop: Header=BB309_555 Depth=1
	s_or_b64 exec, exec, s[12:13]
	s_and_b64 s[0:1], s[0:1], exec
	s_or_saveexec_b64 s[8:9], s[8:9]
	v_mov_b32_e32 v28, s20
	s_xor_b64 exec, exec, s[8:9]
	s_cbranch_execz .LBB309_577
.LBB309_850:                            ;   in Loop: Header=BB309_555 Depth=1
	v_cmp_ne_u16_e32 vcc, 0, v10
	s_andn2_b64 s[0:1], s[0:1], exec
	s_and_b64 s[12:13], vcc, exec
	v_mov_b32_e32 v28, 0
	s_or_b64 s[0:1], s[0:1], s[12:13]
	s_or_b64 exec, exec, s[8:9]
	s_and_saveexec_b64 s[8:9], s[0:1]
	s_cbranch_execnz .LBB309_578
	s_branch .LBB309_579
.LBB309_851:                            ;   in Loop: Header=BB309_555 Depth=1
	v_cmp_eq_u16_sdwa s[26:27], v10, s15 src0_sel:BYTE_0 src1_sel:DWORD
	s_mov_b64 s[0:1], -1
                                        ; implicit-def: $sgpr20
	s_and_saveexec_b64 s[12:13], s[26:27]
; %bb.852:                              ;   in Loop: Header=BB309_555 Depth=1
	s_mov_b32 s20, 0x7fc02000
	s_xor_b64 s[0:1], exec, -1
; %bb.853:                              ;   in Loop: Header=BB309_555 Depth=1
	s_or_b64 exec, exec, s[12:13]
	s_and_b64 s[0:1], s[0:1], exec
	s_or_saveexec_b64 s[8:9], s[8:9]
	v_mov_b32_e32 v50, s20
	s_xor_b64 exec, exec, s[8:9]
	s_cbranch_execz .LBB309_581
.LBB309_854:                            ;   in Loop: Header=BB309_555 Depth=1
	v_cmp_ne_u16_sdwa s[12:13], v10, v11 src0_sel:BYTE_0 src1_sel:DWORD
	s_andn2_b64 s[0:1], s[0:1], exec
	s_and_b64 s[12:13], s[12:13], exec
	v_mov_b32_e32 v50, 0
	s_or_b64 s[0:1], s[0:1], s[12:13]
	s_or_b64 exec, exec, s[8:9]
	s_and_saveexec_b64 s[8:9], s[0:1]
	s_cbranch_execnz .LBB309_582
	s_branch .LBB309_583
.LBB309_855:                            ;   in Loop: Header=BB309_555 Depth=1
	v_cmp_eq_u16_e32 vcc, s15, v10
	s_mov_b64 s[0:1], -1
                                        ; implicit-def: $sgpr20
	s_and_saveexec_b64 s[12:13], vcc
; %bb.856:                              ;   in Loop: Header=BB309_555 Depth=1
	s_mov_b32 s20, 0x7fc02000
	s_xor_b64 s[0:1], exec, -1
; %bb.857:                              ;   in Loop: Header=BB309_555 Depth=1
	s_or_b64 exec, exec, s[12:13]
	s_and_b64 s[0:1], s[0:1], exec
	s_or_saveexec_b64 s[8:9], s[8:9]
	v_mov_b32_e32 v51, s20
	s_xor_b64 exec, exec, s[8:9]
	s_cbranch_execz .LBB309_585
.LBB309_858:                            ;   in Loop: Header=BB309_555 Depth=1
	v_cmp_ne_u16_e32 vcc, 0, v10
	s_andn2_b64 s[0:1], s[0:1], exec
	s_and_b64 s[12:13], vcc, exec
	v_mov_b32_e32 v51, 0
	s_or_b64 s[0:1], s[0:1], s[12:13]
	s_or_b64 exec, exec, s[8:9]
	s_and_saveexec_b64 s[8:9], s[0:1]
	s_cbranch_execnz .LBB309_586
	s_branch .LBB309_587
.LBB309_859:                            ;   in Loop: Header=BB309_555 Depth=1
	v_cmp_eq_u16_sdwa s[26:27], v28, s15 src0_sel:BYTE_0 src1_sel:DWORD
	s_mov_b64 s[0:1], -1
                                        ; implicit-def: $sgpr20
	s_and_saveexec_b64 s[12:13], s[26:27]
; %bb.860:                              ;   in Loop: Header=BB309_555 Depth=1
	s_mov_b32 s20, 0x7fc02000
	s_xor_b64 s[0:1], exec, -1
; %bb.861:                              ;   in Loop: Header=BB309_555 Depth=1
	s_or_b64 exec, exec, s[12:13]
	s_and_b64 s[0:1], s[0:1], exec
	s_or_saveexec_b64 s[8:9], s[8:9]
	v_mov_b32_e32 v30, s20
	s_xor_b64 exec, exec, s[8:9]
	s_cbranch_execz .LBB309_591
.LBB309_862:                            ;   in Loop: Header=BB309_555 Depth=1
	v_cmp_ne_u16_sdwa s[12:13], v28, v11 src0_sel:BYTE_0 src1_sel:DWORD
	s_andn2_b64 s[0:1], s[0:1], exec
	s_and_b64 s[12:13], s[12:13], exec
	v_mov_b32_e32 v30, 0
	s_or_b64 s[0:1], s[0:1], s[12:13]
	s_or_b64 exec, exec, s[8:9]
	s_and_saveexec_b64 s[8:9], s[0:1]
	s_cbranch_execnz .LBB309_592
	s_branch .LBB309_593
.LBB309_863:                            ;   in Loop: Header=BB309_555 Depth=1
	v_cmp_eq_u16_e64 s[0:1], s15, v10
	s_mov_b64 s[8:9], -1
                                        ; implicit-def: $sgpr26
	s_and_saveexec_b64 s[20:21], s[0:1]
; %bb.864:                              ;   in Loop: Header=BB309_555 Depth=1
	s_mov_b32 s26, 0x7fc02000
	s_xor_b64 s[8:9], exec, -1
; %bb.865:                              ;   in Loop: Header=BB309_555 Depth=1
	s_or_b64 exec, exec, s[20:21]
	s_and_b64 s[8:9], s[8:9], exec
	s_or_saveexec_b64 s[12:13], s[12:13]
	v_mov_b32_e32 v32, s26
	s_xor_b64 exec, exec, s[12:13]
	s_cbranch_execz .LBB309_595
.LBB309_866:                            ;   in Loop: Header=BB309_555 Depth=1
	v_cmp_ne_u16_e64 s[0:1], 0, v10
	s_andn2_b64 s[8:9], s[8:9], exec
	s_and_b64 s[0:1], s[0:1], exec
	v_mov_b32_e32 v32, 0
	s_or_b64 s[8:9], s[8:9], s[0:1]
	s_or_b64 exec, exec, s[12:13]
	s_and_saveexec_b64 s[12:13], s[8:9]
	s_cbranch_execnz .LBB309_596
	s_branch .LBB309_597
.LBB309_867:                            ;   in Loop: Header=BB309_555 Depth=1
	v_cmp_eq_u16_sdwa s[26:27], v10, s15 src0_sel:BYTE_0 src1_sel:DWORD
	s_mov_b64 s[0:1], -1
                                        ; implicit-def: $sgpr20
	s_and_saveexec_b64 s[12:13], s[26:27]
; %bb.868:                              ;   in Loop: Header=BB309_555 Depth=1
	s_mov_b32 s20, 0x7fc02000
	s_xor_b64 s[0:1], exec, -1
; %bb.869:                              ;   in Loop: Header=BB309_555 Depth=1
	s_or_b64 exec, exec, s[12:13]
	s_and_b64 s[0:1], s[0:1], exec
	s_or_saveexec_b64 s[8:9], s[8:9]
	v_mov_b32_e32 v31, s20
	s_xor_b64 exec, exec, s[8:9]
	s_cbranch_execz .LBB309_599
.LBB309_870:                            ;   in Loop: Header=BB309_555 Depth=1
	v_cmp_ne_u16_sdwa s[12:13], v10, v11 src0_sel:BYTE_0 src1_sel:DWORD
	s_andn2_b64 s[0:1], s[0:1], exec
	s_and_b64 s[12:13], s[12:13], exec
	v_mov_b32_e32 v31, 0
	s_or_b64 s[0:1], s[0:1], s[12:13]
	s_or_b64 exec, exec, s[8:9]
	s_and_saveexec_b64 s[8:9], s[0:1]
	s_cbranch_execnz .LBB309_600
	s_branch .LBB309_601
.LBB309_871:                            ;   in Loop: Header=BB309_555 Depth=1
	v_cmp_eq_u16_e64 s[0:1], s15, v10
	s_mov_b64 s[8:9], -1
                                        ; implicit-def: $sgpr26
	s_and_saveexec_b64 s[20:21], s[0:1]
; %bb.872:                              ;   in Loop: Header=BB309_555 Depth=1
	s_mov_b32 s26, 0x7fc02000
	s_xor_b64 s[8:9], exec, -1
; %bb.873:                              ;   in Loop: Header=BB309_555 Depth=1
	s_or_b64 exec, exec, s[20:21]
	s_and_b64 s[8:9], s[8:9], exec
	s_or_saveexec_b64 s[12:13], s[12:13]
	v_mov_b32_e32 v33, s26
	s_xor_b64 exec, exec, s[12:13]
	s_cbranch_execz .LBB309_603
.LBB309_874:                            ;   in Loop: Header=BB309_555 Depth=1
	v_cmp_ne_u16_e64 s[0:1], 0, v10
	s_andn2_b64 s[8:9], s[8:9], exec
	s_and_b64 s[0:1], s[0:1], exec
	v_mov_b32_e32 v33, 0
	s_or_b64 s[8:9], s[8:9], s[0:1]
	s_or_b64 exec, exec, s[12:13]
	s_and_saveexec_b64 s[12:13], s[8:9]
	s_cbranch_execnz .LBB309_604
	s_branch .LBB309_605
.LBB309_875:                            ;   in Loop: Header=BB309_555 Depth=1
	v_cmp_eq_u16_sdwa s[26:27], v29, s15 src0_sel:BYTE_0 src1_sel:DWORD
	s_mov_b64 s[0:1], -1
                                        ; implicit-def: $sgpr20
	s_and_saveexec_b64 s[12:13], s[26:27]
; %bb.876:                              ;   in Loop: Header=BB309_555 Depth=1
	s_mov_b32 s20, 0x7fc02000
	s_xor_b64 s[0:1], exec, -1
; %bb.877:                              ;   in Loop: Header=BB309_555 Depth=1
	s_or_b64 exec, exec, s[12:13]
	s_and_b64 s[0:1], s[0:1], exec
	s_or_saveexec_b64 s[8:9], s[8:9]
	v_mov_b32_e32 v4, s20
	s_xor_b64 exec, exec, s[8:9]
	s_cbranch_execz .LBB309_607
.LBB309_878:                            ;   in Loop: Header=BB309_555 Depth=1
	v_cmp_ne_u16_sdwa s[12:13], v29, v11 src0_sel:BYTE_0 src1_sel:DWORD
	s_andn2_b64 s[0:1], s[0:1], exec
	s_and_b64 s[12:13], s[12:13], exec
	v_mov_b32_e32 v4, 0
	s_or_b64 s[0:1], s[0:1], s[12:13]
	s_or_b64 exec, exec, s[8:9]
	v_mov_b32_e32 v10, v29
	s_and_saveexec_b64 s[8:9], s[0:1]
	s_cbranch_execnz .LBB309_608
	s_branch .LBB309_609
.LBB309_879:                            ;   in Loop: Header=BB309_555 Depth=1
	v_cmp_eq_u16_e64 s[0:1], s15, v10
	s_mov_b64 s[8:9], -1
                                        ; implicit-def: $sgpr26
	s_and_saveexec_b64 s[20:21], s[0:1]
; %bb.880:                              ;   in Loop: Header=BB309_555 Depth=1
	s_mov_b32 s26, 0x7fc02000
	s_xor_b64 s[8:9], exec, -1
; %bb.881:                              ;   in Loop: Header=BB309_555 Depth=1
	s_or_b64 exec, exec, s[20:21]
	s_and_b64 s[8:9], s[8:9], exec
	s_or_saveexec_b64 s[12:13], s[12:13]
	v_mov_b32_e32 v5, s26
	s_xor_b64 exec, exec, s[12:13]
	s_cbranch_execz .LBB309_611
.LBB309_882:                            ;   in Loop: Header=BB309_555 Depth=1
	v_cmp_ne_u16_e64 s[0:1], 0, v10
	s_andn2_b64 s[8:9], s[8:9], exec
	s_and_b64 s[0:1], s[0:1], exec
	v_mov_b32_e32 v5, 0
	s_or_b64 s[8:9], s[8:9], s[0:1]
	s_or_b64 exec, exec, s[12:13]
	s_and_saveexec_b64 s[12:13], s[8:9]
	s_cbranch_execnz .LBB309_612
	s_branch .LBB309_613
.LBB309_883:                            ;   in Loop: Header=BB309_555 Depth=1
	v_cmp_eq_u16_sdwa s[26:27], v10, s15 src0_sel:BYTE_0 src1_sel:DWORD
	s_mov_b64 s[0:1], -1
                                        ; implicit-def: $sgpr20
	s_and_saveexec_b64 s[12:13], s[26:27]
; %bb.884:                              ;   in Loop: Header=BB309_555 Depth=1
	s_mov_b32 s20, 0x7fc02000
	s_xor_b64 s[0:1], exec, -1
; %bb.885:                              ;   in Loop: Header=BB309_555 Depth=1
	s_or_b64 exec, exec, s[12:13]
	s_and_b64 s[0:1], s[0:1], exec
	s_or_saveexec_b64 s[8:9], s[8:9]
	v_mov_b32_e32 v6, s20
	s_xor_b64 exec, exec, s[8:9]
	s_cbranch_execz .LBB309_615
.LBB309_886:                            ;   in Loop: Header=BB309_555 Depth=1
	v_cmp_ne_u16_sdwa s[12:13], v10, v11 src0_sel:BYTE_0 src1_sel:DWORD
	s_andn2_b64 s[0:1], s[0:1], exec
	s_and_b64 s[12:13], s[12:13], exec
	v_mov_b32_e32 v6, 0
	s_or_b64 s[0:1], s[0:1], s[12:13]
	s_or_b64 exec, exec, s[8:9]
	s_and_saveexec_b64 s[8:9], s[0:1]
	s_cbranch_execnz .LBB309_616
	s_branch .LBB309_617
.LBB309_887:                            ;   in Loop: Header=BB309_555 Depth=1
	v_cmp_eq_u16_e64 s[0:1], s15, v10
	s_mov_b64 s[8:9], -1
                                        ; implicit-def: $sgpr26
	s_and_saveexec_b64 s[20:21], s[0:1]
; %bb.888:                              ;   in Loop: Header=BB309_555 Depth=1
	s_mov_b32 s26, 0x7fc02000
	s_xor_b64 s[8:9], exec, -1
; %bb.889:                              ;   in Loop: Header=BB309_555 Depth=1
	s_or_b64 exec, exec, s[20:21]
	s_and_b64 s[8:9], s[8:9], exec
	s_or_saveexec_b64 s[12:13], s[12:13]
	v_mov_b32_e32 v25, s26
	s_xor_b64 exec, exec, s[12:13]
	s_cbranch_execz .LBB309_619
.LBB309_890:                            ;   in Loop: Header=BB309_555 Depth=1
	v_cmp_ne_u16_e64 s[0:1], 0, v10
	s_andn2_b64 s[8:9], s[8:9], exec
	s_and_b64 s[0:1], s[0:1], exec
	v_mov_b32_e32 v25, 0
	s_or_b64 s[8:9], s[8:9], s[0:1]
	s_or_b64 exec, exec, s[12:13]
	s_and_saveexec_b64 s[12:13], s[8:9]
	s_cbranch_execnz .LBB309_620
	s_branch .LBB309_621
.LBB309_891:                            ;   in Loop: Header=BB309_555 Depth=1
	v_cmp_eq_u16_sdwa s[26:27], v28, s15 src0_sel:BYTE_0 src1_sel:DWORD
	s_mov_b64 s[0:1], -1
                                        ; implicit-def: $sgpr20
	s_and_saveexec_b64 s[12:13], s[26:27]
; %bb.892:                              ;   in Loop: Header=BB309_555 Depth=1
	s_mov_b32 s20, 0x7fc02000
	s_xor_b64 s[0:1], exec, -1
; %bb.893:                              ;   in Loop: Header=BB309_555 Depth=1
	s_or_b64 exec, exec, s[12:13]
	s_and_b64 s[0:1], s[0:1], exec
	s_or_saveexec_b64 s[8:9], s[8:9]
	v_mov_b32_e32 v30, s20
	s_xor_b64 exec, exec, s[8:9]
	s_cbranch_execz .LBB309_625
.LBB309_894:                            ;   in Loop: Header=BB309_555 Depth=1
	v_cmp_ne_u16_sdwa s[12:13], v28, v11 src0_sel:BYTE_0 src1_sel:DWORD
	s_andn2_b64 s[0:1], s[0:1], exec
	s_and_b64 s[12:13], s[12:13], exec
	v_mov_b32_e32 v30, 0
	s_or_b64 s[0:1], s[0:1], s[12:13]
	s_or_b64 exec, exec, s[8:9]
	s_and_saveexec_b64 s[8:9], s[0:1]
	s_cbranch_execnz .LBB309_626
	s_branch .LBB309_627
.LBB309_895:                            ;   in Loop: Header=BB309_555 Depth=1
	v_cmp_eq_u16_e64 s[0:1], s15, v10
	s_mov_b64 s[8:9], -1
                                        ; implicit-def: $sgpr26
	s_and_saveexec_b64 s[20:21], s[0:1]
; %bb.896:                              ;   in Loop: Header=BB309_555 Depth=1
	s_mov_b32 s26, 0x7fc02000
	s_xor_b64 s[8:9], exec, -1
; %bb.897:                              ;   in Loop: Header=BB309_555 Depth=1
	s_or_b64 exec, exec, s[20:21]
	s_and_b64 s[8:9], s[8:9], exec
	s_or_saveexec_b64 s[12:13], s[12:13]
	v_mov_b32_e32 v32, s26
	s_xor_b64 exec, exec, s[12:13]
	s_cbranch_execz .LBB309_629
.LBB309_898:                            ;   in Loop: Header=BB309_555 Depth=1
	v_cmp_ne_u16_e64 s[0:1], 0, v10
	s_andn2_b64 s[8:9], s[8:9], exec
	s_and_b64 s[0:1], s[0:1], exec
	v_mov_b32_e32 v32, 0
	s_or_b64 s[8:9], s[8:9], s[0:1]
	s_or_b64 exec, exec, s[12:13]
	s_and_saveexec_b64 s[12:13], s[8:9]
	s_cbranch_execnz .LBB309_630
	s_branch .LBB309_631
.LBB309_899:                            ;   in Loop: Header=BB309_555 Depth=1
	v_cmp_eq_u16_sdwa s[26:27], v10, s15 src0_sel:BYTE_0 src1_sel:DWORD
	s_mov_b64 s[0:1], -1
                                        ; implicit-def: $sgpr20
	s_and_saveexec_b64 s[12:13], s[26:27]
; %bb.900:                              ;   in Loop: Header=BB309_555 Depth=1
	s_mov_b32 s20, 0x7fc02000
	s_xor_b64 s[0:1], exec, -1
; %bb.901:                              ;   in Loop: Header=BB309_555 Depth=1
	s_or_b64 exec, exec, s[12:13]
	s_and_b64 s[0:1], s[0:1], exec
	s_or_saveexec_b64 s[8:9], s[8:9]
	v_mov_b32_e32 v31, s20
	s_xor_b64 exec, exec, s[8:9]
	s_cbranch_execz .LBB309_633
.LBB309_902:                            ;   in Loop: Header=BB309_555 Depth=1
	v_cmp_ne_u16_sdwa s[12:13], v10, v11 src0_sel:BYTE_0 src1_sel:DWORD
	s_andn2_b64 s[0:1], s[0:1], exec
	s_and_b64 s[12:13], s[12:13], exec
	v_mov_b32_e32 v31, 0
	s_or_b64 s[0:1], s[0:1], s[12:13]
	s_or_b64 exec, exec, s[8:9]
	s_and_saveexec_b64 s[8:9], s[0:1]
	s_cbranch_execnz .LBB309_634
	s_branch .LBB309_635
.LBB309_903:                            ;   in Loop: Header=BB309_555 Depth=1
	v_cmp_eq_u16_e64 s[0:1], s15, v10
	s_mov_b64 s[8:9], -1
                                        ; implicit-def: $sgpr26
	s_and_saveexec_b64 s[20:21], s[0:1]
; %bb.904:                              ;   in Loop: Header=BB309_555 Depth=1
	s_mov_b32 s26, 0x7fc02000
	s_xor_b64 s[8:9], exec, -1
; %bb.905:                              ;   in Loop: Header=BB309_555 Depth=1
	s_or_b64 exec, exec, s[20:21]
	s_and_b64 s[8:9], s[8:9], exec
	s_or_saveexec_b64 s[12:13], s[12:13]
	v_mov_b32_e32 v33, s26
	s_xor_b64 exec, exec, s[12:13]
	s_cbranch_execz .LBB309_637
.LBB309_906:                            ;   in Loop: Header=BB309_555 Depth=1
	v_cmp_ne_u16_e64 s[0:1], 0, v10
	s_andn2_b64 s[8:9], s[8:9], exec
	s_and_b64 s[0:1], s[0:1], exec
	v_mov_b32_e32 v33, 0
	s_or_b64 s[8:9], s[8:9], s[0:1]
	s_or_b64 exec, exec, s[12:13]
	s_and_saveexec_b64 s[12:13], s[8:9]
	s_cbranch_execnz .LBB309_638
	s_branch .LBB309_639
.LBB309_907:                            ;   in Loop: Header=BB309_555 Depth=1
	v_cmp_eq_u16_sdwa s[26:27], v29, s15 src0_sel:BYTE_0 src1_sel:DWORD
	s_mov_b64 s[0:1], -1
                                        ; implicit-def: $sgpr20
	s_and_saveexec_b64 s[12:13], s[26:27]
; %bb.908:                              ;   in Loop: Header=BB309_555 Depth=1
	s_mov_b32 s20, 0x7fc02000
	s_xor_b64 s[0:1], exec, -1
; %bb.909:                              ;   in Loop: Header=BB309_555 Depth=1
	s_or_b64 exec, exec, s[12:13]
	s_and_b64 s[0:1], s[0:1], exec
	s_or_saveexec_b64 s[8:9], s[8:9]
	v_mov_b32_e32 v4, s20
	s_xor_b64 exec, exec, s[8:9]
	s_cbranch_execz .LBB309_641
.LBB309_910:                            ;   in Loop: Header=BB309_555 Depth=1
	v_cmp_ne_u16_sdwa s[12:13], v29, v11 src0_sel:BYTE_0 src1_sel:DWORD
	s_andn2_b64 s[0:1], s[0:1], exec
	s_and_b64 s[12:13], s[12:13], exec
	v_mov_b32_e32 v4, 0
	s_or_b64 s[0:1], s[0:1], s[12:13]
	s_or_b64 exec, exec, s[8:9]
	v_mov_b32_e32 v10, v29
	s_and_saveexec_b64 s[8:9], s[0:1]
	s_cbranch_execnz .LBB309_642
	s_branch .LBB309_643
.LBB309_911:                            ;   in Loop: Header=BB309_555 Depth=1
	v_cmp_eq_u16_e64 s[0:1], s15, v10
	s_mov_b64 s[8:9], -1
                                        ; implicit-def: $sgpr26
	s_and_saveexec_b64 s[20:21], s[0:1]
; %bb.912:                              ;   in Loop: Header=BB309_555 Depth=1
	s_mov_b32 s26, 0x7fc02000
	s_xor_b64 s[8:9], exec, -1
; %bb.913:                              ;   in Loop: Header=BB309_555 Depth=1
	s_or_b64 exec, exec, s[20:21]
	s_and_b64 s[8:9], s[8:9], exec
	s_or_saveexec_b64 s[12:13], s[12:13]
	v_mov_b32_e32 v5, s26
	s_xor_b64 exec, exec, s[12:13]
	s_cbranch_execz .LBB309_645
.LBB309_914:                            ;   in Loop: Header=BB309_555 Depth=1
	v_cmp_ne_u16_e64 s[0:1], 0, v10
	s_andn2_b64 s[8:9], s[8:9], exec
	s_and_b64 s[0:1], s[0:1], exec
	v_mov_b32_e32 v5, 0
	s_or_b64 s[8:9], s[8:9], s[0:1]
	s_or_b64 exec, exec, s[12:13]
	s_and_saveexec_b64 s[12:13], s[8:9]
	s_cbranch_execnz .LBB309_646
	s_branch .LBB309_647
.LBB309_915:                            ;   in Loop: Header=BB309_555 Depth=1
	v_cmp_eq_u16_sdwa s[26:27], v10, s15 src0_sel:BYTE_0 src1_sel:DWORD
	s_mov_b64 s[0:1], -1
                                        ; implicit-def: $sgpr20
	s_and_saveexec_b64 s[12:13], s[26:27]
; %bb.916:                              ;   in Loop: Header=BB309_555 Depth=1
	s_mov_b32 s20, 0x7fc02000
	s_xor_b64 s[0:1], exec, -1
; %bb.917:                              ;   in Loop: Header=BB309_555 Depth=1
	s_or_b64 exec, exec, s[12:13]
	s_and_b64 s[0:1], s[0:1], exec
	s_or_saveexec_b64 s[8:9], s[8:9]
	v_mov_b32_e32 v6, s20
	s_xor_b64 exec, exec, s[8:9]
	s_cbranch_execz .LBB309_649
.LBB309_918:                            ;   in Loop: Header=BB309_555 Depth=1
	v_cmp_ne_u16_sdwa s[12:13], v10, v11 src0_sel:BYTE_0 src1_sel:DWORD
	s_andn2_b64 s[0:1], s[0:1], exec
	s_and_b64 s[12:13], s[12:13], exec
	v_mov_b32_e32 v6, 0
	s_or_b64 s[0:1], s[0:1], s[12:13]
	s_or_b64 exec, exec, s[8:9]
	s_and_saveexec_b64 s[8:9], s[0:1]
	s_cbranch_execnz .LBB309_650
	s_branch .LBB309_651
.LBB309_919:                            ;   in Loop: Header=BB309_555 Depth=1
	v_cmp_eq_u16_e64 s[0:1], s15, v10
	s_mov_b64 s[8:9], -1
                                        ; implicit-def: $sgpr26
	s_and_saveexec_b64 s[20:21], s[0:1]
; %bb.920:                              ;   in Loop: Header=BB309_555 Depth=1
	s_mov_b32 s26, 0x7fc02000
	s_xor_b64 s[8:9], exec, -1
; %bb.921:                              ;   in Loop: Header=BB309_555 Depth=1
	s_or_b64 exec, exec, s[20:21]
	s_and_b64 s[8:9], s[8:9], exec
	s_or_saveexec_b64 s[12:13], s[12:13]
	v_mov_b32_e32 v25, s26
	s_xor_b64 exec, exec, s[12:13]
	s_cbranch_execz .LBB309_653
.LBB309_922:                            ;   in Loop: Header=BB309_555 Depth=1
	v_cmp_ne_u16_e64 s[0:1], 0, v10
	s_andn2_b64 s[8:9], s[8:9], exec
	s_and_b64 s[0:1], s[0:1], exec
	v_mov_b32_e32 v25, 0
	s_or_b64 s[8:9], s[8:9], s[0:1]
	s_or_b64 exec, exec, s[12:13]
	s_and_saveexec_b64 s[12:13], s[8:9]
	s_cbranch_execnz .LBB309_654
	s_branch .LBB309_655
.LBB309_923:                            ;   in Loop: Header=BB309_555 Depth=1
	v_cmp_eq_u16_sdwa s[26:27], v28, s15 src0_sel:BYTE_0 src1_sel:DWORD
	s_mov_b64 s[0:1], -1
                                        ; implicit-def: $sgpr20
	s_and_saveexec_b64 s[12:13], s[26:27]
; %bb.924:                              ;   in Loop: Header=BB309_555 Depth=1
	s_mov_b32 s20, 0x7fc02000
	s_xor_b64 s[0:1], exec, -1
; %bb.925:                              ;   in Loop: Header=BB309_555 Depth=1
	s_or_b64 exec, exec, s[12:13]
	s_and_b64 s[0:1], s[0:1], exec
	s_or_saveexec_b64 s[8:9], s[8:9]
	v_mov_b32_e32 v30, s20
	s_xor_b64 exec, exec, s[8:9]
	s_cbranch_execz .LBB309_659
.LBB309_926:                            ;   in Loop: Header=BB309_555 Depth=1
	v_cmp_ne_u16_sdwa s[12:13], v28, v11 src0_sel:BYTE_0 src1_sel:DWORD
	s_andn2_b64 s[0:1], s[0:1], exec
	s_and_b64 s[12:13], s[12:13], exec
	v_mov_b32_e32 v30, 0
	s_or_b64 s[0:1], s[0:1], s[12:13]
	s_or_b64 exec, exec, s[8:9]
	s_and_saveexec_b64 s[8:9], s[0:1]
	s_cbranch_execnz .LBB309_660
	s_branch .LBB309_661
.LBB309_927:                            ;   in Loop: Header=BB309_555 Depth=1
	v_cmp_eq_u16_e64 s[0:1], s15, v10
	s_mov_b64 s[8:9], -1
                                        ; implicit-def: $sgpr26
	s_and_saveexec_b64 s[20:21], s[0:1]
; %bb.928:                              ;   in Loop: Header=BB309_555 Depth=1
	s_mov_b32 s26, 0x7fc02000
	s_xor_b64 s[8:9], exec, -1
; %bb.929:                              ;   in Loop: Header=BB309_555 Depth=1
	s_or_b64 exec, exec, s[20:21]
	s_and_b64 s[8:9], s[8:9], exec
	s_or_saveexec_b64 s[12:13], s[12:13]
	v_mov_b32_e32 v32, s26
	s_xor_b64 exec, exec, s[12:13]
	s_cbranch_execz .LBB309_663
.LBB309_930:                            ;   in Loop: Header=BB309_555 Depth=1
	v_cmp_ne_u16_e64 s[0:1], 0, v10
	s_andn2_b64 s[8:9], s[8:9], exec
	s_and_b64 s[0:1], s[0:1], exec
	v_mov_b32_e32 v32, 0
	s_or_b64 s[8:9], s[8:9], s[0:1]
	s_or_b64 exec, exec, s[12:13]
	s_and_saveexec_b64 s[12:13], s[8:9]
	s_cbranch_execnz .LBB309_664
	s_branch .LBB309_665
.LBB309_931:                            ;   in Loop: Header=BB309_555 Depth=1
	v_cmp_eq_u16_sdwa s[26:27], v10, s15 src0_sel:BYTE_0 src1_sel:DWORD
	s_mov_b64 s[0:1], -1
                                        ; implicit-def: $sgpr20
	s_and_saveexec_b64 s[12:13], s[26:27]
; %bb.932:                              ;   in Loop: Header=BB309_555 Depth=1
	s_mov_b32 s20, 0x7fc02000
	s_xor_b64 s[0:1], exec, -1
; %bb.933:                              ;   in Loop: Header=BB309_555 Depth=1
	s_or_b64 exec, exec, s[12:13]
	s_and_b64 s[0:1], s[0:1], exec
	s_or_saveexec_b64 s[8:9], s[8:9]
	v_mov_b32_e32 v31, s20
	s_xor_b64 exec, exec, s[8:9]
	s_cbranch_execz .LBB309_667
.LBB309_934:                            ;   in Loop: Header=BB309_555 Depth=1
	v_cmp_ne_u16_sdwa s[12:13], v10, v11 src0_sel:BYTE_0 src1_sel:DWORD
	s_andn2_b64 s[0:1], s[0:1], exec
	s_and_b64 s[12:13], s[12:13], exec
	v_mov_b32_e32 v31, 0
	s_or_b64 s[0:1], s[0:1], s[12:13]
	s_or_b64 exec, exec, s[8:9]
	s_and_saveexec_b64 s[8:9], s[0:1]
	s_cbranch_execnz .LBB309_668
	s_branch .LBB309_669
.LBB309_935:                            ;   in Loop: Header=BB309_555 Depth=1
	v_cmp_eq_u16_e64 s[0:1], s15, v10
	s_mov_b64 s[8:9], -1
                                        ; implicit-def: $sgpr26
	s_and_saveexec_b64 s[20:21], s[0:1]
; %bb.936:                              ;   in Loop: Header=BB309_555 Depth=1
	s_mov_b32 s26, 0x7fc02000
	s_xor_b64 s[8:9], exec, -1
; %bb.937:                              ;   in Loop: Header=BB309_555 Depth=1
	s_or_b64 exec, exec, s[20:21]
	s_and_b64 s[8:9], s[8:9], exec
	s_or_saveexec_b64 s[12:13], s[12:13]
	v_mov_b32_e32 v33, s26
	s_xor_b64 exec, exec, s[12:13]
	s_cbranch_execz .LBB309_671
.LBB309_938:                            ;   in Loop: Header=BB309_555 Depth=1
	v_cmp_ne_u16_e64 s[0:1], 0, v10
	s_andn2_b64 s[8:9], s[8:9], exec
	s_and_b64 s[0:1], s[0:1], exec
	v_mov_b32_e32 v33, 0
	s_or_b64 s[8:9], s[8:9], s[0:1]
	s_or_b64 exec, exec, s[12:13]
	s_and_saveexec_b64 s[12:13], s[8:9]
	s_cbranch_execnz .LBB309_672
	s_branch .LBB309_673
.LBB309_939:                            ;   in Loop: Header=BB309_555 Depth=1
	v_cmp_eq_u16_sdwa s[26:27], v29, s15 src0_sel:BYTE_0 src1_sel:DWORD
	s_mov_b64 s[0:1], -1
                                        ; implicit-def: $sgpr20
	s_and_saveexec_b64 s[12:13], s[26:27]
; %bb.940:                              ;   in Loop: Header=BB309_555 Depth=1
	s_mov_b32 s20, 0x7fc02000
	s_xor_b64 s[0:1], exec, -1
; %bb.941:                              ;   in Loop: Header=BB309_555 Depth=1
	s_or_b64 exec, exec, s[12:13]
	s_and_b64 s[0:1], s[0:1], exec
	s_or_saveexec_b64 s[8:9], s[8:9]
	v_mov_b32_e32 v6, s20
	s_xor_b64 exec, exec, s[8:9]
	s_cbranch_execz .LBB309_675
.LBB309_942:                            ;   in Loop: Header=BB309_555 Depth=1
	v_cmp_ne_u16_sdwa s[12:13], v29, v11 src0_sel:BYTE_0 src1_sel:DWORD
	s_andn2_b64 s[0:1], s[0:1], exec
	s_and_b64 s[12:13], s[12:13], exec
	v_mov_b32_e32 v6, 0
	s_or_b64 s[0:1], s[0:1], s[12:13]
	s_or_b64 exec, exec, s[8:9]
	v_mov_b32_e32 v10, v29
	s_and_saveexec_b64 s[8:9], s[0:1]
	s_cbranch_execnz .LBB309_676
	s_branch .LBB309_677
.LBB309_943:                            ;   in Loop: Header=BB309_555 Depth=1
	v_cmp_eq_u16_e64 s[0:1], s15, v10
	s_mov_b64 s[8:9], -1
                                        ; implicit-def: $sgpr26
	s_and_saveexec_b64 s[20:21], s[0:1]
; %bb.944:                              ;   in Loop: Header=BB309_555 Depth=1
	s_mov_b32 s26, 0x7fc02000
	s_xor_b64 s[8:9], exec, -1
; %bb.945:                              ;   in Loop: Header=BB309_555 Depth=1
	s_or_b64 exec, exec, s[20:21]
	s_and_b64 s[8:9], s[8:9], exec
	s_or_saveexec_b64 s[12:13], s[12:13]
	v_mov_b32_e32 v22, s26
	s_xor_b64 exec, exec, s[12:13]
	s_cbranch_execz .LBB309_679
.LBB309_946:                            ;   in Loop: Header=BB309_555 Depth=1
	v_cmp_ne_u16_e64 s[0:1], 0, v10
	s_andn2_b64 s[8:9], s[8:9], exec
	s_and_b64 s[0:1], s[0:1], exec
	v_mov_b32_e32 v22, 0
	s_or_b64 s[8:9], s[8:9], s[0:1]
	s_or_b64 exec, exec, s[12:13]
	s_and_saveexec_b64 s[12:13], s[8:9]
	s_cbranch_execnz .LBB309_680
	s_branch .LBB309_681
.LBB309_947:                            ;   in Loop: Header=BB309_555 Depth=1
	v_cmp_eq_u16_sdwa s[26:27], v10, s15 src0_sel:BYTE_0 src1_sel:DWORD
	s_mov_b64 s[0:1], -1
                                        ; implicit-def: $sgpr20
	s_and_saveexec_b64 s[12:13], s[26:27]
; %bb.948:                              ;   in Loop: Header=BB309_555 Depth=1
	s_mov_b32 s20, 0x7fc02000
	s_xor_b64 s[0:1], exec, -1
; %bb.949:                              ;   in Loop: Header=BB309_555 Depth=1
	s_or_b64 exec, exec, s[12:13]
	s_and_b64 s[0:1], s[0:1], exec
	s_or_saveexec_b64 s[8:9], s[8:9]
	v_mov_b32_e32 v25, s20
	s_xor_b64 exec, exec, s[8:9]
	s_cbranch_execz .LBB309_683
.LBB309_950:                            ;   in Loop: Header=BB309_555 Depth=1
	v_cmp_ne_u16_sdwa s[12:13], v10, v11 src0_sel:BYTE_0 src1_sel:DWORD
	s_andn2_b64 s[0:1], s[0:1], exec
	s_and_b64 s[12:13], s[12:13], exec
	v_mov_b32_e32 v25, 0
	s_or_b64 s[0:1], s[0:1], s[12:13]
	s_or_b64 exec, exec, s[8:9]
	s_and_saveexec_b64 s[8:9], s[0:1]
	s_cbranch_execnz .LBB309_684
	s_branch .LBB309_685
.LBB309_951:                            ;   in Loop: Header=BB309_555 Depth=1
	v_cmp_eq_u16_e64 s[0:1], s15, v10
	s_mov_b64 s[8:9], -1
                                        ; implicit-def: $sgpr26
	s_and_saveexec_b64 s[20:21], s[0:1]
; %bb.952:                              ;   in Loop: Header=BB309_555 Depth=1
	s_mov_b32 s26, 0x7fc02000
	s_xor_b64 s[8:9], exec, -1
; %bb.953:                              ;   in Loop: Header=BB309_555 Depth=1
	s_or_b64 exec, exec, s[20:21]
	s_and_b64 s[8:9], s[8:9], exec
	s_or_saveexec_b64 s[12:13], s[12:13]
	v_mov_b32_e32 v27, s26
	s_xor_b64 exec, exec, s[12:13]
	s_cbranch_execz .LBB309_687
.LBB309_954:                            ;   in Loop: Header=BB309_555 Depth=1
	v_cmp_ne_u16_e64 s[0:1], 0, v10
	s_andn2_b64 s[8:9], s[8:9], exec
	s_and_b64 s[0:1], s[0:1], exec
	v_mov_b32_e32 v27, 0
	s_or_b64 s[8:9], s[8:9], s[0:1]
	s_or_b64 exec, exec, s[12:13]
	s_and_saveexec_b64 s[12:13], s[8:9]
	s_cbranch_execnz .LBB309_688
	s_branch .LBB309_689
.LBB309_955:                            ;   in Loop: Header=BB309_555 Depth=1
	v_cmp_eq_u16_sdwa s[26:27], v28, s15 src0_sel:BYTE_0 src1_sel:DWORD
	s_mov_b64 s[0:1], -1
                                        ; implicit-def: $sgpr20
	s_and_saveexec_b64 s[12:13], s[26:27]
; %bb.956:                              ;   in Loop: Header=BB309_555 Depth=1
	s_mov_b32 s20, 0x7fc02000
	s_xor_b64 s[0:1], exec, -1
; %bb.957:                              ;   in Loop: Header=BB309_555 Depth=1
	s_or_b64 exec, exec, s[12:13]
	s_and_b64 s[0:1], s[0:1], exec
	s_or_saveexec_b64 s[8:9], s[8:9]
	v_mov_b32_e32 v30, s20
	s_xor_b64 exec, exec, s[8:9]
	s_cbranch_execz .LBB309_693
.LBB309_958:                            ;   in Loop: Header=BB309_555 Depth=1
	v_cmp_ne_u16_sdwa s[12:13], v28, v11 src0_sel:BYTE_0 src1_sel:DWORD
	s_andn2_b64 s[0:1], s[0:1], exec
	s_and_b64 s[12:13], s[12:13], exec
	v_mov_b32_e32 v30, 0
	s_or_b64 s[0:1], s[0:1], s[12:13]
	s_or_b64 exec, exec, s[8:9]
	s_and_saveexec_b64 s[8:9], s[0:1]
	s_cbranch_execnz .LBB309_694
	s_branch .LBB309_695
.LBB309_959:                            ;   in Loop: Header=BB309_555 Depth=1
	v_cmp_eq_u16_e64 s[0:1], s15, v10
	s_mov_b64 s[8:9], -1
                                        ; implicit-def: $sgpr26
	s_and_saveexec_b64 s[20:21], s[0:1]
; %bb.960:                              ;   in Loop: Header=BB309_555 Depth=1
	s_mov_b32 s26, 0x7fc02000
	s_xor_b64 s[8:9], exec, -1
; %bb.961:                              ;   in Loop: Header=BB309_555 Depth=1
	s_or_b64 exec, exec, s[20:21]
	s_and_b64 s[8:9], s[8:9], exec
	s_or_saveexec_b64 s[12:13], s[12:13]
	v_mov_b32_e32 v32, s26
	s_xor_b64 exec, exec, s[12:13]
	s_cbranch_execz .LBB309_697
.LBB309_962:                            ;   in Loop: Header=BB309_555 Depth=1
	v_cmp_ne_u16_e64 s[0:1], 0, v10
	s_andn2_b64 s[8:9], s[8:9], exec
	s_and_b64 s[0:1], s[0:1], exec
	v_mov_b32_e32 v32, 0
	s_or_b64 s[8:9], s[8:9], s[0:1]
	s_or_b64 exec, exec, s[12:13]
	s_and_saveexec_b64 s[12:13], s[8:9]
	s_cbranch_execnz .LBB309_698
	s_branch .LBB309_699
.LBB309_963:                            ;   in Loop: Header=BB309_555 Depth=1
	v_cmp_eq_u16_sdwa s[26:27], v10, s15 src0_sel:BYTE_0 src1_sel:DWORD
	s_mov_b64 s[0:1], -1
                                        ; implicit-def: $sgpr20
	s_and_saveexec_b64 s[12:13], s[26:27]
; %bb.964:                              ;   in Loop: Header=BB309_555 Depth=1
	s_mov_b32 s20, 0x7fc02000
	s_xor_b64 s[0:1], exec, -1
; %bb.965:                              ;   in Loop: Header=BB309_555 Depth=1
	s_or_b64 exec, exec, s[12:13]
	s_and_b64 s[0:1], s[0:1], exec
	s_or_saveexec_b64 s[8:9], s[8:9]
	v_mov_b32_e32 v31, s20
	s_xor_b64 exec, exec, s[8:9]
	s_cbranch_execz .LBB309_701
.LBB309_966:                            ;   in Loop: Header=BB309_555 Depth=1
	v_cmp_ne_u16_sdwa s[12:13], v10, v11 src0_sel:BYTE_0 src1_sel:DWORD
	s_andn2_b64 s[0:1], s[0:1], exec
	s_and_b64 s[12:13], s[12:13], exec
	v_mov_b32_e32 v31, 0
	s_or_b64 s[0:1], s[0:1], s[12:13]
	s_or_b64 exec, exec, s[8:9]
	s_and_saveexec_b64 s[8:9], s[0:1]
	s_cbranch_execnz .LBB309_702
	s_branch .LBB309_703
.LBB309_967:                            ;   in Loop: Header=BB309_555 Depth=1
	v_cmp_eq_u16_e64 s[0:1], s15, v10
	s_mov_b64 s[8:9], -1
                                        ; implicit-def: $sgpr26
	s_and_saveexec_b64 s[20:21], s[0:1]
; %bb.968:                              ;   in Loop: Header=BB309_555 Depth=1
	s_mov_b32 s26, 0x7fc02000
	s_xor_b64 s[8:9], exec, -1
; %bb.969:                              ;   in Loop: Header=BB309_555 Depth=1
	s_or_b64 exec, exec, s[20:21]
	s_and_b64 s[8:9], s[8:9], exec
	s_or_saveexec_b64 s[12:13], s[12:13]
	v_mov_b32_e32 v33, s26
	s_xor_b64 exec, exec, s[12:13]
	s_cbranch_execz .LBB309_705
.LBB309_970:                            ;   in Loop: Header=BB309_555 Depth=1
	v_cmp_ne_u16_e64 s[0:1], 0, v10
	s_andn2_b64 s[8:9], s[8:9], exec
	s_and_b64 s[0:1], s[0:1], exec
	v_mov_b32_e32 v33, 0
	s_or_b64 s[8:9], s[8:9], s[0:1]
	s_or_b64 exec, exec, s[12:13]
	s_and_saveexec_b64 s[12:13], s[8:9]
	s_cbranch_execnz .LBB309_706
	s_branch .LBB309_707
.LBB309_971:                            ;   in Loop: Header=BB309_555 Depth=1
	v_cmp_eq_u16_sdwa s[26:27], v29, s15 src0_sel:BYTE_0 src1_sel:DWORD
	s_mov_b64 s[0:1], -1
                                        ; implicit-def: $sgpr20
	s_and_saveexec_b64 s[12:13], s[26:27]
; %bb.972:                              ;   in Loop: Header=BB309_555 Depth=1
	s_mov_b32 s20, 0x7fc02000
	s_xor_b64 s[0:1], exec, -1
; %bb.973:                              ;   in Loop: Header=BB309_555 Depth=1
	s_or_b64 exec, exec, s[12:13]
	s_and_b64 s[0:1], s[0:1], exec
	s_or_saveexec_b64 s[8:9], s[8:9]
	v_mov_b32_e32 v6, s20
	s_xor_b64 exec, exec, s[8:9]
	s_cbranch_execz .LBB309_709
.LBB309_974:                            ;   in Loop: Header=BB309_555 Depth=1
	v_cmp_ne_u16_sdwa s[12:13], v29, v11 src0_sel:BYTE_0 src1_sel:DWORD
	s_andn2_b64 s[0:1], s[0:1], exec
	s_and_b64 s[12:13], s[12:13], exec
	v_mov_b32_e32 v6, 0
	s_or_b64 s[0:1], s[0:1], s[12:13]
	s_or_b64 exec, exec, s[8:9]
	v_mov_b32_e32 v10, v29
	s_and_saveexec_b64 s[8:9], s[0:1]
	s_cbranch_execnz .LBB309_710
	s_branch .LBB309_711
.LBB309_975:                            ;   in Loop: Header=BB309_555 Depth=1
	v_cmp_eq_u16_e64 s[0:1], s15, v10
	s_mov_b64 s[8:9], -1
                                        ; implicit-def: $sgpr26
	s_and_saveexec_b64 s[20:21], s[0:1]
; %bb.976:                              ;   in Loop: Header=BB309_555 Depth=1
	s_mov_b32 s26, 0x7fc02000
	s_xor_b64 s[8:9], exec, -1
; %bb.977:                              ;   in Loop: Header=BB309_555 Depth=1
	s_or_b64 exec, exec, s[20:21]
	s_and_b64 s[8:9], s[8:9], exec
	s_or_saveexec_b64 s[12:13], s[12:13]
	v_mov_b32_e32 v22, s26
	s_xor_b64 exec, exec, s[12:13]
	s_cbranch_execz .LBB309_713
.LBB309_978:                            ;   in Loop: Header=BB309_555 Depth=1
	v_cmp_ne_u16_e64 s[0:1], 0, v10
	s_andn2_b64 s[8:9], s[8:9], exec
	s_and_b64 s[0:1], s[0:1], exec
	v_mov_b32_e32 v22, 0
	s_or_b64 s[8:9], s[8:9], s[0:1]
	s_or_b64 exec, exec, s[12:13]
	s_and_saveexec_b64 s[12:13], s[8:9]
	s_cbranch_execnz .LBB309_714
	s_branch .LBB309_715
.LBB309_979:                            ;   in Loop: Header=BB309_555 Depth=1
	v_cmp_eq_u16_sdwa s[26:27], v10, s15 src0_sel:BYTE_0 src1_sel:DWORD
	s_mov_b64 s[0:1], -1
                                        ; implicit-def: $sgpr20
	s_and_saveexec_b64 s[12:13], s[26:27]
; %bb.980:                              ;   in Loop: Header=BB309_555 Depth=1
	s_mov_b32 s20, 0x7fc02000
	s_xor_b64 s[0:1], exec, -1
; %bb.981:                              ;   in Loop: Header=BB309_555 Depth=1
	s_or_b64 exec, exec, s[12:13]
	s_and_b64 s[0:1], s[0:1], exec
	s_or_saveexec_b64 s[8:9], s[8:9]
	v_mov_b32_e32 v25, s20
	s_xor_b64 exec, exec, s[8:9]
	s_cbranch_execz .LBB309_717
.LBB309_982:                            ;   in Loop: Header=BB309_555 Depth=1
	v_cmp_ne_u16_sdwa s[12:13], v10, v11 src0_sel:BYTE_0 src1_sel:DWORD
	s_andn2_b64 s[0:1], s[0:1], exec
	s_and_b64 s[12:13], s[12:13], exec
	v_mov_b32_e32 v25, 0
	s_or_b64 s[0:1], s[0:1], s[12:13]
	s_or_b64 exec, exec, s[8:9]
	s_and_saveexec_b64 s[8:9], s[0:1]
	s_cbranch_execnz .LBB309_718
	s_branch .LBB309_719
.LBB309_983:                            ;   in Loop: Header=BB309_555 Depth=1
	v_cmp_eq_u16_e64 s[0:1], s15, v10
	s_mov_b64 s[8:9], -1
                                        ; implicit-def: $sgpr26
	s_and_saveexec_b64 s[20:21], s[0:1]
; %bb.984:                              ;   in Loop: Header=BB309_555 Depth=1
	s_mov_b32 s26, 0x7fc02000
	s_xor_b64 s[8:9], exec, -1
; %bb.985:                              ;   in Loop: Header=BB309_555 Depth=1
	s_or_b64 exec, exec, s[20:21]
	s_and_b64 s[8:9], s[8:9], exec
	s_or_saveexec_b64 s[12:13], s[12:13]
	v_mov_b32_e32 v27, s26
	s_xor_b64 exec, exec, s[12:13]
	s_cbranch_execz .LBB309_721
.LBB309_986:                            ;   in Loop: Header=BB309_555 Depth=1
	v_cmp_ne_u16_e64 s[0:1], 0, v10
	s_andn2_b64 s[8:9], s[8:9], exec
	s_and_b64 s[0:1], s[0:1], exec
	v_mov_b32_e32 v27, 0
	s_or_b64 s[8:9], s[8:9], s[0:1]
	s_or_b64 exec, exec, s[12:13]
	s_and_saveexec_b64 s[12:13], s[8:9]
	s_cbranch_execnz .LBB309_722
	s_branch .LBB309_723
.LBB309_987:                            ;   in Loop: Header=BB309_555 Depth=1
	v_cmp_eq_u16_sdwa s[26:27], v28, s15 src0_sel:BYTE_0 src1_sel:DWORD
	s_mov_b64 s[0:1], -1
                                        ; implicit-def: $sgpr20
	s_and_saveexec_b64 s[12:13], s[26:27]
; %bb.988:                              ;   in Loop: Header=BB309_555 Depth=1
	s_mov_b32 s20, 0x7fc02000
	s_xor_b64 s[0:1], exec, -1
; %bb.989:                              ;   in Loop: Header=BB309_555 Depth=1
	s_or_b64 exec, exec, s[12:13]
	s_and_b64 s[0:1], s[0:1], exec
	s_or_saveexec_b64 s[8:9], s[8:9]
	v_mov_b32_e32 v30, s20
	s_xor_b64 exec, exec, s[8:9]
	s_cbranch_execz .LBB309_727
.LBB309_990:                            ;   in Loop: Header=BB309_555 Depth=1
	v_cmp_ne_u16_sdwa s[12:13], v28, v11 src0_sel:BYTE_0 src1_sel:DWORD
	s_andn2_b64 s[0:1], s[0:1], exec
	s_and_b64 s[12:13], s[12:13], exec
	v_mov_b32_e32 v30, 0
	s_or_b64 s[0:1], s[0:1], s[12:13]
	s_or_b64 exec, exec, s[8:9]
	s_and_saveexec_b64 s[8:9], s[0:1]
	s_cbranch_execnz .LBB309_728
	s_branch .LBB309_729
.LBB309_991:                            ;   in Loop: Header=BB309_555 Depth=1
	v_cmp_eq_u16_e64 s[0:1], s15, v10
	s_mov_b64 s[8:9], -1
                                        ; implicit-def: $sgpr26
	s_and_saveexec_b64 s[20:21], s[0:1]
; %bb.992:                              ;   in Loop: Header=BB309_555 Depth=1
	s_mov_b32 s26, 0x7fc02000
	s_xor_b64 s[8:9], exec, -1
; %bb.993:                              ;   in Loop: Header=BB309_555 Depth=1
	s_or_b64 exec, exec, s[20:21]
	s_and_b64 s[8:9], s[8:9], exec
	s_or_saveexec_b64 s[12:13], s[12:13]
	v_mov_b32_e32 v32, s26
	s_xor_b64 exec, exec, s[12:13]
	s_cbranch_execz .LBB309_731
.LBB309_994:                            ;   in Loop: Header=BB309_555 Depth=1
	v_cmp_ne_u16_e64 s[0:1], 0, v10
	s_andn2_b64 s[8:9], s[8:9], exec
	s_and_b64 s[0:1], s[0:1], exec
	v_mov_b32_e32 v32, 0
	s_or_b64 s[8:9], s[8:9], s[0:1]
	s_or_b64 exec, exec, s[12:13]
	s_and_saveexec_b64 s[12:13], s[8:9]
	s_cbranch_execnz .LBB309_732
	s_branch .LBB309_733
.LBB309_995:                            ;   in Loop: Header=BB309_555 Depth=1
	v_cmp_eq_u16_sdwa s[26:27], v10, s15 src0_sel:BYTE_0 src1_sel:DWORD
	s_mov_b64 s[0:1], -1
                                        ; implicit-def: $sgpr20
	s_and_saveexec_b64 s[12:13], s[26:27]
; %bb.996:                              ;   in Loop: Header=BB309_555 Depth=1
	s_mov_b32 s20, 0x7fc02000
	s_xor_b64 s[0:1], exec, -1
; %bb.997:                              ;   in Loop: Header=BB309_555 Depth=1
	s_or_b64 exec, exec, s[12:13]
	s_and_b64 s[0:1], s[0:1], exec
	s_or_saveexec_b64 s[8:9], s[8:9]
	v_mov_b32_e32 v31, s20
	s_xor_b64 exec, exec, s[8:9]
	s_cbranch_execz .LBB309_735
.LBB309_998:                            ;   in Loop: Header=BB309_555 Depth=1
	v_cmp_ne_u16_sdwa s[12:13], v10, v11 src0_sel:BYTE_0 src1_sel:DWORD
	s_andn2_b64 s[0:1], s[0:1], exec
	s_and_b64 s[12:13], s[12:13], exec
	v_mov_b32_e32 v31, 0
	s_or_b64 s[0:1], s[0:1], s[12:13]
	s_or_b64 exec, exec, s[8:9]
	s_and_saveexec_b64 s[8:9], s[0:1]
	s_cbranch_execnz .LBB309_736
	s_branch .LBB309_737
.LBB309_999:                            ;   in Loop: Header=BB309_555 Depth=1
	v_cmp_eq_u16_e64 s[0:1], s15, v10
	s_mov_b64 s[8:9], -1
                                        ; implicit-def: $sgpr26
	s_and_saveexec_b64 s[20:21], s[0:1]
; %bb.1000:                             ;   in Loop: Header=BB309_555 Depth=1
	s_mov_b32 s26, 0x7fc02000
	s_xor_b64 s[8:9], exec, -1
; %bb.1001:                             ;   in Loop: Header=BB309_555 Depth=1
	s_or_b64 exec, exec, s[20:21]
	s_and_b64 s[8:9], s[8:9], exec
	s_or_saveexec_b64 s[12:13], s[12:13]
	v_mov_b32_e32 v33, s26
	s_xor_b64 exec, exec, s[12:13]
	s_cbranch_execz .LBB309_739
.LBB309_1002:                           ;   in Loop: Header=BB309_555 Depth=1
	v_cmp_ne_u16_e64 s[0:1], 0, v10
	s_andn2_b64 s[8:9], s[8:9], exec
	s_and_b64 s[0:1], s[0:1], exec
	v_mov_b32_e32 v33, 0
	s_or_b64 s[8:9], s[8:9], s[0:1]
	s_or_b64 exec, exec, s[12:13]
	s_and_saveexec_b64 s[12:13], s[8:9]
	s_cbranch_execnz .LBB309_740
	s_branch .LBB309_741
.LBB309_1003:                           ;   in Loop: Header=BB309_555 Depth=1
	v_cmp_eq_u16_sdwa s[26:27], v29, s15 src0_sel:BYTE_0 src1_sel:DWORD
	s_mov_b64 s[0:1], -1
                                        ; implicit-def: $sgpr20
	s_and_saveexec_b64 s[12:13], s[26:27]
; %bb.1004:                             ;   in Loop: Header=BB309_555 Depth=1
	s_mov_b32 s20, 0x7fc02000
	s_xor_b64 s[0:1], exec, -1
; %bb.1005:                             ;   in Loop: Header=BB309_555 Depth=1
	s_or_b64 exec, exec, s[12:13]
	s_and_b64 s[0:1], s[0:1], exec
	s_or_saveexec_b64 s[8:9], s[8:9]
	v_mov_b32_e32 v6, s20
	s_xor_b64 exec, exec, s[8:9]
	s_cbranch_execz .LBB309_743
.LBB309_1006:                           ;   in Loop: Header=BB309_555 Depth=1
	v_cmp_ne_u16_sdwa s[12:13], v29, v11 src0_sel:BYTE_0 src1_sel:DWORD
	s_andn2_b64 s[0:1], s[0:1], exec
	s_and_b64 s[12:13], s[12:13], exec
	v_mov_b32_e32 v6, 0
	s_or_b64 s[0:1], s[0:1], s[12:13]
	s_or_b64 exec, exec, s[8:9]
	v_mov_b32_e32 v10, v29
	s_and_saveexec_b64 s[8:9], s[0:1]
	s_cbranch_execnz .LBB309_744
	s_branch .LBB309_745
.LBB309_1007:                           ;   in Loop: Header=BB309_555 Depth=1
	v_cmp_eq_u16_e64 s[0:1], s15, v10
	s_mov_b64 s[8:9], -1
                                        ; implicit-def: $sgpr26
	s_and_saveexec_b64 s[20:21], s[0:1]
; %bb.1008:                             ;   in Loop: Header=BB309_555 Depth=1
	s_mov_b32 s26, 0x7fc02000
	s_xor_b64 s[8:9], exec, -1
; %bb.1009:                             ;   in Loop: Header=BB309_555 Depth=1
	s_or_b64 exec, exec, s[20:21]
	s_and_b64 s[8:9], s[8:9], exec
	s_or_saveexec_b64 s[12:13], s[12:13]
	v_mov_b32_e32 v22, s26
	s_xor_b64 exec, exec, s[12:13]
	s_cbranch_execz .LBB309_747
.LBB309_1010:                           ;   in Loop: Header=BB309_555 Depth=1
	v_cmp_ne_u16_e64 s[0:1], 0, v10
	s_andn2_b64 s[8:9], s[8:9], exec
	s_and_b64 s[0:1], s[0:1], exec
	v_mov_b32_e32 v22, 0
	s_or_b64 s[8:9], s[8:9], s[0:1]
	s_or_b64 exec, exec, s[12:13]
	s_and_saveexec_b64 s[12:13], s[8:9]
	s_cbranch_execnz .LBB309_748
	s_branch .LBB309_749
.LBB309_1011:                           ;   in Loop: Header=BB309_555 Depth=1
	v_cmp_eq_u16_sdwa s[26:27], v10, s15 src0_sel:BYTE_0 src1_sel:DWORD
	s_mov_b64 s[0:1], -1
                                        ; implicit-def: $sgpr20
	s_and_saveexec_b64 s[12:13], s[26:27]
; %bb.1012:                             ;   in Loop: Header=BB309_555 Depth=1
	s_mov_b32 s20, 0x7fc02000
	s_xor_b64 s[0:1], exec, -1
; %bb.1013:                             ;   in Loop: Header=BB309_555 Depth=1
	s_or_b64 exec, exec, s[12:13]
	s_and_b64 s[0:1], s[0:1], exec
	s_or_saveexec_b64 s[8:9], s[8:9]
	v_mov_b32_e32 v25, s20
	s_xor_b64 exec, exec, s[8:9]
	s_cbranch_execz .LBB309_751
.LBB309_1014:                           ;   in Loop: Header=BB309_555 Depth=1
	v_cmp_ne_u16_sdwa s[12:13], v10, v11 src0_sel:BYTE_0 src1_sel:DWORD
	s_andn2_b64 s[0:1], s[0:1], exec
	s_and_b64 s[12:13], s[12:13], exec
	v_mov_b32_e32 v25, 0
	s_or_b64 s[0:1], s[0:1], s[12:13]
	s_or_b64 exec, exec, s[8:9]
	s_and_saveexec_b64 s[8:9], s[0:1]
	s_cbranch_execnz .LBB309_752
	s_branch .LBB309_753
.LBB309_1015:                           ;   in Loop: Header=BB309_555 Depth=1
	v_cmp_eq_u16_e64 s[0:1], s15, v10
	s_mov_b64 s[8:9], -1
                                        ; implicit-def: $sgpr26
	s_and_saveexec_b64 s[20:21], s[0:1]
; %bb.1016:                             ;   in Loop: Header=BB309_555 Depth=1
	s_mov_b32 s26, 0x7fc02000
	s_xor_b64 s[8:9], exec, -1
; %bb.1017:                             ;   in Loop: Header=BB309_555 Depth=1
	s_or_b64 exec, exec, s[20:21]
	s_and_b64 s[8:9], s[8:9], exec
	s_or_saveexec_b64 s[12:13], s[12:13]
	v_mov_b32_e32 v27, s26
	s_xor_b64 exec, exec, s[12:13]
	s_cbranch_execz .LBB309_755
.LBB309_1018:                           ;   in Loop: Header=BB309_555 Depth=1
	v_cmp_ne_u16_e64 s[0:1], 0, v10
	s_andn2_b64 s[8:9], s[8:9], exec
	s_and_b64 s[0:1], s[0:1], exec
	v_mov_b32_e32 v27, 0
	s_or_b64 s[8:9], s[8:9], s[0:1]
	s_or_b64 exec, exec, s[12:13]
	s_and_saveexec_b64 s[12:13], s[8:9]
	s_cbranch_execnz .LBB309_756
	s_branch .LBB309_757
.LBB309_1019:                           ;   in Loop: Header=BB309_555 Depth=1
	v_cmp_eq_u16_sdwa s[26:27], v28, s15 src0_sel:BYTE_0 src1_sel:DWORD
	s_mov_b64 s[0:1], -1
                                        ; implicit-def: $sgpr20
	s_and_saveexec_b64 s[12:13], s[26:27]
; %bb.1020:                             ;   in Loop: Header=BB309_555 Depth=1
	s_mov_b32 s20, 0x7fc02000
	s_xor_b64 s[0:1], exec, -1
; %bb.1021:                             ;   in Loop: Header=BB309_555 Depth=1
	s_or_b64 exec, exec, s[12:13]
	s_and_b64 s[0:1], s[0:1], exec
	s_or_saveexec_b64 s[8:9], s[8:9]
	v_mov_b32_e32 v30, s20
	s_xor_b64 exec, exec, s[8:9]
	s_cbranch_execz .LBB309_761
.LBB309_1022:                           ;   in Loop: Header=BB309_555 Depth=1
	v_cmp_ne_u16_sdwa s[12:13], v28, v11 src0_sel:BYTE_0 src1_sel:DWORD
	s_andn2_b64 s[0:1], s[0:1], exec
	s_and_b64 s[12:13], s[12:13], exec
	v_mov_b32_e32 v30, 0
	s_or_b64 s[0:1], s[0:1], s[12:13]
	s_or_b64 exec, exec, s[8:9]
	s_and_saveexec_b64 s[8:9], s[0:1]
	s_cbranch_execnz .LBB309_762
	s_branch .LBB309_763
.LBB309_1023:                           ;   in Loop: Header=BB309_555 Depth=1
	v_cmp_eq_u16_e64 s[0:1], s15, v10
	s_mov_b64 s[8:9], -1
                                        ; implicit-def: $sgpr26
	s_and_saveexec_b64 s[20:21], s[0:1]
; %bb.1024:                             ;   in Loop: Header=BB309_555 Depth=1
	s_mov_b32 s26, 0x7fc02000
	s_xor_b64 s[8:9], exec, -1
; %bb.1025:                             ;   in Loop: Header=BB309_555 Depth=1
	s_or_b64 exec, exec, s[20:21]
	s_and_b64 s[8:9], s[8:9], exec
	s_or_saveexec_b64 s[12:13], s[12:13]
	v_mov_b32_e32 v32, s26
	s_xor_b64 exec, exec, s[12:13]
	s_cbranch_execz .LBB309_765
.LBB309_1026:                           ;   in Loop: Header=BB309_555 Depth=1
	v_cmp_ne_u16_e64 s[0:1], 0, v10
	s_andn2_b64 s[8:9], s[8:9], exec
	s_and_b64 s[0:1], s[0:1], exec
	v_mov_b32_e32 v32, 0
	s_or_b64 s[8:9], s[8:9], s[0:1]
	s_or_b64 exec, exec, s[12:13]
	s_and_saveexec_b64 s[12:13], s[8:9]
	s_cbranch_execnz .LBB309_766
	s_branch .LBB309_767
.LBB309_1027:                           ;   in Loop: Header=BB309_555 Depth=1
	v_cmp_eq_u16_sdwa s[26:27], v10, s15 src0_sel:BYTE_0 src1_sel:DWORD
	s_mov_b64 s[0:1], -1
                                        ; implicit-def: $sgpr20
	s_and_saveexec_b64 s[12:13], s[26:27]
; %bb.1028:                             ;   in Loop: Header=BB309_555 Depth=1
	s_mov_b32 s20, 0x7fc02000
	s_xor_b64 s[0:1], exec, -1
; %bb.1029:                             ;   in Loop: Header=BB309_555 Depth=1
	s_or_b64 exec, exec, s[12:13]
	s_and_b64 s[0:1], s[0:1], exec
	s_or_saveexec_b64 s[8:9], s[8:9]
	v_mov_b32_e32 v31, s20
	s_xor_b64 exec, exec, s[8:9]
	s_cbranch_execz .LBB309_769
.LBB309_1030:                           ;   in Loop: Header=BB309_555 Depth=1
	v_cmp_ne_u16_sdwa s[12:13], v10, v11 src0_sel:BYTE_0 src1_sel:DWORD
	s_andn2_b64 s[0:1], s[0:1], exec
	s_and_b64 s[12:13], s[12:13], exec
	v_mov_b32_e32 v31, 0
	s_or_b64 s[0:1], s[0:1], s[12:13]
	s_or_b64 exec, exec, s[8:9]
	s_and_saveexec_b64 s[8:9], s[0:1]
	s_cbranch_execnz .LBB309_770
	s_branch .LBB309_771
.LBB309_1031:                           ;   in Loop: Header=BB309_555 Depth=1
	v_cmp_eq_u16_e64 s[0:1], s15, v10
	s_mov_b64 s[8:9], -1
                                        ; implicit-def: $sgpr26
	s_and_saveexec_b64 s[20:21], s[0:1]
; %bb.1032:                             ;   in Loop: Header=BB309_555 Depth=1
	s_mov_b32 s26, 0x7fc02000
	s_xor_b64 s[8:9], exec, -1
; %bb.1033:                             ;   in Loop: Header=BB309_555 Depth=1
	s_or_b64 exec, exec, s[20:21]
	s_and_b64 s[8:9], s[8:9], exec
	s_or_saveexec_b64 s[12:13], s[12:13]
	v_mov_b32_e32 v33, s26
	s_xor_b64 exec, exec, s[12:13]
	s_cbranch_execz .LBB309_773
.LBB309_1034:                           ;   in Loop: Header=BB309_555 Depth=1
	v_cmp_ne_u16_e64 s[0:1], 0, v10
	s_andn2_b64 s[8:9], s[8:9], exec
	s_and_b64 s[0:1], s[0:1], exec
	v_mov_b32_e32 v33, 0
	s_or_b64 s[8:9], s[8:9], s[0:1]
	s_or_b64 exec, exec, s[12:13]
	s_and_saveexec_b64 s[12:13], s[8:9]
	s_cbranch_execnz .LBB309_774
	s_branch .LBB309_775
.LBB309_1035:                           ;   in Loop: Header=BB309_555 Depth=1
	v_cmp_eq_u16_sdwa s[26:27], v29, s15 src0_sel:BYTE_0 src1_sel:DWORD
	s_mov_b64 s[0:1], -1
                                        ; implicit-def: $sgpr20
	s_and_saveexec_b64 s[12:13], s[26:27]
; %bb.1036:                             ;   in Loop: Header=BB309_555 Depth=1
	s_mov_b32 s20, 0x7fc02000
	s_xor_b64 s[0:1], exec, -1
; %bb.1037:                             ;   in Loop: Header=BB309_555 Depth=1
	s_or_b64 exec, exec, s[12:13]
	s_and_b64 s[0:1], s[0:1], exec
	s_or_saveexec_b64 s[8:9], s[8:9]
	v_mov_b32_e32 v6, s20
	s_xor_b64 exec, exec, s[8:9]
	s_cbranch_execz .LBB309_777
.LBB309_1038:                           ;   in Loop: Header=BB309_555 Depth=1
	v_cmp_ne_u16_sdwa s[12:13], v29, v11 src0_sel:BYTE_0 src1_sel:DWORD
	s_andn2_b64 s[0:1], s[0:1], exec
	s_and_b64 s[12:13], s[12:13], exec
	v_mov_b32_e32 v6, 0
	s_or_b64 s[0:1], s[0:1], s[12:13]
	s_or_b64 exec, exec, s[8:9]
	v_mov_b32_e32 v10, v29
	s_and_saveexec_b64 s[8:9], s[0:1]
	s_cbranch_execnz .LBB309_778
	s_branch .LBB309_779
.LBB309_1039:                           ;   in Loop: Header=BB309_555 Depth=1
	v_cmp_eq_u16_e64 s[0:1], s15, v10
	s_mov_b64 s[8:9], -1
                                        ; implicit-def: $sgpr26
	s_and_saveexec_b64 s[20:21], s[0:1]
; %bb.1040:                             ;   in Loop: Header=BB309_555 Depth=1
	s_mov_b32 s26, 0x7fc02000
	s_xor_b64 s[8:9], exec, -1
; %bb.1041:                             ;   in Loop: Header=BB309_555 Depth=1
	s_or_b64 exec, exec, s[20:21]
	s_and_b64 s[8:9], s[8:9], exec
	s_or_saveexec_b64 s[12:13], s[12:13]
	v_mov_b32_e32 v25, s26
	s_xor_b64 exec, exec, s[12:13]
	s_cbranch_execz .LBB309_781
.LBB309_1042:                           ;   in Loop: Header=BB309_555 Depth=1
	v_cmp_ne_u16_e64 s[0:1], 0, v10
	s_andn2_b64 s[8:9], s[8:9], exec
	s_and_b64 s[0:1], s[0:1], exec
	v_mov_b32_e32 v25, 0
	s_or_b64 s[8:9], s[8:9], s[0:1]
	s_or_b64 exec, exec, s[12:13]
	s_and_saveexec_b64 s[12:13], s[8:9]
	s_cbranch_execnz .LBB309_782
	s_branch .LBB309_783
.LBB309_1043:                           ;   in Loop: Header=BB309_555 Depth=1
	v_cmp_eq_u16_sdwa s[26:27], v10, s15 src0_sel:BYTE_0 src1_sel:DWORD
	s_mov_b64 s[0:1], -1
                                        ; implicit-def: $sgpr20
	s_and_saveexec_b64 s[12:13], s[26:27]
; %bb.1044:                             ;   in Loop: Header=BB309_555 Depth=1
	s_mov_b32 s20, 0x7fc02000
	s_xor_b64 s[0:1], exec, -1
; %bb.1045:                             ;   in Loop: Header=BB309_555 Depth=1
	s_or_b64 exec, exec, s[12:13]
	s_and_b64 s[0:1], s[0:1], exec
	s_or_saveexec_b64 s[8:9], s[8:9]
	v_mov_b32_e32 v26, s20
	s_xor_b64 exec, exec, s[8:9]
	s_cbranch_execz .LBB309_785
.LBB309_1046:                           ;   in Loop: Header=BB309_555 Depth=1
	v_cmp_ne_u16_sdwa s[12:13], v10, v11 src0_sel:BYTE_0 src1_sel:DWORD
	s_andn2_b64 s[0:1], s[0:1], exec
	s_and_b64 s[12:13], s[12:13], exec
	v_mov_b32_e32 v26, 0
	s_or_b64 s[0:1], s[0:1], s[12:13]
	s_or_b64 exec, exec, s[8:9]
	s_and_saveexec_b64 s[8:9], s[0:1]
	s_cbranch_execnz .LBB309_786
	s_branch .LBB309_787
.LBB309_1047:                           ;   in Loop: Header=BB309_555 Depth=1
	v_cmp_eq_u16_e64 s[0:1], s15, v10
	s_mov_b64 s[8:9], -1
                                        ; implicit-def: $sgpr26
	s_and_saveexec_b64 s[20:21], s[0:1]
; %bb.1048:                             ;   in Loop: Header=BB309_555 Depth=1
	s_mov_b32 s26, 0x7fc02000
	s_xor_b64 s[8:9], exec, -1
; %bb.1049:                             ;   in Loop: Header=BB309_555 Depth=1
	s_or_b64 exec, exec, s[20:21]
	s_and_b64 s[8:9], s[8:9], exec
	s_or_saveexec_b64 s[12:13], s[12:13]
	v_mov_b32_e32 v28, s26
	s_xor_b64 exec, exec, s[12:13]
	s_cbranch_execz .LBB309_789
.LBB309_1050:                           ;   in Loop: Header=BB309_555 Depth=1
	v_cmp_ne_u16_e64 s[0:1], 0, v10
	s_andn2_b64 s[8:9], s[8:9], exec
	s_and_b64 s[0:1], s[0:1], exec
	v_mov_b32_e32 v28, 0
	s_or_b64 s[8:9], s[8:9], s[0:1]
	s_or_b64 exec, exec, s[12:13]
	s_and_saveexec_b64 s[12:13], s[8:9]
	s_cbranch_execnz .LBB309_790
	s_branch .LBB309_791
.LBB309_1051:                           ;   in Loop: Header=BB309_555 Depth=1
	v_cmp_eq_u16_sdwa s[26:27], v24, s15 src0_sel:BYTE_0 src1_sel:DWORD
	s_mov_b64 s[0:1], -1
                                        ; implicit-def: $sgpr20
	s_and_saveexec_b64 s[12:13], s[26:27]
; %bb.1052:                             ;   in Loop: Header=BB309_555 Depth=1
	s_mov_b32 s20, 0x7fc02000
	s_xor_b64 s[0:1], exec, -1
; %bb.1053:                             ;   in Loop: Header=BB309_555 Depth=1
	s_or_b64 exec, exec, s[12:13]
	s_and_b64 s[0:1], s[0:1], exec
	s_or_saveexec_b64 s[8:9], s[8:9]
	v_mov_b32_e32 v28, s20
	s_xor_b64 exec, exec, s[8:9]
	s_cbranch_execz .LBB309_795
.LBB309_1054:                           ;   in Loop: Header=BB309_555 Depth=1
	v_cmp_ne_u16_sdwa s[12:13], v24, v11 src0_sel:BYTE_0 src1_sel:DWORD
	s_andn2_b64 s[0:1], s[0:1], exec
	s_and_b64 s[12:13], s[12:13], exec
	v_mov_b32_e32 v28, 0
	s_or_b64 s[0:1], s[0:1], s[12:13]
	s_or_b64 exec, exec, s[8:9]
	s_and_saveexec_b64 s[8:9], s[0:1]
	s_cbranch_execnz .LBB309_796
	s_branch .LBB309_797
.LBB309_1055:                           ;   in Loop: Header=BB309_555 Depth=1
	v_cmp_eq_u16_e64 s[0:1], s15, v10
	s_mov_b64 s[8:9], -1
                                        ; implicit-def: $sgpr26
	s_and_saveexec_b64 s[20:21], s[0:1]
; %bb.1056:                             ;   in Loop: Header=BB309_555 Depth=1
	s_mov_b32 s26, 0x7fc02000
	s_xor_b64 s[8:9], exec, -1
; %bb.1057:                             ;   in Loop: Header=BB309_555 Depth=1
	s_or_b64 exec, exec, s[20:21]
	s_and_b64 s[8:9], s[8:9], exec
	s_or_saveexec_b64 s[12:13], s[12:13]
	v_mov_b32_e32 v30, s26
	s_xor_b64 exec, exec, s[12:13]
	s_cbranch_execz .LBB309_799
.LBB309_1058:                           ;   in Loop: Header=BB309_555 Depth=1
	v_cmp_ne_u16_e64 s[0:1], 0, v10
	s_andn2_b64 s[8:9], s[8:9], exec
	s_and_b64 s[0:1], s[0:1], exec
	v_mov_b32_e32 v30, 0
	s_or_b64 s[8:9], s[8:9], s[0:1]
	s_or_b64 exec, exec, s[12:13]
	s_and_saveexec_b64 s[12:13], s[8:9]
	s_cbranch_execnz .LBB309_800
	s_branch .LBB309_801
.LBB309_1059:                           ;   in Loop: Header=BB309_555 Depth=1
	v_cmp_eq_u16_sdwa s[26:27], v10, s15 src0_sel:BYTE_0 src1_sel:DWORD
	s_mov_b64 s[0:1], -1
                                        ; implicit-def: $sgpr20
	s_and_saveexec_b64 s[12:13], s[26:27]
; %bb.1060:                             ;   in Loop: Header=BB309_555 Depth=1
	s_mov_b32 s20, 0x7fc02000
	s_xor_b64 s[0:1], exec, -1
; %bb.1061:                             ;   in Loop: Header=BB309_555 Depth=1
	s_or_b64 exec, exec, s[12:13]
	s_and_b64 s[0:1], s[0:1], exec
	s_or_saveexec_b64 s[8:9], s[8:9]
	v_mov_b32_e32 v29, s20
	s_xor_b64 exec, exec, s[8:9]
	s_cbranch_execz .LBB309_803
.LBB309_1062:                           ;   in Loop: Header=BB309_555 Depth=1
	v_cmp_ne_u16_sdwa s[12:13], v10, v11 src0_sel:BYTE_0 src1_sel:DWORD
	s_andn2_b64 s[0:1], s[0:1], exec
	s_and_b64 s[12:13], s[12:13], exec
	v_mov_b32_e32 v29, 0
	s_or_b64 s[0:1], s[0:1], s[12:13]
	s_or_b64 exec, exec, s[8:9]
	s_and_saveexec_b64 s[8:9], s[0:1]
	s_cbranch_execnz .LBB309_804
	s_branch .LBB309_805
.LBB309_1063:                           ;   in Loop: Header=BB309_555 Depth=1
	v_cmp_eq_u16_e64 s[0:1], s15, v10
	s_mov_b64 s[8:9], -1
                                        ; implicit-def: $sgpr26
	s_and_saveexec_b64 s[20:21], s[0:1]
; %bb.1064:                             ;   in Loop: Header=BB309_555 Depth=1
	s_mov_b32 s26, 0x7fc02000
	s_xor_b64 s[8:9], exec, -1
; %bb.1065:                             ;   in Loop: Header=BB309_555 Depth=1
	s_or_b64 exec, exec, s[20:21]
	s_and_b64 s[8:9], s[8:9], exec
	s_or_saveexec_b64 s[12:13], s[12:13]
	v_mov_b32_e32 v31, s26
	s_xor_b64 exec, exec, s[12:13]
	s_cbranch_execz .LBB309_807
.LBB309_1066:                           ;   in Loop: Header=BB309_555 Depth=1
	v_cmp_ne_u16_e64 s[0:1], 0, v10
	s_andn2_b64 s[8:9], s[8:9], exec
	s_and_b64 s[0:1], s[0:1], exec
	v_mov_b32_e32 v31, 0
	s_or_b64 s[8:9], s[8:9], s[0:1]
	s_or_b64 exec, exec, s[12:13]
	s_and_saveexec_b64 s[12:13], s[8:9]
	s_cbranch_execnz .LBB309_808
	s_branch .LBB309_809
.LBB309_1067:                           ;   in Loop: Header=BB309_555 Depth=1
	v_cmp_eq_u16_sdwa s[26:27], v25, s15 src0_sel:BYTE_0 src1_sel:DWORD
	s_mov_b64 s[0:1], -1
                                        ; implicit-def: $sgpr20
	s_and_saveexec_b64 s[12:13], s[26:27]
; %bb.1068:                             ;   in Loop: Header=BB309_555 Depth=1
	s_mov_b32 s20, 0x7fc02000
	s_xor_b64 s[0:1], exec, -1
; %bb.1069:                             ;   in Loop: Header=BB309_555 Depth=1
	s_or_b64 exec, exec, s[12:13]
	s_and_b64 s[0:1], s[0:1], exec
	s_or_saveexec_b64 s[8:9], s[8:9]
	v_mov_b32_e32 v19, s20
	s_xor_b64 exec, exec, s[8:9]
	s_cbranch_execz .LBB309_811
.LBB309_1070:                           ;   in Loop: Header=BB309_555 Depth=1
	v_cmp_ne_u16_sdwa s[12:13], v25, v11 src0_sel:BYTE_0 src1_sel:DWORD
	s_andn2_b64 s[0:1], s[0:1], exec
	s_and_b64 s[12:13], s[12:13], exec
	v_mov_b32_e32 v19, 0
	s_or_b64 s[0:1], s[0:1], s[12:13]
	s_or_b64 exec, exec, s[8:9]
	v_mov_b32_e32 v10, v25
	s_and_saveexec_b64 s[8:9], s[0:1]
	s_cbranch_execnz .LBB309_812
	s_branch .LBB309_813
.LBB309_1071:                           ;   in Loop: Header=BB309_555 Depth=1
	v_cmp_eq_u16_e64 s[0:1], s15, v10
	s_mov_b64 s[8:9], -1
                                        ; implicit-def: $sgpr26
	s_and_saveexec_b64 s[20:21], s[0:1]
; %bb.1072:                             ;   in Loop: Header=BB309_555 Depth=1
	s_mov_b32 s26, 0x7fc02000
	s_xor_b64 s[8:9], exec, -1
; %bb.1073:                             ;   in Loop: Header=BB309_555 Depth=1
	s_or_b64 exec, exec, s[20:21]
	s_and_b64 s[8:9], s[8:9], exec
	s_or_saveexec_b64 s[12:13], s[12:13]
	v_mov_b32_e32 v24, s26
	s_xor_b64 exec, exec, s[12:13]
	s_cbranch_execz .LBB309_815
.LBB309_1074:                           ;   in Loop: Header=BB309_555 Depth=1
	v_cmp_ne_u16_e64 s[0:1], 0, v10
	s_andn2_b64 s[8:9], s[8:9], exec
	s_and_b64 s[0:1], s[0:1], exec
	v_mov_b32_e32 v24, 0
	s_or_b64 s[8:9], s[8:9], s[0:1]
	s_or_b64 exec, exec, s[12:13]
	s_and_saveexec_b64 s[12:13], s[8:9]
	s_cbranch_execnz .LBB309_816
	s_branch .LBB309_817
.LBB309_1075:                           ;   in Loop: Header=BB309_555 Depth=1
	v_cmp_eq_u16_sdwa s[26:27], v10, s15 src0_sel:BYTE_0 src1_sel:DWORD
	s_mov_b64 s[0:1], -1
                                        ; implicit-def: $sgpr20
	s_and_saveexec_b64 s[12:13], s[26:27]
; %bb.1076:                             ;   in Loop: Header=BB309_555 Depth=1
	s_mov_b32 s20, 0x7fc02000
	s_xor_b64 s[0:1], exec, -1
; %bb.1077:                             ;   in Loop: Header=BB309_555 Depth=1
	s_or_b64 exec, exec, s[12:13]
	s_and_b64 s[0:1], s[0:1], exec
	s_or_saveexec_b64 s[8:9], s[8:9]
	v_mov_b32_e32 v26, s20
	s_xor_b64 exec, exec, s[8:9]
	s_cbranch_execz .LBB309_819
.LBB309_1078:                           ;   in Loop: Header=BB309_555 Depth=1
	v_cmp_ne_u16_sdwa s[12:13], v10, v11 src0_sel:BYTE_0 src1_sel:DWORD
	s_andn2_b64 s[0:1], s[0:1], exec
	s_and_b64 s[12:13], s[12:13], exec
	v_mov_b32_e32 v26, 0
	s_or_b64 s[0:1], s[0:1], s[12:13]
	s_or_b64 exec, exec, s[8:9]
	s_and_saveexec_b64 s[8:9], s[0:1]
	s_cbranch_execnz .LBB309_820
	s_branch .LBB309_821
.LBB309_1079:                           ;   in Loop: Header=BB309_555 Depth=1
	v_cmp_eq_u16_e64 s[0:1], s15, v10
	s_mov_b64 s[8:9], -1
                                        ; implicit-def: $sgpr26
	s_and_saveexec_b64 s[20:21], s[0:1]
; %bb.1080:                             ;   in Loop: Header=BB309_555 Depth=1
	s_mov_b32 s26, 0x7fc02000
	s_xor_b64 s[8:9], exec, -1
; %bb.1081:                             ;   in Loop: Header=BB309_555 Depth=1
	s_or_b64 exec, exec, s[20:21]
	s_and_b64 s[8:9], s[8:9], exec
	s_or_saveexec_b64 s[12:13], s[12:13]
	v_mov_b32_e32 v32, s26
	s_xor_b64 exec, exec, s[12:13]
	s_cbranch_execz .LBB309_823
.LBB309_1082:                           ;   in Loop: Header=BB309_555 Depth=1
	v_cmp_ne_u16_e64 s[0:1], 0, v10
	s_andn2_b64 s[8:9], s[8:9], exec
	s_and_b64 s[0:1], s[0:1], exec
	v_mov_b32_e32 v32, 0
	s_or_b64 s[8:9], s[8:9], s[0:1]
	s_or_b64 exec, exec, s[12:13]
	s_and_saveexec_b64 s[12:13], s[8:9]
	s_cbranch_execnz .LBB309_824
	s_branch .LBB309_825
.LBB309_1083:
	s_or_b64 exec, exec, s[6:7]
.LBB309_1084:
	s_or_b64 exec, exec, s[4:5]
	ds_bpermute_b32 v6, v34, v8
	ds_bpermute_b32 v7, v34, v9
	ds_bpermute_b32 v4, v34, v12
	ds_bpermute_b32 v5, v34, v13
	ds_bpermute_b32 v14, v34, v0
	ds_bpermute_b32 v15, v34, v1
	s_waitcnt lgkmcnt(0)
	v_pk_add_f32 v[6:7], v[8:9], v[6:7]
	ds_bpermute_b32 v8, v34, v2
	ds_bpermute_b32 v9, v34, v3
	v_pk_add_f32 v[4:5], v[12:13], v[4:5]
	ds_bpermute_b32 v10, v35, v4
	ds_bpermute_b32 v11, v35, v5
	v_pk_add_f32 v[0:1], v[0:1], v[14:15]
	s_waitcnt lgkmcnt(0)
	v_pk_add_f32 v[2:3], v[2:3], v[8:9]
	ds_bpermute_b32 v12, v35, v6
	ds_bpermute_b32 v13, v35, v7
	;; [unrolled: 1-line block ×6, first 2 shown]
	v_pk_add_f32 v[8:9], v[4:5], v[10:11]
	v_accvgpr_read_b32 v4, a2
	v_and_b32_e32 v4, 0x3c3, v4
	s_waitcnt lgkmcnt(0)
	v_pk_add_f32 v[6:7], v[6:7], v[12:13]
	v_pk_add_f32 v[2:3], v[2:3], v[16:17]
	;; [unrolled: 1-line block ×3, first 2 shown]
	v_cmp_eq_u32_e32 vcc, 64, v4
	s_barrier
	s_and_saveexec_b64 s[0:1], vcc
	s_cbranch_execz .LBB309_1086
; %bb.1085:
	s_ashr_i32 s17, s16, 31
	s_lshl_b64 s[4:5], s[16:17], 2
	s_getpc_b64 s[6:7]
	s_add_u32 s6, s6, llvm.amdgcn.dynlds.offset.table@rel32@lo+4
	s_addc_u32 s7, s7, llvm.amdgcn.dynlds.offset.table@rel32@hi+12
	s_add_u32 s4, s4, s6
	s_addc_u32 s5, s5, s7
	s_load_dword s3, s[4:5], 0x0
	s_waitcnt lgkmcnt(0)
	v_add_u32_e32 v5, s3, v23
	ds_write2_b32 v5, v8, v9 offset1:16
	ds_write2_b32 v5, v6, v7 offset0:32 offset1:48
	ds_write2_b32 v5, v2, v3 offset0:64 offset1:80
	;; [unrolled: 1-line block ×3, first 2 shown]
.LBB309_1086:
	s_or_b64 exec, exec, s[0:1]
	v_accvgpr_read_b32 v5, a2
	v_cmp_gt_u32_e32 vcc, 64, v5
	s_waitcnt lgkmcnt(0)
	s_barrier
	s_and_saveexec_b64 s[0:1], vcc
	s_cbranch_execz .LBB309_1097
; %bb.1087:
	v_accvgpr_read_b32 v5, a2
	v_cmp_eq_u32_e32 vcc, 0, v36
	v_lshrrev_b32_e32 v5, 2, v5
	s_and_saveexec_b64 s[4:5], vcc
	s_cbranch_execnz .LBB309_1100
; %bb.1088:
	s_or_b64 exec, exec, s[4:5]
	s_and_saveexec_b64 s[4:5], vcc
	s_cbranch_execnz .LBB309_1101
.LBB309_1089:
	s_or_b64 exec, exec, s[4:5]
	s_and_saveexec_b64 s[4:5], vcc
	s_cbranch_execnz .LBB309_1102
.LBB309_1090:
	s_or_b64 exec, exec, s[4:5]
	s_and_saveexec_b64 s[4:5], vcc
	s_cbranch_execnz .LBB309_1103
.LBB309_1091:
	s_or_b64 exec, exec, s[4:5]
	s_and_saveexec_b64 s[4:5], vcc
	s_cbranch_execnz .LBB309_1104
.LBB309_1092:
	s_or_b64 exec, exec, s[4:5]
	s_and_saveexec_b64 s[4:5], vcc
	s_cbranch_execnz .LBB309_1105
.LBB309_1093:
	s_or_b64 exec, exec, s[4:5]
	s_and_saveexec_b64 s[4:5], vcc
	s_cbranch_execnz .LBB309_1106
.LBB309_1094:
	s_or_b64 exec, exec, s[4:5]
	s_and_saveexec_b64 s[4:5], vcc
	s_cbranch_execz .LBB309_1096
.LBB309_1095:
	s_ashr_i32 s17, s16, 31
	s_lshl_b64 s[6:7], s[16:17], 2
	s_getpc_b64 s[8:9]
	s_add_u32 s8, s8, llvm.amdgcn.dynlds.offset.table@rel32@lo+4
	s_addc_u32 s9, s9, llvm.amdgcn.dynlds.offset.table@rel32@hi+12
	s_add_u32 s6, s6, s8
	s_addc_u32 s7, s7, s9
	s_load_dword s3, s[6:7], 0x0
	s_waitcnt lgkmcnt(0)
	v_lshl_add_u32 v5, v5, 2, s3
	ds_read_b32 v5, v5 offset:448
	s_waitcnt lgkmcnt(0)
	v_add_f32_e32 v1, v1, v5
.LBB309_1096:
	s_or_b64 exec, exec, s[4:5]
.LBB309_1097:
	s_or_b64 exec, exec, s[0:1]
	v_cmp_eq_u32_e32 vcc, 0, v4
	s_barrier
	s_and_b64 exec, exec, vcc
	s_cbranch_execz .LBB309_1099
; %bb.1098:
	s_lshl_b32 s0, s2, 7
	s_mul_i32 s2, s18, s19
	s_lshl_b32 s4, s14, 7
	s_ashr_i32 s1, s0, 31
	s_ashr_i32 s3, s2, 31
	;; [unrolled: 1-line block ×3, first 2 shown]
	s_lshl_b64 s[0:1], s[0:1], 1
	s_lshl_b64 s[2:3], s[2:3], 1
	;; [unrolled: 1-line block ×3, first 2 shown]
	s_add_u32 s2, s4, s2
	s_addc_u32 s3, s5, s3
	s_add_u32 s0, s2, s0
	v_accvgpr_read_b32 v5, a1
	s_addc_u32 s1, s3, s1
	v_accvgpr_read_b32 v4, a0
	v_accvgpr_read_b32 v10, a2
	v_lshl_add_u64 v[4:5], s[0:1], 0, v[4:5]
	v_lshrrev_b32_e32 v10, 1, v10
	v_mov_b32_e32 v11, 0
	v_lshl_add_u64 v[4:5], v[4:5], 0, v[10:11]
	;;#ASMSTART
	v_cvt_f16_f32 v8, v8;

	;;#ASMEND
	flat_store_short v[4:5], v8
	;;#ASMSTART
	v_cvt_f16_f32 v8, v9;

	;;#ASMEND
	flat_store_short v[4:5], v8 offset:32
	;;#ASMSTART
	v_cvt_f16_f32 v6, v6;

	;;#ASMEND
	flat_store_short v[4:5], v6 offset:64
	;; [unrolled: 5-line block ×7, first 2 shown]
.LBB309_1099:
	s_or_b64 exec, exec, s[10:11]
	scratch_load_dword a51, off, s32        ; 4-byte Folded Reload
	scratch_load_dword a50, off, s32 offset:4 ; 4-byte Folded Reload
	scratch_load_dword a49, off, s32 offset:8 ; 4-byte Folded Reload
	;; [unrolled: 1-line block ×34, first 2 shown]
	v_readlane_b32 s30, v63, 4
	v_readlane_b32 s31, v63, 5
	;; [unrolled: 1-line block ×6, first 2 shown]
	s_or_saveexec_b64 s[0:1], -1
	scratch_load_dword v63, off, s32 offset:168 ; 4-byte Folded Reload
	s_mov_b64 exec, s[0:1]
	s_waitcnt vmcnt(0) lgkmcnt(0)
	s_setpc_b64 s[30:31]
.LBB309_1100:
	s_ashr_i32 s17, s16, 31
	s_lshl_b64 s[6:7], s[16:17], 2
	s_getpc_b64 s[8:9]
	s_add_u32 s8, s8, llvm.amdgcn.dynlds.offset.table@rel32@lo+4
	s_addc_u32 s9, s9, llvm.amdgcn.dynlds.offset.table@rel32@hi+12
	s_add_u32 s6, s6, s8
	s_addc_u32 s7, s7, s9
	s_load_dword s3, s[6:7], 0x0
	s_waitcnt lgkmcnt(0)
	v_lshl_add_u32 v10, v5, 2, s3
	ds_read_b32 v10, v10
	s_waitcnt lgkmcnt(0)
	v_add_f32_e32 v8, v8, v10
	s_or_b64 exec, exec, s[4:5]
	s_and_saveexec_b64 s[4:5], vcc
	s_cbranch_execz .LBB309_1089
.LBB309_1101:
	s_ashr_i32 s17, s16, 31
	s_lshl_b64 s[6:7], s[16:17], 2
	s_getpc_b64 s[8:9]
	s_add_u32 s8, s8, llvm.amdgcn.dynlds.offset.table@rel32@lo+4
	s_addc_u32 s9, s9, llvm.amdgcn.dynlds.offset.table@rel32@hi+12
	s_add_u32 s6, s6, s8
	s_addc_u32 s7, s7, s9
	s_load_dword s3, s[6:7], 0x0
	s_waitcnt lgkmcnt(0)
	v_lshl_add_u32 v10, v5, 2, s3
	ds_read_b32 v10, v10 offset:64
	s_waitcnt lgkmcnt(0)
	v_add_f32_e32 v9, v9, v10
	s_or_b64 exec, exec, s[4:5]
	s_and_saveexec_b64 s[4:5], vcc
	s_cbranch_execz .LBB309_1090
.LBB309_1102:
	s_ashr_i32 s17, s16, 31
	s_lshl_b64 s[6:7], s[16:17], 2
	s_getpc_b64 s[8:9]
	s_add_u32 s8, s8, llvm.amdgcn.dynlds.offset.table@rel32@lo+4
	s_addc_u32 s9, s9, llvm.amdgcn.dynlds.offset.table@rel32@hi+12
	s_add_u32 s6, s6, s8
	s_addc_u32 s7, s7, s9
	s_load_dword s3, s[6:7], 0x0
	s_waitcnt lgkmcnt(0)
	v_lshl_add_u32 v10, v5, 2, s3
	ds_read_b32 v10, v10 offset:128
	s_waitcnt lgkmcnt(0)
	v_add_f32_e32 v6, v6, v10
	s_or_b64 exec, exec, s[4:5]
	s_and_saveexec_b64 s[4:5], vcc
	s_cbranch_execz .LBB309_1091
.LBB309_1103:
	s_ashr_i32 s17, s16, 31
	s_lshl_b64 s[6:7], s[16:17], 2
	s_getpc_b64 s[8:9]
	s_add_u32 s8, s8, llvm.amdgcn.dynlds.offset.table@rel32@lo+4
	s_addc_u32 s9, s9, llvm.amdgcn.dynlds.offset.table@rel32@hi+12
	s_add_u32 s6, s6, s8
	s_addc_u32 s7, s7, s9
	s_load_dword s3, s[6:7], 0x0
	s_waitcnt lgkmcnt(0)
	v_lshl_add_u32 v10, v5, 2, s3
	ds_read_b32 v10, v10 offset:192
	s_waitcnt lgkmcnt(0)
	v_add_f32_e32 v7, v7, v10
	s_or_b64 exec, exec, s[4:5]
	s_and_saveexec_b64 s[4:5], vcc
	s_cbranch_execz .LBB309_1092
.LBB309_1104:
	s_ashr_i32 s17, s16, 31
	s_lshl_b64 s[6:7], s[16:17], 2
	s_getpc_b64 s[8:9]
	s_add_u32 s8, s8, llvm.amdgcn.dynlds.offset.table@rel32@lo+4
	s_addc_u32 s9, s9, llvm.amdgcn.dynlds.offset.table@rel32@hi+12
	s_add_u32 s6, s6, s8
	s_addc_u32 s7, s7, s9
	s_load_dword s3, s[6:7], 0x0
	s_waitcnt lgkmcnt(0)
	v_lshl_add_u32 v10, v5, 2, s3
	ds_read_b32 v10, v10 offset:256
	s_waitcnt lgkmcnt(0)
	v_add_f32_e32 v2, v2, v10
	s_or_b64 exec, exec, s[4:5]
	s_and_saveexec_b64 s[4:5], vcc
	s_cbranch_execz .LBB309_1093
.LBB309_1105:
	s_ashr_i32 s17, s16, 31
	s_lshl_b64 s[6:7], s[16:17], 2
	s_getpc_b64 s[8:9]
	s_add_u32 s8, s8, llvm.amdgcn.dynlds.offset.table@rel32@lo+4
	s_addc_u32 s9, s9, llvm.amdgcn.dynlds.offset.table@rel32@hi+12
	s_add_u32 s6, s6, s8
	s_addc_u32 s7, s7, s9
	s_load_dword s3, s[6:7], 0x0
	s_waitcnt lgkmcnt(0)
	v_lshl_add_u32 v10, v5, 2, s3
	ds_read_b32 v10, v10 offset:320
	s_waitcnt lgkmcnt(0)
	v_add_f32_e32 v3, v3, v10
	s_or_b64 exec, exec, s[4:5]
	s_and_saveexec_b64 s[4:5], vcc
	s_cbranch_execz .LBB309_1094
.LBB309_1106:
	s_ashr_i32 s17, s16, 31
	s_lshl_b64 s[6:7], s[16:17], 2
	s_getpc_b64 s[8:9]
	s_add_u32 s8, s8, llvm.amdgcn.dynlds.offset.table@rel32@lo+4
	s_addc_u32 s9, s9, llvm.amdgcn.dynlds.offset.table@rel32@hi+12
	s_add_u32 s6, s6, s8
	s_addc_u32 s7, s7, s9
	s_load_dword s3, s[6:7], 0x0
	s_waitcnt lgkmcnt(0)
	v_lshl_add_u32 v10, v5, 2, s3
	ds_read_b32 v10, v10 offset:384
	s_waitcnt lgkmcnt(0)
	v_add_f32_e32 v0, v0, v10
	s_or_b64 exec, exec, s[4:5]
	s_and_saveexec_b64 s[4:5], vcc
	s_cbranch_execnz .LBB309_1095
	s_branch .LBB309_1096
.Lfunc_end309:
	.size	_ZN4vllm22paged_attention_kernelIthLi128ELi32ELi128ELNS_18Fp8KVCacheDataTypeE1ELb0ELi512EEEvPfS2_PT_PKS3_PKT0_S9_ifPKiSB_iPKfiiiSD_SD_iiiii, .Lfunc_end309-_ZN4vllm22paged_attention_kernelIthLi128ELi32ELi128ELNS_18Fp8KVCacheDataTypeE1ELb0ELi512EEEvPfS2_PT_PKS3_PKT0_S9_ifPKiSB_iPKfiiiSD_SD_iiiii
                                        ; -- End function
	.section	.AMDGPU.csdata,"",@progbits
; Function info:
; codeLenInByte = 45996
; NumSgprs: 44
; NumVgprs: 64
; NumAgprs: 52
; TotalNumVgprs: 116
; ScratchSize: 176
; MemoryBound: 0
	.section	.text._ZN4vllm25paged_attention_v2_kernelIthLi128ELi32ELi128ELNS_18Fp8KVCacheDataTypeE1ELb0ELi512EEEvPfS2_PT_PKS3_PKT0_S9_ifPKiSB_iPKfiiiSD_SD_iiiii,"axG",@progbits,_ZN4vllm25paged_attention_v2_kernelIthLi128ELi32ELi128ELNS_18Fp8KVCacheDataTypeE1ELb0ELi512EEEvPfS2_PT_PKS3_PKT0_S9_ifPKiSB_iPKfiiiSD_SD_iiiii,comdat
	.protected	_ZN4vllm25paged_attention_v2_kernelIthLi128ELi32ELi128ELNS_18Fp8KVCacheDataTypeE1ELb0ELi512EEEvPfS2_PT_PKS3_PKT0_S9_ifPKiSB_iPKfiiiSD_SD_iiiii ; -- Begin function _ZN4vllm25paged_attention_v2_kernelIthLi128ELi32ELi128ELNS_18Fp8KVCacheDataTypeE1ELb0ELi512EEEvPfS2_PT_PKS3_PKT0_S9_ifPKiSB_iPKfiiiSD_SD_iiiii
	.globl	_ZN4vllm25paged_attention_v2_kernelIthLi128ELi32ELi128ELNS_18Fp8KVCacheDataTypeE1ELb0ELi512EEEvPfS2_PT_PKS3_PKT0_S9_ifPKiSB_iPKfiiiSD_SD_iiiii
	.p2align	8
	.type	_ZN4vllm25paged_attention_v2_kernelIthLi128ELi32ELi128ELNS_18Fp8KVCacheDataTypeE1ELb0ELi512EEEvPfS2_PT_PKS3_PKT0_S9_ifPKiSB_iPKfiiiSD_SD_iiiii,@function
_ZN4vllm25paged_attention_v2_kernelIthLi128ELi32ELi128ELNS_18Fp8KVCacheDataTypeE1ELb0ELi512EEEvPfS2_PT_PKS3_PKT0_S9_ifPKiSB_iPKfiiiSD_SD_iiiii: ; @_ZN4vllm25paged_attention_v2_kernelIthLi128ELi32ELi128ELNS_18Fp8KVCacheDataTypeE1ELb0ELi512EEEvPfS2_PT_PKS3_PKT0_S9_ifPKiSB_iPKfiiiSD_SD_iiiii
; %bb.0:
	s_load_dwordx8 s[24:31], s[0:1], 0x0
	s_load_dwordx8 s[16:23], s[0:1], 0x20
	s_load_dwordx2 s[6:7], s[0:1], 0x40
	s_load_dwordx2 s[10:11], s[0:1], 0x50
	s_load_dword s5, s[0:1], 0x48
	s_load_dwordx8 s[36:43], s[0:1], 0x58
	s_add_u32 s8, s0, 0x90
	s_addc_u32 s9, s1, 0
	s_mov_b32 s12, s2
	s_mov_b32 s13, s3
	;; [unrolled: 1-line block ×4, first 2 shown]
	v_mov_b32_e32 v31, v0
	s_waitcnt lgkmcnt(0)
	v_mov_b32_e32 v0, s24
	v_mov_b32_e32 v1, s25
	;; [unrolled: 1-line block ×28, first 2 shown]
	s_mov_b32 s32, 0
	s_getpc_b64 s[0:1]
	s_add_u32 s0, s0, _ZN4vllm22paged_attention_kernelIthLi128ELi32ELi128ELNS_18Fp8KVCacheDataTypeE1ELb0ELi512EEEvPfS2_PT_PKS3_PKT0_S9_ifPKiSB_iPKfiiiSD_SD_iiiii@rel32@lo+4
	s_addc_u32 s1, s1, _ZN4vllm22paged_attention_kernelIthLi128ELi32ELi128ELNS_18Fp8KVCacheDataTypeE1ELb0ELi512EEEvPfS2_PT_PKS3_PKT0_S9_ifPKiSB_iPKfiiiSD_SD_iiiii@rel32@hi+12
	s_swappc_b64 s[30:31], s[0:1]
	s_endpgm
	.section	.rodata,"a",@progbits
	.p2align	6, 0x0
	.amdhsa_kernel _ZN4vllm25paged_attention_v2_kernelIthLi128ELi32ELi128ELNS_18Fp8KVCacheDataTypeE1ELb0ELi512EEEvPfS2_PT_PKS3_PKT0_S9_ifPKiSB_iPKfiiiSD_SD_iiiii
		.amdhsa_group_segment_fixed_size 272
		.amdhsa_private_segment_fixed_size 176
		.amdhsa_kernarg_size 400
		.amdhsa_user_sgpr_count 2
		.amdhsa_user_sgpr_dispatch_ptr 0
		.amdhsa_user_sgpr_queue_ptr 0
		.amdhsa_user_sgpr_kernarg_segment_ptr 1
		.amdhsa_user_sgpr_dispatch_id 0
		.amdhsa_user_sgpr_kernarg_preload_length 0
		.amdhsa_user_sgpr_kernarg_preload_offset 0
		.amdhsa_user_sgpr_private_segment_size 0
		.amdhsa_uses_dynamic_stack 0
		.amdhsa_enable_private_segment 1
		.amdhsa_system_sgpr_workgroup_id_x 1
		.amdhsa_system_sgpr_workgroup_id_y 1
		.amdhsa_system_sgpr_workgroup_id_z 1
		.amdhsa_system_sgpr_workgroup_info 0
		.amdhsa_system_vgpr_workitem_id 0
		.amdhsa_next_free_vgpr 116
		.amdhsa_next_free_sgpr 44
		.amdhsa_accum_offset 64
		.amdhsa_reserve_vcc 1
		.amdhsa_float_round_mode_32 0
		.amdhsa_float_round_mode_16_64 0
		.amdhsa_float_denorm_mode_32 3
		.amdhsa_float_denorm_mode_16_64 3
		.amdhsa_dx10_clamp 1
		.amdhsa_ieee_mode 1
		.amdhsa_fp16_overflow 0
		.amdhsa_tg_split 0
		.amdhsa_exception_fp_ieee_invalid_op 0
		.amdhsa_exception_fp_denorm_src 0
		.amdhsa_exception_fp_ieee_div_zero 0
		.amdhsa_exception_fp_ieee_overflow 0
		.amdhsa_exception_fp_ieee_underflow 0
		.amdhsa_exception_fp_ieee_inexact 0
		.amdhsa_exception_int_div_zero 0
	.end_amdhsa_kernel
	.section	.text._ZN4vllm25paged_attention_v2_kernelIthLi128ELi32ELi128ELNS_18Fp8KVCacheDataTypeE1ELb0ELi512EEEvPfS2_PT_PKS3_PKT0_S9_ifPKiSB_iPKfiiiSD_SD_iiiii,"axG",@progbits,_ZN4vllm25paged_attention_v2_kernelIthLi128ELi32ELi128ELNS_18Fp8KVCacheDataTypeE1ELb0ELi512EEEvPfS2_PT_PKS3_PKT0_S9_ifPKiSB_iPKfiiiSD_SD_iiiii,comdat
.Lfunc_end310:
	.size	_ZN4vllm25paged_attention_v2_kernelIthLi128ELi32ELi128ELNS_18Fp8KVCacheDataTypeE1ELb0ELi512EEEvPfS2_PT_PKS3_PKT0_S9_ifPKiSB_iPKfiiiSD_SD_iiiii, .Lfunc_end310-_ZN4vllm25paged_attention_v2_kernelIthLi128ELi32ELi128ELNS_18Fp8KVCacheDataTypeE1ELb0ELi512EEEvPfS2_PT_PKS3_PKT0_S9_ifPKiSB_iPKfiiiSD_SD_iiiii
                                        ; -- End function
	.section	.AMDGPU.csdata,"",@progbits
; Kernel info:
; codeLenInByte = 228
; NumSgprs: 50
; NumVgprs: 64
; NumAgprs: 52
; TotalNumVgprs: 116
; ScratchSize: 176
; MemoryBound: 0
; FloatMode: 240
; IeeeMode: 1
; LDSByteSize: 272 bytes/workgroup (compile time only)
; SGPRBlocks: 6
; VGPRBlocks: 14
; NumSGPRsForWavesPerEU: 50
; NumVGPRsForWavesPerEU: 116
; AccumOffset: 64
; Occupancy: 4
; WaveLimiterHint : 1
; COMPUTE_PGM_RSRC2:SCRATCH_EN: 1
; COMPUTE_PGM_RSRC2:USER_SGPR: 2
; COMPUTE_PGM_RSRC2:TRAP_HANDLER: 0
; COMPUTE_PGM_RSRC2:TGID_X_EN: 1
; COMPUTE_PGM_RSRC2:TGID_Y_EN: 1
; COMPUTE_PGM_RSRC2:TGID_Z_EN: 1
; COMPUTE_PGM_RSRC2:TIDIG_COMP_CNT: 0
; COMPUTE_PGM_RSRC3_GFX90A:ACCUM_OFFSET: 15
; COMPUTE_PGM_RSRC3_GFX90A:TG_SPLIT: 0
	.text
	.p2align	2                               ; -- Begin function _ZN4vllm22paged_attention_kernelIthLi192ELi32ELi128ELNS_18Fp8KVCacheDataTypeE1ELb0ELi512EEEvPfS2_PT_PKS3_PKT0_S9_ifPKiSB_iPKfiiiSD_SD_iiiii
	.type	_ZN4vllm22paged_attention_kernelIthLi192ELi32ELi128ELNS_18Fp8KVCacheDataTypeE1ELb0ELi512EEEvPfS2_PT_PKS3_PKT0_S9_ifPKiSB_iPKfiiiSD_SD_iiiii,@function
_ZN4vllm22paged_attention_kernelIthLi192ELi32ELi128ELNS_18Fp8KVCacheDataTypeE1ELb0ELi512EEEvPfS2_PT_PKS3_PKT0_S9_ifPKiSB_iPKfiiiSD_SD_iiiii: ; @_ZN4vllm22paged_attention_kernelIthLi192ELi32ELi128ELNS_18Fp8KVCacheDataTypeE1ELb0ELi512EEEvPfS2_PT_PKS3_PKT0_S9_ifPKiSB_iPKfiiiSD_SD_iiiii
; %bb.0:
	s_waitcnt vmcnt(0) expcnt(0) lgkmcnt(0)
	s_or_saveexec_b64 s[0:1], -1
	scratch_store_dword off, v63, s32 offset:440 ; 4-byte Folded Spill
	s_mov_b64 exec, s[0:1]
	scratch_store_dword off, v40, s32 offset:184 ; 4-byte Folded Spill
	scratch_store_dword off, v41, s32 offset:180 ; 4-byte Folded Spill
	;; [unrolled: 1-line block ×46, first 2 shown]
	scratch_store_dword off, a63, s32       ; 4-byte Folded Spill
	v_writelane_b32 v63, s34, 0
	v_writelane_b32 v63, s35, 1
	v_writelane_b32 v63, s36, 2
	v_writelane_b32 v63, s37, 3
	v_writelane_b32 v63, s38, 4
	v_writelane_b32 v63, s39, 5
	v_writelane_b32 v63, s40, 6
	v_writelane_b32 v63, s41, 7
	v_writelane_b32 v63, s42, 8
	v_writelane_b32 v63, s43, 9
	v_writelane_b32 v63, s44, 10
	v_writelane_b32 v63, s45, 11
	v_writelane_b32 v63, s30, 12
	s_nop 1
	v_writelane_b32 v63, s31, 13
	s_mov_b32 s20, s13
	s_ashr_i32 s21, s13, 31
	scratch_store_dwordx2 off, v[14:15], s32 offset:364 ; 8-byte Folded Spill
	scratch_store_dword off, v13, s32 offset:352 ; 4-byte Folded Spill
	scratch_store_dwordx2 off, v[10:11], s32 offset:384 ; 8-byte Folded Spill
	scratch_store_dwordx2 off, v[4:5], s32 offset:376 ; 8-byte Folded Spill
	v_lshl_add_u64 v[4:5], s[20:21], 2, v[16:17]
	flat_load_dword v4, v[4:5]
	v_accvgpr_write_b32 a4, v26
	v_accvgpr_write_b32 a27, v25
	s_lshl_b32 s21, s14, 9
	v_accvgpr_write_b32 a5, v27
	v_accvgpr_write_b32 a26, v24
	;; [unrolled: 1-line block ×3, first 2 shown]
	v_mov_b32_e32 v29, v20
	v_mov_b32_e32 v28, v19
	s_waitcnt vmcnt(0) lgkmcnt(0)
	v_accvgpr_write_b32 a8, v4
	v_cmp_lt_i32_e32 vcc, s21, v4
	s_and_saveexec_b64 s[10:11], vcc
	s_cbranch_execz .LBB311_1625
; %bb.1:
	scratch_store_dwordx2 off, v[2:3], s32 offset:432 ; 8-byte Folded Spill
	scratch_store_dwordx2 off, v[0:1], s32 offset:424 ; 8-byte Folded Spill
	v_sub_u32_e32 v0, 0, v12
	v_max_i32_e32 v0, v12, v0
	v_cvt_f32_u32_e32 v1, v0
	s_load_dword s0, s[8:9], 0x10
	s_load_dword s2, s[8:9], 0x0
	v_sub_u32_e32 v3, 0, v0
	s_mov_b32 s16, s15
	v_rcp_iflag_f32_e32 v1, v1
	s_waitcnt lgkmcnt(0)
	s_lshr_b32 s0, s0, 16
	s_cmp_lg_u32 s0, 0
	s_cselect_b64 s[0:1], -1, 0
	v_mul_f32_e32 v1, 0x4f7ffffe, v1
	v_cvt_u32_f32_e32 v1, v1
	s_cmp_lg_u64 s[0:1], 0
	s_addc_u32 s15, s2, 0
	s_abs_i32 s0, s15
	v_mul_lo_u32 v3, v3, v1
	v_mul_hi_u32 v3, v1, v3
	v_add_u32_e32 v1, v1, v3
	v_mul_hi_u32 v1, s0, v1
	v_mul_lo_u32 v3, v1, v0
	v_sub_u32_e32 v3, s0, v3
	v_add_u32_e32 v4, 1, v1
	v_cmp_ge_u32_e32 vcc, v3, v0
	v_xor_b32_e32 v2, s15, v12
	v_ashrrev_i32_e32 v2, 31, v2
	v_cndmask_b32_e32 v1, v1, v4, vcc
	v_sub_u32_e32 v4, v3, v0
	v_cndmask_b32_e32 v3, v3, v4, vcc
	v_add_u32_e32 v4, 1, v1
	v_cmp_ge_u32_e32 vcc, v3, v0
	s_abs_i32 s2, s12
	s_nop 0
	v_cndmask_b32_e32 v0, v1, v4, vcc
	v_xor_b32_e32 v0, v0, v2
	v_sub_u32_e32 v1, v0, v2
	v_sub_u32_e32 v0, 0, v1
	v_max_i32_e32 v0, v1, v0
	v_cvt_f32_u32_e32 v2, v0
	v_sub_u32_e32 v3, 0, v0
	v_cmp_ne_u64_e32 vcc, 0, v[28:29]
	v_rcp_iflag_f32_e32 v2, v2
	s_nop 0
	v_mul_f32_e32 v2, 0x4f7ffffe, v2
	v_cvt_u32_f32_e32 v2, v2
	v_mul_lo_u32 v3, v3, v2
	v_mul_hi_u32 v3, v2, v3
	v_add_u32_e32 v2, v2, v3
	v_mad_u64_u32 v[32:33], s[0:1], s2, v2, 0
	v_mov_b32_e32 v2, 0
	scratch_store_dword off, v2, s32 offset:348 ; 4-byte Folded Spill
	s_and_saveexec_b64 s[0:1], vcc
	s_cbranch_execz .LBB311_3
; %bb.2:
	s_ashr_i32 s13, s12, 31
	v_lshl_add_u64 v[2:3], s[12:13], 2, v[28:29]
	flat_load_dword v2, v[2:3]
	s_waitcnt vmcnt(0) lgkmcnt(0)
	scratch_store_dword off, v2, s32 offset:348 ; 4-byte Folded Spill
.LBB311_3:
	s_or_b64 exec, exec, s[0:1]
	v_and_b32_e32 v19, 0x3ff, v31
	s_ashr_i32 s3, s12, 31
	v_ashrrev_i32_e32 v2, 31, v1
	v_and_b32_e32 v1, 1, v19
	s_movk_i32 s4, 0xc0
	s_mul_i32 s18, s12, 0xc0
	v_cmp_gt_u32_e32 vcc, 48, v19
	v_lshlrev_b32_e32 v4, 3, v19
	scratch_store_dwordx2 off, v[4:5], s32 offset:412 ; 8-byte Folded Spill
	s_and_saveexec_b64 s[0:1], vcc
	s_cbranch_execz .LBB311_5
; %bb.4:
	v_mul_lo_u32 v4, s20, v21
	v_ashrrev_i32_e32 v5, 31, v4
	v_lshl_add_u64 v[4:5], v[4:5], 1, v[6:7]
	s_ashr_i32 s19, s18, 31
	v_lshl_add_u64 v[4:5], s[18:19], 1, v[4:5]
	v_lshlrev_b32_e32 v6, 3, v19
	v_mov_b32_e32 v7, 0
	v_lshl_add_u64 v[4:5], v[4:5], 0, v[6:7]
	flat_load_dwordx2 v[4:5], v[4:5]
	v_lshlrev_b32_e32 v3, 2, v19
	v_and_b32_e32 v3, 0xff8, v3
	v_mov_b32_e32 v10, v6
	v_mad_u32_u24 v3, v1, s4, v3
	scratch_store_dwordx2 off, v[10:11], s32 offset:412 ; 8-byte Folded Spill
	s_waitcnt vmcnt(0) lgkmcnt(0)
	ds_write_b64 v3, v[4:5]
.LBB311_5:
	s_or_b64 exec, exec, s[0:1]
	v_accvgpr_read_b32 v4, a8
	v_add_u32_e32 v3, 31, v4
	v_ashrrev_i32_e32 v4, 31, v3
	v_lshrrev_b32_e32 v4, 27, v4
	v_add_u32_e32 v3, v3, v4
	s_lshl_b32 s19, s14, 4
	v_ashrrev_i32_e32 v3, 5, v3
	s_add_i32 s0, s19, 16
	scratch_store_dword off, v3, s32 offset:420 ; 4-byte Folded Spill
	v_min_i32_e32 v6, s0, v3
	v_mul_lo_u32 v3, v33, v0
	v_sub_u32_e32 v3, s2, v3
	v_add_u32_e32 v4, 1, v33
	v_cmp_ge_u32_e32 vcc, v3, v0
	v_sub_u32_e32 v5, v3, v0
	v_xor_b32_e32 v2, s3, v2
	v_cndmask_b32_e32 v4, v33, v4, vcc
	v_cndmask_b32_e32 v3, v3, v5, vcc
	v_add_u32_e32 v5, 1, v4
	v_cmp_ge_u32_e32 vcc, v3, v0
	v_lshrrev_b32_e32 v7, 6, v19
	s_waitcnt lgkmcnt(0)
	v_cndmask_b32_e32 v0, v4, v5, vcc
	v_xor_b32_e32 v0, v0, v2
	v_mul_lo_u32 v4, s20, v18
	v_sub_u32_e32 v3, v0, v2
	v_ashrrev_i32_e32 v5, 31, v4
	v_or_b32_e32 v0, s19, v7
	s_barrier
	scratch_store_dwordx2 off, v[4:5], s32 offset:392 ; 8-byte Folded Spill
	scratch_store_dword off, v7, s32 offset:360 ; 4-byte Folded Spill
	v_cmp_lt_i32_e64 s[0:1], v0, v6
	v_mov_b32_e32 v4, v0
	v_cmp_ge_i32_e32 vcc, v0, v6
	v_mbcnt_lo_u32_b32 v2, -1, 0
	scratch_store_dword off, v6, s32 offset:320 ; 4-byte Folded Spill
                                        ; implicit-def: $sgpr4
                                        ; implicit-def: $agpr29
                                        ; implicit-def: $vgpr0
	s_and_saveexec_b64 s[2:3], vcc
	s_xor_b64 s[2:3], exec, s[2:3]
; %bb.6:
	v_mbcnt_hi_u32_b32 v0, -1, v2
	v_accvgpr_write_b32 a29, v0
	v_and_b32_e32 v0, 64, v0
                                        ; implicit-def: $vgpr1
	v_add_u32_e32 v0, 64, v0
	s_mov_b32 s4, 0xff7fffff
                                        ; kill: killed $vgpr1
                                        ; implicit-def: $vgpr1
                                        ; kill: killed $vgpr1
                                        ; implicit-def: $agpr26
                                        ; implicit-def: $vgpr8
                                        ; implicit-def: $vgpr1
                                        ; implicit-def: $vgpr2
; %bb.7:
	s_or_saveexec_b64 s[6:7], s[2:3]
	s_load_dword s40, s[8:9], 0x14
	s_load_dword s13, s[8:9], 0x8
	v_ashrrev_i32_e32 v5, 31, v4
	v_mul_lo_u32 v6, v3, v23
	v_accvgpr_write_b32 a11, v5
	v_lshrrev_b32_e32 v3, 6, v19
	v_mov_b32_e32 v10, s4
	v_accvgpr_write_b32 a10, v4
	v_ashrrev_i32_e32 v7, 31, v6
	v_lshlrev_b32_e32 v3, 5, v3
	scratch_store_dwordx2 off, v[6:7], s32 offset:404 ; 8-byte Folded Spill
	scratch_store_dword off, v3, s32 offset:400 ; 4-byte Folded Spill
	scratch_store_dword off, v19, s32 offset:372 ; 4-byte Folded Spill
	s_xor_b64 exec, exec, s[6:7]
	s_cbranch_execz .LBB311_781
; %bb.8:
	scratch_load_dwordx2 v[4:5], off, s32 offset:404 ; 8-byte Folded Reload
	scratch_load_dwordx2 v[6:7], off, s32 offset:392 ; 8-byte Folded Reload
	v_mul_u32_u24_e32 v0, 0xc0, v1
	scratch_store_dword off, v0, s32 offset:328 ; 4-byte Folded Spill
	scratch_load_dword v0, off, s32 offset:348 ; 4-byte Folded Reload
	v_bfe_u32 v3, v19, 1, 5
	v_cmp_eq_u32_e64 s[2:3], 0, v1
	s_ashr_i32 s17, s16, 31
	s_lshl_b64 s[8:9], s[16:17], 2
	s_getpc_b64 s[22:23]
	s_add_u32 s22, s22, llvm.amdgcn.dynlds.offset.table@rel32@lo+4
	s_addc_u32 s23, s23, llvm.amdgcn.dynlds.offset.table@rel32@hi+12
	s_add_u32 s8, s8, s22
	s_addc_u32 s9, s9, s23
	s_mov_b64 s[22:23], 0
	s_movk_i32 s17, 0x7f
	s_movk_i32 s41, 0x80
	s_mov_b32 s42, 0x8000
	s_mov_b64 s[24:25], 0x1000
	s_mov_b64 s[26:27], 0x1200
	;; [unrolled: 1-line block ×4, first 2 shown]
	v_mov_b32_e32 v31, 0x1c00
	s_waitcnt vmcnt(3)
	v_lshl_add_u64 v[4:5], v[8:9], 0, v[4:5]
	v_lshlrev_b32_e32 v8, 4, v3
	v_mov_b32_e32 v9, 0
	v_lshl_add_u64 v[4:5], v[4:5], 0, v[8:9]
	scratch_store_dwordx2 off, v[4:5], s32 offset:332 ; 8-byte Folded Spill
	v_lshlrev_b32_e32 v4, 2, v1
	v_mov_b32_e32 v5, v9
	scratch_store_dwordx2 off, v[4:5], s32 offset:340 ; 8-byte Folded Spill
	v_accvgpr_read_b32 v4, a10
	v_accvgpr_read_b32 v5, a11
	s_waitcnt vmcnt(2)
	v_cmp_neq_f32_e64 s[4:5], 0, v0
	v_lshlrev_b64 v[0:1], 2, v[4:5]
	v_lshl_add_u64 v[0:1], v[6:7], 2, v[0:1]
	scratch_load_dwordx2 v[6:7], off, s32 offset:364 ; 8-byte Folded Reload
	s_waitcnt vmcnt(0)
	v_lshl_add_u64 v[0:1], v[6:7], 0, v[0:1]
	v_accvgpr_write_b32 a37, v1
	v_accvgpr_write_b32 a36, v0
	v_accvgpr_read_b32 v0, a8
	v_sub_u32_e32 v0, 1, v0
	scratch_store_dword off, v0, s32 offset:356 ; 4-byte Folded Spill
	scratch_load_dword v0, off, s32 offset:400 ; 4-byte Folded Reload
	v_mov_b32_e32 v6, v4
	scratch_load_dword v1, off, s32 offset:360 ; 4-byte Folded Reload
	s_waitcnt vmcnt(1)
	v_add3_u32 v0, s21, v0, v3
	v_accvgpr_write_b32 a38, v0
	v_lshlrev_b32_e32 v0, 2, v3
	s_waitcnt vmcnt(0)
	v_lshl_or_b32 v0, v1, 7, v0
	v_accvgpr_write_b32 a39, v0
	v_mov_b32_e32 v0, 0xff7fffff
	scratch_store_dword off, v0, s32 offset:324 ; 4-byte Folded Spill
	v_mbcnt_hi_u32_b32 v0, -1, v2
	v_accvgpr_write_b32 a29, v0
	s_branch .LBB311_10
.LBB311_9:                              ;   in Loop: Header=BB311_10 Depth=1
	s_or_b64 exec, exec, s[34:35]
	v_accvgpr_read_b32 v1, a38
	v_add_u32_e32 v1, 64, v1
	v_accvgpr_write_b32 a38, v1
	scratch_load_dword v1, off, s32 offset:320 ; 4-byte Folded Reload
	s_waitcnt lgkmcnt(0)
	v_accvgpr_read_b32 v2, a36
	v_add_u32_e32 v6, 2, v6
	v_accvgpr_read_b32 v3, a37
	v_lshl_add_u64 v[2:3], v[2:3], 0, 8
	v_accvgpr_write_b32 a37, v3
	v_accvgpr_write_b32 a36, v2
	s_waitcnt vmcnt(0)
	v_cmp_ge_i32_e32 vcc, v6, v1
	v_accvgpr_read_b32 v1, a39
	v_add_u32_e32 v1, 0x100, v1
	s_or_b64 s[22:23], vcc, s[22:23]
	v_accvgpr_write_b32 a39, v1
	s_andn2_b64 exec, exec, s[22:23]
	s_cbranch_execz .LBB311_780
.LBB311_10:                             ; =>This Inner Loop Header: Depth=1
	v_accvgpr_read_b32 v0, a36
	v_accvgpr_read_b32 v1, a37
	flat_load_dword v0, v[0:1]
	v_accvgpr_read_b32 v2, a6
	scratch_load_dwordx2 v[4:5], off, s32 offset:332 ; 8-byte Folded Reload
	v_accvgpr_write_b32 a40, v6
                                        ; implicit-def: $sgpr38
	s_waitcnt vmcnt(0) lgkmcnt(0)
	v_mad_i64_i32 v[0:1], vcc, v0, v2, v[4:5]
	scratch_load_dwordx2 v[2:3], off, s32 offset:340 ; 8-byte Folded Reload
	s_mov_b64 vcc, 0
	s_waitcnt vmcnt(0)
	v_lshl_add_u64 v[36:37], v[0:1], 0, v[2:3]
	v_accvgpr_read_b32 v0, a26
	flat_load_dword v12, v[36:37]
	v_accvgpr_read_b32 v1, a27
	flat_load_dword v4, v[0:1]
	s_waitcnt vmcnt(0) lgkmcnt(0)
	v_cmp_gt_i16_sdwa s[34:35], v12, s17 src0_sel:BYTE_0 src1_sel:DWORD
	s_and_saveexec_b64 s[36:37], s[34:35]
	s_xor_b64 s[34:35], exec, s[36:37]
	s_cbranch_execnz .LBB311_532
; %bb.11:                               ;   in Loop: Header=BB311_10 Depth=1
	s_or_saveexec_b64 s[34:35], s[34:35]
	v_mov_b32_e32 v0, s38
	s_xor_b64 exec, exec, s[34:35]
	s_cbranch_execnz .LBB311_535
.LBB311_12:                             ;   in Loop: Header=BB311_10 Depth=1
	s_or_b64 exec, exec, s[34:35]
	s_and_saveexec_b64 s[34:35], vcc
	s_cbranch_execz .LBB311_14
.LBB311_13:                             ;   in Loop: Header=BB311_10 Depth=1
	v_and_b32_e32 v2, 7, v12
	v_ffbh_u32_e32 v0, v2
	v_min_u32_e32 v5, 32, v0
	v_subrev_u32_e32 v0, 28, v5
	v_bfe_u32 v3, v12, 3, 4
	v_lshlrev_b64 v[0:1], v0, v[12:13]
	v_sub_u32_e32 v1, 29, v5
	v_cmp_eq_u32_e32 vcc, 0, v3
	v_and_b32_e32 v0, 7, v0
	s_nop 0
	v_cndmask_b32_e32 v1, v3, v1, vcc
	v_cndmask_b32_e32 v0, v2, v0, vcc
	v_lshlrev_b32_e32 v2, 8, v12
	v_lshl_add_u32 v1, v1, 10, v31
	v_and_or_b32 v1, v2, s42, v1
	v_lshl_or_b32 v0, v0, 7, v1
	v_cvt_f32_f16_e32 v0, v0
.LBB311_14:                             ;   in Loop: Header=BB311_10 Depth=1
	s_or_b64 exec, exec, s[34:35]
	v_lshrrev_b16_e32 v8, 8, v12
	v_accvgpr_write_b32 a43, v0
	v_cmp_lt_i16_e32 vcc, s17, v8
	s_mov_b64 s[34:35], 0
                                        ; implicit-def: $sgpr43
	s_and_saveexec_b64 s[36:37], vcc
	s_xor_b64 s[36:37], exec, s[36:37]
	s_cbranch_execz .LBB311_18
; %bb.15:                               ;   in Loop: Header=BB311_10 Depth=1
	v_cmp_eq_u16_e32 vcc, s41, v8
	s_mov_b64 s[34:35], -1
                                        ; implicit-def: $sgpr43
	s_and_saveexec_b64 s[38:39], vcc
; %bb.16:                               ;   in Loop: Header=BB311_10 Depth=1
	s_mov_b32 s43, 0x7fc02000
	s_xor_b64 s[34:35], exec, -1
; %bb.17:                               ;   in Loop: Header=BB311_10 Depth=1
	s_or_b64 exec, exec, s[38:39]
	s_and_b64 s[34:35], s[34:35], exec
.LBB311_18:                             ;   in Loop: Header=BB311_10 Depth=1
	s_or_saveexec_b64 s[36:37], s[36:37]
	v_mov_b32_e32 v0, s43
	scratch_store_dword off, v0, s32 offset:188 ; 4-byte Folded Spill
	s_xor_b64 exec, exec, s[36:37]
	s_cbranch_execz .LBB311_20
; %bb.19:                               ;   in Loop: Header=BB311_10 Depth=1
	v_cmp_ne_u16_e32 vcc, 0, v8
	s_andn2_b64 s[34:35], s[34:35], exec
	s_and_b64 vcc, vcc, exec
	v_mov_b32_e32 v0, 0
	s_or_b64 s[34:35], s[34:35], vcc
	scratch_store_dword off, v0, s32 offset:188 ; 4-byte Folded Spill
.LBB311_20:                             ;   in Loop: Header=BB311_10 Depth=1
	s_or_b64 exec, exec, s[36:37]
	s_and_saveexec_b64 s[36:37], s[34:35]
	s_cbranch_execz .LBB311_22
; %bb.21:                               ;   in Loop: Header=BB311_10 Depth=1
	v_and_b32_e32 v2, 7, v8
	v_ffbh_u32_e32 v0, v2
	v_min_u32_e32 v5, 32, v0
	v_subrev_u32_e32 v0, 28, v5
	v_bfe_u32 v3, v8, 3, 4
	v_lshlrev_b64 v[0:1], v0, v[8:9]
	v_sub_u32_e32 v1, 29, v5
	v_cmp_eq_u32_e32 vcc, 0, v3
	v_and_b32_e32 v0, 7, v0
	s_nop 0
	v_cndmask_b32_e32 v1, v3, v1, vcc
	v_cndmask_b32_e32 v0, v2, v0, vcc
	v_lshlrev_b32_e32 v2, 8, v8
	v_lshl_add_u32 v1, v1, 10, v31
	v_and_or_b32 v1, v2, s42, v1
	v_lshl_or_b32 v0, v0, 7, v1
	v_cvt_f32_f16_e32 v0, v0
	scratch_store_dword off, v0, s32 offset:188 ; 4-byte Folded Spill
.LBB311_22:                             ;   in Loop: Header=BB311_10 Depth=1
	s_or_b64 exec, exec, s[36:37]
	v_lshrrev_b32_e32 v8, 16, v12
	v_cmp_gt_i16_sdwa s[34:35], v8, s17 src0_sel:BYTE_0 src1_sel:DWORD
	s_mov_b64 vcc, 0
                                        ; implicit-def: $sgpr38
	s_and_saveexec_b64 s[36:37], s[34:35]
	s_xor_b64 s[34:35], exec, s[36:37]
	s_cbranch_execz .LBB311_26
; %bb.23:                               ;   in Loop: Header=BB311_10 Depth=1
	v_cmp_eq_u16_sdwa s[44:45], v8, s41 src0_sel:BYTE_0 src1_sel:DWORD
	s_mov_b64 vcc, -1
                                        ; implicit-def: $sgpr38
	s_and_saveexec_b64 s[36:37], s[44:45]
; %bb.24:                               ;   in Loop: Header=BB311_10 Depth=1
	s_mov_b32 s38, 0x7fc02000
	s_xor_b64 vcc, exec, -1
; %bb.25:                               ;   in Loop: Header=BB311_10 Depth=1
	s_or_b64 exec, exec, s[36:37]
	s_and_b64 vcc, vcc, exec
.LBB311_26:                             ;   in Loop: Header=BB311_10 Depth=1
	s_or_saveexec_b64 s[34:35], s[34:35]
	v_mov_b32_e32 v0, s38
	scratch_store_dword off, v0, s32 offset:200 ; 4-byte Folded Spill
	s_xor_b64 exec, exec, s[34:35]
	s_cbranch_execz .LBB311_28
; %bb.27:                               ;   in Loop: Header=BB311_10 Depth=1
	v_cmp_ne_u16_sdwa s[36:37], v8, v9 src0_sel:BYTE_0 src1_sel:DWORD
	s_andn2_b64 vcc, vcc, exec
	s_and_b64 s[36:37], s[36:37], exec
	v_mov_b32_e32 v0, 0
	s_or_b64 vcc, vcc, s[36:37]
	scratch_store_dword off, v0, s32 offset:200 ; 4-byte Folded Spill
.LBB311_28:                             ;   in Loop: Header=BB311_10 Depth=1
	s_or_b64 exec, exec, s[34:35]
	s_and_saveexec_b64 s[34:35], vcc
	s_cbranch_execz .LBB311_30
; %bb.29:                               ;   in Loop: Header=BB311_10 Depth=1
	v_bfe_u32 v2, v12, 16, 3
	v_ffbh_u32_e32 v0, v2
	v_min_u32_e32 v5, 32, v0
	v_subrev_u32_e32 v0, 28, v5
	v_bfe_u32 v3, v12, 19, 4
	v_lshlrev_b64 v[0:1], v0, v[8:9]
	v_sub_u32_e32 v1, 29, v5
	v_cmp_eq_u32_e32 vcc, 0, v3
	v_and_b32_e32 v0, 7, v0
	s_nop 0
	v_cndmask_b32_e32 v1, v3, v1, vcc
	v_cndmask_b32_e32 v0, v2, v0, vcc
	v_lshlrev_b32_e32 v2, 8, v8
	v_lshl_add_u32 v1, v1, 10, v31
	v_and_or_b32 v1, v2, s42, v1
	v_lshl_or_b32 v0, v0, 7, v1
	v_cvt_f32_f16_e32 v0, v0
	scratch_store_dword off, v0, s32 offset:200 ; 4-byte Folded Spill
.LBB311_30:                             ;   in Loop: Header=BB311_10 Depth=1
	s_or_b64 exec, exec, s[34:35]
	v_lshrrev_b32_e32 v8, 24, v12
	v_cmp_lt_i16_e32 vcc, s17, v8
	s_mov_b64 s[34:35], 0
                                        ; implicit-def: $sgpr43
	s_and_saveexec_b64 s[36:37], vcc
	s_xor_b64 s[36:37], exec, s[36:37]
	s_cbranch_execz .LBB311_34
; %bb.31:                               ;   in Loop: Header=BB311_10 Depth=1
	v_cmp_eq_u16_e32 vcc, s41, v8
	s_mov_b64 s[34:35], -1
                                        ; implicit-def: $sgpr43
	s_and_saveexec_b64 s[38:39], vcc
; %bb.32:                               ;   in Loop: Header=BB311_10 Depth=1
	s_mov_b32 s43, 0x7fc02000
	s_xor_b64 s[34:35], exec, -1
; %bb.33:                               ;   in Loop: Header=BB311_10 Depth=1
	s_or_b64 exec, exec, s[38:39]
	s_and_b64 s[34:35], s[34:35], exec
.LBB311_34:                             ;   in Loop: Header=BB311_10 Depth=1
	s_or_saveexec_b64 s[36:37], s[36:37]
	v_mov_b32_e32 v0, s43
	scratch_store_dword off, v0, s32 offset:204 ; 4-byte Folded Spill
	s_xor_b64 exec, exec, s[36:37]
	s_cbranch_execz .LBB311_36
; %bb.35:                               ;   in Loop: Header=BB311_10 Depth=1
	v_cmp_ne_u16_e32 vcc, 0, v8
	s_andn2_b64 s[34:35], s[34:35], exec
	s_and_b64 vcc, vcc, exec
	v_mov_b32_e32 v0, 0
	s_or_b64 s[34:35], s[34:35], vcc
	scratch_store_dword off, v0, s32 offset:204 ; 4-byte Folded Spill
.LBB311_36:                             ;   in Loop: Header=BB311_10 Depth=1
	s_or_b64 exec, exec, s[36:37]
	s_and_saveexec_b64 s[36:37], s[34:35]
	s_cbranch_execz .LBB311_38
; %bb.37:                               ;   in Loop: Header=BB311_10 Depth=1
	v_bfe_u32 v2, v12, 24, 3
	v_ffbh_u32_e32 v0, v2
	v_min_u32_e32 v5, 32, v0
	v_subrev_u32_e32 v0, 28, v5
	v_bfe_u32 v3, v12, 27, 4
	v_lshlrev_b64 v[0:1], v0, v[8:9]
	v_sub_u32_e32 v1, 29, v5
	v_cmp_eq_u32_e32 vcc, 0, v3
	v_and_b32_e32 v0, 7, v0
	s_nop 0
	v_cndmask_b32_e32 v1, v3, v1, vcc
	v_cndmask_b32_e32 v0, v2, v0, vcc
	v_lshlrev_b32_e32 v2, 8, v8
	v_lshl_add_u32 v1, v1, 10, v31
	v_and_or_b32 v1, v2, s42, v1
	v_lshl_or_b32 v0, v0, 7, v1
	v_cvt_f32_f16_e32 v0, v0
	scratch_store_dword off, v0, s32 offset:204 ; 4-byte Folded Spill
.LBB311_38:                             ;   in Loop: Header=BB311_10 Depth=1
	s_or_b64 exec, exec, s[36:37]
	flat_load_dword v12, v[36:37] offset:8
	s_mov_b64 vcc, 0
                                        ; implicit-def: $sgpr38
	s_waitcnt vmcnt(0) lgkmcnt(0)
	v_cmp_gt_i16_sdwa s[34:35], v12, s17 src0_sel:BYTE_0 src1_sel:DWORD
	s_and_saveexec_b64 s[36:37], s[34:35]
	s_xor_b64 s[34:35], exec, s[36:37]
	s_cbranch_execnz .LBB311_536
; %bb.39:                               ;   in Loop: Header=BB311_10 Depth=1
	s_or_saveexec_b64 s[34:35], s[34:35]
	v_mov_b32_e32 v0, s38
	s_xor_b64 exec, exec, s[34:35]
	s_cbranch_execnz .LBB311_539
.LBB311_40:                             ;   in Loop: Header=BB311_10 Depth=1
	s_or_b64 exec, exec, s[34:35]
	s_and_saveexec_b64 s[34:35], vcc
	s_cbranch_execz .LBB311_42
.LBB311_41:                             ;   in Loop: Header=BB311_10 Depth=1
	v_and_b32_e32 v2, 7, v12
	v_ffbh_u32_e32 v0, v2
	v_min_u32_e32 v5, 32, v0
	v_subrev_u32_e32 v0, 28, v5
	v_bfe_u32 v3, v12, 3, 4
	v_lshlrev_b64 v[0:1], v0, v[12:13]
	v_sub_u32_e32 v1, 29, v5
	v_cmp_eq_u32_e32 vcc, 0, v3
	v_and_b32_e32 v0, 7, v0
	s_nop 0
	v_cndmask_b32_e32 v1, v3, v1, vcc
	v_cndmask_b32_e32 v0, v2, v0, vcc
	v_lshlrev_b32_e32 v2, 8, v12
	v_lshl_add_u32 v1, v1, 10, v31
	v_and_or_b32 v1, v2, s42, v1
	v_lshl_or_b32 v0, v0, 7, v1
	v_cvt_f32_f16_e32 v0, v0
.LBB311_42:                             ;   in Loop: Header=BB311_10 Depth=1
	s_or_b64 exec, exec, s[34:35]
	v_lshrrev_b16_e32 v8, 8, v12
	v_accvgpr_write_b32 a45, v0
	v_cmp_lt_i16_e32 vcc, s17, v8
	s_mov_b64 s[34:35], 0
                                        ; implicit-def: $sgpr43
	s_and_saveexec_b64 s[36:37], vcc
	s_xor_b64 s[36:37], exec, s[36:37]
	s_cbranch_execz .LBB311_46
; %bb.43:                               ;   in Loop: Header=BB311_10 Depth=1
	v_cmp_eq_u16_e32 vcc, s41, v8
	s_mov_b64 s[34:35], -1
                                        ; implicit-def: $sgpr43
	s_and_saveexec_b64 s[38:39], vcc
; %bb.44:                               ;   in Loop: Header=BB311_10 Depth=1
	s_mov_b32 s43, 0x7fc02000
	s_xor_b64 s[34:35], exec, -1
; %bb.45:                               ;   in Loop: Header=BB311_10 Depth=1
	s_or_b64 exec, exec, s[38:39]
	s_and_b64 s[34:35], s[34:35], exec
.LBB311_46:                             ;   in Loop: Header=BB311_10 Depth=1
	s_or_saveexec_b64 s[36:37], s[36:37]
	v_mov_b32_e32 v0, s43
	scratch_store_dword off, v0, s32 offset:196 ; 4-byte Folded Spill
	s_xor_b64 exec, exec, s[36:37]
	s_cbranch_execz .LBB311_48
; %bb.47:                               ;   in Loop: Header=BB311_10 Depth=1
	v_cmp_ne_u16_e32 vcc, 0, v8
	s_andn2_b64 s[34:35], s[34:35], exec
	s_and_b64 vcc, vcc, exec
	v_mov_b32_e32 v0, 0
	s_or_b64 s[34:35], s[34:35], vcc
	scratch_store_dword off, v0, s32 offset:196 ; 4-byte Folded Spill
.LBB311_48:                             ;   in Loop: Header=BB311_10 Depth=1
	s_or_b64 exec, exec, s[36:37]
	s_and_saveexec_b64 s[36:37], s[34:35]
	s_cbranch_execz .LBB311_50
; %bb.49:                               ;   in Loop: Header=BB311_10 Depth=1
	v_and_b32_e32 v2, 7, v8
	v_ffbh_u32_e32 v0, v2
	v_min_u32_e32 v5, 32, v0
	v_subrev_u32_e32 v0, 28, v5
	v_bfe_u32 v3, v8, 3, 4
	v_lshlrev_b64 v[0:1], v0, v[8:9]
	v_sub_u32_e32 v1, 29, v5
	v_cmp_eq_u32_e32 vcc, 0, v3
	v_and_b32_e32 v0, 7, v0
	s_nop 0
	v_cndmask_b32_e32 v1, v3, v1, vcc
	v_cndmask_b32_e32 v0, v2, v0, vcc
	v_lshlrev_b32_e32 v2, 8, v8
	v_lshl_add_u32 v1, v1, 10, v31
	v_and_or_b32 v1, v2, s42, v1
	v_lshl_or_b32 v0, v0, 7, v1
	v_cvt_f32_f16_e32 v0, v0
	scratch_store_dword off, v0, s32 offset:196 ; 4-byte Folded Spill
.LBB311_50:                             ;   in Loop: Header=BB311_10 Depth=1
	s_or_b64 exec, exec, s[36:37]
	v_lshrrev_b32_e32 v8, 16, v12
	v_cmp_gt_i16_sdwa s[34:35], v8, s17 src0_sel:BYTE_0 src1_sel:DWORD
	s_mov_b64 vcc, 0
                                        ; implicit-def: $sgpr38
	s_and_saveexec_b64 s[36:37], s[34:35]
	s_xor_b64 s[34:35], exec, s[36:37]
	s_cbranch_execz .LBB311_54
; %bb.51:                               ;   in Loop: Header=BB311_10 Depth=1
	v_cmp_eq_u16_sdwa s[44:45], v8, s41 src0_sel:BYTE_0 src1_sel:DWORD
	s_mov_b64 vcc, -1
                                        ; implicit-def: $sgpr38
	s_and_saveexec_b64 s[36:37], s[44:45]
; %bb.52:                               ;   in Loop: Header=BB311_10 Depth=1
	s_mov_b32 s38, 0x7fc02000
	s_xor_b64 vcc, exec, -1
; %bb.53:                               ;   in Loop: Header=BB311_10 Depth=1
	s_or_b64 exec, exec, s[36:37]
	s_and_b64 vcc, vcc, exec
.LBB311_54:                             ;   in Loop: Header=BB311_10 Depth=1
	s_or_saveexec_b64 s[34:35], s[34:35]
	v_mov_b32_e32 v0, s38
	scratch_store_dword off, v0, s32 offset:208 ; 4-byte Folded Spill
	s_xor_b64 exec, exec, s[34:35]
	s_cbranch_execz .LBB311_56
; %bb.55:                               ;   in Loop: Header=BB311_10 Depth=1
	v_cmp_ne_u16_sdwa s[36:37], v8, v9 src0_sel:BYTE_0 src1_sel:DWORD
	s_andn2_b64 vcc, vcc, exec
	s_and_b64 s[36:37], s[36:37], exec
	v_mov_b32_e32 v0, 0
	s_or_b64 vcc, vcc, s[36:37]
	scratch_store_dword off, v0, s32 offset:208 ; 4-byte Folded Spill
.LBB311_56:                             ;   in Loop: Header=BB311_10 Depth=1
	s_or_b64 exec, exec, s[34:35]
	s_and_saveexec_b64 s[34:35], vcc
	s_cbranch_execz .LBB311_58
; %bb.57:                               ;   in Loop: Header=BB311_10 Depth=1
	v_bfe_u32 v2, v12, 16, 3
	v_ffbh_u32_e32 v0, v2
	v_min_u32_e32 v5, 32, v0
	v_subrev_u32_e32 v0, 28, v5
	v_bfe_u32 v3, v12, 19, 4
	v_lshlrev_b64 v[0:1], v0, v[8:9]
	v_sub_u32_e32 v1, 29, v5
	v_cmp_eq_u32_e32 vcc, 0, v3
	v_and_b32_e32 v0, 7, v0
	s_nop 0
	v_cndmask_b32_e32 v1, v3, v1, vcc
	v_cndmask_b32_e32 v0, v2, v0, vcc
	v_lshlrev_b32_e32 v2, 8, v8
	v_lshl_add_u32 v1, v1, 10, v31
	v_and_or_b32 v1, v2, s42, v1
	v_lshl_or_b32 v0, v0, 7, v1
	v_cvt_f32_f16_e32 v0, v0
	scratch_store_dword off, v0, s32 offset:208 ; 4-byte Folded Spill
.LBB311_58:                             ;   in Loop: Header=BB311_10 Depth=1
	s_or_b64 exec, exec, s[34:35]
	v_lshrrev_b32_e32 v8, 24, v12
	v_cmp_lt_i16_e32 vcc, s17, v8
	s_mov_b64 s[34:35], 0
                                        ; implicit-def: $sgpr43
	s_and_saveexec_b64 s[36:37], vcc
	s_xor_b64 s[36:37], exec, s[36:37]
	s_cbranch_execz .LBB311_62
; %bb.59:                               ;   in Loop: Header=BB311_10 Depth=1
	v_cmp_eq_u16_e32 vcc, s41, v8
	s_mov_b64 s[34:35], -1
                                        ; implicit-def: $sgpr43
	s_and_saveexec_b64 s[38:39], vcc
; %bb.60:                               ;   in Loop: Header=BB311_10 Depth=1
	s_mov_b32 s43, 0x7fc02000
	s_xor_b64 s[34:35], exec, -1
; %bb.61:                               ;   in Loop: Header=BB311_10 Depth=1
	s_or_b64 exec, exec, s[38:39]
	s_and_b64 s[34:35], s[34:35], exec
.LBB311_62:                             ;   in Loop: Header=BB311_10 Depth=1
	s_or_saveexec_b64 s[36:37], s[36:37]
	v_mov_b32_e32 v0, s43
	scratch_store_dword off, v0, s32 offset:192 ; 4-byte Folded Spill
	s_xor_b64 exec, exec, s[36:37]
	s_cbranch_execz .LBB311_64
; %bb.63:                               ;   in Loop: Header=BB311_10 Depth=1
	v_cmp_ne_u16_e32 vcc, 0, v8
	s_andn2_b64 s[34:35], s[34:35], exec
	s_and_b64 vcc, vcc, exec
	v_mov_b32_e32 v0, 0
	s_or_b64 s[34:35], s[34:35], vcc
	scratch_store_dword off, v0, s32 offset:192 ; 4-byte Folded Spill
.LBB311_64:                             ;   in Loop: Header=BB311_10 Depth=1
	s_or_b64 exec, exec, s[36:37]
	s_and_saveexec_b64 s[36:37], s[34:35]
	s_cbranch_execz .LBB311_66
; %bb.65:                               ;   in Loop: Header=BB311_10 Depth=1
	v_bfe_u32 v2, v12, 24, 3
	v_ffbh_u32_e32 v0, v2
	v_min_u32_e32 v5, 32, v0
	v_subrev_u32_e32 v0, 28, v5
	v_bfe_u32 v3, v12, 27, 4
	v_lshlrev_b64 v[0:1], v0, v[8:9]
	v_sub_u32_e32 v1, 29, v5
	v_cmp_eq_u32_e32 vcc, 0, v3
	v_and_b32_e32 v0, 7, v0
	s_nop 0
	v_cndmask_b32_e32 v1, v3, v1, vcc
	v_cndmask_b32_e32 v0, v2, v0, vcc
	v_lshlrev_b32_e32 v2, 8, v8
	v_lshl_add_u32 v1, v1, 10, v31
	v_and_or_b32 v1, v2, s42, v1
	v_lshl_or_b32 v0, v0, 7, v1
	v_cvt_f32_f16_e32 v0, v0
	scratch_store_dword off, v0, s32 offset:192 ; 4-byte Folded Spill
.LBB311_66:                             ;   in Loop: Header=BB311_10 Depth=1
	s_or_b64 exec, exec, s[36:37]
	flat_load_dword v12, v[36:37] offset:512
	s_mov_b64 vcc, 0
                                        ; implicit-def: $sgpr38
	s_waitcnt vmcnt(0) lgkmcnt(0)
	v_cmp_gt_i16_sdwa s[34:35], v12, s17 src0_sel:BYTE_0 src1_sel:DWORD
	s_and_saveexec_b64 s[36:37], s[34:35]
	s_xor_b64 s[34:35], exec, s[36:37]
	s_cbranch_execnz .LBB311_540
; %bb.67:                               ;   in Loop: Header=BB311_10 Depth=1
	s_or_saveexec_b64 s[34:35], s[34:35]
	v_mov_b32_e32 v0, s38
	s_xor_b64 exec, exec, s[34:35]
	s_cbranch_execnz .LBB311_543
.LBB311_68:                             ;   in Loop: Header=BB311_10 Depth=1
	s_or_b64 exec, exec, s[34:35]
	s_and_saveexec_b64 s[34:35], vcc
	s_cbranch_execz .LBB311_70
.LBB311_69:                             ;   in Loop: Header=BB311_10 Depth=1
	v_and_b32_e32 v2, 7, v12
	v_ffbh_u32_e32 v0, v2
	v_min_u32_e32 v5, 32, v0
	v_subrev_u32_e32 v0, 28, v5
	v_bfe_u32 v3, v12, 3, 4
	v_lshlrev_b64 v[0:1], v0, v[12:13]
	v_sub_u32_e32 v1, 29, v5
	v_cmp_eq_u32_e32 vcc, 0, v3
	v_and_b32_e32 v0, 7, v0
	s_nop 0
	v_cndmask_b32_e32 v1, v3, v1, vcc
	v_cndmask_b32_e32 v0, v2, v0, vcc
	v_lshlrev_b32_e32 v2, 8, v12
	v_lshl_add_u32 v1, v1, 10, v31
	v_and_or_b32 v1, v2, s42, v1
	v_lshl_or_b32 v0, v0, 7, v1
	v_cvt_f32_f16_e32 v0, v0
.LBB311_70:                             ;   in Loop: Header=BB311_10 Depth=1
	s_or_b64 exec, exec, s[34:35]
	v_lshrrev_b16_e32 v8, 8, v12
	v_accvgpr_write_b32 a44, v0
	v_cmp_lt_i16_e32 vcc, s17, v8
	s_mov_b64 s[34:35], 0
                                        ; implicit-def: $sgpr43
	s_and_saveexec_b64 s[36:37], vcc
	s_xor_b64 s[36:37], exec, s[36:37]
	s_cbranch_execnz .LBB311_544
; %bb.71:                               ;   in Loop: Header=BB311_10 Depth=1
	s_or_saveexec_b64 s[36:37], s[36:37]
	v_mov_b32_e32 v57, s43
	s_xor_b64 exec, exec, s[36:37]
	s_cbranch_execnz .LBB311_547
.LBB311_72:                             ;   in Loop: Header=BB311_10 Depth=1
	s_or_b64 exec, exec, s[36:37]
	s_and_saveexec_b64 s[36:37], s[34:35]
	s_cbranch_execz .LBB311_74
.LBB311_73:                             ;   in Loop: Header=BB311_10 Depth=1
	v_and_b32_e32 v2, 7, v8
	v_ffbh_u32_e32 v0, v2
	v_min_u32_e32 v5, 32, v0
	v_subrev_u32_e32 v0, 28, v5
	v_bfe_u32 v3, v8, 3, 4
	v_lshlrev_b64 v[0:1], v0, v[8:9]
	v_sub_u32_e32 v1, 29, v5
	v_cmp_eq_u32_e32 vcc, 0, v3
	v_and_b32_e32 v0, 7, v0
	s_nop 0
	v_cndmask_b32_e32 v1, v3, v1, vcc
	v_cndmask_b32_e32 v0, v2, v0, vcc
	v_lshlrev_b32_e32 v2, 8, v8
	v_lshl_add_u32 v1, v1, 10, v31
	v_and_or_b32 v1, v2, s42, v1
	v_lshl_or_b32 v0, v0, 7, v1
	v_cvt_f32_f16_e32 v57, v0
.LBB311_74:                             ;   in Loop: Header=BB311_10 Depth=1
	s_or_b64 exec, exec, s[36:37]
	v_lshrrev_b32_e32 v8, 16, v12
	v_cmp_gt_i16_sdwa s[34:35], v8, s17 src0_sel:BYTE_0 src1_sel:DWORD
	s_mov_b64 vcc, 0
                                        ; implicit-def: $sgpr38
	s_and_saveexec_b64 s[36:37], s[34:35]
	s_xor_b64 s[34:35], exec, s[36:37]
	s_cbranch_execz .LBB311_78
; %bb.75:                               ;   in Loop: Header=BB311_10 Depth=1
	v_cmp_eq_u16_sdwa s[44:45], v8, s41 src0_sel:BYTE_0 src1_sel:DWORD
	s_mov_b64 vcc, -1
                                        ; implicit-def: $sgpr38
	s_and_saveexec_b64 s[36:37], s[44:45]
; %bb.76:                               ;   in Loop: Header=BB311_10 Depth=1
	s_mov_b32 s38, 0x7fc02000
	s_xor_b64 vcc, exec, -1
; %bb.77:                               ;   in Loop: Header=BB311_10 Depth=1
	s_or_b64 exec, exec, s[36:37]
	s_and_b64 vcc, vcc, exec
.LBB311_78:                             ;   in Loop: Header=BB311_10 Depth=1
	s_or_saveexec_b64 s[34:35], s[34:35]
	v_mov_b32_e32 v0, s38
	scratch_store_dword off, v0, s32 offset:212 ; 4-byte Folded Spill
	s_xor_b64 exec, exec, s[34:35]
	s_cbranch_execz .LBB311_80
; %bb.79:                               ;   in Loop: Header=BB311_10 Depth=1
	v_cmp_ne_u16_sdwa s[36:37], v8, v9 src0_sel:BYTE_0 src1_sel:DWORD
	s_andn2_b64 vcc, vcc, exec
	s_and_b64 s[36:37], s[36:37], exec
	v_mov_b32_e32 v0, 0
	s_or_b64 vcc, vcc, s[36:37]
	scratch_store_dword off, v0, s32 offset:212 ; 4-byte Folded Spill
.LBB311_80:                             ;   in Loop: Header=BB311_10 Depth=1
	s_or_b64 exec, exec, s[34:35]
	s_and_saveexec_b64 s[34:35], vcc
	s_cbranch_execz .LBB311_82
; %bb.81:                               ;   in Loop: Header=BB311_10 Depth=1
	v_bfe_u32 v2, v12, 16, 3
	v_ffbh_u32_e32 v0, v2
	v_min_u32_e32 v5, 32, v0
	v_subrev_u32_e32 v0, 28, v5
	v_bfe_u32 v3, v12, 19, 4
	v_lshlrev_b64 v[0:1], v0, v[8:9]
	v_sub_u32_e32 v1, 29, v5
	v_cmp_eq_u32_e32 vcc, 0, v3
	v_and_b32_e32 v0, 7, v0
	s_nop 0
	v_cndmask_b32_e32 v1, v3, v1, vcc
	v_cndmask_b32_e32 v0, v2, v0, vcc
	v_lshlrev_b32_e32 v2, 8, v8
	v_lshl_add_u32 v1, v1, 10, v31
	v_and_or_b32 v1, v2, s42, v1
	v_lshl_or_b32 v0, v0, 7, v1
	v_cvt_f32_f16_e32 v0, v0
	scratch_store_dword off, v0, s32 offset:212 ; 4-byte Folded Spill
.LBB311_82:                             ;   in Loop: Header=BB311_10 Depth=1
	s_or_b64 exec, exec, s[34:35]
	v_lshrrev_b32_e32 v8, 24, v12
	v_cmp_lt_i16_e32 vcc, s17, v8
	s_mov_b64 s[34:35], 0
                                        ; implicit-def: $sgpr43
	s_and_saveexec_b64 s[36:37], vcc
	s_xor_b64 s[36:37], exec, s[36:37]
	s_cbranch_execz .LBB311_86
; %bb.83:                               ;   in Loop: Header=BB311_10 Depth=1
	v_cmp_eq_u16_e32 vcc, s41, v8
	s_mov_b64 s[34:35], -1
                                        ; implicit-def: $sgpr43
	s_and_saveexec_b64 s[38:39], vcc
; %bb.84:                               ;   in Loop: Header=BB311_10 Depth=1
	s_mov_b32 s43, 0x7fc02000
	s_xor_b64 s[34:35], exec, -1
; %bb.85:                               ;   in Loop: Header=BB311_10 Depth=1
	s_or_b64 exec, exec, s[38:39]
	s_and_b64 s[34:35], s[34:35], exec
.LBB311_86:                             ;   in Loop: Header=BB311_10 Depth=1
	s_or_saveexec_b64 s[36:37], s[36:37]
	v_mov_b32_e32 v0, s43
	scratch_store_dword off, v0, s32 offset:216 ; 4-byte Folded Spill
	s_xor_b64 exec, exec, s[36:37]
	s_cbranch_execz .LBB311_88
; %bb.87:                               ;   in Loop: Header=BB311_10 Depth=1
	v_cmp_ne_u16_e32 vcc, 0, v8
	s_andn2_b64 s[34:35], s[34:35], exec
	s_and_b64 vcc, vcc, exec
	v_mov_b32_e32 v0, 0
	s_or_b64 s[34:35], s[34:35], vcc
	scratch_store_dword off, v0, s32 offset:216 ; 4-byte Folded Spill
.LBB311_88:                             ;   in Loop: Header=BB311_10 Depth=1
	s_or_b64 exec, exec, s[36:37]
	s_and_saveexec_b64 s[36:37], s[34:35]
	s_cbranch_execz .LBB311_90
; %bb.89:                               ;   in Loop: Header=BB311_10 Depth=1
	v_bfe_u32 v2, v12, 24, 3
	v_ffbh_u32_e32 v0, v2
	v_min_u32_e32 v5, 32, v0
	v_subrev_u32_e32 v0, 28, v5
	v_bfe_u32 v3, v12, 27, 4
	v_lshlrev_b64 v[0:1], v0, v[8:9]
	v_sub_u32_e32 v1, 29, v5
	v_cmp_eq_u32_e32 vcc, 0, v3
	v_and_b32_e32 v0, 7, v0
	s_nop 0
	v_cndmask_b32_e32 v1, v3, v1, vcc
	v_cndmask_b32_e32 v0, v2, v0, vcc
	v_lshlrev_b32_e32 v2, 8, v8
	v_lshl_add_u32 v1, v1, 10, v31
	v_and_or_b32 v1, v2, s42, v1
	v_lshl_or_b32 v0, v0, 7, v1
	v_cvt_f32_f16_e32 v0, v0
	scratch_store_dword off, v0, s32 offset:216 ; 4-byte Folded Spill
.LBB311_90:                             ;   in Loop: Header=BB311_10 Depth=1
	s_or_b64 exec, exec, s[36:37]
	flat_load_dword v12, v[36:37] offset:520
	s_mov_b64 vcc, 0
                                        ; implicit-def: $sgpr38
	s_waitcnt vmcnt(0) lgkmcnt(0)
	v_cmp_gt_i16_sdwa s[34:35], v12, s17 src0_sel:BYTE_0 src1_sel:DWORD
	s_and_saveexec_b64 s[36:37], s[34:35]
	s_xor_b64 s[34:35], exec, s[36:37]
	s_cbranch_execnz .LBB311_548
; %bb.91:                               ;   in Loop: Header=BB311_10 Depth=1
	s_or_saveexec_b64 s[34:35], s[34:35]
	v_mov_b32_e32 v0, s38
	s_xor_b64 exec, exec, s[34:35]
	s_cbranch_execnz .LBB311_551
.LBB311_92:                             ;   in Loop: Header=BB311_10 Depth=1
	s_or_b64 exec, exec, s[34:35]
	s_and_saveexec_b64 s[34:35], vcc
	s_cbranch_execz .LBB311_94
.LBB311_93:                             ;   in Loop: Header=BB311_10 Depth=1
	v_and_b32_e32 v2, 7, v12
	v_ffbh_u32_e32 v0, v2
	v_min_u32_e32 v5, 32, v0
	v_subrev_u32_e32 v0, 28, v5
	v_bfe_u32 v3, v12, 3, 4
	v_lshlrev_b64 v[0:1], v0, v[12:13]
	v_sub_u32_e32 v1, 29, v5
	v_cmp_eq_u32_e32 vcc, 0, v3
	v_and_b32_e32 v0, 7, v0
	s_nop 0
	v_cndmask_b32_e32 v1, v3, v1, vcc
	v_cndmask_b32_e32 v0, v2, v0, vcc
	v_lshlrev_b32_e32 v2, 8, v12
	v_lshl_add_u32 v1, v1, 10, v31
	v_and_or_b32 v1, v2, s42, v1
	v_lshl_or_b32 v0, v0, 7, v1
	v_cvt_f32_f16_e32 v0, v0
.LBB311_94:                             ;   in Loop: Header=BB311_10 Depth=1
	s_or_b64 exec, exec, s[34:35]
	v_lshrrev_b16_e32 v8, 8, v12
	v_accvgpr_write_b32 a46, v0
	v_cmp_lt_i16_e32 vcc, s17, v8
	s_mov_b64 s[34:35], 0
                                        ; implicit-def: $sgpr43
	s_and_saveexec_b64 s[36:37], vcc
	s_xor_b64 s[36:37], exec, s[36:37]
	s_cbranch_execz .LBB311_98
; %bb.95:                               ;   in Loop: Header=BB311_10 Depth=1
	v_cmp_eq_u16_e32 vcc, s41, v8
	s_mov_b64 s[34:35], -1
                                        ; implicit-def: $sgpr43
	s_and_saveexec_b64 s[38:39], vcc
; %bb.96:                               ;   in Loop: Header=BB311_10 Depth=1
	s_mov_b32 s43, 0x7fc02000
	s_xor_b64 s[34:35], exec, -1
; %bb.97:                               ;   in Loop: Header=BB311_10 Depth=1
	s_or_b64 exec, exec, s[38:39]
	s_and_b64 s[34:35], s[34:35], exec
.LBB311_98:                             ;   in Loop: Header=BB311_10 Depth=1
	s_or_saveexec_b64 s[36:37], s[36:37]
	v_mov_b32_e32 v0, s43
	scratch_store_dword off, v0, s32 offset:220 ; 4-byte Folded Spill
	s_xor_b64 exec, exec, s[36:37]
	s_cbranch_execz .LBB311_100
; %bb.99:                               ;   in Loop: Header=BB311_10 Depth=1
	v_cmp_ne_u16_e32 vcc, 0, v8
	s_andn2_b64 s[34:35], s[34:35], exec
	s_and_b64 vcc, vcc, exec
	v_mov_b32_e32 v0, 0
	s_or_b64 s[34:35], s[34:35], vcc
	scratch_store_dword off, v0, s32 offset:220 ; 4-byte Folded Spill
.LBB311_100:                            ;   in Loop: Header=BB311_10 Depth=1
	s_or_b64 exec, exec, s[36:37]
	s_and_saveexec_b64 s[36:37], s[34:35]
	s_cbranch_execz .LBB311_102
; %bb.101:                              ;   in Loop: Header=BB311_10 Depth=1
	v_and_b32_e32 v2, 7, v8
	v_ffbh_u32_e32 v0, v2
	v_min_u32_e32 v5, 32, v0
	v_subrev_u32_e32 v0, 28, v5
	v_bfe_u32 v3, v8, 3, 4
	v_lshlrev_b64 v[0:1], v0, v[8:9]
	v_sub_u32_e32 v1, 29, v5
	v_cmp_eq_u32_e32 vcc, 0, v3
	v_and_b32_e32 v0, 7, v0
	s_nop 0
	v_cndmask_b32_e32 v1, v3, v1, vcc
	v_cndmask_b32_e32 v0, v2, v0, vcc
	v_lshlrev_b32_e32 v2, 8, v8
	v_lshl_add_u32 v1, v1, 10, v31
	v_and_or_b32 v1, v2, s42, v1
	v_lshl_or_b32 v0, v0, 7, v1
	v_cvt_f32_f16_e32 v0, v0
	scratch_store_dword off, v0, s32 offset:220 ; 4-byte Folded Spill
.LBB311_102:                            ;   in Loop: Header=BB311_10 Depth=1
	s_or_b64 exec, exec, s[36:37]
	v_lshrrev_b32_e32 v8, 16, v12
	v_cmp_gt_i16_sdwa s[34:35], v8, s17 src0_sel:BYTE_0 src1_sel:DWORD
	s_mov_b64 vcc, 0
                                        ; implicit-def: $sgpr38
	s_and_saveexec_b64 s[36:37], s[34:35]
	s_xor_b64 s[34:35], exec, s[36:37]
	s_cbranch_execz .LBB311_106
; %bb.103:                              ;   in Loop: Header=BB311_10 Depth=1
	v_cmp_eq_u16_sdwa s[44:45], v8, s41 src0_sel:BYTE_0 src1_sel:DWORD
	s_mov_b64 vcc, -1
                                        ; implicit-def: $sgpr38
	s_and_saveexec_b64 s[36:37], s[44:45]
; %bb.104:                              ;   in Loop: Header=BB311_10 Depth=1
	s_mov_b32 s38, 0x7fc02000
	s_xor_b64 vcc, exec, -1
; %bb.105:                              ;   in Loop: Header=BB311_10 Depth=1
	s_or_b64 exec, exec, s[36:37]
	s_and_b64 vcc, vcc, exec
.LBB311_106:                            ;   in Loop: Header=BB311_10 Depth=1
	s_or_saveexec_b64 s[34:35], s[34:35]
	v_mov_b32_e32 v0, s38
	scratch_store_dword off, v0, s32 offset:224 ; 4-byte Folded Spill
	s_xor_b64 exec, exec, s[34:35]
	s_cbranch_execz .LBB311_108
; %bb.107:                              ;   in Loop: Header=BB311_10 Depth=1
	v_cmp_ne_u16_sdwa s[36:37], v8, v9 src0_sel:BYTE_0 src1_sel:DWORD
	s_andn2_b64 vcc, vcc, exec
	s_and_b64 s[36:37], s[36:37], exec
	v_mov_b32_e32 v0, 0
	s_or_b64 vcc, vcc, s[36:37]
	scratch_store_dword off, v0, s32 offset:224 ; 4-byte Folded Spill
.LBB311_108:                            ;   in Loop: Header=BB311_10 Depth=1
	s_or_b64 exec, exec, s[34:35]
	s_and_saveexec_b64 s[34:35], vcc
	s_cbranch_execz .LBB311_110
; %bb.109:                              ;   in Loop: Header=BB311_10 Depth=1
	v_bfe_u32 v2, v12, 16, 3
	v_ffbh_u32_e32 v0, v2
	v_min_u32_e32 v5, 32, v0
	v_subrev_u32_e32 v0, 28, v5
	v_bfe_u32 v3, v12, 19, 4
	v_lshlrev_b64 v[0:1], v0, v[8:9]
	v_sub_u32_e32 v1, 29, v5
	v_cmp_eq_u32_e32 vcc, 0, v3
	v_and_b32_e32 v0, 7, v0
	s_nop 0
	v_cndmask_b32_e32 v1, v3, v1, vcc
	v_cndmask_b32_e32 v0, v2, v0, vcc
	v_lshlrev_b32_e32 v2, 8, v8
	v_lshl_add_u32 v1, v1, 10, v31
	v_and_or_b32 v1, v2, s42, v1
	v_lshl_or_b32 v0, v0, 7, v1
	v_cvt_f32_f16_e32 v0, v0
	scratch_store_dword off, v0, s32 offset:224 ; 4-byte Folded Spill
.LBB311_110:                            ;   in Loop: Header=BB311_10 Depth=1
	s_or_b64 exec, exec, s[34:35]
	v_lshrrev_b32_e32 v8, 24, v12
	v_cmp_lt_i16_e32 vcc, s17, v8
	s_mov_b64 s[34:35], 0
                                        ; implicit-def: $sgpr43
	s_and_saveexec_b64 s[36:37], vcc
	s_xor_b64 s[36:37], exec, s[36:37]
	s_cbranch_execz .LBB311_114
; %bb.111:                              ;   in Loop: Header=BB311_10 Depth=1
	v_cmp_eq_u16_e32 vcc, s41, v8
	s_mov_b64 s[34:35], -1
                                        ; implicit-def: $sgpr43
	s_and_saveexec_b64 s[38:39], vcc
; %bb.112:                              ;   in Loop: Header=BB311_10 Depth=1
	s_mov_b32 s43, 0x7fc02000
	s_xor_b64 s[34:35], exec, -1
; %bb.113:                              ;   in Loop: Header=BB311_10 Depth=1
	s_or_b64 exec, exec, s[38:39]
	s_and_b64 s[34:35], s[34:35], exec
.LBB311_114:                            ;   in Loop: Header=BB311_10 Depth=1
	s_or_saveexec_b64 s[36:37], s[36:37]
	v_mov_b32_e32 v0, s43
	scratch_store_dword off, v0, s32 offset:228 ; 4-byte Folded Spill
	s_xor_b64 exec, exec, s[36:37]
	s_cbranch_execz .LBB311_116
; %bb.115:                              ;   in Loop: Header=BB311_10 Depth=1
	v_cmp_ne_u16_e32 vcc, 0, v8
	s_andn2_b64 s[34:35], s[34:35], exec
	s_and_b64 vcc, vcc, exec
	v_mov_b32_e32 v0, 0
	s_or_b64 s[34:35], s[34:35], vcc
	scratch_store_dword off, v0, s32 offset:228 ; 4-byte Folded Spill
.LBB311_116:                            ;   in Loop: Header=BB311_10 Depth=1
	s_or_b64 exec, exec, s[36:37]
	s_and_saveexec_b64 s[36:37], s[34:35]
	s_cbranch_execz .LBB311_118
; %bb.117:                              ;   in Loop: Header=BB311_10 Depth=1
	v_bfe_u32 v2, v12, 24, 3
	v_ffbh_u32_e32 v0, v2
	v_min_u32_e32 v5, 32, v0
	v_subrev_u32_e32 v0, 28, v5
	v_bfe_u32 v3, v12, 27, 4
	v_lshlrev_b64 v[0:1], v0, v[8:9]
	v_sub_u32_e32 v1, 29, v5
	v_cmp_eq_u32_e32 vcc, 0, v3
	v_and_b32_e32 v0, 7, v0
	s_nop 0
	v_cndmask_b32_e32 v1, v3, v1, vcc
	v_cndmask_b32_e32 v0, v2, v0, vcc
	v_lshlrev_b32_e32 v2, 8, v8
	v_lshl_add_u32 v1, v1, 10, v31
	v_and_or_b32 v1, v2, s42, v1
	v_lshl_or_b32 v0, v0, 7, v1
	v_cvt_f32_f16_e32 v0, v0
	scratch_store_dword off, v0, s32 offset:228 ; 4-byte Folded Spill
.LBB311_118:                            ;   in Loop: Header=BB311_10 Depth=1
	s_or_b64 exec, exec, s[36:37]
	flat_load_dword v12, v[36:37] offset:1024
	s_mov_b64 vcc, 0
                                        ; implicit-def: $sgpr38
	s_waitcnt vmcnt(0) lgkmcnt(0)
	v_cmp_gt_i16_sdwa s[34:35], v12, s17 src0_sel:BYTE_0 src1_sel:DWORD
	s_and_saveexec_b64 s[36:37], s[34:35]
	s_xor_b64 s[34:35], exec, s[36:37]
	s_cbranch_execnz .LBB311_552
; %bb.119:                              ;   in Loop: Header=BB311_10 Depth=1
	s_or_saveexec_b64 s[34:35], s[34:35]
	v_mov_b32_e32 v0, s38
	s_xor_b64 exec, exec, s[34:35]
	s_cbranch_execnz .LBB311_555
.LBB311_120:                            ;   in Loop: Header=BB311_10 Depth=1
	s_or_b64 exec, exec, s[34:35]
	s_and_saveexec_b64 s[34:35], vcc
	s_cbranch_execz .LBB311_122
.LBB311_121:                            ;   in Loop: Header=BB311_10 Depth=1
	v_and_b32_e32 v2, 7, v12
	v_ffbh_u32_e32 v0, v2
	v_min_u32_e32 v5, 32, v0
	v_subrev_u32_e32 v0, 28, v5
	v_bfe_u32 v3, v12, 3, 4
	v_lshlrev_b64 v[0:1], v0, v[12:13]
	v_sub_u32_e32 v1, 29, v5
	v_cmp_eq_u32_e32 vcc, 0, v3
	v_and_b32_e32 v0, 7, v0
	s_nop 0
	v_cndmask_b32_e32 v1, v3, v1, vcc
	v_cndmask_b32_e32 v0, v2, v0, vcc
	v_lshlrev_b32_e32 v2, 8, v12
	v_lshl_add_u32 v1, v1, 10, v31
	v_and_or_b32 v1, v2, s42, v1
	v_lshl_or_b32 v0, v0, 7, v1
	v_cvt_f32_f16_e32 v0, v0
.LBB311_122:                            ;   in Loop: Header=BB311_10 Depth=1
	s_or_b64 exec, exec, s[34:35]
	v_lshrrev_b16_e32 v8, 8, v12
	v_accvgpr_write_b32 a47, v0
	v_cmp_lt_i16_e32 vcc, s17, v8
	s_mov_b64 s[34:35], 0
                                        ; implicit-def: $sgpr43
	s_and_saveexec_b64 s[36:37], vcc
	s_xor_b64 s[36:37], exec, s[36:37]
	s_cbranch_execz .LBB311_126
; %bb.123:                              ;   in Loop: Header=BB311_10 Depth=1
	v_cmp_eq_u16_e32 vcc, s41, v8
	s_mov_b64 s[34:35], -1
                                        ; implicit-def: $sgpr43
	s_and_saveexec_b64 s[38:39], vcc
; %bb.124:                              ;   in Loop: Header=BB311_10 Depth=1
	s_mov_b32 s43, 0x7fc02000
	s_xor_b64 s[34:35], exec, -1
; %bb.125:                              ;   in Loop: Header=BB311_10 Depth=1
	s_or_b64 exec, exec, s[38:39]
	s_and_b64 s[34:35], s[34:35], exec
.LBB311_126:                            ;   in Loop: Header=BB311_10 Depth=1
	s_or_saveexec_b64 s[36:37], s[36:37]
	v_mov_b32_e32 v0, s43
	scratch_store_dword off, v0, s32 offset:232 ; 4-byte Folded Spill
	s_xor_b64 exec, exec, s[36:37]
	s_cbranch_execz .LBB311_128
; %bb.127:                              ;   in Loop: Header=BB311_10 Depth=1
	v_cmp_ne_u16_e32 vcc, 0, v8
	s_andn2_b64 s[34:35], s[34:35], exec
	s_and_b64 vcc, vcc, exec
	v_mov_b32_e32 v0, 0
	s_or_b64 s[34:35], s[34:35], vcc
	scratch_store_dword off, v0, s32 offset:232 ; 4-byte Folded Spill
.LBB311_128:                            ;   in Loop: Header=BB311_10 Depth=1
	s_or_b64 exec, exec, s[36:37]
	s_and_saveexec_b64 s[36:37], s[34:35]
	s_cbranch_execz .LBB311_130
; %bb.129:                              ;   in Loop: Header=BB311_10 Depth=1
	v_and_b32_e32 v2, 7, v8
	v_ffbh_u32_e32 v0, v2
	v_min_u32_e32 v5, 32, v0
	v_subrev_u32_e32 v0, 28, v5
	v_bfe_u32 v3, v8, 3, 4
	v_lshlrev_b64 v[0:1], v0, v[8:9]
	v_sub_u32_e32 v1, 29, v5
	v_cmp_eq_u32_e32 vcc, 0, v3
	v_and_b32_e32 v0, 7, v0
	s_nop 0
	v_cndmask_b32_e32 v1, v3, v1, vcc
	v_cndmask_b32_e32 v0, v2, v0, vcc
	v_lshlrev_b32_e32 v2, 8, v8
	v_lshl_add_u32 v1, v1, 10, v31
	v_and_or_b32 v1, v2, s42, v1
	v_lshl_or_b32 v0, v0, 7, v1
	v_cvt_f32_f16_e32 v0, v0
	scratch_store_dword off, v0, s32 offset:232 ; 4-byte Folded Spill
.LBB311_130:                            ;   in Loop: Header=BB311_10 Depth=1
	s_or_b64 exec, exec, s[36:37]
	v_lshrrev_b32_e32 v8, 16, v12
	v_cmp_gt_i16_sdwa s[34:35], v8, s17 src0_sel:BYTE_0 src1_sel:DWORD
	s_mov_b64 vcc, 0
                                        ; implicit-def: $sgpr38
	s_and_saveexec_b64 s[36:37], s[34:35]
	s_xor_b64 s[34:35], exec, s[36:37]
	s_cbranch_execz .LBB311_134
; %bb.131:                              ;   in Loop: Header=BB311_10 Depth=1
	v_cmp_eq_u16_sdwa s[44:45], v8, s41 src0_sel:BYTE_0 src1_sel:DWORD
	s_mov_b64 vcc, -1
                                        ; implicit-def: $sgpr38
	s_and_saveexec_b64 s[36:37], s[44:45]
; %bb.132:                              ;   in Loop: Header=BB311_10 Depth=1
	s_mov_b32 s38, 0x7fc02000
	s_xor_b64 vcc, exec, -1
; %bb.133:                              ;   in Loop: Header=BB311_10 Depth=1
	s_or_b64 exec, exec, s[36:37]
	s_and_b64 vcc, vcc, exec
.LBB311_134:                            ;   in Loop: Header=BB311_10 Depth=1
	s_or_saveexec_b64 s[34:35], s[34:35]
	v_mov_b32_e32 v0, s38
	scratch_store_dword off, v0, s32 offset:236 ; 4-byte Folded Spill
	s_xor_b64 exec, exec, s[34:35]
	s_cbranch_execz .LBB311_136
; %bb.135:                              ;   in Loop: Header=BB311_10 Depth=1
	v_cmp_ne_u16_sdwa s[36:37], v8, v9 src0_sel:BYTE_0 src1_sel:DWORD
	s_andn2_b64 vcc, vcc, exec
	s_and_b64 s[36:37], s[36:37], exec
	v_mov_b32_e32 v0, 0
	s_or_b64 vcc, vcc, s[36:37]
	scratch_store_dword off, v0, s32 offset:236 ; 4-byte Folded Spill
.LBB311_136:                            ;   in Loop: Header=BB311_10 Depth=1
	s_or_b64 exec, exec, s[34:35]
	s_and_saveexec_b64 s[34:35], vcc
	s_cbranch_execz .LBB311_138
; %bb.137:                              ;   in Loop: Header=BB311_10 Depth=1
	v_bfe_u32 v2, v12, 16, 3
	v_ffbh_u32_e32 v0, v2
	v_min_u32_e32 v5, 32, v0
	v_subrev_u32_e32 v0, 28, v5
	v_bfe_u32 v3, v12, 19, 4
	v_lshlrev_b64 v[0:1], v0, v[8:9]
	v_sub_u32_e32 v1, 29, v5
	v_cmp_eq_u32_e32 vcc, 0, v3
	v_and_b32_e32 v0, 7, v0
	s_nop 0
	v_cndmask_b32_e32 v1, v3, v1, vcc
	v_cndmask_b32_e32 v0, v2, v0, vcc
	v_lshlrev_b32_e32 v2, 8, v8
	v_lshl_add_u32 v1, v1, 10, v31
	v_and_or_b32 v1, v2, s42, v1
	v_lshl_or_b32 v0, v0, 7, v1
	v_cvt_f32_f16_e32 v0, v0
	scratch_store_dword off, v0, s32 offset:236 ; 4-byte Folded Spill
.LBB311_138:                            ;   in Loop: Header=BB311_10 Depth=1
	s_or_b64 exec, exec, s[34:35]
	v_lshrrev_b32_e32 v8, 24, v12
	v_cmp_lt_i16_e32 vcc, s17, v8
	s_mov_b64 s[34:35], 0
                                        ; implicit-def: $sgpr43
	s_and_saveexec_b64 s[36:37], vcc
	s_xor_b64 s[36:37], exec, s[36:37]
	s_cbranch_execz .LBB311_142
; %bb.139:                              ;   in Loop: Header=BB311_10 Depth=1
	v_cmp_eq_u16_e32 vcc, s41, v8
	s_mov_b64 s[34:35], -1
                                        ; implicit-def: $sgpr43
	s_and_saveexec_b64 s[38:39], vcc
; %bb.140:                              ;   in Loop: Header=BB311_10 Depth=1
	s_mov_b32 s43, 0x7fc02000
	s_xor_b64 s[34:35], exec, -1
; %bb.141:                              ;   in Loop: Header=BB311_10 Depth=1
	s_or_b64 exec, exec, s[38:39]
	s_and_b64 s[34:35], s[34:35], exec
.LBB311_142:                            ;   in Loop: Header=BB311_10 Depth=1
	s_or_saveexec_b64 s[36:37], s[36:37]
	v_mov_b32_e32 v0, s43
	scratch_store_dword off, v0, s32 offset:240 ; 4-byte Folded Spill
	s_xor_b64 exec, exec, s[36:37]
	s_cbranch_execz .LBB311_144
; %bb.143:                              ;   in Loop: Header=BB311_10 Depth=1
	v_cmp_ne_u16_e32 vcc, 0, v8
	s_andn2_b64 s[34:35], s[34:35], exec
	s_and_b64 vcc, vcc, exec
	v_mov_b32_e32 v0, 0
	s_or_b64 s[34:35], s[34:35], vcc
	scratch_store_dword off, v0, s32 offset:240 ; 4-byte Folded Spill
.LBB311_144:                            ;   in Loop: Header=BB311_10 Depth=1
	s_or_b64 exec, exec, s[36:37]
	s_and_saveexec_b64 s[36:37], s[34:35]
	s_cbranch_execz .LBB311_146
; %bb.145:                              ;   in Loop: Header=BB311_10 Depth=1
	v_bfe_u32 v2, v12, 24, 3
	v_ffbh_u32_e32 v0, v2
	v_min_u32_e32 v5, 32, v0
	v_subrev_u32_e32 v0, 28, v5
	v_bfe_u32 v3, v12, 27, 4
	v_lshlrev_b64 v[0:1], v0, v[8:9]
	v_sub_u32_e32 v1, 29, v5
	v_cmp_eq_u32_e32 vcc, 0, v3
	v_and_b32_e32 v0, 7, v0
	s_nop 0
	v_cndmask_b32_e32 v1, v3, v1, vcc
	v_cndmask_b32_e32 v0, v2, v0, vcc
	v_lshlrev_b32_e32 v2, 8, v8
	v_lshl_add_u32 v1, v1, 10, v31
	v_and_or_b32 v1, v2, s42, v1
	v_lshl_or_b32 v0, v0, 7, v1
	v_cvt_f32_f16_e32 v0, v0
	scratch_store_dword off, v0, s32 offset:240 ; 4-byte Folded Spill
.LBB311_146:                            ;   in Loop: Header=BB311_10 Depth=1
	s_or_b64 exec, exec, s[36:37]
	flat_load_dword v12, v[36:37] offset:1032
	s_mov_b64 vcc, 0
                                        ; implicit-def: $sgpr38
	s_waitcnt vmcnt(0) lgkmcnt(0)
	v_cmp_gt_i16_sdwa s[34:35], v12, s17 src0_sel:BYTE_0 src1_sel:DWORD
	s_and_saveexec_b64 s[36:37], s[34:35]
	s_xor_b64 s[34:35], exec, s[36:37]
	s_cbranch_execnz .LBB311_556
; %bb.147:                              ;   in Loop: Header=BB311_10 Depth=1
	s_or_saveexec_b64 s[34:35], s[34:35]
	v_mov_b32_e32 v0, s38
	s_xor_b64 exec, exec, s[34:35]
	s_cbranch_execnz .LBB311_559
.LBB311_148:                            ;   in Loop: Header=BB311_10 Depth=1
	s_or_b64 exec, exec, s[34:35]
	s_and_saveexec_b64 s[34:35], vcc
	s_cbranch_execz .LBB311_150
.LBB311_149:                            ;   in Loop: Header=BB311_10 Depth=1
	v_and_b32_e32 v2, 7, v12
	v_ffbh_u32_e32 v0, v2
	v_min_u32_e32 v5, 32, v0
	v_subrev_u32_e32 v0, 28, v5
	v_bfe_u32 v3, v12, 3, 4
	v_lshlrev_b64 v[0:1], v0, v[12:13]
	v_sub_u32_e32 v1, 29, v5
	v_cmp_eq_u32_e32 vcc, 0, v3
	v_and_b32_e32 v0, 7, v0
	s_nop 0
	v_cndmask_b32_e32 v1, v3, v1, vcc
	v_cndmask_b32_e32 v0, v2, v0, vcc
	v_lshlrev_b32_e32 v2, 8, v12
	v_lshl_add_u32 v1, v1, 10, v31
	v_and_or_b32 v1, v2, s42, v1
	v_lshl_or_b32 v0, v0, 7, v1
	v_cvt_f32_f16_e32 v0, v0
.LBB311_150:                            ;   in Loop: Header=BB311_10 Depth=1
	s_or_b64 exec, exec, s[34:35]
	v_lshrrev_b16_e32 v8, 8, v12
	v_accvgpr_write_b32 a48, v0
	v_cmp_lt_i16_e32 vcc, s17, v8
	s_mov_b64 s[34:35], 0
                                        ; implicit-def: $sgpr43
	s_and_saveexec_b64 s[36:37], vcc
	s_xor_b64 s[36:37], exec, s[36:37]
	s_cbranch_execz .LBB311_154
; %bb.151:                              ;   in Loop: Header=BB311_10 Depth=1
	v_cmp_eq_u16_e32 vcc, s41, v8
	s_mov_b64 s[34:35], -1
                                        ; implicit-def: $sgpr43
	s_and_saveexec_b64 s[38:39], vcc
; %bb.152:                              ;   in Loop: Header=BB311_10 Depth=1
	s_mov_b32 s43, 0x7fc02000
	s_xor_b64 s[34:35], exec, -1
; %bb.153:                              ;   in Loop: Header=BB311_10 Depth=1
	s_or_b64 exec, exec, s[38:39]
	s_and_b64 s[34:35], s[34:35], exec
.LBB311_154:                            ;   in Loop: Header=BB311_10 Depth=1
	s_or_saveexec_b64 s[36:37], s[36:37]
	v_mov_b32_e32 v0, s43
	scratch_store_dword off, v0, s32 offset:244 ; 4-byte Folded Spill
	s_xor_b64 exec, exec, s[36:37]
	s_cbranch_execz .LBB311_156
; %bb.155:                              ;   in Loop: Header=BB311_10 Depth=1
	v_cmp_ne_u16_e32 vcc, 0, v8
	s_andn2_b64 s[34:35], s[34:35], exec
	s_and_b64 vcc, vcc, exec
	v_mov_b32_e32 v0, 0
	s_or_b64 s[34:35], s[34:35], vcc
	scratch_store_dword off, v0, s32 offset:244 ; 4-byte Folded Spill
.LBB311_156:                            ;   in Loop: Header=BB311_10 Depth=1
	s_or_b64 exec, exec, s[36:37]
	s_and_saveexec_b64 s[36:37], s[34:35]
	s_cbranch_execz .LBB311_158
; %bb.157:                              ;   in Loop: Header=BB311_10 Depth=1
	v_and_b32_e32 v2, 7, v8
	v_ffbh_u32_e32 v0, v2
	v_min_u32_e32 v5, 32, v0
	v_subrev_u32_e32 v0, 28, v5
	v_bfe_u32 v3, v8, 3, 4
	v_lshlrev_b64 v[0:1], v0, v[8:9]
	v_sub_u32_e32 v1, 29, v5
	v_cmp_eq_u32_e32 vcc, 0, v3
	v_and_b32_e32 v0, 7, v0
	s_nop 0
	v_cndmask_b32_e32 v1, v3, v1, vcc
	v_cndmask_b32_e32 v0, v2, v0, vcc
	v_lshlrev_b32_e32 v2, 8, v8
	v_lshl_add_u32 v1, v1, 10, v31
	v_and_or_b32 v1, v2, s42, v1
	v_lshl_or_b32 v0, v0, 7, v1
	v_cvt_f32_f16_e32 v0, v0
	scratch_store_dword off, v0, s32 offset:244 ; 4-byte Folded Spill
.LBB311_158:                            ;   in Loop: Header=BB311_10 Depth=1
	s_or_b64 exec, exec, s[36:37]
	v_lshrrev_b32_e32 v8, 16, v12
	v_cmp_gt_i16_sdwa s[34:35], v8, s17 src0_sel:BYTE_0 src1_sel:DWORD
	s_mov_b64 vcc, 0
                                        ; implicit-def: $sgpr38
	s_and_saveexec_b64 s[36:37], s[34:35]
	s_xor_b64 s[34:35], exec, s[36:37]
	s_cbranch_execz .LBB311_162
; %bb.159:                              ;   in Loop: Header=BB311_10 Depth=1
	v_cmp_eq_u16_sdwa s[44:45], v8, s41 src0_sel:BYTE_0 src1_sel:DWORD
	s_mov_b64 vcc, -1
                                        ; implicit-def: $sgpr38
	s_and_saveexec_b64 s[36:37], s[44:45]
; %bb.160:                              ;   in Loop: Header=BB311_10 Depth=1
	s_mov_b32 s38, 0x7fc02000
	s_xor_b64 vcc, exec, -1
; %bb.161:                              ;   in Loop: Header=BB311_10 Depth=1
	s_or_b64 exec, exec, s[36:37]
	s_and_b64 vcc, vcc, exec
.LBB311_162:                            ;   in Loop: Header=BB311_10 Depth=1
	s_or_saveexec_b64 s[34:35], s[34:35]
	v_mov_b32_e32 v0, s38
	scratch_store_dword off, v0, s32 offset:248 ; 4-byte Folded Spill
	s_xor_b64 exec, exec, s[34:35]
	s_cbranch_execz .LBB311_164
; %bb.163:                              ;   in Loop: Header=BB311_10 Depth=1
	v_cmp_ne_u16_sdwa s[36:37], v8, v9 src0_sel:BYTE_0 src1_sel:DWORD
	s_andn2_b64 vcc, vcc, exec
	s_and_b64 s[36:37], s[36:37], exec
	v_mov_b32_e32 v0, 0
	s_or_b64 vcc, vcc, s[36:37]
	scratch_store_dword off, v0, s32 offset:248 ; 4-byte Folded Spill
.LBB311_164:                            ;   in Loop: Header=BB311_10 Depth=1
	s_or_b64 exec, exec, s[34:35]
	s_and_saveexec_b64 s[34:35], vcc
	s_cbranch_execz .LBB311_166
; %bb.165:                              ;   in Loop: Header=BB311_10 Depth=1
	v_bfe_u32 v2, v12, 16, 3
	v_ffbh_u32_e32 v0, v2
	v_min_u32_e32 v5, 32, v0
	v_subrev_u32_e32 v0, 28, v5
	v_bfe_u32 v3, v12, 19, 4
	v_lshlrev_b64 v[0:1], v0, v[8:9]
	v_sub_u32_e32 v1, 29, v5
	v_cmp_eq_u32_e32 vcc, 0, v3
	v_and_b32_e32 v0, 7, v0
	s_nop 0
	v_cndmask_b32_e32 v1, v3, v1, vcc
	v_cndmask_b32_e32 v0, v2, v0, vcc
	v_lshlrev_b32_e32 v2, 8, v8
	v_lshl_add_u32 v1, v1, 10, v31
	v_and_or_b32 v1, v2, s42, v1
	v_lshl_or_b32 v0, v0, 7, v1
	v_cvt_f32_f16_e32 v0, v0
	scratch_store_dword off, v0, s32 offset:248 ; 4-byte Folded Spill
.LBB311_166:                            ;   in Loop: Header=BB311_10 Depth=1
	s_or_b64 exec, exec, s[34:35]
	v_lshrrev_b32_e32 v8, 24, v12
	v_cmp_lt_i16_e32 vcc, s17, v8
	s_mov_b64 s[34:35], 0
                                        ; implicit-def: $sgpr43
	s_and_saveexec_b64 s[36:37], vcc
	s_xor_b64 s[36:37], exec, s[36:37]
	s_cbranch_execz .LBB311_170
; %bb.167:                              ;   in Loop: Header=BB311_10 Depth=1
	v_cmp_eq_u16_e32 vcc, s41, v8
	s_mov_b64 s[34:35], -1
                                        ; implicit-def: $sgpr43
	s_and_saveexec_b64 s[38:39], vcc
; %bb.168:                              ;   in Loop: Header=BB311_10 Depth=1
	s_mov_b32 s43, 0x7fc02000
	s_xor_b64 s[34:35], exec, -1
; %bb.169:                              ;   in Loop: Header=BB311_10 Depth=1
	s_or_b64 exec, exec, s[38:39]
	s_and_b64 s[34:35], s[34:35], exec
.LBB311_170:                            ;   in Loop: Header=BB311_10 Depth=1
	s_or_saveexec_b64 s[36:37], s[36:37]
	v_mov_b32_e32 v0, s43
	scratch_store_dword off, v0, s32 offset:252 ; 4-byte Folded Spill
	s_xor_b64 exec, exec, s[36:37]
	s_cbranch_execz .LBB311_172
; %bb.171:                              ;   in Loop: Header=BB311_10 Depth=1
	v_cmp_ne_u16_e32 vcc, 0, v8
	s_andn2_b64 s[34:35], s[34:35], exec
	s_and_b64 vcc, vcc, exec
	v_mov_b32_e32 v0, 0
	s_or_b64 s[34:35], s[34:35], vcc
	scratch_store_dword off, v0, s32 offset:252 ; 4-byte Folded Spill
.LBB311_172:                            ;   in Loop: Header=BB311_10 Depth=1
	s_or_b64 exec, exec, s[36:37]
	s_and_saveexec_b64 s[36:37], s[34:35]
	s_cbranch_execz .LBB311_174
; %bb.173:                              ;   in Loop: Header=BB311_10 Depth=1
	v_bfe_u32 v2, v12, 24, 3
	v_ffbh_u32_e32 v0, v2
	v_min_u32_e32 v5, 32, v0
	v_subrev_u32_e32 v0, 28, v5
	v_bfe_u32 v3, v12, 27, 4
	v_lshlrev_b64 v[0:1], v0, v[8:9]
	v_sub_u32_e32 v1, 29, v5
	v_cmp_eq_u32_e32 vcc, 0, v3
	v_and_b32_e32 v0, 7, v0
	s_nop 0
	v_cndmask_b32_e32 v1, v3, v1, vcc
	v_cndmask_b32_e32 v0, v2, v0, vcc
	v_lshlrev_b32_e32 v2, 8, v8
	v_lshl_add_u32 v1, v1, 10, v31
	v_and_or_b32 v1, v2, s42, v1
	v_lshl_or_b32 v0, v0, 7, v1
	v_cvt_f32_f16_e32 v0, v0
	scratch_store_dword off, v0, s32 offset:252 ; 4-byte Folded Spill
.LBB311_174:                            ;   in Loop: Header=BB311_10 Depth=1
	s_or_b64 exec, exec, s[36:37]
	flat_load_dword v12, v[36:37] offset:1536
	s_mov_b64 vcc, 0
                                        ; implicit-def: $sgpr38
	s_waitcnt vmcnt(0) lgkmcnt(0)
	v_cmp_gt_i16_sdwa s[34:35], v12, s17 src0_sel:BYTE_0 src1_sel:DWORD
	s_and_saveexec_b64 s[36:37], s[34:35]
	s_xor_b64 s[34:35], exec, s[36:37]
	s_cbranch_execnz .LBB311_560
; %bb.175:                              ;   in Loop: Header=BB311_10 Depth=1
	s_or_saveexec_b64 s[34:35], s[34:35]
	v_mov_b32_e32 v0, s38
	s_xor_b64 exec, exec, s[34:35]
	s_cbranch_execnz .LBB311_563
.LBB311_176:                            ;   in Loop: Header=BB311_10 Depth=1
	s_or_b64 exec, exec, s[34:35]
	s_and_saveexec_b64 s[34:35], vcc
	s_cbranch_execz .LBB311_178
.LBB311_177:                            ;   in Loop: Header=BB311_10 Depth=1
	v_and_b32_e32 v2, 7, v12
	v_ffbh_u32_e32 v0, v2
	v_min_u32_e32 v5, 32, v0
	v_subrev_u32_e32 v0, 28, v5
	v_bfe_u32 v3, v12, 3, 4
	v_lshlrev_b64 v[0:1], v0, v[12:13]
	v_sub_u32_e32 v1, 29, v5
	v_cmp_eq_u32_e32 vcc, 0, v3
	v_and_b32_e32 v0, 7, v0
	s_nop 0
	v_cndmask_b32_e32 v1, v3, v1, vcc
	v_cndmask_b32_e32 v0, v2, v0, vcc
	v_lshlrev_b32_e32 v2, 8, v12
	v_lshl_add_u32 v1, v1, 10, v31
	v_and_or_b32 v1, v2, s42, v1
	v_lshl_or_b32 v0, v0, 7, v1
	v_cvt_f32_f16_e32 v0, v0
.LBB311_178:                            ;   in Loop: Header=BB311_10 Depth=1
	s_or_b64 exec, exec, s[34:35]
	v_lshrrev_b16_e32 v8, 8, v12
	v_accvgpr_write_b32 a49, v0
	v_cmp_lt_i16_e32 vcc, s17, v8
	s_mov_b64 s[34:35], 0
                                        ; implicit-def: $sgpr43
	s_and_saveexec_b64 s[36:37], vcc
	s_xor_b64 s[36:37], exec, s[36:37]
	s_cbranch_execz .LBB311_182
; %bb.179:                              ;   in Loop: Header=BB311_10 Depth=1
	v_cmp_eq_u16_e32 vcc, s41, v8
	s_mov_b64 s[34:35], -1
                                        ; implicit-def: $sgpr43
	s_and_saveexec_b64 s[38:39], vcc
; %bb.180:                              ;   in Loop: Header=BB311_10 Depth=1
	s_mov_b32 s43, 0x7fc02000
	s_xor_b64 s[34:35], exec, -1
; %bb.181:                              ;   in Loop: Header=BB311_10 Depth=1
	s_or_b64 exec, exec, s[38:39]
	s_and_b64 s[34:35], s[34:35], exec
.LBB311_182:                            ;   in Loop: Header=BB311_10 Depth=1
	s_or_saveexec_b64 s[36:37], s[36:37]
	v_mov_b32_e32 v0, s43
	scratch_store_dword off, v0, s32 offset:256 ; 4-byte Folded Spill
	s_xor_b64 exec, exec, s[36:37]
	s_cbranch_execz .LBB311_184
; %bb.183:                              ;   in Loop: Header=BB311_10 Depth=1
	v_cmp_ne_u16_e32 vcc, 0, v8
	s_andn2_b64 s[34:35], s[34:35], exec
	s_and_b64 vcc, vcc, exec
	v_mov_b32_e32 v0, 0
	s_or_b64 s[34:35], s[34:35], vcc
	scratch_store_dword off, v0, s32 offset:256 ; 4-byte Folded Spill
.LBB311_184:                            ;   in Loop: Header=BB311_10 Depth=1
	s_or_b64 exec, exec, s[36:37]
	s_and_saveexec_b64 s[36:37], s[34:35]
	s_cbranch_execz .LBB311_186
; %bb.185:                              ;   in Loop: Header=BB311_10 Depth=1
	v_and_b32_e32 v2, 7, v8
	v_ffbh_u32_e32 v0, v2
	v_min_u32_e32 v5, 32, v0
	v_subrev_u32_e32 v0, 28, v5
	v_bfe_u32 v3, v8, 3, 4
	v_lshlrev_b64 v[0:1], v0, v[8:9]
	v_sub_u32_e32 v1, 29, v5
	v_cmp_eq_u32_e32 vcc, 0, v3
	v_and_b32_e32 v0, 7, v0
	s_nop 0
	v_cndmask_b32_e32 v1, v3, v1, vcc
	v_cndmask_b32_e32 v0, v2, v0, vcc
	v_lshlrev_b32_e32 v2, 8, v8
	v_lshl_add_u32 v1, v1, 10, v31
	v_and_or_b32 v1, v2, s42, v1
	v_lshl_or_b32 v0, v0, 7, v1
	v_cvt_f32_f16_e32 v0, v0
	scratch_store_dword off, v0, s32 offset:256 ; 4-byte Folded Spill
.LBB311_186:                            ;   in Loop: Header=BB311_10 Depth=1
	s_or_b64 exec, exec, s[36:37]
	v_lshrrev_b32_e32 v8, 16, v12
	v_cmp_gt_i16_sdwa s[34:35], v8, s17 src0_sel:BYTE_0 src1_sel:DWORD
	s_mov_b64 vcc, 0
                                        ; implicit-def: $sgpr38
	s_and_saveexec_b64 s[36:37], s[34:35]
	s_xor_b64 s[34:35], exec, s[36:37]
	s_cbranch_execz .LBB311_190
; %bb.187:                              ;   in Loop: Header=BB311_10 Depth=1
	v_cmp_eq_u16_sdwa s[44:45], v8, s41 src0_sel:BYTE_0 src1_sel:DWORD
	s_mov_b64 vcc, -1
                                        ; implicit-def: $sgpr38
	s_and_saveexec_b64 s[36:37], s[44:45]
; %bb.188:                              ;   in Loop: Header=BB311_10 Depth=1
	s_mov_b32 s38, 0x7fc02000
	s_xor_b64 vcc, exec, -1
; %bb.189:                              ;   in Loop: Header=BB311_10 Depth=1
	s_or_b64 exec, exec, s[36:37]
	s_and_b64 vcc, vcc, exec
.LBB311_190:                            ;   in Loop: Header=BB311_10 Depth=1
	s_or_saveexec_b64 s[34:35], s[34:35]
	v_mov_b32_e32 v0, s38
	scratch_store_dword off, v0, s32 offset:260 ; 4-byte Folded Spill
	s_xor_b64 exec, exec, s[34:35]
	s_cbranch_execz .LBB311_192
; %bb.191:                              ;   in Loop: Header=BB311_10 Depth=1
	v_cmp_ne_u16_sdwa s[36:37], v8, v9 src0_sel:BYTE_0 src1_sel:DWORD
	s_andn2_b64 vcc, vcc, exec
	s_and_b64 s[36:37], s[36:37], exec
	v_mov_b32_e32 v0, 0
	s_or_b64 vcc, vcc, s[36:37]
	scratch_store_dword off, v0, s32 offset:260 ; 4-byte Folded Spill
.LBB311_192:                            ;   in Loop: Header=BB311_10 Depth=1
	s_or_b64 exec, exec, s[34:35]
	s_and_saveexec_b64 s[34:35], vcc
	s_cbranch_execz .LBB311_194
; %bb.193:                              ;   in Loop: Header=BB311_10 Depth=1
	v_bfe_u32 v2, v12, 16, 3
	v_ffbh_u32_e32 v0, v2
	v_min_u32_e32 v5, 32, v0
	v_subrev_u32_e32 v0, 28, v5
	v_bfe_u32 v3, v12, 19, 4
	v_lshlrev_b64 v[0:1], v0, v[8:9]
	v_sub_u32_e32 v1, 29, v5
	v_cmp_eq_u32_e32 vcc, 0, v3
	v_and_b32_e32 v0, 7, v0
	s_nop 0
	v_cndmask_b32_e32 v1, v3, v1, vcc
	v_cndmask_b32_e32 v0, v2, v0, vcc
	v_lshlrev_b32_e32 v2, 8, v8
	v_lshl_add_u32 v1, v1, 10, v31
	v_and_or_b32 v1, v2, s42, v1
	v_lshl_or_b32 v0, v0, 7, v1
	v_cvt_f32_f16_e32 v0, v0
	scratch_store_dword off, v0, s32 offset:260 ; 4-byte Folded Spill
.LBB311_194:                            ;   in Loop: Header=BB311_10 Depth=1
	s_or_b64 exec, exec, s[34:35]
	v_lshrrev_b32_e32 v8, 24, v12
	v_cmp_lt_i16_e32 vcc, s17, v8
	s_mov_b64 s[34:35], 0
                                        ; implicit-def: $sgpr43
	s_and_saveexec_b64 s[36:37], vcc
	s_xor_b64 s[36:37], exec, s[36:37]
	s_cbranch_execz .LBB311_198
; %bb.195:                              ;   in Loop: Header=BB311_10 Depth=1
	v_cmp_eq_u16_e32 vcc, s41, v8
	s_mov_b64 s[34:35], -1
                                        ; implicit-def: $sgpr43
	s_and_saveexec_b64 s[38:39], vcc
; %bb.196:                              ;   in Loop: Header=BB311_10 Depth=1
	s_mov_b32 s43, 0x7fc02000
	s_xor_b64 s[34:35], exec, -1
; %bb.197:                              ;   in Loop: Header=BB311_10 Depth=1
	s_or_b64 exec, exec, s[38:39]
	s_and_b64 s[34:35], s[34:35], exec
.LBB311_198:                            ;   in Loop: Header=BB311_10 Depth=1
	s_or_saveexec_b64 s[36:37], s[36:37]
	v_mov_b32_e32 v0, s43
	scratch_store_dword off, v0, s32 offset:264 ; 4-byte Folded Spill
	s_xor_b64 exec, exec, s[36:37]
	s_cbranch_execz .LBB311_200
; %bb.199:                              ;   in Loop: Header=BB311_10 Depth=1
	v_cmp_ne_u16_e32 vcc, 0, v8
	s_andn2_b64 s[34:35], s[34:35], exec
	s_and_b64 vcc, vcc, exec
	v_mov_b32_e32 v0, 0
	s_or_b64 s[34:35], s[34:35], vcc
	scratch_store_dword off, v0, s32 offset:264 ; 4-byte Folded Spill
.LBB311_200:                            ;   in Loop: Header=BB311_10 Depth=1
	s_or_b64 exec, exec, s[36:37]
	s_and_saveexec_b64 s[36:37], s[34:35]
	s_cbranch_execz .LBB311_202
; %bb.201:                              ;   in Loop: Header=BB311_10 Depth=1
	v_bfe_u32 v2, v12, 24, 3
	v_ffbh_u32_e32 v0, v2
	v_min_u32_e32 v5, 32, v0
	v_subrev_u32_e32 v0, 28, v5
	v_bfe_u32 v3, v12, 27, 4
	v_lshlrev_b64 v[0:1], v0, v[8:9]
	v_sub_u32_e32 v1, 29, v5
	v_cmp_eq_u32_e32 vcc, 0, v3
	v_and_b32_e32 v0, 7, v0
	s_nop 0
	v_cndmask_b32_e32 v1, v3, v1, vcc
	v_cndmask_b32_e32 v0, v2, v0, vcc
	v_lshlrev_b32_e32 v2, 8, v8
	v_lshl_add_u32 v1, v1, 10, v31
	v_and_or_b32 v1, v2, s42, v1
	v_lshl_or_b32 v0, v0, 7, v1
	v_cvt_f32_f16_e32 v0, v0
	scratch_store_dword off, v0, s32 offset:264 ; 4-byte Folded Spill
.LBB311_202:                            ;   in Loop: Header=BB311_10 Depth=1
	s_or_b64 exec, exec, s[36:37]
	flat_load_dword v12, v[36:37] offset:1544
	s_mov_b64 vcc, 0
                                        ; implicit-def: $sgpr38
	s_waitcnt vmcnt(0) lgkmcnt(0)
	v_cmp_gt_i16_sdwa s[34:35], v12, s17 src0_sel:BYTE_0 src1_sel:DWORD
	s_and_saveexec_b64 s[36:37], s[34:35]
	s_xor_b64 s[34:35], exec, s[36:37]
	s_cbranch_execnz .LBB311_564
; %bb.203:                              ;   in Loop: Header=BB311_10 Depth=1
	s_or_saveexec_b64 s[34:35], s[34:35]
	v_mov_b32_e32 v0, s38
	s_xor_b64 exec, exec, s[34:35]
	s_cbranch_execnz .LBB311_567
.LBB311_204:                            ;   in Loop: Header=BB311_10 Depth=1
	s_or_b64 exec, exec, s[34:35]
	s_and_saveexec_b64 s[34:35], vcc
	s_cbranch_execz .LBB311_206
.LBB311_205:                            ;   in Loop: Header=BB311_10 Depth=1
	v_and_b32_e32 v2, 7, v12
	v_ffbh_u32_e32 v0, v2
	v_min_u32_e32 v5, 32, v0
	v_subrev_u32_e32 v0, 28, v5
	v_bfe_u32 v3, v12, 3, 4
	v_lshlrev_b64 v[0:1], v0, v[12:13]
	v_sub_u32_e32 v1, 29, v5
	v_cmp_eq_u32_e32 vcc, 0, v3
	v_and_b32_e32 v0, 7, v0
	s_nop 0
	v_cndmask_b32_e32 v1, v3, v1, vcc
	v_cndmask_b32_e32 v0, v2, v0, vcc
	v_lshlrev_b32_e32 v2, 8, v12
	v_lshl_add_u32 v1, v1, 10, v31
	v_and_or_b32 v1, v2, s42, v1
	v_lshl_or_b32 v0, v0, 7, v1
	v_cvt_f32_f16_e32 v0, v0
.LBB311_206:                            ;   in Loop: Header=BB311_10 Depth=1
	s_or_b64 exec, exec, s[34:35]
	v_lshrrev_b16_e32 v8, 8, v12
	v_accvgpr_write_b32 a50, v0
	v_cmp_lt_i16_e32 vcc, s17, v8
	s_mov_b64 s[34:35], 0
                                        ; implicit-def: $sgpr43
	s_and_saveexec_b64 s[36:37], vcc
	s_xor_b64 s[36:37], exec, s[36:37]
	s_cbranch_execz .LBB311_210
; %bb.207:                              ;   in Loop: Header=BB311_10 Depth=1
	v_cmp_eq_u16_e32 vcc, s41, v8
	s_mov_b64 s[34:35], -1
                                        ; implicit-def: $sgpr43
	s_and_saveexec_b64 s[38:39], vcc
; %bb.208:                              ;   in Loop: Header=BB311_10 Depth=1
	s_mov_b32 s43, 0x7fc02000
	s_xor_b64 s[34:35], exec, -1
; %bb.209:                              ;   in Loop: Header=BB311_10 Depth=1
	s_or_b64 exec, exec, s[38:39]
	s_and_b64 s[34:35], s[34:35], exec
.LBB311_210:                            ;   in Loop: Header=BB311_10 Depth=1
	s_or_saveexec_b64 s[36:37], s[36:37]
	v_mov_b32_e32 v0, s43
	scratch_store_dword off, v0, s32 offset:268 ; 4-byte Folded Spill
	s_xor_b64 exec, exec, s[36:37]
	s_cbranch_execz .LBB311_212
; %bb.211:                              ;   in Loop: Header=BB311_10 Depth=1
	v_cmp_ne_u16_e32 vcc, 0, v8
	s_andn2_b64 s[34:35], s[34:35], exec
	s_and_b64 vcc, vcc, exec
	v_mov_b32_e32 v0, 0
	s_or_b64 s[34:35], s[34:35], vcc
	scratch_store_dword off, v0, s32 offset:268 ; 4-byte Folded Spill
.LBB311_212:                            ;   in Loop: Header=BB311_10 Depth=1
	s_or_b64 exec, exec, s[36:37]
	s_and_saveexec_b64 s[36:37], s[34:35]
	s_cbranch_execz .LBB311_214
; %bb.213:                              ;   in Loop: Header=BB311_10 Depth=1
	v_and_b32_e32 v2, 7, v8
	v_ffbh_u32_e32 v0, v2
	v_min_u32_e32 v5, 32, v0
	v_subrev_u32_e32 v0, 28, v5
	v_bfe_u32 v3, v8, 3, 4
	v_lshlrev_b64 v[0:1], v0, v[8:9]
	v_sub_u32_e32 v1, 29, v5
	v_cmp_eq_u32_e32 vcc, 0, v3
	v_and_b32_e32 v0, 7, v0
	s_nop 0
	v_cndmask_b32_e32 v1, v3, v1, vcc
	v_cndmask_b32_e32 v0, v2, v0, vcc
	v_lshlrev_b32_e32 v2, 8, v8
	v_lshl_add_u32 v1, v1, 10, v31
	v_and_or_b32 v1, v2, s42, v1
	v_lshl_or_b32 v0, v0, 7, v1
	v_cvt_f32_f16_e32 v0, v0
	scratch_store_dword off, v0, s32 offset:268 ; 4-byte Folded Spill
.LBB311_214:                            ;   in Loop: Header=BB311_10 Depth=1
	s_or_b64 exec, exec, s[36:37]
	v_lshrrev_b32_e32 v8, 16, v12
	v_cmp_gt_i16_sdwa s[34:35], v8, s17 src0_sel:BYTE_0 src1_sel:DWORD
	s_mov_b64 vcc, 0
                                        ; implicit-def: $sgpr38
	s_and_saveexec_b64 s[36:37], s[34:35]
	s_xor_b64 s[34:35], exec, s[36:37]
	s_cbranch_execz .LBB311_218
; %bb.215:                              ;   in Loop: Header=BB311_10 Depth=1
	v_cmp_eq_u16_sdwa s[44:45], v8, s41 src0_sel:BYTE_0 src1_sel:DWORD
	s_mov_b64 vcc, -1
                                        ; implicit-def: $sgpr38
	s_and_saveexec_b64 s[36:37], s[44:45]
; %bb.216:                              ;   in Loop: Header=BB311_10 Depth=1
	s_mov_b32 s38, 0x7fc02000
	s_xor_b64 vcc, exec, -1
; %bb.217:                              ;   in Loop: Header=BB311_10 Depth=1
	s_or_b64 exec, exec, s[36:37]
	s_and_b64 vcc, vcc, exec
.LBB311_218:                            ;   in Loop: Header=BB311_10 Depth=1
	s_or_saveexec_b64 s[34:35], s[34:35]
	v_mov_b32_e32 v0, s38
	scratch_store_dword off, v0, s32 offset:272 ; 4-byte Folded Spill
	s_xor_b64 exec, exec, s[34:35]
	s_cbranch_execz .LBB311_220
; %bb.219:                              ;   in Loop: Header=BB311_10 Depth=1
	v_cmp_ne_u16_sdwa s[36:37], v8, v9 src0_sel:BYTE_0 src1_sel:DWORD
	s_andn2_b64 vcc, vcc, exec
	s_and_b64 s[36:37], s[36:37], exec
	v_mov_b32_e32 v0, 0
	s_or_b64 vcc, vcc, s[36:37]
	scratch_store_dword off, v0, s32 offset:272 ; 4-byte Folded Spill
.LBB311_220:                            ;   in Loop: Header=BB311_10 Depth=1
	s_or_b64 exec, exec, s[34:35]
	s_and_saveexec_b64 s[34:35], vcc
	s_cbranch_execz .LBB311_222
; %bb.221:                              ;   in Loop: Header=BB311_10 Depth=1
	v_bfe_u32 v2, v12, 16, 3
	v_ffbh_u32_e32 v0, v2
	v_min_u32_e32 v5, 32, v0
	v_subrev_u32_e32 v0, 28, v5
	v_bfe_u32 v3, v12, 19, 4
	v_lshlrev_b64 v[0:1], v0, v[8:9]
	v_sub_u32_e32 v1, 29, v5
	v_cmp_eq_u32_e32 vcc, 0, v3
	v_and_b32_e32 v0, 7, v0
	s_nop 0
	v_cndmask_b32_e32 v1, v3, v1, vcc
	v_cndmask_b32_e32 v0, v2, v0, vcc
	v_lshlrev_b32_e32 v2, 8, v8
	v_lshl_add_u32 v1, v1, 10, v31
	v_and_or_b32 v1, v2, s42, v1
	v_lshl_or_b32 v0, v0, 7, v1
	v_cvt_f32_f16_e32 v0, v0
	scratch_store_dword off, v0, s32 offset:272 ; 4-byte Folded Spill
.LBB311_222:                            ;   in Loop: Header=BB311_10 Depth=1
	s_or_b64 exec, exec, s[34:35]
	v_lshrrev_b32_e32 v8, 24, v12
	v_cmp_lt_i16_e32 vcc, s17, v8
	s_mov_b64 s[34:35], 0
                                        ; implicit-def: $sgpr43
	s_and_saveexec_b64 s[36:37], vcc
	s_xor_b64 s[36:37], exec, s[36:37]
	s_cbranch_execz .LBB311_226
; %bb.223:                              ;   in Loop: Header=BB311_10 Depth=1
	v_cmp_eq_u16_e32 vcc, s41, v8
	s_mov_b64 s[34:35], -1
                                        ; implicit-def: $sgpr43
	s_and_saveexec_b64 s[38:39], vcc
; %bb.224:                              ;   in Loop: Header=BB311_10 Depth=1
	s_mov_b32 s43, 0x7fc02000
	s_xor_b64 s[34:35], exec, -1
; %bb.225:                              ;   in Loop: Header=BB311_10 Depth=1
	s_or_b64 exec, exec, s[38:39]
	s_and_b64 s[34:35], s[34:35], exec
.LBB311_226:                            ;   in Loop: Header=BB311_10 Depth=1
	s_or_saveexec_b64 s[36:37], s[36:37]
	v_mov_b32_e32 v0, s43
	scratch_store_dword off, v0, s32 offset:276 ; 4-byte Folded Spill
	s_xor_b64 exec, exec, s[36:37]
	s_cbranch_execz .LBB311_228
; %bb.227:                              ;   in Loop: Header=BB311_10 Depth=1
	v_cmp_ne_u16_e32 vcc, 0, v8
	s_andn2_b64 s[34:35], s[34:35], exec
	s_and_b64 vcc, vcc, exec
	v_mov_b32_e32 v0, 0
	s_or_b64 s[34:35], s[34:35], vcc
	scratch_store_dword off, v0, s32 offset:276 ; 4-byte Folded Spill
.LBB311_228:                            ;   in Loop: Header=BB311_10 Depth=1
	s_or_b64 exec, exec, s[36:37]
	s_and_saveexec_b64 s[36:37], s[34:35]
	s_cbranch_execz .LBB311_230
; %bb.229:                              ;   in Loop: Header=BB311_10 Depth=1
	v_bfe_u32 v2, v12, 24, 3
	v_ffbh_u32_e32 v0, v2
	v_min_u32_e32 v5, 32, v0
	v_subrev_u32_e32 v0, 28, v5
	v_bfe_u32 v3, v12, 27, 4
	v_lshlrev_b64 v[0:1], v0, v[8:9]
	v_sub_u32_e32 v1, 29, v5
	v_cmp_eq_u32_e32 vcc, 0, v3
	v_and_b32_e32 v0, 7, v0
	s_nop 0
	v_cndmask_b32_e32 v1, v3, v1, vcc
	v_cndmask_b32_e32 v0, v2, v0, vcc
	v_lshlrev_b32_e32 v2, 8, v8
	v_lshl_add_u32 v1, v1, 10, v31
	v_and_or_b32 v1, v2, s42, v1
	v_lshl_or_b32 v0, v0, 7, v1
	v_cvt_f32_f16_e32 v0, v0
	scratch_store_dword off, v0, s32 offset:276 ; 4-byte Folded Spill
.LBB311_230:                            ;   in Loop: Header=BB311_10 Depth=1
	s_or_b64 exec, exec, s[36:37]
	flat_load_dword v12, v[36:37] offset:2048
	s_mov_b64 vcc, 0
                                        ; implicit-def: $sgpr38
	s_waitcnt vmcnt(0) lgkmcnt(0)
	v_cmp_gt_i16_sdwa s[34:35], v12, s17 src0_sel:BYTE_0 src1_sel:DWORD
	s_and_saveexec_b64 s[36:37], s[34:35]
	s_xor_b64 s[34:35], exec, s[36:37]
	s_cbranch_execz .LBB311_234
; %bb.231:                              ;   in Loop: Header=BB311_10 Depth=1
	v_cmp_eq_u16_sdwa s[44:45], v12, s41 src0_sel:BYTE_0 src1_sel:DWORD
	s_mov_b64 vcc, -1
                                        ; implicit-def: $sgpr38
	s_and_saveexec_b64 s[36:37], s[44:45]
; %bb.232:                              ;   in Loop: Header=BB311_10 Depth=1
	s_mov_b32 s38, 0x7fc02000
	s_xor_b64 vcc, exec, -1
; %bb.233:                              ;   in Loop: Header=BB311_10 Depth=1
	s_or_b64 exec, exec, s[36:37]
	s_and_b64 vcc, vcc, exec
.LBB311_234:                            ;   in Loop: Header=BB311_10 Depth=1
	s_or_saveexec_b64 s[34:35], s[34:35]
	v_mov_b32_e32 v0, s38
	scratch_store_dword off, v0, s32 offset:280 ; 4-byte Folded Spill
	s_xor_b64 exec, exec, s[34:35]
	s_cbranch_execz .LBB311_236
; %bb.235:                              ;   in Loop: Header=BB311_10 Depth=1
	v_cmp_ne_u16_sdwa s[36:37], v12, v9 src0_sel:BYTE_0 src1_sel:DWORD
	s_andn2_b64 vcc, vcc, exec
	s_and_b64 s[36:37], s[36:37], exec
	v_mov_b32_e32 v0, 0
	s_or_b64 vcc, vcc, s[36:37]
	scratch_store_dword off, v0, s32 offset:280 ; 4-byte Folded Spill
.LBB311_236:                            ;   in Loop: Header=BB311_10 Depth=1
	s_or_b64 exec, exec, s[34:35]
	s_and_saveexec_b64 s[34:35], vcc
	s_cbranch_execz .LBB311_238
; %bb.237:                              ;   in Loop: Header=BB311_10 Depth=1
	v_and_b32_e32 v2, 7, v12
	v_ffbh_u32_e32 v0, v2
	v_min_u32_e32 v5, 32, v0
	v_subrev_u32_e32 v0, 28, v5
	v_bfe_u32 v3, v12, 3, 4
	v_lshlrev_b64 v[0:1], v0, v[12:13]
	v_sub_u32_e32 v1, 29, v5
	v_cmp_eq_u32_e32 vcc, 0, v3
	v_and_b32_e32 v0, 7, v0
	s_nop 0
	v_cndmask_b32_e32 v1, v3, v1, vcc
	v_cndmask_b32_e32 v0, v2, v0, vcc
	v_lshlrev_b32_e32 v2, 8, v12
	v_lshl_add_u32 v1, v1, 10, v31
	v_and_or_b32 v1, v2, s42, v1
	v_lshl_or_b32 v0, v0, 7, v1
	v_cvt_f32_f16_e32 v0, v0
	scratch_store_dword off, v0, s32 offset:280 ; 4-byte Folded Spill
.LBB311_238:                            ;   in Loop: Header=BB311_10 Depth=1
	s_or_b64 exec, exec, s[34:35]
	v_lshrrev_b16_e32 v8, 8, v12
	v_cmp_lt_i16_e32 vcc, s17, v8
	s_mov_b64 s[34:35], 0
                                        ; implicit-def: $sgpr43
	s_and_saveexec_b64 s[36:37], vcc
	s_xor_b64 s[36:37], exec, s[36:37]
	s_cbranch_execz .LBB311_242
; %bb.239:                              ;   in Loop: Header=BB311_10 Depth=1
	v_cmp_eq_u16_e32 vcc, s41, v8
	s_mov_b64 s[34:35], -1
                                        ; implicit-def: $sgpr43
	s_and_saveexec_b64 s[38:39], vcc
; %bb.240:                              ;   in Loop: Header=BB311_10 Depth=1
	s_mov_b32 s43, 0x7fc02000
	s_xor_b64 s[34:35], exec, -1
; %bb.241:                              ;   in Loop: Header=BB311_10 Depth=1
	s_or_b64 exec, exec, s[38:39]
	s_and_b64 s[34:35], s[34:35], exec
.LBB311_242:                            ;   in Loop: Header=BB311_10 Depth=1
	s_or_saveexec_b64 s[36:37], s[36:37]
	v_mov_b32_e32 v0, s43
	scratch_store_dword off, v0, s32 offset:284 ; 4-byte Folded Spill
	s_xor_b64 exec, exec, s[36:37]
	s_cbranch_execz .LBB311_244
; %bb.243:                              ;   in Loop: Header=BB311_10 Depth=1
	v_cmp_ne_u16_e32 vcc, 0, v8
	s_andn2_b64 s[34:35], s[34:35], exec
	s_and_b64 vcc, vcc, exec
	v_mov_b32_e32 v0, 0
	s_or_b64 s[34:35], s[34:35], vcc
	scratch_store_dword off, v0, s32 offset:284 ; 4-byte Folded Spill
.LBB311_244:                            ;   in Loop: Header=BB311_10 Depth=1
	s_or_b64 exec, exec, s[36:37]
	s_and_saveexec_b64 s[36:37], s[34:35]
	s_cbranch_execz .LBB311_246
; %bb.245:                              ;   in Loop: Header=BB311_10 Depth=1
	v_and_b32_e32 v2, 7, v8
	v_ffbh_u32_e32 v0, v2
	v_min_u32_e32 v5, 32, v0
	v_subrev_u32_e32 v0, 28, v5
	v_bfe_u32 v3, v8, 3, 4
	v_lshlrev_b64 v[0:1], v0, v[8:9]
	v_sub_u32_e32 v1, 29, v5
	v_cmp_eq_u32_e32 vcc, 0, v3
	v_and_b32_e32 v0, 7, v0
	s_nop 0
	v_cndmask_b32_e32 v1, v3, v1, vcc
	v_cndmask_b32_e32 v0, v2, v0, vcc
	v_lshlrev_b32_e32 v2, 8, v8
	v_lshl_add_u32 v1, v1, 10, v31
	v_and_or_b32 v1, v2, s42, v1
	v_lshl_or_b32 v0, v0, 7, v1
	v_cvt_f32_f16_e32 v0, v0
	scratch_store_dword off, v0, s32 offset:284 ; 4-byte Folded Spill
.LBB311_246:                            ;   in Loop: Header=BB311_10 Depth=1
	s_or_b64 exec, exec, s[36:37]
	v_lshrrev_b32_e32 v8, 16, v12
	v_cmp_gt_i16_sdwa s[34:35], v8, s17 src0_sel:BYTE_0 src1_sel:DWORD
	s_mov_b64 vcc, 0
                                        ; implicit-def: $sgpr38
	s_and_saveexec_b64 s[36:37], s[34:35]
	s_xor_b64 s[34:35], exec, s[36:37]
	s_cbranch_execz .LBB311_250
; %bb.247:                              ;   in Loop: Header=BB311_10 Depth=1
	v_cmp_eq_u16_sdwa s[44:45], v8, s41 src0_sel:BYTE_0 src1_sel:DWORD
	s_mov_b64 vcc, -1
                                        ; implicit-def: $sgpr38
	s_and_saveexec_b64 s[36:37], s[44:45]
; %bb.248:                              ;   in Loop: Header=BB311_10 Depth=1
	s_mov_b32 s38, 0x7fc02000
	s_xor_b64 vcc, exec, -1
; %bb.249:                              ;   in Loop: Header=BB311_10 Depth=1
	s_or_b64 exec, exec, s[36:37]
	s_and_b64 vcc, vcc, exec
.LBB311_250:                            ;   in Loop: Header=BB311_10 Depth=1
	s_or_saveexec_b64 s[34:35], s[34:35]
	v_mov_b32_e32 v0, s38
	scratch_store_dword off, v0, s32 offset:288 ; 4-byte Folded Spill
	s_xor_b64 exec, exec, s[34:35]
	s_cbranch_execz .LBB311_252
; %bb.251:                              ;   in Loop: Header=BB311_10 Depth=1
	v_cmp_ne_u16_sdwa s[36:37], v8, v9 src0_sel:BYTE_0 src1_sel:DWORD
	s_andn2_b64 vcc, vcc, exec
	s_and_b64 s[36:37], s[36:37], exec
	v_mov_b32_e32 v0, 0
	s_or_b64 vcc, vcc, s[36:37]
	scratch_store_dword off, v0, s32 offset:288 ; 4-byte Folded Spill
.LBB311_252:                            ;   in Loop: Header=BB311_10 Depth=1
	s_or_b64 exec, exec, s[34:35]
	s_and_saveexec_b64 s[34:35], vcc
	s_cbranch_execz .LBB311_254
; %bb.253:                              ;   in Loop: Header=BB311_10 Depth=1
	v_bfe_u32 v2, v12, 16, 3
	v_ffbh_u32_e32 v0, v2
	v_min_u32_e32 v5, 32, v0
	v_subrev_u32_e32 v0, 28, v5
	v_bfe_u32 v3, v12, 19, 4
	v_lshlrev_b64 v[0:1], v0, v[8:9]
	v_sub_u32_e32 v1, 29, v5
	v_cmp_eq_u32_e32 vcc, 0, v3
	v_and_b32_e32 v0, 7, v0
	s_nop 0
	v_cndmask_b32_e32 v1, v3, v1, vcc
	v_cndmask_b32_e32 v0, v2, v0, vcc
	v_lshlrev_b32_e32 v2, 8, v8
	v_lshl_add_u32 v1, v1, 10, v31
	v_and_or_b32 v1, v2, s42, v1
	v_lshl_or_b32 v0, v0, 7, v1
	v_cvt_f32_f16_e32 v0, v0
	scratch_store_dword off, v0, s32 offset:288 ; 4-byte Folded Spill
.LBB311_254:                            ;   in Loop: Header=BB311_10 Depth=1
	s_or_b64 exec, exec, s[34:35]
	v_lshrrev_b32_e32 v8, 24, v12
	v_cmp_lt_i16_e32 vcc, s17, v8
	s_mov_b64 s[34:35], 0
                                        ; implicit-def: $sgpr43
	s_and_saveexec_b64 s[36:37], vcc
	s_xor_b64 s[36:37], exec, s[36:37]
	s_cbranch_execz .LBB311_258
; %bb.255:                              ;   in Loop: Header=BB311_10 Depth=1
	v_cmp_eq_u16_e32 vcc, s41, v8
	s_mov_b64 s[34:35], -1
                                        ; implicit-def: $sgpr43
	s_and_saveexec_b64 s[38:39], vcc
; %bb.256:                              ;   in Loop: Header=BB311_10 Depth=1
	s_mov_b32 s43, 0x7fc02000
	s_xor_b64 s[34:35], exec, -1
; %bb.257:                              ;   in Loop: Header=BB311_10 Depth=1
	s_or_b64 exec, exec, s[38:39]
	s_and_b64 s[34:35], s[34:35], exec
.LBB311_258:                            ;   in Loop: Header=BB311_10 Depth=1
	s_or_saveexec_b64 s[36:37], s[36:37]
	v_mov_b32_e32 v0, s43
	scratch_store_dword off, v0, s32 offset:292 ; 4-byte Folded Spill
	s_xor_b64 exec, exec, s[36:37]
	s_cbranch_execz .LBB311_260
; %bb.259:                              ;   in Loop: Header=BB311_10 Depth=1
	v_cmp_ne_u16_e32 vcc, 0, v8
	s_andn2_b64 s[34:35], s[34:35], exec
	s_and_b64 vcc, vcc, exec
	v_mov_b32_e32 v0, 0
	s_or_b64 s[34:35], s[34:35], vcc
	scratch_store_dword off, v0, s32 offset:292 ; 4-byte Folded Spill
.LBB311_260:                            ;   in Loop: Header=BB311_10 Depth=1
	s_or_b64 exec, exec, s[36:37]
	s_and_saveexec_b64 s[36:37], s[34:35]
	s_cbranch_execz .LBB311_262
; %bb.261:                              ;   in Loop: Header=BB311_10 Depth=1
	v_bfe_u32 v2, v12, 24, 3
	v_ffbh_u32_e32 v0, v2
	v_min_u32_e32 v5, 32, v0
	v_subrev_u32_e32 v0, 28, v5
	v_bfe_u32 v3, v12, 27, 4
	v_lshlrev_b64 v[0:1], v0, v[8:9]
	v_sub_u32_e32 v1, 29, v5
	v_cmp_eq_u32_e32 vcc, 0, v3
	v_and_b32_e32 v0, 7, v0
	s_nop 0
	v_cndmask_b32_e32 v1, v3, v1, vcc
	v_cndmask_b32_e32 v0, v2, v0, vcc
	v_lshlrev_b32_e32 v2, 8, v8
	v_lshl_add_u32 v1, v1, 10, v31
	v_and_or_b32 v1, v2, s42, v1
	v_lshl_or_b32 v0, v0, 7, v1
	v_cvt_f32_f16_e32 v0, v0
	scratch_store_dword off, v0, s32 offset:292 ; 4-byte Folded Spill
.LBB311_262:                            ;   in Loop: Header=BB311_10 Depth=1
	s_or_b64 exec, exec, s[36:37]
	flat_load_dword v12, v[36:37] offset:2056
	s_mov_b64 vcc, 0
                                        ; implicit-def: $sgpr38
	s_waitcnt vmcnt(0) lgkmcnt(0)
	v_cmp_gt_i16_sdwa s[34:35], v12, s17 src0_sel:BYTE_0 src1_sel:DWORD
	s_and_saveexec_b64 s[36:37], s[34:35]
	s_xor_b64 s[34:35], exec, s[36:37]
	s_cbranch_execz .LBB311_266
; %bb.263:                              ;   in Loop: Header=BB311_10 Depth=1
	v_cmp_eq_u16_sdwa s[44:45], v12, s41 src0_sel:BYTE_0 src1_sel:DWORD
	s_mov_b64 vcc, -1
                                        ; implicit-def: $sgpr38
	s_and_saveexec_b64 s[36:37], s[44:45]
; %bb.264:                              ;   in Loop: Header=BB311_10 Depth=1
	s_mov_b32 s38, 0x7fc02000
	s_xor_b64 vcc, exec, -1
; %bb.265:                              ;   in Loop: Header=BB311_10 Depth=1
	s_or_b64 exec, exec, s[36:37]
	s_and_b64 vcc, vcc, exec
.LBB311_266:                            ;   in Loop: Header=BB311_10 Depth=1
	s_or_saveexec_b64 s[34:35], s[34:35]
	v_mov_b32_e32 v0, s38
	scratch_store_dword off, v0, s32 offset:296 ; 4-byte Folded Spill
	s_xor_b64 exec, exec, s[34:35]
	s_cbranch_execz .LBB311_268
; %bb.267:                              ;   in Loop: Header=BB311_10 Depth=1
	v_cmp_ne_u16_sdwa s[36:37], v12, v9 src0_sel:BYTE_0 src1_sel:DWORD
	s_andn2_b64 vcc, vcc, exec
	s_and_b64 s[36:37], s[36:37], exec
	v_mov_b32_e32 v0, 0
	s_or_b64 vcc, vcc, s[36:37]
	scratch_store_dword off, v0, s32 offset:296 ; 4-byte Folded Spill
.LBB311_268:                            ;   in Loop: Header=BB311_10 Depth=1
	s_or_b64 exec, exec, s[34:35]
	s_and_saveexec_b64 s[34:35], vcc
	s_cbranch_execz .LBB311_270
; %bb.269:                              ;   in Loop: Header=BB311_10 Depth=1
	v_and_b32_e32 v2, 7, v12
	v_ffbh_u32_e32 v0, v2
	v_min_u32_e32 v5, 32, v0
	v_subrev_u32_e32 v0, 28, v5
	v_bfe_u32 v3, v12, 3, 4
	v_lshlrev_b64 v[0:1], v0, v[12:13]
	v_sub_u32_e32 v1, 29, v5
	v_cmp_eq_u32_e32 vcc, 0, v3
	v_and_b32_e32 v0, 7, v0
	s_nop 0
	v_cndmask_b32_e32 v1, v3, v1, vcc
	v_cndmask_b32_e32 v0, v2, v0, vcc
	v_lshlrev_b32_e32 v2, 8, v12
	v_lshl_add_u32 v1, v1, 10, v31
	v_and_or_b32 v1, v2, s42, v1
	v_lshl_or_b32 v0, v0, 7, v1
	v_cvt_f32_f16_e32 v0, v0
	scratch_store_dword off, v0, s32 offset:296 ; 4-byte Folded Spill
.LBB311_270:                            ;   in Loop: Header=BB311_10 Depth=1
	s_or_b64 exec, exec, s[34:35]
	v_lshrrev_b16_e32 v8, 8, v12
	v_cmp_lt_i16_e32 vcc, s17, v8
	s_mov_b64 s[34:35], 0
                                        ; implicit-def: $sgpr43
	s_and_saveexec_b64 s[36:37], vcc
	s_xor_b64 s[36:37], exec, s[36:37]
	s_cbranch_execz .LBB311_274
; %bb.271:                              ;   in Loop: Header=BB311_10 Depth=1
	v_cmp_eq_u16_e32 vcc, s41, v8
	s_mov_b64 s[34:35], -1
                                        ; implicit-def: $sgpr43
	s_and_saveexec_b64 s[38:39], vcc
; %bb.272:                              ;   in Loop: Header=BB311_10 Depth=1
	s_mov_b32 s43, 0x7fc02000
	s_xor_b64 s[34:35], exec, -1
; %bb.273:                              ;   in Loop: Header=BB311_10 Depth=1
	s_or_b64 exec, exec, s[38:39]
	s_and_b64 s[34:35], s[34:35], exec
.LBB311_274:                            ;   in Loop: Header=BB311_10 Depth=1
	s_or_saveexec_b64 s[36:37], s[36:37]
	v_mov_b32_e32 v0, s43
	scratch_store_dword off, v0, s32 offset:300 ; 4-byte Folded Spill
	s_xor_b64 exec, exec, s[36:37]
	s_cbranch_execz .LBB311_276
; %bb.275:                              ;   in Loop: Header=BB311_10 Depth=1
	v_cmp_ne_u16_e32 vcc, 0, v8
	s_andn2_b64 s[34:35], s[34:35], exec
	s_and_b64 vcc, vcc, exec
	v_mov_b32_e32 v0, 0
	s_or_b64 s[34:35], s[34:35], vcc
	scratch_store_dword off, v0, s32 offset:300 ; 4-byte Folded Spill
.LBB311_276:                            ;   in Loop: Header=BB311_10 Depth=1
	s_or_b64 exec, exec, s[36:37]
	s_and_saveexec_b64 s[36:37], s[34:35]
	s_cbranch_execz .LBB311_278
; %bb.277:                              ;   in Loop: Header=BB311_10 Depth=1
	v_and_b32_e32 v2, 7, v8
	v_ffbh_u32_e32 v0, v2
	v_min_u32_e32 v5, 32, v0
	v_subrev_u32_e32 v0, 28, v5
	v_bfe_u32 v3, v8, 3, 4
	v_lshlrev_b64 v[0:1], v0, v[8:9]
	v_sub_u32_e32 v1, 29, v5
	v_cmp_eq_u32_e32 vcc, 0, v3
	v_and_b32_e32 v0, 7, v0
	s_nop 0
	v_cndmask_b32_e32 v1, v3, v1, vcc
	v_cndmask_b32_e32 v0, v2, v0, vcc
	v_lshlrev_b32_e32 v2, 8, v8
	v_lshl_add_u32 v1, v1, 10, v31
	v_and_or_b32 v1, v2, s42, v1
	v_lshl_or_b32 v0, v0, 7, v1
	v_cvt_f32_f16_e32 v0, v0
	scratch_store_dword off, v0, s32 offset:300 ; 4-byte Folded Spill
.LBB311_278:                            ;   in Loop: Header=BB311_10 Depth=1
	s_or_b64 exec, exec, s[36:37]
	v_lshrrev_b32_e32 v8, 16, v12
	v_cmp_gt_i16_sdwa s[34:35], v8, s17 src0_sel:BYTE_0 src1_sel:DWORD
	s_mov_b64 vcc, 0
                                        ; implicit-def: $sgpr38
	s_and_saveexec_b64 s[36:37], s[34:35]
	s_xor_b64 s[34:35], exec, s[36:37]
	s_cbranch_execz .LBB311_282
; %bb.279:                              ;   in Loop: Header=BB311_10 Depth=1
	v_cmp_eq_u16_sdwa s[44:45], v8, s41 src0_sel:BYTE_0 src1_sel:DWORD
	s_mov_b64 vcc, -1
                                        ; implicit-def: $sgpr38
	s_and_saveexec_b64 s[36:37], s[44:45]
; %bb.280:                              ;   in Loop: Header=BB311_10 Depth=1
	s_mov_b32 s38, 0x7fc02000
	s_xor_b64 vcc, exec, -1
; %bb.281:                              ;   in Loop: Header=BB311_10 Depth=1
	s_or_b64 exec, exec, s[36:37]
	s_and_b64 vcc, vcc, exec
.LBB311_282:                            ;   in Loop: Header=BB311_10 Depth=1
	s_or_saveexec_b64 s[34:35], s[34:35]
	v_mov_b32_e32 v0, s38
	scratch_store_dword off, v0, s32 offset:304 ; 4-byte Folded Spill
	s_xor_b64 exec, exec, s[34:35]
	s_cbranch_execz .LBB311_284
; %bb.283:                              ;   in Loop: Header=BB311_10 Depth=1
	v_cmp_ne_u16_sdwa s[36:37], v8, v9 src0_sel:BYTE_0 src1_sel:DWORD
	s_andn2_b64 vcc, vcc, exec
	s_and_b64 s[36:37], s[36:37], exec
	v_mov_b32_e32 v0, 0
	s_or_b64 vcc, vcc, s[36:37]
	scratch_store_dword off, v0, s32 offset:304 ; 4-byte Folded Spill
.LBB311_284:                            ;   in Loop: Header=BB311_10 Depth=1
	s_or_b64 exec, exec, s[34:35]
	s_and_saveexec_b64 s[34:35], vcc
	s_cbranch_execz .LBB311_286
; %bb.285:                              ;   in Loop: Header=BB311_10 Depth=1
	v_bfe_u32 v2, v12, 16, 3
	v_ffbh_u32_e32 v0, v2
	v_min_u32_e32 v5, 32, v0
	v_subrev_u32_e32 v0, 28, v5
	v_bfe_u32 v3, v12, 19, 4
	v_lshlrev_b64 v[0:1], v0, v[8:9]
	v_sub_u32_e32 v1, 29, v5
	v_cmp_eq_u32_e32 vcc, 0, v3
	v_and_b32_e32 v0, 7, v0
	s_nop 0
	v_cndmask_b32_e32 v1, v3, v1, vcc
	v_cndmask_b32_e32 v0, v2, v0, vcc
	v_lshlrev_b32_e32 v2, 8, v8
	v_lshl_add_u32 v1, v1, 10, v31
	v_and_or_b32 v1, v2, s42, v1
	v_lshl_or_b32 v0, v0, 7, v1
	v_cvt_f32_f16_e32 v0, v0
	scratch_store_dword off, v0, s32 offset:304 ; 4-byte Folded Spill
.LBB311_286:                            ;   in Loop: Header=BB311_10 Depth=1
	s_or_b64 exec, exec, s[34:35]
	v_lshrrev_b32_e32 v8, 24, v12
	v_cmp_lt_i16_e32 vcc, s17, v8
	s_mov_b64 s[34:35], 0
                                        ; implicit-def: $sgpr43
	s_and_saveexec_b64 s[36:37], vcc
	s_xor_b64 s[36:37], exec, s[36:37]
	s_cbranch_execz .LBB311_290
; %bb.287:                              ;   in Loop: Header=BB311_10 Depth=1
	v_cmp_eq_u16_e32 vcc, s41, v8
	s_mov_b64 s[34:35], -1
                                        ; implicit-def: $sgpr43
	s_and_saveexec_b64 s[38:39], vcc
; %bb.288:                              ;   in Loop: Header=BB311_10 Depth=1
	s_mov_b32 s43, 0x7fc02000
	s_xor_b64 s[34:35], exec, -1
; %bb.289:                              ;   in Loop: Header=BB311_10 Depth=1
	s_or_b64 exec, exec, s[38:39]
	s_and_b64 s[34:35], s[34:35], exec
.LBB311_290:                            ;   in Loop: Header=BB311_10 Depth=1
	s_or_saveexec_b64 s[36:37], s[36:37]
	v_mov_b32_e32 v0, s43
	scratch_store_dword off, v0, s32 offset:308 ; 4-byte Folded Spill
	s_xor_b64 exec, exec, s[36:37]
	s_cbranch_execz .LBB311_292
; %bb.291:                              ;   in Loop: Header=BB311_10 Depth=1
	v_cmp_ne_u16_e32 vcc, 0, v8
	s_andn2_b64 s[34:35], s[34:35], exec
	s_and_b64 vcc, vcc, exec
	v_mov_b32_e32 v0, 0
	s_or_b64 s[34:35], s[34:35], vcc
	scratch_store_dword off, v0, s32 offset:308 ; 4-byte Folded Spill
.LBB311_292:                            ;   in Loop: Header=BB311_10 Depth=1
	s_or_b64 exec, exec, s[36:37]
	s_and_saveexec_b64 s[36:37], s[34:35]
	s_cbranch_execz .LBB311_294
; %bb.293:                              ;   in Loop: Header=BB311_10 Depth=1
	v_bfe_u32 v2, v12, 24, 3
	v_ffbh_u32_e32 v0, v2
	v_min_u32_e32 v5, 32, v0
	v_subrev_u32_e32 v0, 28, v5
	v_bfe_u32 v3, v12, 27, 4
	v_lshlrev_b64 v[0:1], v0, v[8:9]
	v_sub_u32_e32 v1, 29, v5
	v_cmp_eq_u32_e32 vcc, 0, v3
	v_and_b32_e32 v0, 7, v0
	s_nop 0
	v_cndmask_b32_e32 v1, v3, v1, vcc
	v_cndmask_b32_e32 v0, v2, v0, vcc
	v_lshlrev_b32_e32 v2, 8, v8
	v_lshl_add_u32 v1, v1, 10, v31
	v_and_or_b32 v1, v2, s42, v1
	v_lshl_or_b32 v0, v0, 7, v1
	v_cvt_f32_f16_e32 v0, v0
	scratch_store_dword off, v0, s32 offset:308 ; 4-byte Folded Spill
.LBB311_294:                            ;   in Loop: Header=BB311_10 Depth=1
	s_or_b64 exec, exec, s[36:37]
	flat_load_dword v12, v[36:37] offset:2560
	s_mov_b64 vcc, 0
                                        ; implicit-def: $sgpr38
	s_waitcnt vmcnt(0) lgkmcnt(0)
	v_cmp_gt_i16_sdwa s[34:35], v12, s17 src0_sel:BYTE_0 src1_sel:DWORD
	s_and_saveexec_b64 s[36:37], s[34:35]
	s_xor_b64 s[34:35], exec, s[36:37]
	s_cbranch_execz .LBB311_298
; %bb.295:                              ;   in Loop: Header=BB311_10 Depth=1
	v_cmp_eq_u16_sdwa s[44:45], v12, s41 src0_sel:BYTE_0 src1_sel:DWORD
	s_mov_b64 vcc, -1
                                        ; implicit-def: $sgpr38
	s_and_saveexec_b64 s[36:37], s[44:45]
; %bb.296:                              ;   in Loop: Header=BB311_10 Depth=1
	s_mov_b32 s38, 0x7fc02000
	s_xor_b64 vcc, exec, -1
; %bb.297:                              ;   in Loop: Header=BB311_10 Depth=1
	s_or_b64 exec, exec, s[36:37]
	s_and_b64 vcc, vcc, exec
.LBB311_298:                            ;   in Loop: Header=BB311_10 Depth=1
	s_or_saveexec_b64 s[34:35], s[34:35]
	v_mov_b32_e32 v0, s38
	scratch_store_dword off, v0, s32 offset:312 ; 4-byte Folded Spill
	s_xor_b64 exec, exec, s[34:35]
	s_cbranch_execz .LBB311_300
; %bb.299:                              ;   in Loop: Header=BB311_10 Depth=1
	v_cmp_ne_u16_sdwa s[36:37], v12, v9 src0_sel:BYTE_0 src1_sel:DWORD
	s_andn2_b64 vcc, vcc, exec
	s_and_b64 s[36:37], s[36:37], exec
	v_mov_b32_e32 v0, 0
	s_or_b64 vcc, vcc, s[36:37]
	scratch_store_dword off, v0, s32 offset:312 ; 4-byte Folded Spill
.LBB311_300:                            ;   in Loop: Header=BB311_10 Depth=1
	s_or_b64 exec, exec, s[34:35]
	s_and_saveexec_b64 s[34:35], vcc
	s_cbranch_execz .LBB311_302
; %bb.301:                              ;   in Loop: Header=BB311_10 Depth=1
	v_and_b32_e32 v2, 7, v12
	v_ffbh_u32_e32 v0, v2
	v_min_u32_e32 v5, 32, v0
	v_subrev_u32_e32 v0, 28, v5
	v_bfe_u32 v3, v12, 3, 4
	v_lshlrev_b64 v[0:1], v0, v[12:13]
	v_sub_u32_e32 v1, 29, v5
	v_cmp_eq_u32_e32 vcc, 0, v3
	v_and_b32_e32 v0, 7, v0
	s_nop 0
	v_cndmask_b32_e32 v1, v3, v1, vcc
	v_cndmask_b32_e32 v0, v2, v0, vcc
	v_lshlrev_b32_e32 v2, 8, v12
	v_lshl_add_u32 v1, v1, 10, v31
	v_and_or_b32 v1, v2, s42, v1
	v_lshl_or_b32 v0, v0, 7, v1
	v_cvt_f32_f16_e32 v0, v0
	scratch_store_dword off, v0, s32 offset:312 ; 4-byte Folded Spill
.LBB311_302:                            ;   in Loop: Header=BB311_10 Depth=1
	s_or_b64 exec, exec, s[34:35]
	v_lshrrev_b16_e32 v8, 8, v12
	v_cmp_lt_i16_e32 vcc, s17, v8
	s_mov_b64 s[34:35], 0
                                        ; implicit-def: $sgpr43
	s_and_saveexec_b64 s[36:37], vcc
	s_xor_b64 s[36:37], exec, s[36:37]
	s_cbranch_execz .LBB311_306
; %bb.303:                              ;   in Loop: Header=BB311_10 Depth=1
	v_cmp_eq_u16_e32 vcc, s41, v8
	s_mov_b64 s[34:35], -1
                                        ; implicit-def: $sgpr43
	s_and_saveexec_b64 s[38:39], vcc
; %bb.304:                              ;   in Loop: Header=BB311_10 Depth=1
	s_mov_b32 s43, 0x7fc02000
	s_xor_b64 s[34:35], exec, -1
; %bb.305:                              ;   in Loop: Header=BB311_10 Depth=1
	s_or_b64 exec, exec, s[38:39]
	s_and_b64 s[34:35], s[34:35], exec
.LBB311_306:                            ;   in Loop: Header=BB311_10 Depth=1
	s_or_saveexec_b64 s[36:37], s[36:37]
	v_mov_b32_e32 v0, s43
	scratch_store_dword off, v0, s32 offset:316 ; 4-byte Folded Spill
	s_xor_b64 exec, exec, s[36:37]
	s_cbranch_execz .LBB311_308
; %bb.307:                              ;   in Loop: Header=BB311_10 Depth=1
	v_cmp_ne_u16_e32 vcc, 0, v8
	s_andn2_b64 s[34:35], s[34:35], exec
	s_and_b64 vcc, vcc, exec
	v_mov_b32_e32 v0, 0
	s_or_b64 s[34:35], s[34:35], vcc
	scratch_store_dword off, v0, s32 offset:316 ; 4-byte Folded Spill
.LBB311_308:                            ;   in Loop: Header=BB311_10 Depth=1
	s_or_b64 exec, exec, s[36:37]
	s_and_saveexec_b64 s[36:37], s[34:35]
	s_cbranch_execz .LBB311_310
; %bb.309:                              ;   in Loop: Header=BB311_10 Depth=1
	v_and_b32_e32 v2, 7, v8
	v_ffbh_u32_e32 v0, v2
	v_min_u32_e32 v5, 32, v0
	v_subrev_u32_e32 v0, 28, v5
	v_bfe_u32 v3, v8, 3, 4
	v_lshlrev_b64 v[0:1], v0, v[8:9]
	v_sub_u32_e32 v1, 29, v5
	v_cmp_eq_u32_e32 vcc, 0, v3
	v_and_b32_e32 v0, 7, v0
	s_nop 0
	v_cndmask_b32_e32 v1, v3, v1, vcc
	v_cndmask_b32_e32 v0, v2, v0, vcc
	v_lshlrev_b32_e32 v2, 8, v8
	v_lshl_add_u32 v1, v1, 10, v31
	v_and_or_b32 v1, v2, s42, v1
	v_lshl_or_b32 v0, v0, 7, v1
	v_cvt_f32_f16_e32 v0, v0
	scratch_store_dword off, v0, s32 offset:316 ; 4-byte Folded Spill
.LBB311_310:                            ;   in Loop: Header=BB311_10 Depth=1
	s_or_b64 exec, exec, s[36:37]
	v_lshrrev_b32_e32 v8, 16, v12
	v_cmp_gt_i16_sdwa s[34:35], v8, s17 src0_sel:BYTE_0 src1_sel:DWORD
	s_mov_b64 vcc, 0
                                        ; implicit-def: $sgpr38
	s_and_saveexec_b64 s[36:37], s[34:35]
	s_xor_b64 s[34:35], exec, s[36:37]
	s_cbranch_execnz .LBB311_568
; %bb.311:                              ;   in Loop: Header=BB311_10 Depth=1
	s_or_saveexec_b64 s[34:35], s[34:35]
	v_mov_b32_e32 v58, s38
	s_xor_b64 exec, exec, s[34:35]
	s_cbranch_execnz .LBB311_571
.LBB311_312:                            ;   in Loop: Header=BB311_10 Depth=1
	s_or_b64 exec, exec, s[34:35]
	s_and_saveexec_b64 s[34:35], vcc
	s_cbranch_execz .LBB311_314
.LBB311_313:                            ;   in Loop: Header=BB311_10 Depth=1
	v_bfe_u32 v2, v12, 16, 3
	v_ffbh_u32_e32 v0, v2
	v_min_u32_e32 v5, 32, v0
	v_subrev_u32_e32 v0, 28, v5
	v_bfe_u32 v3, v12, 19, 4
	v_lshlrev_b64 v[0:1], v0, v[8:9]
	v_sub_u32_e32 v1, 29, v5
	v_cmp_eq_u32_e32 vcc, 0, v3
	v_and_b32_e32 v0, 7, v0
	s_nop 0
	v_cndmask_b32_e32 v1, v3, v1, vcc
	v_cndmask_b32_e32 v0, v2, v0, vcc
	v_lshlrev_b32_e32 v2, 8, v8
	v_lshl_add_u32 v1, v1, 10, v31
	v_and_or_b32 v1, v2, s42, v1
	v_lshl_or_b32 v0, v0, 7, v1
	v_cvt_f32_f16_e32 v58, v0
.LBB311_314:                            ;   in Loop: Header=BB311_10 Depth=1
	s_or_b64 exec, exec, s[34:35]
	v_lshrrev_b32_e32 v8, 24, v12
	v_cmp_lt_i16_e32 vcc, s17, v8
	s_mov_b64 s[34:35], 0
                                        ; implicit-def: $sgpr43
	s_and_saveexec_b64 s[36:37], vcc
	s_xor_b64 s[36:37], exec, s[36:37]
	s_cbranch_execnz .LBB311_572
; %bb.315:                              ;   in Loop: Header=BB311_10 Depth=1
	s_or_saveexec_b64 s[36:37], s[36:37]
	v_mov_b32_e32 v61, s43
	s_xor_b64 exec, exec, s[36:37]
	s_cbranch_execnz .LBB311_575
.LBB311_316:                            ;   in Loop: Header=BB311_10 Depth=1
	s_or_b64 exec, exec, s[36:37]
	s_and_saveexec_b64 s[36:37], s[34:35]
	s_cbranch_execz .LBB311_318
.LBB311_317:                            ;   in Loop: Header=BB311_10 Depth=1
	v_bfe_u32 v2, v12, 24, 3
	v_ffbh_u32_e32 v0, v2
	v_min_u32_e32 v5, 32, v0
	v_subrev_u32_e32 v0, 28, v5
	v_bfe_u32 v3, v12, 27, 4
	v_lshlrev_b64 v[0:1], v0, v[8:9]
	v_sub_u32_e32 v1, 29, v5
	v_cmp_eq_u32_e32 vcc, 0, v3
	v_and_b32_e32 v0, 7, v0
	s_nop 0
	v_cndmask_b32_e32 v1, v3, v1, vcc
	v_cndmask_b32_e32 v0, v2, v0, vcc
	v_lshlrev_b32_e32 v2, 8, v8
	v_lshl_add_u32 v1, v1, 10, v31
	v_and_or_b32 v1, v2, s42, v1
	v_lshl_or_b32 v0, v0, 7, v1
	v_cvt_f32_f16_e32 v61, v0
.LBB311_318:                            ;   in Loop: Header=BB311_10 Depth=1
	s_or_b64 exec, exec, s[36:37]
	flat_load_dword v12, v[36:37] offset:2568
	s_mov_b64 vcc, 0
                                        ; implicit-def: $sgpr38
	s_waitcnt vmcnt(0) lgkmcnt(0)
	v_cmp_gt_i16_sdwa s[34:35], v12, s17 src0_sel:BYTE_0 src1_sel:DWORD
	s_and_saveexec_b64 s[36:37], s[34:35]
	s_xor_b64 s[34:35], exec, s[36:37]
	s_cbranch_execnz .LBB311_576
; %bb.319:                              ;   in Loop: Header=BB311_10 Depth=1
	s_or_saveexec_b64 s[34:35], s[34:35]
	v_mov_b32_e32 v60, s38
	s_xor_b64 exec, exec, s[34:35]
	s_cbranch_execnz .LBB311_579
.LBB311_320:                            ;   in Loop: Header=BB311_10 Depth=1
	s_or_b64 exec, exec, s[34:35]
	s_and_saveexec_b64 s[34:35], vcc
	s_cbranch_execz .LBB311_322
.LBB311_321:                            ;   in Loop: Header=BB311_10 Depth=1
	v_and_b32_e32 v2, 7, v12
	v_ffbh_u32_e32 v0, v2
	v_min_u32_e32 v5, 32, v0
	v_subrev_u32_e32 v0, 28, v5
	v_bfe_u32 v3, v12, 3, 4
	v_lshlrev_b64 v[0:1], v0, v[12:13]
	v_sub_u32_e32 v1, 29, v5
	v_cmp_eq_u32_e32 vcc, 0, v3
	v_and_b32_e32 v0, 7, v0
	s_nop 0
	v_cndmask_b32_e32 v1, v3, v1, vcc
	v_cndmask_b32_e32 v0, v2, v0, vcc
	v_lshlrev_b32_e32 v2, 8, v12
	v_lshl_add_u32 v1, v1, 10, v31
	v_and_or_b32 v1, v2, s42, v1
	v_lshl_or_b32 v0, v0, 7, v1
	v_cvt_f32_f16_e32 v60, v0
.LBB311_322:                            ;   in Loop: Header=BB311_10 Depth=1
	s_or_b64 exec, exec, s[34:35]
	v_lshrrev_b16_e32 v8, 8, v12
	v_cmp_lt_i16_e32 vcc, s17, v8
	s_mov_b64 s[34:35], 0
                                        ; implicit-def: $sgpr43
	s_and_saveexec_b64 s[36:37], vcc
	s_xor_b64 s[36:37], exec, s[36:37]
	s_cbranch_execnz .LBB311_580
; %bb.323:                              ;   in Loop: Header=BB311_10 Depth=1
	s_or_saveexec_b64 s[36:37], s[36:37]
	v_mov_b32_e32 v62, s43
	s_xor_b64 exec, exec, s[36:37]
	s_cbranch_execnz .LBB311_583
.LBB311_324:                            ;   in Loop: Header=BB311_10 Depth=1
	s_or_b64 exec, exec, s[36:37]
	s_and_saveexec_b64 s[36:37], s[34:35]
	s_cbranch_execz .LBB311_326
.LBB311_325:                            ;   in Loop: Header=BB311_10 Depth=1
	v_and_b32_e32 v2, 7, v8
	v_ffbh_u32_e32 v0, v2
	v_min_u32_e32 v5, 32, v0
	v_subrev_u32_e32 v0, 28, v5
	v_bfe_u32 v3, v8, 3, 4
	v_lshlrev_b64 v[0:1], v0, v[8:9]
	v_sub_u32_e32 v1, 29, v5
	v_cmp_eq_u32_e32 vcc, 0, v3
	v_and_b32_e32 v0, 7, v0
	s_nop 0
	v_cndmask_b32_e32 v1, v3, v1, vcc
	v_cndmask_b32_e32 v0, v2, v0, vcc
	v_lshlrev_b32_e32 v2, 8, v8
	v_lshl_add_u32 v1, v1, 10, v31
	v_and_or_b32 v1, v2, s42, v1
	v_lshl_or_b32 v0, v0, 7, v1
	v_cvt_f32_f16_e32 v62, v0
.LBB311_326:                            ;   in Loop: Header=BB311_10 Depth=1
	s_or_b64 exec, exec, s[36:37]
	v_lshrrev_b32_e32 v8, 16, v12
	v_cmp_gt_i16_sdwa s[34:35], v8, s17 src0_sel:BYTE_0 src1_sel:DWORD
	s_mov_b64 vcc, 0
                                        ; implicit-def: $sgpr38
	s_and_saveexec_b64 s[36:37], s[34:35]
	s_xor_b64 s[34:35], exec, s[36:37]
	s_cbranch_execnz .LBB311_584
; %bb.327:                              ;   in Loop: Header=BB311_10 Depth=1
	s_or_saveexec_b64 s[34:35], s[34:35]
	v_mov_b32_e32 v59, s38
	s_xor_b64 exec, exec, s[34:35]
	s_cbranch_execnz .LBB311_587
.LBB311_328:                            ;   in Loop: Header=BB311_10 Depth=1
	s_or_b64 exec, exec, s[34:35]
	s_and_saveexec_b64 s[34:35], vcc
	s_cbranch_execz .LBB311_330
.LBB311_329:                            ;   in Loop: Header=BB311_10 Depth=1
	v_bfe_u32 v2, v12, 16, 3
	v_ffbh_u32_e32 v0, v2
	v_min_u32_e32 v5, 32, v0
	v_subrev_u32_e32 v0, 28, v5
	v_bfe_u32 v3, v12, 19, 4
	v_lshlrev_b64 v[0:1], v0, v[8:9]
	v_sub_u32_e32 v1, 29, v5
	v_cmp_eq_u32_e32 vcc, 0, v3
	v_and_b32_e32 v0, 7, v0
	s_nop 0
	v_cndmask_b32_e32 v1, v3, v1, vcc
	v_cndmask_b32_e32 v0, v2, v0, vcc
	v_lshlrev_b32_e32 v2, 8, v8
	v_lshl_add_u32 v1, v1, 10, v31
	v_and_or_b32 v1, v2, s42, v1
	v_lshl_or_b32 v0, v0, 7, v1
	v_cvt_f32_f16_e32 v59, v0
.LBB311_330:                            ;   in Loop: Header=BB311_10 Depth=1
	s_or_b64 exec, exec, s[34:35]
	v_lshrrev_b32_e32 v8, 24, v12
	v_cmp_lt_i16_e32 vcc, s17, v8
	s_mov_b64 s[34:35], 0
                                        ; implicit-def: $sgpr43
	s_and_saveexec_b64 s[36:37], vcc
	s_xor_b64 s[36:37], exec, s[36:37]
	s_cbranch_execnz .LBB311_588
; %bb.331:                              ;   in Loop: Header=BB311_10 Depth=1
	s_or_saveexec_b64 s[36:37], s[36:37]
	v_mov_b32_e32 v54, s43
	s_xor_b64 exec, exec, s[36:37]
	s_cbranch_execnz .LBB311_591
.LBB311_332:                            ;   in Loop: Header=BB311_10 Depth=1
	s_or_b64 exec, exec, s[36:37]
	s_and_saveexec_b64 s[36:37], s[34:35]
	s_cbranch_execz .LBB311_334
.LBB311_333:                            ;   in Loop: Header=BB311_10 Depth=1
	v_bfe_u32 v2, v12, 24, 3
	v_ffbh_u32_e32 v0, v2
	v_min_u32_e32 v5, 32, v0
	v_subrev_u32_e32 v0, 28, v5
	v_bfe_u32 v3, v12, 27, 4
	v_lshlrev_b64 v[0:1], v0, v[8:9]
	v_sub_u32_e32 v1, 29, v5
	v_cmp_eq_u32_e32 vcc, 0, v3
	v_and_b32_e32 v0, 7, v0
	s_nop 0
	v_cndmask_b32_e32 v1, v3, v1, vcc
	v_cndmask_b32_e32 v0, v2, v0, vcc
	v_lshlrev_b32_e32 v2, 8, v8
	v_lshl_add_u32 v1, v1, 10, v31
	v_and_or_b32 v1, v2, s42, v1
	v_lshl_or_b32 v0, v0, 7, v1
	v_cvt_f32_f16_e32 v54, v0
.LBB311_334:                            ;   in Loop: Header=BB311_10 Depth=1
	s_or_b64 exec, exec, s[36:37]
	flat_load_dword v12, v[36:37] offset:3072
	s_mov_b64 vcc, 0
                                        ; implicit-def: $sgpr38
	s_waitcnt vmcnt(0) lgkmcnt(0)
	v_cmp_gt_i16_sdwa s[34:35], v12, s17 src0_sel:BYTE_0 src1_sel:DWORD
	s_and_saveexec_b64 s[36:37], s[34:35]
	s_xor_b64 s[34:35], exec, s[36:37]
	s_cbranch_execnz .LBB311_592
; %bb.335:                              ;   in Loop: Header=BB311_10 Depth=1
	s_or_saveexec_b64 s[34:35], s[34:35]
	v_mov_b32_e32 v53, s38
	s_xor_b64 exec, exec, s[34:35]
	s_cbranch_execnz .LBB311_595
.LBB311_336:                            ;   in Loop: Header=BB311_10 Depth=1
	s_or_b64 exec, exec, s[34:35]
	s_and_saveexec_b64 s[34:35], vcc
	s_cbranch_execz .LBB311_338
.LBB311_337:                            ;   in Loop: Header=BB311_10 Depth=1
	v_and_b32_e32 v2, 7, v12
	v_ffbh_u32_e32 v0, v2
	v_min_u32_e32 v5, 32, v0
	v_subrev_u32_e32 v0, 28, v5
	v_bfe_u32 v3, v12, 3, 4
	v_lshlrev_b64 v[0:1], v0, v[12:13]
	v_sub_u32_e32 v1, 29, v5
	v_cmp_eq_u32_e32 vcc, 0, v3
	v_and_b32_e32 v0, 7, v0
	s_nop 0
	v_cndmask_b32_e32 v1, v3, v1, vcc
	v_cndmask_b32_e32 v0, v2, v0, vcc
	v_lshlrev_b32_e32 v2, 8, v12
	v_lshl_add_u32 v1, v1, 10, v31
	v_and_or_b32 v1, v2, s42, v1
	v_lshl_or_b32 v0, v0, 7, v1
	v_cvt_f32_f16_e32 v53, v0
.LBB311_338:                            ;   in Loop: Header=BB311_10 Depth=1
	s_or_b64 exec, exec, s[34:35]
	v_lshrrev_b16_e32 v8, 8, v12
	v_cmp_lt_i16_e32 vcc, s17, v8
	s_mov_b64 s[34:35], 0
                                        ; implicit-def: $sgpr43
	s_and_saveexec_b64 s[36:37], vcc
	s_xor_b64 s[36:37], exec, s[36:37]
	s_cbranch_execnz .LBB311_596
; %bb.339:                              ;   in Loop: Header=BB311_10 Depth=1
	s_or_saveexec_b64 s[36:37], s[36:37]
	v_mov_b32_e32 v55, s43
	s_xor_b64 exec, exec, s[36:37]
	s_cbranch_execnz .LBB311_599
.LBB311_340:                            ;   in Loop: Header=BB311_10 Depth=1
	s_or_b64 exec, exec, s[36:37]
	s_and_saveexec_b64 s[36:37], s[34:35]
	s_cbranch_execz .LBB311_342
.LBB311_341:                            ;   in Loop: Header=BB311_10 Depth=1
	v_and_b32_e32 v2, 7, v8
	v_ffbh_u32_e32 v0, v2
	v_min_u32_e32 v5, 32, v0
	v_subrev_u32_e32 v0, 28, v5
	v_bfe_u32 v3, v8, 3, 4
	v_lshlrev_b64 v[0:1], v0, v[8:9]
	v_sub_u32_e32 v1, 29, v5
	v_cmp_eq_u32_e32 vcc, 0, v3
	v_and_b32_e32 v0, 7, v0
	s_nop 0
	v_cndmask_b32_e32 v1, v3, v1, vcc
	v_cndmask_b32_e32 v0, v2, v0, vcc
	v_lshlrev_b32_e32 v2, 8, v8
	v_lshl_add_u32 v1, v1, 10, v31
	v_and_or_b32 v1, v2, s42, v1
	v_lshl_or_b32 v0, v0, 7, v1
	v_cvt_f32_f16_e32 v55, v0
.LBB311_342:                            ;   in Loop: Header=BB311_10 Depth=1
	s_or_b64 exec, exec, s[36:37]
	v_lshrrev_b32_e32 v8, 16, v12
	v_cmp_gt_i16_sdwa s[34:35], v8, s17 src0_sel:BYTE_0 src1_sel:DWORD
	s_mov_b64 vcc, 0
                                        ; implicit-def: $sgpr38
	s_and_saveexec_b64 s[36:37], s[34:35]
	s_xor_b64 s[34:35], exec, s[36:37]
	s_cbranch_execnz .LBB311_600
; %bb.343:                              ;   in Loop: Header=BB311_10 Depth=1
	s_or_saveexec_b64 s[34:35], s[34:35]
	v_mov_b32_e32 v43, s38
	s_xor_b64 exec, exec, s[34:35]
	s_cbranch_execnz .LBB311_603
.LBB311_344:                            ;   in Loop: Header=BB311_10 Depth=1
	s_or_b64 exec, exec, s[34:35]
	s_and_saveexec_b64 s[34:35], vcc
	s_cbranch_execz .LBB311_346
.LBB311_345:                            ;   in Loop: Header=BB311_10 Depth=1
	v_bfe_u32 v2, v12, 16, 3
	v_ffbh_u32_e32 v0, v2
	v_min_u32_e32 v5, 32, v0
	v_subrev_u32_e32 v0, 28, v5
	v_bfe_u32 v3, v12, 19, 4
	v_lshlrev_b64 v[0:1], v0, v[8:9]
	v_sub_u32_e32 v1, 29, v5
	v_cmp_eq_u32_e32 vcc, 0, v3
	v_and_b32_e32 v0, 7, v0
	s_nop 0
	v_cndmask_b32_e32 v1, v3, v1, vcc
	v_cndmask_b32_e32 v0, v2, v0, vcc
	v_lshlrev_b32_e32 v2, 8, v8
	v_lshl_add_u32 v1, v1, 10, v31
	v_and_or_b32 v1, v2, s42, v1
	v_lshl_or_b32 v0, v0, 7, v1
	v_cvt_f32_f16_e32 v43, v0
.LBB311_346:                            ;   in Loop: Header=BB311_10 Depth=1
	s_or_b64 exec, exec, s[34:35]
	v_lshrrev_b32_e32 v8, 24, v12
	v_cmp_lt_i16_e32 vcc, s17, v8
	s_mov_b64 s[34:35], 0
                                        ; implicit-def: $sgpr43
	s_and_saveexec_b64 s[36:37], vcc
	s_xor_b64 s[36:37], exec, s[36:37]
	s_cbranch_execnz .LBB311_604
; %bb.347:                              ;   in Loop: Header=BB311_10 Depth=1
	s_or_saveexec_b64 s[36:37], s[36:37]
	v_mov_b32_e32 v44, s43
	s_xor_b64 exec, exec, s[36:37]
	s_cbranch_execnz .LBB311_607
.LBB311_348:                            ;   in Loop: Header=BB311_10 Depth=1
	s_or_b64 exec, exec, s[36:37]
	s_and_saveexec_b64 s[36:37], s[34:35]
	s_cbranch_execz .LBB311_350
.LBB311_349:                            ;   in Loop: Header=BB311_10 Depth=1
	v_bfe_u32 v2, v12, 24, 3
	v_ffbh_u32_e32 v0, v2
	v_min_u32_e32 v5, 32, v0
	v_subrev_u32_e32 v0, 28, v5
	v_bfe_u32 v3, v12, 27, 4
	v_lshlrev_b64 v[0:1], v0, v[8:9]
	v_sub_u32_e32 v1, 29, v5
	v_cmp_eq_u32_e32 vcc, 0, v3
	v_and_b32_e32 v0, 7, v0
	s_nop 0
	v_cndmask_b32_e32 v1, v3, v1, vcc
	v_cndmask_b32_e32 v0, v2, v0, vcc
	v_lshlrev_b32_e32 v2, 8, v8
	v_lshl_add_u32 v1, v1, 10, v31
	v_and_or_b32 v1, v2, s42, v1
	v_lshl_or_b32 v0, v0, 7, v1
	v_cvt_f32_f16_e32 v44, v0
.LBB311_350:                            ;   in Loop: Header=BB311_10 Depth=1
	s_or_b64 exec, exec, s[36:37]
	flat_load_dword v12, v[36:37] offset:3080
	s_mov_b64 vcc, 0
                                        ; implicit-def: $sgpr38
	s_waitcnt vmcnt(0) lgkmcnt(0)
	v_cmp_gt_i16_sdwa s[34:35], v12, s17 src0_sel:BYTE_0 src1_sel:DWORD
	s_and_saveexec_b64 s[36:37], s[34:35]
	s_xor_b64 s[34:35], exec, s[36:37]
	s_cbranch_execnz .LBB311_608
; %bb.351:                              ;   in Loop: Header=BB311_10 Depth=1
	s_or_saveexec_b64 s[34:35], s[34:35]
	v_mov_b32_e32 v49, s38
	s_xor_b64 exec, exec, s[34:35]
	s_cbranch_execnz .LBB311_611
.LBB311_352:                            ;   in Loop: Header=BB311_10 Depth=1
	s_or_b64 exec, exec, s[34:35]
	s_and_saveexec_b64 s[34:35], vcc
	s_cbranch_execz .LBB311_354
.LBB311_353:                            ;   in Loop: Header=BB311_10 Depth=1
	v_and_b32_e32 v2, 7, v12
	v_ffbh_u32_e32 v0, v2
	v_min_u32_e32 v5, 32, v0
	v_subrev_u32_e32 v0, 28, v5
	v_bfe_u32 v3, v12, 3, 4
	v_lshlrev_b64 v[0:1], v0, v[12:13]
	v_sub_u32_e32 v1, 29, v5
	v_cmp_eq_u32_e32 vcc, 0, v3
	v_and_b32_e32 v0, 7, v0
	s_nop 0
	v_cndmask_b32_e32 v1, v3, v1, vcc
	v_cndmask_b32_e32 v0, v2, v0, vcc
	v_lshlrev_b32_e32 v2, 8, v12
	v_lshl_add_u32 v1, v1, 10, v31
	v_and_or_b32 v1, v2, s42, v1
	v_lshl_or_b32 v0, v0, 7, v1
	v_cvt_f32_f16_e32 v49, v0
.LBB311_354:                            ;   in Loop: Header=BB311_10 Depth=1
	s_or_b64 exec, exec, s[34:35]
	v_lshrrev_b16_e32 v8, 8, v12
	v_cmp_lt_i16_e32 vcc, s17, v8
	s_mov_b64 s[34:35], 0
                                        ; implicit-def: $sgpr43
	s_and_saveexec_b64 s[36:37], vcc
	s_xor_b64 s[36:37], exec, s[36:37]
	s_cbranch_execnz .LBB311_612
; %bb.355:                              ;   in Loop: Header=BB311_10 Depth=1
	s_or_saveexec_b64 s[36:37], s[36:37]
	v_mov_b32_e32 v50, s43
	s_xor_b64 exec, exec, s[36:37]
	s_cbranch_execnz .LBB311_615
.LBB311_356:                            ;   in Loop: Header=BB311_10 Depth=1
	s_or_b64 exec, exec, s[36:37]
	s_and_saveexec_b64 s[36:37], s[34:35]
	s_cbranch_execz .LBB311_358
.LBB311_357:                            ;   in Loop: Header=BB311_10 Depth=1
	v_and_b32_e32 v2, 7, v8
	v_ffbh_u32_e32 v0, v2
	v_min_u32_e32 v5, 32, v0
	v_subrev_u32_e32 v0, 28, v5
	v_bfe_u32 v3, v8, 3, 4
	v_lshlrev_b64 v[0:1], v0, v[8:9]
	v_sub_u32_e32 v1, 29, v5
	v_cmp_eq_u32_e32 vcc, 0, v3
	v_and_b32_e32 v0, 7, v0
	s_nop 0
	v_cndmask_b32_e32 v1, v3, v1, vcc
	v_cndmask_b32_e32 v0, v2, v0, vcc
	v_lshlrev_b32_e32 v2, 8, v8
	v_lshl_add_u32 v1, v1, 10, v31
	v_and_or_b32 v1, v2, s42, v1
	v_lshl_or_b32 v0, v0, 7, v1
	v_cvt_f32_f16_e32 v50, v0
.LBB311_358:                            ;   in Loop: Header=BB311_10 Depth=1
	s_or_b64 exec, exec, s[36:37]
	v_lshrrev_b32_e32 v8, 16, v12
	v_cmp_gt_i16_sdwa s[34:35], v8, s17 src0_sel:BYTE_0 src1_sel:DWORD
	s_mov_b64 vcc, 0
                                        ; implicit-def: $sgpr38
	s_and_saveexec_b64 s[36:37], s[34:35]
	s_xor_b64 s[34:35], exec, s[36:37]
	s_cbranch_execnz .LBB311_616
; %bb.359:                              ;   in Loop: Header=BB311_10 Depth=1
	s_or_saveexec_b64 s[34:35], s[34:35]
	v_mov_b32_e32 v40, s38
	s_xor_b64 exec, exec, s[34:35]
	s_cbranch_execnz .LBB311_619
.LBB311_360:                            ;   in Loop: Header=BB311_10 Depth=1
	s_or_b64 exec, exec, s[34:35]
	s_and_saveexec_b64 s[34:35], vcc
	s_cbranch_execz .LBB311_362
.LBB311_361:                            ;   in Loop: Header=BB311_10 Depth=1
	v_bfe_u32 v2, v12, 16, 3
	v_ffbh_u32_e32 v0, v2
	v_min_u32_e32 v5, 32, v0
	v_subrev_u32_e32 v0, 28, v5
	v_bfe_u32 v3, v12, 19, 4
	v_lshlrev_b64 v[0:1], v0, v[8:9]
	v_sub_u32_e32 v1, 29, v5
	v_cmp_eq_u32_e32 vcc, 0, v3
	v_and_b32_e32 v0, 7, v0
	s_nop 0
	v_cndmask_b32_e32 v1, v3, v1, vcc
	v_cndmask_b32_e32 v0, v2, v0, vcc
	v_lshlrev_b32_e32 v2, 8, v8
	v_lshl_add_u32 v1, v1, 10, v31
	v_and_or_b32 v1, v2, s42, v1
	v_lshl_or_b32 v0, v0, 7, v1
	v_cvt_f32_f16_e32 v40, v0
.LBB311_362:                            ;   in Loop: Header=BB311_10 Depth=1
	s_or_b64 exec, exec, s[34:35]
	v_lshrrev_b32_e32 v8, 24, v12
	v_cmp_lt_i16_e32 vcc, s17, v8
	s_mov_b64 s[34:35], 0
                                        ; implicit-def: $sgpr43
	s_and_saveexec_b64 s[36:37], vcc
	s_xor_b64 s[36:37], exec, s[36:37]
	s_cbranch_execnz .LBB311_620
; %bb.363:                              ;   in Loop: Header=BB311_10 Depth=1
	s_or_saveexec_b64 s[36:37], s[36:37]
	v_mov_b32_e32 v41, s43
	s_xor_b64 exec, exec, s[36:37]
	s_cbranch_execnz .LBB311_623
.LBB311_364:                            ;   in Loop: Header=BB311_10 Depth=1
	s_or_b64 exec, exec, s[36:37]
	s_and_saveexec_b64 s[36:37], s[34:35]
	s_cbranch_execz .LBB311_366
.LBB311_365:                            ;   in Loop: Header=BB311_10 Depth=1
	v_bfe_u32 v2, v12, 24, 3
	v_ffbh_u32_e32 v0, v2
	v_min_u32_e32 v5, 32, v0
	v_subrev_u32_e32 v0, 28, v5
	v_bfe_u32 v3, v12, 27, 4
	v_lshlrev_b64 v[0:1], v0, v[8:9]
	v_sub_u32_e32 v1, 29, v5
	v_cmp_eq_u32_e32 vcc, 0, v3
	v_and_b32_e32 v0, 7, v0
	s_nop 0
	v_cndmask_b32_e32 v1, v3, v1, vcc
	v_cndmask_b32_e32 v0, v2, v0, vcc
	v_lshlrev_b32_e32 v2, 8, v8
	v_lshl_add_u32 v1, v1, 10, v31
	v_and_or_b32 v1, v2, s42, v1
	v_lshl_or_b32 v0, v0, 7, v1
	v_cvt_f32_f16_e32 v41, v0
.LBB311_366:                            ;   in Loop: Header=BB311_10 Depth=1
	s_or_b64 exec, exec, s[36:37]
	flat_load_dword v12, v[36:37] offset:3584
	s_mov_b64 vcc, 0
                                        ; implicit-def: $sgpr38
	s_waitcnt vmcnt(0) lgkmcnt(0)
	v_cmp_gt_i16_sdwa s[34:35], v12, s17 src0_sel:BYTE_0 src1_sel:DWORD
	s_and_saveexec_b64 s[36:37], s[34:35]
	s_xor_b64 s[34:35], exec, s[36:37]
	s_cbranch_execnz .LBB311_624
; %bb.367:                              ;   in Loop: Header=BB311_10 Depth=1
	s_or_saveexec_b64 s[34:35], s[34:35]
	v_mov_b32_e32 v6, s38
	s_xor_b64 exec, exec, s[34:35]
	s_cbranch_execnz .LBB311_627
.LBB311_368:                            ;   in Loop: Header=BB311_10 Depth=1
	s_or_b64 exec, exec, s[34:35]
	s_and_saveexec_b64 s[34:35], vcc
	s_cbranch_execz .LBB311_370
.LBB311_369:                            ;   in Loop: Header=BB311_10 Depth=1
	v_and_b32_e32 v2, 7, v12
	v_ffbh_u32_e32 v0, v2
	v_min_u32_e32 v5, 32, v0
	v_subrev_u32_e32 v0, 28, v5
	v_bfe_u32 v3, v12, 3, 4
	v_lshlrev_b64 v[0:1], v0, v[12:13]
	v_sub_u32_e32 v1, 29, v5
	v_cmp_eq_u32_e32 vcc, 0, v3
	v_and_b32_e32 v0, 7, v0
	s_nop 0
	v_cndmask_b32_e32 v1, v3, v1, vcc
	v_cndmask_b32_e32 v0, v2, v0, vcc
	v_lshlrev_b32_e32 v2, 8, v12
	v_lshl_add_u32 v1, v1, 10, v31
	v_and_or_b32 v1, v2, s42, v1
	v_lshl_or_b32 v0, v0, 7, v1
	v_cvt_f32_f16_e32 v6, v0
.LBB311_370:                            ;   in Loop: Header=BB311_10 Depth=1
	s_or_b64 exec, exec, s[34:35]
	v_lshrrev_b16_e32 v8, 8, v12
	v_cmp_lt_i16_e32 vcc, s17, v8
	s_mov_b64 s[34:35], 0
                                        ; implicit-def: $sgpr43
	s_and_saveexec_b64 s[36:37], vcc
	s_xor_b64 s[36:37], exec, s[36:37]
	s_cbranch_execnz .LBB311_628
; %bb.371:                              ;   in Loop: Header=BB311_10 Depth=1
	s_or_saveexec_b64 s[36:37], s[36:37]
	v_mov_b32_e32 v23, s43
	s_xor_b64 exec, exec, s[36:37]
	s_cbranch_execnz .LBB311_631
.LBB311_372:                            ;   in Loop: Header=BB311_10 Depth=1
	s_or_b64 exec, exec, s[36:37]
	s_and_saveexec_b64 s[36:37], s[34:35]
	s_cbranch_execz .LBB311_374
.LBB311_373:                            ;   in Loop: Header=BB311_10 Depth=1
	v_and_b32_e32 v2, 7, v8
	v_ffbh_u32_e32 v0, v2
	v_min_u32_e32 v5, 32, v0
	v_subrev_u32_e32 v0, 28, v5
	v_bfe_u32 v3, v8, 3, 4
	v_lshlrev_b64 v[0:1], v0, v[8:9]
	v_sub_u32_e32 v1, 29, v5
	v_cmp_eq_u32_e32 vcc, 0, v3
	v_and_b32_e32 v0, 7, v0
	s_nop 0
	v_cndmask_b32_e32 v1, v3, v1, vcc
	v_cndmask_b32_e32 v0, v2, v0, vcc
	v_lshlrev_b32_e32 v2, 8, v8
	v_lshl_add_u32 v1, v1, 10, v31
	v_and_or_b32 v1, v2, s42, v1
	v_lshl_or_b32 v0, v0, 7, v1
	v_cvt_f32_f16_e32 v23, v0
.LBB311_374:                            ;   in Loop: Header=BB311_10 Depth=1
	s_or_b64 exec, exec, s[36:37]
	v_lshrrev_b32_e32 v8, 16, v12
	v_cmp_gt_i16_sdwa s[34:35], v8, s17 src0_sel:BYTE_0 src1_sel:DWORD
	s_mov_b64 vcc, 0
                                        ; implicit-def: $sgpr38
	s_and_saveexec_b64 s[36:37], s[34:35]
	s_xor_b64 s[34:35], exec, s[36:37]
	s_cbranch_execnz .LBB311_632
; %bb.375:                              ;   in Loop: Header=BB311_10 Depth=1
	s_or_saveexec_b64 s[34:35], s[34:35]
	v_mov_b32_e32 v51, s38
	s_xor_b64 exec, exec, s[34:35]
	s_cbranch_execnz .LBB311_635
.LBB311_376:                            ;   in Loop: Header=BB311_10 Depth=1
	s_or_b64 exec, exec, s[34:35]
	s_and_saveexec_b64 s[34:35], vcc
	s_cbranch_execz .LBB311_378
.LBB311_377:                            ;   in Loop: Header=BB311_10 Depth=1
	v_bfe_u32 v2, v12, 16, 3
	v_ffbh_u32_e32 v0, v2
	v_min_u32_e32 v5, 32, v0
	v_subrev_u32_e32 v0, 28, v5
	v_bfe_u32 v3, v12, 19, 4
	v_lshlrev_b64 v[0:1], v0, v[8:9]
	v_sub_u32_e32 v1, 29, v5
	v_cmp_eq_u32_e32 vcc, 0, v3
	v_and_b32_e32 v0, 7, v0
	s_nop 0
	v_cndmask_b32_e32 v1, v3, v1, vcc
	v_cndmask_b32_e32 v0, v2, v0, vcc
	v_lshlrev_b32_e32 v2, 8, v8
	v_lshl_add_u32 v1, v1, 10, v31
	v_and_or_b32 v1, v2, s42, v1
	v_lshl_or_b32 v0, v0, 7, v1
	v_cvt_f32_f16_e32 v51, v0
.LBB311_378:                            ;   in Loop: Header=BB311_10 Depth=1
	s_or_b64 exec, exec, s[34:35]
	v_lshrrev_b32_e32 v8, 24, v12
	v_cmp_lt_i16_e32 vcc, s17, v8
	s_mov_b64 s[34:35], 0
                                        ; implicit-def: $sgpr43
	s_and_saveexec_b64 s[36:37], vcc
	s_xor_b64 s[36:37], exec, s[36:37]
	s_cbranch_execnz .LBB311_636
; %bb.379:                              ;   in Loop: Header=BB311_10 Depth=1
	s_or_saveexec_b64 s[36:37], s[36:37]
	v_mov_b32_e32 v52, s43
	s_xor_b64 exec, exec, s[36:37]
	s_cbranch_execnz .LBB311_639
.LBB311_380:                            ;   in Loop: Header=BB311_10 Depth=1
	s_or_b64 exec, exec, s[36:37]
	s_and_saveexec_b64 s[36:37], s[34:35]
	s_cbranch_execz .LBB311_382
.LBB311_381:                            ;   in Loop: Header=BB311_10 Depth=1
	v_bfe_u32 v2, v12, 24, 3
	v_ffbh_u32_e32 v0, v2
	v_min_u32_e32 v5, 32, v0
	v_subrev_u32_e32 v0, 28, v5
	v_bfe_u32 v3, v12, 27, 4
	v_lshlrev_b64 v[0:1], v0, v[8:9]
	v_sub_u32_e32 v1, 29, v5
	v_cmp_eq_u32_e32 vcc, 0, v3
	v_and_b32_e32 v0, 7, v0
	s_nop 0
	v_cndmask_b32_e32 v1, v3, v1, vcc
	v_cndmask_b32_e32 v0, v2, v0, vcc
	v_lshlrev_b32_e32 v2, 8, v8
	v_lshl_add_u32 v1, v1, 10, v31
	v_and_or_b32 v1, v2, s42, v1
	v_lshl_or_b32 v0, v0, 7, v1
	v_cvt_f32_f16_e32 v52, v0
.LBB311_382:                            ;   in Loop: Header=BB311_10 Depth=1
	s_or_b64 exec, exec, s[36:37]
	flat_load_dword v12, v[36:37] offset:3592
	s_mov_b64 vcc, 0
                                        ; implicit-def: $sgpr38
	s_waitcnt vmcnt(0) lgkmcnt(0)
	v_cmp_gt_i16_sdwa s[34:35], v12, s17 src0_sel:BYTE_0 src1_sel:DWORD
	s_and_saveexec_b64 s[36:37], s[34:35]
	s_xor_b64 s[34:35], exec, s[36:37]
	s_cbranch_execnz .LBB311_640
; %bb.383:                              ;   in Loop: Header=BB311_10 Depth=1
	s_or_saveexec_b64 s[34:35], s[34:35]
	v_mov_b32_e32 v29, s38
	s_xor_b64 exec, exec, s[34:35]
	s_cbranch_execnz .LBB311_643
.LBB311_384:                            ;   in Loop: Header=BB311_10 Depth=1
	s_or_b64 exec, exec, s[34:35]
	s_and_saveexec_b64 s[34:35], vcc
	s_cbranch_execz .LBB311_386
.LBB311_385:                            ;   in Loop: Header=BB311_10 Depth=1
	v_and_b32_e32 v2, 7, v12
	v_ffbh_u32_e32 v0, v2
	v_min_u32_e32 v5, 32, v0
	v_subrev_u32_e32 v0, 28, v5
	v_bfe_u32 v3, v12, 3, 4
	v_lshlrev_b64 v[0:1], v0, v[12:13]
	v_sub_u32_e32 v1, 29, v5
	v_cmp_eq_u32_e32 vcc, 0, v3
	v_and_b32_e32 v0, 7, v0
	s_nop 0
	v_cndmask_b32_e32 v1, v3, v1, vcc
	v_cndmask_b32_e32 v0, v2, v0, vcc
	v_lshlrev_b32_e32 v2, 8, v12
	v_lshl_add_u32 v1, v1, 10, v31
	v_and_or_b32 v1, v2, s42, v1
	v_lshl_or_b32 v0, v0, 7, v1
	v_cvt_f32_f16_e32 v29, v0
.LBB311_386:                            ;   in Loop: Header=BB311_10 Depth=1
	s_or_b64 exec, exec, s[34:35]
	v_lshrrev_b16_e32 v8, 8, v12
	v_cmp_lt_i16_e32 vcc, s17, v8
	s_mov_b64 s[34:35], 0
                                        ; implicit-def: $sgpr43
	s_and_saveexec_b64 s[36:37], vcc
	s_xor_b64 s[36:37], exec, s[36:37]
	s_cbranch_execnz .LBB311_644
; %bb.387:                              ;   in Loop: Header=BB311_10 Depth=1
	s_or_saveexec_b64 s[36:37], s[36:37]
	v_mov_b32_e32 v48, s43
	s_xor_b64 exec, exec, s[36:37]
	s_cbranch_execnz .LBB311_647
.LBB311_388:                            ;   in Loop: Header=BB311_10 Depth=1
	s_or_b64 exec, exec, s[36:37]
	s_and_saveexec_b64 s[36:37], s[34:35]
	s_cbranch_execz .LBB311_390
.LBB311_389:                            ;   in Loop: Header=BB311_10 Depth=1
	v_and_b32_e32 v2, 7, v8
	v_ffbh_u32_e32 v0, v2
	v_min_u32_e32 v5, 32, v0
	v_subrev_u32_e32 v0, 28, v5
	v_bfe_u32 v3, v8, 3, 4
	v_lshlrev_b64 v[0:1], v0, v[8:9]
	v_sub_u32_e32 v1, 29, v5
	v_cmp_eq_u32_e32 vcc, 0, v3
	v_and_b32_e32 v0, 7, v0
	s_nop 0
	v_cndmask_b32_e32 v1, v3, v1, vcc
	v_cndmask_b32_e32 v0, v2, v0, vcc
	v_lshlrev_b32_e32 v2, 8, v8
	v_lshl_add_u32 v1, v1, 10, v31
	v_and_or_b32 v1, v2, s42, v1
	v_lshl_or_b32 v0, v0, 7, v1
	v_cvt_f32_f16_e32 v48, v0
.LBB311_390:                            ;   in Loop: Header=BB311_10 Depth=1
	s_or_b64 exec, exec, s[36:37]
	v_lshrrev_b32_e32 v8, 16, v12
	v_cmp_gt_i16_sdwa s[34:35], v8, s17 src0_sel:BYTE_0 src1_sel:DWORD
	s_mov_b64 vcc, 0
                                        ; implicit-def: $sgpr38
	s_and_saveexec_b64 s[36:37], s[34:35]
	s_xor_b64 s[34:35], exec, s[36:37]
	s_cbranch_execnz .LBB311_648
; %bb.391:                              ;   in Loop: Header=BB311_10 Depth=1
	s_or_saveexec_b64 s[34:35], s[34:35]
	v_mov_b32_e32 v17, s38
	s_xor_b64 exec, exec, s[34:35]
	s_cbranch_execnz .LBB311_651
.LBB311_392:                            ;   in Loop: Header=BB311_10 Depth=1
	s_or_b64 exec, exec, s[34:35]
	s_and_saveexec_b64 s[34:35], vcc
	s_cbranch_execz .LBB311_394
.LBB311_393:                            ;   in Loop: Header=BB311_10 Depth=1
	v_bfe_u32 v2, v12, 16, 3
	v_ffbh_u32_e32 v0, v2
	v_min_u32_e32 v5, 32, v0
	v_subrev_u32_e32 v0, 28, v5
	v_bfe_u32 v3, v12, 19, 4
	v_lshlrev_b64 v[0:1], v0, v[8:9]
	v_sub_u32_e32 v1, 29, v5
	v_cmp_eq_u32_e32 vcc, 0, v3
	v_and_b32_e32 v0, 7, v0
	s_nop 0
	v_cndmask_b32_e32 v1, v3, v1, vcc
	v_cndmask_b32_e32 v0, v2, v0, vcc
	v_lshlrev_b32_e32 v2, 8, v8
	v_lshl_add_u32 v1, v1, 10, v31
	v_and_or_b32 v1, v2, s42, v1
	v_lshl_or_b32 v0, v0, 7, v1
	v_cvt_f32_f16_e32 v17, v0
.LBB311_394:                            ;   in Loop: Header=BB311_10 Depth=1
	s_or_b64 exec, exec, s[34:35]
	v_lshrrev_b32_e32 v8, 24, v12
	v_cmp_lt_i16_e32 vcc, s17, v8
	s_mov_b64 s[34:35], 0
                                        ; implicit-def: $sgpr43
	s_and_saveexec_b64 s[36:37], vcc
	s_xor_b64 s[36:37], exec, s[36:37]
	s_cbranch_execnz .LBB311_652
; %bb.395:                              ;   in Loop: Header=BB311_10 Depth=1
	s_or_saveexec_b64 s[36:37], s[36:37]
	v_mov_b32_e32 v19, s43
	s_xor_b64 exec, exec, s[36:37]
	s_cbranch_execnz .LBB311_655
.LBB311_396:                            ;   in Loop: Header=BB311_10 Depth=1
	s_or_b64 exec, exec, s[36:37]
	s_and_saveexec_b64 s[36:37], s[34:35]
	s_cbranch_execz .LBB311_398
.LBB311_397:                            ;   in Loop: Header=BB311_10 Depth=1
	v_bfe_u32 v2, v12, 24, 3
	v_ffbh_u32_e32 v0, v2
	v_min_u32_e32 v5, 32, v0
	v_subrev_u32_e32 v0, 28, v5
	v_bfe_u32 v3, v12, 27, 4
	v_lshlrev_b64 v[0:1], v0, v[8:9]
	v_sub_u32_e32 v1, 29, v5
	v_cmp_eq_u32_e32 vcc, 0, v3
	v_and_b32_e32 v0, 7, v0
	s_nop 0
	v_cndmask_b32_e32 v1, v3, v1, vcc
	v_cndmask_b32_e32 v0, v2, v0, vcc
	v_lshlrev_b32_e32 v2, 8, v8
	v_lshl_add_u32 v1, v1, 10, v31
	v_and_or_b32 v1, v2, s42, v1
	v_lshl_or_b32 v0, v0, 7, v1
	v_cvt_f32_f16_e32 v19, v0
.LBB311_398:                            ;   in Loop: Header=BB311_10 Depth=1
	s_or_b64 exec, exec, s[36:37]
	v_add_co_u32_e32 v0, vcc, 0x1000, v36
                                        ; implicit-def: $sgpr38
	s_nop 1
	v_addc_co_u32_e32 v1, vcc, 0, v37, vcc
	flat_load_dword v12, v[0:1]
	s_mov_b64 vcc, 0
	s_waitcnt vmcnt(0) lgkmcnt(0)
	v_cmp_gt_i16_sdwa s[34:35], v12, s17 src0_sel:BYTE_0 src1_sel:DWORD
	s_and_saveexec_b64 s[36:37], s[34:35]
	s_xor_b64 s[34:35], exec, s[36:37]
	s_cbranch_execnz .LBB311_656
; %bb.399:                              ;   in Loop: Header=BB311_10 Depth=1
	s_or_saveexec_b64 s[34:35], s[34:35]
	v_mov_b32_e32 v28, s38
	s_xor_b64 exec, exec, s[34:35]
	s_cbranch_execnz .LBB311_659
.LBB311_400:                            ;   in Loop: Header=BB311_10 Depth=1
	s_or_b64 exec, exec, s[34:35]
	s_and_saveexec_b64 s[34:35], vcc
	s_cbranch_execz .LBB311_402
.LBB311_401:                            ;   in Loop: Header=BB311_10 Depth=1
	v_and_b32_e32 v2, 7, v12
	v_ffbh_u32_e32 v0, v2
	v_min_u32_e32 v5, 32, v0
	v_subrev_u32_e32 v0, 28, v5
	v_bfe_u32 v3, v12, 3, 4
	v_lshlrev_b64 v[0:1], v0, v[12:13]
	v_sub_u32_e32 v1, 29, v5
	v_cmp_eq_u32_e32 vcc, 0, v3
	v_and_b32_e32 v0, 7, v0
	s_nop 0
	v_cndmask_b32_e32 v1, v3, v1, vcc
	v_cndmask_b32_e32 v0, v2, v0, vcc
	v_lshlrev_b32_e32 v2, 8, v12
	v_lshl_add_u32 v1, v1, 10, v31
	v_and_or_b32 v1, v2, s42, v1
	v_lshl_or_b32 v0, v0, 7, v1
	v_cvt_f32_f16_e32 v28, v0
.LBB311_402:                            ;   in Loop: Header=BB311_10 Depth=1
	s_or_b64 exec, exec, s[34:35]
	v_lshrrev_b16_e32 v8, 8, v12
	v_lshl_add_u64 v[38:39], v[36:37], 0, s[24:25]
	v_cmp_lt_i16_e32 vcc, s17, v8
	s_mov_b64 s[34:35], 0
                                        ; implicit-def: $sgpr43
	s_and_saveexec_b64 s[36:37], vcc
	s_xor_b64 s[36:37], exec, s[36:37]
	s_cbranch_execnz .LBB311_660
; %bb.403:                              ;   in Loop: Header=BB311_10 Depth=1
	s_or_saveexec_b64 s[36:37], s[36:37]
	v_mov_b32_e32 v10, s43
	s_xor_b64 exec, exec, s[36:37]
	s_cbranch_execnz .LBB311_663
.LBB311_404:                            ;   in Loop: Header=BB311_10 Depth=1
	s_or_b64 exec, exec, s[36:37]
	s_and_saveexec_b64 s[36:37], s[34:35]
	s_cbranch_execz .LBB311_406
.LBB311_405:                            ;   in Loop: Header=BB311_10 Depth=1
	v_and_b32_e32 v2, 7, v8
	v_ffbh_u32_e32 v0, v2
	v_min_u32_e32 v5, 32, v0
	v_subrev_u32_e32 v0, 28, v5
	v_bfe_u32 v3, v8, 3, 4
	v_lshlrev_b64 v[0:1], v0, v[8:9]
	v_sub_u32_e32 v1, 29, v5
	v_cmp_eq_u32_e32 vcc, 0, v3
	v_and_b32_e32 v0, 7, v0
	s_nop 0
	v_cndmask_b32_e32 v1, v3, v1, vcc
	v_cndmask_b32_e32 v0, v2, v0, vcc
	v_lshlrev_b32_e32 v2, 8, v8
	v_lshl_add_u32 v1, v1, 10, v31
	v_and_or_b32 v1, v2, s42, v1
	v_lshl_or_b32 v0, v0, 7, v1
	v_cvt_f32_f16_e32 v10, v0
.LBB311_406:                            ;   in Loop: Header=BB311_10 Depth=1
	s_or_b64 exec, exec, s[36:37]
	v_lshrrev_b32_e32 v8, 16, v12
	v_cmp_gt_i16_sdwa s[34:35], v8, s17 src0_sel:BYTE_0 src1_sel:DWORD
	s_mov_b64 vcc, 0
                                        ; implicit-def: $sgpr38
	s_and_saveexec_b64 s[36:37], s[34:35]
	s_xor_b64 s[34:35], exec, s[36:37]
	s_cbranch_execnz .LBB311_664
; %bb.407:                              ;   in Loop: Header=BB311_10 Depth=1
	s_or_saveexec_b64 s[34:35], s[34:35]
	v_mov_b32_e32 v20, s38
	s_xor_b64 exec, exec, s[34:35]
	s_cbranch_execnz .LBB311_667
.LBB311_408:                            ;   in Loop: Header=BB311_10 Depth=1
	s_or_b64 exec, exec, s[34:35]
	s_and_saveexec_b64 s[34:35], vcc
	s_cbranch_execz .LBB311_410
.LBB311_409:                            ;   in Loop: Header=BB311_10 Depth=1
	v_bfe_u32 v2, v12, 16, 3
	v_ffbh_u32_e32 v0, v2
	v_min_u32_e32 v5, 32, v0
	v_subrev_u32_e32 v0, 28, v5
	v_bfe_u32 v3, v12, 19, 4
	v_lshlrev_b64 v[0:1], v0, v[8:9]
	v_sub_u32_e32 v1, 29, v5
	v_cmp_eq_u32_e32 vcc, 0, v3
	v_and_b32_e32 v0, 7, v0
	s_nop 0
	v_cndmask_b32_e32 v1, v3, v1, vcc
	v_cndmask_b32_e32 v0, v2, v0, vcc
	v_lshlrev_b32_e32 v2, 8, v8
	v_lshl_add_u32 v1, v1, 10, v31
	v_and_or_b32 v1, v2, s42, v1
	v_lshl_or_b32 v0, v0, 7, v1
	v_cvt_f32_f16_e32 v20, v0
.LBB311_410:                            ;   in Loop: Header=BB311_10 Depth=1
	s_or_b64 exec, exec, s[34:35]
	v_lshrrev_b32_e32 v8, 24, v12
	v_cmp_lt_i16_e32 vcc, s17, v8
	s_mov_b64 s[34:35], 0
                                        ; implicit-def: $sgpr43
	s_and_saveexec_b64 s[36:37], vcc
	s_xor_b64 s[36:37], exec, s[36:37]
	s_cbranch_execnz .LBB311_668
; %bb.411:                              ;   in Loop: Header=BB311_10 Depth=1
	s_or_saveexec_b64 s[36:37], s[36:37]
	v_mov_b32_e32 v18, s43
	s_xor_b64 exec, exec, s[36:37]
	s_cbranch_execnz .LBB311_671
.LBB311_412:                            ;   in Loop: Header=BB311_10 Depth=1
	s_or_b64 exec, exec, s[36:37]
	s_and_saveexec_b64 s[36:37], s[34:35]
	s_cbranch_execz .LBB311_414
.LBB311_413:                            ;   in Loop: Header=BB311_10 Depth=1
	v_bfe_u32 v2, v12, 24, 3
	v_ffbh_u32_e32 v0, v2
	v_min_u32_e32 v5, 32, v0
	v_subrev_u32_e32 v0, 28, v5
	v_bfe_u32 v3, v12, 27, 4
	v_lshlrev_b64 v[0:1], v0, v[8:9]
	v_sub_u32_e32 v1, 29, v5
	v_cmp_eq_u32_e32 vcc, 0, v3
	v_and_b32_e32 v0, 7, v0
	s_nop 0
	v_cndmask_b32_e32 v1, v3, v1, vcc
	v_cndmask_b32_e32 v0, v2, v0, vcc
	v_lshlrev_b32_e32 v2, 8, v8
	v_lshl_add_u32 v1, v1, 10, v31
	v_and_or_b32 v1, v2, s42, v1
	v_lshl_or_b32 v0, v0, 7, v1
	v_cvt_f32_f16_e32 v18, v0
.LBB311_414:                            ;   in Loop: Header=BB311_10 Depth=1
	s_or_b64 exec, exec, s[36:37]
	flat_load_dword v12, v[38:39] offset:8
	s_mov_b64 vcc, 0
                                        ; implicit-def: $sgpr38
	s_waitcnt vmcnt(0) lgkmcnt(0)
	v_cmp_gt_i16_sdwa s[34:35], v12, s17 src0_sel:BYTE_0 src1_sel:DWORD
	s_and_saveexec_b64 s[36:37], s[34:35]
	s_xor_b64 s[34:35], exec, s[36:37]
	s_cbranch_execnz .LBB311_672
; %bb.415:                              ;   in Loop: Header=BB311_10 Depth=1
	s_or_saveexec_b64 s[34:35], s[34:35]
	v_mov_b32_e32 v33, s38
	s_xor_b64 exec, exec, s[34:35]
	s_cbranch_execnz .LBB311_675
.LBB311_416:                            ;   in Loop: Header=BB311_10 Depth=1
	s_or_b64 exec, exec, s[34:35]
	s_and_saveexec_b64 s[34:35], vcc
	s_cbranch_execz .LBB311_418
.LBB311_417:                            ;   in Loop: Header=BB311_10 Depth=1
	v_and_b32_e32 v2, 7, v12
	v_ffbh_u32_e32 v0, v2
	v_min_u32_e32 v5, 32, v0
	v_subrev_u32_e32 v0, 28, v5
	v_bfe_u32 v3, v12, 3, 4
	v_lshlrev_b64 v[0:1], v0, v[12:13]
	v_sub_u32_e32 v1, 29, v5
	v_cmp_eq_u32_e32 vcc, 0, v3
	v_and_b32_e32 v0, 7, v0
	s_nop 0
	v_cndmask_b32_e32 v1, v3, v1, vcc
	v_cndmask_b32_e32 v0, v2, v0, vcc
	v_lshlrev_b32_e32 v2, 8, v12
	v_lshl_add_u32 v1, v1, 10, v31
	v_and_or_b32 v1, v2, s42, v1
	v_lshl_or_b32 v0, v0, 7, v1
	v_cvt_f32_f16_e32 v33, v0
.LBB311_418:                            ;   in Loop: Header=BB311_10 Depth=1
	s_or_b64 exec, exec, s[34:35]
	v_lshrrev_b16_e32 v8, 8, v12
	v_cmp_lt_i16_e32 vcc, s17, v8
	s_mov_b64 s[34:35], 0
                                        ; implicit-def: $sgpr43
	s_and_saveexec_b64 s[36:37], vcc
	s_xor_b64 s[36:37], exec, s[36:37]
	s_cbranch_execnz .LBB311_676
; %bb.419:                              ;   in Loop: Header=BB311_10 Depth=1
	s_or_saveexec_b64 s[36:37], s[36:37]
	v_mov_b32_e32 v11, s43
	s_xor_b64 exec, exec, s[36:37]
	s_cbranch_execnz .LBB311_679
.LBB311_420:                            ;   in Loop: Header=BB311_10 Depth=1
	s_or_b64 exec, exec, s[36:37]
	s_and_saveexec_b64 s[36:37], s[34:35]
	s_cbranch_execz .LBB311_422
.LBB311_421:                            ;   in Loop: Header=BB311_10 Depth=1
	v_and_b32_e32 v2, 7, v8
	v_ffbh_u32_e32 v0, v2
	v_min_u32_e32 v5, 32, v0
	v_subrev_u32_e32 v0, 28, v5
	v_bfe_u32 v3, v8, 3, 4
	v_lshlrev_b64 v[0:1], v0, v[8:9]
	v_sub_u32_e32 v1, 29, v5
	v_cmp_eq_u32_e32 vcc, 0, v3
	v_and_b32_e32 v0, 7, v0
	s_nop 0
	v_cndmask_b32_e32 v1, v3, v1, vcc
	v_cndmask_b32_e32 v0, v2, v0, vcc
	v_lshlrev_b32_e32 v2, 8, v8
	v_lshl_add_u32 v1, v1, 10, v31
	v_and_or_b32 v1, v2, s42, v1
	v_lshl_or_b32 v0, v0, 7, v1
	v_cvt_f32_f16_e32 v11, v0
.LBB311_422:                            ;   in Loop: Header=BB311_10 Depth=1
	s_or_b64 exec, exec, s[36:37]
	v_lshrrev_b32_e32 v8, 16, v12
	v_cmp_gt_i16_sdwa s[34:35], v8, s17 src0_sel:BYTE_0 src1_sel:DWORD
	s_mov_b64 vcc, 0
                                        ; implicit-def: $sgpr38
	s_and_saveexec_b64 s[36:37], s[34:35]
	s_xor_b64 s[34:35], exec, s[36:37]
	s_cbranch_execnz .LBB311_680
; %bb.423:                              ;   in Loop: Header=BB311_10 Depth=1
	s_or_saveexec_b64 s[34:35], s[34:35]
	v_mov_b32_e32 v32, s38
	s_xor_b64 exec, exec, s[34:35]
	s_cbranch_execnz .LBB311_683
.LBB311_424:                            ;   in Loop: Header=BB311_10 Depth=1
	s_or_b64 exec, exec, s[34:35]
	s_and_saveexec_b64 s[34:35], vcc
	s_cbranch_execz .LBB311_426
.LBB311_425:                            ;   in Loop: Header=BB311_10 Depth=1
	v_bfe_u32 v2, v12, 16, 3
	v_ffbh_u32_e32 v0, v2
	v_min_u32_e32 v5, 32, v0
	v_subrev_u32_e32 v0, 28, v5
	v_bfe_u32 v3, v12, 19, 4
	v_lshlrev_b64 v[0:1], v0, v[8:9]
	v_sub_u32_e32 v1, 29, v5
	v_cmp_eq_u32_e32 vcc, 0, v3
	v_and_b32_e32 v0, 7, v0
	s_nop 0
	v_cndmask_b32_e32 v1, v3, v1, vcc
	v_cndmask_b32_e32 v0, v2, v0, vcc
	v_lshlrev_b32_e32 v2, 8, v8
	v_lshl_add_u32 v1, v1, 10, v31
	v_and_or_b32 v1, v2, s42, v1
	v_lshl_or_b32 v0, v0, 7, v1
	v_cvt_f32_f16_e32 v32, v0
.LBB311_426:                            ;   in Loop: Header=BB311_10 Depth=1
	s_or_b64 exec, exec, s[34:35]
	v_lshrrev_b32_e32 v8, 24, v12
	v_cmp_lt_i16_e32 vcc, s17, v8
	s_mov_b64 s[34:35], 0
                                        ; implicit-def: $sgpr43
	s_and_saveexec_b64 s[36:37], vcc
	s_xor_b64 s[36:37], exec, s[36:37]
	s_cbranch_execnz .LBB311_684
; %bb.427:                              ;   in Loop: Header=BB311_10 Depth=1
	s_or_saveexec_b64 s[36:37], s[36:37]
	v_mov_b32_e32 v47, s43
	s_xor_b64 exec, exec, s[36:37]
	s_cbranch_execnz .LBB311_687
.LBB311_428:                            ;   in Loop: Header=BB311_10 Depth=1
	s_or_b64 exec, exec, s[36:37]
	s_and_saveexec_b64 s[36:37], s[34:35]
	s_cbranch_execz .LBB311_430
.LBB311_429:                            ;   in Loop: Header=BB311_10 Depth=1
	v_bfe_u32 v2, v12, 24, 3
	v_ffbh_u32_e32 v0, v2
	v_min_u32_e32 v5, 32, v0
	v_subrev_u32_e32 v0, 28, v5
	v_bfe_u32 v3, v12, 27, 4
	v_lshlrev_b64 v[0:1], v0, v[8:9]
	v_sub_u32_e32 v1, 29, v5
	v_cmp_eq_u32_e32 vcc, 0, v3
	v_and_b32_e32 v0, 7, v0
	s_nop 0
	v_cndmask_b32_e32 v1, v3, v1, vcc
	v_cndmask_b32_e32 v0, v2, v0, vcc
	v_lshlrev_b32_e32 v2, 8, v8
	v_lshl_add_u32 v1, v1, 10, v31
	v_and_or_b32 v1, v2, s42, v1
	v_lshl_or_b32 v0, v0, 7, v1
	v_cvt_f32_f16_e32 v47, v0
.LBB311_430:                            ;   in Loop: Header=BB311_10 Depth=1
	s_or_b64 exec, exec, s[36:37]
	v_add_co_u32_e32 v0, vcc, 0x1000, v36
                                        ; implicit-def: $sgpr38
	s_nop 1
	v_addc_co_u32_e32 v1, vcc, 0, v37, vcc
	flat_load_dword v12, v[0:1] offset:512
	s_mov_b64 vcc, 0
	s_waitcnt vmcnt(0) lgkmcnt(0)
	v_cmp_gt_i16_sdwa s[34:35], v12, s17 src0_sel:BYTE_0 src1_sel:DWORD
	s_and_saveexec_b64 s[36:37], s[34:35]
	s_xor_b64 s[34:35], exec, s[36:37]
	s_cbranch_execnz .LBB311_688
; %bb.431:                              ;   in Loop: Header=BB311_10 Depth=1
	s_or_saveexec_b64 s[34:35], s[34:35]
	v_mov_b32_e32 v1, s38
	s_xor_b64 exec, exec, s[34:35]
	s_cbranch_execnz .LBB311_691
.LBB311_432:                            ;   in Loop: Header=BB311_10 Depth=1
	s_or_b64 exec, exec, s[34:35]
	s_and_saveexec_b64 s[34:35], vcc
	s_cbranch_execz .LBB311_434
.LBB311_433:                            ;   in Loop: Header=BB311_10 Depth=1
	v_and_b32_e32 v2, 7, v12
	v_ffbh_u32_e32 v0, v2
	v_min_u32_e32 v5, 32, v0
	v_subrev_u32_e32 v0, 28, v5
	v_bfe_u32 v3, v12, 3, 4
	v_lshlrev_b64 v[0:1], v0, v[12:13]
	v_sub_u32_e32 v1, 29, v5
	v_cmp_eq_u32_e32 vcc, 0, v3
	v_and_b32_e32 v0, 7, v0
	s_nop 0
	v_cndmask_b32_e32 v1, v3, v1, vcc
	v_cndmask_b32_e32 v0, v2, v0, vcc
	v_lshlrev_b32_e32 v2, 8, v12
	v_lshl_add_u32 v1, v1, 10, v31
	v_and_or_b32 v1, v2, s42, v1
	v_lshl_or_b32 v0, v0, 7, v1
	v_cvt_f32_f16_e32 v1, v0
.LBB311_434:                            ;   in Loop: Header=BB311_10 Depth=1
	s_or_b64 exec, exec, s[34:35]
	v_lshrrev_b16_e32 v8, 8, v12
	v_lshl_add_u64 v[38:39], v[36:37], 0, s[26:27]
	v_cmp_lt_i16_e32 vcc, s17, v8
	s_mov_b64 s[34:35], 0
                                        ; implicit-def: $sgpr43
	s_and_saveexec_b64 s[36:37], vcc
	s_xor_b64 s[36:37], exec, s[36:37]
	s_cbranch_execnz .LBB311_692
; %bb.435:                              ;   in Loop: Header=BB311_10 Depth=1
	s_or_saveexec_b64 s[36:37], s[36:37]
	v_mov_b32_e32 v0, s43
	s_xor_b64 exec, exec, s[36:37]
	s_cbranch_execnz .LBB311_695
.LBB311_436:                            ;   in Loop: Header=BB311_10 Depth=1
	s_or_b64 exec, exec, s[36:37]
	s_and_saveexec_b64 s[36:37], s[34:35]
	s_cbranch_execz .LBB311_438
.LBB311_437:                            ;   in Loop: Header=BB311_10 Depth=1
	v_and_b32_e32 v0, 7, v8
	v_ffbh_u32_e32 v2, v0
	v_min_u32_e32 v7, 32, v2
	v_subrev_u32_e32 v2, 28, v7
	v_bfe_u32 v5, v8, 3, 4
	v_lshlrev_b64 v[2:3], v2, v[8:9]
	v_sub_u32_e32 v3, 29, v7
	v_cmp_eq_u32_e32 vcc, 0, v5
	v_and_b32_e32 v2, 7, v2
	s_nop 0
	v_cndmask_b32_e32 v3, v5, v3, vcc
	v_cndmask_b32_e32 v0, v0, v2, vcc
	v_lshlrev_b32_e32 v2, 8, v8
	v_lshl_add_u32 v3, v3, 10, v31
	v_and_or_b32 v2, v2, s42, v3
	v_lshl_or_b32 v0, v0, 7, v2
	v_cvt_f32_f16_e32 v0, v0
.LBB311_438:                            ;   in Loop: Header=BB311_10 Depth=1
	s_or_b64 exec, exec, s[36:37]
	v_lshrrev_b32_e32 v8, 16, v12
	v_cmp_gt_i16_sdwa s[34:35], v8, s17 src0_sel:BYTE_0 src1_sel:DWORD
	s_mov_b64 vcc, 0
                                        ; implicit-def: $sgpr38
	s_and_saveexec_b64 s[36:37], s[34:35]
	s_xor_b64 s[34:35], exec, s[36:37]
	s_cbranch_execnz .LBB311_696
; %bb.439:                              ;   in Loop: Header=BB311_10 Depth=1
	s_or_saveexec_b64 s[34:35], s[34:35]
	v_mov_b32_e32 v3, s38
	s_xor_b64 exec, exec, s[34:35]
	s_cbranch_execnz .LBB311_699
.LBB311_440:                            ;   in Loop: Header=BB311_10 Depth=1
	s_or_b64 exec, exec, s[34:35]
	s_and_saveexec_b64 s[34:35], vcc
	s_cbranch_execz .LBB311_442
.LBB311_441:                            ;   in Loop: Header=BB311_10 Depth=1
	v_bfe_u32 v5, v12, 16, 3
	v_ffbh_u32_e32 v2, v5
	v_min_u32_e32 v13, 32, v2
	v_subrev_u32_e32 v2, 28, v13
	v_bfe_u32 v7, v12, 19, 4
	v_lshlrev_b64 v[2:3], v2, v[8:9]
	v_sub_u32_e32 v3, 29, v13
	v_cmp_eq_u32_e32 vcc, 0, v7
	v_and_b32_e32 v2, 7, v2
	s_nop 0
	v_cndmask_b32_e32 v3, v7, v3, vcc
	v_cndmask_b32_e32 v2, v5, v2, vcc
	v_lshlrev_b32_e32 v5, 8, v8
	v_lshl_add_u32 v3, v3, 10, v31
	v_and_or_b32 v3, v5, s42, v3
	v_lshl_or_b32 v2, v2, 7, v3
	v_cvt_f32_f16_e32 v3, v2
.LBB311_442:                            ;   in Loop: Header=BB311_10 Depth=1
	s_or_b64 exec, exec, s[34:35]
	v_lshrrev_b32_e32 v8, 24, v12
	v_cmp_lt_i16_e32 vcc, s17, v8
	s_mov_b64 s[34:35], 0
                                        ; implicit-def: $sgpr43
	s_and_saveexec_b64 s[36:37], vcc
	s_xor_b64 s[36:37], exec, s[36:37]
	s_cbranch_execnz .LBB311_700
; %bb.443:                              ;   in Loop: Header=BB311_10 Depth=1
	s_or_saveexec_b64 s[36:37], s[36:37]
	v_mov_b32_e32 v2, s43
	s_xor_b64 exec, exec, s[36:37]
	s_cbranch_execnz .LBB311_703
.LBB311_444:                            ;   in Loop: Header=BB311_10 Depth=1
	s_or_b64 exec, exec, s[36:37]
	s_and_saveexec_b64 s[36:37], s[34:35]
	s_cbranch_execz .LBB311_446
.LBB311_445:                            ;   in Loop: Header=BB311_10 Depth=1
	v_bfe_u32 v2, v12, 24, 3
	v_ffbh_u32_e32 v7, v2
	v_bfe_u32 v5, v12, 27, 4
	v_min_u32_e32 v7, 32, v7
	v_subrev_u32_e32 v12, 28, v7
	v_sub_u32_e32 v7, 29, v7
	v_cmp_eq_u32_e32 vcc, 0, v5
	v_lshlrev_b64 v[12:13], v12, v[8:9]
	v_and_b32_e32 v12, 7, v12
	v_cndmask_b32_e32 v5, v5, v7, vcc
	v_lshlrev_b32_e32 v7, 8, v8
	v_lshl_add_u32 v5, v5, 10, v31
	v_cndmask_b32_e32 v2, v2, v12, vcc
	v_and_or_b32 v5, v7, s42, v5
	v_lshl_or_b32 v2, v2, 7, v5
	v_cvt_f32_f16_e32 v2, v2
.LBB311_446:                            ;   in Loop: Header=BB311_10 Depth=1
	s_or_b64 exec, exec, s[36:37]
	flat_load_dword v12, v[38:39] offset:8
	s_mov_b64 vcc, 0
                                        ; implicit-def: $sgpr38
	s_waitcnt vmcnt(0) lgkmcnt(0)
	v_cmp_gt_i16_sdwa s[34:35], v12, s17 src0_sel:BYTE_0 src1_sel:DWORD
	s_and_saveexec_b64 s[36:37], s[34:35]
	s_xor_b64 s[34:35], exec, s[36:37]
	s_cbranch_execnz .LBB311_704
; %bb.447:                              ;   in Loop: Header=BB311_10 Depth=1
	s_or_saveexec_b64 s[34:35], s[34:35]
	v_mov_b32_e32 v42, s38
	s_xor_b64 exec, exec, s[34:35]
	s_cbranch_execnz .LBB311_707
.LBB311_448:                            ;   in Loop: Header=BB311_10 Depth=1
	s_or_b64 exec, exec, s[34:35]
	s_and_saveexec_b64 s[34:35], vcc
	s_cbranch_execz .LBB311_450
.LBB311_449:                            ;   in Loop: Header=BB311_10 Depth=1
	v_and_b32_e32 v5, 7, v12
	v_ffbh_u32_e32 v8, v5
	v_bfe_u32 v7, v12, 3, 4
	v_min_u32_e32 v8, 32, v8
	v_subrev_u32_e32 v13, 28, v8
	v_sub_u32_e32 v8, 29, v8
	v_cmp_eq_u32_e32 vcc, 0, v7
	v_lshlrev_b64 v[14:15], v13, v[12:13]
	v_and_b32_e32 v13, 7, v14
	v_cndmask_b32_e32 v7, v7, v8, vcc
	v_lshlrev_b32_e32 v8, 8, v12
	v_lshl_add_u32 v7, v7, 10, v31
	v_cndmask_b32_e32 v5, v5, v13, vcc
	v_and_or_b32 v7, v8, s42, v7
	v_lshl_or_b32 v5, v5, 7, v7
	v_cvt_f32_f16_e32 v42, v5
.LBB311_450:                            ;   in Loop: Header=BB311_10 Depth=1
	s_or_b64 exec, exec, s[34:35]
	v_lshrrev_b16_e32 v8, 8, v12
	v_cmp_lt_i16_e32 vcc, s17, v8
	s_mov_b64 s[34:35], 0
                                        ; implicit-def: $sgpr43
	s_and_saveexec_b64 s[36:37], vcc
	s_xor_b64 s[36:37], exec, s[36:37]
	s_cbranch_execnz .LBB311_708
; %bb.451:                              ;   in Loop: Header=BB311_10 Depth=1
	s_or_saveexec_b64 s[36:37], s[36:37]
	v_mov_b32_e32 v45, s43
	s_xor_b64 exec, exec, s[36:37]
	s_cbranch_execnz .LBB311_711
.LBB311_452:                            ;   in Loop: Header=BB311_10 Depth=1
	s_or_b64 exec, exec, s[36:37]
	s_and_saveexec_b64 s[36:37], s[34:35]
	s_cbranch_execz .LBB311_454
.LBB311_453:                            ;   in Loop: Header=BB311_10 Depth=1
	v_and_b32_e32 v5, 7, v8
	v_ffbh_u32_e32 v13, v5
	v_bfe_u32 v7, v8, 3, 4
	v_min_u32_e32 v13, 32, v13
	v_subrev_u32_e32 v14, 28, v13
	v_sub_u32_e32 v13, 29, v13
	v_cmp_eq_u32_e32 vcc, 0, v7
	v_lshlrev_b64 v[14:15], v14, v[8:9]
	v_and_b32_e32 v14, 7, v14
	v_cndmask_b32_e32 v7, v7, v13, vcc
	v_lshlrev_b32_e32 v8, 8, v8
	v_lshl_add_u32 v7, v7, 10, v31
	v_cndmask_b32_e32 v5, v5, v14, vcc
	v_and_or_b32 v7, v8, s42, v7
	v_lshl_or_b32 v5, v5, 7, v7
	v_cvt_f32_f16_e32 v45, v5
.LBB311_454:                            ;   in Loop: Header=BB311_10 Depth=1
	s_or_b64 exec, exec, s[36:37]
	v_lshrrev_b32_e32 v8, 16, v12
	v_cmp_gt_i16_sdwa s[34:35], v8, s17 src0_sel:BYTE_0 src1_sel:DWORD
	s_mov_b64 vcc, 0
                                        ; implicit-def: $sgpr38
	s_and_saveexec_b64 s[36:37], s[34:35]
	s_xor_b64 s[34:35], exec, s[36:37]
	s_cbranch_execnz .LBB311_712
; %bb.455:                              ;   in Loop: Header=BB311_10 Depth=1
	s_or_saveexec_b64 s[34:35], s[34:35]
	v_mov_b32_e32 v46, s38
	s_xor_b64 exec, exec, s[34:35]
	s_cbranch_execnz .LBB311_715
.LBB311_456:                            ;   in Loop: Header=BB311_10 Depth=1
	s_or_b64 exec, exec, s[34:35]
	s_and_saveexec_b64 s[34:35], vcc
	s_cbranch_execz .LBB311_458
.LBB311_457:                            ;   in Loop: Header=BB311_10 Depth=1
	v_bfe_u32 v5, v12, 16, 3
	v_ffbh_u32_e32 v13, v5
	v_bfe_u32 v7, v12, 19, 4
	v_min_u32_e32 v13, 32, v13
	v_subrev_u32_e32 v14, 28, v13
	v_sub_u32_e32 v13, 29, v13
	v_cmp_eq_u32_e32 vcc, 0, v7
	v_lshlrev_b64 v[14:15], v14, v[8:9]
	v_and_b32_e32 v14, 7, v14
	v_cndmask_b32_e32 v7, v7, v13, vcc
	v_lshlrev_b32_e32 v8, 8, v8
	v_lshl_add_u32 v7, v7, 10, v31
	v_cndmask_b32_e32 v5, v5, v14, vcc
	v_and_or_b32 v7, v8, s42, v7
	v_lshl_or_b32 v5, v5, 7, v7
	v_cvt_f32_f16_e32 v46, v5
.LBB311_458:                            ;   in Loop: Header=BB311_10 Depth=1
	s_or_b64 exec, exec, s[34:35]
	v_lshrrev_b32_e32 v8, 24, v12
	v_cmp_lt_i16_e32 vcc, s17, v8
	s_mov_b64 s[34:35], 0
                                        ; implicit-def: $sgpr43
	s_and_saveexec_b64 s[36:37], vcc
	s_xor_b64 s[36:37], exec, s[36:37]
	s_cbranch_execnz .LBB311_716
; %bb.459:                              ;   in Loop: Header=BB311_10 Depth=1
	s_or_saveexec_b64 s[36:37], s[36:37]
	v_mov_b32_e32 v5, s43
	s_xor_b64 exec, exec, s[36:37]
	s_cbranch_execnz .LBB311_719
.LBB311_460:                            ;   in Loop: Header=BB311_10 Depth=1
	s_or_b64 exec, exec, s[36:37]
	s_and_saveexec_b64 s[36:37], s[34:35]
	s_cbranch_execz .LBB311_462
.LBB311_461:                            ;   in Loop: Header=BB311_10 Depth=1
	v_bfe_u32 v5, v12, 24, 3
	v_bfe_u32 v7, v12, 27, 4
	v_ffbh_u32_e32 v12, v5
	v_min_u32_e32 v14, 32, v12
	v_subrev_u32_e32 v12, 28, v14
	v_lshlrev_b64 v[12:13], v12, v[8:9]
	v_sub_u32_e32 v13, 29, v14
	v_cmp_eq_u32_e32 vcc, 0, v7
	v_and_b32_e32 v12, 7, v12
	v_lshlrev_b32_e32 v8, 8, v8
	v_cndmask_b32_e32 v7, v7, v13, vcc
	v_lshl_add_u32 v7, v7, 10, v31
	v_cndmask_b32_e32 v5, v5, v12, vcc
	v_and_or_b32 v7, v8, s42, v7
	v_lshl_or_b32 v5, v5, 7, v7
	v_cvt_f32_f16_e32 v5, v5
.LBB311_462:                            ;   in Loop: Header=BB311_10 Depth=1
	s_or_b64 exec, exec, s[36:37]
	v_add_co_u32_e32 v12, vcc, 0x1000, v36
                                        ; implicit-def: $sgpr38
	s_nop 1
	v_addc_co_u32_e32 v13, vcc, 0, v37, vcc
	flat_load_dword v12, v[12:13] offset:1024
	s_mov_b64 vcc, 0
	s_waitcnt vmcnt(0) lgkmcnt(0)
	v_cmp_gt_i16_sdwa s[34:35], v12, s17 src0_sel:BYTE_0 src1_sel:DWORD
	s_and_saveexec_b64 s[36:37], s[34:35]
	s_xor_b64 s[34:35], exec, s[36:37]
	s_cbranch_execnz .LBB311_720
; %bb.463:                              ;   in Loop: Header=BB311_10 Depth=1
	s_or_saveexec_b64 s[34:35], s[34:35]
	v_mov_b32_e32 v13, s38
	s_xor_b64 exec, exec, s[34:35]
	s_cbranch_execnz .LBB311_723
.LBB311_464:                            ;   in Loop: Header=BB311_10 Depth=1
	s_or_b64 exec, exec, s[34:35]
	s_and_saveexec_b64 s[34:35], vcc
	s_cbranch_execz .LBB311_466
.LBB311_465:                            ;   in Loop: Header=BB311_10 Depth=1
	v_and_b32_e32 v7, 7, v12
	v_ffbh_u32_e32 v13, v7
	v_min_u32_e32 v13, 32, v13
	v_bfe_u32 v8, v12, 3, 4
	v_subrev_u32_e32 v14, 28, v13
	v_lshlrev_b64 v[14:15], v14, v[12:13]
	v_sub_u32_e32 v13, 29, v13
	v_cmp_eq_u32_e32 vcc, 0, v8
	v_and_b32_e32 v14, 7, v14
	s_nop 0
	v_cndmask_b32_e32 v8, v8, v13, vcc
	v_lshlrev_b32_e32 v13, 8, v12
	v_lshl_add_u32 v8, v8, 10, v31
	v_cndmask_b32_e32 v7, v7, v14, vcc
	v_and_or_b32 v8, v13, s42, v8
	v_lshl_or_b32 v7, v7, 7, v8
	v_cvt_f32_f16_e32 v13, v7
.LBB311_466:                            ;   in Loop: Header=BB311_10 Depth=1
	s_or_b64 exec, exec, s[34:35]
	v_lshrrev_b16_e32 v8, 8, v12
	v_lshl_add_u64 v[38:39], v[36:37], 0, s[28:29]
	v_cmp_lt_i16_e32 vcc, s17, v8
	s_mov_b64 s[34:35], 0
                                        ; implicit-def: $sgpr43
	s_and_saveexec_b64 s[36:37], vcc
	s_xor_b64 s[36:37], exec, s[36:37]
	s_cbranch_execnz .LBB311_724
; %bb.467:                              ;   in Loop: Header=BB311_10 Depth=1
	s_or_saveexec_b64 s[36:37], s[36:37]
	v_mov_b32_e32 v22, s43
	s_xor_b64 exec, exec, s[36:37]
	s_cbranch_execnz .LBB311_727
.LBB311_468:                            ;   in Loop: Header=BB311_10 Depth=1
	s_or_b64 exec, exec, s[36:37]
	s_and_saveexec_b64 s[36:37], s[34:35]
	s_cbranch_execz .LBB311_470
.LBB311_469:                            ;   in Loop: Header=BB311_10 Depth=1
	v_and_b32_e32 v7, 7, v8
	v_ffbh_u32_e32 v14, v7
	v_min_u32_e32 v21, 32, v14
	v_subrev_u32_e32 v14, 28, v21
	v_bfe_u32 v16, v8, 3, 4
	v_lshlrev_b64 v[14:15], v14, v[8:9]
	v_sub_u32_e32 v15, 29, v21
	v_cmp_eq_u32_e32 vcc, 0, v16
	v_and_b32_e32 v14, 7, v14
	v_lshlrev_b32_e32 v8, 8, v8
	v_cndmask_b32_e32 v15, v16, v15, vcc
	v_cndmask_b32_e32 v7, v7, v14, vcc
	v_lshl_add_u32 v14, v15, 10, v31
	v_and_or_b32 v8, v8, s42, v14
	v_lshl_or_b32 v7, v7, 7, v8
	v_cvt_f32_f16_e32 v22, v7
.LBB311_470:                            ;   in Loop: Header=BB311_10 Depth=1
	s_or_b64 exec, exec, s[36:37]
	v_lshrrev_b32_e32 v8, 16, v12
	v_cmp_gt_i16_sdwa s[34:35], v8, s17 src0_sel:BYTE_0 src1_sel:DWORD
	s_mov_b64 vcc, 0
                                        ; implicit-def: $sgpr38
	s_and_saveexec_b64 s[36:37], s[34:35]
	s_xor_b64 s[34:35], exec, s[36:37]
	s_cbranch_execnz .LBB311_728
; %bb.471:                              ;   in Loop: Header=BB311_10 Depth=1
	s_or_saveexec_b64 s[34:35], s[34:35]
	v_mov_b32_e32 v24, s38
	s_xor_b64 exec, exec, s[34:35]
	s_cbranch_execnz .LBB311_731
.LBB311_472:                            ;   in Loop: Header=BB311_10 Depth=1
	s_or_b64 exec, exec, s[34:35]
	s_and_saveexec_b64 s[34:35], vcc
	s_cbranch_execz .LBB311_474
.LBB311_473:                            ;   in Loop: Header=BB311_10 Depth=1
	v_bfe_u32 v7, v12, 16, 3
	v_ffbh_u32_e32 v14, v7
	v_min_u32_e32 v21, 32, v14
	v_subrev_u32_e32 v14, 28, v21
	v_bfe_u32 v16, v12, 19, 4
	v_lshlrev_b64 v[14:15], v14, v[8:9]
	v_sub_u32_e32 v15, 29, v21
	v_cmp_eq_u32_e32 vcc, 0, v16
	v_and_b32_e32 v14, 7, v14
	v_lshlrev_b32_e32 v8, 8, v8
	v_cndmask_b32_e32 v15, v16, v15, vcc
	v_cndmask_b32_e32 v7, v7, v14, vcc
	v_lshl_add_u32 v14, v15, 10, v31
	v_and_or_b32 v8, v8, s42, v14
	v_lshl_or_b32 v7, v7, 7, v8
	v_cvt_f32_f16_e32 v24, v7
.LBB311_474:                            ;   in Loop: Header=BB311_10 Depth=1
	s_or_b64 exec, exec, s[34:35]
	v_lshrrev_b32_e32 v8, 24, v12
	v_cmp_lt_i16_e32 vcc, s17, v8
	s_mov_b64 s[34:35], 0
                                        ; implicit-def: $sgpr43
	s_and_saveexec_b64 s[36:37], vcc
	s_xor_b64 s[36:37], exec, s[36:37]
	s_cbranch_execnz .LBB311_732
; %bb.475:                              ;   in Loop: Header=BB311_10 Depth=1
	s_or_saveexec_b64 s[36:37], s[36:37]
	v_mov_b32_e32 v26, s43
	s_xor_b64 exec, exec, s[36:37]
	s_cbranch_execnz .LBB311_735
.LBB311_476:                            ;   in Loop: Header=BB311_10 Depth=1
	s_or_b64 exec, exec, s[36:37]
	s_and_saveexec_b64 s[36:37], s[34:35]
	s_cbranch_execz .LBB311_478
.LBB311_477:                            ;   in Loop: Header=BB311_10 Depth=1
	v_bfe_u32 v7, v12, 24, 3
	v_ffbh_u32_e32 v14, v7
	v_min_u32_e32 v16, 32, v14
	v_subrev_u32_e32 v14, 28, v16
	v_bfe_u32 v12, v12, 27, 4
	v_lshlrev_b64 v[14:15], v14, v[8:9]
	v_sub_u32_e32 v15, 29, v16
	v_cmp_eq_u32_e32 vcc, 0, v12
	v_and_b32_e32 v14, 7, v14
	v_lshlrev_b32_e32 v8, 8, v8
	v_cndmask_b32_e32 v12, v12, v15, vcc
	v_lshl_add_u32 v12, v12, 10, v31
	v_cndmask_b32_e32 v7, v7, v14, vcc
	v_and_or_b32 v8, v8, s42, v12
	v_lshl_or_b32 v7, v7, 7, v8
	v_cvt_f32_f16_e32 v26, v7
.LBB311_478:                            ;   in Loop: Header=BB311_10 Depth=1
	s_or_b64 exec, exec, s[36:37]
	flat_load_dword v12, v[38:39] offset:8
	s_mov_b64 vcc, 0
                                        ; implicit-def: $sgpr38
	s_waitcnt vmcnt(0) lgkmcnt(0)
	v_cmp_gt_i16_sdwa s[34:35], v12, s17 src0_sel:BYTE_0 src1_sel:DWORD
	s_and_saveexec_b64 s[36:37], s[34:35]
	s_xor_b64 s[34:35], exec, s[36:37]
	s_cbranch_execnz .LBB311_736
; %bb.479:                              ;   in Loop: Header=BB311_10 Depth=1
	s_or_saveexec_b64 s[34:35], s[34:35]
	v_mov_b32_e32 v14, s38
	s_xor_b64 exec, exec, s[34:35]
	s_cbranch_execnz .LBB311_739
.LBB311_480:                            ;   in Loop: Header=BB311_10 Depth=1
	s_or_b64 exec, exec, s[34:35]
	s_and_saveexec_b64 s[34:35], vcc
	s_cbranch_execz .LBB311_482
.LBB311_481:                            ;   in Loop: Header=BB311_10 Depth=1
	v_and_b32_e32 v7, 7, v12
	v_ffbh_u32_e32 v14, v7
	v_min_u32_e32 v16, 32, v14
	v_subrev_u32_e32 v14, 28, v16
	v_bfe_u32 v8, v12, 3, 4
	v_lshlrev_b64 v[14:15], v14, v[12:13]
	v_sub_u32_e32 v15, 29, v16
	v_cmp_eq_u32_e32 vcc, 0, v8
	v_and_b32_e32 v14, 7, v14
	s_nop 0
	v_cndmask_b32_e32 v8, v8, v15, vcc
	v_cndmask_b32_e32 v7, v7, v14, vcc
	v_lshlrev_b32_e32 v14, 8, v12
	v_lshl_add_u32 v8, v8, 10, v31
	v_and_or_b32 v8, v14, s42, v8
	v_lshl_or_b32 v7, v7, 7, v8
	v_cvt_f32_f16_e32 v14, v7
.LBB311_482:                            ;   in Loop: Header=BB311_10 Depth=1
	s_or_b64 exec, exec, s[34:35]
	v_lshrrev_b16_e32 v8, 8, v12
	v_cmp_lt_i16_e32 vcc, s17, v8
	s_mov_b64 s[34:35], 0
                                        ; implicit-def: $sgpr43
	s_and_saveexec_b64 s[36:37], vcc
	s_xor_b64 s[36:37], exec, s[36:37]
	s_cbranch_execnz .LBB311_740
; %bb.483:                              ;   in Loop: Header=BB311_10 Depth=1
	s_or_saveexec_b64 s[36:37], s[36:37]
	v_mov_b32_e32 v25, s43
	s_xor_b64 exec, exec, s[36:37]
	s_cbranch_execnz .LBB311_743
.LBB311_484:                            ;   in Loop: Header=BB311_10 Depth=1
	s_or_b64 exec, exec, s[36:37]
	s_and_saveexec_b64 s[36:37], s[34:35]
	s_cbranch_execz .LBB311_486
.LBB311_485:                            ;   in Loop: Header=BB311_10 Depth=1
	v_and_b32_e32 v7, 7, v8
	v_ffbh_u32_e32 v16, v7
	v_bfe_u32 v15, v8, 3, 4
	v_min_u32_e32 v16, 32, v16
	v_subrev_u32_e32 v21, 28, v16
	v_sub_u32_e32 v16, 29, v16
	v_cmp_eq_u32_e32 vcc, 0, v15
	v_lshlrev_b64 v[34:35], v21, v[8:9]
	v_and_b32_e32 v21, 7, v34
	v_cndmask_b32_e32 v15, v15, v16, vcc
	v_lshlrev_b32_e32 v8, 8, v8
	v_lshl_add_u32 v15, v15, 10, v31
	v_cndmask_b32_e32 v7, v7, v21, vcc
	v_and_or_b32 v8, v8, s42, v15
	v_lshl_or_b32 v7, v7, 7, v8
	v_cvt_f32_f16_e32 v25, v7
.LBB311_486:                            ;   in Loop: Header=BB311_10 Depth=1
	s_or_b64 exec, exec, s[36:37]
	v_lshrrev_b32_e32 v8, 16, v12
	v_cmp_gt_i16_sdwa s[34:35], v8, s17 src0_sel:BYTE_0 src1_sel:DWORD
	s_mov_b64 vcc, 0
                                        ; implicit-def: $sgpr38
	s_and_saveexec_b64 s[36:37], s[34:35]
	s_xor_b64 s[34:35], exec, s[36:37]
	s_cbranch_execnz .LBB311_744
; %bb.487:                              ;   in Loop: Header=BB311_10 Depth=1
	s_or_saveexec_b64 s[34:35], s[34:35]
	v_mov_b32_e32 v16, s38
	s_xor_b64 exec, exec, s[34:35]
	s_cbranch_execnz .LBB311_747
.LBB311_488:                            ;   in Loop: Header=BB311_10 Depth=1
	s_or_b64 exec, exec, s[34:35]
	s_and_saveexec_b64 s[34:35], vcc
	s_cbranch_execz .LBB311_490
.LBB311_489:                            ;   in Loop: Header=BB311_10 Depth=1
	v_bfe_u32 v7, v12, 16, 3
	v_ffbh_u32_e32 v16, v7
	v_bfe_u32 v15, v12, 19, 4
	v_min_u32_e32 v16, 32, v16
	v_subrev_u32_e32 v21, 28, v16
	v_sub_u32_e32 v16, 29, v16
	v_cmp_eq_u32_e32 vcc, 0, v15
	v_lshlrev_b64 v[34:35], v21, v[8:9]
	v_and_b32_e32 v21, 7, v34
	v_cndmask_b32_e32 v15, v15, v16, vcc
	v_lshlrev_b32_e32 v8, 8, v8
	v_lshl_add_u32 v15, v15, 10, v31
	v_cndmask_b32_e32 v7, v7, v21, vcc
	v_and_or_b32 v8, v8, s42, v15
	v_lshl_or_b32 v7, v7, 7, v8
	v_cvt_f32_f16_e32 v16, v7
.LBB311_490:                            ;   in Loop: Header=BB311_10 Depth=1
	s_or_b64 exec, exec, s[34:35]
	v_lshrrev_b32_e32 v8, 24, v12
	v_cmp_lt_i16_e32 vcc, s17, v8
	s_mov_b64 s[34:35], 0
                                        ; implicit-def: $sgpr43
	s_and_saveexec_b64 s[36:37], vcc
	s_xor_b64 s[36:37], exec, s[36:37]
	s_cbranch_execnz .LBB311_748
; %bb.491:                              ;   in Loop: Header=BB311_10 Depth=1
	s_or_saveexec_b64 s[36:37], s[36:37]
	v_mov_b32_e32 v30, s43
	s_xor_b64 exec, exec, s[36:37]
	s_cbranch_execnz .LBB311_751
.LBB311_492:                            ;   in Loop: Header=BB311_10 Depth=1
	s_or_b64 exec, exec, s[36:37]
	s_and_saveexec_b64 s[36:37], s[34:35]
	s_cbranch_execz .LBB311_494
.LBB311_493:                            ;   in Loop: Header=BB311_10 Depth=1
	v_bfe_u32 v7, v12, 24, 3
	v_ffbh_u32_e32 v15, v7
	v_bfe_u32 v12, v12, 27, 4
	v_min_u32_e32 v15, 32, v15
	v_subrev_u32_e32 v21, 28, v15
	v_sub_u32_e32 v15, 29, v15
	v_cmp_eq_u32_e32 vcc, 0, v12
	v_lshlrev_b64 v[34:35], v21, v[8:9]
	v_and_b32_e32 v21, 7, v34
	v_cndmask_b32_e32 v12, v12, v15, vcc
	v_lshlrev_b32_e32 v8, 8, v8
	v_lshl_add_u32 v12, v12, 10, v31
	v_cndmask_b32_e32 v7, v7, v21, vcc
	v_and_or_b32 v8, v8, s42, v12
	v_lshl_or_b32 v7, v7, 7, v8
	v_cvt_f32_f16_e32 v30, v7
.LBB311_494:                            ;   in Loop: Header=BB311_10 Depth=1
	s_or_b64 exec, exec, s[36:37]
	v_add_co_u32_e32 v34, vcc, 0x1000, v36
                                        ; implicit-def: $sgpr38
	s_nop 1
	v_addc_co_u32_e32 v35, vcc, 0, v37, vcc
	flat_load_dword v12, v[34:35] offset:1536
	s_mov_b64 vcc, 0
	s_waitcnt vmcnt(0) lgkmcnt(0)
	v_cmp_gt_i16_sdwa s[34:35], v12, s17 src0_sel:BYTE_0 src1_sel:DWORD
	s_and_saveexec_b64 s[36:37], s[34:35]
	s_xor_b64 s[34:35], exec, s[36:37]
	s_cbranch_execnz .LBB311_752
; %bb.495:                              ;   in Loop: Header=BB311_10 Depth=1
	s_or_saveexec_b64 s[34:35], s[34:35]
	v_mov_b32_e32 v34, s38
	s_xor_b64 exec, exec, s[34:35]
	s_cbranch_execnz .LBB311_755
.LBB311_496:                            ;   in Loop: Header=BB311_10 Depth=1
	s_or_b64 exec, exec, s[34:35]
	s_and_saveexec_b64 s[34:35], vcc
	s_cbranch_execz .LBB311_498
.LBB311_497:                            ;   in Loop: Header=BB311_10 Depth=1
	v_and_b32_e32 v7, 7, v12
	v_ffbh_u32_e32 v15, v7
	v_bfe_u32 v8, v12, 3, 4
	v_min_u32_e32 v15, 32, v15
	v_subrev_u32_e32 v21, 28, v15
	v_sub_u32_e32 v15, 29, v15
	v_cmp_eq_u32_e32 vcc, 0, v8
	v_lshlrev_b64 v[34:35], v21, v[12:13]
	v_and_b32_e32 v21, 7, v34
	v_cndmask_b32_e32 v8, v8, v15, vcc
	v_lshlrev_b32_e32 v15, 8, v12
	v_lshl_add_u32 v8, v8, 10, v31
	v_cndmask_b32_e32 v7, v7, v21, vcc
	v_and_or_b32 v8, v15, s42, v8
	v_lshl_or_b32 v7, v7, 7, v8
	v_cvt_f32_f16_e32 v34, v7
.LBB311_498:                            ;   in Loop: Header=BB311_10 Depth=1
	s_or_b64 exec, exec, s[34:35]
	v_lshrrev_b16_e32 v8, 8, v12
	v_lshl_add_u64 v[36:37], v[36:37], 0, s[30:31]
	v_cmp_lt_i16_e32 vcc, s17, v8
	s_mov_b64 s[34:35], 0
                                        ; implicit-def: $sgpr43
	s_and_saveexec_b64 s[36:37], vcc
	s_xor_b64 s[36:37], exec, s[36:37]
	s_cbranch_execnz .LBB311_756
; %bb.499:                              ;   in Loop: Header=BB311_10 Depth=1
	s_or_saveexec_b64 s[36:37], s[36:37]
	v_mov_b32_e32 v38, s43
	s_xor_b64 exec, exec, s[36:37]
	s_cbranch_execnz .LBB311_759
.LBB311_500:                            ;   in Loop: Header=BB311_10 Depth=1
	s_or_b64 exec, exec, s[36:37]
	s_and_saveexec_b64 s[36:37], s[34:35]
	s_cbranch_execz .LBB311_502
.LBB311_501:                            ;   in Loop: Header=BB311_10 Depth=1
	v_and_b32_e32 v7, 7, v8
	v_ffbh_u32_e32 v21, v7
	v_bfe_u32 v15, v8, 3, 4
	v_min_u32_e32 v21, 32, v21
	v_subrev_u32_e32 v27, 28, v21
	v_sub_u32_e32 v21, 29, v21
	v_cmp_eq_u32_e32 vcc, 0, v15
	v_lshlrev_b64 v[38:39], v27, v[8:9]
	v_and_b32_e32 v27, 7, v38
	v_cndmask_b32_e32 v15, v15, v21, vcc
	v_lshlrev_b32_e32 v8, 8, v8
	v_lshl_add_u32 v15, v15, 10, v31
	v_cndmask_b32_e32 v7, v7, v27, vcc
	v_and_or_b32 v8, v8, s42, v15
	v_lshl_or_b32 v7, v7, 7, v8
	v_cvt_f32_f16_e32 v38, v7
.LBB311_502:                            ;   in Loop: Header=BB311_10 Depth=1
	s_or_b64 exec, exec, s[36:37]
	v_lshrrev_b32_e32 v8, 16, v12
	v_cmp_gt_i16_sdwa s[34:35], v8, s17 src0_sel:BYTE_0 src1_sel:DWORD
	s_mov_b64 vcc, 0
                                        ; implicit-def: $sgpr38
	s_and_saveexec_b64 s[36:37], s[34:35]
	s_xor_b64 s[34:35], exec, s[36:37]
	s_cbranch_execnz .LBB311_760
; %bb.503:                              ;   in Loop: Header=BB311_10 Depth=1
	s_or_saveexec_b64 s[34:35], s[34:35]
	v_mov_b32_e32 v7, s38
	s_xor_b64 exec, exec, s[34:35]
	s_cbranch_execnz .LBB311_763
.LBB311_504:                            ;   in Loop: Header=BB311_10 Depth=1
	s_or_b64 exec, exec, s[34:35]
	s_and_saveexec_b64 s[34:35], vcc
	s_cbranch_execz .LBB311_506
.LBB311_505:                            ;   in Loop: Header=BB311_10 Depth=1
	v_bfe_u32 v7, v12, 16, 3
	v_ffbh_u32_e32 v21, v7
	v_bfe_u32 v15, v12, 19, 4
	v_min_u32_e32 v21, 32, v21
	v_subrev_u32_e32 v27, 28, v21
	v_sub_u32_e32 v21, 29, v21
	v_cmp_eq_u32_e32 vcc, 0, v15
	v_mov_b32_e32 v35, v57
	v_lshlrev_b64 v[56:57], v27, v[8:9]
	v_cndmask_b32_e32 v15, v15, v21, vcc
	v_and_b32_e32 v27, 7, v56
	v_lshlrev_b32_e32 v8, 8, v8
	v_lshl_add_u32 v15, v15, 10, v31
	v_cndmask_b32_e32 v7, v7, v27, vcc
	v_and_or_b32 v8, v8, s42, v15
	v_lshl_or_b32 v7, v7, 7, v8
	v_cvt_f32_f16_e32 v7, v7
	v_mov_b32_e32 v57, v35
.LBB311_506:                            ;   in Loop: Header=BB311_10 Depth=1
	s_or_b64 exec, exec, s[34:35]
	v_lshrrev_b32_e32 v8, 24, v12
	v_cmp_lt_i16_e32 vcc, s17, v8
	s_mov_b64 s[34:35], 0
                                        ; implicit-def: $sgpr43
	s_and_saveexec_b64 s[36:37], vcc
	s_xor_b64 s[36:37], exec, s[36:37]
	s_cbranch_execnz .LBB311_764
; %bb.507:                              ;   in Loop: Header=BB311_10 Depth=1
	s_or_saveexec_b64 s[36:37], s[36:37]
	v_mov_b32_e32 v39, s43
	s_xor_b64 exec, exec, s[36:37]
	s_cbranch_execnz .LBB311_767
.LBB311_508:                            ;   in Loop: Header=BB311_10 Depth=1
	s_or_b64 exec, exec, s[36:37]
	s_and_saveexec_b64 s[36:37], s[34:35]
	s_cbranch_execz .LBB311_510
.LBB311_509:                            ;   in Loop: Header=BB311_10 Depth=1
	v_bfe_u32 v15, v12, 24, 3
	v_ffbh_u32_e32 v21, v15
	v_bfe_u32 v12, v12, 27, 4
	v_min_u32_e32 v21, 32, v21
	v_subrev_u32_e32 v27, 28, v21
	v_sub_u32_e32 v21, 29, v21
	v_cmp_eq_u32_e32 vcc, 0, v12
	v_mov_b32_e32 v35, v57
	v_lshlrev_b64 v[56:57], v27, v[8:9]
	v_cndmask_b32_e32 v12, v12, v21, vcc
	v_and_b32_e32 v27, 7, v56
	v_lshlrev_b32_e32 v8, 8, v8
	v_lshl_add_u32 v12, v12, 10, v31
	v_cndmask_b32_e32 v15, v15, v27, vcc
	v_and_or_b32 v8, v8, s42, v12
	v_lshl_or_b32 v8, v15, 7, v8
	v_cvt_f32_f16_e32 v39, v8
	v_mov_b32_e32 v57, v35
.LBB311_510:                            ;   in Loop: Header=BB311_10 Depth=1
	s_or_b64 exec, exec, s[36:37]
	flat_load_dword v12, v[36:37] offset:8
	s_mov_b64 vcc, 0
                                        ; implicit-def: $sgpr38
	s_waitcnt vmcnt(0) lgkmcnt(0)
	v_cmp_gt_i16_sdwa s[34:35], v12, s17 src0_sel:BYTE_0 src1_sel:DWORD
	s_and_saveexec_b64 s[36:37], s[34:35]
	s_xor_b64 s[34:35], exec, s[36:37]
	s_cbranch_execnz .LBB311_768
; %bb.511:                              ;   in Loop: Header=BB311_10 Depth=1
	s_or_saveexec_b64 s[34:35], s[34:35]
	v_mov_b32_e32 v21, s38
	s_xor_b64 exec, exec, s[34:35]
	s_cbranch_execnz .LBB311_771
.LBB311_512:                            ;   in Loop: Header=BB311_10 Depth=1
	s_or_b64 exec, exec, s[34:35]
	s_and_saveexec_b64 s[34:35], vcc
	s_cbranch_execz .LBB311_514
.LBB311_513:                            ;   in Loop: Header=BB311_10 Depth=1
	v_and_b32_e32 v8, 7, v12
	v_ffbh_u32_e32 v21, v8
	v_bfe_u32 v15, v12, 3, 4
	v_min_u32_e32 v21, 32, v21
	v_subrev_u32_e32 v27, 28, v21
	v_sub_u32_e32 v21, 29, v21
	v_cmp_eq_u32_e32 vcc, 0, v15
	v_lshlrev_b64 v[36:37], v27, v[12:13]
	v_and_b32_e32 v27, 7, v36
	v_cndmask_b32_e32 v15, v15, v21, vcc
	v_lshlrev_b32_e32 v21, 8, v12
	v_lshl_add_u32 v15, v15, 10, v31
	v_cndmask_b32_e32 v8, v8, v27, vcc
	v_and_or_b32 v15, v21, s42, v15
	v_lshl_or_b32 v8, v8, 7, v15
	v_cvt_f32_f16_e32 v21, v8
.LBB311_514:                            ;   in Loop: Header=BB311_10 Depth=1
	s_or_b64 exec, exec, s[34:35]
	v_lshrrev_b16_e32 v8, 8, v12
	v_cmp_lt_i16_e32 vcc, s17, v8
	s_mov_b64 s[34:35], 0
                                        ; implicit-def: $sgpr43
	s_and_saveexec_b64 s[36:37], vcc
	s_xor_b64 s[36:37], exec, s[36:37]
	s_cbranch_execnz .LBB311_772
; %bb.515:                              ;   in Loop: Header=BB311_10 Depth=1
	s_or_saveexec_b64 s[36:37], s[36:37]
	v_mov_b32_e32 v15, s43
	s_xor_b64 exec, exec, s[36:37]
	s_cbranch_execnz .LBB311_775
.LBB311_516:                            ;   in Loop: Header=BB311_10 Depth=1
	s_or_b64 exec, exec, s[36:37]
	s_and_saveexec_b64 s[36:37], s[34:35]
	s_cbranch_execz .LBB311_518
.LBB311_517:                            ;   in Loop: Header=BB311_10 Depth=1
	v_and_b32_e32 v15, 7, v8
	v_ffbh_u32_e32 v35, v15
	v_bfe_u32 v27, v8, 3, 4
	v_min_u32_e32 v35, 32, v35
	v_subrev_u32_e32 v36, 28, v35
	v_sub_u32_e32 v35, 29, v35
	v_cmp_eq_u32_e32 vcc, 0, v27
	v_lshlrev_b64 v[36:37], v36, v[8:9]
	v_and_b32_e32 v36, 7, v36
	v_cndmask_b32_e32 v27, v27, v35, vcc
	v_lshlrev_b32_e32 v8, 8, v8
	v_lshl_add_u32 v27, v27, 10, v31
	v_cndmask_b32_e32 v15, v15, v36, vcc
	v_and_or_b32 v8, v8, s42, v27
	v_lshl_or_b32 v8, v15, 7, v8
	v_cvt_f32_f16_e32 v15, v8
.LBB311_518:                            ;   in Loop: Header=BB311_10 Depth=1
	s_or_b64 exec, exec, s[36:37]
	v_lshrrev_b32_e32 v8, 16, v12
	v_cmp_gt_i16_sdwa s[34:35], v8, s17 src0_sel:BYTE_0 src1_sel:DWORD
	s_mov_b64 vcc, 0
                                        ; implicit-def: $sgpr38
	s_and_saveexec_b64 s[36:37], s[34:35]
	s_xor_b64 s[34:35], exec, s[36:37]
	s_cbranch_execnz .LBB311_776
; %bb.519:                              ;   in Loop: Header=BB311_10 Depth=1
	s_or_saveexec_b64 s[34:35], s[34:35]
	v_mov_b32_e32 v27, s38
	s_xor_b64 exec, exec, s[34:35]
	s_cbranch_execnz .LBB311_779
.LBB311_520:                            ;   in Loop: Header=BB311_10 Depth=1
	s_or_b64 exec, exec, s[34:35]
	s_and_saveexec_b64 s[34:35], vcc
	s_cbranch_execz .LBB311_522
.LBB311_521:                            ;   in Loop: Header=BB311_10 Depth=1
	v_bfe_u32 v27, v12, 16, 3
	v_ffbh_u32_e32 v36, v27
	v_min_u32_e32 v56, 32, v36
	v_subrev_u32_e32 v36, 28, v56
	v_bfe_u32 v35, v12, 19, 4
	v_lshlrev_b64 v[36:37], v36, v[8:9]
	v_sub_u32_e32 v37, 29, v56
	v_cmp_eq_u32_e32 vcc, 0, v35
	v_and_b32_e32 v36, 7, v36
	v_lshlrev_b32_e32 v8, 8, v8
	v_cndmask_b32_e32 v35, v35, v37, vcc
	v_lshl_add_u32 v35, v35, 10, v31
	v_cndmask_b32_e32 v27, v27, v36, vcc
	v_and_or_b32 v8, v8, s42, v35
	v_lshl_or_b32 v8, v27, 7, v8
	v_cvt_f32_f16_e32 v27, v8
.LBB311_522:                            ;   in Loop: Header=BB311_10 Depth=1
	s_or_b64 exec, exec, s[34:35]
	v_lshrrev_b32_e32 v8, 24, v12
	v_cmp_lt_i16_e32 vcc, s17, v8
	s_mov_b64 s[34:35], 0
                                        ; implicit-def: $sgpr43
	s_and_saveexec_b64 s[36:37], vcc
	s_xor_b64 s[36:37], exec, s[36:37]
	s_cbranch_execz .LBB311_526
; %bb.523:                              ;   in Loop: Header=BB311_10 Depth=1
	v_cmp_eq_u16_e32 vcc, s41, v8
	s_mov_b64 s[34:35], -1
                                        ; implicit-def: $sgpr43
	s_and_saveexec_b64 s[38:39], vcc
; %bb.524:                              ;   in Loop: Header=BB311_10 Depth=1
	s_mov_b32 s43, 0x7fc02000
	s_xor_b64 s[34:35], exec, -1
; %bb.525:                              ;   in Loop: Header=BB311_10 Depth=1
	s_or_b64 exec, exec, s[38:39]
	s_and_b64 s[34:35], s[34:35], exec
.LBB311_526:                            ;   in Loop: Header=BB311_10 Depth=1
	s_or_saveexec_b64 s[36:37], s[36:37]
	v_mov_b32_e32 v35, s43
	s_xor_b64 exec, exec, s[36:37]
; %bb.527:                              ;   in Loop: Header=BB311_10 Depth=1
	v_cmp_ne_u16_e32 vcc, 0, v8
	s_andn2_b64 s[34:35], s[34:35], exec
	s_and_b64 vcc, vcc, exec
	v_mov_b32_e32 v35, 0
	s_or_b64 s[34:35], s[34:35], vcc
; %bb.528:                              ;   in Loop: Header=BB311_10 Depth=1
	s_or_b64 exec, exec, s[36:37]
	scratch_load_dword v36, off, s32 offset:204 ; 4-byte Folded Reload
	s_waitcnt vmcnt(0)
	v_accvgpr_write_b32 a42, v36
	scratch_load_dword v36, off, s32 offset:200 ; 4-byte Folded Reload
	s_waitcnt vmcnt(0)
	v_accvgpr_write_b32 a41, v36
	s_and_saveexec_b64 s[36:37], s[34:35]
	s_cbranch_execz .LBB311_530
; %bb.529:                              ;   in Loop: Header=BB311_10 Depth=1
	v_bfe_u32 v35, v12, 24, 3
	v_ffbh_u32_e32 v36, v35
	v_min_u32_e32 v56, 32, v36
	v_subrev_u32_e32 v36, 28, v56
	v_bfe_u32 v12, v12, 27, 4
	v_lshlrev_b64 v[36:37], v36, v[8:9]
	v_sub_u32_e32 v37, 29, v56
	v_cmp_eq_u32_e32 vcc, 0, v12
	v_and_b32_e32 v36, 7, v36
	v_lshlrev_b32_e32 v8, 8, v8
	v_cndmask_b32_e32 v12, v12, v37, vcc
	v_lshl_add_u32 v12, v12, 10, v31
	v_cndmask_b32_e32 v35, v35, v36, vcc
	v_and_or_b32 v8, v8, s42, v12
	v_lshl_or_b32 v8, v35, 7, v8
	v_cvt_f32_f16_e32 v35, v8
.LBB311_530:                            ;   in Loop: Header=BB311_10 Depth=1
	s_or_b64 exec, exec, s[36:37]
	v_fma_mixlo_f16 v0, v4, v0, 0
	v_accvgpr_write_b32 a24, v0
	v_fma_mixlo_f16 v0, v4, v1, 0
	v_accvgpr_write_b32 a25, v0
	v_fma_mixlo_f16 v0, v4, v3, 0
	v_accvgpr_write_b32 a21, v0
	v_fma_mixlo_f16 v0, v4, v2, 0
	v_accvgpr_write_b32 a23, v0
	v_fma_mixlo_f16 v0, v4, v11, 0
	v_accvgpr_write_b32 a16, v0
	v_fma_mixlo_f16 v0, v4, v33, 0
	v_accvgpr_write_b32 a17, v0
	v_fma_mixlo_f16 v0, v4, v32, 0
	v_accvgpr_write_b32 a1, v0
	v_fma_mixlo_f16 v0, v4, v47, 0
	v_accvgpr_write_b32 a0, v0
	v_fma_mixlo_f16 v0, v4, v10, 0
	v_accvgpr_write_b32 a7, v0
	v_fma_mixlo_f16 v0, v4, v28, 0
	v_accvgpr_write_b32 a14, v0
	v_fma_mixlo_f16 v0, v4, v20, 0
	v_accvgpr_write_b32 a19, v0
	v_fma_mixlo_f16 v0, v4, v18, 0
	v_accvgpr_write_b32 a18, v0
	v_fma_mixlo_f16 v0, v4, v48, 0
	v_accvgpr_write_b32 a12, v0
	v_fma_mixlo_f16 v0, v4, v29, 0
	v_accvgpr_write_b32 a13, v0
	v_fma_mixlo_f16 v0, v4, v17, 0
	v_accvgpr_write_b32 a20, v0
	v_fma_mixlo_f16 v0, v4, v19, 0
	v_accvgpr_write_b32 a15, v0
	v_fma_mixlo_f16 v0, v4, v23, 0
	v_accvgpr_write_b32 a3, v0
	v_fma_mixlo_f16 v0, v4, v6, 0
	v_accvgpr_write_b32 a28, v0
	v_fma_mixlo_f16 v0, v4, v51, 0
	v_accvgpr_write_b32 a34, v0
	v_fma_mixlo_f16 v0, v4, v52, 0
	v_accvgpr_write_b32 a35, v0
	v_fma_mixlo_f16 v0, v4, v50, 0
	v_accvgpr_write_b32 a32, v0
	v_fma_mixlo_f16 v0, v4, v40, 0
	v_accvgpr_write_b32 a31, v0
	v_fma_mixlo_f16 v0, v4, v41, 0
	v_accvgpr_write_b32 a30, v0
	v_fma_mixlo_f16 v0, v4, v59, 0
	v_accvgpr_write_b32 a33, v0
	scratch_load_dword v0, off, s32 offset:316 ; 4-byte Folded Reload
	v_fma_mixlo_f16 v7, v4, v7, 0
	v_accvgpr_write_b32 a52, v7
	v_fma_mixlo_f16 v7, v4, v39, 0
	v_accvgpr_write_b32 a51, v7
	;; [unrolled: 2-line block ×7, first 2 shown]
	v_fma_mixlo_f16 v7, v4, v13, 0
	v_fma_mixlo_f16 v8, v4, v38, 0
	v_accvgpr_write_b32 a53, v8
	v_fma_mixlo_f16 v8, v4, v34, 0
	v_fma_mixlo_f16 v5, v4, v5, 0
	v_accvgpr_write_b32 a63, v5
	v_accvgpr_write_b32 a54, v8
	v_fma_mixlo_f16 v25, v4, v55, 0
	v_fma_mixlo_f16 v39, v4, v49, 0
	;; [unrolled: 1-line block ×3, first 2 shown]
	v_accvgpr_write_b32 a62, v7
	v_fma_mixlo_f16 v7, v4, v24, 0
	v_accvgpr_write_b32 a60, v7
	v_fma_mixlo_f16 v7, v4, v26, 0
	;; [unrolled: 2-line block ×6, first 2 shown]
	v_fma_mixlo_f16 v36, v4, v61, 0
	v_fma_mixlo_f16 v37, v4, v58, 0
	;; [unrolled: 1-line block ×7, first 2 shown]
	scratch_load_dword v6, off, s32 offset:328 ; 4-byte Folded Reload
	s_waitcnt vmcnt(1)
	v_fma_mixlo_f16 v40, v4, v0, 0
	scratch_load_dword v0, off, s32 offset:312 ; 4-byte Folded Reload
	s_waitcnt vmcnt(0)
	v_fma_mixlo_f16 v13, v4, v0, 0
	;; [unrolled: 3-line block ×7, first 2 shown]
	scratch_load_dword v0, off, s32 offset:280 ; 4-byte Folded Reload
	v_and_b32_e32 v3, 0xffff, v3
	s_waitcnt vmcnt(0)
	v_fma_mixlo_f16 v16, v4, v0, 0
	scratch_load_dword v0, off, s32 offset:288 ; 4-byte Folded Reload
	s_waitcnt vmcnt(0)
	v_fma_mixlo_f16 v5, v4, v0, 0
	scratch_load_dword v0, off, s32 offset:292 ; 4-byte Folded Reload
	;; [unrolled: 3-line block ×3, first 2 shown]
	s_waitcnt vmcnt(0)
	v_fma_mixlo_f16 v33, v4, v0, 0
	v_accvgpr_read_b32 v0, a50
	v_fma_mixlo_f16 v50, v4, v0, 0
	scratch_load_dword v0, off, s32 offset:272 ; 4-byte Folded Reload
	s_waitcnt vmcnt(0)
	v_fma_mixlo_f16 v32, v4, v0, 0
	scratch_load_dword v0, off, s32 offset:276 ; 4-byte Folded Reload
	s_waitcnt vmcnt(0)
	v_fma_mixlo_f16 v55, v4, v0, 0
	scratch_load_dword v0, off, s32 offset:256 ; 4-byte Folded Reload
	s_waitcnt vmcnt(0)
	v_fma_mixlo_f16 v11, v4, v0, 0
	v_accvgpr_read_b32 v0, a49
	v_fma_mixlo_f16 v49, v4, v0, 0
	scratch_load_dword v0, off, s32 offset:260 ; 4-byte Folded Reload
	s_waitcnt vmcnt(0)
	v_fma_mixlo_f16 v41, v4, v0, 0
	scratch_load_dword v0, off, s32 offset:264 ; 4-byte Folded Reload
	s_waitcnt vmcnt(0)
	v_fma_mixlo_f16 v54, v4, v0, 0
	scratch_load_dword v0, off, s32 offset:244 ; 4-byte Folded Reload
	;; [unrolled: 11-line block ×4, first 2 shown]
	s_waitcnt vmcnt(0)
	v_fma_mixlo_f16 v7, v4, v0, 0
	v_accvgpr_read_b32 v0, a46
	v_fma_mixlo_f16 v44, v4, v0, 0
	scratch_load_dword v0, off, s32 offset:224 ; 4-byte Folded Reload
	v_and_b32_e32 v7, 0xffff, v7
	s_waitcnt vmcnt(0)
	v_fma_mixlo_f16 v23, v4, v0, 0
	scratch_load_dword v0, off, s32 offset:228 ; 4-byte Folded Reload
	s_waitcnt vmcnt(0)
	v_fma_mixlo_f16 v29, v4, v0, 0
	v_accvgpr_read_b32 v0, a44
	v_fma_mixlo_f16 v61, v4, v0, 0
	scratch_load_dword v0, off, s32 offset:212 ; 4-byte Folded Reload
	s_waitcnt vmcnt(0)
	v_fma_mixlo_f16 v57, v4, v0, 0
	scratch_load_dword v0, off, s32 offset:216 ; 4-byte Folded Reload
	s_waitcnt vmcnt(0)
	;; [unrolled: 3-line block ×3, first 2 shown]
	v_fma_mixlo_f16 v19, v4, v0, 0
	v_accvgpr_read_b32 v0, a45
	v_fma_mixlo_f16 v46, v4, v0, 0
	scratch_load_dword v0, off, s32 offset:208 ; 4-byte Folded Reload
	v_and_b32_e32 v19, 0xffff, v19
	s_waitcnt vmcnt(0)
	v_fma_mixlo_f16 v62, v4, v0, 0
	scratch_load_dword v0, off, s32 offset:192 ; 4-byte Folded Reload
	s_waitcnt vmcnt(0)
	v_fma_mixlo_f16 v43, v4, v0, 0
	scratch_load_dword v0, off, s32 offset:188 ; 4-byte Folded Reload
	s_waitcnt vmcnt(0)
	v_fma_mixlo_f16 v60, v4, v0, 0
	v_accvgpr_read_b32 v0, a43
	v_fma_mixlo_f16 v56, v4, v0, 0
	v_accvgpr_read_b32 v0, a41
	;; [unrolled: 2-line block ×3, first 2 shown]
	v_fma_mixlo_f16 v47, v4, v0, 0
	v_fma_mixlo_f16 v0, v4, v15, 0
	v_accvgpr_write_b32 a43, v0
	v_fma_mixlo_f16 v0, v4, v21, 0
	v_accvgpr_write_b32 a44, v0
	;; [unrolled: 2-line block ×4, first 2 shown]
	ds_read_b64 v[0:1], v6
	s_waitcnt lgkmcnt(0)
	v_lshrrev_b32_e32 v4, 16, v0
	v_and_b32_e32 v0, 0xffff, v0
	;;#ASMSTART
	v_cvt_f32_f16 v15, v0;
	;;#ASMEND
	v_and_b32_e32 v0, 0xffff, v56
	;;#ASMSTART
	v_cvt_f32_f16 v21, v4;
	;;#ASMEND
	;;#ASMSTART
	v_cvt_f32_f16 v27, v0;
	;;#ASMEND
	v_and_b32_e32 v0, 0xffff, v60
	;;#ASMSTART
	v_cvt_f32_f16 v35, v0;
	;;#ASMEND
	v_lshrrev_b32_e32 v0, 16, v1
	v_and_b32_e32 v1, 0xffff, v1
	;;#ASMSTART
	v_cvt_f32_f16 v56, v1;
	;;#ASMEND
	;;#ASMSTART
	v_cvt_f32_f16 v60, v0;
	;;#ASMEND
	v_and_b32_e32 v0, 0xffff, v59
	;;#ASMSTART
	v_cvt_f32_f16 v59, v0;
	;;#ASMEND
	v_and_b32_e32 v0, 0xffff, v47
	;;#ASMSTART
	v_cvt_f32_f16 v47, v0;
	;;#ASMEND
	ds_read_b64 v[0:1], v6 offset:8
	s_waitcnt lgkmcnt(0)
	v_lshrrev_b32_e32 v4, 16, v0
	v_and_b32_e32 v0, 0xffff, v0
	;;#ASMSTART
	v_cvt_f32_f16 v0, v0;
	;;#ASMEND
	;;#ASMSTART
	v_cvt_f32_f16 v2, v4;
	;;#ASMEND
	v_and_b32_e32 v4, 0xffff, v46
	;;#ASMSTART
	v_cvt_f32_f16 v4, v4;
	;;#ASMEND
	;;#ASMSTART
	v_cvt_f32_f16 v19, v19;
	;;#ASMEND
	s_nop 0
	v_mul_f32_e32 v4, v0, v4
	v_lshrrev_b32_e32 v0, 16, v1
	v_and_b32_e32 v1, 0xffff, v1
	v_fmac_f32_e32 v4, v15, v27
	v_mul_f32_e32 v19, v2, v19
	;;#ASMSTART
	v_cvt_f32_f16 v1, v1;
	;;#ASMEND
	;;#ASMSTART
	v_cvt_f32_f16 v0, v0;
	;;#ASMEND
	v_and_b32_e32 v2, 0xffff, v62
	v_and_b32_e32 v15, 0xffff, v43
	v_fmac_f32_e32 v19, v21, v35
	;;#ASMSTART
	v_cvt_f32_f16 v2, v2;
	;;#ASMEND
	;;#ASMSTART
	v_cvt_f32_f16 v15, v15;
	;;#ASMEND
	v_and_b32_e32 v27, 0xffff, v58
	v_mul_f32_e32 v21, v1, v2
	v_mul_f32_e32 v43, v0, v15
	ds_read_b64 v[0:1], v6 offset:16
	v_and_b32_e32 v15, 0xffff, v61
	v_fmac_f32_e32 v21, v56, v59
	v_fmac_f32_e32 v43, v60, v47
	s_waitcnt lgkmcnt(0)
	v_lshrrev_b32_e32 v2, 16, v0
	v_and_b32_e32 v0, 0xffff, v0
	;;#ASMSTART
	v_cvt_f32_f16 v0, v0;
	;;#ASMEND
	;;#ASMSTART
	v_cvt_f32_f16 v2, v2;
	;;#ASMEND
	;; [unrolled: 3-line block ×4, first 2 shown]
	s_nop 0
	v_fmac_f32_e32 v4, v0, v15
	v_lshrrev_b32_e32 v0, 16, v1
	v_and_b32_e32 v1, 0xffff, v1
	v_fmac_f32_e32 v19, v2, v27
	;;#ASMSTART
	v_cvt_f32_f16 v1, v1;
	;;#ASMEND
	;;#ASMSTART
	v_cvt_f32_f16 v0, v0;
	;;#ASMEND
	v_and_b32_e32 v2, 0xffff, v57
	v_and_b32_e32 v15, 0xffff, v45
	;;#ASMSTART
	v_cvt_f32_f16 v2, v2;
	;;#ASMEND
	;;#ASMSTART
	v_cvt_f32_f16 v15, v15;
	;;#ASMEND
	s_nop 0
	v_fmac_f32_e32 v21, v1, v2
	v_fmac_f32_e32 v43, v0, v15
	ds_read_b64 v[0:1], v6 offset:24
	v_and_b32_e32 v15, 0xffff, v44
	s_waitcnt lgkmcnt(0)
	v_lshrrev_b32_e32 v2, 16, v0
	v_and_b32_e32 v0, 0xffff, v0
	;;#ASMSTART
	v_cvt_f32_f16 v0, v0;
	;;#ASMEND
	;;#ASMSTART
	v_cvt_f32_f16 v2, v2;
	;;#ASMEND
	;;#ASMSTART
	v_cvt_f32_f16 v15, v15;
	;;#ASMEND
	;;#ASMSTART
	v_cvt_f32_f16 v7, v7;
	;;#ASMEND
	s_nop 0
	v_fmac_f32_e32 v4, v0, v15
	v_lshrrev_b32_e32 v0, 16, v1
	v_and_b32_e32 v1, 0xffff, v1
	v_fmac_f32_e32 v19, v2, v7
	;;#ASMSTART
	v_cvt_f32_f16 v1, v1;
	;;#ASMEND
	;;#ASMSTART
	v_cvt_f32_f16 v0, v0;
	;;#ASMEND
	v_and_b32_e32 v2, 0xffff, v23
	v_and_b32_e32 v7, 0xffff, v29
	;;#ASMSTART
	v_cvt_f32_f16 v2, v2;
	;;#ASMEND
	;;#ASMSTART
	v_cvt_f32_f16 v7, v7;
	;;#ASMEND
	v_and_b32_e32 v15, 0xffff, v17
	v_fmac_f32_e32 v21, v1, v2
	v_fmac_f32_e32 v43, v0, v7
	ds_read_b64 v[0:1], v6 offset:32
	v_and_b32_e32 v7, 0xffff, v18
	s_waitcnt lgkmcnt(0)
	v_lshrrev_b32_e32 v2, 16, v0
	v_and_b32_e32 v0, 0xffff, v0
	;;#ASMSTART
	v_cvt_f32_f16 v0, v0;
	;;#ASMEND
	;;#ASMSTART
	v_cvt_f32_f16 v2, v2;
	;;#ASMEND
	;;#ASMSTART
	v_cvt_f32_f16 v7, v7;
	;;#ASMEND
	;;#ASMSTART
	v_cvt_f32_f16 v15, v15;
	;;#ASMEND
	s_nop 0
	v_fmac_f32_e32 v4, v0, v7
	v_lshrrev_b32_e32 v0, 16, v1
	v_and_b32_e32 v1, 0xffff, v1
	v_fmac_f32_e32 v19, v2, v15
	;;#ASMSTART
	v_cvt_f32_f16 v1, v1;
	;;#ASMEND
	;;#ASMSTART
	v_cvt_f32_f16 v0, v0;
	;;#ASMEND
	v_and_b32_e32 v2, 0xffff, v48
	v_and_b32_e32 v7, 0xffff, v42
	;;#ASMSTART
	v_cvt_f32_f16 v2, v2;
	;;#ASMEND
	;;#ASMSTART
	v_cvt_f32_f16 v7, v7;
	;;#ASMEND
	v_and_b32_e32 v15, 0xffff, v20
	v_fmac_f32_e32 v21, v1, v2
	v_fmac_f32_e32 v43, v0, v7
	ds_read_b64 v[0:1], v6 offset:40
	v_and_b32_e32 v7, 0xffff, v28
	s_waitcnt lgkmcnt(0)
	v_lshrrev_b32_e32 v2, 16, v0
	v_and_b32_e32 v0, 0xffff, v0
	;;#ASMSTART
	v_cvt_f32_f16 v0, v0;
	;;#ASMEND
	;;#ASMSTART
	v_cvt_f32_f16 v2, v2;
	;;#ASMEND
	;;#ASMSTART
	v_cvt_f32_f16 v7, v7;
	;;#ASMEND
	;;#ASMSTART
	v_cvt_f32_f16 v15, v15;
	;;#ASMEND
	s_nop 0
	v_fmac_f32_e32 v4, v0, v7
	v_lshrrev_b32_e32 v0, 16, v1
	v_and_b32_e32 v1, 0xffff, v1
	v_fmac_f32_e32 v19, v2, v15
	;;#ASMSTART
	v_cvt_f32_f16 v1, v1;
	;;#ASMEND
	;;#ASMSTART
	v_cvt_f32_f16 v0, v0;
	;;#ASMEND
	v_and_b32_e32 v2, 0xffff, v10
	v_and_b32_e32 v7, 0xffff, v52
	;;#ASMSTART
	v_cvt_f32_f16 v2, v2;
	;;#ASMEND
	;;#ASMSTART
	v_cvt_f32_f16 v7, v7;
	;;#ASMEND
	v_and_b32_e32 v10, 0xffff, v11
	v_fmac_f32_e32 v21, v1, v2
	v_fmac_f32_e32 v43, v0, v7
	ds_read_b64 v[0:1], v6 offset:48
	v_and_b32_e32 v7, 0xffff, v49
	s_waitcnt lgkmcnt(0)
	v_lshrrev_b32_e32 v2, 16, v0
	v_and_b32_e32 v0, 0xffff, v0
	;;#ASMSTART
	v_cvt_f32_f16 v0, v0;
	;;#ASMEND
	;;#ASMSTART
	v_cvt_f32_f16 v2, v2;
	;;#ASMEND
	;;#ASMSTART
	v_cvt_f32_f16 v7, v7;
	;;#ASMEND
	;;#ASMSTART
	v_cvt_f32_f16 v10, v10;
	;;#ASMEND
	s_nop 0
	v_fmac_f32_e32 v4, v0, v7
	v_lshrrev_b32_e32 v0, 16, v1
	v_and_b32_e32 v1, 0xffff, v1
	v_fmac_f32_e32 v19, v2, v10
	;;#ASMSTART
	v_cvt_f32_f16 v1, v1;
	;;#ASMEND
	;;#ASMSTART
	v_cvt_f32_f16 v0, v0;
	;;#ASMEND
	v_and_b32_e32 v2, 0xffff, v41
	v_and_b32_e32 v7, 0xffff, v54
	;;#ASMSTART
	v_cvt_f32_f16 v2, v2;
	;;#ASMEND
	;;#ASMSTART
	v_cvt_f32_f16 v7, v7;
	;;#ASMEND
	v_and_b32_e32 v10, 0xffff, v33
	v_fmac_f32_e32 v21, v1, v2
	v_fmac_f32_e32 v43, v0, v7
	ds_read_b64 v[0:1], v6 offset:56
	v_and_b32_e32 v7, 0xffff, v50
	s_waitcnt lgkmcnt(0)
	v_lshrrev_b32_e32 v2, 16, v0
	v_and_b32_e32 v0, 0xffff, v0
	;;#ASMSTART
	v_cvt_f32_f16 v0, v0;
	;;#ASMEND
	;;#ASMSTART
	v_cvt_f32_f16 v2, v2;
	;;#ASMEND
	;;#ASMSTART
	v_cvt_f32_f16 v7, v7;
	;;#ASMEND
	;;#ASMSTART
	v_cvt_f32_f16 v10, v10;
	;;#ASMEND
	s_nop 0
	v_fmac_f32_e32 v4, v0, v7
	v_lshrrev_b32_e32 v0, 16, v1
	v_and_b32_e32 v1, 0xffff, v1
	v_fmac_f32_e32 v19, v2, v10
	;;#ASMSTART
	v_cvt_f32_f16 v1, v1;
	;;#ASMEND
	;;#ASMSTART
	v_cvt_f32_f16 v0, v0;
	;;#ASMEND
	v_and_b32_e32 v2, 0xffff, v32
	v_and_b32_e32 v7, 0xffff, v55
	;;#ASMSTART
	v_cvt_f32_f16 v2, v2;
	;;#ASMEND
	;;#ASMSTART
	v_cvt_f32_f16 v7, v7;
	;;#ASMEND
	s_nop 0
	v_fmac_f32_e32 v21, v1, v2
	v_fmac_f32_e32 v43, v0, v7
	ds_read_b64 v[0:1], v6 offset:64
	v_and_b32_e32 v7, 0xffff, v16
	s_waitcnt lgkmcnt(0)
	v_lshrrev_b32_e32 v2, 16, v0
	v_and_b32_e32 v0, 0xffff, v0
	;;#ASMSTART
	v_cvt_f32_f16 v0, v0;
	;;#ASMEND
	;;#ASMSTART
	v_cvt_f32_f16 v2, v2;
	;;#ASMEND
	;; [unrolled: 3-line block ×4, first 2 shown]
	s_nop 0
	v_fmac_f32_e32 v4, v0, v7
	v_lshrrev_b32_e32 v0, 16, v1
	v_and_b32_e32 v1, 0xffff, v1
	v_fmac_f32_e32 v19, v2, v3
	;;#ASMSTART
	v_cvt_f32_f16 v1, v1;
	;;#ASMEND
	;;#ASMSTART
	v_cvt_f32_f16 v0, v0;
	;;#ASMEND
	v_and_b32_e32 v2, 0xffff, v5
	v_and_b32_e32 v3, 0xffff, v8
	;;#ASMSTART
	v_cvt_f32_f16 v2, v2;
	;;#ASMEND
	;;#ASMSTART
	v_cvt_f32_f16 v3, v3;
	;;#ASMEND
	v_and_b32_e32 v5, 0xffff, v30
	v_fmac_f32_e32 v21, v1, v2
	v_fmac_f32_e32 v43, v0, v3
	ds_read_b64 v[0:1], v6 offset:72
	v_and_b32_e32 v3, 0xffff, v12
	s_waitcnt lgkmcnt(0)
	v_lshrrev_b32_e32 v2, 16, v0
	v_and_b32_e32 v0, 0xffff, v0
	;;#ASMSTART
	v_cvt_f32_f16 v0, v0;
	;;#ASMEND
	;;#ASMSTART
	v_cvt_f32_f16 v2, v2;
	;;#ASMEND
	;; [unrolled: 3-line block ×4, first 2 shown]
	s_nop 0
	v_fmac_f32_e32 v4, v0, v3
	v_lshrrev_b32_e32 v0, 16, v1
	v_and_b32_e32 v1, 0xffff, v1
	v_fmac_f32_e32 v19, v2, v5
	;;#ASMSTART
	v_cvt_f32_f16 v1, v1;
	;;#ASMEND
	;;#ASMSTART
	v_cvt_f32_f16 v0, v0;
	;;#ASMEND
	v_and_b32_e32 v2, 0xffff, v34
	v_and_b32_e32 v3, 0xffff, v51
	;;#ASMSTART
	v_cvt_f32_f16 v2, v2;
	;;#ASMEND
	;;#ASMSTART
	v_cvt_f32_f16 v3, v3;
	;;#ASMEND
	v_and_b32_e32 v5, 0xffff, v40
	v_fmac_f32_e32 v21, v1, v2
	v_fmac_f32_e32 v43, v0, v3
	ds_read_b64 v[0:1], v6 offset:80
	v_and_b32_e32 v3, 0xffff, v13
	s_waitcnt lgkmcnt(0)
	v_lshrrev_b32_e32 v2, 16, v0
	v_and_b32_e32 v0, 0xffff, v0
	;;#ASMSTART
	v_cvt_f32_f16 v0, v0;
	;;#ASMEND
	;;#ASMSTART
	v_cvt_f32_f16 v2, v2;
	;;#ASMEND
	;; [unrolled: 3-line block ×4, first 2 shown]
	s_nop 0
	v_fmac_f32_e32 v4, v0, v3
	v_fmac_f32_e32 v19, v2, v5
	v_lshrrev_b32_e32 v0, 16, v1
	v_and_b32_e32 v1, 0xffff, v1
	v_and_b32_e32 v2, 0xffff, v37
	;; [unrolled: 1-line block ×3, first 2 shown]
	;;#ASMSTART
	v_cvt_f32_f16 v1, v1;
	;;#ASMEND
	;;#ASMSTART
	v_cvt_f32_f16 v0, v0;
	;;#ASMEND
	;; [unrolled: 3-line block ×4, first 2 shown]
	ds_read_b64 v[36:37], v6 offset:88
	v_fmac_f32_e32 v21, v1, v2
	v_fmac_f32_e32 v43, v0, v3
	v_and_b32_e32 v2, 0xffff, v53
	v_and_b32_e32 v3, 0xffff, v14
	s_waitcnt lgkmcnt(0)
	v_lshrrev_b32_e32 v0, 16, v36
	v_and_b32_e32 v1, 0xffff, v36
	;;#ASMSTART
	v_cvt_f32_f16 v1, v1;
	;;#ASMEND
	;;#ASMSTART
	v_cvt_f32_f16 v0, v0;
	;;#ASMEND
	;; [unrolled: 3-line block ×4, first 2 shown]
	v_and_b32_e32 v5, 0xffff, v25
	v_fmac_f32_e32 v4, v1, v2
	v_fmac_f32_e32 v19, v0, v3
	v_lshrrev_b32_e32 v0, 16, v37
	v_and_b32_e32 v1, 0xffff, v37
	v_accvgpr_read_b32 v2, a33
	;;#ASMSTART
	v_cvt_f32_f16 v1, v1;
	;;#ASMEND
	;;#ASMSTART
	v_cvt_f32_f16 v0, v0;
	;;#ASMEND
	v_and_b32_e32 v2, 0xffff, v2
	v_and_b32_e32 v3, 0xffff, v22
	;;#ASMSTART
	v_cvt_f32_f16 v2, v2;
	;;#ASMEND
	;;#ASMSTART
	v_cvt_f32_f16 v3, v3;
	;;#ASMEND
	s_nop 0
	v_fmac_f32_e32 v21, v1, v2
	v_fmac_f32_e32 v43, v0, v3
	ds_read_b64 v[0:1], v6 offset:96
	v_and_b32_e32 v3, 0xffff, v24
	s_waitcnt lgkmcnt(0)
	v_lshrrev_b32_e32 v2, 16, v0
	v_and_b32_e32 v0, 0xffff, v0
	;;#ASMSTART
	v_cvt_f32_f16 v0, v0;
	;;#ASMEND
	;;#ASMSTART
	v_cvt_f32_f16 v2, v2;
	;;#ASMEND
	;; [unrolled: 3-line block ×4, first 2 shown]
	s_nop 0
	v_fmac_f32_e32 v4, v0, v3
	v_fmac_f32_e32 v19, v2, v5
	v_lshrrev_b32_e32 v0, 16, v1
	v_and_b32_e32 v1, 0xffff, v1
	v_and_b32_e32 v2, 0xffff, v26
	;; [unrolled: 1-line block ×3, first 2 shown]
	;;#ASMSTART
	v_cvt_f32_f16 v1, v1;
	;;#ASMEND
	;;#ASMSTART
	v_cvt_f32_f16 v0, v0;
	;;#ASMEND
	;; [unrolled: 3-line block ×4, first 2 shown]
	ds_read_b64 v[36:37], v6 offset:104
	v_fmac_f32_e32 v43, v0, v3
	v_accvgpr_read_b32 v3, a32
	v_fmac_f32_e32 v21, v1, v2
	v_and_b32_e32 v2, 0xffff, v39
	s_waitcnt lgkmcnt(0)
	v_lshrrev_b32_e32 v0, 16, v36
	v_and_b32_e32 v1, 0xffff, v36
	v_and_b32_e32 v3, 0xffff, v3
	;;#ASMSTART
	v_cvt_f32_f16 v1, v1;
	;;#ASMEND
	;;#ASMSTART
	v_cvt_f32_f16 v0, v0;
	;;#ASMEND
	;; [unrolled: 3-line block ×4, first 2 shown]
	v_accvgpr_read_b32 v5, a3
	v_fmac_f32_e32 v4, v1, v2
	v_fmac_f32_e32 v19, v0, v3
	v_lshrrev_b32_e32 v0, 16, v37
	v_and_b32_e32 v1, 0xffff, v37
	v_accvgpr_read_b32 v2, a31
	v_accvgpr_read_b32 v3, a30
	;;#ASMSTART
	v_cvt_f32_f16 v1, v1;
	;;#ASMEND
	;;#ASMSTART
	v_cvt_f32_f16 v0, v0;
	;;#ASMEND
	v_and_b32_e32 v2, 0xffff, v2
	v_and_b32_e32 v3, 0xffff, v3
	;;#ASMSTART
	v_cvt_f32_f16 v2, v2;
	;;#ASMEND
	;;#ASMSTART
	v_cvt_f32_f16 v3, v3;
	;;#ASMEND
	v_and_b32_e32 v5, 0xffff, v5
	v_fmac_f32_e32 v21, v1, v2
	v_fmac_f32_e32 v43, v0, v3
	ds_read_b64 v[0:1], v6 offset:112
	v_accvgpr_read_b32 v3, a28
	v_and_b32_e32 v3, 0xffff, v3
	s_waitcnt lgkmcnt(0)
	v_lshrrev_b32_e32 v2, 16, v0
	v_and_b32_e32 v0, 0xffff, v0
	;;#ASMSTART
	v_cvt_f32_f16 v0, v0;
	;;#ASMEND
	;;#ASMSTART
	v_cvt_f32_f16 v2, v2;
	;;#ASMEND
	;;#ASMSTART
	v_cvt_f32_f16 v3, v3;
	;;#ASMEND
	;;#ASMSTART
	v_cvt_f32_f16 v5, v5;
	;;#ASMEND
	s_nop 0
	v_fmac_f32_e32 v4, v0, v3
	v_fmac_f32_e32 v19, v2, v5
	v_lshrrev_b32_e32 v0, 16, v1
	v_and_b32_e32 v1, 0xffff, v1
	v_accvgpr_read_b32 v2, a34
	v_accvgpr_read_b32 v3, a35
	;;#ASMSTART
	v_cvt_f32_f16 v1, v1;
	;;#ASMEND
	;;#ASMSTART
	v_cvt_f32_f16 v0, v0;
	;;#ASMEND
	v_and_b32_e32 v2, 0xffff, v2
	v_and_b32_e32 v3, 0xffff, v3
	;;#ASMSTART
	v_cvt_f32_f16 v2, v2;
	;;#ASMEND
	;;#ASMSTART
	v_cvt_f32_f16 v3, v3;
	;;#ASMEND
	v_accvgpr_read_b32 v5, a12
	v_fmac_f32_e32 v21, v1, v2
	v_fmac_f32_e32 v43, v0, v3
	ds_read_b64 v[0:1], v6 offset:120
	v_accvgpr_read_b32 v3, a13
	v_and_b32_e32 v3, 0xffff, v3
	v_and_b32_e32 v5, 0xffff, v5
	s_waitcnt lgkmcnt(0)
	v_lshrrev_b32_e32 v2, 16, v0
	v_and_b32_e32 v0, 0xffff, v0
	;;#ASMSTART
	v_cvt_f32_f16 v0, v0;
	;;#ASMEND
	;;#ASMSTART
	v_cvt_f32_f16 v2, v2;
	;;#ASMEND
	;;#ASMSTART
	v_cvt_f32_f16 v3, v3;
	;;#ASMEND
	;;#ASMSTART
	v_cvt_f32_f16 v5, v5;
	;;#ASMEND
	s_nop 0
	v_fmac_f32_e32 v4, v0, v3
	v_fmac_f32_e32 v19, v2, v5
	v_lshrrev_b32_e32 v0, 16, v1
	v_and_b32_e32 v1, 0xffff, v1
	v_accvgpr_read_b32 v2, a20
	v_accvgpr_read_b32 v3, a15
	;;#ASMSTART
	v_cvt_f32_f16 v1, v1;
	;;#ASMEND
	;;#ASMSTART
	v_cvt_f32_f16 v0, v0;
	;;#ASMEND
	v_and_b32_e32 v2, 0xffff, v2
	v_and_b32_e32 v3, 0xffff, v3
	;;#ASMSTART
	v_cvt_f32_f16 v2, v2;
	;;#ASMEND
	;;#ASMSTART
	v_cvt_f32_f16 v3, v3;
	;;#ASMEND
	v_accvgpr_read_b32 v5, a7
	v_fmac_f32_e32 v21, v1, v2
	v_fmac_f32_e32 v43, v0, v3
	ds_read_b64 v[0:1], v6 offset:128
	v_accvgpr_read_b32 v3, a14
	v_and_b32_e32 v3, 0xffff, v3
	;; [unrolled: 43-line block ×9, first 2 shown]
	v_and_b32_e32 v5, 0xffff, v5
	s_waitcnt lgkmcnt(0)
	v_lshrrev_b32_e32 v2, 16, v0
	v_and_b32_e32 v0, 0xffff, v0
	;;#ASMSTART
	v_cvt_f32_f16 v0, v0;
	;;#ASMEND
	;;#ASMSTART
	v_cvt_f32_f16 v2, v2;
	;;#ASMEND
	;; [unrolled: 3-line block ×4, first 2 shown]
	s_nop 0
	v_fmac_f32_e32 v4, v0, v3
	v_fmac_f32_e32 v19, v2, v5
	v_lshrrev_b32_e32 v0, 16, v1
	v_and_b32_e32 v1, 0xffff, v1
	v_accvgpr_read_b32 v2, a42
	v_accvgpr_read_b32 v3, a41
	;;#ASMSTART
	v_cvt_f32_f16 v1, v1;
	;;#ASMEND
	;;#ASMSTART
	v_cvt_f32_f16 v0, v0;
	;;#ASMEND
	v_and_b32_e32 v2, 0xffff, v2
	v_and_b32_e32 v3, 0xffff, v3
	;;#ASMSTART
	v_cvt_f32_f16 v2, v2;
	;;#ASMEND
	;;#ASMSTART
	v_cvt_f32_f16 v3, v3;
	;;#ASMEND
	s_nop 0
	v_fmac_f32_e32 v21, v1, v2
	v_fmac_f32_e32 v43, v0, v3
	v_add_f32_e32 v0, v4, v19
	v_add_f32_e32 v0, v0, v21
	v_accvgpr_read_b32 v3, a29
	v_add_f32_e32 v1, v43, v0
	v_and_b32_e32 v0, 64, v3
	v_xor_b32_e32 v2, 1, v3
	v_add_u32_e32 v0, 64, v0
	v_cmp_lt_i32_e32 vcc, v2, v0
	s_nop 1
	v_cndmask_b32_e32 v2, v3, v2, vcc
	v_lshlrev_b32_e32 v2, 2, v2
	ds_bpermute_b32 v2, v2, v1
	s_mov_b64 s[34:35], exec
	s_and_b64 vcc, s[34:35], s[2:3]
	v_accvgpr_read_b32 v6, a40
	s_mov_b64 exec, vcc
	s_cbranch_execz .LBB311_9
; %bb.531:                              ;   in Loop: Header=BB311_10 Depth=1
	scratch_load_dword v3, off, s32 offset:356 ; 4-byte Folded Reload
	scratch_load_dword v4, off, s32 offset:352 ; 4-byte Folded Reload
	s_waitcnt lgkmcnt(0)
	v_add_f32_e32 v1, v1, v2
	scratch_load_dword v2, off, s32 offset:348 ; 4-byte Folded Reload
	v_accvgpr_read_b32 v5, a38
	s_load_dword vcc_lo, s[8:9], 0x0
	s_waitcnt vmcnt(2)
	v_add_u32_e32 v3, v3, v5
	v_cvt_f32_i32_e32 v3, v3
	s_waitcnt vmcnt(0)
	v_mul_f32_e32 v2, v2, v3
	v_cndmask_b32_e64 v2, 0, v2, s[4:5]
	v_accvgpr_read_b32 v3, a39
	v_fmac_f32_e32 v2, v1, v4
	v_accvgpr_read_b32 v4, a8
	s_waitcnt lgkmcnt(0)
	v_add_u32_e32 v3, vcc_lo, v3
	v_cmp_lt_i32_e32 vcc, v5, v4
	s_nop 1
	v_cndmask_b32_e32 v1, 0, v2, vcc
	ds_write_b32 v3, v1
	scratch_load_dword v3, off, s32 offset:324 ; 4-byte Folded Reload
	s_waitcnt vmcnt(0)
	v_max_f32_e32 v1, v3, v3
	v_max_f32_e32 v1, v1, v2
	v_cndmask_b32_e32 v3, v3, v1, vcc
	scratch_store_dword off, v3, s32 offset:324 ; 4-byte Folded Spill
	s_branch .LBB311_9
.LBB311_532:                            ;   in Loop: Header=BB311_10 Depth=1
	v_cmp_eq_u16_sdwa s[44:45], v12, s41 src0_sel:BYTE_0 src1_sel:DWORD
	s_mov_b64 vcc, -1
                                        ; implicit-def: $sgpr38
	s_and_saveexec_b64 s[36:37], s[44:45]
; %bb.533:                              ;   in Loop: Header=BB311_10 Depth=1
	s_mov_b32 s38, 0x7fc02000
	s_xor_b64 vcc, exec, -1
; %bb.534:                              ;   in Loop: Header=BB311_10 Depth=1
	s_or_b64 exec, exec, s[36:37]
	s_and_b64 vcc, vcc, exec
	s_or_saveexec_b64 s[34:35], s[34:35]
	v_mov_b32_e32 v0, s38
	s_xor_b64 exec, exec, s[34:35]
	s_cbranch_execz .LBB311_12
.LBB311_535:                            ;   in Loop: Header=BB311_10 Depth=1
	v_cmp_ne_u16_sdwa s[36:37], v12, v9 src0_sel:BYTE_0 src1_sel:DWORD
	s_andn2_b64 vcc, vcc, exec
	s_and_b64 s[36:37], s[36:37], exec
	v_mov_b32_e32 v0, 0
	s_or_b64 vcc, vcc, s[36:37]
	s_or_b64 exec, exec, s[34:35]
	s_and_saveexec_b64 s[34:35], vcc
	s_cbranch_execnz .LBB311_13
	s_branch .LBB311_14
.LBB311_536:                            ;   in Loop: Header=BB311_10 Depth=1
	v_cmp_eq_u16_sdwa s[44:45], v12, s41 src0_sel:BYTE_0 src1_sel:DWORD
	s_mov_b64 vcc, -1
                                        ; implicit-def: $sgpr38
	s_and_saveexec_b64 s[36:37], s[44:45]
; %bb.537:                              ;   in Loop: Header=BB311_10 Depth=1
	s_mov_b32 s38, 0x7fc02000
	s_xor_b64 vcc, exec, -1
; %bb.538:                              ;   in Loop: Header=BB311_10 Depth=1
	s_or_b64 exec, exec, s[36:37]
	s_and_b64 vcc, vcc, exec
	s_or_saveexec_b64 s[34:35], s[34:35]
	v_mov_b32_e32 v0, s38
	s_xor_b64 exec, exec, s[34:35]
	s_cbranch_execz .LBB311_40
.LBB311_539:                            ;   in Loop: Header=BB311_10 Depth=1
	v_cmp_ne_u16_sdwa s[36:37], v12, v9 src0_sel:BYTE_0 src1_sel:DWORD
	s_andn2_b64 vcc, vcc, exec
	s_and_b64 s[36:37], s[36:37], exec
	v_mov_b32_e32 v0, 0
	s_or_b64 vcc, vcc, s[36:37]
	s_or_b64 exec, exec, s[34:35]
	s_and_saveexec_b64 s[34:35], vcc
	s_cbranch_execnz .LBB311_41
	s_branch .LBB311_42
.LBB311_540:                            ;   in Loop: Header=BB311_10 Depth=1
	v_cmp_eq_u16_sdwa s[44:45], v12, s41 src0_sel:BYTE_0 src1_sel:DWORD
	s_mov_b64 vcc, -1
                                        ; implicit-def: $sgpr38
	s_and_saveexec_b64 s[36:37], s[44:45]
; %bb.541:                              ;   in Loop: Header=BB311_10 Depth=1
	s_mov_b32 s38, 0x7fc02000
	s_xor_b64 vcc, exec, -1
; %bb.542:                              ;   in Loop: Header=BB311_10 Depth=1
	s_or_b64 exec, exec, s[36:37]
	s_and_b64 vcc, vcc, exec
	s_or_saveexec_b64 s[34:35], s[34:35]
	v_mov_b32_e32 v0, s38
	s_xor_b64 exec, exec, s[34:35]
	s_cbranch_execz .LBB311_68
.LBB311_543:                            ;   in Loop: Header=BB311_10 Depth=1
	v_cmp_ne_u16_sdwa s[36:37], v12, v9 src0_sel:BYTE_0 src1_sel:DWORD
	s_andn2_b64 vcc, vcc, exec
	s_and_b64 s[36:37], s[36:37], exec
	v_mov_b32_e32 v0, 0
	s_or_b64 vcc, vcc, s[36:37]
	s_or_b64 exec, exec, s[34:35]
	s_and_saveexec_b64 s[34:35], vcc
	s_cbranch_execnz .LBB311_69
	s_branch .LBB311_70
.LBB311_544:                            ;   in Loop: Header=BB311_10 Depth=1
	v_cmp_eq_u16_e32 vcc, s41, v8
	s_mov_b64 s[34:35], -1
                                        ; implicit-def: $sgpr43
	s_and_saveexec_b64 s[38:39], vcc
; %bb.545:                              ;   in Loop: Header=BB311_10 Depth=1
	s_mov_b32 s43, 0x7fc02000
	s_xor_b64 s[34:35], exec, -1
; %bb.546:                              ;   in Loop: Header=BB311_10 Depth=1
	s_or_b64 exec, exec, s[38:39]
	s_and_b64 s[34:35], s[34:35], exec
	s_or_saveexec_b64 s[36:37], s[36:37]
	v_mov_b32_e32 v57, s43
	s_xor_b64 exec, exec, s[36:37]
	s_cbranch_execz .LBB311_72
.LBB311_547:                            ;   in Loop: Header=BB311_10 Depth=1
	v_cmp_ne_u16_e32 vcc, 0, v8
	s_andn2_b64 s[34:35], s[34:35], exec
	s_and_b64 vcc, vcc, exec
	v_mov_b32_e32 v57, 0
	s_or_b64 s[34:35], s[34:35], vcc
	s_or_b64 exec, exec, s[36:37]
	s_and_saveexec_b64 s[36:37], s[34:35]
	s_cbranch_execnz .LBB311_73
	s_branch .LBB311_74
.LBB311_548:                            ;   in Loop: Header=BB311_10 Depth=1
	v_cmp_eq_u16_sdwa s[44:45], v12, s41 src0_sel:BYTE_0 src1_sel:DWORD
	s_mov_b64 vcc, -1
                                        ; implicit-def: $sgpr38
	s_and_saveexec_b64 s[36:37], s[44:45]
; %bb.549:                              ;   in Loop: Header=BB311_10 Depth=1
	s_mov_b32 s38, 0x7fc02000
	s_xor_b64 vcc, exec, -1
; %bb.550:                              ;   in Loop: Header=BB311_10 Depth=1
	s_or_b64 exec, exec, s[36:37]
	s_and_b64 vcc, vcc, exec
	s_or_saveexec_b64 s[34:35], s[34:35]
	v_mov_b32_e32 v0, s38
	s_xor_b64 exec, exec, s[34:35]
	s_cbranch_execz .LBB311_92
.LBB311_551:                            ;   in Loop: Header=BB311_10 Depth=1
	v_cmp_ne_u16_sdwa s[36:37], v12, v9 src0_sel:BYTE_0 src1_sel:DWORD
	s_andn2_b64 vcc, vcc, exec
	s_and_b64 s[36:37], s[36:37], exec
	v_mov_b32_e32 v0, 0
	s_or_b64 vcc, vcc, s[36:37]
	s_or_b64 exec, exec, s[34:35]
	s_and_saveexec_b64 s[34:35], vcc
	s_cbranch_execnz .LBB311_93
	s_branch .LBB311_94
.LBB311_552:                            ;   in Loop: Header=BB311_10 Depth=1
	v_cmp_eq_u16_sdwa s[44:45], v12, s41 src0_sel:BYTE_0 src1_sel:DWORD
	s_mov_b64 vcc, -1
                                        ; implicit-def: $sgpr38
	s_and_saveexec_b64 s[36:37], s[44:45]
; %bb.553:                              ;   in Loop: Header=BB311_10 Depth=1
	s_mov_b32 s38, 0x7fc02000
	s_xor_b64 vcc, exec, -1
; %bb.554:                              ;   in Loop: Header=BB311_10 Depth=1
	s_or_b64 exec, exec, s[36:37]
	s_and_b64 vcc, vcc, exec
	s_or_saveexec_b64 s[34:35], s[34:35]
	v_mov_b32_e32 v0, s38
	s_xor_b64 exec, exec, s[34:35]
	s_cbranch_execz .LBB311_120
.LBB311_555:                            ;   in Loop: Header=BB311_10 Depth=1
	v_cmp_ne_u16_sdwa s[36:37], v12, v9 src0_sel:BYTE_0 src1_sel:DWORD
	s_andn2_b64 vcc, vcc, exec
	s_and_b64 s[36:37], s[36:37], exec
	v_mov_b32_e32 v0, 0
	s_or_b64 vcc, vcc, s[36:37]
	s_or_b64 exec, exec, s[34:35]
	s_and_saveexec_b64 s[34:35], vcc
	s_cbranch_execnz .LBB311_121
	s_branch .LBB311_122
.LBB311_556:                            ;   in Loop: Header=BB311_10 Depth=1
	v_cmp_eq_u16_sdwa s[44:45], v12, s41 src0_sel:BYTE_0 src1_sel:DWORD
	s_mov_b64 vcc, -1
                                        ; implicit-def: $sgpr38
	s_and_saveexec_b64 s[36:37], s[44:45]
; %bb.557:                              ;   in Loop: Header=BB311_10 Depth=1
	s_mov_b32 s38, 0x7fc02000
	s_xor_b64 vcc, exec, -1
; %bb.558:                              ;   in Loop: Header=BB311_10 Depth=1
	s_or_b64 exec, exec, s[36:37]
	s_and_b64 vcc, vcc, exec
	s_or_saveexec_b64 s[34:35], s[34:35]
	v_mov_b32_e32 v0, s38
	s_xor_b64 exec, exec, s[34:35]
	s_cbranch_execz .LBB311_148
.LBB311_559:                            ;   in Loop: Header=BB311_10 Depth=1
	v_cmp_ne_u16_sdwa s[36:37], v12, v9 src0_sel:BYTE_0 src1_sel:DWORD
	s_andn2_b64 vcc, vcc, exec
	s_and_b64 s[36:37], s[36:37], exec
	v_mov_b32_e32 v0, 0
	s_or_b64 vcc, vcc, s[36:37]
	s_or_b64 exec, exec, s[34:35]
	s_and_saveexec_b64 s[34:35], vcc
	s_cbranch_execnz .LBB311_149
	s_branch .LBB311_150
.LBB311_560:                            ;   in Loop: Header=BB311_10 Depth=1
	v_cmp_eq_u16_sdwa s[44:45], v12, s41 src0_sel:BYTE_0 src1_sel:DWORD
	s_mov_b64 vcc, -1
                                        ; implicit-def: $sgpr38
	s_and_saveexec_b64 s[36:37], s[44:45]
; %bb.561:                              ;   in Loop: Header=BB311_10 Depth=1
	s_mov_b32 s38, 0x7fc02000
	s_xor_b64 vcc, exec, -1
; %bb.562:                              ;   in Loop: Header=BB311_10 Depth=1
	s_or_b64 exec, exec, s[36:37]
	s_and_b64 vcc, vcc, exec
	s_or_saveexec_b64 s[34:35], s[34:35]
	v_mov_b32_e32 v0, s38
	s_xor_b64 exec, exec, s[34:35]
	s_cbranch_execz .LBB311_176
.LBB311_563:                            ;   in Loop: Header=BB311_10 Depth=1
	v_cmp_ne_u16_sdwa s[36:37], v12, v9 src0_sel:BYTE_0 src1_sel:DWORD
	s_andn2_b64 vcc, vcc, exec
	s_and_b64 s[36:37], s[36:37], exec
	v_mov_b32_e32 v0, 0
	s_or_b64 vcc, vcc, s[36:37]
	s_or_b64 exec, exec, s[34:35]
	s_and_saveexec_b64 s[34:35], vcc
	s_cbranch_execnz .LBB311_177
	s_branch .LBB311_178
.LBB311_564:                            ;   in Loop: Header=BB311_10 Depth=1
	v_cmp_eq_u16_sdwa s[44:45], v12, s41 src0_sel:BYTE_0 src1_sel:DWORD
	s_mov_b64 vcc, -1
                                        ; implicit-def: $sgpr38
	s_and_saveexec_b64 s[36:37], s[44:45]
; %bb.565:                              ;   in Loop: Header=BB311_10 Depth=1
	s_mov_b32 s38, 0x7fc02000
	s_xor_b64 vcc, exec, -1
; %bb.566:                              ;   in Loop: Header=BB311_10 Depth=1
	s_or_b64 exec, exec, s[36:37]
	s_and_b64 vcc, vcc, exec
	s_or_saveexec_b64 s[34:35], s[34:35]
	v_mov_b32_e32 v0, s38
	s_xor_b64 exec, exec, s[34:35]
	s_cbranch_execz .LBB311_204
.LBB311_567:                            ;   in Loop: Header=BB311_10 Depth=1
	v_cmp_ne_u16_sdwa s[36:37], v12, v9 src0_sel:BYTE_0 src1_sel:DWORD
	s_andn2_b64 vcc, vcc, exec
	s_and_b64 s[36:37], s[36:37], exec
	v_mov_b32_e32 v0, 0
	s_or_b64 vcc, vcc, s[36:37]
	s_or_b64 exec, exec, s[34:35]
	s_and_saveexec_b64 s[34:35], vcc
	s_cbranch_execnz .LBB311_205
	s_branch .LBB311_206
.LBB311_568:                            ;   in Loop: Header=BB311_10 Depth=1
	v_cmp_eq_u16_sdwa s[44:45], v8, s41 src0_sel:BYTE_0 src1_sel:DWORD
	s_mov_b64 vcc, -1
                                        ; implicit-def: $sgpr38
	s_and_saveexec_b64 s[36:37], s[44:45]
; %bb.569:                              ;   in Loop: Header=BB311_10 Depth=1
	s_mov_b32 s38, 0x7fc02000
	s_xor_b64 vcc, exec, -1
; %bb.570:                              ;   in Loop: Header=BB311_10 Depth=1
	s_or_b64 exec, exec, s[36:37]
	s_and_b64 vcc, vcc, exec
	s_or_saveexec_b64 s[34:35], s[34:35]
	v_mov_b32_e32 v58, s38
	s_xor_b64 exec, exec, s[34:35]
	s_cbranch_execz .LBB311_312
.LBB311_571:                            ;   in Loop: Header=BB311_10 Depth=1
	v_cmp_ne_u16_sdwa s[36:37], v8, v9 src0_sel:BYTE_0 src1_sel:DWORD
	s_andn2_b64 vcc, vcc, exec
	s_and_b64 s[36:37], s[36:37], exec
	v_mov_b32_e32 v58, 0
	s_or_b64 vcc, vcc, s[36:37]
	s_or_b64 exec, exec, s[34:35]
	s_and_saveexec_b64 s[34:35], vcc
	s_cbranch_execnz .LBB311_313
	s_branch .LBB311_314
.LBB311_572:                            ;   in Loop: Header=BB311_10 Depth=1
	v_cmp_eq_u16_e32 vcc, s41, v8
	s_mov_b64 s[34:35], -1
                                        ; implicit-def: $sgpr43
	s_and_saveexec_b64 s[38:39], vcc
; %bb.573:                              ;   in Loop: Header=BB311_10 Depth=1
	s_mov_b32 s43, 0x7fc02000
	s_xor_b64 s[34:35], exec, -1
; %bb.574:                              ;   in Loop: Header=BB311_10 Depth=1
	s_or_b64 exec, exec, s[38:39]
	s_and_b64 s[34:35], s[34:35], exec
	s_or_saveexec_b64 s[36:37], s[36:37]
	v_mov_b32_e32 v61, s43
	s_xor_b64 exec, exec, s[36:37]
	s_cbranch_execz .LBB311_316
.LBB311_575:                            ;   in Loop: Header=BB311_10 Depth=1
	v_cmp_ne_u16_e32 vcc, 0, v8
	s_andn2_b64 s[34:35], s[34:35], exec
	s_and_b64 vcc, vcc, exec
	v_mov_b32_e32 v61, 0
	s_or_b64 s[34:35], s[34:35], vcc
	s_or_b64 exec, exec, s[36:37]
	s_and_saveexec_b64 s[36:37], s[34:35]
	s_cbranch_execnz .LBB311_317
	s_branch .LBB311_318
.LBB311_576:                            ;   in Loop: Header=BB311_10 Depth=1
	v_cmp_eq_u16_sdwa s[44:45], v12, s41 src0_sel:BYTE_0 src1_sel:DWORD
	s_mov_b64 vcc, -1
                                        ; implicit-def: $sgpr38
	s_and_saveexec_b64 s[36:37], s[44:45]
; %bb.577:                              ;   in Loop: Header=BB311_10 Depth=1
	s_mov_b32 s38, 0x7fc02000
	s_xor_b64 vcc, exec, -1
; %bb.578:                              ;   in Loop: Header=BB311_10 Depth=1
	s_or_b64 exec, exec, s[36:37]
	s_and_b64 vcc, vcc, exec
	s_or_saveexec_b64 s[34:35], s[34:35]
	v_mov_b32_e32 v60, s38
	s_xor_b64 exec, exec, s[34:35]
	s_cbranch_execz .LBB311_320
.LBB311_579:                            ;   in Loop: Header=BB311_10 Depth=1
	v_cmp_ne_u16_sdwa s[36:37], v12, v9 src0_sel:BYTE_0 src1_sel:DWORD
	s_andn2_b64 vcc, vcc, exec
	s_and_b64 s[36:37], s[36:37], exec
	v_mov_b32_e32 v60, 0
	s_or_b64 vcc, vcc, s[36:37]
	s_or_b64 exec, exec, s[34:35]
	s_and_saveexec_b64 s[34:35], vcc
	s_cbranch_execnz .LBB311_321
	s_branch .LBB311_322
.LBB311_580:                            ;   in Loop: Header=BB311_10 Depth=1
	v_cmp_eq_u16_e32 vcc, s41, v8
	s_mov_b64 s[34:35], -1
                                        ; implicit-def: $sgpr43
	s_and_saveexec_b64 s[38:39], vcc
; %bb.581:                              ;   in Loop: Header=BB311_10 Depth=1
	s_mov_b32 s43, 0x7fc02000
	s_xor_b64 s[34:35], exec, -1
; %bb.582:                              ;   in Loop: Header=BB311_10 Depth=1
	s_or_b64 exec, exec, s[38:39]
	s_and_b64 s[34:35], s[34:35], exec
	s_or_saveexec_b64 s[36:37], s[36:37]
	v_mov_b32_e32 v62, s43
	s_xor_b64 exec, exec, s[36:37]
	s_cbranch_execz .LBB311_324
.LBB311_583:                            ;   in Loop: Header=BB311_10 Depth=1
	v_cmp_ne_u16_e32 vcc, 0, v8
	s_andn2_b64 s[34:35], s[34:35], exec
	s_and_b64 vcc, vcc, exec
	v_mov_b32_e32 v62, 0
	s_or_b64 s[34:35], s[34:35], vcc
	s_or_b64 exec, exec, s[36:37]
	s_and_saveexec_b64 s[36:37], s[34:35]
	s_cbranch_execnz .LBB311_325
	s_branch .LBB311_326
.LBB311_584:                            ;   in Loop: Header=BB311_10 Depth=1
	v_cmp_eq_u16_sdwa s[44:45], v8, s41 src0_sel:BYTE_0 src1_sel:DWORD
	s_mov_b64 vcc, -1
                                        ; implicit-def: $sgpr38
	s_and_saveexec_b64 s[36:37], s[44:45]
; %bb.585:                              ;   in Loop: Header=BB311_10 Depth=1
	s_mov_b32 s38, 0x7fc02000
	s_xor_b64 vcc, exec, -1
; %bb.586:                              ;   in Loop: Header=BB311_10 Depth=1
	s_or_b64 exec, exec, s[36:37]
	s_and_b64 vcc, vcc, exec
	s_or_saveexec_b64 s[34:35], s[34:35]
	v_mov_b32_e32 v59, s38
	s_xor_b64 exec, exec, s[34:35]
	s_cbranch_execz .LBB311_328
.LBB311_587:                            ;   in Loop: Header=BB311_10 Depth=1
	v_cmp_ne_u16_sdwa s[36:37], v8, v9 src0_sel:BYTE_0 src1_sel:DWORD
	s_andn2_b64 vcc, vcc, exec
	s_and_b64 s[36:37], s[36:37], exec
	v_mov_b32_e32 v59, 0
	s_or_b64 vcc, vcc, s[36:37]
	s_or_b64 exec, exec, s[34:35]
	s_and_saveexec_b64 s[34:35], vcc
	s_cbranch_execnz .LBB311_329
	s_branch .LBB311_330
.LBB311_588:                            ;   in Loop: Header=BB311_10 Depth=1
	v_cmp_eq_u16_e32 vcc, s41, v8
	s_mov_b64 s[34:35], -1
                                        ; implicit-def: $sgpr43
	s_and_saveexec_b64 s[38:39], vcc
; %bb.589:                              ;   in Loop: Header=BB311_10 Depth=1
	s_mov_b32 s43, 0x7fc02000
	s_xor_b64 s[34:35], exec, -1
; %bb.590:                              ;   in Loop: Header=BB311_10 Depth=1
	s_or_b64 exec, exec, s[38:39]
	s_and_b64 s[34:35], s[34:35], exec
	s_or_saveexec_b64 s[36:37], s[36:37]
	v_mov_b32_e32 v54, s43
	s_xor_b64 exec, exec, s[36:37]
	s_cbranch_execz .LBB311_332
.LBB311_591:                            ;   in Loop: Header=BB311_10 Depth=1
	v_cmp_ne_u16_e32 vcc, 0, v8
	s_andn2_b64 s[34:35], s[34:35], exec
	s_and_b64 vcc, vcc, exec
	v_mov_b32_e32 v54, 0
	s_or_b64 s[34:35], s[34:35], vcc
	s_or_b64 exec, exec, s[36:37]
	s_and_saveexec_b64 s[36:37], s[34:35]
	s_cbranch_execnz .LBB311_333
	s_branch .LBB311_334
.LBB311_592:                            ;   in Loop: Header=BB311_10 Depth=1
	v_cmp_eq_u16_sdwa s[44:45], v12, s41 src0_sel:BYTE_0 src1_sel:DWORD
	s_mov_b64 vcc, -1
                                        ; implicit-def: $sgpr38
	s_and_saveexec_b64 s[36:37], s[44:45]
; %bb.593:                              ;   in Loop: Header=BB311_10 Depth=1
	s_mov_b32 s38, 0x7fc02000
	s_xor_b64 vcc, exec, -1
; %bb.594:                              ;   in Loop: Header=BB311_10 Depth=1
	s_or_b64 exec, exec, s[36:37]
	s_and_b64 vcc, vcc, exec
	s_or_saveexec_b64 s[34:35], s[34:35]
	v_mov_b32_e32 v53, s38
	s_xor_b64 exec, exec, s[34:35]
	s_cbranch_execz .LBB311_336
.LBB311_595:                            ;   in Loop: Header=BB311_10 Depth=1
	v_cmp_ne_u16_sdwa s[36:37], v12, v9 src0_sel:BYTE_0 src1_sel:DWORD
	s_andn2_b64 vcc, vcc, exec
	s_and_b64 s[36:37], s[36:37], exec
	v_mov_b32_e32 v53, 0
	s_or_b64 vcc, vcc, s[36:37]
	s_or_b64 exec, exec, s[34:35]
	s_and_saveexec_b64 s[34:35], vcc
	s_cbranch_execnz .LBB311_337
	s_branch .LBB311_338
.LBB311_596:                            ;   in Loop: Header=BB311_10 Depth=1
	v_cmp_eq_u16_e32 vcc, s41, v8
	s_mov_b64 s[34:35], -1
                                        ; implicit-def: $sgpr43
	s_and_saveexec_b64 s[38:39], vcc
; %bb.597:                              ;   in Loop: Header=BB311_10 Depth=1
	s_mov_b32 s43, 0x7fc02000
	s_xor_b64 s[34:35], exec, -1
; %bb.598:                              ;   in Loop: Header=BB311_10 Depth=1
	s_or_b64 exec, exec, s[38:39]
	s_and_b64 s[34:35], s[34:35], exec
	s_or_saveexec_b64 s[36:37], s[36:37]
	v_mov_b32_e32 v55, s43
	s_xor_b64 exec, exec, s[36:37]
	s_cbranch_execz .LBB311_340
.LBB311_599:                            ;   in Loop: Header=BB311_10 Depth=1
	v_cmp_ne_u16_e32 vcc, 0, v8
	s_andn2_b64 s[34:35], s[34:35], exec
	s_and_b64 vcc, vcc, exec
	v_mov_b32_e32 v55, 0
	s_or_b64 s[34:35], s[34:35], vcc
	s_or_b64 exec, exec, s[36:37]
	s_and_saveexec_b64 s[36:37], s[34:35]
	s_cbranch_execnz .LBB311_341
	s_branch .LBB311_342
.LBB311_600:                            ;   in Loop: Header=BB311_10 Depth=1
	v_cmp_eq_u16_sdwa s[44:45], v8, s41 src0_sel:BYTE_0 src1_sel:DWORD
	s_mov_b64 vcc, -1
                                        ; implicit-def: $sgpr38
	s_and_saveexec_b64 s[36:37], s[44:45]
; %bb.601:                              ;   in Loop: Header=BB311_10 Depth=1
	s_mov_b32 s38, 0x7fc02000
	s_xor_b64 vcc, exec, -1
; %bb.602:                              ;   in Loop: Header=BB311_10 Depth=1
	s_or_b64 exec, exec, s[36:37]
	s_and_b64 vcc, vcc, exec
	s_or_saveexec_b64 s[34:35], s[34:35]
	v_mov_b32_e32 v43, s38
	s_xor_b64 exec, exec, s[34:35]
	s_cbranch_execz .LBB311_344
.LBB311_603:                            ;   in Loop: Header=BB311_10 Depth=1
	v_cmp_ne_u16_sdwa s[36:37], v8, v9 src0_sel:BYTE_0 src1_sel:DWORD
	s_andn2_b64 vcc, vcc, exec
	s_and_b64 s[36:37], s[36:37], exec
	v_mov_b32_e32 v43, 0
	s_or_b64 vcc, vcc, s[36:37]
	s_or_b64 exec, exec, s[34:35]
	s_and_saveexec_b64 s[34:35], vcc
	s_cbranch_execnz .LBB311_345
	s_branch .LBB311_346
.LBB311_604:                            ;   in Loop: Header=BB311_10 Depth=1
	v_cmp_eq_u16_e32 vcc, s41, v8
	s_mov_b64 s[34:35], -1
                                        ; implicit-def: $sgpr43
	s_and_saveexec_b64 s[38:39], vcc
; %bb.605:                              ;   in Loop: Header=BB311_10 Depth=1
	s_mov_b32 s43, 0x7fc02000
	s_xor_b64 s[34:35], exec, -1
; %bb.606:                              ;   in Loop: Header=BB311_10 Depth=1
	s_or_b64 exec, exec, s[38:39]
	s_and_b64 s[34:35], s[34:35], exec
	s_or_saveexec_b64 s[36:37], s[36:37]
	v_mov_b32_e32 v44, s43
	s_xor_b64 exec, exec, s[36:37]
	s_cbranch_execz .LBB311_348
.LBB311_607:                            ;   in Loop: Header=BB311_10 Depth=1
	v_cmp_ne_u16_e32 vcc, 0, v8
	s_andn2_b64 s[34:35], s[34:35], exec
	s_and_b64 vcc, vcc, exec
	v_mov_b32_e32 v44, 0
	s_or_b64 s[34:35], s[34:35], vcc
	s_or_b64 exec, exec, s[36:37]
	s_and_saveexec_b64 s[36:37], s[34:35]
	s_cbranch_execnz .LBB311_349
	s_branch .LBB311_350
.LBB311_608:                            ;   in Loop: Header=BB311_10 Depth=1
	v_cmp_eq_u16_sdwa s[44:45], v12, s41 src0_sel:BYTE_0 src1_sel:DWORD
	s_mov_b64 vcc, -1
                                        ; implicit-def: $sgpr38
	s_and_saveexec_b64 s[36:37], s[44:45]
; %bb.609:                              ;   in Loop: Header=BB311_10 Depth=1
	s_mov_b32 s38, 0x7fc02000
	s_xor_b64 vcc, exec, -1
; %bb.610:                              ;   in Loop: Header=BB311_10 Depth=1
	s_or_b64 exec, exec, s[36:37]
	s_and_b64 vcc, vcc, exec
	s_or_saveexec_b64 s[34:35], s[34:35]
	v_mov_b32_e32 v49, s38
	s_xor_b64 exec, exec, s[34:35]
	s_cbranch_execz .LBB311_352
.LBB311_611:                            ;   in Loop: Header=BB311_10 Depth=1
	v_cmp_ne_u16_sdwa s[36:37], v12, v9 src0_sel:BYTE_0 src1_sel:DWORD
	s_andn2_b64 vcc, vcc, exec
	s_and_b64 s[36:37], s[36:37], exec
	v_mov_b32_e32 v49, 0
	s_or_b64 vcc, vcc, s[36:37]
	s_or_b64 exec, exec, s[34:35]
	s_and_saveexec_b64 s[34:35], vcc
	s_cbranch_execnz .LBB311_353
	s_branch .LBB311_354
.LBB311_612:                            ;   in Loop: Header=BB311_10 Depth=1
	v_cmp_eq_u16_e32 vcc, s41, v8
	s_mov_b64 s[34:35], -1
                                        ; implicit-def: $sgpr43
	s_and_saveexec_b64 s[38:39], vcc
; %bb.613:                              ;   in Loop: Header=BB311_10 Depth=1
	s_mov_b32 s43, 0x7fc02000
	s_xor_b64 s[34:35], exec, -1
; %bb.614:                              ;   in Loop: Header=BB311_10 Depth=1
	s_or_b64 exec, exec, s[38:39]
	s_and_b64 s[34:35], s[34:35], exec
	s_or_saveexec_b64 s[36:37], s[36:37]
	v_mov_b32_e32 v50, s43
	s_xor_b64 exec, exec, s[36:37]
	s_cbranch_execz .LBB311_356
.LBB311_615:                            ;   in Loop: Header=BB311_10 Depth=1
	v_cmp_ne_u16_e32 vcc, 0, v8
	s_andn2_b64 s[34:35], s[34:35], exec
	s_and_b64 vcc, vcc, exec
	v_mov_b32_e32 v50, 0
	s_or_b64 s[34:35], s[34:35], vcc
	s_or_b64 exec, exec, s[36:37]
	s_and_saveexec_b64 s[36:37], s[34:35]
	s_cbranch_execnz .LBB311_357
	s_branch .LBB311_358
.LBB311_616:                            ;   in Loop: Header=BB311_10 Depth=1
	v_cmp_eq_u16_sdwa s[44:45], v8, s41 src0_sel:BYTE_0 src1_sel:DWORD
	s_mov_b64 vcc, -1
                                        ; implicit-def: $sgpr38
	s_and_saveexec_b64 s[36:37], s[44:45]
; %bb.617:                              ;   in Loop: Header=BB311_10 Depth=1
	s_mov_b32 s38, 0x7fc02000
	s_xor_b64 vcc, exec, -1
; %bb.618:                              ;   in Loop: Header=BB311_10 Depth=1
	s_or_b64 exec, exec, s[36:37]
	s_and_b64 vcc, vcc, exec
	s_or_saveexec_b64 s[34:35], s[34:35]
	v_mov_b32_e32 v40, s38
	s_xor_b64 exec, exec, s[34:35]
	s_cbranch_execz .LBB311_360
.LBB311_619:                            ;   in Loop: Header=BB311_10 Depth=1
	v_cmp_ne_u16_sdwa s[36:37], v8, v9 src0_sel:BYTE_0 src1_sel:DWORD
	s_andn2_b64 vcc, vcc, exec
	s_and_b64 s[36:37], s[36:37], exec
	v_mov_b32_e32 v40, 0
	s_or_b64 vcc, vcc, s[36:37]
	s_or_b64 exec, exec, s[34:35]
	s_and_saveexec_b64 s[34:35], vcc
	s_cbranch_execnz .LBB311_361
	s_branch .LBB311_362
.LBB311_620:                            ;   in Loop: Header=BB311_10 Depth=1
	v_cmp_eq_u16_e32 vcc, s41, v8
	s_mov_b64 s[34:35], -1
                                        ; implicit-def: $sgpr43
	s_and_saveexec_b64 s[38:39], vcc
; %bb.621:                              ;   in Loop: Header=BB311_10 Depth=1
	s_mov_b32 s43, 0x7fc02000
	s_xor_b64 s[34:35], exec, -1
; %bb.622:                              ;   in Loop: Header=BB311_10 Depth=1
	s_or_b64 exec, exec, s[38:39]
	s_and_b64 s[34:35], s[34:35], exec
	s_or_saveexec_b64 s[36:37], s[36:37]
	v_mov_b32_e32 v41, s43
	s_xor_b64 exec, exec, s[36:37]
	s_cbranch_execz .LBB311_364
.LBB311_623:                            ;   in Loop: Header=BB311_10 Depth=1
	v_cmp_ne_u16_e32 vcc, 0, v8
	s_andn2_b64 s[34:35], s[34:35], exec
	s_and_b64 vcc, vcc, exec
	v_mov_b32_e32 v41, 0
	s_or_b64 s[34:35], s[34:35], vcc
	s_or_b64 exec, exec, s[36:37]
	s_and_saveexec_b64 s[36:37], s[34:35]
	s_cbranch_execnz .LBB311_365
	s_branch .LBB311_366
.LBB311_624:                            ;   in Loop: Header=BB311_10 Depth=1
	v_cmp_eq_u16_sdwa s[44:45], v12, s41 src0_sel:BYTE_0 src1_sel:DWORD
	s_mov_b64 vcc, -1
                                        ; implicit-def: $sgpr38
	s_and_saveexec_b64 s[36:37], s[44:45]
; %bb.625:                              ;   in Loop: Header=BB311_10 Depth=1
	s_mov_b32 s38, 0x7fc02000
	s_xor_b64 vcc, exec, -1
; %bb.626:                              ;   in Loop: Header=BB311_10 Depth=1
	s_or_b64 exec, exec, s[36:37]
	s_and_b64 vcc, vcc, exec
	s_or_saveexec_b64 s[34:35], s[34:35]
	v_mov_b32_e32 v6, s38
	s_xor_b64 exec, exec, s[34:35]
	s_cbranch_execz .LBB311_368
.LBB311_627:                            ;   in Loop: Header=BB311_10 Depth=1
	v_cmp_ne_u16_sdwa s[36:37], v12, v9 src0_sel:BYTE_0 src1_sel:DWORD
	s_andn2_b64 vcc, vcc, exec
	s_and_b64 s[36:37], s[36:37], exec
	v_mov_b32_e32 v6, 0
	s_or_b64 vcc, vcc, s[36:37]
	s_or_b64 exec, exec, s[34:35]
	s_and_saveexec_b64 s[34:35], vcc
	s_cbranch_execnz .LBB311_369
	s_branch .LBB311_370
.LBB311_628:                            ;   in Loop: Header=BB311_10 Depth=1
	v_cmp_eq_u16_e32 vcc, s41, v8
	s_mov_b64 s[34:35], -1
                                        ; implicit-def: $sgpr43
	s_and_saveexec_b64 s[38:39], vcc
; %bb.629:                              ;   in Loop: Header=BB311_10 Depth=1
	s_mov_b32 s43, 0x7fc02000
	s_xor_b64 s[34:35], exec, -1
; %bb.630:                              ;   in Loop: Header=BB311_10 Depth=1
	s_or_b64 exec, exec, s[38:39]
	s_and_b64 s[34:35], s[34:35], exec
	s_or_saveexec_b64 s[36:37], s[36:37]
	v_mov_b32_e32 v23, s43
	s_xor_b64 exec, exec, s[36:37]
	s_cbranch_execz .LBB311_372
.LBB311_631:                            ;   in Loop: Header=BB311_10 Depth=1
	v_cmp_ne_u16_e32 vcc, 0, v8
	s_andn2_b64 s[34:35], s[34:35], exec
	s_and_b64 vcc, vcc, exec
	v_mov_b32_e32 v23, 0
	s_or_b64 s[34:35], s[34:35], vcc
	s_or_b64 exec, exec, s[36:37]
	s_and_saveexec_b64 s[36:37], s[34:35]
	s_cbranch_execnz .LBB311_373
	s_branch .LBB311_374
.LBB311_632:                            ;   in Loop: Header=BB311_10 Depth=1
	v_cmp_eq_u16_sdwa s[44:45], v8, s41 src0_sel:BYTE_0 src1_sel:DWORD
	s_mov_b64 vcc, -1
                                        ; implicit-def: $sgpr38
	s_and_saveexec_b64 s[36:37], s[44:45]
; %bb.633:                              ;   in Loop: Header=BB311_10 Depth=1
	s_mov_b32 s38, 0x7fc02000
	s_xor_b64 vcc, exec, -1
; %bb.634:                              ;   in Loop: Header=BB311_10 Depth=1
	s_or_b64 exec, exec, s[36:37]
	s_and_b64 vcc, vcc, exec
	s_or_saveexec_b64 s[34:35], s[34:35]
	v_mov_b32_e32 v51, s38
	s_xor_b64 exec, exec, s[34:35]
	s_cbranch_execz .LBB311_376
.LBB311_635:                            ;   in Loop: Header=BB311_10 Depth=1
	v_cmp_ne_u16_sdwa s[36:37], v8, v9 src0_sel:BYTE_0 src1_sel:DWORD
	s_andn2_b64 vcc, vcc, exec
	s_and_b64 s[36:37], s[36:37], exec
	v_mov_b32_e32 v51, 0
	s_or_b64 vcc, vcc, s[36:37]
	s_or_b64 exec, exec, s[34:35]
	s_and_saveexec_b64 s[34:35], vcc
	s_cbranch_execnz .LBB311_377
	s_branch .LBB311_378
.LBB311_636:                            ;   in Loop: Header=BB311_10 Depth=1
	v_cmp_eq_u16_e32 vcc, s41, v8
	s_mov_b64 s[34:35], -1
                                        ; implicit-def: $sgpr43
	s_and_saveexec_b64 s[38:39], vcc
; %bb.637:                              ;   in Loop: Header=BB311_10 Depth=1
	s_mov_b32 s43, 0x7fc02000
	s_xor_b64 s[34:35], exec, -1
; %bb.638:                              ;   in Loop: Header=BB311_10 Depth=1
	s_or_b64 exec, exec, s[38:39]
	s_and_b64 s[34:35], s[34:35], exec
	s_or_saveexec_b64 s[36:37], s[36:37]
	v_mov_b32_e32 v52, s43
	s_xor_b64 exec, exec, s[36:37]
	s_cbranch_execz .LBB311_380
.LBB311_639:                            ;   in Loop: Header=BB311_10 Depth=1
	v_cmp_ne_u16_e32 vcc, 0, v8
	s_andn2_b64 s[34:35], s[34:35], exec
	s_and_b64 vcc, vcc, exec
	v_mov_b32_e32 v52, 0
	s_or_b64 s[34:35], s[34:35], vcc
	s_or_b64 exec, exec, s[36:37]
	s_and_saveexec_b64 s[36:37], s[34:35]
	s_cbranch_execnz .LBB311_381
	s_branch .LBB311_382
.LBB311_640:                            ;   in Loop: Header=BB311_10 Depth=1
	v_cmp_eq_u16_sdwa s[44:45], v12, s41 src0_sel:BYTE_0 src1_sel:DWORD
	s_mov_b64 vcc, -1
                                        ; implicit-def: $sgpr38
	s_and_saveexec_b64 s[36:37], s[44:45]
; %bb.641:                              ;   in Loop: Header=BB311_10 Depth=1
	s_mov_b32 s38, 0x7fc02000
	s_xor_b64 vcc, exec, -1
; %bb.642:                              ;   in Loop: Header=BB311_10 Depth=1
	s_or_b64 exec, exec, s[36:37]
	s_and_b64 vcc, vcc, exec
	s_or_saveexec_b64 s[34:35], s[34:35]
	v_mov_b32_e32 v29, s38
	s_xor_b64 exec, exec, s[34:35]
	s_cbranch_execz .LBB311_384
.LBB311_643:                            ;   in Loop: Header=BB311_10 Depth=1
	v_cmp_ne_u16_sdwa s[36:37], v12, v9 src0_sel:BYTE_0 src1_sel:DWORD
	s_andn2_b64 vcc, vcc, exec
	s_and_b64 s[36:37], s[36:37], exec
	v_mov_b32_e32 v29, 0
	s_or_b64 vcc, vcc, s[36:37]
	s_or_b64 exec, exec, s[34:35]
	s_and_saveexec_b64 s[34:35], vcc
	s_cbranch_execnz .LBB311_385
	s_branch .LBB311_386
.LBB311_644:                            ;   in Loop: Header=BB311_10 Depth=1
	v_cmp_eq_u16_e32 vcc, s41, v8
	s_mov_b64 s[34:35], -1
                                        ; implicit-def: $sgpr43
	s_and_saveexec_b64 s[38:39], vcc
; %bb.645:                              ;   in Loop: Header=BB311_10 Depth=1
	s_mov_b32 s43, 0x7fc02000
	s_xor_b64 s[34:35], exec, -1
; %bb.646:                              ;   in Loop: Header=BB311_10 Depth=1
	s_or_b64 exec, exec, s[38:39]
	s_and_b64 s[34:35], s[34:35], exec
	s_or_saveexec_b64 s[36:37], s[36:37]
	v_mov_b32_e32 v48, s43
	s_xor_b64 exec, exec, s[36:37]
	s_cbranch_execz .LBB311_388
.LBB311_647:                            ;   in Loop: Header=BB311_10 Depth=1
	v_cmp_ne_u16_e32 vcc, 0, v8
	s_andn2_b64 s[34:35], s[34:35], exec
	s_and_b64 vcc, vcc, exec
	v_mov_b32_e32 v48, 0
	s_or_b64 s[34:35], s[34:35], vcc
	s_or_b64 exec, exec, s[36:37]
	s_and_saveexec_b64 s[36:37], s[34:35]
	s_cbranch_execnz .LBB311_389
	s_branch .LBB311_390
.LBB311_648:                            ;   in Loop: Header=BB311_10 Depth=1
	v_cmp_eq_u16_sdwa s[44:45], v8, s41 src0_sel:BYTE_0 src1_sel:DWORD
	s_mov_b64 vcc, -1
                                        ; implicit-def: $sgpr38
	s_and_saveexec_b64 s[36:37], s[44:45]
; %bb.649:                              ;   in Loop: Header=BB311_10 Depth=1
	s_mov_b32 s38, 0x7fc02000
	s_xor_b64 vcc, exec, -1
; %bb.650:                              ;   in Loop: Header=BB311_10 Depth=1
	s_or_b64 exec, exec, s[36:37]
	s_and_b64 vcc, vcc, exec
	s_or_saveexec_b64 s[34:35], s[34:35]
	v_mov_b32_e32 v17, s38
	s_xor_b64 exec, exec, s[34:35]
	s_cbranch_execz .LBB311_392
.LBB311_651:                            ;   in Loop: Header=BB311_10 Depth=1
	v_cmp_ne_u16_sdwa s[36:37], v8, v9 src0_sel:BYTE_0 src1_sel:DWORD
	s_andn2_b64 vcc, vcc, exec
	s_and_b64 s[36:37], s[36:37], exec
	v_mov_b32_e32 v17, 0
	s_or_b64 vcc, vcc, s[36:37]
	s_or_b64 exec, exec, s[34:35]
	s_and_saveexec_b64 s[34:35], vcc
	s_cbranch_execnz .LBB311_393
	s_branch .LBB311_394
.LBB311_652:                            ;   in Loop: Header=BB311_10 Depth=1
	v_cmp_eq_u16_e32 vcc, s41, v8
	s_mov_b64 s[34:35], -1
                                        ; implicit-def: $sgpr43
	s_and_saveexec_b64 s[38:39], vcc
; %bb.653:                              ;   in Loop: Header=BB311_10 Depth=1
	s_mov_b32 s43, 0x7fc02000
	s_xor_b64 s[34:35], exec, -1
; %bb.654:                              ;   in Loop: Header=BB311_10 Depth=1
	s_or_b64 exec, exec, s[38:39]
	s_and_b64 s[34:35], s[34:35], exec
	s_or_saveexec_b64 s[36:37], s[36:37]
	v_mov_b32_e32 v19, s43
	s_xor_b64 exec, exec, s[36:37]
	s_cbranch_execz .LBB311_396
.LBB311_655:                            ;   in Loop: Header=BB311_10 Depth=1
	v_cmp_ne_u16_e32 vcc, 0, v8
	s_andn2_b64 s[34:35], s[34:35], exec
	s_and_b64 vcc, vcc, exec
	v_mov_b32_e32 v19, 0
	s_or_b64 s[34:35], s[34:35], vcc
	s_or_b64 exec, exec, s[36:37]
	s_and_saveexec_b64 s[36:37], s[34:35]
	s_cbranch_execnz .LBB311_397
	s_branch .LBB311_398
.LBB311_656:                            ;   in Loop: Header=BB311_10 Depth=1
	v_cmp_eq_u16_sdwa s[44:45], v12, s41 src0_sel:BYTE_0 src1_sel:DWORD
	s_mov_b64 vcc, -1
                                        ; implicit-def: $sgpr38
	s_and_saveexec_b64 s[36:37], s[44:45]
; %bb.657:                              ;   in Loop: Header=BB311_10 Depth=1
	s_mov_b32 s38, 0x7fc02000
	s_xor_b64 vcc, exec, -1
; %bb.658:                              ;   in Loop: Header=BB311_10 Depth=1
	s_or_b64 exec, exec, s[36:37]
	s_and_b64 vcc, vcc, exec
	s_or_saveexec_b64 s[34:35], s[34:35]
	v_mov_b32_e32 v28, s38
	s_xor_b64 exec, exec, s[34:35]
	s_cbranch_execz .LBB311_400
.LBB311_659:                            ;   in Loop: Header=BB311_10 Depth=1
	v_cmp_ne_u16_sdwa s[36:37], v12, v9 src0_sel:BYTE_0 src1_sel:DWORD
	s_andn2_b64 vcc, vcc, exec
	s_and_b64 s[36:37], s[36:37], exec
	v_mov_b32_e32 v28, 0
	s_or_b64 vcc, vcc, s[36:37]
	s_or_b64 exec, exec, s[34:35]
	s_and_saveexec_b64 s[34:35], vcc
	s_cbranch_execnz .LBB311_401
	s_branch .LBB311_402
.LBB311_660:                            ;   in Loop: Header=BB311_10 Depth=1
	v_cmp_eq_u16_e32 vcc, s41, v8
	s_mov_b64 s[34:35], -1
                                        ; implicit-def: $sgpr43
	s_and_saveexec_b64 s[38:39], vcc
; %bb.661:                              ;   in Loop: Header=BB311_10 Depth=1
	s_mov_b32 s43, 0x7fc02000
	s_xor_b64 s[34:35], exec, -1
; %bb.662:                              ;   in Loop: Header=BB311_10 Depth=1
	s_or_b64 exec, exec, s[38:39]
	s_and_b64 s[34:35], s[34:35], exec
	s_or_saveexec_b64 s[36:37], s[36:37]
	v_mov_b32_e32 v10, s43
	s_xor_b64 exec, exec, s[36:37]
	s_cbranch_execz .LBB311_404
.LBB311_663:                            ;   in Loop: Header=BB311_10 Depth=1
	v_cmp_ne_u16_e32 vcc, 0, v8
	s_andn2_b64 s[34:35], s[34:35], exec
	s_and_b64 vcc, vcc, exec
	v_mov_b32_e32 v10, 0
	s_or_b64 s[34:35], s[34:35], vcc
	s_or_b64 exec, exec, s[36:37]
	s_and_saveexec_b64 s[36:37], s[34:35]
	s_cbranch_execnz .LBB311_405
	s_branch .LBB311_406
.LBB311_664:                            ;   in Loop: Header=BB311_10 Depth=1
	v_cmp_eq_u16_sdwa s[44:45], v8, s41 src0_sel:BYTE_0 src1_sel:DWORD
	s_mov_b64 vcc, -1
                                        ; implicit-def: $sgpr38
	s_and_saveexec_b64 s[36:37], s[44:45]
; %bb.665:                              ;   in Loop: Header=BB311_10 Depth=1
	s_mov_b32 s38, 0x7fc02000
	s_xor_b64 vcc, exec, -1
; %bb.666:                              ;   in Loop: Header=BB311_10 Depth=1
	s_or_b64 exec, exec, s[36:37]
	s_and_b64 vcc, vcc, exec
	s_or_saveexec_b64 s[34:35], s[34:35]
	v_mov_b32_e32 v20, s38
	s_xor_b64 exec, exec, s[34:35]
	s_cbranch_execz .LBB311_408
.LBB311_667:                            ;   in Loop: Header=BB311_10 Depth=1
	v_cmp_ne_u16_sdwa s[36:37], v8, v9 src0_sel:BYTE_0 src1_sel:DWORD
	s_andn2_b64 vcc, vcc, exec
	s_and_b64 s[36:37], s[36:37], exec
	v_mov_b32_e32 v20, 0
	s_or_b64 vcc, vcc, s[36:37]
	s_or_b64 exec, exec, s[34:35]
	s_and_saveexec_b64 s[34:35], vcc
	s_cbranch_execnz .LBB311_409
	s_branch .LBB311_410
.LBB311_668:                            ;   in Loop: Header=BB311_10 Depth=1
	v_cmp_eq_u16_e32 vcc, s41, v8
	s_mov_b64 s[34:35], -1
                                        ; implicit-def: $sgpr43
	s_and_saveexec_b64 s[38:39], vcc
; %bb.669:                              ;   in Loop: Header=BB311_10 Depth=1
	s_mov_b32 s43, 0x7fc02000
	s_xor_b64 s[34:35], exec, -1
; %bb.670:                              ;   in Loop: Header=BB311_10 Depth=1
	s_or_b64 exec, exec, s[38:39]
	s_and_b64 s[34:35], s[34:35], exec
	s_or_saveexec_b64 s[36:37], s[36:37]
	v_mov_b32_e32 v18, s43
	s_xor_b64 exec, exec, s[36:37]
	s_cbranch_execz .LBB311_412
.LBB311_671:                            ;   in Loop: Header=BB311_10 Depth=1
	v_cmp_ne_u16_e32 vcc, 0, v8
	s_andn2_b64 s[34:35], s[34:35], exec
	s_and_b64 vcc, vcc, exec
	v_mov_b32_e32 v18, 0
	s_or_b64 s[34:35], s[34:35], vcc
	s_or_b64 exec, exec, s[36:37]
	s_and_saveexec_b64 s[36:37], s[34:35]
	s_cbranch_execnz .LBB311_413
	s_branch .LBB311_414
.LBB311_672:                            ;   in Loop: Header=BB311_10 Depth=1
	v_cmp_eq_u16_sdwa s[44:45], v12, s41 src0_sel:BYTE_0 src1_sel:DWORD
	s_mov_b64 vcc, -1
                                        ; implicit-def: $sgpr38
	s_and_saveexec_b64 s[36:37], s[44:45]
; %bb.673:                              ;   in Loop: Header=BB311_10 Depth=1
	s_mov_b32 s38, 0x7fc02000
	s_xor_b64 vcc, exec, -1
; %bb.674:                              ;   in Loop: Header=BB311_10 Depth=1
	s_or_b64 exec, exec, s[36:37]
	s_and_b64 vcc, vcc, exec
	s_or_saveexec_b64 s[34:35], s[34:35]
	v_mov_b32_e32 v33, s38
	s_xor_b64 exec, exec, s[34:35]
	s_cbranch_execz .LBB311_416
.LBB311_675:                            ;   in Loop: Header=BB311_10 Depth=1
	v_cmp_ne_u16_sdwa s[36:37], v12, v9 src0_sel:BYTE_0 src1_sel:DWORD
	s_andn2_b64 vcc, vcc, exec
	s_and_b64 s[36:37], s[36:37], exec
	v_mov_b32_e32 v33, 0
	s_or_b64 vcc, vcc, s[36:37]
	s_or_b64 exec, exec, s[34:35]
	s_and_saveexec_b64 s[34:35], vcc
	s_cbranch_execnz .LBB311_417
	s_branch .LBB311_418
.LBB311_676:                            ;   in Loop: Header=BB311_10 Depth=1
	v_cmp_eq_u16_e32 vcc, s41, v8
	s_mov_b64 s[34:35], -1
                                        ; implicit-def: $sgpr43
	s_and_saveexec_b64 s[38:39], vcc
; %bb.677:                              ;   in Loop: Header=BB311_10 Depth=1
	s_mov_b32 s43, 0x7fc02000
	s_xor_b64 s[34:35], exec, -1
; %bb.678:                              ;   in Loop: Header=BB311_10 Depth=1
	s_or_b64 exec, exec, s[38:39]
	s_and_b64 s[34:35], s[34:35], exec
	s_or_saveexec_b64 s[36:37], s[36:37]
	v_mov_b32_e32 v11, s43
	s_xor_b64 exec, exec, s[36:37]
	s_cbranch_execz .LBB311_420
.LBB311_679:                            ;   in Loop: Header=BB311_10 Depth=1
	v_cmp_ne_u16_e32 vcc, 0, v8
	s_andn2_b64 s[34:35], s[34:35], exec
	s_and_b64 vcc, vcc, exec
	v_mov_b32_e32 v11, 0
	s_or_b64 s[34:35], s[34:35], vcc
	s_or_b64 exec, exec, s[36:37]
	s_and_saveexec_b64 s[36:37], s[34:35]
	s_cbranch_execnz .LBB311_421
	s_branch .LBB311_422
.LBB311_680:                            ;   in Loop: Header=BB311_10 Depth=1
	v_cmp_eq_u16_sdwa s[44:45], v8, s41 src0_sel:BYTE_0 src1_sel:DWORD
	s_mov_b64 vcc, -1
                                        ; implicit-def: $sgpr38
	s_and_saveexec_b64 s[36:37], s[44:45]
; %bb.681:                              ;   in Loop: Header=BB311_10 Depth=1
	s_mov_b32 s38, 0x7fc02000
	s_xor_b64 vcc, exec, -1
; %bb.682:                              ;   in Loop: Header=BB311_10 Depth=1
	s_or_b64 exec, exec, s[36:37]
	s_and_b64 vcc, vcc, exec
	s_or_saveexec_b64 s[34:35], s[34:35]
	v_mov_b32_e32 v32, s38
	s_xor_b64 exec, exec, s[34:35]
	s_cbranch_execz .LBB311_424
.LBB311_683:                            ;   in Loop: Header=BB311_10 Depth=1
	v_cmp_ne_u16_sdwa s[36:37], v8, v9 src0_sel:BYTE_0 src1_sel:DWORD
	s_andn2_b64 vcc, vcc, exec
	s_and_b64 s[36:37], s[36:37], exec
	v_mov_b32_e32 v32, 0
	s_or_b64 vcc, vcc, s[36:37]
	s_or_b64 exec, exec, s[34:35]
	s_and_saveexec_b64 s[34:35], vcc
	s_cbranch_execnz .LBB311_425
	s_branch .LBB311_426
.LBB311_684:                            ;   in Loop: Header=BB311_10 Depth=1
	v_cmp_eq_u16_e32 vcc, s41, v8
	s_mov_b64 s[34:35], -1
                                        ; implicit-def: $sgpr43
	s_and_saveexec_b64 s[38:39], vcc
; %bb.685:                              ;   in Loop: Header=BB311_10 Depth=1
	s_mov_b32 s43, 0x7fc02000
	s_xor_b64 s[34:35], exec, -1
; %bb.686:                              ;   in Loop: Header=BB311_10 Depth=1
	s_or_b64 exec, exec, s[38:39]
	s_and_b64 s[34:35], s[34:35], exec
	s_or_saveexec_b64 s[36:37], s[36:37]
	v_mov_b32_e32 v47, s43
	s_xor_b64 exec, exec, s[36:37]
	s_cbranch_execz .LBB311_428
.LBB311_687:                            ;   in Loop: Header=BB311_10 Depth=1
	v_cmp_ne_u16_e32 vcc, 0, v8
	s_andn2_b64 s[34:35], s[34:35], exec
	s_and_b64 vcc, vcc, exec
	v_mov_b32_e32 v47, 0
	s_or_b64 s[34:35], s[34:35], vcc
	s_or_b64 exec, exec, s[36:37]
	s_and_saveexec_b64 s[36:37], s[34:35]
	s_cbranch_execnz .LBB311_429
	s_branch .LBB311_430
.LBB311_688:                            ;   in Loop: Header=BB311_10 Depth=1
	v_cmp_eq_u16_sdwa s[44:45], v12, s41 src0_sel:BYTE_0 src1_sel:DWORD
	s_mov_b64 vcc, -1
                                        ; implicit-def: $sgpr38
	s_and_saveexec_b64 s[36:37], s[44:45]
; %bb.689:                              ;   in Loop: Header=BB311_10 Depth=1
	s_mov_b32 s38, 0x7fc02000
	s_xor_b64 vcc, exec, -1
; %bb.690:                              ;   in Loop: Header=BB311_10 Depth=1
	s_or_b64 exec, exec, s[36:37]
	s_and_b64 vcc, vcc, exec
	s_or_saveexec_b64 s[34:35], s[34:35]
	v_mov_b32_e32 v1, s38
	s_xor_b64 exec, exec, s[34:35]
	s_cbranch_execz .LBB311_432
.LBB311_691:                            ;   in Loop: Header=BB311_10 Depth=1
	v_cmp_ne_u16_sdwa s[36:37], v12, v9 src0_sel:BYTE_0 src1_sel:DWORD
	s_andn2_b64 vcc, vcc, exec
	s_and_b64 s[36:37], s[36:37], exec
	v_mov_b32_e32 v1, 0
	s_or_b64 vcc, vcc, s[36:37]
	s_or_b64 exec, exec, s[34:35]
	s_and_saveexec_b64 s[34:35], vcc
	s_cbranch_execnz .LBB311_433
	s_branch .LBB311_434
.LBB311_692:                            ;   in Loop: Header=BB311_10 Depth=1
	v_cmp_eq_u16_e32 vcc, s41, v8
	s_mov_b64 s[34:35], -1
                                        ; implicit-def: $sgpr43
	s_and_saveexec_b64 s[38:39], vcc
; %bb.693:                              ;   in Loop: Header=BB311_10 Depth=1
	s_mov_b32 s43, 0x7fc02000
	s_xor_b64 s[34:35], exec, -1
; %bb.694:                              ;   in Loop: Header=BB311_10 Depth=1
	s_or_b64 exec, exec, s[38:39]
	s_and_b64 s[34:35], s[34:35], exec
	s_or_saveexec_b64 s[36:37], s[36:37]
	v_mov_b32_e32 v0, s43
	s_xor_b64 exec, exec, s[36:37]
	s_cbranch_execz .LBB311_436
.LBB311_695:                            ;   in Loop: Header=BB311_10 Depth=1
	v_cmp_ne_u16_e32 vcc, 0, v8
	s_andn2_b64 s[34:35], s[34:35], exec
	s_and_b64 vcc, vcc, exec
	v_mov_b32_e32 v0, 0
	s_or_b64 s[34:35], s[34:35], vcc
	s_or_b64 exec, exec, s[36:37]
	s_and_saveexec_b64 s[36:37], s[34:35]
	s_cbranch_execnz .LBB311_437
	s_branch .LBB311_438
.LBB311_696:                            ;   in Loop: Header=BB311_10 Depth=1
	v_cmp_eq_u16_sdwa s[44:45], v8, s41 src0_sel:BYTE_0 src1_sel:DWORD
	s_mov_b64 vcc, -1
                                        ; implicit-def: $sgpr38
	s_and_saveexec_b64 s[36:37], s[44:45]
; %bb.697:                              ;   in Loop: Header=BB311_10 Depth=1
	s_mov_b32 s38, 0x7fc02000
	s_xor_b64 vcc, exec, -1
; %bb.698:                              ;   in Loop: Header=BB311_10 Depth=1
	s_or_b64 exec, exec, s[36:37]
	s_and_b64 vcc, vcc, exec
	s_or_saveexec_b64 s[34:35], s[34:35]
	v_mov_b32_e32 v3, s38
	s_xor_b64 exec, exec, s[34:35]
	s_cbranch_execz .LBB311_440
.LBB311_699:                            ;   in Loop: Header=BB311_10 Depth=1
	v_cmp_ne_u16_sdwa s[36:37], v8, v9 src0_sel:BYTE_0 src1_sel:DWORD
	s_andn2_b64 vcc, vcc, exec
	s_and_b64 s[36:37], s[36:37], exec
	v_mov_b32_e32 v3, 0
	s_or_b64 vcc, vcc, s[36:37]
	s_or_b64 exec, exec, s[34:35]
	s_and_saveexec_b64 s[34:35], vcc
	s_cbranch_execnz .LBB311_441
	s_branch .LBB311_442
.LBB311_700:                            ;   in Loop: Header=BB311_10 Depth=1
	v_cmp_eq_u16_e32 vcc, s41, v8
	s_mov_b64 s[34:35], -1
                                        ; implicit-def: $sgpr43
	s_and_saveexec_b64 s[38:39], vcc
; %bb.701:                              ;   in Loop: Header=BB311_10 Depth=1
	s_mov_b32 s43, 0x7fc02000
	s_xor_b64 s[34:35], exec, -1
; %bb.702:                              ;   in Loop: Header=BB311_10 Depth=1
	s_or_b64 exec, exec, s[38:39]
	s_and_b64 s[34:35], s[34:35], exec
	s_or_saveexec_b64 s[36:37], s[36:37]
	v_mov_b32_e32 v2, s43
	s_xor_b64 exec, exec, s[36:37]
	s_cbranch_execz .LBB311_444
.LBB311_703:                            ;   in Loop: Header=BB311_10 Depth=1
	v_cmp_ne_u16_e32 vcc, 0, v8
	s_andn2_b64 s[34:35], s[34:35], exec
	s_and_b64 vcc, vcc, exec
	v_mov_b32_e32 v2, 0
	s_or_b64 s[34:35], s[34:35], vcc
	s_or_b64 exec, exec, s[36:37]
	s_and_saveexec_b64 s[36:37], s[34:35]
	s_cbranch_execnz .LBB311_445
	s_branch .LBB311_446
.LBB311_704:                            ;   in Loop: Header=BB311_10 Depth=1
	v_cmp_eq_u16_sdwa s[44:45], v12, s41 src0_sel:BYTE_0 src1_sel:DWORD
	s_mov_b64 vcc, -1
                                        ; implicit-def: $sgpr38
	s_and_saveexec_b64 s[36:37], s[44:45]
; %bb.705:                              ;   in Loop: Header=BB311_10 Depth=1
	s_mov_b32 s38, 0x7fc02000
	s_xor_b64 vcc, exec, -1
; %bb.706:                              ;   in Loop: Header=BB311_10 Depth=1
	s_or_b64 exec, exec, s[36:37]
	s_and_b64 vcc, vcc, exec
	s_or_saveexec_b64 s[34:35], s[34:35]
	v_mov_b32_e32 v42, s38
	s_xor_b64 exec, exec, s[34:35]
	s_cbranch_execz .LBB311_448
.LBB311_707:                            ;   in Loop: Header=BB311_10 Depth=1
	v_cmp_ne_u16_sdwa s[36:37], v12, v9 src0_sel:BYTE_0 src1_sel:DWORD
	s_andn2_b64 vcc, vcc, exec
	s_and_b64 s[36:37], s[36:37], exec
	v_mov_b32_e32 v42, 0
	s_or_b64 vcc, vcc, s[36:37]
	s_or_b64 exec, exec, s[34:35]
	s_and_saveexec_b64 s[34:35], vcc
	s_cbranch_execnz .LBB311_449
	s_branch .LBB311_450
.LBB311_708:                            ;   in Loop: Header=BB311_10 Depth=1
	v_cmp_eq_u16_e32 vcc, s41, v8
	s_mov_b64 s[34:35], -1
                                        ; implicit-def: $sgpr43
	s_and_saveexec_b64 s[38:39], vcc
; %bb.709:                              ;   in Loop: Header=BB311_10 Depth=1
	s_mov_b32 s43, 0x7fc02000
	s_xor_b64 s[34:35], exec, -1
; %bb.710:                              ;   in Loop: Header=BB311_10 Depth=1
	s_or_b64 exec, exec, s[38:39]
	s_and_b64 s[34:35], s[34:35], exec
	s_or_saveexec_b64 s[36:37], s[36:37]
	v_mov_b32_e32 v45, s43
	s_xor_b64 exec, exec, s[36:37]
	s_cbranch_execz .LBB311_452
.LBB311_711:                            ;   in Loop: Header=BB311_10 Depth=1
	v_cmp_ne_u16_e32 vcc, 0, v8
	s_andn2_b64 s[34:35], s[34:35], exec
	s_and_b64 vcc, vcc, exec
	v_mov_b32_e32 v45, 0
	s_or_b64 s[34:35], s[34:35], vcc
	s_or_b64 exec, exec, s[36:37]
	s_and_saveexec_b64 s[36:37], s[34:35]
	s_cbranch_execnz .LBB311_453
	s_branch .LBB311_454
.LBB311_712:                            ;   in Loop: Header=BB311_10 Depth=1
	v_cmp_eq_u16_sdwa s[44:45], v8, s41 src0_sel:BYTE_0 src1_sel:DWORD
	s_mov_b64 vcc, -1
                                        ; implicit-def: $sgpr38
	s_and_saveexec_b64 s[36:37], s[44:45]
; %bb.713:                              ;   in Loop: Header=BB311_10 Depth=1
	s_mov_b32 s38, 0x7fc02000
	s_xor_b64 vcc, exec, -1
; %bb.714:                              ;   in Loop: Header=BB311_10 Depth=1
	s_or_b64 exec, exec, s[36:37]
	s_and_b64 vcc, vcc, exec
	s_or_saveexec_b64 s[34:35], s[34:35]
	v_mov_b32_e32 v46, s38
	s_xor_b64 exec, exec, s[34:35]
	s_cbranch_execz .LBB311_456
.LBB311_715:                            ;   in Loop: Header=BB311_10 Depth=1
	v_cmp_ne_u16_sdwa s[36:37], v8, v9 src0_sel:BYTE_0 src1_sel:DWORD
	s_andn2_b64 vcc, vcc, exec
	s_and_b64 s[36:37], s[36:37], exec
	v_mov_b32_e32 v46, 0
	s_or_b64 vcc, vcc, s[36:37]
	s_or_b64 exec, exec, s[34:35]
	s_and_saveexec_b64 s[34:35], vcc
	s_cbranch_execnz .LBB311_457
	s_branch .LBB311_458
.LBB311_716:                            ;   in Loop: Header=BB311_10 Depth=1
	v_cmp_eq_u16_e32 vcc, s41, v8
	s_mov_b64 s[34:35], -1
                                        ; implicit-def: $sgpr43
	s_and_saveexec_b64 s[38:39], vcc
; %bb.717:                              ;   in Loop: Header=BB311_10 Depth=1
	s_mov_b32 s43, 0x7fc02000
	s_xor_b64 s[34:35], exec, -1
; %bb.718:                              ;   in Loop: Header=BB311_10 Depth=1
	s_or_b64 exec, exec, s[38:39]
	s_and_b64 s[34:35], s[34:35], exec
	s_or_saveexec_b64 s[36:37], s[36:37]
	v_mov_b32_e32 v5, s43
	s_xor_b64 exec, exec, s[36:37]
	s_cbranch_execz .LBB311_460
.LBB311_719:                            ;   in Loop: Header=BB311_10 Depth=1
	v_cmp_ne_u16_e32 vcc, 0, v8
	s_andn2_b64 s[34:35], s[34:35], exec
	s_and_b64 vcc, vcc, exec
	v_mov_b32_e32 v5, 0
	s_or_b64 s[34:35], s[34:35], vcc
	s_or_b64 exec, exec, s[36:37]
	s_and_saveexec_b64 s[36:37], s[34:35]
	s_cbranch_execnz .LBB311_461
	s_branch .LBB311_462
.LBB311_720:                            ;   in Loop: Header=BB311_10 Depth=1
	v_cmp_eq_u16_sdwa s[44:45], v12, s41 src0_sel:BYTE_0 src1_sel:DWORD
	s_mov_b64 vcc, -1
                                        ; implicit-def: $sgpr38
	s_and_saveexec_b64 s[36:37], s[44:45]
; %bb.721:                              ;   in Loop: Header=BB311_10 Depth=1
	s_mov_b32 s38, 0x7fc02000
	s_xor_b64 vcc, exec, -1
; %bb.722:                              ;   in Loop: Header=BB311_10 Depth=1
	s_or_b64 exec, exec, s[36:37]
	s_and_b64 vcc, vcc, exec
	s_or_saveexec_b64 s[34:35], s[34:35]
	v_mov_b32_e32 v13, s38
	s_xor_b64 exec, exec, s[34:35]
	s_cbranch_execz .LBB311_464
.LBB311_723:                            ;   in Loop: Header=BB311_10 Depth=1
	v_cmp_ne_u16_sdwa s[36:37], v12, v9 src0_sel:BYTE_0 src1_sel:DWORD
	s_andn2_b64 vcc, vcc, exec
	s_and_b64 s[36:37], s[36:37], exec
	v_mov_b32_e32 v13, 0
	s_or_b64 vcc, vcc, s[36:37]
	s_or_b64 exec, exec, s[34:35]
	s_and_saveexec_b64 s[34:35], vcc
	s_cbranch_execnz .LBB311_465
	s_branch .LBB311_466
.LBB311_724:                            ;   in Loop: Header=BB311_10 Depth=1
	v_cmp_eq_u16_e32 vcc, s41, v8
	s_mov_b64 s[34:35], -1
                                        ; implicit-def: $sgpr43
	s_and_saveexec_b64 s[38:39], vcc
; %bb.725:                              ;   in Loop: Header=BB311_10 Depth=1
	s_mov_b32 s43, 0x7fc02000
	s_xor_b64 s[34:35], exec, -1
; %bb.726:                              ;   in Loop: Header=BB311_10 Depth=1
	s_or_b64 exec, exec, s[38:39]
	s_and_b64 s[34:35], s[34:35], exec
	s_or_saveexec_b64 s[36:37], s[36:37]
	v_mov_b32_e32 v22, s43
	s_xor_b64 exec, exec, s[36:37]
	s_cbranch_execz .LBB311_468
.LBB311_727:                            ;   in Loop: Header=BB311_10 Depth=1
	v_cmp_ne_u16_e32 vcc, 0, v8
	s_andn2_b64 s[34:35], s[34:35], exec
	s_and_b64 vcc, vcc, exec
	v_mov_b32_e32 v22, 0
	s_or_b64 s[34:35], s[34:35], vcc
	s_or_b64 exec, exec, s[36:37]
	s_and_saveexec_b64 s[36:37], s[34:35]
	s_cbranch_execnz .LBB311_469
	s_branch .LBB311_470
.LBB311_728:                            ;   in Loop: Header=BB311_10 Depth=1
	v_cmp_eq_u16_sdwa s[44:45], v8, s41 src0_sel:BYTE_0 src1_sel:DWORD
	s_mov_b64 vcc, -1
                                        ; implicit-def: $sgpr38
	s_and_saveexec_b64 s[36:37], s[44:45]
; %bb.729:                              ;   in Loop: Header=BB311_10 Depth=1
	s_mov_b32 s38, 0x7fc02000
	s_xor_b64 vcc, exec, -1
; %bb.730:                              ;   in Loop: Header=BB311_10 Depth=1
	s_or_b64 exec, exec, s[36:37]
	s_and_b64 vcc, vcc, exec
	s_or_saveexec_b64 s[34:35], s[34:35]
	v_mov_b32_e32 v24, s38
	s_xor_b64 exec, exec, s[34:35]
	s_cbranch_execz .LBB311_472
.LBB311_731:                            ;   in Loop: Header=BB311_10 Depth=1
	v_cmp_ne_u16_sdwa s[36:37], v8, v9 src0_sel:BYTE_0 src1_sel:DWORD
	s_andn2_b64 vcc, vcc, exec
	s_and_b64 s[36:37], s[36:37], exec
	v_mov_b32_e32 v24, 0
	s_or_b64 vcc, vcc, s[36:37]
	s_or_b64 exec, exec, s[34:35]
	s_and_saveexec_b64 s[34:35], vcc
	s_cbranch_execnz .LBB311_473
	s_branch .LBB311_474
.LBB311_732:                            ;   in Loop: Header=BB311_10 Depth=1
	v_cmp_eq_u16_e32 vcc, s41, v8
	s_mov_b64 s[34:35], -1
                                        ; implicit-def: $sgpr43
	s_and_saveexec_b64 s[38:39], vcc
; %bb.733:                              ;   in Loop: Header=BB311_10 Depth=1
	s_mov_b32 s43, 0x7fc02000
	s_xor_b64 s[34:35], exec, -1
; %bb.734:                              ;   in Loop: Header=BB311_10 Depth=1
	s_or_b64 exec, exec, s[38:39]
	s_and_b64 s[34:35], s[34:35], exec
	s_or_saveexec_b64 s[36:37], s[36:37]
	v_mov_b32_e32 v26, s43
	s_xor_b64 exec, exec, s[36:37]
	s_cbranch_execz .LBB311_476
.LBB311_735:                            ;   in Loop: Header=BB311_10 Depth=1
	v_cmp_ne_u16_e32 vcc, 0, v8
	s_andn2_b64 s[34:35], s[34:35], exec
	s_and_b64 vcc, vcc, exec
	v_mov_b32_e32 v26, 0
	s_or_b64 s[34:35], s[34:35], vcc
	s_or_b64 exec, exec, s[36:37]
	s_and_saveexec_b64 s[36:37], s[34:35]
	s_cbranch_execnz .LBB311_477
	s_branch .LBB311_478
.LBB311_736:                            ;   in Loop: Header=BB311_10 Depth=1
	v_cmp_eq_u16_sdwa s[44:45], v12, s41 src0_sel:BYTE_0 src1_sel:DWORD
	s_mov_b64 vcc, -1
                                        ; implicit-def: $sgpr38
	s_and_saveexec_b64 s[36:37], s[44:45]
; %bb.737:                              ;   in Loop: Header=BB311_10 Depth=1
	s_mov_b32 s38, 0x7fc02000
	s_xor_b64 vcc, exec, -1
; %bb.738:                              ;   in Loop: Header=BB311_10 Depth=1
	s_or_b64 exec, exec, s[36:37]
	s_and_b64 vcc, vcc, exec
	s_or_saveexec_b64 s[34:35], s[34:35]
	v_mov_b32_e32 v14, s38
	s_xor_b64 exec, exec, s[34:35]
	s_cbranch_execz .LBB311_480
.LBB311_739:                            ;   in Loop: Header=BB311_10 Depth=1
	v_cmp_ne_u16_sdwa s[36:37], v12, v9 src0_sel:BYTE_0 src1_sel:DWORD
	s_andn2_b64 vcc, vcc, exec
	s_and_b64 s[36:37], s[36:37], exec
	v_mov_b32_e32 v14, 0
	s_or_b64 vcc, vcc, s[36:37]
	s_or_b64 exec, exec, s[34:35]
	s_and_saveexec_b64 s[34:35], vcc
	s_cbranch_execnz .LBB311_481
	s_branch .LBB311_482
.LBB311_740:                            ;   in Loop: Header=BB311_10 Depth=1
	v_cmp_eq_u16_e32 vcc, s41, v8
	s_mov_b64 s[34:35], -1
                                        ; implicit-def: $sgpr43
	s_and_saveexec_b64 s[38:39], vcc
; %bb.741:                              ;   in Loop: Header=BB311_10 Depth=1
	s_mov_b32 s43, 0x7fc02000
	s_xor_b64 s[34:35], exec, -1
; %bb.742:                              ;   in Loop: Header=BB311_10 Depth=1
	s_or_b64 exec, exec, s[38:39]
	s_and_b64 s[34:35], s[34:35], exec
	s_or_saveexec_b64 s[36:37], s[36:37]
	v_mov_b32_e32 v25, s43
	s_xor_b64 exec, exec, s[36:37]
	s_cbranch_execz .LBB311_484
.LBB311_743:                            ;   in Loop: Header=BB311_10 Depth=1
	v_cmp_ne_u16_e32 vcc, 0, v8
	s_andn2_b64 s[34:35], s[34:35], exec
	s_and_b64 vcc, vcc, exec
	v_mov_b32_e32 v25, 0
	s_or_b64 s[34:35], s[34:35], vcc
	s_or_b64 exec, exec, s[36:37]
	s_and_saveexec_b64 s[36:37], s[34:35]
	s_cbranch_execnz .LBB311_485
	s_branch .LBB311_486
.LBB311_744:                            ;   in Loop: Header=BB311_10 Depth=1
	v_cmp_eq_u16_sdwa s[44:45], v8, s41 src0_sel:BYTE_0 src1_sel:DWORD
	s_mov_b64 vcc, -1
                                        ; implicit-def: $sgpr38
	s_and_saveexec_b64 s[36:37], s[44:45]
; %bb.745:                              ;   in Loop: Header=BB311_10 Depth=1
	s_mov_b32 s38, 0x7fc02000
	s_xor_b64 vcc, exec, -1
; %bb.746:                              ;   in Loop: Header=BB311_10 Depth=1
	s_or_b64 exec, exec, s[36:37]
	s_and_b64 vcc, vcc, exec
	s_or_saveexec_b64 s[34:35], s[34:35]
	v_mov_b32_e32 v16, s38
	s_xor_b64 exec, exec, s[34:35]
	s_cbranch_execz .LBB311_488
.LBB311_747:                            ;   in Loop: Header=BB311_10 Depth=1
	v_cmp_ne_u16_sdwa s[36:37], v8, v9 src0_sel:BYTE_0 src1_sel:DWORD
	s_andn2_b64 vcc, vcc, exec
	s_and_b64 s[36:37], s[36:37], exec
	v_mov_b32_e32 v16, 0
	s_or_b64 vcc, vcc, s[36:37]
	s_or_b64 exec, exec, s[34:35]
	s_and_saveexec_b64 s[34:35], vcc
	s_cbranch_execnz .LBB311_489
	s_branch .LBB311_490
.LBB311_748:                            ;   in Loop: Header=BB311_10 Depth=1
	v_cmp_eq_u16_e32 vcc, s41, v8
	s_mov_b64 s[34:35], -1
                                        ; implicit-def: $sgpr43
	s_and_saveexec_b64 s[38:39], vcc
; %bb.749:                              ;   in Loop: Header=BB311_10 Depth=1
	s_mov_b32 s43, 0x7fc02000
	s_xor_b64 s[34:35], exec, -1
; %bb.750:                              ;   in Loop: Header=BB311_10 Depth=1
	s_or_b64 exec, exec, s[38:39]
	s_and_b64 s[34:35], s[34:35], exec
	s_or_saveexec_b64 s[36:37], s[36:37]
	v_mov_b32_e32 v30, s43
	s_xor_b64 exec, exec, s[36:37]
	s_cbranch_execz .LBB311_492
.LBB311_751:                            ;   in Loop: Header=BB311_10 Depth=1
	v_cmp_ne_u16_e32 vcc, 0, v8
	s_andn2_b64 s[34:35], s[34:35], exec
	s_and_b64 vcc, vcc, exec
	v_mov_b32_e32 v30, 0
	s_or_b64 s[34:35], s[34:35], vcc
	s_or_b64 exec, exec, s[36:37]
	s_and_saveexec_b64 s[36:37], s[34:35]
	s_cbranch_execnz .LBB311_493
	s_branch .LBB311_494
.LBB311_752:                            ;   in Loop: Header=BB311_10 Depth=1
	v_cmp_eq_u16_sdwa s[44:45], v12, s41 src0_sel:BYTE_0 src1_sel:DWORD
	s_mov_b64 vcc, -1
                                        ; implicit-def: $sgpr38
	s_and_saveexec_b64 s[36:37], s[44:45]
; %bb.753:                              ;   in Loop: Header=BB311_10 Depth=1
	s_mov_b32 s38, 0x7fc02000
	s_xor_b64 vcc, exec, -1
; %bb.754:                              ;   in Loop: Header=BB311_10 Depth=1
	s_or_b64 exec, exec, s[36:37]
	s_and_b64 vcc, vcc, exec
	s_or_saveexec_b64 s[34:35], s[34:35]
	v_mov_b32_e32 v34, s38
	s_xor_b64 exec, exec, s[34:35]
	s_cbranch_execz .LBB311_496
.LBB311_755:                            ;   in Loop: Header=BB311_10 Depth=1
	v_cmp_ne_u16_sdwa s[36:37], v12, v9 src0_sel:BYTE_0 src1_sel:DWORD
	s_andn2_b64 vcc, vcc, exec
	s_and_b64 s[36:37], s[36:37], exec
	v_mov_b32_e32 v34, 0
	s_or_b64 vcc, vcc, s[36:37]
	s_or_b64 exec, exec, s[34:35]
	s_and_saveexec_b64 s[34:35], vcc
	s_cbranch_execnz .LBB311_497
	s_branch .LBB311_498
.LBB311_756:                            ;   in Loop: Header=BB311_10 Depth=1
	v_cmp_eq_u16_e32 vcc, s41, v8
	s_mov_b64 s[34:35], -1
                                        ; implicit-def: $sgpr43
	s_and_saveexec_b64 s[38:39], vcc
; %bb.757:                              ;   in Loop: Header=BB311_10 Depth=1
	s_mov_b32 s43, 0x7fc02000
	s_xor_b64 s[34:35], exec, -1
; %bb.758:                              ;   in Loop: Header=BB311_10 Depth=1
	s_or_b64 exec, exec, s[38:39]
	s_and_b64 s[34:35], s[34:35], exec
	s_or_saveexec_b64 s[36:37], s[36:37]
	v_mov_b32_e32 v38, s43
	s_xor_b64 exec, exec, s[36:37]
	s_cbranch_execz .LBB311_500
.LBB311_759:                            ;   in Loop: Header=BB311_10 Depth=1
	v_cmp_ne_u16_e32 vcc, 0, v8
	s_andn2_b64 s[34:35], s[34:35], exec
	s_and_b64 vcc, vcc, exec
	v_mov_b32_e32 v38, 0
	s_or_b64 s[34:35], s[34:35], vcc
	s_or_b64 exec, exec, s[36:37]
	s_and_saveexec_b64 s[36:37], s[34:35]
	s_cbranch_execnz .LBB311_501
	s_branch .LBB311_502
.LBB311_760:                            ;   in Loop: Header=BB311_10 Depth=1
	v_cmp_eq_u16_sdwa s[44:45], v8, s41 src0_sel:BYTE_0 src1_sel:DWORD
	s_mov_b64 vcc, -1
                                        ; implicit-def: $sgpr38
	s_and_saveexec_b64 s[36:37], s[44:45]
; %bb.761:                              ;   in Loop: Header=BB311_10 Depth=1
	s_mov_b32 s38, 0x7fc02000
	s_xor_b64 vcc, exec, -1
; %bb.762:                              ;   in Loop: Header=BB311_10 Depth=1
	s_or_b64 exec, exec, s[36:37]
	s_and_b64 vcc, vcc, exec
	s_or_saveexec_b64 s[34:35], s[34:35]
	v_mov_b32_e32 v7, s38
	s_xor_b64 exec, exec, s[34:35]
	s_cbranch_execz .LBB311_504
.LBB311_763:                            ;   in Loop: Header=BB311_10 Depth=1
	v_cmp_ne_u16_sdwa s[36:37], v8, v9 src0_sel:BYTE_0 src1_sel:DWORD
	s_andn2_b64 vcc, vcc, exec
	s_and_b64 s[36:37], s[36:37], exec
	v_mov_b32_e32 v7, 0
	s_or_b64 vcc, vcc, s[36:37]
	s_or_b64 exec, exec, s[34:35]
	s_and_saveexec_b64 s[34:35], vcc
	s_cbranch_execnz .LBB311_505
	s_branch .LBB311_506
.LBB311_764:                            ;   in Loop: Header=BB311_10 Depth=1
	v_cmp_eq_u16_e32 vcc, s41, v8
	s_mov_b64 s[34:35], -1
                                        ; implicit-def: $sgpr43
	s_and_saveexec_b64 s[38:39], vcc
; %bb.765:                              ;   in Loop: Header=BB311_10 Depth=1
	s_mov_b32 s43, 0x7fc02000
	s_xor_b64 s[34:35], exec, -1
; %bb.766:                              ;   in Loop: Header=BB311_10 Depth=1
	s_or_b64 exec, exec, s[38:39]
	s_and_b64 s[34:35], s[34:35], exec
	s_or_saveexec_b64 s[36:37], s[36:37]
	v_mov_b32_e32 v39, s43
	s_xor_b64 exec, exec, s[36:37]
	s_cbranch_execz .LBB311_508
.LBB311_767:                            ;   in Loop: Header=BB311_10 Depth=1
	v_cmp_ne_u16_e32 vcc, 0, v8
	s_andn2_b64 s[34:35], s[34:35], exec
	s_and_b64 vcc, vcc, exec
	v_mov_b32_e32 v39, 0
	s_or_b64 s[34:35], s[34:35], vcc
	s_or_b64 exec, exec, s[36:37]
	s_and_saveexec_b64 s[36:37], s[34:35]
	s_cbranch_execnz .LBB311_509
	s_branch .LBB311_510
.LBB311_768:                            ;   in Loop: Header=BB311_10 Depth=1
	v_cmp_eq_u16_sdwa s[44:45], v12, s41 src0_sel:BYTE_0 src1_sel:DWORD
	s_mov_b64 vcc, -1
                                        ; implicit-def: $sgpr38
	s_and_saveexec_b64 s[36:37], s[44:45]
; %bb.769:                              ;   in Loop: Header=BB311_10 Depth=1
	s_mov_b32 s38, 0x7fc02000
	s_xor_b64 vcc, exec, -1
; %bb.770:                              ;   in Loop: Header=BB311_10 Depth=1
	s_or_b64 exec, exec, s[36:37]
	s_and_b64 vcc, vcc, exec
	s_or_saveexec_b64 s[34:35], s[34:35]
	v_mov_b32_e32 v21, s38
	s_xor_b64 exec, exec, s[34:35]
	s_cbranch_execz .LBB311_512
.LBB311_771:                            ;   in Loop: Header=BB311_10 Depth=1
	v_cmp_ne_u16_sdwa s[36:37], v12, v9 src0_sel:BYTE_0 src1_sel:DWORD
	s_andn2_b64 vcc, vcc, exec
	s_and_b64 s[36:37], s[36:37], exec
	v_mov_b32_e32 v21, 0
	s_or_b64 vcc, vcc, s[36:37]
	s_or_b64 exec, exec, s[34:35]
	s_and_saveexec_b64 s[34:35], vcc
	s_cbranch_execnz .LBB311_513
	s_branch .LBB311_514
.LBB311_772:                            ;   in Loop: Header=BB311_10 Depth=1
	v_cmp_eq_u16_e32 vcc, s41, v8
	s_mov_b64 s[34:35], -1
                                        ; implicit-def: $sgpr43
	s_and_saveexec_b64 s[38:39], vcc
; %bb.773:                              ;   in Loop: Header=BB311_10 Depth=1
	s_mov_b32 s43, 0x7fc02000
	s_xor_b64 s[34:35], exec, -1
; %bb.774:                              ;   in Loop: Header=BB311_10 Depth=1
	s_or_b64 exec, exec, s[38:39]
	s_and_b64 s[34:35], s[34:35], exec
	s_or_saveexec_b64 s[36:37], s[36:37]
	v_mov_b32_e32 v15, s43
	s_xor_b64 exec, exec, s[36:37]
	s_cbranch_execz .LBB311_516
.LBB311_775:                            ;   in Loop: Header=BB311_10 Depth=1
	v_cmp_ne_u16_e32 vcc, 0, v8
	s_andn2_b64 s[34:35], s[34:35], exec
	s_and_b64 vcc, vcc, exec
	v_mov_b32_e32 v15, 0
	s_or_b64 s[34:35], s[34:35], vcc
	s_or_b64 exec, exec, s[36:37]
	s_and_saveexec_b64 s[36:37], s[34:35]
	s_cbranch_execnz .LBB311_517
	s_branch .LBB311_518
.LBB311_776:                            ;   in Loop: Header=BB311_10 Depth=1
	v_cmp_eq_u16_sdwa s[44:45], v8, s41 src0_sel:BYTE_0 src1_sel:DWORD
	s_mov_b64 vcc, -1
                                        ; implicit-def: $sgpr38
	s_and_saveexec_b64 s[36:37], s[44:45]
; %bb.777:                              ;   in Loop: Header=BB311_10 Depth=1
	s_mov_b32 s38, 0x7fc02000
	s_xor_b64 vcc, exec, -1
; %bb.778:                              ;   in Loop: Header=BB311_10 Depth=1
	s_or_b64 exec, exec, s[36:37]
	s_and_b64 vcc, vcc, exec
	s_or_saveexec_b64 s[34:35], s[34:35]
	v_mov_b32_e32 v27, s38
	s_xor_b64 exec, exec, s[34:35]
	s_cbranch_execz .LBB311_520
.LBB311_779:                            ;   in Loop: Header=BB311_10 Depth=1
	v_cmp_ne_u16_sdwa s[36:37], v8, v9 src0_sel:BYTE_0 src1_sel:DWORD
	s_andn2_b64 vcc, vcc, exec
	s_and_b64 s[36:37], s[36:37], exec
	v_mov_b32_e32 v27, 0
	s_or_b64 vcc, vcc, s[36:37]
	s_or_b64 exec, exec, s[34:35]
	s_and_saveexec_b64 s[34:35], vcc
	s_cbranch_execnz .LBB311_521
	s_branch .LBB311_522
.LBB311_780:
	s_or_b64 exec, exec, s[22:23]
	scratch_load_dword v19, off, s32 offset:372 ; 4-byte Folded Reload
	scratch_load_dword v10, off, s32 offset:324 ; 4-byte Folded Reload
.LBB311_781:
	s_or_b64 exec, exec, s[6:7]
	v_accvgpr_read_b32 v8, a29
	v_xor_b32_e32 v1, 32, v8
	v_cmp_lt_i32_e32 vcc, v1, v0
	v_xor_b32_e32 v4, 16, v8
	s_waitcnt vmcnt(0)
	v_max_f32_e32 v3, v10, v10
	v_cndmask_b32_e32 v1, v8, v1, vcc
	v_lshlrev_b32_e32 v2, 2, v1
	ds_bpermute_b32 v1, v2, v10
	v_cmp_lt_i32_e32 vcc, v4, v0
	v_xor_b32_e32 v5, 8, v8
	v_xor_b32_e32 v6, 4, v8
	v_xor_b32_e32 v7, 2, v8
	s_waitcnt lgkmcnt(0)
	v_max_f32_e32 v1, v1, v1
	v_max_f32_e32 v1, v3, v1
	v_cndmask_b32_e32 v3, v8, v4, vcc
	v_lshlrev_b32_e32 v3, 2, v3
	ds_bpermute_b32 v4, v3, v1
	v_cmp_lt_i32_e32 vcc, v5, v0
	v_and_b32_e32 v26, 63, v19
	s_lshr_b32 s24, s40, 16
	s_waitcnt lgkmcnt(0)
	v_max_f32_e32 v4, v4, v4
	v_max_f32_e32 v1, v1, v4
	v_cndmask_b32_e32 v4, v8, v5, vcc
	v_lshlrev_b32_e32 v4, 2, v4
	ds_bpermute_b32 v5, v4, v1
	v_cmp_lt_i32_e32 vcc, v6, v0
	s_waitcnt lgkmcnt(0)
	v_max_f32_e32 v5, v5, v5
	v_max_f32_e32 v1, v1, v5
	v_cndmask_b32_e32 v5, v8, v6, vcc
	v_lshlrev_b32_e32 v5, 2, v5
	ds_bpermute_b32 v6, v5, v1
	v_cmp_lt_i32_e32 vcc, v7, v0
	s_waitcnt lgkmcnt(0)
	v_max_f32_e32 v6, v6, v6
	v_max_f32_e32 v1, v1, v6
	v_cndmask_b32_e32 v6, v8, v7, vcc
	v_lshlrev_b32_e32 v27, 2, v6
	scratch_load_dword v6, off, s32 offset:360 ; 4-byte Folded Reload
	ds_bpermute_b32 v7, v27, v1
	v_cmp_eq_u32_e32 vcc, 0, v26
	s_waitcnt vmcnt(0)
	v_lshlrev_b32_e32 v6, 2, v6
	s_and_saveexec_b64 s[2:3], vcc
	s_cbranch_execz .LBB311_783
; %bb.782:
	s_waitcnt lgkmcnt(0)
	v_max_f32_e32 v7, v7, v7
	v_max_f32_e32 v1, v1, v1
	;; [unrolled: 1-line block ×3, first 2 shown]
	ds_write_b32 v6, v1 offset:384
.LBB311_783:
	s_or_b64 exec, exec, s[2:3]
	v_cmp_gt_u32_e64 s[2:3], 2, v26
	v_mov_b32_e32 v1, 0xff7fffff
	s_waitcnt lgkmcnt(0)
	v_lshlrev_b32_e32 v7, 2, v26
	s_barrier
	s_and_saveexec_b64 s[4:5], s[2:3]
	s_cbranch_execz .LBB311_785
; %bb.784:
	ds_read_b32 v1, v7 offset:384
.LBB311_785:
	s_or_b64 exec, exec, s[4:5]
	v_accvgpr_read_b32 v10, a29
	v_xor_b32_e32 v8, 1, v10
	v_cmp_lt_i32_e64 s[4:5], v8, v0
	s_nop 1
	v_cndmask_b32_e64 v0, v10, v8, s[4:5]
	scratch_load_dword v8, off, s32 offset:320 ; 4-byte Folded Reload
	v_lshlrev_b32_e32 v28, 2, v0
	s_waitcnt lgkmcnt(0)
	ds_bpermute_b32 v0, v28, v1
	v_max_f32_e32 v1, v1, v1
	s_waitcnt lgkmcnt(0)
	v_max_f32_e32 v0, v0, v0
	v_max_f32_e32 v0, v1, v0
	v_lshlrev_b32_e32 v1, 2, v10
	v_accvgpr_read_b32 v10, a8
	s_waitcnt vmcnt(0)
	v_subrev_u32_e32 v8, s19, v8
	v_lshl_add_u32 v9, v8, 5, s21
	v_and_b32_e32 v8, 0xffffff00, v1
	ds_bpermute_b32 v0, v8, v0
	v_min_i32_e32 v9, v9, v10
	v_subrev_u32_e32 v1, s21, v9
	v_cmp_lt_i32_e64 s[4:5], v19, v1
	v_mov_b32_e32 v10, 0
	s_and_saveexec_b64 s[8:9], s[4:5]
	s_cbranch_execz .LBB311_789
; %bb.786:
	s_ashr_i32 s17, s16, 31
	s_lshl_b64 s[6:7], s[16:17], 2
	s_getpc_b64 s[22:23]
	s_add_u32 s22, s22, llvm.amdgcn.dynlds.offset.table@rel32@lo+4
	s_addc_u32 s23, s23, llvm.amdgcn.dynlds.offset.table@rel32@hi+12
	s_add_u32 s6, s6, s22
	s_addc_u32 s7, s7, s23
	s_load_dword s6, s[6:7], 0x0
	s_mov_b64 s[22:23], 0
	v_mov_b32_e32 v10, 0
	v_mov_b32_e32 v12, v19
	s_waitcnt lgkmcnt(0)
	v_lshl_add_u32 v11, v19, 2, s6
.LBB311_787:                            ; =>This Inner Loop Header: Depth=1
	ds_read_b32 v13, v11
	v_add_u32_e32 v12, 0x80, v12
	v_cmp_ge_i32_e64 s[6:7], v12, v1
	s_or_b64 s[22:23], s[6:7], s[22:23]
	s_waitcnt lgkmcnt(0)
	v_sub_f32_e32 v13, v13, v0
	v_mul_f32_e32 v13, 0x3fb8aa3b, v13
	v_exp_f32_e32 v13, v13
	ds_write_b32 v11, v13
	v_add_f32_e32 v10, v10, v13
	v_add_u32_e32 v11, 0x200, v11
	s_andn2_b64 exec, exec, s[22:23]
	s_cbranch_execnz .LBB311_787
; %bb.788:
	s_or_b64 exec, exec, s[22:23]
.LBB311_789:
	s_or_b64 exec, exec, s[8:9]
	ds_bpermute_b32 v2, v2, v10
	s_waitcnt lgkmcnt(0)
	v_add_f32_e32 v2, v10, v2
	ds_bpermute_b32 v3, v3, v2
	s_waitcnt lgkmcnt(0)
	v_add_f32_e32 v2, v2, v3
	;; [unrolled: 3-line block ×6, first 2 shown]
	s_and_saveexec_b64 s[6:7], vcc
	s_cbranch_execz .LBB311_791
; %bb.790:
	ds_write_b32 v6, v2 offset:392
.LBB311_791:
	s_or_b64 exec, exec, s[6:7]
	s_waitcnt lgkmcnt(0)
	s_barrier
	s_and_saveexec_b64 s[6:7], s[2:3]
	s_cbranch_execz .LBB311_793
; %bb.792:
	ds_read_b32 v2, v7 offset:392
.LBB311_793:
	s_or_b64 exec, exec, s[6:7]
	s_waitcnt lgkmcnt(0)
	ds_bpermute_b32 v3, v28, v2
	s_waitcnt lgkmcnt(0)
	v_add_f32_e32 v2, v2, v3
	ds_bpermute_b32 v2, v8, v2
	s_and_saveexec_b64 s[2:3], s[4:5]
	s_cbranch_execz .LBB311_806
; %bb.794:
	s_waitcnt lgkmcnt(0)
	v_add_f32_e32 v3, 0x358637bd, v2
	v_div_scale_f32 v4, s[4:5], v3, v3, 1.0
	v_rcp_f32_e32 v5, v4
	v_div_scale_f32 v6, vcc, 1.0, v3, 1.0
	s_movk_i32 s4, 0x7f
	v_fma_f32 v7, -v4, v5, 1.0
	v_fmac_f32_e32 v5, v7, v5
	v_mul_f32_e32 v7, v6, v5
	v_fma_f32 v8, -v4, v7, v6
	v_fmac_f32_e32 v7, v8, v5
	v_fma_f32 v4, -v4, v7, v6
	v_div_fmas_f32 v4, v4, v5, v7
	v_div_fixup_f32 v8, v4, v3, 1.0
	v_xad_u32 v3, v19, -1, v9
	v_subrev_u32_e32 v4, s21, v3
	v_cmp_lt_u32_e32 vcc, s4, v4
	s_mov_b64 s[6:7], -1
	v_mov_b32_e32 v3, v19
	s_and_saveexec_b64 s[4:5], vcc
	s_cbranch_execz .LBB311_803
; %bb.795:
	v_lshrrev_b32_e32 v3, 7, v4
	v_add_u32_e32 v5, -1, v3
	v_lshrrev_b32_e32 v4, 1, v5
	v_mov_b32_e32 v9, v8
	v_add_u32_e32 v4, 1, v4
	v_cmp_lt_u32_e32 vcc, 13, v5
	v_mov_b32_e32 v7, 0
	s_and_saveexec_b64 s[6:7], vcc
	s_cbranch_execz .LBB311_799
; %bb.796:
	s_ashr_i32 s17, s16, 31
	s_lshl_b64 s[8:9], s[16:17], 2
	s_getpc_b64 s[22:23]
	s_add_u32 s22, s22, llvm.amdgcn.dynlds.offset.table@rel32@lo+4
	s_addc_u32 s23, s23, llvm.amdgcn.dynlds.offset.table@rel32@hi+12
	s_add_u32 s8, s8, s22
	s_addc_u32 s9, s9, s23
	s_load_dword s8, s[8:9], 0x0
	v_and_b32_e32 v5, -8, v4
	s_mov_b32 s17, 0
	s_waitcnt lgkmcnt(0)
	v_lshl_add_u32 v6, v19, 2, s8
	s_mov_b64 s[8:9], 0
.LBB311_797:                            ; =>This Inner Loop Header: Depth=1
	ds_read2st64_b32 v[10:11], v6 offset1:2
	ds_read2st64_b32 v[12:13], v6 offset0:4 offset1:6
	ds_read2st64_b32 v[14:15], v6 offset0:8 offset1:10
	;; [unrolled: 1-line block ×3, first 2 shown]
	v_add_u32_e32 v5, -8, v5
	s_waitcnt lgkmcnt(3)
	v_pk_mul_f32 v[10:11], v[8:9], v[10:11]
	s_waitcnt lgkmcnt(2)
	v_pk_mul_f32 v[12:13], v[8:9], v[12:13]
	ds_write2st64_b32 v6, v10, v11 offset1:2
	ds_write2st64_b32 v6, v12, v13 offset0:4 offset1:6
	ds_read2st64_b32 v[12:13], v6 offset0:16 offset1:18
	s_waitcnt lgkmcnt(4)
	v_pk_mul_f32 v[10:11], v[8:9], v[14:15]
	ds_write2st64_b32 v6, v10, v11 offset0:8 offset1:10
	s_waitcnt lgkmcnt(4)
	v_pk_mul_f32 v[10:11], v[8:9], v[16:17]
	ds_write2st64_b32 v6, v10, v11 offset0:12 offset1:14
	ds_read2st64_b32 v[10:11], v6 offset0:20 offset1:22
	s_waitcnt lgkmcnt(3)
	v_pk_mul_f32 v[12:13], v[8:9], v[12:13]
	ds_read2st64_b32 v[14:15], v6 offset0:24 offset1:26
	ds_write2st64_b32 v6, v12, v13 offset0:16 offset1:18
	ds_read2st64_b32 v[12:13], v6 offset0:28 offset1:30
	s_waitcnt lgkmcnt(3)
	v_pk_mul_f32 v[10:11], v[8:9], v[10:11]
	ds_write2st64_b32 v6, v10, v11 offset0:20 offset1:22
	s_waitcnt lgkmcnt(3)
	v_pk_mul_f32 v[10:11], v[8:9], v[14:15]
	ds_write2st64_b32 v6, v10, v11 offset0:24 offset1:26
	s_waitcnt lgkmcnt(2)
	v_pk_mul_f32 v[10:11], v[8:9], v[12:13]
	s_add_i32 s17, s17, 16
	v_cmp_eq_u32_e32 vcc, 0, v5
	ds_write2st64_b32 v6, v10, v11 offset0:28 offset1:30
	v_add_u32_e32 v6, 0x2000, v6
	s_or_b64 s[8:9], vcc, s[8:9]
	v_mov_b32_e32 v7, s17
	s_andn2_b64 exec, exec, s[8:9]
	s_cbranch_execnz .LBB311_797
; %bb.798:
	s_or_b64 exec, exec, s[8:9]
.LBB311_799:
	s_or_b64 exec, exec, s[6:7]
	v_and_b32_e32 v4, 7, v4
	v_cmp_ne_u32_e32 vcc, 0, v4
	s_and_saveexec_b64 s[6:7], vcc
	s_cbranch_execz .LBB311_802
; %bb.800:
	s_ashr_i32 s17, s16, 31
	s_lshl_b64 s[8:9], s[16:17], 2
	s_getpc_b64 s[22:23]
	s_add_u32 s22, s22, llvm.amdgcn.dynlds.offset.table@rel32@lo+4
	s_addc_u32 s23, s23, llvm.amdgcn.dynlds.offset.table@rel32@hi+12
	s_add_u32 s8, s8, s22
	s_addc_u32 s9, s9, s23
	s_load_dword s8, s[8:9], 0x0
	v_lshlrev_b32_e32 v5, 9, v7
	v_lshlrev_b32_e32 v6, 2, v19
	s_waitcnt lgkmcnt(0)
	v_add3_u32 v5, v5, v6, s8
	s_mov_b64 s[8:9], 0
.LBB311_801:                            ; =>This Inner Loop Header: Depth=1
	ds_read2st64_b32 v[6:7], v5 offset1:2
	v_add_u32_e32 v4, -1, v4
	v_cmp_eq_u32_e32 vcc, 0, v4
	s_or_b64 s[8:9], vcc, s[8:9]
	s_waitcnt lgkmcnt(0)
	v_pk_mul_f32 v[6:7], v[8:9], v[6:7]
	ds_write2st64_b32 v5, v6, v7 offset1:2
	v_add_u32_e32 v5, 0x400, v5
	s_andn2_b64 exec, exec, s[8:9]
	s_cbranch_execnz .LBB311_801
.LBB311_802:
	s_or_b64 exec, exec, s[6:7]
	v_add_u32_e32 v4, 1, v3
	v_and_b32_e32 v5, 0x3fffffe, v4
	v_cmp_ne_u32_e32 vcc, v4, v5
	v_lshl_add_u32 v3, v5, 7, v19
	s_orn2_b64 s[6:7], vcc, exec
.LBB311_803:
	s_or_b64 exec, exec, s[4:5]
	s_and_b64 exec, exec, s[6:7]
	s_cbranch_execz .LBB311_806
; %bb.804:
	s_ashr_i32 s17, s16, 31
	s_lshl_b64 s[4:5], s[16:17], 2
	s_getpc_b64 s[6:7]
	s_add_u32 s6, s6, llvm.amdgcn.dynlds.offset.table@rel32@lo+4
	s_addc_u32 s7, s7, llvm.amdgcn.dynlds.offset.table@rel32@hi+12
	s_add_u32 s4, s4, s6
	s_addc_u32 s5, s5, s7
	s_load_dword s4, s[4:5], 0x0
	s_waitcnt lgkmcnt(0)
	v_lshl_add_u32 v4, v3, 2, s4
	s_mov_b64 s[4:5], 0
.LBB311_805:                            ; =>This Inner Loop Header: Depth=1
	ds_read_b32 v5, v4
	v_add_u32_e32 v3, 0x80, v3
	v_cmp_ge_i32_e32 vcc, v3, v1
	s_or_b64 s[4:5], vcc, s[4:5]
	s_waitcnt lgkmcnt(0)
	v_mul_f32_e32 v5, v8, v5
	ds_write_b32 v4, v5
	v_add_u32_e32 v4, 0x200, v4
	s_andn2_b64 exec, exec, s[4:5]
	s_cbranch_execnz .LBB311_805
.LBB311_806:
	s_or_b64 exec, exec, s[2:3]
	v_cmp_ne_u16_e64 s[2:3], s24, 0
	s_cmp_lg_u64 s[2:3], 0
	s_addc_u32 s19, s13, 0
	s_mul_i32 s2, s19, s20
	v_cmp_eq_u32_e32 vcc, 0, v19
	s_mul_i32 s2, s2, s15
	s_waitcnt lgkmcnt(0)
	s_barrier
	s_and_saveexec_b64 s[4:5], vcc
	s_cbranch_execz .LBB311_808
; %bb.807:
	scratch_load_dwordx2 v[4:5], off, s32 offset:432 ; 8-byte Folded Reload
	s_mul_i32 s8, s19, s12
	s_ashr_i32 s3, s2, 31
	s_ashr_i32 s9, s8, 31
	;; [unrolled: 1-line block ×3, first 2 shown]
	s_lshl_b64 s[6:7], s[2:3], 2
	s_lshl_b64 s[8:9], s[8:9], 2
	;; [unrolled: 1-line block ×3, first 2 shown]
	s_add_u32 s3, s12, s8
	s_addc_u32 s8, s13, s9
	s_add_u32 s6, s3, s6
	s_addc_u32 s7, s8, s7
	s_waitcnt vmcnt(0)
	v_lshl_add_u64 v[4:5], s[6:7], 0, v[4:5]
	flat_store_dword v[4:5], v0
	scratch_load_dwordx2 v[0:1], off, s32 offset:424 ; 8-byte Folded Reload
	s_waitcnt vmcnt(0)
	v_lshl_add_u64 v[0:1], s[6:7], 0, v[0:1]
	flat_store_dword v[0:1], v2
.LBB311_808:
	s_or_b64 exec, exec, s[4:5]
	v_mov_b32_e32 v30, 0
	v_and_b32_e32 v32, 3, v19
	v_mov_b32_e32 v31, 0
	v_mov_b32_e32 v24, 0
	v_mov_b32_e32 v25, 0
	v_mov_b32_e32 v12, 0
	v_mov_b32_e32 v13, 0
	v_mov_b32_e32 v8, 0
	v_mov_b32_e32 v9, 0
	v_mov_b32_e32 v2, 0
	v_mov_b32_e32 v3, 0
	v_mov_b32_e32 v0, 0
	v_mov_b32_e32 v1, 0
	s_and_saveexec_b64 s[4:5], s[0:1]
	s_cbranch_execz .LBB311_1604
; %bb.809:
	s_ashr_i32 s17, s16, 31
	s_lshl_b64 s[0:1], s[16:17], 2
	s_getpc_b64 s[6:7]
	s_add_u32 s6, s6, llvm.amdgcn.dynlds.offset.table@rel32@lo+4
	s_addc_u32 s7, s7, llvm.amdgcn.dynlds.offset.table@rel32@hi+12
	s_add_u32 s0, s0, s6
	s_addc_u32 s1, s1, s7
	scratch_load_dwordx2 v[4:5], off, s32 offset:412 ; 8-byte Folded Reload
	s_load_dword s0, s[0:1], 0x0
	scratch_load_dwordx2 v[6:7], off, s32 offset:404 ; 8-byte Folded Reload
	scratch_load_dwordx2 v[0:1], off, s32 offset:384 ; 8-byte Folded Reload
	v_mov_b32_e32 v29, 0
	s_waitcnt vmcnt(0)
	v_mov_b32_e32 v5, v29
	v_accvgpr_write_b32 a18, v28
	v_accvgpr_write_b32 a17, v27
	;; [unrolled: 1-line block ×3, first 2 shown]
	v_accvgpr_read_b32 v17, a8
	v_accvgpr_write_b32 a9, v32
	s_mov_b64 s[6:7], 0
	s_movk_i32 s3, 0x7f
	s_movk_i32 s15, 0x80
	s_mov_b32 s17, 0x8000
	s_movk_i32 s22, 0x380
	s_mov_b32 s23, 0x3020706
	s_mov_b32 s24, 0x1000504
	s_mov_b32 s25, 0x5040100
	v_mov_b32_e32 v57, 0x1c00
	v_mov_b32_e32 v3, 0
	;; [unrolled: 1-line block ×10, first 2 shown]
	v_and_b32_e32 v2, 24, v4
	v_lshl_add_u64 v[0:1], v[0:1], 0, v[6:7]
	v_accvgpr_write_b32 a15, v1
	v_accvgpr_write_b32 a14, v0
	scratch_load_dword v0, off, s32 offset:420 ; 4-byte Folded Reload
	v_mov_b32_e32 v1, v29
	s_waitcnt vmcnt(0)
	v_add_u32_e32 v0, -1, v0
	v_accvgpr_write_b32 a19, v0
	v_and_b32_e32 v0, 0x1f8, v4
	v_or_b32_e32 v4, 0x1000, v0
	v_accvgpr_write_b32 a27, v5
	v_accvgpr_write_b32 a26, v4
	v_or_b32_e32 v4, 0x1200, v0
	v_accvgpr_write_b32 a29, v5
	v_accvgpr_write_b32 a28, v4
	v_or_b32_e32 v4, 0x1400, v0
	v_accvgpr_write_b32 a31, v5
	v_accvgpr_write_b32 a30, v4
	scratch_load_dwordx2 v[4:5], off, s32 offset:392 ; 8-byte Folded Reload
	v_accvgpr_write_b32 a25, v1
	v_accvgpr_write_b32 a24, v0
	v_or_b32_e32 v0, 0x1600, v0
	v_accvgpr_write_b32 a33, v1
	v_accvgpr_write_b32 a32, v0
	v_accvgpr_read_b32 v0, a10
	v_accvgpr_read_b32 v1, a11
	v_lshlrev_b64 v[0:1], 2, v[0:1]
	s_waitcnt vmcnt(0)
	v_lshl_add_u64 v[0:1], v[4:5], 2, v[0:1]
	scratch_load_dwordx2 v[4:5], off, s32 offset:364 ; 8-byte Folded Reload
	s_waitcnt vmcnt(0)
	v_lshl_add_u64 v[14:15], v[4:5], 0, v[0:1]
	scratch_load_dword v0, off, s32 offset:400 ; 4-byte Folded Reload
	scratch_load_dword v1, off, s32 offset:360 ; 4-byte Folded Reload
	s_waitcnt vmcnt(0)
	v_add3_u32 v7, s21, v0, v2
	v_lshlrev_b32_e32 v0, 5, v32
	v_lshl_or_b32 v0, v1, 7, v0
	s_waitcnt lgkmcnt(0)
	v_add_u32_e32 v23, s0, v0
	v_mov_b32_e32 v1, 0
	v_mov_b32_e32 v0, 0
	;; [unrolled: 1-line block ×3, first 2 shown]
	s_branch .LBB311_811
.LBB311_810:                            ;   in Loop: Header=BB311_811 Depth=1
	s_or_b64 exec, exec, s[0:1]
	v_add_f32_e32 v6, v6, v38
	v_add_f32_e32 v9, v9, v6
	v_add_f32_e32 v6, v40, v41
	v_add_f32_e32 v8, v8, v6
	v_add_f32_e32 v6, v22, v37
	v_add_f32_e32 v13, v13, v6
	v_add_f32_e32 v6, v35, v36
	v_add_f32_e32 v12, v12, v6
	v_add_f32_e32 v6, v33, v34
	v_add_f32_e32 v10, v16, v27
	v_add_f32_e32 v25, v25, v6
	v_add_f32_e32 v6, v43, v32
	v_add_f32_e32 v0, v0, v10
	v_add_f32_e32 v10, v21, v26
	v_add_f32_e32 v24, v24, v6
	v_accvgpr_read_b32 v6, a12
	v_add_f32_e32 v3, v3, v10
	v_add_f32_e32 v10, v39, v20
	;; [unrolled: 1-line block ×5, first 2 shown]
	v_accvgpr_read_b32 v6, a7
	v_accvgpr_read_b32 v10, a11
	v_add_f32_e32 v6, v6, v10
	v_add_f32_e32 v30, v30, v6
	;;#ASMSTART
	v_pk_mul_f16 v6, v42, v49;

	;;#ASMEND
	;;#ASMSTART
	v_pk_mul_f16 v5, v5, v28;

	;;#ASMEND
	;; [unrolled: 4-line block ×4, first 2 shown]
	v_lshl_add_u64 v[14:15], v[14:15], 0, 8
	;;#ASMSTART
	v_pk_add_f16 v5, v6, v5;

	;;#ASMEND
	v_accvgpr_read_b32 v6, a10
	;;#ASMSTART
	v_pk_add_f16 v4, v5, v4;

	;;#ASMEND
	v_add_u32_e32 v6, 2, v6
	;;#ASMSTART
	v_pk_add_f16 v4, v4, v10;

	;;#ASMEND
	v_add_u32_e32 v7, 64, v7
	v_lshrrev_b32_e32 v5, 16, v4
	v_and_b32_e32 v4, 0xffff, v4
	;;#ASMSTART
	v_cvt_f32_f16 v4, v4;
	;;#ASMEND
	;;#ASMSTART
	v_cvt_f32_f16 v5, v5;
	;;#ASMEND
	v_accvgpr_write_b32 a10, v6
	v_add_f32_e32 v4, v4, v5
	v_add_f32_e32 v1, v1, v4
	scratch_load_dword v4, off, s32 offset:320 ; 4-byte Folded Reload
	v_add_u32_e32 v23, 0x100, v23
	s_waitcnt vmcnt(0)
	v_cmp_ge_i32_e32 vcc, v6, v4
	s_or_b64 s[6:7], vcc, s[6:7]
	s_andn2_b64 exec, exec, s[6:7]
	s_cbranch_execz .LBB311_1603
.LBB311_811:                            ; =>This Inner Loop Header: Depth=1
	ds_read2_b64 v[18:21], v23 offset1:1
	ds_read2_b64 v[32:35], v23 offset0:2 offset1:3
	v_accvgpr_read_b32 v27, a15
	v_accvgpr_read_b32 v22, a6
	;; [unrolled: 1-line block ×3, first 2 shown]
	s_waitcnt lgkmcnt(1)
	;;#ASMSTART
	v_cvt_f16_f32 v4, v18;

	;;#ASMEND
	;;#ASMSTART
	v_cvt_f16_f32 v5, v19;

	;;#ASMEND
	;; [unrolled: 4-line block ×4, first 2 shown]
	s_waitcnt lgkmcnt(0)
	;;#ASMSTART
	v_cvt_f16_f32 v11, v32;

	;;#ASMEND
	;;#ASMSTART
	v_cvt_f16_f32 v16, v33;

	;;#ASMEND
	;;#ASMSTART
	v_cvt_f16_f32 v20, v34;

	;;#ASMEND
	;;#ASMSTART
	v_cvt_f16_f32 v21, v35;

	;;#ASMEND
	flat_load_dword v18, v[14:15]
                                        ; implicit-def: $sgpr20
	s_waitcnt vmcnt(0) lgkmcnt(0)
	v_mad_i64_i32 v[18:19], s[0:1], v18, v22, v[26:27]
	v_accvgpr_read_b32 v27, a25
	v_accvgpr_read_b32 v26, a24
	v_lshl_add_u64 v[48:49], v[18:19], 0, v[26:27]
	v_accvgpr_read_b32 v27, a5
	flat_load_dwordx2 v[52:53], v[48:49]
	v_accvgpr_read_b32 v26, a4
	flat_load_dword v50, v[26:27]
	s_mov_b64 s[0:1], 0
	s_waitcnt vmcnt(0) lgkmcnt(0)
	v_cmp_gt_i16_sdwa s[8:9], v52, s3 src0_sel:BYTE_0 src1_sel:DWORD
	s_and_saveexec_b64 s[12:13], s[8:9]
	s_xor_b64 s[8:9], exec, s[12:13]
	s_cbranch_execnz .LBB311_1219
; %bb.812:                              ;   in Loop: Header=BB311_811 Depth=1
	s_or_saveexec_b64 s[8:9], s[8:9]
	v_mov_b32_e32 v54, s20
	s_xor_b64 exec, exec, s[8:9]
	s_cbranch_execnz .LBB311_1222
.LBB311_813:                            ;   in Loop: Header=BB311_811 Depth=1
	s_or_b64 exec, exec, s[8:9]
	s_and_saveexec_b64 s[8:9], s[0:1]
	s_cbranch_execz .LBB311_815
.LBB311_814:                            ;   in Loop: Header=BB311_811 Depth=1
	v_and_b32_e32 v22, 7, v52
	v_ffbh_u32_e32 v22, v22
	v_bfe_u32 v26, v52, 3, 4
	v_min_u32_e32 v22, 32, v22
	v_subrev_u32_e32 v27, 28, v22
	v_sub_u32_e32 v22, 29, v22
	v_cmp_eq_u32_e32 vcc, 0, v26
	s_nop 1
	v_cndmask_b32_e32 v22, v26, v22, vcc
	v_cndmask_b32_e32 v26, 0, v27, vcc
	v_lshlrev_b64 v[26:27], v26, v[52:53]
	v_lshlrev_b32_e32 v27, 8, v52
	v_lshl_add_u32 v22, v22, 10, v57
	v_lshlrev_b32_e32 v26, 7, v26
	v_and_or_b32 v22, v27, s17, v22
	v_and_or_b32 v22, v26, s22, v22
	v_cvt_f32_f16_e32 v54, v22
.LBB311_815:                            ;   in Loop: Header=BB311_811 Depth=1
	s_or_b64 exec, exec, s[8:9]
	v_lshrrev_b16_e32 v28, 8, v52
	v_cmp_lt_i16_e32 vcc, s3, v28
	s_mov_b64 s[0:1], 0
                                        ; implicit-def: $sgpr20
	s_and_saveexec_b64 s[8:9], vcc
	s_xor_b64 s[8:9], exec, s[8:9]
	s_cbranch_execnz .LBB311_1223
; %bb.816:                              ;   in Loop: Header=BB311_811 Depth=1
	s_or_saveexec_b64 s[8:9], s[8:9]
	v_mov_b32_e32 v40, s20
	s_xor_b64 exec, exec, s[8:9]
	s_cbranch_execnz .LBB311_1226
.LBB311_817:                            ;   in Loop: Header=BB311_811 Depth=1
	s_or_b64 exec, exec, s[8:9]
	s_and_saveexec_b64 s[8:9], s[0:1]
	s_cbranch_execz .LBB311_819
.LBB311_818:                            ;   in Loop: Header=BB311_811 Depth=1
	v_and_b32_e32 v22, 7, v28
	v_ffbh_u32_e32 v26, v22
	v_min_u32_e32 v33, 32, v26
	v_subrev_u32_e32 v26, 28, v33
	v_bfe_u32 v32, v28, 3, 4
	v_lshlrev_b64 v[26:27], v26, v[28:29]
	v_sub_u32_e32 v27, 29, v33
	v_cmp_eq_u32_e32 vcc, 0, v32
	v_and_b32_e32 v26, 7, v26
	s_nop 0
	v_cndmask_b32_e32 v27, v32, v27, vcc
	v_cndmask_b32_e32 v22, v22, v26, vcc
	v_lshlrev_b32_e32 v26, 8, v28
	v_lshl_add_u32 v27, v27, 10, v57
	v_and_or_b32 v26, v26, s17, v27
	v_lshl_or_b32 v22, v22, 7, v26
	v_cvt_f32_f16_e32 v40, v22
.LBB311_819:                            ;   in Loop: Header=BB311_811 Depth=1
	s_or_b64 exec, exec, s[8:9]
	v_lshrrev_b32_e32 v28, 16, v52
	v_cmp_gt_i16_sdwa s[8:9], v28, s3 src0_sel:BYTE_0 src1_sel:DWORD
	s_mov_b64 s[0:1], 0
                                        ; implicit-def: $sgpr20
	s_and_saveexec_b64 s[12:13], s[8:9]
	s_xor_b64 s[8:9], exec, s[12:13]
	s_cbranch_execnz .LBB311_1227
; %bb.820:                              ;   in Loop: Header=BB311_811 Depth=1
	s_or_saveexec_b64 s[8:9], s[8:9]
	v_mov_b32_e32 v55, s20
	s_xor_b64 exec, exec, s[8:9]
	s_cbranch_execnz .LBB311_1230
.LBB311_821:                            ;   in Loop: Header=BB311_811 Depth=1
	s_or_b64 exec, exec, s[8:9]
	s_and_saveexec_b64 s[8:9], s[0:1]
	s_cbranch_execz .LBB311_823
.LBB311_822:                            ;   in Loop: Header=BB311_811 Depth=1
	v_bfe_u32 v22, v52, 16, 3
	v_ffbh_u32_e32 v26, v22
	v_min_u32_e32 v33, 32, v26
	v_subrev_u32_e32 v26, 28, v33
	v_bfe_u32 v32, v52, 19, 4
	v_lshlrev_b64 v[26:27], v26, v[28:29]
	v_sub_u32_e32 v27, 29, v33
	v_cmp_eq_u32_e32 vcc, 0, v32
	v_and_b32_e32 v26, 7, v26
	s_nop 0
	v_cndmask_b32_e32 v27, v32, v27, vcc
	v_cndmask_b32_e32 v22, v22, v26, vcc
	v_lshlrev_b32_e32 v26, 8, v28
	v_lshl_add_u32 v27, v27, 10, v57
	v_and_or_b32 v26, v26, s17, v27
	v_lshl_or_b32 v22, v22, 7, v26
	v_cvt_f32_f16_e32 v55, v22
.LBB311_823:                            ;   in Loop: Header=BB311_811 Depth=1
	s_or_b64 exec, exec, s[8:9]
	v_lshrrev_b32_e32 v28, 24, v52
	v_cmp_lt_i16_e32 vcc, s3, v28
	s_mov_b64 s[0:1], 0
                                        ; implicit-def: $sgpr20
	s_and_saveexec_b64 s[8:9], vcc
	s_xor_b64 s[8:9], exec, s[8:9]
	s_cbranch_execnz .LBB311_1231
; %bb.824:                              ;   in Loop: Header=BB311_811 Depth=1
	s_or_saveexec_b64 s[8:9], s[8:9]
	v_mov_b32_e32 v41, s20
	s_xor_b64 exec, exec, s[8:9]
	s_cbranch_execnz .LBB311_1234
.LBB311_825:                            ;   in Loop: Header=BB311_811 Depth=1
	s_or_b64 exec, exec, s[8:9]
	s_and_saveexec_b64 s[8:9], s[0:1]
	s_cbranch_execz .LBB311_827
.LBB311_826:                            ;   in Loop: Header=BB311_811 Depth=1
	v_bfe_u32 v22, v52, 24, 3
	v_ffbh_u32_e32 v26, v22
	v_min_u32_e32 v33, 32, v26
	v_subrev_u32_e32 v26, 28, v33
	v_bfe_u32 v32, v52, 27, 4
	v_lshlrev_b64 v[26:27], v26, v[28:29]
	v_sub_u32_e32 v27, 29, v33
	v_cmp_eq_u32_e32 vcc, 0, v32
	v_and_b32_e32 v26, 7, v26
	s_nop 0
	v_cndmask_b32_e32 v27, v32, v27, vcc
	v_cndmask_b32_e32 v22, v22, v26, vcc
	v_lshlrev_b32_e32 v26, 8, v28
	v_lshl_add_u32 v27, v27, 10, v57
	v_and_or_b32 v26, v26, s17, v27
	v_lshl_or_b32 v22, v22, 7, v26
	v_cvt_f32_f16_e32 v41, v22
.LBB311_827:                            ;   in Loop: Header=BB311_811 Depth=1
	s_or_b64 exec, exec, s[8:9]
	v_cmp_gt_i16_sdwa s[8:9], v53, s3 src0_sel:BYTE_0 src1_sel:DWORD
	s_mov_b64 s[0:1], 0
                                        ; implicit-def: $sgpr20
	s_and_saveexec_b64 s[12:13], s[8:9]
	s_xor_b64 s[8:9], exec, s[12:13]
	s_cbranch_execnz .LBB311_1235
; %bb.828:                              ;   in Loop: Header=BB311_811 Depth=1
	s_or_saveexec_b64 s[8:9], s[8:9]
	v_mov_b32_e32 v22, s20
	s_xor_b64 exec, exec, s[8:9]
	s_cbranch_execnz .LBB311_1238
.LBB311_829:                            ;   in Loop: Header=BB311_811 Depth=1
	s_or_b64 exec, exec, s[8:9]
	v_mov_b32_e32 v28, v53
	s_and_saveexec_b64 s[8:9], s[0:1]
	s_cbranch_execz .LBB311_831
.LBB311_830:                            ;   in Loop: Header=BB311_811 Depth=1
	v_and_b32_e32 v22, 7, v53
	v_ffbh_u32_e32 v22, v22
	v_bfe_u32 v26, v53, 3, 4
	v_min_u32_e32 v22, 32, v22
	v_subrev_u32_e32 v27, 28, v22
	v_sub_u32_e32 v22, 29, v22
	v_cmp_eq_u32_e32 vcc, 0, v26
	s_nop 1
	v_cndmask_b32_e32 v22, v26, v22, vcc
	v_cndmask_b32_e32 v26, 0, v27, vcc
	v_lshlrev_b64 v[26:27], v26, v[28:29]
	v_lshlrev_b32_e32 v27, 8, v53
	v_lshl_add_u32 v22, v22, 10, v57
	v_lshlrev_b32_e32 v26, 7, v26
	v_and_or_b32 v22, v27, s17, v22
	v_and_or_b32 v22, v26, s22, v22
	v_cvt_f32_f16_e32 v22, v22
.LBB311_831:                            ;   in Loop: Header=BB311_811 Depth=1
	s_or_b64 exec, exec, s[8:9]
	v_lshrrev_b16_e32 v28, 8, v28
	v_cmp_lt_i16_e32 vcc, s3, v28
	s_mov_b64 s[0:1], 0
                                        ; implicit-def: $sgpr20
	s_and_saveexec_b64 s[8:9], vcc
	s_xor_b64 s[8:9], exec, s[8:9]
	s_cbranch_execnz .LBB311_1239
; %bb.832:                              ;   in Loop: Header=BB311_811 Depth=1
	s_or_saveexec_b64 s[8:9], s[8:9]
	v_mov_b32_e32 v26, s20
	s_xor_b64 exec, exec, s[8:9]
	s_cbranch_execnz .LBB311_1242
.LBB311_833:                            ;   in Loop: Header=BB311_811 Depth=1
	s_or_b64 exec, exec, s[8:9]
	s_and_saveexec_b64 s[8:9], s[0:1]
	s_cbranch_execz .LBB311_835
.LBB311_834:                            ;   in Loop: Header=BB311_811 Depth=1
	v_and_b32_e32 v32, 7, v28
	v_ffbh_u32_e32 v26, v32
	v_min_u32_e32 v34, 32, v26
	v_subrev_u32_e32 v26, 28, v34
	v_bfe_u32 v33, v28, 3, 4
	v_lshlrev_b64 v[26:27], v26, v[28:29]
	v_sub_u32_e32 v27, 29, v34
	v_cmp_eq_u32_e32 vcc, 0, v33
	v_and_b32_e32 v26, 7, v26
	v_lshlrev_b32_e32 v28, 8, v28
	v_cndmask_b32_e32 v27, v33, v27, vcc
	v_lshl_add_u32 v27, v27, 10, v57
	v_cndmask_b32_e32 v26, v32, v26, vcc
	v_and_or_b32 v27, v28, s17, v27
	v_lshl_or_b32 v26, v26, 7, v27
	v_cvt_f32_f16_e32 v26, v26
.LBB311_835:                            ;   in Loop: Header=BB311_811 Depth=1
	s_or_b64 exec, exec, s[8:9]
	v_lshrrev_b32_e32 v28, 16, v53
	v_cmp_gt_i16_sdwa s[8:9], v28, s3 src0_sel:BYTE_0 src1_sel:DWORD
	s_mov_b64 s[0:1], 0
                                        ; implicit-def: $sgpr20
	s_and_saveexec_b64 s[12:13], s[8:9]
	s_xor_b64 s[8:9], exec, s[12:13]
	s_cbranch_execnz .LBB311_1243
; %bb.836:                              ;   in Loop: Header=BB311_811 Depth=1
	s_or_saveexec_b64 s[8:9], s[8:9]
	v_mov_b32_e32 v27, s20
	s_xor_b64 exec, exec, s[8:9]
	s_cbranch_execnz .LBB311_1246
.LBB311_837:                            ;   in Loop: Header=BB311_811 Depth=1
	s_or_b64 exec, exec, s[8:9]
	s_and_saveexec_b64 s[8:9], s[0:1]
	s_cbranch_execz .LBB311_839
.LBB311_838:                            ;   in Loop: Header=BB311_811 Depth=1
	v_bfe_u32 v27, v53, 16, 3
	v_ffbh_u32_e32 v32, v27
	v_min_u32_e32 v35, 32, v32
	v_subrev_u32_e32 v32, 28, v35
	v_bfe_u32 v34, v53, 19, 4
	v_lshlrev_b64 v[32:33], v32, v[28:29]
	v_sub_u32_e32 v33, 29, v35
	v_cmp_eq_u32_e32 vcc, 0, v34
	v_and_b32_e32 v32, 7, v32
	v_lshlrev_b32_e32 v28, 8, v28
	v_cndmask_b32_e32 v33, v34, v33, vcc
	v_cndmask_b32_e32 v27, v27, v32, vcc
	v_lshl_add_u32 v32, v33, 10, v57
	v_and_or_b32 v28, v28, s17, v32
	v_lshl_or_b32 v27, v27, 7, v28
	v_cvt_f32_f16_e32 v27, v27
.LBB311_839:                            ;   in Loop: Header=BB311_811 Depth=1
	s_or_b64 exec, exec, s[8:9]
	v_lshrrev_b32_e32 v28, 24, v53
	v_cmp_lt_i16_e32 vcc, s3, v28
	s_mov_b64 s[0:1], 0
                                        ; implicit-def: $sgpr20
	s_and_saveexec_b64 s[8:9], vcc
	s_xor_b64 s[8:9], exec, s[8:9]
	s_cbranch_execnz .LBB311_1247
; %bb.840:                              ;   in Loop: Header=BB311_811 Depth=1
	s_or_saveexec_b64 s[8:9], s[8:9]
	v_mov_b32_e32 v33, s20
	s_xor_b64 exec, exec, s[8:9]
	s_cbranch_execnz .LBB311_1250
.LBB311_841:                            ;   in Loop: Header=BB311_811 Depth=1
	s_or_b64 exec, exec, s[8:9]
	s_and_saveexec_b64 s[8:9], s[0:1]
	s_cbranch_execz .LBB311_843
.LBB311_842:                            ;   in Loop: Header=BB311_811 Depth=1
	v_bfe_u32 v34, v53, 24, 3
	v_ffbh_u32_e32 v32, v34
	v_min_u32_e32 v36, 32, v32
	v_subrev_u32_e32 v32, 28, v36
	v_bfe_u32 v35, v53, 27, 4
	v_lshlrev_b64 v[32:33], v32, v[28:29]
	v_sub_u32_e32 v33, 29, v36
	v_cmp_eq_u32_e32 vcc, 0, v35
	v_and_b32_e32 v32, 7, v32
	v_lshlrev_b32_e32 v28, 8, v28
	v_cndmask_b32_e32 v33, v35, v33, vcc
	v_lshl_add_u32 v33, v33, 10, v57
	v_cndmask_b32_e32 v32, v34, v32, vcc
	v_and_or_b32 v28, v28, s17, v33
	v_lshl_or_b32 v28, v32, 7, v28
	v_cvt_f32_f16_e32 v33, v28
.LBB311_843:                            ;   in Loop: Header=BB311_811 Depth=1
	s_or_b64 exec, exec, s[8:9]
	v_pk_mul_f32 v[34:35], v[50:51], v[40:41] op_sel_hi:[0,1]
	v_pk_mul_f32 v[36:37], v[50:51], v[54:55] op_sel_hi:[0,1]
	v_cvt_f16_f32_e32 v28, v35
	v_cvt_f16_f32_e32 v32, v34
	;; [unrolled: 1-line block ×4, first 2 shown]
	v_fma_mixlo_f16 v26, v50, v26, 0
	v_lshlrev_b32_e32 v26, 16, v26
	v_fma_mixlo_f16 v22, v50, v22, 0
	v_or_b32_sdwa v22, v26, v22 dst_sel:DWORD dst_unused:UNUSED_PAD src0_sel:DWORD src1_sel:WORD_0
	v_fma_mixlo_f16 v26, v50, v33, 0
	v_accvgpr_read_b32 v36, a10
	v_accvgpr_read_b32 v37, a19
	v_pack_b32_f16 v32, v32, v28
	v_pack_b32_f16 v34, v35, v34
	v_fma_mixlo_f16 v27, v50, v27, 0
	v_lshlrev_b32_e32 v26, 16, v26
	v_cmp_eq_u32_e32 vcc, v37, v36
	v_perm_b32 v28, v34, v32, s23
	v_perm_b32 v32, v34, v32, s24
	v_or_b32_sdwa v26, v26, v27 dst_sel:DWORD dst_unused:UNUSED_PAD src0_sel:DWORD src1_sel:WORD_0
	v_add_u32_e32 v45, 1, v7
	v_or_b32_e32 v47, 3, v7
	v_or_b32_e32 v62, 2, v7
	;; [unrolled: 1-line block ×6, first 2 shown]
	s_and_saveexec_b64 s[8:9], vcc
	s_cbranch_execz .LBB311_845
; %bb.844:                              ;   in Loop: Header=BB311_811 Depth=1
	v_lshrrev_b32_e32 v33, 16, v32
	v_cmp_lt_i32_e64 s[0:1], v45, v17
	v_accvgpr_read_b32 v34, a8
	v_lshrrev_b32_e32 v26, 16, v26
	v_cndmask_b32_e64 v33, 0, v33, s[0:1]
	v_cmp_lt_i32_e64 s[0:1], v7, v34
	s_nop 1
	v_cndmask_b32_e64 v32, 0, v32, s[0:1]
	v_perm_b32 v32, v33, v32, s25
	v_lshrrev_b32_e32 v33, 16, v28
	v_cmp_lt_i32_e64 s[0:1], v47, v17
	s_nop 1
	v_cndmask_b32_e64 v33, 0, v33, s[0:1]
	v_cmp_lt_i32_e64 s[0:1], v62, v34
	s_nop 1
	v_cndmask_b32_e64 v28, 0, v28, s[0:1]
	v_perm_b32 v28, v33, v28, s25
	v_lshrrev_b32_e32 v33, 16, v22
	v_cmp_lt_i32_e64 s[0:1], v61, v17
	s_nop 1
	v_cndmask_b32_e64 v33, 0, v33, s[0:1]
	v_cmp_lt_i32_e64 s[0:1], v60, v34
	s_nop 1
	v_cndmask_b32_e64 v22, 0, v22, s[0:1]
	v_cmp_lt_i32_e64 s[0:1], v59, v17
	v_perm_b32 v22, v33, v22, s25
	s_nop 0
	v_cndmask_b32_e64 v26, 0, v26, s[0:1]
	v_cmp_lt_i32_e64 s[0:1], v58, v34
	s_nop 1
	v_cndmask_b32_e64 v27, 0, v27, s[0:1]
	v_perm_b32 v26, v26, v27, s25
.LBB311_845:                            ;   in Loop: Header=BB311_811 Depth=1
	s_or_b64 exec, exec, s[8:9]
	v_and_b32_e32 v4, 0xffff, v4
	v_lshl_or_b32 v42, v5, 16, v4
	v_and_b32_e32 v4, 0xffff, v6
	v_and_b32_e32 v6, 0xffff, v20
	v_lshl_or_b32 v5, v10, 16, v4
	v_and_b32_e32 v4, 0xffff, v11
	v_lshl_or_b32 v44, v21, 16, v6
	;;#ASMSTART
	v_pk_mul_f16 v6, v42, v32;

	;;#ASMEND
	v_lshl_or_b32 v4, v16, 16, v4
	;;#ASMSTART
	v_pk_mul_f16 v10, v5, v28;

	;;#ASMEND
	;;#ASMSTART
	v_pk_mul_f16 v11, v4, v22;

	;;#ASMEND
	;; [unrolled: 4-line block ×3, first 2 shown]
	s_mov_b64 s[0:1], 0
	;;#ASMSTART
	v_pk_add_f16 v6, v6, v10;

	;;#ASMEND
                                        ; implicit-def: $sgpr20
	s_nop 0
	;;#ASMSTART
	v_pk_add_f16 v6, v6, v11;

	;;#ASMEND
	s_nop 0
	;;#ASMSTART
	v_pk_add_f16 v6, v6, v16;

	;;#ASMEND
	s_nop 0
	v_lshrrev_b32_e32 v10, 16, v6
	v_and_b32_e32 v6, 0xffff, v6
	;;#ASMSTART
	v_cvt_f32_f16 v6, v6;
	;;#ASMEND
	s_nop 0
	v_accvgpr_write_b32 a7, v6
	;;#ASMSTART
	v_cvt_f32_f16 v6, v10;
	;;#ASMEND
	v_accvgpr_read_b32 v11, a5
	flat_load_dwordx2 v[52:53], v[48:49] offset:512
	v_accvgpr_read_b32 v10, a4
	flat_load_dword v50, v[10:11]
	v_accvgpr_write_b32 a11, v6
	s_waitcnt vmcnt(0) lgkmcnt(0)
	v_cmp_gt_i16_sdwa s[8:9], v52, s3 src0_sel:BYTE_0 src1_sel:DWORD
	s_and_saveexec_b64 s[12:13], s[8:9]
	s_xor_b64 s[8:9], exec, s[12:13]
	s_cbranch_execnz .LBB311_1251
; %bb.846:                              ;   in Loop: Header=BB311_811 Depth=1
	s_or_saveexec_b64 s[8:9], s[8:9]
	v_mov_b32_e32 v54, s20
	s_xor_b64 exec, exec, s[8:9]
	s_cbranch_execnz .LBB311_1254
.LBB311_847:                            ;   in Loop: Header=BB311_811 Depth=1
	s_or_b64 exec, exec, s[8:9]
	s_and_saveexec_b64 s[8:9], s[0:1]
	s_cbranch_execz .LBB311_849
.LBB311_848:                            ;   in Loop: Header=BB311_811 Depth=1
	v_and_b32_e32 v6, 7, v52
	v_ffbh_u32_e32 v6, v6
	v_bfe_u32 v10, v52, 3, 4
	v_min_u32_e32 v6, 32, v6
	v_subrev_u32_e32 v11, 28, v6
	v_sub_u32_e32 v6, 29, v6
	v_cmp_eq_u32_e64 s[0:1], 0, v10
	s_nop 1
	v_cndmask_b32_e64 v6, v10, v6, s[0:1]
	v_cndmask_b32_e64 v10, 0, v11, s[0:1]
	v_lshlrev_b64 v[10:11], v10, v[52:53]
	v_lshlrev_b32_e32 v11, 8, v52
	v_lshl_add_u32 v6, v6, 10, v57
	v_lshlrev_b32_e32 v10, 7, v10
	v_and_or_b32 v6, v11, s17, v6
	v_and_or_b32 v6, v10, s22, v6
	v_cvt_f32_f16_e32 v54, v6
.LBB311_849:                            ;   in Loop: Header=BB311_811 Depth=1
	s_or_b64 exec, exec, s[8:9]
	v_lshrrev_b16_e32 v28, 8, v52
	v_cmp_lt_i16_e64 s[0:1], s3, v28
	s_mov_b64 s[8:9], 0
                                        ; implicit-def: $sgpr26
	s_and_saveexec_b64 s[12:13], s[0:1]
	s_xor_b64 s[12:13], exec, s[12:13]
	s_cbranch_execnz .LBB311_1255
; %bb.850:                              ;   in Loop: Header=BB311_811 Depth=1
	s_or_saveexec_b64 s[12:13], s[12:13]
	v_mov_b32_e32 v40, s26
	s_xor_b64 exec, exec, s[12:13]
	s_cbranch_execnz .LBB311_1258
.LBB311_851:                            ;   in Loop: Header=BB311_811 Depth=1
	s_or_b64 exec, exec, s[12:13]
	s_and_saveexec_b64 s[12:13], s[8:9]
	s_cbranch_execz .LBB311_853
.LBB311_852:                            ;   in Loop: Header=BB311_811 Depth=1
	v_and_b32_e32 v6, 7, v28
	v_ffbh_u32_e32 v10, v6
	v_min_u32_e32 v20, 32, v10
	v_subrev_u32_e32 v10, 28, v20
	v_bfe_u32 v16, v28, 3, 4
	v_lshlrev_b64 v[10:11], v10, v[28:29]
	v_sub_u32_e32 v11, 29, v20
	v_cmp_eq_u32_e64 s[0:1], 0, v16
	v_and_b32_e32 v10, 7, v10
	s_nop 0
	v_cndmask_b32_e64 v11, v16, v11, s[0:1]
	v_cndmask_b32_e64 v6, v6, v10, s[0:1]
	v_lshlrev_b32_e32 v10, 8, v28
	v_lshl_add_u32 v11, v11, 10, v57
	v_and_or_b32 v10, v10, s17, v11
	v_lshl_or_b32 v6, v6, 7, v10
	v_cvt_f32_f16_e32 v40, v6
.LBB311_853:                            ;   in Loop: Header=BB311_811 Depth=1
	s_or_b64 exec, exec, s[12:13]
	v_lshrrev_b32_e32 v28, 16, v52
	v_cmp_gt_i16_sdwa s[8:9], v28, s3 src0_sel:BYTE_0 src1_sel:DWORD
	s_mov_b64 s[0:1], 0
                                        ; implicit-def: $sgpr20
	s_and_saveexec_b64 s[12:13], s[8:9]
	s_xor_b64 s[8:9], exec, s[12:13]
	s_cbranch_execnz .LBB311_1259
; %bb.854:                              ;   in Loop: Header=BB311_811 Depth=1
	s_or_saveexec_b64 s[8:9], s[8:9]
	v_mov_b32_e32 v55, s20
	s_xor_b64 exec, exec, s[8:9]
	s_cbranch_execnz .LBB311_1262
.LBB311_855:                            ;   in Loop: Header=BB311_811 Depth=1
	s_or_b64 exec, exec, s[8:9]
	s_and_saveexec_b64 s[8:9], s[0:1]
	s_cbranch_execz .LBB311_857
.LBB311_856:                            ;   in Loop: Header=BB311_811 Depth=1
	v_bfe_u32 v6, v52, 16, 3
	v_ffbh_u32_e32 v10, v6
	v_min_u32_e32 v20, 32, v10
	v_subrev_u32_e32 v10, 28, v20
	v_bfe_u32 v16, v52, 19, 4
	v_lshlrev_b64 v[10:11], v10, v[28:29]
	v_sub_u32_e32 v11, 29, v20
	v_cmp_eq_u32_e64 s[0:1], 0, v16
	v_and_b32_e32 v10, 7, v10
	s_nop 0
	v_cndmask_b32_e64 v11, v16, v11, s[0:1]
	v_cndmask_b32_e64 v6, v6, v10, s[0:1]
	v_lshlrev_b32_e32 v10, 8, v28
	v_lshl_add_u32 v11, v11, 10, v57
	v_and_or_b32 v10, v10, s17, v11
	v_lshl_or_b32 v6, v6, 7, v10
	v_cvt_f32_f16_e32 v55, v6
.LBB311_857:                            ;   in Loop: Header=BB311_811 Depth=1
	s_or_b64 exec, exec, s[8:9]
	v_lshrrev_b32_e32 v28, 24, v52
	v_cmp_lt_i16_e64 s[0:1], s3, v28
	s_mov_b64 s[8:9], 0
                                        ; implicit-def: $sgpr26
	s_and_saveexec_b64 s[12:13], s[0:1]
	s_xor_b64 s[12:13], exec, s[12:13]
	s_cbranch_execnz .LBB311_1263
; %bb.858:                              ;   in Loop: Header=BB311_811 Depth=1
	s_or_saveexec_b64 s[12:13], s[12:13]
	v_mov_b32_e32 v41, s26
	s_xor_b64 exec, exec, s[12:13]
	s_cbranch_execnz .LBB311_1266
.LBB311_859:                            ;   in Loop: Header=BB311_811 Depth=1
	s_or_b64 exec, exec, s[12:13]
	s_and_saveexec_b64 s[12:13], s[8:9]
	s_cbranch_execz .LBB311_861
.LBB311_860:                            ;   in Loop: Header=BB311_811 Depth=1
	v_bfe_u32 v6, v52, 24, 3
	v_ffbh_u32_e32 v10, v6
	v_min_u32_e32 v20, 32, v10
	v_subrev_u32_e32 v10, 28, v20
	v_bfe_u32 v16, v52, 27, 4
	v_lshlrev_b64 v[10:11], v10, v[28:29]
	v_sub_u32_e32 v11, 29, v20
	v_cmp_eq_u32_e64 s[0:1], 0, v16
	v_and_b32_e32 v10, 7, v10
	s_nop 0
	v_cndmask_b32_e64 v11, v16, v11, s[0:1]
	v_cndmask_b32_e64 v6, v6, v10, s[0:1]
	v_lshlrev_b32_e32 v10, 8, v28
	v_lshl_add_u32 v11, v11, 10, v57
	v_and_or_b32 v10, v10, s17, v11
	v_lshl_or_b32 v6, v6, 7, v10
	v_cvt_f32_f16_e32 v41, v6
.LBB311_861:                            ;   in Loop: Header=BB311_811 Depth=1
	s_or_b64 exec, exec, s[12:13]
	v_cmp_gt_i16_sdwa s[8:9], v53, s3 src0_sel:BYTE_0 src1_sel:DWORD
	s_mov_b64 s[0:1], 0
                                        ; implicit-def: $sgpr20
	s_and_saveexec_b64 s[12:13], s[8:9]
	s_xor_b64 s[8:9], exec, s[12:13]
	s_cbranch_execnz .LBB311_1267
; %bb.862:                              ;   in Loop: Header=BB311_811 Depth=1
	s_or_saveexec_b64 s[8:9], s[8:9]
	v_mov_b32_e32 v6, s20
	s_xor_b64 exec, exec, s[8:9]
	s_cbranch_execnz .LBB311_1270
.LBB311_863:                            ;   in Loop: Header=BB311_811 Depth=1
	s_or_b64 exec, exec, s[8:9]
	v_mov_b32_e32 v28, v53
	s_and_saveexec_b64 s[8:9], s[0:1]
	s_cbranch_execz .LBB311_865
.LBB311_864:                            ;   in Loop: Header=BB311_811 Depth=1
	v_and_b32_e32 v6, 7, v53
	v_ffbh_u32_e32 v6, v6
	v_bfe_u32 v10, v53, 3, 4
	v_min_u32_e32 v6, 32, v6
	v_subrev_u32_e32 v11, 28, v6
	v_sub_u32_e32 v6, 29, v6
	v_cmp_eq_u32_e64 s[0:1], 0, v10
	s_nop 1
	v_cndmask_b32_e64 v6, v10, v6, s[0:1]
	v_cndmask_b32_e64 v10, 0, v11, s[0:1]
	v_lshlrev_b64 v[10:11], v10, v[28:29]
	v_lshlrev_b32_e32 v11, 8, v53
	v_lshl_add_u32 v6, v6, 10, v57
	v_lshlrev_b32_e32 v10, 7, v10
	v_and_or_b32 v6, v11, s17, v6
	v_and_or_b32 v6, v10, s22, v6
	v_cvt_f32_f16_e32 v6, v6
.LBB311_865:                            ;   in Loop: Header=BB311_811 Depth=1
	s_or_b64 exec, exec, s[8:9]
	v_lshrrev_b16_e32 v28, 8, v28
	v_cmp_lt_i16_e64 s[0:1], s3, v28
	s_mov_b64 s[8:9], 0
                                        ; implicit-def: $sgpr26
	s_and_saveexec_b64 s[12:13], s[0:1]
	s_xor_b64 s[12:13], exec, s[12:13]
	s_cbranch_execnz .LBB311_1271
; %bb.866:                              ;   in Loop: Header=BB311_811 Depth=1
	s_or_saveexec_b64 s[12:13], s[12:13]
	v_mov_b32_e32 v10, s26
	s_xor_b64 exec, exec, s[12:13]
	s_cbranch_execnz .LBB311_1274
.LBB311_867:                            ;   in Loop: Header=BB311_811 Depth=1
	s_or_b64 exec, exec, s[12:13]
	s_and_saveexec_b64 s[12:13], s[8:9]
	s_cbranch_execz .LBB311_869
.LBB311_868:                            ;   in Loop: Header=BB311_811 Depth=1
	v_and_b32_e32 v16, 7, v28
	v_ffbh_u32_e32 v10, v16
	v_min_u32_e32 v21, 32, v10
	v_subrev_u32_e32 v10, 28, v21
	v_bfe_u32 v20, v28, 3, 4
	v_lshlrev_b64 v[10:11], v10, v[28:29]
	v_sub_u32_e32 v11, 29, v21
	v_cmp_eq_u32_e64 s[0:1], 0, v20
	v_and_b32_e32 v10, 7, v10
	s_nop 0
	v_cndmask_b32_e64 v11, v20, v11, s[0:1]
	v_cndmask_b32_e64 v10, v16, v10, s[0:1]
	v_lshlrev_b32_e32 v16, 8, v28
	v_lshl_add_u32 v11, v11, 10, v57
	v_and_or_b32 v11, v16, s17, v11
	v_lshl_or_b32 v10, v10, 7, v11
	v_cvt_f32_f16_e32 v10, v10
.LBB311_869:                            ;   in Loop: Header=BB311_811 Depth=1
	s_or_b64 exec, exec, s[12:13]
	v_lshrrev_b32_e32 v28, 16, v53
	v_cmp_gt_i16_sdwa s[8:9], v28, s3 src0_sel:BYTE_0 src1_sel:DWORD
	s_mov_b64 s[0:1], 0
                                        ; implicit-def: $sgpr20
	s_and_saveexec_b64 s[12:13], s[8:9]
	s_xor_b64 s[8:9], exec, s[12:13]
	s_cbranch_execnz .LBB311_1275
; %bb.870:                              ;   in Loop: Header=BB311_811 Depth=1
	s_or_saveexec_b64 s[8:9], s[8:9]
	v_mov_b32_e32 v11, s20
	s_xor_b64 exec, exec, s[8:9]
	s_cbranch_execnz .LBB311_1278
.LBB311_871:                            ;   in Loop: Header=BB311_811 Depth=1
	s_or_b64 exec, exec, s[8:9]
	s_and_saveexec_b64 s[8:9], s[0:1]
	s_cbranch_execz .LBB311_873
.LBB311_872:                            ;   in Loop: Header=BB311_811 Depth=1
	v_bfe_u32 v11, v53, 16, 3
	v_ffbh_u32_e32 v20, v11
	v_min_u32_e32 v22, 32, v20
	v_subrev_u32_e32 v20, 28, v22
	v_bfe_u32 v16, v53, 19, 4
	v_lshlrev_b64 v[20:21], v20, v[28:29]
	v_sub_u32_e32 v21, 29, v22
	v_cmp_eq_u32_e64 s[0:1], 0, v16
	v_and_b32_e32 v20, 7, v20
	s_nop 0
	v_cndmask_b32_e64 v16, v16, v21, s[0:1]
	v_cndmask_b32_e64 v11, v11, v20, s[0:1]
	v_lshlrev_b32_e32 v20, 8, v28
	v_lshl_add_u32 v16, v16, 10, v57
	v_and_or_b32 v16, v20, s17, v16
	v_lshl_or_b32 v11, v11, 7, v16
	v_cvt_f32_f16_e32 v11, v11
.LBB311_873:                            ;   in Loop: Header=BB311_811 Depth=1
	s_or_b64 exec, exec, s[8:9]
	v_lshrrev_b32_e32 v28, 24, v53
	v_cmp_lt_i16_e64 s[0:1], s3, v28
	s_mov_b64 s[8:9], 0
                                        ; implicit-def: $sgpr26
	s_and_saveexec_b64 s[12:13], s[0:1]
	s_xor_b64 s[12:13], exec, s[12:13]
	s_cbranch_execnz .LBB311_1279
; %bb.874:                              ;   in Loop: Header=BB311_811 Depth=1
	s_or_saveexec_b64 s[12:13], s[12:13]
	v_mov_b32_e32 v21, s26
	s_xor_b64 exec, exec, s[12:13]
	s_cbranch_execnz .LBB311_1282
.LBB311_875:                            ;   in Loop: Header=BB311_811 Depth=1
	s_or_b64 exec, exec, s[12:13]
	s_and_saveexec_b64 s[12:13], s[8:9]
	s_cbranch_execz .LBB311_877
.LBB311_876:                            ;   in Loop: Header=BB311_811 Depth=1
	v_bfe_u32 v16, v53, 24, 3
	v_ffbh_u32_e32 v20, v16
	v_min_u32_e32 v26, 32, v20
	v_subrev_u32_e32 v20, 28, v26
	v_bfe_u32 v22, v53, 27, 4
	v_lshlrev_b64 v[20:21], v20, v[28:29]
	v_sub_u32_e32 v21, 29, v26
	v_cmp_eq_u32_e64 s[0:1], 0, v22
	v_and_b32_e32 v20, 7, v20
	s_nop 0
	v_cndmask_b32_e64 v21, v22, v21, s[0:1]
	v_cndmask_b32_e64 v16, v16, v20, s[0:1]
	v_lshlrev_b32_e32 v20, 8, v28
	v_lshl_add_u32 v21, v21, 10, v57
	v_and_or_b32 v20, v20, s17, v21
	v_lshl_or_b32 v16, v16, 7, v20
	v_cvt_f32_f16_e32 v21, v16
.LBB311_877:                            ;   in Loop: Header=BB311_811 Depth=1
	s_or_b64 exec, exec, s[12:13]
	v_pk_mul_f32 v[26:27], v[50:51], v[40:41] op_sel_hi:[0,1]
	v_pk_mul_f32 v[32:33], v[50:51], v[54:55] op_sel_hi:[0,1]
	v_cvt_f16_f32_e32 v16, v27
	v_cvt_f16_f32_e32 v20, v26
	;; [unrolled: 1-line block ×4, first 2 shown]
	v_fma_mixlo_f16 v10, v50, v10, 0
	v_lshlrev_b32_e32 v10, 16, v10
	v_fma_mixlo_f16 v6, v50, v6, 0
	v_or_b32_sdwa v6, v10, v6 dst_sel:DWORD dst_unused:UNUSED_PAD src0_sel:DWORD src1_sel:WORD_0
	v_fma_mixlo_f16 v10, v50, v21, 0
	v_pack_b32_f16 v20, v20, v16
	v_pack_b32_f16 v22, v26, v22
	v_fma_mixlo_f16 v11, v50, v11, 0
	v_lshlrev_b32_e32 v10, 16, v10
	v_perm_b32 v16, v22, v20, s23
	v_perm_b32 v20, v22, v20, s24
	v_or_b32_sdwa v10, v10, v11 dst_sel:DWORD dst_unused:UNUSED_PAD src0_sel:DWORD src1_sel:WORD_0
	s_and_saveexec_b64 s[8:9], vcc
	s_cbranch_execz .LBB311_879
; %bb.878:                              ;   in Loop: Header=BB311_811 Depth=1
	v_lshrrev_b32_e32 v21, 16, v20
	v_cmp_lt_i32_e64 s[0:1], v45, v17
	v_accvgpr_read_b32 v22, a8
	v_lshrrev_b32_e32 v10, 16, v10
	v_cndmask_b32_e64 v21, 0, v21, s[0:1]
	v_cmp_lt_i32_e64 s[0:1], v7, v22
	s_nop 1
	v_cndmask_b32_e64 v20, 0, v20, s[0:1]
	v_perm_b32 v20, v21, v20, s25
	v_lshrrev_b32_e32 v21, 16, v16
	v_cmp_lt_i32_e64 s[0:1], v47, v17
	s_nop 1
	v_cndmask_b32_e64 v21, 0, v21, s[0:1]
	v_cmp_lt_i32_e64 s[0:1], v62, v22
	s_nop 1
	v_cndmask_b32_e64 v16, 0, v16, s[0:1]
	v_perm_b32 v16, v21, v16, s25
	v_lshrrev_b32_e32 v21, 16, v6
	v_cmp_lt_i32_e64 s[0:1], v61, v17
	s_nop 1
	v_cndmask_b32_e64 v21, 0, v21, s[0:1]
	v_cmp_lt_i32_e64 s[0:1], v60, v22
	s_nop 1
	v_cndmask_b32_e64 v6, 0, v6, s[0:1]
	v_cmp_lt_i32_e64 s[0:1], v59, v17
	v_perm_b32 v6, v21, v6, s25
	s_nop 0
	v_cndmask_b32_e64 v10, 0, v10, s[0:1]
	v_cmp_lt_i32_e64 s[0:1], v58, v22
	s_nop 1
	v_cndmask_b32_e64 v11, 0, v11, s[0:1]
	v_perm_b32 v10, v10, v11, s25
.LBB311_879:                            ;   in Loop: Header=BB311_811 Depth=1
	s_or_b64 exec, exec, s[8:9]
	;;#ASMSTART
	v_pk_mul_f16 v11, v42, v20;

	;;#ASMEND
	;;#ASMSTART
	v_pk_mul_f16 v16, v5, v16;

	;;#ASMEND
	;; [unrolled: 4-line block ×4, first 2 shown]
	s_mov_b64 s[0:1], 0
	;;#ASMSTART
	v_pk_add_f16 v11, v11, v16;

	;;#ASMEND
                                        ; implicit-def: $sgpr20
	s_nop 0
	;;#ASMSTART
	v_pk_add_f16 v6, v11, v6;

	;;#ASMEND
	s_nop 0
	;;#ASMSTART
	v_pk_add_f16 v6, v6, v10;

	;;#ASMEND
	s_nop 0
	v_lshrrev_b32_e32 v10, 16, v6
	v_and_b32_e32 v6, 0xffff, v6
	;;#ASMSTART
	v_cvt_f32_f16 v6, v6;
	;;#ASMEND
	;;#ASMSTART
	v_cvt_f32_f16 v56, v10;
	;;#ASMEND
	v_accvgpr_read_b32 v11, a5
	flat_load_dwordx2 v[52:53], v[48:49] offset:1024
	v_accvgpr_read_b32 v10, a4
	flat_load_dword v50, v[10:11]
	v_accvgpr_write_b32 a12, v6
	s_waitcnt vmcnt(0) lgkmcnt(0)
	v_cmp_gt_i16_sdwa s[8:9], v52, s3 src0_sel:BYTE_0 src1_sel:DWORD
	s_and_saveexec_b64 s[12:13], s[8:9]
	s_xor_b64 s[8:9], exec, s[12:13]
	s_cbranch_execnz .LBB311_1283
; %bb.880:                              ;   in Loop: Header=BB311_811 Depth=1
	s_or_saveexec_b64 s[8:9], s[8:9]
	v_mov_b32_e32 v54, s20
	s_xor_b64 exec, exec, s[8:9]
	s_cbranch_execnz .LBB311_1286
.LBB311_881:                            ;   in Loop: Header=BB311_811 Depth=1
	s_or_b64 exec, exec, s[8:9]
	s_and_saveexec_b64 s[8:9], s[0:1]
	s_cbranch_execz .LBB311_883
.LBB311_882:                            ;   in Loop: Header=BB311_811 Depth=1
	v_and_b32_e32 v6, 7, v52
	v_ffbh_u32_e32 v6, v6
	v_bfe_u32 v10, v52, 3, 4
	v_min_u32_e32 v6, 32, v6
	v_subrev_u32_e32 v11, 28, v6
	v_sub_u32_e32 v6, 29, v6
	v_cmp_eq_u32_e64 s[0:1], 0, v10
	s_nop 1
	v_cndmask_b32_e64 v6, v10, v6, s[0:1]
	v_cndmask_b32_e64 v10, 0, v11, s[0:1]
	v_lshlrev_b64 v[20:21], v10, v[52:53]
	v_lshlrev_b32_e32 v11, 8, v52
	v_lshl_add_u32 v6, v6, 10, v57
	v_lshlrev_b32_e32 v10, 7, v20
	v_and_or_b32 v6, v11, s17, v6
	v_and_or_b32 v6, v10, s22, v6
	v_cvt_f32_f16_e32 v54, v6
.LBB311_883:                            ;   in Loop: Header=BB311_811 Depth=1
	s_or_b64 exec, exec, s[8:9]
	v_lshrrev_b16_e32 v28, 8, v52
	v_cmp_lt_i16_e64 s[0:1], s3, v28
	s_mov_b64 s[8:9], 0
                                        ; implicit-def: $sgpr26
	s_and_saveexec_b64 s[12:13], s[0:1]
	s_xor_b64 s[12:13], exec, s[12:13]
	s_cbranch_execnz .LBB311_1287
; %bb.884:                              ;   in Loop: Header=BB311_811 Depth=1
	s_or_saveexec_b64 s[12:13], s[12:13]
	v_mov_b32_e32 v40, s26
	s_xor_b64 exec, exec, s[12:13]
	s_cbranch_execnz .LBB311_1290
.LBB311_885:                            ;   in Loop: Header=BB311_811 Depth=1
	s_or_b64 exec, exec, s[12:13]
	s_and_saveexec_b64 s[12:13], s[8:9]
	s_cbranch_execz .LBB311_887
.LBB311_886:                            ;   in Loop: Header=BB311_811 Depth=1
	v_and_b32_e32 v6, 7, v28
	v_ffbh_u32_e32 v11, v6
	v_bfe_u32 v10, v28, 3, 4
	v_min_u32_e32 v11, 32, v11
	v_subrev_u32_e32 v16, 28, v11
	v_sub_u32_e32 v11, 29, v11
	v_cmp_eq_u32_e64 s[0:1], 0, v10
	v_lshlrev_b64 v[20:21], v16, v[28:29]
	v_and_b32_e32 v16, 7, v20
	v_cndmask_b32_e64 v10, v10, v11, s[0:1]
	v_lshlrev_b32_e32 v11, 8, v28
	v_lshl_add_u32 v10, v10, 10, v57
	v_cndmask_b32_e64 v6, v6, v16, s[0:1]
	v_and_or_b32 v10, v11, s17, v10
	v_lshl_or_b32 v6, v6, 7, v10
	v_cvt_f32_f16_e32 v40, v6
.LBB311_887:                            ;   in Loop: Header=BB311_811 Depth=1
	s_or_b64 exec, exec, s[12:13]
	v_lshrrev_b32_e32 v28, 16, v52
	v_cmp_gt_i16_sdwa s[8:9], v28, s3 src0_sel:BYTE_0 src1_sel:DWORD
	s_mov_b64 s[0:1], 0
                                        ; implicit-def: $sgpr20
	s_and_saveexec_b64 s[12:13], s[8:9]
	s_xor_b64 s[8:9], exec, s[12:13]
	s_cbranch_execnz .LBB311_1291
; %bb.888:                              ;   in Loop: Header=BB311_811 Depth=1
	s_or_saveexec_b64 s[8:9], s[8:9]
	v_mov_b32_e32 v55, s20
	s_xor_b64 exec, exec, s[8:9]
	s_cbranch_execnz .LBB311_1294
.LBB311_889:                            ;   in Loop: Header=BB311_811 Depth=1
	s_or_b64 exec, exec, s[8:9]
	s_and_saveexec_b64 s[8:9], s[0:1]
	s_cbranch_execz .LBB311_891
.LBB311_890:                            ;   in Loop: Header=BB311_811 Depth=1
	v_bfe_u32 v6, v52, 16, 3
	v_ffbh_u32_e32 v11, v6
	v_bfe_u32 v10, v52, 19, 4
	v_min_u32_e32 v11, 32, v11
	v_subrev_u32_e32 v16, 28, v11
	v_sub_u32_e32 v11, 29, v11
	v_cmp_eq_u32_e64 s[0:1], 0, v10
	v_lshlrev_b64 v[20:21], v16, v[28:29]
	v_and_b32_e32 v16, 7, v20
	v_cndmask_b32_e64 v10, v10, v11, s[0:1]
	v_lshlrev_b32_e32 v11, 8, v28
	v_lshl_add_u32 v10, v10, 10, v57
	v_cndmask_b32_e64 v6, v6, v16, s[0:1]
	v_and_or_b32 v10, v11, s17, v10
	v_lshl_or_b32 v6, v6, 7, v10
	v_cvt_f32_f16_e32 v55, v6
.LBB311_891:                            ;   in Loop: Header=BB311_811 Depth=1
	s_or_b64 exec, exec, s[8:9]
	v_lshrrev_b32_e32 v28, 24, v52
	v_cmp_lt_i16_e64 s[0:1], s3, v28
	s_mov_b64 s[8:9], 0
                                        ; implicit-def: $sgpr26
	s_and_saveexec_b64 s[12:13], s[0:1]
	s_xor_b64 s[12:13], exec, s[12:13]
	s_cbranch_execnz .LBB311_1295
; %bb.892:                              ;   in Loop: Header=BB311_811 Depth=1
	s_or_saveexec_b64 s[12:13], s[12:13]
	v_mov_b32_e32 v41, s26
	s_xor_b64 exec, exec, s[12:13]
	s_cbranch_execnz .LBB311_1298
.LBB311_893:                            ;   in Loop: Header=BB311_811 Depth=1
	s_or_b64 exec, exec, s[12:13]
	s_and_saveexec_b64 s[12:13], s[8:9]
	s_cbranch_execz .LBB311_895
.LBB311_894:                            ;   in Loop: Header=BB311_811 Depth=1
	v_bfe_u32 v6, v52, 24, 3
	v_ffbh_u32_e32 v11, v6
	v_bfe_u32 v10, v52, 27, 4
	v_min_u32_e32 v11, 32, v11
	v_subrev_u32_e32 v16, 28, v11
	v_sub_u32_e32 v11, 29, v11
	v_cmp_eq_u32_e64 s[0:1], 0, v10
	v_lshlrev_b64 v[20:21], v16, v[28:29]
	v_and_b32_e32 v16, 7, v20
	v_cndmask_b32_e64 v10, v10, v11, s[0:1]
	v_lshlrev_b32_e32 v11, 8, v28
	v_lshl_add_u32 v10, v10, 10, v57
	v_cndmask_b32_e64 v6, v6, v16, s[0:1]
	v_and_or_b32 v10, v11, s17, v10
	v_lshl_or_b32 v6, v6, 7, v10
	v_cvt_f32_f16_e32 v41, v6
.LBB311_895:                            ;   in Loop: Header=BB311_811 Depth=1
	s_or_b64 exec, exec, s[12:13]
	v_cmp_gt_i16_sdwa s[8:9], v53, s3 src0_sel:BYTE_0 src1_sel:DWORD
	s_mov_b64 s[0:1], 0
                                        ; implicit-def: $sgpr20
	s_and_saveexec_b64 s[12:13], s[8:9]
	s_xor_b64 s[8:9], exec, s[12:13]
	s_cbranch_execnz .LBB311_1299
; %bb.896:                              ;   in Loop: Header=BB311_811 Depth=1
	s_or_saveexec_b64 s[8:9], s[8:9]
	v_mov_b32_e32 v6, s20
	s_xor_b64 exec, exec, s[8:9]
	s_cbranch_execnz .LBB311_1302
.LBB311_897:                            ;   in Loop: Header=BB311_811 Depth=1
	s_or_b64 exec, exec, s[8:9]
	v_mov_b32_e32 v28, v53
	s_and_saveexec_b64 s[8:9], s[0:1]
	s_cbranch_execz .LBB311_899
.LBB311_898:                            ;   in Loop: Header=BB311_811 Depth=1
	v_and_b32_e32 v6, 7, v53
	v_ffbh_u32_e32 v6, v6
	v_bfe_u32 v10, v53, 3, 4
	v_min_u32_e32 v6, 32, v6
	v_subrev_u32_e32 v11, 28, v6
	v_sub_u32_e32 v6, 29, v6
	v_cmp_eq_u32_e64 s[0:1], 0, v10
	s_nop 1
	v_cndmask_b32_e64 v6, v10, v6, s[0:1]
	v_cndmask_b32_e64 v10, 0, v11, s[0:1]
	v_lshlrev_b64 v[20:21], v10, v[28:29]
	v_lshlrev_b32_e32 v11, 8, v53
	v_lshl_add_u32 v6, v6, 10, v57
	v_lshlrev_b32_e32 v10, 7, v20
	v_and_or_b32 v6, v11, s17, v6
	v_and_or_b32 v6, v10, s22, v6
	v_cvt_f32_f16_e32 v6, v6
.LBB311_899:                            ;   in Loop: Header=BB311_811 Depth=1
	s_or_b64 exec, exec, s[8:9]
	v_lshrrev_b16_e32 v28, 8, v28
	v_cmp_lt_i16_e64 s[0:1], s3, v28
	s_mov_b64 s[8:9], 0
                                        ; implicit-def: $sgpr26
	s_and_saveexec_b64 s[12:13], s[0:1]
	s_xor_b64 s[12:13], exec, s[12:13]
	s_cbranch_execnz .LBB311_1303
; %bb.900:                              ;   in Loop: Header=BB311_811 Depth=1
	s_or_saveexec_b64 s[12:13], s[12:13]
	v_mov_b32_e32 v11, s26
	s_xor_b64 exec, exec, s[12:13]
	s_cbranch_execnz .LBB311_1306
.LBB311_901:                            ;   in Loop: Header=BB311_811 Depth=1
	s_or_b64 exec, exec, s[12:13]
	s_and_saveexec_b64 s[12:13], s[8:9]
	s_cbranch_execz .LBB311_903
.LBB311_902:                            ;   in Loop: Header=BB311_811 Depth=1
	v_and_b32_e32 v10, 7, v28
	v_ffbh_u32_e32 v16, v10
	v_bfe_u32 v11, v28, 3, 4
	v_min_u32_e32 v16, 32, v16
	v_subrev_u32_e32 v20, 28, v16
	v_sub_u32_e32 v16, 29, v16
	v_cmp_eq_u32_e64 s[0:1], 0, v11
	v_lshlrev_b64 v[20:21], v20, v[28:29]
	v_and_b32_e32 v20, 7, v20
	v_cndmask_b32_e64 v11, v11, v16, s[0:1]
	v_lshlrev_b32_e32 v16, 8, v28
	v_lshl_add_u32 v11, v11, 10, v57
	v_cndmask_b32_e64 v10, v10, v20, s[0:1]
	v_and_or_b32 v11, v16, s17, v11
	v_lshl_or_b32 v10, v10, 7, v11
	v_cvt_f32_f16_e32 v11, v10
.LBB311_903:                            ;   in Loop: Header=BB311_811 Depth=1
	s_or_b64 exec, exec, s[12:13]
	v_lshrrev_b32_e32 v28, 16, v53
	v_cmp_gt_i16_sdwa s[8:9], v28, s3 src0_sel:BYTE_0 src1_sel:DWORD
	s_mov_b64 s[0:1], 0
                                        ; implicit-def: $sgpr20
	s_and_saveexec_b64 s[12:13], s[8:9]
	s_xor_b64 s[8:9], exec, s[12:13]
	s_cbranch_execnz .LBB311_1307
; %bb.904:                              ;   in Loop: Header=BB311_811 Depth=1
	s_or_saveexec_b64 s[8:9], s[8:9]
	v_mov_b32_e32 v16, s20
	s_xor_b64 exec, exec, s[8:9]
	s_cbranch_execnz .LBB311_1310
.LBB311_905:                            ;   in Loop: Header=BB311_811 Depth=1
	s_or_b64 exec, exec, s[8:9]
	s_and_saveexec_b64 s[8:9], s[0:1]
	s_cbranch_execz .LBB311_907
.LBB311_906:                            ;   in Loop: Header=BB311_811 Depth=1
	v_bfe_u32 v10, v53, 16, 3
	v_ffbh_u32_e32 v20, v10
	v_min_u32_e32 v22, 32, v20
	v_subrev_u32_e32 v20, 28, v22
	v_bfe_u32 v16, v53, 19, 4
	v_lshlrev_b64 v[20:21], v20, v[28:29]
	v_sub_u32_e32 v21, 29, v22
	v_cmp_eq_u32_e64 s[0:1], 0, v16
	v_and_b32_e32 v20, 7, v20
	s_nop 0
	v_cndmask_b32_e64 v16, v16, v21, s[0:1]
	v_cndmask_b32_e64 v10, v10, v20, s[0:1]
	v_lshlrev_b32_e32 v20, 8, v28
	v_lshl_add_u32 v16, v16, 10, v57
	v_and_or_b32 v16, v20, s17, v16
	v_lshl_or_b32 v10, v10, 7, v16
	v_cvt_f32_f16_e32 v16, v10
.LBB311_907:                            ;   in Loop: Header=BB311_811 Depth=1
	s_or_b64 exec, exec, s[8:9]
	v_lshrrev_b32_e32 v28, 24, v53
	v_cmp_lt_i16_e64 s[0:1], s3, v28
	s_mov_b64 s[8:9], 0
                                        ; implicit-def: $sgpr26
	s_and_saveexec_b64 s[12:13], s[0:1]
	s_xor_b64 s[12:13], exec, s[12:13]
	s_cbranch_execnz .LBB311_1311
; %bb.908:                              ;   in Loop: Header=BB311_811 Depth=1
	s_or_saveexec_b64 s[12:13], s[12:13]
	v_mov_b32_e32 v22, s26
	s_xor_b64 exec, exec, s[12:13]
	s_cbranch_execnz .LBB311_1314
.LBB311_909:                            ;   in Loop: Header=BB311_811 Depth=1
	s_or_b64 exec, exec, s[12:13]
	s_and_saveexec_b64 s[12:13], s[8:9]
	s_cbranch_execz .LBB311_911
.LBB311_910:                            ;   in Loop: Header=BB311_811 Depth=1
	v_bfe_u32 v10, v53, 24, 3
	v_ffbh_u32_e32 v20, v10
	v_min_u32_e32 v26, 32, v20
	v_subrev_u32_e32 v20, 28, v26
	v_bfe_u32 v22, v53, 27, 4
	v_lshlrev_b64 v[20:21], v20, v[28:29]
	v_sub_u32_e32 v21, 29, v26
	v_cmp_eq_u32_e64 s[0:1], 0, v22
	v_and_b32_e32 v20, 7, v20
	s_nop 0
	v_cndmask_b32_e64 v21, v22, v21, s[0:1]
	v_cndmask_b32_e64 v10, v10, v20, s[0:1]
	v_lshlrev_b32_e32 v20, 8, v28
	v_lshl_add_u32 v21, v21, 10, v57
	v_and_or_b32 v20, v20, s17, v21
	v_lshl_or_b32 v10, v10, 7, v20
	v_cvt_f32_f16_e32 v22, v10
.LBB311_911:                            ;   in Loop: Header=BB311_811 Depth=1
	s_or_b64 exec, exec, s[12:13]
	v_pk_mul_f32 v[20:21], v[50:51], v[40:41] op_sel_hi:[0,1]
	v_pk_mul_f32 v[26:27], v[50:51], v[54:55] op_sel_hi:[0,1]
	v_cvt_f16_f32_e32 v10, v21
	v_cvt_f16_f32_e32 v20, v20
	;; [unrolled: 1-line block ×4, first 2 shown]
	v_fma_mixlo_f16 v6, v50, v6, 0
	v_pack_b32_f16 v10, v20, v10
	v_fma_mixlo_f16 v16, v50, v16, 0
	v_pack_b32_f16 v21, v26, v21
	v_perm_b32 v20, v21, v10, s23
	v_perm_b32 v21, v21, v10, s24
	v_fma_mixlo_f16 v10, v50, v11, 0
	v_lshlrev_b32_e32 v10, 16, v10
	v_or_b32_sdwa v6, v10, v6 dst_sel:DWORD dst_unused:UNUSED_PAD src0_sel:DWORD src1_sel:WORD_0
	v_fma_mixlo_f16 v10, v50, v22, 0
	v_lshlrev_b32_e32 v10, 16, v10
	v_or_b32_sdwa v11, v10, v16 dst_sel:DWORD dst_unused:UNUSED_PAD src0_sel:DWORD src1_sel:WORD_0
	s_and_saveexec_b64 s[8:9], vcc
	s_cbranch_execz .LBB311_913
; %bb.912:                              ;   in Loop: Header=BB311_811 Depth=1
	v_lshrrev_b32_e32 v10, 16, v21
	v_cmp_lt_i32_e64 s[0:1], v45, v17
	v_accvgpr_read_b32 v22, a8
	s_nop 0
	v_cndmask_b32_e64 v10, 0, v10, s[0:1]
	v_cmp_lt_i32_e64 s[0:1], v7, v22
	s_nop 1
	v_cndmask_b32_e64 v21, 0, v21, s[0:1]
	v_perm_b32 v21, v10, v21, s25
	v_lshrrev_b32_e32 v10, 16, v20
	v_cmp_lt_i32_e64 s[0:1], v47, v17
	s_nop 1
	v_cndmask_b32_e64 v10, 0, v10, s[0:1]
	v_cmp_lt_i32_e64 s[0:1], v62, v22
	s_nop 1
	v_cndmask_b32_e64 v20, 0, v20, s[0:1]
	v_perm_b32 v20, v10, v20, s25
	v_lshrrev_b32_e32 v10, 16, v6
	v_cmp_lt_i32_e64 s[0:1], v61, v17
	;; [unrolled: 8-line block ×3, first 2 shown]
	s_nop 1
	v_cndmask_b32_e64 v10, 0, v10, s[0:1]
	v_cmp_lt_i32_e64 s[0:1], v58, v22
	s_nop 1
	v_cndmask_b32_e64 v11, 0, v16, s[0:1]
	v_perm_b32 v11, v10, v11, s25
.LBB311_913:                            ;   in Loop: Header=BB311_811 Depth=1
	s_or_b64 exec, exec, s[8:9]
	;;#ASMSTART
	v_pk_mul_f16 v10, v42, v21;

	;;#ASMEND
	;;#ASMSTART
	v_pk_mul_f16 v16, v5, v20;

	;;#ASMEND
	;; [unrolled: 4-line block ×4, first 2 shown]
	s_mov_b64 s[0:1], 0
	;;#ASMSTART
	v_pk_add_f16 v10, v10, v16;

	;;#ASMEND
                                        ; implicit-def: $sgpr20
	s_nop 0
	;;#ASMSTART
	v_pk_add_f16 v6, v10, v6;

	;;#ASMEND
	s_nop 0
	;;#ASMSTART
	v_pk_add_f16 v6, v6, v11;

	;;#ASMEND
	s_nop 0
	v_lshrrev_b32_e32 v10, 16, v6
	v_and_b32_e32 v6, 0xffff, v6
	;;#ASMSTART
	v_cvt_f32_f16 v43, v6;
	;;#ASMEND
	;;#ASMSTART
	v_cvt_f32_f16 v32, v10;
	;;#ASMEND
	v_accvgpr_read_b32 v11, a5
	flat_load_dwordx2 v[52:53], v[48:49] offset:1536
	v_accvgpr_read_b32 v10, a4
	flat_load_dword v50, v[10:11]
	s_waitcnt vmcnt(0) lgkmcnt(0)
	v_cmp_gt_i16_sdwa s[8:9], v52, s3 src0_sel:BYTE_0 src1_sel:DWORD
	s_and_saveexec_b64 s[12:13], s[8:9]
	s_xor_b64 s[8:9], exec, s[12:13]
	s_cbranch_execnz .LBB311_1315
; %bb.914:                              ;   in Loop: Header=BB311_811 Depth=1
	s_or_saveexec_b64 s[8:9], s[8:9]
	v_mov_b32_e32 v54, s20
	s_xor_b64 exec, exec, s[8:9]
	s_cbranch_execnz .LBB311_1318
.LBB311_915:                            ;   in Loop: Header=BB311_811 Depth=1
	s_or_b64 exec, exec, s[8:9]
	s_and_saveexec_b64 s[8:9], s[0:1]
	s_cbranch_execz .LBB311_917
.LBB311_916:                            ;   in Loop: Header=BB311_811 Depth=1
	v_and_b32_e32 v6, 7, v52
	v_ffbh_u32_e32 v6, v6
	v_bfe_u32 v10, v52, 3, 4
	v_min_u32_e32 v6, 32, v6
	v_subrev_u32_e32 v11, 28, v6
	v_sub_u32_e32 v6, 29, v6
	v_cmp_eq_u32_e64 s[0:1], 0, v10
	s_nop 1
	v_cndmask_b32_e64 v6, v10, v6, s[0:1]
	v_cndmask_b32_e64 v10, 0, v11, s[0:1]
	v_lshlrev_b64 v[20:21], v10, v[52:53]
	v_lshlrev_b32_e32 v11, 8, v52
	v_lshl_add_u32 v6, v6, 10, v57
	v_lshlrev_b32_e32 v10, 7, v20
	v_and_or_b32 v6, v11, s17, v6
	v_and_or_b32 v6, v10, s22, v6
	v_cvt_f32_f16_e32 v54, v6
.LBB311_917:                            ;   in Loop: Header=BB311_811 Depth=1
	s_or_b64 exec, exec, s[8:9]
	v_lshrrev_b16_e32 v28, 8, v52
	v_cmp_lt_i16_e64 s[0:1], s3, v28
	s_mov_b64 s[8:9], 0
                                        ; implicit-def: $sgpr26
	s_and_saveexec_b64 s[12:13], s[0:1]
	s_xor_b64 s[12:13], exec, s[12:13]
	s_cbranch_execnz .LBB311_1319
; %bb.918:                              ;   in Loop: Header=BB311_811 Depth=1
	s_or_saveexec_b64 s[12:13], s[12:13]
	v_mov_b32_e32 v40, s26
	s_xor_b64 exec, exec, s[12:13]
	s_cbranch_execnz .LBB311_1322
.LBB311_919:                            ;   in Loop: Header=BB311_811 Depth=1
	s_or_b64 exec, exec, s[12:13]
	s_and_saveexec_b64 s[12:13], s[8:9]
	s_cbranch_execz .LBB311_921
.LBB311_920:                            ;   in Loop: Header=BB311_811 Depth=1
	v_and_b32_e32 v6, 7, v28
	v_ffbh_u32_e32 v11, v6
	v_bfe_u32 v10, v28, 3, 4
	v_min_u32_e32 v11, 32, v11
	v_subrev_u32_e32 v16, 28, v11
	v_sub_u32_e32 v11, 29, v11
	v_cmp_eq_u32_e64 s[0:1], 0, v10
	v_lshlrev_b64 v[20:21], v16, v[28:29]
	v_and_b32_e32 v16, 7, v20
	v_cndmask_b32_e64 v10, v10, v11, s[0:1]
	v_lshlrev_b32_e32 v11, 8, v28
	v_lshl_add_u32 v10, v10, 10, v57
	v_cndmask_b32_e64 v6, v6, v16, s[0:1]
	v_and_or_b32 v10, v11, s17, v10
	v_lshl_or_b32 v6, v6, 7, v10
	v_cvt_f32_f16_e32 v40, v6
.LBB311_921:                            ;   in Loop: Header=BB311_811 Depth=1
	s_or_b64 exec, exec, s[12:13]
	v_lshrrev_b32_e32 v28, 16, v52
	v_cmp_gt_i16_sdwa s[8:9], v28, s3 src0_sel:BYTE_0 src1_sel:DWORD
	s_mov_b64 s[0:1], 0
                                        ; implicit-def: $sgpr20
	s_and_saveexec_b64 s[12:13], s[8:9]
	s_xor_b64 s[8:9], exec, s[12:13]
	s_cbranch_execnz .LBB311_1323
; %bb.922:                              ;   in Loop: Header=BB311_811 Depth=1
	s_or_saveexec_b64 s[8:9], s[8:9]
	v_mov_b32_e32 v55, s20
	s_xor_b64 exec, exec, s[8:9]
	s_cbranch_execnz .LBB311_1326
.LBB311_923:                            ;   in Loop: Header=BB311_811 Depth=1
	s_or_b64 exec, exec, s[8:9]
	s_and_saveexec_b64 s[8:9], s[0:1]
	s_cbranch_execz .LBB311_925
.LBB311_924:                            ;   in Loop: Header=BB311_811 Depth=1
	v_bfe_u32 v6, v52, 16, 3
	v_ffbh_u32_e32 v11, v6
	v_bfe_u32 v10, v52, 19, 4
	v_min_u32_e32 v11, 32, v11
	v_subrev_u32_e32 v16, 28, v11
	v_sub_u32_e32 v11, 29, v11
	v_cmp_eq_u32_e64 s[0:1], 0, v10
	v_lshlrev_b64 v[20:21], v16, v[28:29]
	v_and_b32_e32 v16, 7, v20
	v_cndmask_b32_e64 v10, v10, v11, s[0:1]
	v_lshlrev_b32_e32 v11, 8, v28
	v_lshl_add_u32 v10, v10, 10, v57
	v_cndmask_b32_e64 v6, v6, v16, s[0:1]
	v_and_or_b32 v10, v11, s17, v10
	v_lshl_or_b32 v6, v6, 7, v10
	v_cvt_f32_f16_e32 v55, v6
.LBB311_925:                            ;   in Loop: Header=BB311_811 Depth=1
	s_or_b64 exec, exec, s[8:9]
	v_lshrrev_b32_e32 v28, 24, v52
	v_cmp_lt_i16_e64 s[0:1], s3, v28
	s_mov_b64 s[8:9], 0
                                        ; implicit-def: $sgpr26
	s_and_saveexec_b64 s[12:13], s[0:1]
	s_xor_b64 s[12:13], exec, s[12:13]
	s_cbranch_execnz .LBB311_1327
; %bb.926:                              ;   in Loop: Header=BB311_811 Depth=1
	s_or_saveexec_b64 s[12:13], s[12:13]
	v_mov_b32_e32 v41, s26
	s_xor_b64 exec, exec, s[12:13]
	s_cbranch_execnz .LBB311_1330
.LBB311_927:                            ;   in Loop: Header=BB311_811 Depth=1
	s_or_b64 exec, exec, s[12:13]
	s_and_saveexec_b64 s[12:13], s[8:9]
	s_cbranch_execz .LBB311_929
.LBB311_928:                            ;   in Loop: Header=BB311_811 Depth=1
	v_bfe_u32 v6, v52, 24, 3
	v_ffbh_u32_e32 v11, v6
	v_bfe_u32 v10, v52, 27, 4
	v_min_u32_e32 v11, 32, v11
	v_subrev_u32_e32 v16, 28, v11
	v_sub_u32_e32 v11, 29, v11
	v_cmp_eq_u32_e64 s[0:1], 0, v10
	v_lshlrev_b64 v[20:21], v16, v[28:29]
	v_and_b32_e32 v16, 7, v20
	v_cndmask_b32_e64 v10, v10, v11, s[0:1]
	v_lshlrev_b32_e32 v11, 8, v28
	v_lshl_add_u32 v10, v10, 10, v57
	v_cndmask_b32_e64 v6, v6, v16, s[0:1]
	v_and_or_b32 v10, v11, s17, v10
	v_lshl_or_b32 v6, v6, 7, v10
	v_cvt_f32_f16_e32 v41, v6
.LBB311_929:                            ;   in Loop: Header=BB311_811 Depth=1
	s_or_b64 exec, exec, s[12:13]
	v_cmp_gt_i16_sdwa s[8:9], v53, s3 src0_sel:BYTE_0 src1_sel:DWORD
	s_mov_b64 s[0:1], 0
                                        ; implicit-def: $sgpr20
	s_and_saveexec_b64 s[12:13], s[8:9]
	s_xor_b64 s[8:9], exec, s[12:13]
	s_cbranch_execnz .LBB311_1331
; %bb.930:                              ;   in Loop: Header=BB311_811 Depth=1
	s_or_saveexec_b64 s[8:9], s[8:9]
	v_mov_b32_e32 v6, s20
	s_xor_b64 exec, exec, s[8:9]
	s_cbranch_execnz .LBB311_1334
.LBB311_931:                            ;   in Loop: Header=BB311_811 Depth=1
	s_or_b64 exec, exec, s[8:9]
	v_mov_b32_e32 v28, v53
	s_and_saveexec_b64 s[8:9], s[0:1]
	s_cbranch_execz .LBB311_933
.LBB311_932:                            ;   in Loop: Header=BB311_811 Depth=1
	v_and_b32_e32 v6, 7, v53
	v_ffbh_u32_e32 v6, v6
	v_bfe_u32 v10, v53, 3, 4
	v_min_u32_e32 v6, 32, v6
	v_subrev_u32_e32 v11, 28, v6
	v_sub_u32_e32 v6, 29, v6
	v_cmp_eq_u32_e64 s[0:1], 0, v10
	s_nop 1
	v_cndmask_b32_e64 v6, v10, v6, s[0:1]
	v_cndmask_b32_e64 v10, 0, v11, s[0:1]
	v_lshlrev_b64 v[20:21], v10, v[28:29]
	v_lshlrev_b32_e32 v11, 8, v53
	v_lshl_add_u32 v6, v6, 10, v57
	v_lshlrev_b32_e32 v10, 7, v20
	v_and_or_b32 v6, v11, s17, v6
	v_and_or_b32 v6, v10, s22, v6
	v_cvt_f32_f16_e32 v6, v6
.LBB311_933:                            ;   in Loop: Header=BB311_811 Depth=1
	s_or_b64 exec, exec, s[8:9]
	v_lshrrev_b16_e32 v28, 8, v28
	v_cmp_lt_i16_e64 s[0:1], s3, v28
	s_mov_b64 s[8:9], 0
                                        ; implicit-def: $sgpr26
	s_and_saveexec_b64 s[12:13], s[0:1]
	s_xor_b64 s[12:13], exec, s[12:13]
	s_cbranch_execnz .LBB311_1335
; %bb.934:                              ;   in Loop: Header=BB311_811 Depth=1
	s_or_saveexec_b64 s[12:13], s[12:13]
	v_mov_b32_e32 v16, s26
	s_xor_b64 exec, exec, s[12:13]
	s_cbranch_execnz .LBB311_1338
.LBB311_935:                            ;   in Loop: Header=BB311_811 Depth=1
	s_or_b64 exec, exec, s[12:13]
	s_and_saveexec_b64 s[12:13], s[8:9]
	s_cbranch_execz .LBB311_937
.LBB311_936:                            ;   in Loop: Header=BB311_811 Depth=1
	v_and_b32_e32 v10, 7, v28
	v_ffbh_u32_e32 v16, v10
	v_bfe_u32 v11, v28, 3, 4
	v_min_u32_e32 v16, 32, v16
	v_subrev_u32_e32 v20, 28, v16
	v_sub_u32_e32 v16, 29, v16
	v_cmp_eq_u32_e64 s[0:1], 0, v11
	v_lshlrev_b64 v[20:21], v20, v[28:29]
	v_and_b32_e32 v20, 7, v20
	v_cndmask_b32_e64 v11, v11, v16, s[0:1]
	v_lshlrev_b32_e32 v16, 8, v28
	v_lshl_add_u32 v11, v11, 10, v57
	v_cndmask_b32_e64 v10, v10, v20, s[0:1]
	v_and_or_b32 v11, v16, s17, v11
	v_lshl_or_b32 v10, v10, 7, v11
	v_cvt_f32_f16_e32 v16, v10
.LBB311_937:                            ;   in Loop: Header=BB311_811 Depth=1
	s_or_b64 exec, exec, s[12:13]
	v_lshrrev_b32_e32 v28, 16, v53
	v_cmp_gt_i16_sdwa s[8:9], v28, s3 src0_sel:BYTE_0 src1_sel:DWORD
	s_mov_b64 s[0:1], 0
                                        ; implicit-def: $sgpr20
	s_and_saveexec_b64 s[12:13], s[8:9]
	s_xor_b64 s[8:9], exec, s[12:13]
	s_cbranch_execnz .LBB311_1339
; %bb.938:                              ;   in Loop: Header=BB311_811 Depth=1
	s_or_saveexec_b64 s[8:9], s[8:9]
	v_mov_b32_e32 v20, s20
	s_xor_b64 exec, exec, s[8:9]
	s_cbranch_execnz .LBB311_1342
.LBB311_939:                            ;   in Loop: Header=BB311_811 Depth=1
	s_or_b64 exec, exec, s[8:9]
	s_and_saveexec_b64 s[8:9], s[0:1]
	s_cbranch_execz .LBB311_941
.LBB311_940:                            ;   in Loop: Header=BB311_811 Depth=1
	v_bfe_u32 v10, v53, 16, 3
	v_ffbh_u32_e32 v20, v10
	v_min_u32_e32 v22, 32, v20
	v_subrev_u32_e32 v20, 28, v22
	v_bfe_u32 v11, v53, 19, 4
	v_lshlrev_b64 v[20:21], v20, v[28:29]
	v_sub_u32_e32 v21, 29, v22
	v_cmp_eq_u32_e64 s[0:1], 0, v11
	v_and_b32_e32 v20, 7, v20
	s_nop 0
	v_cndmask_b32_e64 v11, v11, v21, s[0:1]
	v_cndmask_b32_e64 v10, v10, v20, s[0:1]
	v_lshlrev_b32_e32 v20, 8, v28
	v_lshl_add_u32 v11, v11, 10, v57
	v_and_or_b32 v11, v20, s17, v11
	v_lshl_or_b32 v10, v10, 7, v11
	v_cvt_f32_f16_e32 v20, v10
.LBB311_941:                            ;   in Loop: Header=BB311_811 Depth=1
	s_or_b64 exec, exec, s[8:9]
	v_lshrrev_b32_e32 v28, 24, v53
	v_cmp_lt_i16_e64 s[0:1], s3, v28
	s_mov_b64 s[8:9], 0
                                        ; implicit-def: $sgpr26
	s_and_saveexec_b64 s[12:13], s[0:1]
	s_xor_b64 s[12:13], exec, s[12:13]
	s_cbranch_execnz .LBB311_1343
; %bb.942:                              ;   in Loop: Header=BB311_811 Depth=1
	s_or_saveexec_b64 s[12:13], s[12:13]
	v_mov_b32_e32 v26, s26
	s_xor_b64 exec, exec, s[12:13]
	s_cbranch_execnz .LBB311_1346
.LBB311_943:                            ;   in Loop: Header=BB311_811 Depth=1
	s_or_b64 exec, exec, s[12:13]
	s_and_saveexec_b64 s[12:13], s[8:9]
	s_cbranch_execz .LBB311_945
.LBB311_944:                            ;   in Loop: Header=BB311_811 Depth=1
	v_bfe_u32 v10, v53, 24, 3
	v_ffbh_u32_e32 v21, v10
	v_bfe_u32 v11, v53, 27, 4
	v_min_u32_e32 v21, 32, v21
	v_subrev_u32_e32 v22, 28, v21
	v_sub_u32_e32 v21, 29, v21
	v_cmp_eq_u32_e64 s[0:1], 0, v11
	v_lshlrev_b64 v[26:27], v22, v[28:29]
	v_and_b32_e32 v22, 7, v26
	v_cndmask_b32_e64 v11, v11, v21, s[0:1]
	v_lshlrev_b32_e32 v21, 8, v28
	v_lshl_add_u32 v11, v11, 10, v57
	v_cndmask_b32_e64 v10, v10, v22, s[0:1]
	v_and_or_b32 v11, v21, s17, v11
	v_lshl_or_b32 v10, v10, 7, v11
	v_cvt_f32_f16_e32 v26, v10
.LBB311_945:                            ;   in Loop: Header=BB311_811 Depth=1
	s_or_b64 exec, exec, s[12:13]
	v_pk_mul_f32 v[34:35], v[50:51], v[40:41] op_sel_hi:[0,1]
	v_pk_mul_f32 v[36:37], v[50:51], v[54:55] op_sel_hi:[0,1]
	v_cvt_f16_f32_e32 v10, v35
	v_cvt_f16_f32_e32 v11, v34
	;; [unrolled: 1-line block ×4, first 2 shown]
	v_fma_mixlo_f16 v6, v50, v6, 0
	v_pack_b32_f16 v10, v11, v10
	v_fma_mixlo_f16 v20, v50, v20, 0
	v_pack_b32_f16 v11, v22, v21
	v_perm_b32 v21, v11, v10, s23
	v_perm_b32 v22, v11, v10, s24
	v_fma_mixlo_f16 v10, v50, v16, 0
	v_lshlrev_b32_e32 v10, 16, v10
	v_or_b32_sdwa v6, v10, v6 dst_sel:DWORD dst_unused:UNUSED_PAD src0_sel:DWORD src1_sel:WORD_0
	v_fma_mixlo_f16 v10, v50, v26, 0
	v_lshlrev_b32_e32 v10, 16, v10
	v_or_b32_sdwa v16, v10, v20 dst_sel:DWORD dst_unused:UNUSED_PAD src0_sel:DWORD src1_sel:WORD_0
	s_and_saveexec_b64 s[8:9], vcc
	s_cbranch_execz .LBB311_947
; %bb.946:                              ;   in Loop: Header=BB311_811 Depth=1
	v_lshrrev_b32_e32 v10, 16, v22
	v_cmp_lt_i32_e64 s[0:1], v45, v17
	v_accvgpr_read_b32 v26, a8
	s_nop 0
	v_cndmask_b32_e64 v10, 0, v10, s[0:1]
	v_cmp_lt_i32_e64 s[0:1], v7, v26
	s_nop 1
	v_cndmask_b32_e64 v11, 0, v22, s[0:1]
	v_perm_b32 v22, v10, v11, s25
	v_lshrrev_b32_e32 v10, 16, v21
	v_cmp_lt_i32_e64 s[0:1], v47, v17
	s_nop 1
	v_cndmask_b32_e64 v10, 0, v10, s[0:1]
	v_cmp_lt_i32_e64 s[0:1], v62, v26
	s_nop 1
	v_cndmask_b32_e64 v11, 0, v21, s[0:1]
	v_perm_b32 v21, v10, v11, s25
	v_lshrrev_b32_e32 v10, 16, v6
	v_cmp_lt_i32_e64 s[0:1], v61, v17
	;; [unrolled: 8-line block ×3, first 2 shown]
	s_nop 1
	v_cndmask_b32_e64 v10, 0, v10, s[0:1]
	v_cmp_lt_i32_e64 s[0:1], v58, v26
	s_nop 1
	v_cndmask_b32_e64 v11, 0, v20, s[0:1]
	v_perm_b32 v16, v10, v11, s25
.LBB311_947:                            ;   in Loop: Header=BB311_811 Depth=1
	s_or_b64 exec, exec, s[8:9]
	;;#ASMSTART
	v_pk_mul_f16 v10, v42, v22;

	;;#ASMEND
	;;#ASMSTART
	v_pk_mul_f16 v11, v5, v21;

	;;#ASMEND
	;; [unrolled: 4-line block ×4, first 2 shown]
	s_mov_b64 s[0:1], 0
	;;#ASMSTART
	v_pk_add_f16 v10, v10, v11;

	;;#ASMEND
                                        ; implicit-def: $sgpr20
	s_nop 0
	;;#ASMSTART
	v_pk_add_f16 v6, v10, v6;

	;;#ASMEND
	s_nop 0
	;;#ASMSTART
	v_pk_add_f16 v6, v6, v16;

	;;#ASMEND
	s_nop 0
	v_lshrrev_b32_e32 v10, 16, v6
	v_and_b32_e32 v6, 0xffff, v6
	;;#ASMSTART
	v_cvt_f32_f16 v33, v6;
	;;#ASMEND
	;;#ASMSTART
	v_cvt_f32_f16 v34, v10;
	;;#ASMEND
	v_accvgpr_read_b32 v11, a5
	flat_load_dwordx2 v[52:53], v[48:49] offset:2048
	v_accvgpr_read_b32 v10, a4
	flat_load_dword v50, v[10:11]
	s_waitcnt vmcnt(0) lgkmcnt(0)
	v_cmp_gt_i16_sdwa s[8:9], v52, s3 src0_sel:BYTE_0 src1_sel:DWORD
	s_and_saveexec_b64 s[12:13], s[8:9]
	s_xor_b64 s[8:9], exec, s[12:13]
	s_cbranch_execnz .LBB311_1347
; %bb.948:                              ;   in Loop: Header=BB311_811 Depth=1
	s_or_saveexec_b64 s[8:9], s[8:9]
	v_mov_b32_e32 v54, s20
	s_xor_b64 exec, exec, s[8:9]
	s_cbranch_execnz .LBB311_1350
.LBB311_949:                            ;   in Loop: Header=BB311_811 Depth=1
	s_or_b64 exec, exec, s[8:9]
	s_and_saveexec_b64 s[8:9], s[0:1]
	s_cbranch_execz .LBB311_951
.LBB311_950:                            ;   in Loop: Header=BB311_811 Depth=1
	v_and_b32_e32 v6, 7, v52
	v_ffbh_u32_e32 v6, v6
	v_bfe_u32 v10, v52, 3, 4
	v_min_u32_e32 v6, 32, v6
	v_subrev_u32_e32 v11, 28, v6
	v_sub_u32_e32 v6, 29, v6
	v_cmp_eq_u32_e64 s[0:1], 0, v10
	s_nop 1
	v_cndmask_b32_e64 v6, v10, v6, s[0:1]
	v_cndmask_b32_e64 v10, 0, v11, s[0:1]
	v_lshlrev_b64 v[20:21], v10, v[52:53]
	v_lshlrev_b32_e32 v11, 8, v52
	v_lshl_add_u32 v6, v6, 10, v57
	v_lshlrev_b32_e32 v10, 7, v20
	v_and_or_b32 v6, v11, s17, v6
	v_and_or_b32 v6, v10, s22, v6
	v_cvt_f32_f16_e32 v54, v6
.LBB311_951:                            ;   in Loop: Header=BB311_811 Depth=1
	s_or_b64 exec, exec, s[8:9]
	v_lshrrev_b16_e32 v28, 8, v52
	v_cmp_lt_i16_e64 s[0:1], s3, v28
	s_mov_b64 s[8:9], 0
                                        ; implicit-def: $sgpr26
	s_and_saveexec_b64 s[12:13], s[0:1]
	s_xor_b64 s[12:13], exec, s[12:13]
	s_cbranch_execnz .LBB311_1351
; %bb.952:                              ;   in Loop: Header=BB311_811 Depth=1
	s_or_saveexec_b64 s[12:13], s[12:13]
	v_mov_b32_e32 v40, s26
	s_xor_b64 exec, exec, s[12:13]
	s_cbranch_execnz .LBB311_1354
.LBB311_953:                            ;   in Loop: Header=BB311_811 Depth=1
	s_or_b64 exec, exec, s[12:13]
	s_and_saveexec_b64 s[12:13], s[8:9]
	s_cbranch_execz .LBB311_955
.LBB311_954:                            ;   in Loop: Header=BB311_811 Depth=1
	v_and_b32_e32 v6, 7, v28
	v_ffbh_u32_e32 v11, v6
	v_bfe_u32 v10, v28, 3, 4
	v_min_u32_e32 v11, 32, v11
	v_subrev_u32_e32 v16, 28, v11
	v_sub_u32_e32 v11, 29, v11
	v_cmp_eq_u32_e64 s[0:1], 0, v10
	v_lshlrev_b64 v[20:21], v16, v[28:29]
	v_and_b32_e32 v16, 7, v20
	v_cndmask_b32_e64 v10, v10, v11, s[0:1]
	v_lshlrev_b32_e32 v11, 8, v28
	v_lshl_add_u32 v10, v10, 10, v57
	v_cndmask_b32_e64 v6, v6, v16, s[0:1]
	v_and_or_b32 v10, v11, s17, v10
	v_lshl_or_b32 v6, v6, 7, v10
	v_cvt_f32_f16_e32 v40, v6
.LBB311_955:                            ;   in Loop: Header=BB311_811 Depth=1
	s_or_b64 exec, exec, s[12:13]
	v_lshrrev_b32_e32 v28, 16, v52
	v_cmp_gt_i16_sdwa s[8:9], v28, s3 src0_sel:BYTE_0 src1_sel:DWORD
	s_mov_b64 s[0:1], 0
                                        ; implicit-def: $sgpr20
	s_and_saveexec_b64 s[12:13], s[8:9]
	s_xor_b64 s[8:9], exec, s[12:13]
	s_cbranch_execnz .LBB311_1355
; %bb.956:                              ;   in Loop: Header=BB311_811 Depth=1
	s_or_saveexec_b64 s[8:9], s[8:9]
	v_mov_b32_e32 v55, s20
	s_xor_b64 exec, exec, s[8:9]
	s_cbranch_execnz .LBB311_1358
.LBB311_957:                            ;   in Loop: Header=BB311_811 Depth=1
	s_or_b64 exec, exec, s[8:9]
	s_and_saveexec_b64 s[8:9], s[0:1]
	s_cbranch_execz .LBB311_959
.LBB311_958:                            ;   in Loop: Header=BB311_811 Depth=1
	v_bfe_u32 v6, v52, 16, 3
	v_ffbh_u32_e32 v11, v6
	v_bfe_u32 v10, v52, 19, 4
	v_min_u32_e32 v11, 32, v11
	v_subrev_u32_e32 v16, 28, v11
	v_sub_u32_e32 v11, 29, v11
	v_cmp_eq_u32_e64 s[0:1], 0, v10
	v_lshlrev_b64 v[20:21], v16, v[28:29]
	v_and_b32_e32 v16, 7, v20
	v_cndmask_b32_e64 v10, v10, v11, s[0:1]
	v_lshlrev_b32_e32 v11, 8, v28
	v_lshl_add_u32 v10, v10, 10, v57
	v_cndmask_b32_e64 v6, v6, v16, s[0:1]
	v_and_or_b32 v10, v11, s17, v10
	v_lshl_or_b32 v6, v6, 7, v10
	v_cvt_f32_f16_e32 v55, v6
.LBB311_959:                            ;   in Loop: Header=BB311_811 Depth=1
	s_or_b64 exec, exec, s[8:9]
	v_lshrrev_b32_e32 v28, 24, v52
	v_cmp_lt_i16_e64 s[0:1], s3, v28
	s_mov_b64 s[8:9], 0
                                        ; implicit-def: $sgpr26
	s_and_saveexec_b64 s[12:13], s[0:1]
	s_xor_b64 s[12:13], exec, s[12:13]
	s_cbranch_execnz .LBB311_1359
; %bb.960:                              ;   in Loop: Header=BB311_811 Depth=1
	s_or_saveexec_b64 s[12:13], s[12:13]
	v_mov_b32_e32 v41, s26
	s_xor_b64 exec, exec, s[12:13]
	s_cbranch_execnz .LBB311_1362
.LBB311_961:                            ;   in Loop: Header=BB311_811 Depth=1
	s_or_b64 exec, exec, s[12:13]
	s_and_saveexec_b64 s[12:13], s[8:9]
	s_cbranch_execz .LBB311_963
.LBB311_962:                            ;   in Loop: Header=BB311_811 Depth=1
	v_bfe_u32 v6, v52, 24, 3
	v_ffbh_u32_e32 v11, v6
	v_bfe_u32 v10, v52, 27, 4
	v_min_u32_e32 v11, 32, v11
	v_subrev_u32_e32 v16, 28, v11
	v_sub_u32_e32 v11, 29, v11
	v_cmp_eq_u32_e64 s[0:1], 0, v10
	v_lshlrev_b64 v[20:21], v16, v[28:29]
	v_and_b32_e32 v16, 7, v20
	v_cndmask_b32_e64 v10, v10, v11, s[0:1]
	v_lshlrev_b32_e32 v11, 8, v28
	v_lshl_add_u32 v10, v10, 10, v57
	v_cndmask_b32_e64 v6, v6, v16, s[0:1]
	v_and_or_b32 v10, v11, s17, v10
	v_lshl_or_b32 v6, v6, 7, v10
	v_cvt_f32_f16_e32 v41, v6
.LBB311_963:                            ;   in Loop: Header=BB311_811 Depth=1
	s_or_b64 exec, exec, s[12:13]
	v_cmp_gt_i16_sdwa s[8:9], v53, s3 src0_sel:BYTE_0 src1_sel:DWORD
	s_mov_b64 s[0:1], 0
                                        ; implicit-def: $sgpr20
	s_and_saveexec_b64 s[12:13], s[8:9]
	s_xor_b64 s[8:9], exec, s[12:13]
	s_cbranch_execnz .LBB311_1363
; %bb.964:                              ;   in Loop: Header=BB311_811 Depth=1
	s_or_saveexec_b64 s[8:9], s[8:9]
	v_mov_b32_e32 v6, s20
	s_xor_b64 exec, exec, s[8:9]
	s_cbranch_execnz .LBB311_1366
.LBB311_965:                            ;   in Loop: Header=BB311_811 Depth=1
	s_or_b64 exec, exec, s[8:9]
	v_mov_b32_e32 v28, v53
	s_and_saveexec_b64 s[8:9], s[0:1]
	s_cbranch_execz .LBB311_967
.LBB311_966:                            ;   in Loop: Header=BB311_811 Depth=1
	v_and_b32_e32 v6, 7, v53
	v_ffbh_u32_e32 v6, v6
	v_bfe_u32 v10, v53, 3, 4
	v_min_u32_e32 v6, 32, v6
	v_subrev_u32_e32 v11, 28, v6
	v_sub_u32_e32 v6, 29, v6
	v_cmp_eq_u32_e64 s[0:1], 0, v10
	s_nop 1
	v_cndmask_b32_e64 v6, v10, v6, s[0:1]
	v_cndmask_b32_e64 v10, 0, v11, s[0:1]
	v_lshlrev_b64 v[20:21], v10, v[28:29]
	v_lshlrev_b32_e32 v11, 8, v53
	v_lshl_add_u32 v6, v6, 10, v57
	v_lshlrev_b32_e32 v10, 7, v20
	v_and_or_b32 v6, v11, s17, v6
	v_and_or_b32 v6, v10, s22, v6
	v_cvt_f32_f16_e32 v6, v6
.LBB311_967:                            ;   in Loop: Header=BB311_811 Depth=1
	s_or_b64 exec, exec, s[8:9]
	v_lshrrev_b16_e32 v28, 8, v28
	v_cmp_lt_i16_e64 s[0:1], s3, v28
	s_mov_b64 s[8:9], 0
                                        ; implicit-def: $sgpr26
	s_and_saveexec_b64 s[12:13], s[0:1]
	s_xor_b64 s[12:13], exec, s[12:13]
	s_cbranch_execnz .LBB311_1367
; %bb.968:                              ;   in Loop: Header=BB311_811 Depth=1
	s_or_saveexec_b64 s[12:13], s[12:13]
	v_mov_b32_e32 v16, s26
	s_xor_b64 exec, exec, s[12:13]
	s_cbranch_execnz .LBB311_1370
.LBB311_969:                            ;   in Loop: Header=BB311_811 Depth=1
	s_or_b64 exec, exec, s[12:13]
	s_and_saveexec_b64 s[12:13], s[8:9]
	s_cbranch_execz .LBB311_971
.LBB311_970:                            ;   in Loop: Header=BB311_811 Depth=1
	v_and_b32_e32 v10, 7, v28
	v_ffbh_u32_e32 v16, v10
	v_bfe_u32 v11, v28, 3, 4
	v_min_u32_e32 v16, 32, v16
	v_subrev_u32_e32 v20, 28, v16
	v_sub_u32_e32 v16, 29, v16
	v_cmp_eq_u32_e64 s[0:1], 0, v11
	v_lshlrev_b64 v[20:21], v20, v[28:29]
	v_and_b32_e32 v20, 7, v20
	v_cndmask_b32_e64 v11, v11, v16, s[0:1]
	v_lshlrev_b32_e32 v16, 8, v28
	v_lshl_add_u32 v11, v11, 10, v57
	v_cndmask_b32_e64 v10, v10, v20, s[0:1]
	v_and_or_b32 v11, v16, s17, v11
	v_lshl_or_b32 v10, v10, 7, v11
	v_cvt_f32_f16_e32 v16, v10
.LBB311_971:                            ;   in Loop: Header=BB311_811 Depth=1
	s_or_b64 exec, exec, s[12:13]
	v_lshrrev_b32_e32 v28, 16, v53
	v_cmp_gt_i16_sdwa s[8:9], v28, s3 src0_sel:BYTE_0 src1_sel:DWORD
	s_mov_b64 s[0:1], 0
                                        ; implicit-def: $sgpr20
	s_and_saveexec_b64 s[12:13], s[8:9]
	s_xor_b64 s[8:9], exec, s[12:13]
	s_cbranch_execnz .LBB311_1371
; %bb.972:                              ;   in Loop: Header=BB311_811 Depth=1
	s_or_saveexec_b64 s[8:9], s[8:9]
	v_mov_b32_e32 v20, s20
	s_xor_b64 exec, exec, s[8:9]
	s_cbranch_execnz .LBB311_1374
.LBB311_973:                            ;   in Loop: Header=BB311_811 Depth=1
	s_or_b64 exec, exec, s[8:9]
	s_and_saveexec_b64 s[8:9], s[0:1]
	s_cbranch_execz .LBB311_975
.LBB311_974:                            ;   in Loop: Header=BB311_811 Depth=1
	v_bfe_u32 v10, v53, 16, 3
	v_ffbh_u32_e32 v20, v10
	v_min_u32_e32 v22, 32, v20
	v_subrev_u32_e32 v20, 28, v22
	v_bfe_u32 v11, v53, 19, 4
	v_lshlrev_b64 v[20:21], v20, v[28:29]
	v_sub_u32_e32 v21, 29, v22
	v_cmp_eq_u32_e64 s[0:1], 0, v11
	v_and_b32_e32 v20, 7, v20
	s_nop 0
	v_cndmask_b32_e64 v11, v11, v21, s[0:1]
	v_cndmask_b32_e64 v10, v10, v20, s[0:1]
	v_lshlrev_b32_e32 v20, 8, v28
	v_lshl_add_u32 v11, v11, 10, v57
	v_and_or_b32 v11, v20, s17, v11
	v_lshl_or_b32 v10, v10, 7, v11
	v_cvt_f32_f16_e32 v20, v10
.LBB311_975:                            ;   in Loop: Header=BB311_811 Depth=1
	s_or_b64 exec, exec, s[8:9]
	v_lshrrev_b32_e32 v28, 24, v53
	v_cmp_lt_i16_e64 s[0:1], s3, v28
	s_mov_b64 s[8:9], 0
                                        ; implicit-def: $sgpr26
	s_and_saveexec_b64 s[12:13], s[0:1]
	s_xor_b64 s[12:13], exec, s[12:13]
	s_cbranch_execnz .LBB311_1375
; %bb.976:                              ;   in Loop: Header=BB311_811 Depth=1
	s_or_saveexec_b64 s[12:13], s[12:13]
	v_mov_b32_e32 v26, s26
	s_xor_b64 exec, exec, s[12:13]
	s_cbranch_execnz .LBB311_1378
.LBB311_977:                            ;   in Loop: Header=BB311_811 Depth=1
	s_or_b64 exec, exec, s[12:13]
	s_and_saveexec_b64 s[12:13], s[8:9]
	s_cbranch_execz .LBB311_979
.LBB311_978:                            ;   in Loop: Header=BB311_811 Depth=1
	v_bfe_u32 v10, v53, 24, 3
	v_ffbh_u32_e32 v21, v10
	v_bfe_u32 v11, v53, 27, 4
	v_min_u32_e32 v21, 32, v21
	v_subrev_u32_e32 v22, 28, v21
	v_sub_u32_e32 v21, 29, v21
	v_cmp_eq_u32_e64 s[0:1], 0, v11
	v_lshlrev_b64 v[26:27], v22, v[28:29]
	v_and_b32_e32 v22, 7, v26
	v_cndmask_b32_e64 v11, v11, v21, s[0:1]
	v_lshlrev_b32_e32 v21, 8, v28
	v_lshl_add_u32 v11, v11, 10, v57
	v_cndmask_b32_e64 v10, v10, v22, s[0:1]
	v_and_or_b32 v11, v21, s17, v11
	v_lshl_or_b32 v10, v10, 7, v11
	v_cvt_f32_f16_e32 v26, v10
.LBB311_979:                            ;   in Loop: Header=BB311_811 Depth=1
	s_or_b64 exec, exec, s[12:13]
	v_pk_mul_f32 v[36:37], v[50:51], v[40:41] op_sel_hi:[0,1]
	v_pk_mul_f32 v[38:39], v[50:51], v[54:55] op_sel_hi:[0,1]
	v_cvt_f16_f32_e32 v10, v37
	v_cvt_f16_f32_e32 v11, v36
	;; [unrolled: 1-line block ×4, first 2 shown]
	v_fma_mixlo_f16 v6, v50, v6, 0
	v_pack_b32_f16 v10, v11, v10
	v_fma_mixlo_f16 v20, v50, v20, 0
	v_pack_b32_f16 v11, v22, v21
	v_perm_b32 v21, v11, v10, s23
	v_perm_b32 v22, v11, v10, s24
	v_fma_mixlo_f16 v10, v50, v16, 0
	v_lshlrev_b32_e32 v10, 16, v10
	v_or_b32_sdwa v6, v10, v6 dst_sel:DWORD dst_unused:UNUSED_PAD src0_sel:DWORD src1_sel:WORD_0
	v_fma_mixlo_f16 v10, v50, v26, 0
	v_lshlrev_b32_e32 v10, 16, v10
	v_or_b32_sdwa v16, v10, v20 dst_sel:DWORD dst_unused:UNUSED_PAD src0_sel:DWORD src1_sel:WORD_0
	s_and_saveexec_b64 s[8:9], vcc
	s_cbranch_execz .LBB311_981
; %bb.980:                              ;   in Loop: Header=BB311_811 Depth=1
	v_lshrrev_b32_e32 v10, 16, v22
	v_cmp_lt_i32_e64 s[0:1], v45, v17
	v_accvgpr_read_b32 v26, a8
	s_nop 0
	v_cndmask_b32_e64 v10, 0, v10, s[0:1]
	v_cmp_lt_i32_e64 s[0:1], v7, v26
	s_nop 1
	v_cndmask_b32_e64 v11, 0, v22, s[0:1]
	v_perm_b32 v22, v10, v11, s25
	v_lshrrev_b32_e32 v10, 16, v21
	v_cmp_lt_i32_e64 s[0:1], v47, v17
	s_nop 1
	v_cndmask_b32_e64 v10, 0, v10, s[0:1]
	v_cmp_lt_i32_e64 s[0:1], v62, v26
	s_nop 1
	v_cndmask_b32_e64 v11, 0, v21, s[0:1]
	v_perm_b32 v21, v10, v11, s25
	v_lshrrev_b32_e32 v10, 16, v6
	v_cmp_lt_i32_e64 s[0:1], v61, v17
	s_nop 1
	v_cndmask_b32_e64 v10, 0, v10, s[0:1]
	v_cmp_lt_i32_e64 s[0:1], v60, v26
	s_nop 1
	v_cndmask_b32_e64 v6, 0, v6, s[0:1]
	v_perm_b32 v6, v10, v6, s25
	v_lshrrev_b32_e32 v10, 16, v16
	v_cmp_lt_i32_e64 s[0:1], v59, v17
	s_nop 1
	v_cndmask_b32_e64 v10, 0, v10, s[0:1]
	v_cmp_lt_i32_e64 s[0:1], v58, v26
	s_nop 1
	v_cndmask_b32_e64 v11, 0, v20, s[0:1]
	v_perm_b32 v16, v10, v11, s25
.LBB311_981:                            ;   in Loop: Header=BB311_811 Depth=1
	s_or_b64 exec, exec, s[8:9]
	;;#ASMSTART
	v_pk_mul_f16 v10, v42, v22;

	;;#ASMEND
	;;#ASMSTART
	v_pk_mul_f16 v11, v5, v21;

	;;#ASMEND
	;;#ASMSTART
	v_pk_mul_f16 v6, v4, v6;

	;;#ASMEND
	;;#ASMSTART
	v_pk_mul_f16 v16, v44, v16;

	;;#ASMEND
	s_mov_b64 s[0:1], 0
	;;#ASMSTART
	v_pk_add_f16 v10, v10, v11;

	;;#ASMEND
                                        ; implicit-def: $sgpr20
	s_nop 0
	;;#ASMSTART
	v_pk_add_f16 v6, v10, v6;

	;;#ASMEND
	s_nop 0
	;;#ASMSTART
	v_pk_add_f16 v6, v6, v16;

	;;#ASMEND
	s_nop 0
	v_lshrrev_b32_e32 v10, 16, v6
	v_and_b32_e32 v6, 0xffff, v6
	;;#ASMSTART
	v_cvt_f32_f16 v35, v6;
	;;#ASMEND
	;;#ASMSTART
	v_cvt_f32_f16 v36, v10;
	;;#ASMEND
	v_accvgpr_read_b32 v11, a5
	flat_load_dwordx2 v[52:53], v[48:49] offset:2560
	v_accvgpr_read_b32 v10, a4
	flat_load_dword v50, v[10:11]
	s_waitcnt vmcnt(0) lgkmcnt(0)
	v_cmp_gt_i16_sdwa s[8:9], v52, s3 src0_sel:BYTE_0 src1_sel:DWORD
	s_and_saveexec_b64 s[12:13], s[8:9]
	s_xor_b64 s[8:9], exec, s[12:13]
	s_cbranch_execnz .LBB311_1379
; %bb.982:                              ;   in Loop: Header=BB311_811 Depth=1
	s_or_saveexec_b64 s[8:9], s[8:9]
	v_mov_b32_e32 v54, s20
	s_xor_b64 exec, exec, s[8:9]
	s_cbranch_execnz .LBB311_1382
.LBB311_983:                            ;   in Loop: Header=BB311_811 Depth=1
	s_or_b64 exec, exec, s[8:9]
	s_and_saveexec_b64 s[8:9], s[0:1]
	s_cbranch_execz .LBB311_985
.LBB311_984:                            ;   in Loop: Header=BB311_811 Depth=1
	v_and_b32_e32 v6, 7, v52
	v_ffbh_u32_e32 v6, v6
	v_bfe_u32 v10, v52, 3, 4
	v_min_u32_e32 v6, 32, v6
	v_subrev_u32_e32 v11, 28, v6
	v_sub_u32_e32 v6, 29, v6
	v_cmp_eq_u32_e64 s[0:1], 0, v10
	s_nop 1
	v_cndmask_b32_e64 v6, v10, v6, s[0:1]
	v_cndmask_b32_e64 v10, 0, v11, s[0:1]
	v_lshlrev_b64 v[20:21], v10, v[52:53]
	v_lshlrev_b32_e32 v11, 8, v52
	v_lshl_add_u32 v6, v6, 10, v57
	v_lshlrev_b32_e32 v10, 7, v20
	v_and_or_b32 v6, v11, s17, v6
	v_and_or_b32 v6, v10, s22, v6
	v_cvt_f32_f16_e32 v54, v6
.LBB311_985:                            ;   in Loop: Header=BB311_811 Depth=1
	s_or_b64 exec, exec, s[8:9]
	v_lshrrev_b16_e32 v28, 8, v52
	v_cmp_lt_i16_e64 s[0:1], s3, v28
	s_mov_b64 s[8:9], 0
                                        ; implicit-def: $sgpr26
	s_and_saveexec_b64 s[12:13], s[0:1]
	s_xor_b64 s[12:13], exec, s[12:13]
	s_cbranch_execnz .LBB311_1383
; %bb.986:                              ;   in Loop: Header=BB311_811 Depth=1
	s_or_saveexec_b64 s[12:13], s[12:13]
	v_mov_b32_e32 v40, s26
	s_xor_b64 exec, exec, s[12:13]
	s_cbranch_execnz .LBB311_1386
.LBB311_987:                            ;   in Loop: Header=BB311_811 Depth=1
	s_or_b64 exec, exec, s[12:13]
	s_and_saveexec_b64 s[12:13], s[8:9]
	s_cbranch_execz .LBB311_989
.LBB311_988:                            ;   in Loop: Header=BB311_811 Depth=1
	v_and_b32_e32 v6, 7, v28
	v_ffbh_u32_e32 v11, v6
	v_bfe_u32 v10, v28, 3, 4
	v_min_u32_e32 v11, 32, v11
	v_subrev_u32_e32 v16, 28, v11
	v_sub_u32_e32 v11, 29, v11
	v_cmp_eq_u32_e64 s[0:1], 0, v10
	v_lshlrev_b64 v[20:21], v16, v[28:29]
	v_and_b32_e32 v16, 7, v20
	v_cndmask_b32_e64 v10, v10, v11, s[0:1]
	v_lshlrev_b32_e32 v11, 8, v28
	v_lshl_add_u32 v10, v10, 10, v57
	v_cndmask_b32_e64 v6, v6, v16, s[0:1]
	v_and_or_b32 v10, v11, s17, v10
	v_lshl_or_b32 v6, v6, 7, v10
	v_cvt_f32_f16_e32 v40, v6
.LBB311_989:                            ;   in Loop: Header=BB311_811 Depth=1
	s_or_b64 exec, exec, s[12:13]
	v_lshrrev_b32_e32 v28, 16, v52
	v_cmp_gt_i16_sdwa s[8:9], v28, s3 src0_sel:BYTE_0 src1_sel:DWORD
	s_mov_b64 s[0:1], 0
                                        ; implicit-def: $sgpr20
	s_and_saveexec_b64 s[12:13], s[8:9]
	s_xor_b64 s[8:9], exec, s[12:13]
	s_cbranch_execnz .LBB311_1387
; %bb.990:                              ;   in Loop: Header=BB311_811 Depth=1
	s_or_saveexec_b64 s[8:9], s[8:9]
	v_mov_b32_e32 v55, s20
	s_xor_b64 exec, exec, s[8:9]
	s_cbranch_execnz .LBB311_1390
.LBB311_991:                            ;   in Loop: Header=BB311_811 Depth=1
	s_or_b64 exec, exec, s[8:9]
	s_and_saveexec_b64 s[8:9], s[0:1]
	s_cbranch_execz .LBB311_993
.LBB311_992:                            ;   in Loop: Header=BB311_811 Depth=1
	v_bfe_u32 v6, v52, 16, 3
	v_ffbh_u32_e32 v11, v6
	v_bfe_u32 v10, v52, 19, 4
	v_min_u32_e32 v11, 32, v11
	v_subrev_u32_e32 v16, 28, v11
	v_sub_u32_e32 v11, 29, v11
	v_cmp_eq_u32_e64 s[0:1], 0, v10
	v_lshlrev_b64 v[20:21], v16, v[28:29]
	v_and_b32_e32 v16, 7, v20
	v_cndmask_b32_e64 v10, v10, v11, s[0:1]
	v_lshlrev_b32_e32 v11, 8, v28
	v_lshl_add_u32 v10, v10, 10, v57
	v_cndmask_b32_e64 v6, v6, v16, s[0:1]
	v_and_or_b32 v10, v11, s17, v10
	v_lshl_or_b32 v6, v6, 7, v10
	v_cvt_f32_f16_e32 v55, v6
.LBB311_993:                            ;   in Loop: Header=BB311_811 Depth=1
	s_or_b64 exec, exec, s[8:9]
	v_lshrrev_b32_e32 v28, 24, v52
	v_cmp_lt_i16_e64 s[0:1], s3, v28
	s_mov_b64 s[8:9], 0
                                        ; implicit-def: $sgpr26
	s_and_saveexec_b64 s[12:13], s[0:1]
	s_xor_b64 s[12:13], exec, s[12:13]
	s_cbranch_execnz .LBB311_1391
; %bb.994:                              ;   in Loop: Header=BB311_811 Depth=1
	s_or_saveexec_b64 s[12:13], s[12:13]
	v_mov_b32_e32 v41, s26
	s_xor_b64 exec, exec, s[12:13]
	s_cbranch_execnz .LBB311_1394
.LBB311_995:                            ;   in Loop: Header=BB311_811 Depth=1
	s_or_b64 exec, exec, s[12:13]
	s_and_saveexec_b64 s[12:13], s[8:9]
	s_cbranch_execz .LBB311_997
.LBB311_996:                            ;   in Loop: Header=BB311_811 Depth=1
	v_bfe_u32 v6, v52, 24, 3
	v_ffbh_u32_e32 v11, v6
	v_bfe_u32 v10, v52, 27, 4
	v_min_u32_e32 v11, 32, v11
	v_subrev_u32_e32 v16, 28, v11
	v_sub_u32_e32 v11, 29, v11
	v_cmp_eq_u32_e64 s[0:1], 0, v10
	v_lshlrev_b64 v[20:21], v16, v[28:29]
	v_and_b32_e32 v16, 7, v20
	v_cndmask_b32_e64 v10, v10, v11, s[0:1]
	v_lshlrev_b32_e32 v11, 8, v28
	v_lshl_add_u32 v10, v10, 10, v57
	v_cndmask_b32_e64 v6, v6, v16, s[0:1]
	v_and_or_b32 v10, v11, s17, v10
	v_lshl_or_b32 v6, v6, 7, v10
	v_cvt_f32_f16_e32 v41, v6
.LBB311_997:                            ;   in Loop: Header=BB311_811 Depth=1
	s_or_b64 exec, exec, s[12:13]
	v_cmp_gt_i16_sdwa s[8:9], v53, s3 src0_sel:BYTE_0 src1_sel:DWORD
	s_mov_b64 s[0:1], 0
                                        ; implicit-def: $sgpr20
	s_and_saveexec_b64 s[12:13], s[8:9]
	s_xor_b64 s[8:9], exec, s[12:13]
	s_cbranch_execnz .LBB311_1395
; %bb.998:                              ;   in Loop: Header=BB311_811 Depth=1
	s_or_saveexec_b64 s[8:9], s[8:9]
	v_mov_b32_e32 v6, s20
	s_xor_b64 exec, exec, s[8:9]
	s_cbranch_execnz .LBB311_1398
.LBB311_999:                            ;   in Loop: Header=BB311_811 Depth=1
	s_or_b64 exec, exec, s[8:9]
	v_mov_b32_e32 v28, v53
	s_and_saveexec_b64 s[8:9], s[0:1]
	s_cbranch_execz .LBB311_1001
.LBB311_1000:                           ;   in Loop: Header=BB311_811 Depth=1
	v_and_b32_e32 v6, 7, v53
	v_ffbh_u32_e32 v6, v6
	v_bfe_u32 v10, v53, 3, 4
	v_min_u32_e32 v6, 32, v6
	v_subrev_u32_e32 v11, 28, v6
	v_sub_u32_e32 v6, 29, v6
	v_cmp_eq_u32_e64 s[0:1], 0, v10
	s_nop 1
	v_cndmask_b32_e64 v6, v10, v6, s[0:1]
	v_cndmask_b32_e64 v10, 0, v11, s[0:1]
	v_lshlrev_b64 v[20:21], v10, v[28:29]
	v_lshlrev_b32_e32 v11, 8, v53
	v_lshl_add_u32 v6, v6, 10, v57
	v_lshlrev_b32_e32 v10, 7, v20
	v_and_or_b32 v6, v11, s17, v6
	v_and_or_b32 v6, v10, s22, v6
	v_cvt_f32_f16_e32 v6, v6
.LBB311_1001:                           ;   in Loop: Header=BB311_811 Depth=1
	s_or_b64 exec, exec, s[8:9]
	v_lshrrev_b16_e32 v28, 8, v28
	v_cmp_lt_i16_e64 s[0:1], s3, v28
	s_mov_b64 s[8:9], 0
                                        ; implicit-def: $sgpr26
	s_and_saveexec_b64 s[12:13], s[0:1]
	s_xor_b64 s[12:13], exec, s[12:13]
	s_cbranch_execnz .LBB311_1399
; %bb.1002:                             ;   in Loop: Header=BB311_811 Depth=1
	s_or_saveexec_b64 s[12:13], s[12:13]
	v_mov_b32_e32 v16, s26
	s_xor_b64 exec, exec, s[12:13]
	s_cbranch_execnz .LBB311_1402
.LBB311_1003:                           ;   in Loop: Header=BB311_811 Depth=1
	s_or_b64 exec, exec, s[12:13]
	s_and_saveexec_b64 s[12:13], s[8:9]
	s_cbranch_execz .LBB311_1005
.LBB311_1004:                           ;   in Loop: Header=BB311_811 Depth=1
	v_and_b32_e32 v10, 7, v28
	v_ffbh_u32_e32 v16, v10
	v_bfe_u32 v11, v28, 3, 4
	v_min_u32_e32 v16, 32, v16
	v_subrev_u32_e32 v20, 28, v16
	v_sub_u32_e32 v16, 29, v16
	v_cmp_eq_u32_e64 s[0:1], 0, v11
	v_lshlrev_b64 v[20:21], v20, v[28:29]
	v_and_b32_e32 v20, 7, v20
	v_cndmask_b32_e64 v11, v11, v16, s[0:1]
	v_lshlrev_b32_e32 v16, 8, v28
	v_lshl_add_u32 v11, v11, 10, v57
	v_cndmask_b32_e64 v10, v10, v20, s[0:1]
	v_and_or_b32 v11, v16, s17, v11
	v_lshl_or_b32 v10, v10, 7, v11
	v_cvt_f32_f16_e32 v16, v10
.LBB311_1005:                           ;   in Loop: Header=BB311_811 Depth=1
	s_or_b64 exec, exec, s[12:13]
	v_lshrrev_b32_e32 v28, 16, v53
	v_cmp_gt_i16_sdwa s[8:9], v28, s3 src0_sel:BYTE_0 src1_sel:DWORD
	s_mov_b64 s[0:1], 0
                                        ; implicit-def: $sgpr20
	s_and_saveexec_b64 s[12:13], s[8:9]
	s_xor_b64 s[8:9], exec, s[12:13]
	s_cbranch_execnz .LBB311_1403
; %bb.1006:                             ;   in Loop: Header=BB311_811 Depth=1
	s_or_saveexec_b64 s[8:9], s[8:9]
	v_mov_b32_e32 v20, s20
	s_xor_b64 exec, exec, s[8:9]
	s_cbranch_execnz .LBB311_1406
.LBB311_1007:                           ;   in Loop: Header=BB311_811 Depth=1
	s_or_b64 exec, exec, s[8:9]
	s_and_saveexec_b64 s[8:9], s[0:1]
	s_cbranch_execz .LBB311_1009
.LBB311_1008:                           ;   in Loop: Header=BB311_811 Depth=1
	v_bfe_u32 v10, v53, 16, 3
	v_ffbh_u32_e32 v20, v10
	v_min_u32_e32 v22, 32, v20
	v_subrev_u32_e32 v20, 28, v22
	v_bfe_u32 v11, v53, 19, 4
	v_lshlrev_b64 v[20:21], v20, v[28:29]
	v_sub_u32_e32 v21, 29, v22
	v_cmp_eq_u32_e64 s[0:1], 0, v11
	v_and_b32_e32 v20, 7, v20
	s_nop 0
	v_cndmask_b32_e64 v11, v11, v21, s[0:1]
	v_cndmask_b32_e64 v10, v10, v20, s[0:1]
	v_lshlrev_b32_e32 v20, 8, v28
	v_lshl_add_u32 v11, v11, 10, v57
	v_and_or_b32 v11, v20, s17, v11
	v_lshl_or_b32 v10, v10, 7, v11
	v_cvt_f32_f16_e32 v20, v10
.LBB311_1009:                           ;   in Loop: Header=BB311_811 Depth=1
	s_or_b64 exec, exec, s[8:9]
	v_lshrrev_b32_e32 v28, 24, v53
	v_cmp_lt_i16_e64 s[0:1], s3, v28
	s_mov_b64 s[8:9], 0
                                        ; implicit-def: $sgpr26
	s_and_saveexec_b64 s[12:13], s[0:1]
	s_xor_b64 s[12:13], exec, s[12:13]
	s_cbranch_execnz .LBB311_1407
; %bb.1010:                             ;   in Loop: Header=BB311_811 Depth=1
	s_or_saveexec_b64 s[12:13], s[12:13]
	v_mov_b32_e32 v26, s26
	s_xor_b64 exec, exec, s[12:13]
	s_cbranch_execnz .LBB311_1410
.LBB311_1011:                           ;   in Loop: Header=BB311_811 Depth=1
	s_or_b64 exec, exec, s[12:13]
	s_and_saveexec_b64 s[12:13], s[8:9]
	s_cbranch_execz .LBB311_1013
.LBB311_1012:                           ;   in Loop: Header=BB311_811 Depth=1
	v_bfe_u32 v10, v53, 24, 3
	v_ffbh_u32_e32 v21, v10
	v_bfe_u32 v11, v53, 27, 4
	v_min_u32_e32 v21, 32, v21
	v_subrev_u32_e32 v22, 28, v21
	v_sub_u32_e32 v21, 29, v21
	v_cmp_eq_u32_e64 s[0:1], 0, v11
	v_lshlrev_b64 v[26:27], v22, v[28:29]
	v_and_b32_e32 v22, 7, v26
	v_cndmask_b32_e64 v11, v11, v21, s[0:1]
	v_lshlrev_b32_e32 v21, 8, v28
	v_lshl_add_u32 v11, v11, 10, v57
	v_cndmask_b32_e64 v10, v10, v22, s[0:1]
	v_and_or_b32 v11, v21, s17, v11
	v_lshl_or_b32 v10, v10, 7, v11
	v_cvt_f32_f16_e32 v26, v10
.LBB311_1013:                           ;   in Loop: Header=BB311_811 Depth=1
	s_or_b64 exec, exec, s[12:13]
	v_pk_mul_f32 v[38:39], v[50:51], v[40:41] op_sel_hi:[0,1]
	v_pk_mul_f32 v[52:53], v[50:51], v[54:55] op_sel_hi:[0,1]
	v_cvt_f16_f32_e32 v10, v39
	v_cvt_f16_f32_e32 v11, v38
	;; [unrolled: 1-line block ×4, first 2 shown]
	v_fma_mixlo_f16 v6, v50, v6, 0
	v_pack_b32_f16 v10, v11, v10
	v_fma_mixlo_f16 v20, v50, v20, 0
	v_pack_b32_f16 v11, v22, v21
	v_perm_b32 v21, v11, v10, s23
	v_perm_b32 v22, v11, v10, s24
	v_fma_mixlo_f16 v10, v50, v16, 0
	v_lshlrev_b32_e32 v10, 16, v10
	v_or_b32_sdwa v6, v10, v6 dst_sel:DWORD dst_unused:UNUSED_PAD src0_sel:DWORD src1_sel:WORD_0
	v_fma_mixlo_f16 v10, v50, v26, 0
	v_lshlrev_b32_e32 v10, 16, v10
	v_or_b32_sdwa v16, v10, v20 dst_sel:DWORD dst_unused:UNUSED_PAD src0_sel:DWORD src1_sel:WORD_0
	s_and_saveexec_b64 s[8:9], vcc
	s_cbranch_execz .LBB311_1015
; %bb.1014:                             ;   in Loop: Header=BB311_811 Depth=1
	v_lshrrev_b32_e32 v10, 16, v22
	v_cmp_lt_i32_e64 s[0:1], v45, v17
	v_accvgpr_read_b32 v26, a8
	s_nop 0
	v_cndmask_b32_e64 v10, 0, v10, s[0:1]
	v_cmp_lt_i32_e64 s[0:1], v7, v26
	s_nop 1
	v_cndmask_b32_e64 v11, 0, v22, s[0:1]
	v_perm_b32 v22, v10, v11, s25
	v_lshrrev_b32_e32 v10, 16, v21
	v_cmp_lt_i32_e64 s[0:1], v47, v17
	s_nop 1
	v_cndmask_b32_e64 v10, 0, v10, s[0:1]
	v_cmp_lt_i32_e64 s[0:1], v62, v26
	s_nop 1
	v_cndmask_b32_e64 v11, 0, v21, s[0:1]
	v_perm_b32 v21, v10, v11, s25
	v_lshrrev_b32_e32 v10, 16, v6
	v_cmp_lt_i32_e64 s[0:1], v61, v17
	;; [unrolled: 8-line block ×3, first 2 shown]
	s_nop 1
	v_cndmask_b32_e64 v10, 0, v10, s[0:1]
	v_cmp_lt_i32_e64 s[0:1], v58, v26
	s_nop 1
	v_cndmask_b32_e64 v11, 0, v20, s[0:1]
	v_perm_b32 v16, v10, v11, s25
.LBB311_1015:                           ;   in Loop: Header=BB311_811 Depth=1
	s_or_b64 exec, exec, s[8:9]
	;;#ASMSTART
	v_pk_mul_f16 v10, v42, v22;

	;;#ASMEND
	;;#ASMSTART
	v_pk_mul_f16 v11, v5, v21;

	;;#ASMEND
	;; [unrolled: 4-line block ×4, first 2 shown]
	s_mov_b64 s[0:1], 0
	;;#ASMSTART
	v_pk_add_f16 v10, v10, v11;

	;;#ASMEND
                                        ; implicit-def: $sgpr20
	s_nop 0
	;;#ASMSTART
	v_pk_add_f16 v6, v10, v6;

	;;#ASMEND
	s_nop 0
	;;#ASMSTART
	v_pk_add_f16 v6, v6, v16;

	;;#ASMEND
	s_nop 0
	v_lshrrev_b32_e32 v10, 16, v6
	v_and_b32_e32 v6, 0xffff, v6
	;;#ASMSTART
	v_cvt_f32_f16 v22, v6;
	;;#ASMEND
	;;#ASMSTART
	v_cvt_f32_f16 v37, v10;
	;;#ASMEND
	v_accvgpr_read_b32 v11, a5
	flat_load_dwordx2 v[52:53], v[48:49] offset:3072
	v_accvgpr_read_b32 v10, a4
	flat_load_dword v50, v[10:11]
	s_waitcnt vmcnt(0) lgkmcnt(0)
	v_cmp_gt_i16_sdwa s[8:9], v52, s3 src0_sel:BYTE_0 src1_sel:DWORD
	s_and_saveexec_b64 s[12:13], s[8:9]
	s_xor_b64 s[8:9], exec, s[12:13]
	s_cbranch_execnz .LBB311_1411
; %bb.1016:                             ;   in Loop: Header=BB311_811 Depth=1
	s_or_saveexec_b64 s[8:9], s[8:9]
	v_mov_b32_e32 v54, s20
	s_xor_b64 exec, exec, s[8:9]
	s_cbranch_execnz .LBB311_1414
.LBB311_1017:                           ;   in Loop: Header=BB311_811 Depth=1
	s_or_b64 exec, exec, s[8:9]
	s_and_saveexec_b64 s[8:9], s[0:1]
	s_cbranch_execz .LBB311_1019
.LBB311_1018:                           ;   in Loop: Header=BB311_811 Depth=1
	v_and_b32_e32 v6, 7, v52
	v_ffbh_u32_e32 v6, v6
	v_bfe_u32 v10, v52, 3, 4
	v_min_u32_e32 v6, 32, v6
	v_subrev_u32_e32 v11, 28, v6
	v_sub_u32_e32 v6, 29, v6
	v_cmp_eq_u32_e64 s[0:1], 0, v10
	s_nop 1
	v_cndmask_b32_e64 v6, v10, v6, s[0:1]
	v_cndmask_b32_e64 v10, 0, v11, s[0:1]
	v_lshlrev_b64 v[20:21], v10, v[52:53]
	v_lshlrev_b32_e32 v11, 8, v52
	v_lshl_add_u32 v6, v6, 10, v57
	v_lshlrev_b32_e32 v10, 7, v20
	v_and_or_b32 v6, v11, s17, v6
	v_and_or_b32 v6, v10, s22, v6
	v_cvt_f32_f16_e32 v54, v6
.LBB311_1019:                           ;   in Loop: Header=BB311_811 Depth=1
	s_or_b64 exec, exec, s[8:9]
	v_lshrrev_b16_e32 v28, 8, v52
	v_cmp_lt_i16_e64 s[0:1], s3, v28
	s_mov_b64 s[8:9], 0
                                        ; implicit-def: $sgpr26
	s_and_saveexec_b64 s[12:13], s[0:1]
	s_xor_b64 s[12:13], exec, s[12:13]
	s_cbranch_execnz .LBB311_1415
; %bb.1020:                             ;   in Loop: Header=BB311_811 Depth=1
	s_or_saveexec_b64 s[12:13], s[12:13]
	v_mov_b32_e32 v40, s26
	s_xor_b64 exec, exec, s[12:13]
	s_cbranch_execnz .LBB311_1418
.LBB311_1021:                           ;   in Loop: Header=BB311_811 Depth=1
	s_or_b64 exec, exec, s[12:13]
	s_and_saveexec_b64 s[12:13], s[8:9]
	s_cbranch_execz .LBB311_1023
.LBB311_1022:                           ;   in Loop: Header=BB311_811 Depth=1
	v_and_b32_e32 v6, 7, v28
	v_ffbh_u32_e32 v11, v6
	v_bfe_u32 v10, v28, 3, 4
	v_min_u32_e32 v11, 32, v11
	v_subrev_u32_e32 v16, 28, v11
	v_sub_u32_e32 v11, 29, v11
	v_cmp_eq_u32_e64 s[0:1], 0, v10
	v_lshlrev_b64 v[20:21], v16, v[28:29]
	v_and_b32_e32 v16, 7, v20
	v_cndmask_b32_e64 v10, v10, v11, s[0:1]
	v_lshlrev_b32_e32 v11, 8, v28
	v_lshl_add_u32 v10, v10, 10, v57
	v_cndmask_b32_e64 v6, v6, v16, s[0:1]
	v_and_or_b32 v10, v11, s17, v10
	v_lshl_or_b32 v6, v6, 7, v10
	v_cvt_f32_f16_e32 v40, v6
.LBB311_1023:                           ;   in Loop: Header=BB311_811 Depth=1
	s_or_b64 exec, exec, s[12:13]
	v_lshrrev_b32_e32 v28, 16, v52
	v_cmp_gt_i16_sdwa s[8:9], v28, s3 src0_sel:BYTE_0 src1_sel:DWORD
	s_mov_b64 s[0:1], 0
                                        ; implicit-def: $sgpr20
	s_and_saveexec_b64 s[12:13], s[8:9]
	s_xor_b64 s[8:9], exec, s[12:13]
	s_cbranch_execnz .LBB311_1419
; %bb.1024:                             ;   in Loop: Header=BB311_811 Depth=1
	s_or_saveexec_b64 s[8:9], s[8:9]
	v_mov_b32_e32 v55, s20
	s_xor_b64 exec, exec, s[8:9]
	s_cbranch_execnz .LBB311_1422
.LBB311_1025:                           ;   in Loop: Header=BB311_811 Depth=1
	s_or_b64 exec, exec, s[8:9]
	s_and_saveexec_b64 s[8:9], s[0:1]
	s_cbranch_execz .LBB311_1027
.LBB311_1026:                           ;   in Loop: Header=BB311_811 Depth=1
	v_bfe_u32 v6, v52, 16, 3
	v_ffbh_u32_e32 v11, v6
	v_bfe_u32 v10, v52, 19, 4
	v_min_u32_e32 v11, 32, v11
	v_subrev_u32_e32 v16, 28, v11
	v_sub_u32_e32 v11, 29, v11
	v_cmp_eq_u32_e64 s[0:1], 0, v10
	v_lshlrev_b64 v[20:21], v16, v[28:29]
	v_and_b32_e32 v16, 7, v20
	v_cndmask_b32_e64 v10, v10, v11, s[0:1]
	v_lshlrev_b32_e32 v11, 8, v28
	v_lshl_add_u32 v10, v10, 10, v57
	v_cndmask_b32_e64 v6, v6, v16, s[0:1]
	v_and_or_b32 v10, v11, s17, v10
	v_lshl_or_b32 v6, v6, 7, v10
	v_cvt_f32_f16_e32 v55, v6
.LBB311_1027:                           ;   in Loop: Header=BB311_811 Depth=1
	s_or_b64 exec, exec, s[8:9]
	v_lshrrev_b32_e32 v28, 24, v52
	v_cmp_lt_i16_e64 s[0:1], s3, v28
	s_mov_b64 s[8:9], 0
                                        ; implicit-def: $sgpr26
	s_and_saveexec_b64 s[12:13], s[0:1]
	s_xor_b64 s[12:13], exec, s[12:13]
	s_cbranch_execnz .LBB311_1423
; %bb.1028:                             ;   in Loop: Header=BB311_811 Depth=1
	s_or_saveexec_b64 s[12:13], s[12:13]
	v_mov_b32_e32 v41, s26
	s_xor_b64 exec, exec, s[12:13]
	s_cbranch_execnz .LBB311_1426
.LBB311_1029:                           ;   in Loop: Header=BB311_811 Depth=1
	s_or_b64 exec, exec, s[12:13]
	s_and_saveexec_b64 s[12:13], s[8:9]
	s_cbranch_execz .LBB311_1031
.LBB311_1030:                           ;   in Loop: Header=BB311_811 Depth=1
	v_bfe_u32 v6, v52, 24, 3
	v_ffbh_u32_e32 v11, v6
	v_bfe_u32 v10, v52, 27, 4
	v_min_u32_e32 v11, 32, v11
	v_subrev_u32_e32 v16, 28, v11
	v_sub_u32_e32 v11, 29, v11
	v_cmp_eq_u32_e64 s[0:1], 0, v10
	v_lshlrev_b64 v[20:21], v16, v[28:29]
	v_and_b32_e32 v16, 7, v20
	v_cndmask_b32_e64 v10, v10, v11, s[0:1]
	v_lshlrev_b32_e32 v11, 8, v28
	v_lshl_add_u32 v10, v10, 10, v57
	v_cndmask_b32_e64 v6, v6, v16, s[0:1]
	v_and_or_b32 v10, v11, s17, v10
	v_lshl_or_b32 v6, v6, 7, v10
	v_cvt_f32_f16_e32 v41, v6
.LBB311_1031:                           ;   in Loop: Header=BB311_811 Depth=1
	s_or_b64 exec, exec, s[12:13]
	v_cmp_gt_i16_sdwa s[8:9], v53, s3 src0_sel:BYTE_0 src1_sel:DWORD
	s_mov_b64 s[0:1], 0
                                        ; implicit-def: $sgpr20
	s_and_saveexec_b64 s[12:13], s[8:9]
	s_xor_b64 s[8:9], exec, s[12:13]
	s_cbranch_execnz .LBB311_1427
; %bb.1032:                             ;   in Loop: Header=BB311_811 Depth=1
	s_or_saveexec_b64 s[8:9], s[8:9]
	v_mov_b32_e32 v6, s20
	s_xor_b64 exec, exec, s[8:9]
	s_cbranch_execnz .LBB311_1430
.LBB311_1033:                           ;   in Loop: Header=BB311_811 Depth=1
	s_or_b64 exec, exec, s[8:9]
	v_mov_b32_e32 v28, v53
	s_and_saveexec_b64 s[8:9], s[0:1]
	s_cbranch_execz .LBB311_1035
.LBB311_1034:                           ;   in Loop: Header=BB311_811 Depth=1
	v_and_b32_e32 v6, 7, v53
	v_ffbh_u32_e32 v6, v6
	v_bfe_u32 v10, v53, 3, 4
	v_min_u32_e32 v6, 32, v6
	v_subrev_u32_e32 v11, 28, v6
	v_sub_u32_e32 v6, 29, v6
	v_cmp_eq_u32_e64 s[0:1], 0, v10
	s_nop 1
	v_cndmask_b32_e64 v6, v10, v6, s[0:1]
	v_cndmask_b32_e64 v10, 0, v11, s[0:1]
	v_lshlrev_b64 v[20:21], v10, v[28:29]
	v_lshlrev_b32_e32 v11, 8, v53
	v_lshl_add_u32 v6, v6, 10, v57
	v_lshlrev_b32_e32 v10, 7, v20
	v_and_or_b32 v6, v11, s17, v6
	v_and_or_b32 v6, v10, s22, v6
	v_cvt_f32_f16_e32 v6, v6
.LBB311_1035:                           ;   in Loop: Header=BB311_811 Depth=1
	s_or_b64 exec, exec, s[8:9]
	v_lshrrev_b16_e32 v28, 8, v28
	v_cmp_lt_i16_e64 s[0:1], s3, v28
	s_mov_b64 s[8:9], 0
                                        ; implicit-def: $sgpr26
	s_and_saveexec_b64 s[12:13], s[0:1]
	s_xor_b64 s[12:13], exec, s[12:13]
	s_cbranch_execnz .LBB311_1431
; %bb.1036:                             ;   in Loop: Header=BB311_811 Depth=1
	s_or_saveexec_b64 s[12:13], s[12:13]
	v_mov_b32_e32 v16, s26
	s_xor_b64 exec, exec, s[12:13]
	s_cbranch_execnz .LBB311_1434
.LBB311_1037:                           ;   in Loop: Header=BB311_811 Depth=1
	s_or_b64 exec, exec, s[12:13]
	s_and_saveexec_b64 s[12:13], s[8:9]
	s_cbranch_execz .LBB311_1039
.LBB311_1038:                           ;   in Loop: Header=BB311_811 Depth=1
	v_and_b32_e32 v10, 7, v28
	v_ffbh_u32_e32 v16, v10
	v_bfe_u32 v11, v28, 3, 4
	v_min_u32_e32 v16, 32, v16
	v_subrev_u32_e32 v20, 28, v16
	v_sub_u32_e32 v16, 29, v16
	v_cmp_eq_u32_e64 s[0:1], 0, v11
	v_lshlrev_b64 v[20:21], v20, v[28:29]
	v_and_b32_e32 v20, 7, v20
	v_cndmask_b32_e64 v11, v11, v16, s[0:1]
	v_lshlrev_b32_e32 v16, 8, v28
	v_lshl_add_u32 v11, v11, 10, v57
	v_cndmask_b32_e64 v10, v10, v20, s[0:1]
	v_and_or_b32 v11, v16, s17, v11
	v_lshl_or_b32 v10, v10, 7, v11
	v_cvt_f32_f16_e32 v16, v10
.LBB311_1039:                           ;   in Loop: Header=BB311_811 Depth=1
	s_or_b64 exec, exec, s[12:13]
	v_lshrrev_b32_e32 v28, 16, v53
	v_cmp_gt_i16_sdwa s[8:9], v28, s3 src0_sel:BYTE_0 src1_sel:DWORD
	s_mov_b64 s[0:1], 0
                                        ; implicit-def: $sgpr20
	s_and_saveexec_b64 s[12:13], s[8:9]
	s_xor_b64 s[8:9], exec, s[12:13]
	s_cbranch_execnz .LBB311_1435
; %bb.1040:                             ;   in Loop: Header=BB311_811 Depth=1
	s_or_saveexec_b64 s[8:9], s[8:9]
	v_mov_b32_e32 v20, s20
	s_xor_b64 exec, exec, s[8:9]
	s_cbranch_execnz .LBB311_1438
.LBB311_1041:                           ;   in Loop: Header=BB311_811 Depth=1
	s_or_b64 exec, exec, s[8:9]
	s_and_saveexec_b64 s[8:9], s[0:1]
	s_cbranch_execz .LBB311_1043
.LBB311_1042:                           ;   in Loop: Header=BB311_811 Depth=1
	v_bfe_u32 v10, v53, 16, 3
	v_ffbh_u32_e32 v20, v10
	v_min_u32_e32 v26, 32, v20
	v_subrev_u32_e32 v20, 28, v26
	v_bfe_u32 v11, v53, 19, 4
	v_lshlrev_b64 v[20:21], v20, v[28:29]
	v_sub_u32_e32 v21, 29, v26
	v_cmp_eq_u32_e64 s[0:1], 0, v11
	v_and_b32_e32 v20, 7, v20
	s_nop 0
	v_cndmask_b32_e64 v11, v11, v21, s[0:1]
	v_cndmask_b32_e64 v10, v10, v20, s[0:1]
	v_lshlrev_b32_e32 v20, 8, v28
	v_lshl_add_u32 v11, v11, 10, v57
	v_and_or_b32 v11, v20, s17, v11
	v_lshl_or_b32 v10, v10, 7, v11
	v_cvt_f32_f16_e32 v20, v10
.LBB311_1043:                           ;   in Loop: Header=BB311_811 Depth=1
	s_or_b64 exec, exec, s[8:9]
	v_lshrrev_b32_e32 v28, 24, v53
	v_cmp_lt_i16_e64 s[0:1], s3, v28
	s_mov_b64 s[8:9], 0
                                        ; implicit-def: $sgpr26
	s_and_saveexec_b64 s[12:13], s[0:1]
	s_xor_b64 s[12:13], exec, s[12:13]
	s_cbranch_execnz .LBB311_1439
; %bb.1044:                             ;   in Loop: Header=BB311_811 Depth=1
	s_or_saveexec_b64 s[12:13], s[12:13]
	v_mov_b32_e32 v27, s26
	s_xor_b64 exec, exec, s[12:13]
	s_cbranch_execnz .LBB311_1442
.LBB311_1045:                           ;   in Loop: Header=BB311_811 Depth=1
	s_or_b64 exec, exec, s[12:13]
	s_and_saveexec_b64 s[12:13], s[8:9]
	s_cbranch_execz .LBB311_1047
.LBB311_1046:                           ;   in Loop: Header=BB311_811 Depth=1
	v_bfe_u32 v10, v53, 24, 3
	v_ffbh_u32_e32 v21, v10
	v_bfe_u32 v11, v53, 27, 4
	v_min_u32_e32 v21, 32, v21
	v_subrev_u32_e32 v26, 28, v21
	v_sub_u32_e32 v21, 29, v21
	v_cmp_eq_u32_e64 s[0:1], 0, v11
	v_lshlrev_b64 v[26:27], v26, v[28:29]
	v_and_b32_e32 v26, 7, v26
	v_cndmask_b32_e64 v11, v11, v21, s[0:1]
	v_lshlrev_b32_e32 v21, 8, v28
	v_lshl_add_u32 v11, v11, 10, v57
	v_cndmask_b32_e64 v10, v10, v26, s[0:1]
	v_and_or_b32 v11, v21, s17, v11
	v_lshl_or_b32 v10, v10, 7, v11
	v_cvt_f32_f16_e32 v27, v10
.LBB311_1047:                           ;   in Loop: Header=BB311_811 Depth=1
	s_or_b64 exec, exec, s[12:13]
	v_pk_mul_f32 v[38:39], v[50:51], v[40:41] op_sel_hi:[0,1]
	v_pk_mul_f32 v[52:53], v[50:51], v[54:55] op_sel_hi:[0,1]
	v_cvt_f16_f32_e32 v10, v39
	v_cvt_f16_f32_e32 v11, v38
	;; [unrolled: 1-line block ×4, first 2 shown]
	v_fma_mixlo_f16 v6, v50, v6, 0
	v_pack_b32_f16 v10, v11, v10
	v_fma_mixlo_f16 v20, v50, v20, 0
	v_pack_b32_f16 v11, v26, v21
	v_perm_b32 v21, v11, v10, s23
	v_perm_b32 v26, v11, v10, s24
	v_fma_mixlo_f16 v10, v50, v16, 0
	v_lshlrev_b32_e32 v10, 16, v10
	v_or_b32_sdwa v6, v10, v6 dst_sel:DWORD dst_unused:UNUSED_PAD src0_sel:DWORD src1_sel:WORD_0
	v_fma_mixlo_f16 v10, v50, v27, 0
	v_lshlrev_b32_e32 v10, 16, v10
	v_or_b32_sdwa v16, v10, v20 dst_sel:DWORD dst_unused:UNUSED_PAD src0_sel:DWORD src1_sel:WORD_0
	s_and_saveexec_b64 s[8:9], vcc
	s_cbranch_execz .LBB311_1049
; %bb.1048:                             ;   in Loop: Header=BB311_811 Depth=1
	v_lshrrev_b32_e32 v10, 16, v26
	v_cmp_lt_i32_e64 s[0:1], v45, v17
	v_accvgpr_read_b32 v28, a8
	s_nop 0
	v_cndmask_b32_e64 v10, 0, v10, s[0:1]
	v_cmp_lt_i32_e64 s[0:1], v7, v28
	s_nop 1
	v_cndmask_b32_e64 v11, 0, v26, s[0:1]
	v_perm_b32 v26, v10, v11, s25
	v_lshrrev_b32_e32 v10, 16, v21
	v_cmp_lt_i32_e64 s[0:1], v47, v17
	s_nop 1
	v_cndmask_b32_e64 v10, 0, v10, s[0:1]
	v_cmp_lt_i32_e64 s[0:1], v62, v28
	s_nop 1
	v_cndmask_b32_e64 v11, 0, v21, s[0:1]
	v_perm_b32 v21, v10, v11, s25
	v_lshrrev_b32_e32 v10, 16, v6
	v_cmp_lt_i32_e64 s[0:1], v61, v17
	;; [unrolled: 8-line block ×3, first 2 shown]
	s_nop 1
	v_cndmask_b32_e64 v10, 0, v10, s[0:1]
	v_cmp_lt_i32_e64 s[0:1], v58, v28
	s_nop 1
	v_cndmask_b32_e64 v11, 0, v20, s[0:1]
	v_perm_b32 v16, v10, v11, s25
.LBB311_1049:                           ;   in Loop: Header=BB311_811 Depth=1
	s_or_b64 exec, exec, s[8:9]
	;;#ASMSTART
	v_pk_mul_f16 v10, v42, v26;

	;;#ASMEND
	;;#ASMSTART
	v_pk_mul_f16 v11, v5, v21;

	;;#ASMEND
	;; [unrolled: 4-line block ×4, first 2 shown]
	s_mov_b64 s[0:1], 0
	;;#ASMSTART
	v_pk_add_f16 v10, v10, v11;

	;;#ASMEND
                                        ; implicit-def: $sgpr20
	s_nop 0
	;;#ASMSTART
	v_pk_add_f16 v6, v10, v6;

	;;#ASMEND
	s_nop 0
	;;#ASMSTART
	v_pk_add_f16 v6, v6, v16;

	;;#ASMEND
	s_nop 0
	v_lshrrev_b32_e32 v10, 16, v6
	v_and_b32_e32 v6, 0xffff, v6
	;;#ASMSTART
	v_cvt_f32_f16 v40, v6;
	;;#ASMEND
	;;#ASMSTART
	v_cvt_f32_f16 v41, v10;
	;;#ASMEND
	v_accvgpr_read_b32 v11, a5
	flat_load_dwordx2 v[50:51], v[48:49] offset:3584
	v_accvgpr_read_b32 v10, a4
	flat_load_dword v48, v[10:11]
	s_waitcnt vmcnt(0) lgkmcnt(0)
	v_cmp_gt_i16_sdwa s[8:9], v50, s3 src0_sel:BYTE_0 src1_sel:DWORD
	s_and_saveexec_b64 s[12:13], s[8:9]
	s_xor_b64 s[8:9], exec, s[12:13]
	s_cbranch_execnz .LBB311_1443
; %bb.1050:                             ;   in Loop: Header=BB311_811 Depth=1
	s_or_saveexec_b64 s[8:9], s[8:9]
	v_mov_b32_e32 v52, s20
	s_xor_b64 exec, exec, s[8:9]
	s_cbranch_execnz .LBB311_1446
.LBB311_1051:                           ;   in Loop: Header=BB311_811 Depth=1
	s_or_b64 exec, exec, s[8:9]
	s_and_saveexec_b64 s[8:9], s[0:1]
	s_cbranch_execz .LBB311_1053
.LBB311_1052:                           ;   in Loop: Header=BB311_811 Depth=1
	v_and_b32_e32 v6, 7, v50
	v_ffbh_u32_e32 v6, v6
	v_bfe_u32 v10, v50, 3, 4
	v_min_u32_e32 v6, 32, v6
	v_subrev_u32_e32 v11, 28, v6
	v_sub_u32_e32 v6, 29, v6
	v_cmp_eq_u32_e64 s[0:1], 0, v10
	s_nop 1
	v_cndmask_b32_e64 v6, v10, v6, s[0:1]
	v_cndmask_b32_e64 v10, 0, v11, s[0:1]
	v_lshlrev_b64 v[20:21], v10, v[50:51]
	v_lshlrev_b32_e32 v11, 8, v50
	v_lshl_add_u32 v6, v6, 10, v57
	v_lshlrev_b32_e32 v10, 7, v20
	v_and_or_b32 v6, v11, s17, v6
	v_and_or_b32 v6, v10, s22, v6
	v_cvt_f32_f16_e32 v52, v6
.LBB311_1053:                           ;   in Loop: Header=BB311_811 Depth=1
	s_or_b64 exec, exec, s[8:9]
	v_lshrrev_b16_e32 v28, 8, v50
	v_cmp_lt_i16_e64 s[0:1], s3, v28
	s_mov_b64 s[8:9], 0
                                        ; implicit-def: $sgpr26
	s_and_saveexec_b64 s[12:13], s[0:1]
	s_xor_b64 s[12:13], exec, s[12:13]
	s_cbranch_execnz .LBB311_1447
; %bb.1054:                             ;   in Loop: Header=BB311_811 Depth=1
	s_or_saveexec_b64 s[12:13], s[12:13]
	v_mov_b32_e32 v54, s26
	s_xor_b64 exec, exec, s[12:13]
	s_cbranch_execnz .LBB311_1450
.LBB311_1055:                           ;   in Loop: Header=BB311_811 Depth=1
	s_or_b64 exec, exec, s[12:13]
	s_and_saveexec_b64 s[12:13], s[8:9]
	s_cbranch_execz .LBB311_1057
.LBB311_1056:                           ;   in Loop: Header=BB311_811 Depth=1
	v_and_b32_e32 v6, 7, v28
	v_ffbh_u32_e32 v11, v6
	v_bfe_u32 v10, v28, 3, 4
	v_min_u32_e32 v11, 32, v11
	v_subrev_u32_e32 v16, 28, v11
	v_sub_u32_e32 v11, 29, v11
	v_cmp_eq_u32_e64 s[0:1], 0, v10
	v_lshlrev_b64 v[20:21], v16, v[28:29]
	v_and_b32_e32 v16, 7, v20
	v_cndmask_b32_e64 v10, v10, v11, s[0:1]
	v_lshlrev_b32_e32 v11, 8, v28
	v_lshl_add_u32 v10, v10, 10, v57
	v_cndmask_b32_e64 v6, v6, v16, s[0:1]
	v_and_or_b32 v10, v11, s17, v10
	v_lshl_or_b32 v6, v6, 7, v10
	v_cvt_f32_f16_e32 v54, v6
.LBB311_1057:                           ;   in Loop: Header=BB311_811 Depth=1
	s_or_b64 exec, exec, s[12:13]
	v_lshrrev_b32_e32 v28, 16, v50
	v_cmp_gt_i16_sdwa s[8:9], v28, s3 src0_sel:BYTE_0 src1_sel:DWORD
	s_mov_b64 s[0:1], 0
                                        ; implicit-def: $sgpr20
	s_and_saveexec_b64 s[12:13], s[8:9]
	s_xor_b64 s[8:9], exec, s[12:13]
	s_cbranch_execnz .LBB311_1451
; %bb.1058:                             ;   in Loop: Header=BB311_811 Depth=1
	s_or_saveexec_b64 s[8:9], s[8:9]
	v_mov_b32_e32 v53, s20
	s_xor_b64 exec, exec, s[8:9]
	s_cbranch_execnz .LBB311_1454
.LBB311_1059:                           ;   in Loop: Header=BB311_811 Depth=1
	s_or_b64 exec, exec, s[8:9]
	s_and_saveexec_b64 s[8:9], s[0:1]
	s_cbranch_execz .LBB311_1061
.LBB311_1060:                           ;   in Loop: Header=BB311_811 Depth=1
	v_bfe_u32 v6, v50, 16, 3
	v_ffbh_u32_e32 v11, v6
	v_bfe_u32 v10, v50, 19, 4
	v_min_u32_e32 v11, 32, v11
	v_subrev_u32_e32 v16, 28, v11
	v_sub_u32_e32 v11, 29, v11
	v_cmp_eq_u32_e64 s[0:1], 0, v10
	v_lshlrev_b64 v[20:21], v16, v[28:29]
	v_and_b32_e32 v16, 7, v20
	v_cndmask_b32_e64 v10, v10, v11, s[0:1]
	v_lshlrev_b32_e32 v11, 8, v28
	v_lshl_add_u32 v10, v10, 10, v57
	v_cndmask_b32_e64 v6, v6, v16, s[0:1]
	v_and_or_b32 v10, v11, s17, v10
	v_lshl_or_b32 v6, v6, 7, v10
	v_cvt_f32_f16_e32 v53, v6
.LBB311_1061:                           ;   in Loop: Header=BB311_811 Depth=1
	s_or_b64 exec, exec, s[8:9]
	v_lshrrev_b32_e32 v28, 24, v50
	v_cmp_lt_i16_e64 s[0:1], s3, v28
	s_mov_b64 s[8:9], 0
                                        ; implicit-def: $sgpr26
	s_and_saveexec_b64 s[12:13], s[0:1]
	s_xor_b64 s[12:13], exec, s[12:13]
	s_cbranch_execnz .LBB311_1455
; %bb.1062:                             ;   in Loop: Header=BB311_811 Depth=1
	s_or_saveexec_b64 s[12:13], s[12:13]
	v_mov_b32_e32 v55, s26
	s_xor_b64 exec, exec, s[12:13]
	s_cbranch_execnz .LBB311_1458
.LBB311_1063:                           ;   in Loop: Header=BB311_811 Depth=1
	s_or_b64 exec, exec, s[12:13]
	s_and_saveexec_b64 s[12:13], s[8:9]
	s_cbranch_execz .LBB311_1065
.LBB311_1064:                           ;   in Loop: Header=BB311_811 Depth=1
	v_bfe_u32 v6, v50, 24, 3
	v_ffbh_u32_e32 v11, v6
	v_bfe_u32 v10, v50, 27, 4
	v_min_u32_e32 v11, 32, v11
	v_subrev_u32_e32 v16, 28, v11
	v_sub_u32_e32 v11, 29, v11
	v_cmp_eq_u32_e64 s[0:1], 0, v10
	v_lshlrev_b64 v[20:21], v16, v[28:29]
	v_and_b32_e32 v16, 7, v20
	v_cndmask_b32_e64 v10, v10, v11, s[0:1]
	v_lshlrev_b32_e32 v11, 8, v28
	v_lshl_add_u32 v10, v10, 10, v57
	v_cndmask_b32_e64 v6, v6, v16, s[0:1]
	v_and_or_b32 v10, v11, s17, v10
	v_lshl_or_b32 v6, v6, 7, v10
	v_cvt_f32_f16_e32 v55, v6
.LBB311_1065:                           ;   in Loop: Header=BB311_811 Depth=1
	s_or_b64 exec, exec, s[12:13]
	v_cmp_gt_i16_sdwa s[8:9], v51, s3 src0_sel:BYTE_0 src1_sel:DWORD
	s_mov_b64 s[0:1], 0
                                        ; implicit-def: $sgpr20
	s_and_saveexec_b64 s[12:13], s[8:9]
	s_xor_b64 s[8:9], exec, s[12:13]
	s_cbranch_execnz .LBB311_1459
; %bb.1066:                             ;   in Loop: Header=BB311_811 Depth=1
	s_or_saveexec_b64 s[8:9], s[8:9]
	v_mov_b32_e32 v6, s20
	s_xor_b64 exec, exec, s[8:9]
	s_cbranch_execnz .LBB311_1462
.LBB311_1067:                           ;   in Loop: Header=BB311_811 Depth=1
	s_or_b64 exec, exec, s[8:9]
	v_mov_b32_e32 v28, v51
	s_and_saveexec_b64 s[8:9], s[0:1]
	s_cbranch_execz .LBB311_1069
.LBB311_1068:                           ;   in Loop: Header=BB311_811 Depth=1
	v_and_b32_e32 v6, 7, v51
	v_ffbh_u32_e32 v6, v6
	v_bfe_u32 v10, v51, 3, 4
	v_min_u32_e32 v6, 32, v6
	v_subrev_u32_e32 v11, 28, v6
	v_sub_u32_e32 v6, 29, v6
	v_cmp_eq_u32_e64 s[0:1], 0, v10
	s_nop 1
	v_cndmask_b32_e64 v6, v10, v6, s[0:1]
	v_cndmask_b32_e64 v10, 0, v11, s[0:1]
	v_lshlrev_b64 v[20:21], v10, v[28:29]
	v_lshlrev_b32_e32 v11, 8, v51
	v_lshl_add_u32 v6, v6, 10, v57
	v_lshlrev_b32_e32 v10, 7, v20
	v_and_or_b32 v6, v11, s17, v6
	v_and_or_b32 v6, v10, s22, v6
	v_cvt_f32_f16_e32 v6, v6
.LBB311_1069:                           ;   in Loop: Header=BB311_811 Depth=1
	s_or_b64 exec, exec, s[8:9]
	v_lshrrev_b16_e32 v28, 8, v28
	v_cmp_lt_i16_e64 s[0:1], s3, v28
	s_mov_b64 s[8:9], 0
                                        ; implicit-def: $sgpr26
	s_and_saveexec_b64 s[12:13], s[0:1]
	s_xor_b64 s[12:13], exec, s[12:13]
	s_cbranch_execnz .LBB311_1463
; %bb.1070:                             ;   in Loop: Header=BB311_811 Depth=1
	s_or_saveexec_b64 s[12:13], s[12:13]
	v_mov_b32_e32 v16, s26
	s_xor_b64 exec, exec, s[12:13]
	s_cbranch_execnz .LBB311_1466
.LBB311_1071:                           ;   in Loop: Header=BB311_811 Depth=1
	s_or_b64 exec, exec, s[12:13]
	s_and_saveexec_b64 s[12:13], s[8:9]
	s_cbranch_execz .LBB311_1073
.LBB311_1072:                           ;   in Loop: Header=BB311_811 Depth=1
	v_and_b32_e32 v10, 7, v28
	v_ffbh_u32_e32 v16, v10
	v_bfe_u32 v11, v28, 3, 4
	v_min_u32_e32 v16, 32, v16
	v_subrev_u32_e32 v20, 28, v16
	v_sub_u32_e32 v16, 29, v16
	v_cmp_eq_u32_e64 s[0:1], 0, v11
	v_lshlrev_b64 v[20:21], v20, v[28:29]
	v_and_b32_e32 v20, 7, v20
	v_cndmask_b32_e64 v11, v11, v16, s[0:1]
	v_lshlrev_b32_e32 v16, 8, v28
	v_lshl_add_u32 v11, v11, 10, v57
	v_cndmask_b32_e64 v10, v10, v20, s[0:1]
	v_and_or_b32 v11, v16, s17, v11
	v_lshl_or_b32 v10, v10, 7, v11
	v_cvt_f32_f16_e32 v16, v10
.LBB311_1073:                           ;   in Loop: Header=BB311_811 Depth=1
	s_or_b64 exec, exec, s[12:13]
	v_lshrrev_b32_e32 v28, 16, v51
	v_cmp_gt_i16_sdwa s[8:9], v28, s3 src0_sel:BYTE_0 src1_sel:DWORD
	s_mov_b64 s[0:1], 0
                                        ; implicit-def: $sgpr20
	s_and_saveexec_b64 s[12:13], s[8:9]
	s_xor_b64 s[8:9], exec, s[12:13]
	s_cbranch_execnz .LBB311_1467
; %bb.1074:                             ;   in Loop: Header=BB311_811 Depth=1
	s_or_saveexec_b64 s[8:9], s[8:9]
	v_mov_b32_e32 v20, s20
	s_xor_b64 exec, exec, s[8:9]
	s_cbranch_execnz .LBB311_1470
.LBB311_1075:                           ;   in Loop: Header=BB311_811 Depth=1
	s_or_b64 exec, exec, s[8:9]
	s_and_saveexec_b64 s[8:9], s[0:1]
	s_cbranch_execz .LBB311_1077
.LBB311_1076:                           ;   in Loop: Header=BB311_811 Depth=1
	v_bfe_u32 v10, v51, 16, 3
	v_ffbh_u32_e32 v20, v10
	v_min_u32_e32 v26, 32, v20
	v_subrev_u32_e32 v20, 28, v26
	v_bfe_u32 v11, v51, 19, 4
	v_lshlrev_b64 v[20:21], v20, v[28:29]
	v_sub_u32_e32 v21, 29, v26
	v_cmp_eq_u32_e64 s[0:1], 0, v11
	v_and_b32_e32 v20, 7, v20
	s_nop 0
	v_cndmask_b32_e64 v11, v11, v21, s[0:1]
	v_cndmask_b32_e64 v10, v10, v20, s[0:1]
	v_lshlrev_b32_e32 v20, 8, v28
	v_lshl_add_u32 v11, v11, 10, v57
	v_and_or_b32 v11, v20, s17, v11
	v_lshl_or_b32 v10, v10, 7, v11
	v_cvt_f32_f16_e32 v20, v10
.LBB311_1077:                           ;   in Loop: Header=BB311_811 Depth=1
	s_or_b64 exec, exec, s[8:9]
	v_lshrrev_b32_e32 v28, 24, v51
	v_cmp_lt_i16_e64 s[0:1], s3, v28
	s_mov_b64 s[8:9], 0
                                        ; implicit-def: $sgpr26
	s_and_saveexec_b64 s[12:13], s[0:1]
	s_xor_b64 s[12:13], exec, s[12:13]
	s_cbranch_execnz .LBB311_1471
; %bb.1078:                             ;   in Loop: Header=BB311_811 Depth=1
	s_or_saveexec_b64 s[12:13], s[12:13]
	v_mov_b32_e32 v27, s26
	s_xor_b64 exec, exec, s[12:13]
	s_cbranch_execnz .LBB311_1474
.LBB311_1079:                           ;   in Loop: Header=BB311_811 Depth=1
	s_or_b64 exec, exec, s[12:13]
	s_and_saveexec_b64 s[12:13], s[8:9]
	s_cbranch_execz .LBB311_1081
.LBB311_1080:                           ;   in Loop: Header=BB311_811 Depth=1
	v_bfe_u32 v10, v51, 24, 3
	v_ffbh_u32_e32 v21, v10
	v_bfe_u32 v11, v51, 27, 4
	v_min_u32_e32 v21, 32, v21
	v_subrev_u32_e32 v26, 28, v21
	v_sub_u32_e32 v21, 29, v21
	v_cmp_eq_u32_e64 s[0:1], 0, v11
	v_lshlrev_b64 v[26:27], v26, v[28:29]
	v_and_b32_e32 v26, 7, v26
	v_cndmask_b32_e64 v11, v11, v21, s[0:1]
	v_lshlrev_b32_e32 v21, 8, v28
	v_lshl_add_u32 v11, v11, 10, v57
	v_cndmask_b32_e64 v10, v10, v26, s[0:1]
	v_and_or_b32 v11, v21, s17, v11
	v_lshl_or_b32 v10, v10, 7, v11
	v_cvt_f32_f16_e32 v27, v10
.LBB311_1081:                           ;   in Loop: Header=BB311_811 Depth=1
	s_or_b64 exec, exec, s[12:13]
	v_pk_mul_f32 v[38:39], v[48:49], v[54:55] op_sel_hi:[0,1]
	v_pk_mul_f32 v[50:51], v[48:49], v[52:53] op_sel_hi:[0,1]
	v_cvt_f16_f32_e32 v10, v39
	v_cvt_f16_f32_e32 v11, v38
	;; [unrolled: 1-line block ×4, first 2 shown]
	v_fma_mixlo_f16 v6, v48, v6, 0
	v_pack_b32_f16 v10, v11, v10
	v_fma_mixlo_f16 v20, v48, v20, 0
	v_pack_b32_f16 v11, v26, v21
	v_perm_b32 v21, v11, v10, s23
	v_perm_b32 v26, v11, v10, s24
	v_fma_mixlo_f16 v10, v48, v16, 0
	v_lshlrev_b32_e32 v10, 16, v10
	v_or_b32_sdwa v6, v10, v6 dst_sel:DWORD dst_unused:UNUSED_PAD src0_sel:DWORD src1_sel:WORD_0
	v_fma_mixlo_f16 v10, v48, v27, 0
	v_lshlrev_b32_e32 v10, 16, v10
	v_or_b32_sdwa v16, v10, v20 dst_sel:DWORD dst_unused:UNUSED_PAD src0_sel:DWORD src1_sel:WORD_0
	s_and_saveexec_b64 s[8:9], vcc
	s_cbranch_execz .LBB311_1083
; %bb.1082:                             ;   in Loop: Header=BB311_811 Depth=1
	v_lshrrev_b32_e32 v10, 16, v26
	v_cmp_lt_i32_e64 s[0:1], v45, v17
	v_accvgpr_read_b32 v28, a8
	s_nop 0
	v_cndmask_b32_e64 v10, 0, v10, s[0:1]
	v_cmp_lt_i32_e64 s[0:1], v7, v28
	s_nop 1
	v_cndmask_b32_e64 v11, 0, v26, s[0:1]
	v_perm_b32 v26, v10, v11, s25
	v_lshrrev_b32_e32 v10, 16, v21
	v_cmp_lt_i32_e64 s[0:1], v47, v17
	s_nop 1
	v_cndmask_b32_e64 v10, 0, v10, s[0:1]
	v_cmp_lt_i32_e64 s[0:1], v62, v28
	s_nop 1
	v_cndmask_b32_e64 v11, 0, v21, s[0:1]
	v_perm_b32 v21, v10, v11, s25
	v_lshrrev_b32_e32 v10, 16, v6
	v_cmp_lt_i32_e64 s[0:1], v61, v17
	;; [unrolled: 8-line block ×3, first 2 shown]
	s_nop 1
	v_cndmask_b32_e64 v10, 0, v10, s[0:1]
	v_cmp_lt_i32_e64 s[0:1], v58, v28
	s_nop 1
	v_cndmask_b32_e64 v11, 0, v20, s[0:1]
	v_perm_b32 v16, v10, v11, s25
.LBB311_1083:                           ;   in Loop: Header=BB311_811 Depth=1
	s_or_b64 exec, exec, s[8:9]
	;;#ASMSTART
	v_pk_mul_f16 v10, v42, v26;

	;;#ASMEND
	;;#ASMSTART
	v_pk_mul_f16 v11, v5, v21;

	;;#ASMEND
	;; [unrolled: 4-line block ×4, first 2 shown]
	s_mov_b64 s[0:1], 0
	;;#ASMSTART
	v_pk_add_f16 v10, v10, v11;

	;;#ASMEND
                                        ; implicit-def: $sgpr20
	s_nop 0
	;;#ASMSTART
	v_pk_add_f16 v6, v10, v6;

	;;#ASMEND
	s_nop 0
	;;#ASMSTART
	v_pk_add_f16 v6, v6, v16;

	;;#ASMEND
	s_nop 0
	v_lshrrev_b32_e32 v10, 16, v6
	v_and_b32_e32 v6, 0xffff, v6
	;;#ASMSTART
	v_cvt_f32_f16 v6, v6;
	;;#ASMEND
	;;#ASMSTART
	v_cvt_f32_f16 v38, v10;
	;;#ASMEND
	v_accvgpr_read_b32 v10, a26
	v_accvgpr_read_b32 v11, a27
	v_lshl_add_u64 v[20:21], v[18:19], 0, v[10:11]
	v_accvgpr_read_b32 v11, a5
	flat_load_dwordx2 v[50:51], v[20:21]
	v_accvgpr_read_b32 v10, a4
	flat_load_dword v48, v[10:11]
	s_waitcnt vmcnt(0) lgkmcnt(0)
	v_cmp_gt_i16_sdwa s[8:9], v50, s3 src0_sel:BYTE_0 src1_sel:DWORD
	s_and_saveexec_b64 s[12:13], s[8:9]
	s_xor_b64 s[8:9], exec, s[12:13]
	s_cbranch_execnz .LBB311_1475
; %bb.1084:                             ;   in Loop: Header=BB311_811 Depth=1
	s_or_saveexec_b64 s[8:9], s[8:9]
	v_mov_b32_e32 v52, s20
	s_xor_b64 exec, exec, s[8:9]
	s_cbranch_execnz .LBB311_1478
.LBB311_1085:                           ;   in Loop: Header=BB311_811 Depth=1
	s_or_b64 exec, exec, s[8:9]
	s_and_saveexec_b64 s[8:9], s[0:1]
	s_cbranch_execz .LBB311_1087
.LBB311_1086:                           ;   in Loop: Header=BB311_811 Depth=1
	v_and_b32_e32 v10, 7, v50
	v_ffbh_u32_e32 v10, v10
	v_bfe_u32 v11, v50, 3, 4
	v_min_u32_e32 v10, 32, v10
	v_subrev_u32_e32 v16, 28, v10
	v_sub_u32_e32 v10, 29, v10
	v_cmp_eq_u32_e64 s[0:1], 0, v11
	s_nop 1
	v_cndmask_b32_e64 v10, v11, v10, s[0:1]
	v_cndmask_b32_e64 v11, 0, v16, s[0:1]
	v_lshlrev_b64 v[20:21], v11, v[50:51]
	v_lshlrev_b32_e32 v16, 8, v50
	v_lshl_add_u32 v10, v10, 10, v57
	v_lshlrev_b32_e32 v11, 7, v20
	v_and_or_b32 v10, v16, s17, v10
	v_and_or_b32 v10, v11, s22, v10
	v_cvt_f32_f16_e32 v52, v10
.LBB311_1087:                           ;   in Loop: Header=BB311_811 Depth=1
	s_or_b64 exec, exec, s[8:9]
	v_lshrrev_b16_e32 v28, 8, v50
	v_cmp_lt_i16_e64 s[0:1], s3, v28
	s_mov_b64 s[8:9], 0
                                        ; implicit-def: $sgpr26
	s_and_saveexec_b64 s[12:13], s[0:1]
	s_xor_b64 s[12:13], exec, s[12:13]
	s_cbranch_execnz .LBB311_1479
; %bb.1088:                             ;   in Loop: Header=BB311_811 Depth=1
	s_or_saveexec_b64 s[12:13], s[12:13]
	v_mov_b32_e32 v54, s26
	s_xor_b64 exec, exec, s[12:13]
	s_cbranch_execnz .LBB311_1482
.LBB311_1089:                           ;   in Loop: Header=BB311_811 Depth=1
	s_or_b64 exec, exec, s[12:13]
	s_and_saveexec_b64 s[12:13], s[8:9]
	s_cbranch_execz .LBB311_1091
.LBB311_1090:                           ;   in Loop: Header=BB311_811 Depth=1
	v_and_b32_e32 v10, 7, v28
	v_ffbh_u32_e32 v16, v10
	v_bfe_u32 v11, v28, 3, 4
	v_min_u32_e32 v16, 32, v16
	v_subrev_u32_e32 v20, 28, v16
	v_sub_u32_e32 v16, 29, v16
	v_cmp_eq_u32_e64 s[0:1], 0, v11
	v_lshlrev_b64 v[20:21], v20, v[28:29]
	v_and_b32_e32 v20, 7, v20
	v_cndmask_b32_e64 v11, v11, v16, s[0:1]
	v_lshlrev_b32_e32 v16, 8, v28
	v_lshl_add_u32 v11, v11, 10, v57
	v_cndmask_b32_e64 v10, v10, v20, s[0:1]
	v_and_or_b32 v11, v16, s17, v11
	v_lshl_or_b32 v10, v10, 7, v11
	v_cvt_f32_f16_e32 v54, v10
.LBB311_1091:                           ;   in Loop: Header=BB311_811 Depth=1
	s_or_b64 exec, exec, s[12:13]
	v_lshrrev_b32_e32 v28, 16, v50
	v_cmp_gt_i16_sdwa s[8:9], v28, s3 src0_sel:BYTE_0 src1_sel:DWORD
	s_mov_b64 s[0:1], 0
                                        ; implicit-def: $sgpr20
	s_and_saveexec_b64 s[12:13], s[8:9]
	s_xor_b64 s[8:9], exec, s[12:13]
	s_cbranch_execnz .LBB311_1483
; %bb.1092:                             ;   in Loop: Header=BB311_811 Depth=1
	s_or_saveexec_b64 s[8:9], s[8:9]
	v_mov_b32_e32 v53, s20
	s_xor_b64 exec, exec, s[8:9]
	s_cbranch_execnz .LBB311_1486
.LBB311_1093:                           ;   in Loop: Header=BB311_811 Depth=1
	s_or_b64 exec, exec, s[8:9]
	s_and_saveexec_b64 s[8:9], s[0:1]
	s_cbranch_execz .LBB311_1095
.LBB311_1094:                           ;   in Loop: Header=BB311_811 Depth=1
	v_bfe_u32 v10, v50, 16, 3
	v_ffbh_u32_e32 v16, v10
	v_bfe_u32 v11, v50, 19, 4
	v_min_u32_e32 v16, 32, v16
	v_subrev_u32_e32 v20, 28, v16
	v_sub_u32_e32 v16, 29, v16
	v_cmp_eq_u32_e64 s[0:1], 0, v11
	v_lshlrev_b64 v[20:21], v20, v[28:29]
	v_and_b32_e32 v20, 7, v20
	v_cndmask_b32_e64 v11, v11, v16, s[0:1]
	v_lshlrev_b32_e32 v16, 8, v28
	v_lshl_add_u32 v11, v11, 10, v57
	v_cndmask_b32_e64 v10, v10, v20, s[0:1]
	v_and_or_b32 v11, v16, s17, v11
	v_lshl_or_b32 v10, v10, 7, v11
	v_cvt_f32_f16_e32 v53, v10
.LBB311_1095:                           ;   in Loop: Header=BB311_811 Depth=1
	s_or_b64 exec, exec, s[8:9]
	v_lshrrev_b32_e32 v28, 24, v50
	v_cmp_lt_i16_e64 s[0:1], s3, v28
	s_mov_b64 s[8:9], 0
                                        ; implicit-def: $sgpr26
	s_and_saveexec_b64 s[12:13], s[0:1]
	s_xor_b64 s[12:13], exec, s[12:13]
	s_cbranch_execnz .LBB311_1487
; %bb.1096:                             ;   in Loop: Header=BB311_811 Depth=1
	s_or_saveexec_b64 s[12:13], s[12:13]
	v_mov_b32_e32 v55, s26
	s_xor_b64 exec, exec, s[12:13]
	s_cbranch_execnz .LBB311_1490
.LBB311_1097:                           ;   in Loop: Header=BB311_811 Depth=1
	s_or_b64 exec, exec, s[12:13]
	s_and_saveexec_b64 s[12:13], s[8:9]
	s_cbranch_execz .LBB311_1099
.LBB311_1098:                           ;   in Loop: Header=BB311_811 Depth=1
	v_bfe_u32 v10, v50, 24, 3
	v_ffbh_u32_e32 v16, v10
	v_bfe_u32 v11, v50, 27, 4
	v_min_u32_e32 v16, 32, v16
	v_subrev_u32_e32 v20, 28, v16
	v_sub_u32_e32 v16, 29, v16
	v_cmp_eq_u32_e64 s[0:1], 0, v11
	v_lshlrev_b64 v[20:21], v20, v[28:29]
	v_and_b32_e32 v20, 7, v20
	v_cndmask_b32_e64 v11, v11, v16, s[0:1]
	v_lshlrev_b32_e32 v16, 8, v28
	v_lshl_add_u32 v11, v11, 10, v57
	v_cndmask_b32_e64 v10, v10, v20, s[0:1]
	v_and_or_b32 v11, v16, s17, v11
	v_lshl_or_b32 v10, v10, 7, v11
	v_cvt_f32_f16_e32 v55, v10
.LBB311_1099:                           ;   in Loop: Header=BB311_811 Depth=1
	s_or_b64 exec, exec, s[12:13]
	v_cmp_gt_i16_sdwa s[8:9], v51, s3 src0_sel:BYTE_0 src1_sel:DWORD
	s_mov_b64 s[0:1], 0
                                        ; implicit-def: $sgpr20
	s_and_saveexec_b64 s[12:13], s[8:9]
	s_xor_b64 s[8:9], exec, s[12:13]
	s_cbranch_execnz .LBB311_1491
; %bb.1100:                             ;   in Loop: Header=BB311_811 Depth=1
	s_or_saveexec_b64 s[8:9], s[8:9]
	v_mov_b32_e32 v16, s20
	s_xor_b64 exec, exec, s[8:9]
	s_cbranch_execnz .LBB311_1494
.LBB311_1101:                           ;   in Loop: Header=BB311_811 Depth=1
	s_or_b64 exec, exec, s[8:9]
	v_mov_b32_e32 v28, v51
	s_and_saveexec_b64 s[8:9], s[0:1]
	s_cbranch_execz .LBB311_1103
.LBB311_1102:                           ;   in Loop: Header=BB311_811 Depth=1
	v_and_b32_e32 v10, 7, v51
	v_ffbh_u32_e32 v10, v10
	v_bfe_u32 v11, v51, 3, 4
	v_min_u32_e32 v10, 32, v10
	v_subrev_u32_e32 v16, 28, v10
	v_sub_u32_e32 v10, 29, v10
	v_cmp_eq_u32_e64 s[0:1], 0, v11
	s_nop 1
	v_cndmask_b32_e64 v10, v11, v10, s[0:1]
	v_cndmask_b32_e64 v11, 0, v16, s[0:1]
	v_lshlrev_b64 v[20:21], v11, v[28:29]
	v_lshlrev_b32_e32 v16, 8, v51
	v_lshl_add_u32 v10, v10, 10, v57
	v_lshlrev_b32_e32 v11, 7, v20
	v_and_or_b32 v10, v16, s17, v10
	v_and_or_b32 v10, v11, s22, v10
	v_cvt_f32_f16_e32 v16, v10
.LBB311_1103:                           ;   in Loop: Header=BB311_811 Depth=1
	s_or_b64 exec, exec, s[8:9]
	v_lshrrev_b16_e32 v28, 8, v28
	v_cmp_lt_i16_e64 s[0:1], s3, v28
	s_mov_b64 s[8:9], 0
                                        ; implicit-def: $sgpr26
	s_and_saveexec_b64 s[12:13], s[0:1]
	s_xor_b64 s[12:13], exec, s[12:13]
	s_cbranch_execnz .LBB311_1495
; %bb.1104:                             ;   in Loop: Header=BB311_811 Depth=1
	s_or_saveexec_b64 s[12:13], s[12:13]
	v_mov_b32_e32 v20, s26
	s_xor_b64 exec, exec, s[12:13]
	s_cbranch_execnz .LBB311_1498
.LBB311_1105:                           ;   in Loop: Header=BB311_811 Depth=1
	s_or_b64 exec, exec, s[12:13]
	s_and_saveexec_b64 s[12:13], s[8:9]
	s_cbranch_execz .LBB311_1107
.LBB311_1106:                           ;   in Loop: Header=BB311_811 Depth=1
	v_and_b32_e32 v10, 7, v28
	v_ffbh_u32_e32 v20, v10
	v_min_u32_e32 v26, 32, v20
	v_subrev_u32_e32 v20, 28, v26
	v_bfe_u32 v11, v28, 3, 4
	v_lshlrev_b64 v[20:21], v20, v[28:29]
	v_sub_u32_e32 v21, 29, v26
	v_cmp_eq_u32_e64 s[0:1], 0, v11
	v_and_b32_e32 v20, 7, v20
	s_nop 0
	v_cndmask_b32_e64 v11, v11, v21, s[0:1]
	v_cndmask_b32_e64 v10, v10, v20, s[0:1]
	v_lshlrev_b32_e32 v20, 8, v28
	v_lshl_add_u32 v11, v11, 10, v57
	v_and_or_b32 v11, v20, s17, v11
	v_lshl_or_b32 v10, v10, 7, v11
	v_cvt_f32_f16_e32 v20, v10
.LBB311_1107:                           ;   in Loop: Header=BB311_811 Depth=1
	s_or_b64 exec, exec, s[12:13]
	v_lshrrev_b32_e32 v28, 16, v51
	v_cmp_gt_i16_sdwa s[8:9], v28, s3 src0_sel:BYTE_0 src1_sel:DWORD
	s_mov_b64 s[0:1], 0
                                        ; implicit-def: $sgpr20
	s_and_saveexec_b64 s[12:13], s[8:9]
	s_xor_b64 s[8:9], exec, s[12:13]
	s_cbranch_execnz .LBB311_1499
; %bb.1108:                             ;   in Loop: Header=BB311_811 Depth=1
	s_or_saveexec_b64 s[8:9], s[8:9]
	v_mov_b32_e32 v21, s20
	s_xor_b64 exec, exec, s[8:9]
	s_cbranch_execnz .LBB311_1502
.LBB311_1109:                           ;   in Loop: Header=BB311_811 Depth=1
	s_or_b64 exec, exec, s[8:9]
	s_and_saveexec_b64 s[8:9], s[0:1]
	s_cbranch_execz .LBB311_1111
.LBB311_1110:                           ;   in Loop: Header=BB311_811 Depth=1
	v_bfe_u32 v10, v51, 16, 3
	v_ffbh_u32_e32 v21, v10
	v_bfe_u32 v11, v51, 19, 4
	v_min_u32_e32 v21, 32, v21
	v_subrev_u32_e32 v26, 28, v21
	v_sub_u32_e32 v21, 29, v21
	v_cmp_eq_u32_e64 s[0:1], 0, v11
	v_lshlrev_b64 v[26:27], v26, v[28:29]
	v_and_b32_e32 v26, 7, v26
	v_cndmask_b32_e64 v11, v11, v21, s[0:1]
	v_lshlrev_b32_e32 v21, 8, v28
	v_lshl_add_u32 v11, v11, 10, v57
	v_cndmask_b32_e64 v10, v10, v26, s[0:1]
	v_and_or_b32 v11, v21, s17, v11
	v_lshl_or_b32 v10, v10, 7, v11
	v_cvt_f32_f16_e32 v21, v10
.LBB311_1111:                           ;   in Loop: Header=BB311_811 Depth=1
	s_or_b64 exec, exec, s[8:9]
	v_lshrrev_b32_e32 v28, 24, v51
	v_cmp_lt_i16_e64 s[0:1], s3, v28
	s_mov_b64 s[8:9], 0
                                        ; implicit-def: $sgpr26
	s_and_saveexec_b64 s[12:13], s[0:1]
	s_xor_b64 s[12:13], exec, s[12:13]
	s_cbranch_execnz .LBB311_1503
; %bb.1112:                             ;   in Loop: Header=BB311_811 Depth=1
	s_or_saveexec_b64 s[12:13], s[12:13]
	v_mov_b32_e32 v39, s26
	s_xor_b64 exec, exec, s[12:13]
	s_cbranch_execnz .LBB311_1506
.LBB311_1113:                           ;   in Loop: Header=BB311_811 Depth=1
	s_or_b64 exec, exec, s[12:13]
	s_and_saveexec_b64 s[12:13], s[8:9]
	s_cbranch_execz .LBB311_1115
.LBB311_1114:                           ;   in Loop: Header=BB311_811 Depth=1
	v_bfe_u32 v10, v51, 24, 3
	v_ffbh_u32_e32 v26, v10
	v_min_u32_e32 v39, 32, v26
	v_subrev_u32_e32 v26, 28, v39
	v_bfe_u32 v11, v51, 27, 4
	v_lshlrev_b64 v[26:27], v26, v[28:29]
	v_sub_u32_e32 v27, 29, v39
	v_cmp_eq_u32_e64 s[0:1], 0, v11
	v_and_b32_e32 v26, 7, v26
	s_nop 0
	v_cndmask_b32_e64 v11, v11, v27, s[0:1]
	v_cndmask_b32_e64 v10, v10, v26, s[0:1]
	v_lshlrev_b32_e32 v26, 8, v28
	v_lshl_add_u32 v11, v11, 10, v57
	v_and_or_b32 v11, v26, s17, v11
	v_lshl_or_b32 v10, v10, 7, v11
	v_cvt_f32_f16_e32 v39, v10
.LBB311_1115:                           ;   in Loop: Header=BB311_811 Depth=1
	s_or_b64 exec, exec, s[12:13]
	v_pk_mul_f32 v[26:27], v[48:49], v[54:55] op_sel_hi:[0,1]
	v_pk_mul_f32 v[50:51], v[48:49], v[52:53] op_sel_hi:[0,1]
	v_cvt_f16_f32_e32 v10, v27
	v_cvt_f16_f32_e32 v11, v26
	;; [unrolled: 1-line block ×4, first 2 shown]
	v_fma_mixlo_f16 v21, v48, v21, 0
	v_pack_b32_f16 v10, v11, v10
	v_pack_b32_f16 v11, v27, v26
	v_perm_b32 v26, v11, v10, s23
	v_perm_b32 v27, v11, v10, s24
	v_fma_mixlo_f16 v10, v48, v20, 0
	v_lshlrev_b32_e32 v10, 16, v10
	v_fma_mixlo_f16 v11, v48, v16, 0
	v_or_b32_sdwa v16, v10, v11 dst_sel:DWORD dst_unused:UNUSED_PAD src0_sel:DWORD src1_sel:WORD_0
	v_fma_mixlo_f16 v10, v48, v39, 0
	v_lshlrev_b32_e32 v10, 16, v10
	v_or_b32_sdwa v20, v10, v21 dst_sel:DWORD dst_unused:UNUSED_PAD src0_sel:DWORD src1_sel:WORD_0
	s_and_saveexec_b64 s[8:9], vcc
	s_cbranch_execz .LBB311_1117
; %bb.1116:                             ;   in Loop: Header=BB311_811 Depth=1
	v_lshrrev_b32_e32 v10, 16, v27
	v_cmp_lt_i32_e64 s[0:1], v45, v17
	v_accvgpr_read_b32 v28, a8
	s_nop 0
	v_cndmask_b32_e64 v10, 0, v10, s[0:1]
	v_cmp_lt_i32_e64 s[0:1], v7, v28
	s_nop 1
	v_cndmask_b32_e64 v11, 0, v27, s[0:1]
	v_perm_b32 v27, v10, v11, s25
	v_lshrrev_b32_e32 v10, 16, v26
	v_cmp_lt_i32_e64 s[0:1], v47, v17
	s_nop 1
	v_cndmask_b32_e64 v10, 0, v10, s[0:1]
	v_cmp_lt_i32_e64 s[0:1], v62, v28
	s_nop 1
	v_cndmask_b32_e64 v11, 0, v26, s[0:1]
	v_perm_b32 v26, v10, v11, s25
	v_lshrrev_b32_e32 v10, 16, v16
	v_cmp_lt_i32_e64 s[0:1], v61, v17
	;; [unrolled: 8-line block ×3, first 2 shown]
	s_nop 1
	v_cndmask_b32_e64 v10, 0, v10, s[0:1]
	v_cmp_lt_i32_e64 s[0:1], v58, v28
	s_nop 1
	v_cndmask_b32_e64 v11, 0, v21, s[0:1]
	v_perm_b32 v20, v10, v11, s25
.LBB311_1117:                           ;   in Loop: Header=BB311_811 Depth=1
	s_or_b64 exec, exec, s[8:9]
	;;#ASMSTART
	v_pk_mul_f16 v10, v42, v27;

	;;#ASMEND
	;;#ASMSTART
	v_pk_mul_f16 v11, v5, v26;

	;;#ASMEND
	;; [unrolled: 4-line block ×4, first 2 shown]
	s_mov_b64 s[0:1], 0
	;;#ASMSTART
	v_pk_add_f16 v10, v10, v11;

	;;#ASMEND
                                        ; implicit-def: $sgpr20
	s_nop 0
	;;#ASMSTART
	v_pk_add_f16 v10, v10, v16;

	;;#ASMEND
	s_nop 0
	;;#ASMSTART
	v_pk_add_f16 v10, v10, v20;

	;;#ASMEND
	s_nop 0
	v_lshrrev_b32_e32 v11, 16, v10
	v_and_b32_e32 v10, 0xffff, v10
	;;#ASMSTART
	v_cvt_f32_f16 v39, v10;
	;;#ASMEND
	;;#ASMSTART
	v_cvt_f32_f16 v20, v11;
	;;#ASMEND
	v_accvgpr_read_b32 v10, a28
	v_accvgpr_read_b32 v11, a29
	v_lshl_add_u64 v[26:27], v[18:19], 0, v[10:11]
	v_accvgpr_read_b32 v11, a5
	flat_load_dwordx2 v[50:51], v[26:27]
	v_accvgpr_read_b32 v10, a4
	flat_load_dword v48, v[10:11]
	s_waitcnt vmcnt(0) lgkmcnt(0)
	v_cmp_gt_i16_sdwa s[8:9], v50, s3 src0_sel:BYTE_0 src1_sel:DWORD
	s_and_saveexec_b64 s[12:13], s[8:9]
	s_xor_b64 s[8:9], exec, s[12:13]
	s_cbranch_execnz .LBB311_1507
; %bb.1118:                             ;   in Loop: Header=BB311_811 Depth=1
	s_or_saveexec_b64 s[8:9], s[8:9]
	v_mov_b32_e32 v52, s20
	s_xor_b64 exec, exec, s[8:9]
	s_cbranch_execnz .LBB311_1510
.LBB311_1119:                           ;   in Loop: Header=BB311_811 Depth=1
	s_or_b64 exec, exec, s[8:9]
	s_and_saveexec_b64 s[8:9], s[0:1]
	s_cbranch_execz .LBB311_1121
.LBB311_1120:                           ;   in Loop: Header=BB311_811 Depth=1
	v_and_b32_e32 v10, 7, v50
	v_ffbh_u32_e32 v10, v10
	v_bfe_u32 v11, v50, 3, 4
	v_min_u32_e32 v10, 32, v10
	v_subrev_u32_e32 v16, 28, v10
	v_sub_u32_e32 v10, 29, v10
	v_cmp_eq_u32_e64 s[0:1], 0, v11
	s_nop 1
	v_cndmask_b32_e64 v10, v11, v10, s[0:1]
	v_cndmask_b32_e64 v11, 0, v16, s[0:1]
	v_lshlrev_b64 v[26:27], v11, v[50:51]
	v_lshlrev_b32_e32 v16, 8, v50
	v_lshl_add_u32 v10, v10, 10, v57
	v_lshlrev_b32_e32 v11, 7, v26
	v_and_or_b32 v10, v16, s17, v10
	v_and_or_b32 v10, v11, s22, v10
	v_cvt_f32_f16_e32 v52, v10
.LBB311_1121:                           ;   in Loop: Header=BB311_811 Depth=1
	s_or_b64 exec, exec, s[8:9]
	v_lshrrev_b16_e32 v28, 8, v50
	v_cmp_lt_i16_e64 s[0:1], s3, v28
	s_mov_b64 s[8:9], 0
                                        ; implicit-def: $sgpr26
	s_and_saveexec_b64 s[12:13], s[0:1]
	s_xor_b64 s[12:13], exec, s[12:13]
	s_cbranch_execnz .LBB311_1511
; %bb.1122:                             ;   in Loop: Header=BB311_811 Depth=1
	s_or_saveexec_b64 s[12:13], s[12:13]
	v_mov_b32_e32 v54, s26
	s_xor_b64 exec, exec, s[12:13]
	s_cbranch_execnz .LBB311_1514
.LBB311_1123:                           ;   in Loop: Header=BB311_811 Depth=1
	s_or_b64 exec, exec, s[12:13]
	s_and_saveexec_b64 s[12:13], s[8:9]
	s_cbranch_execz .LBB311_1125
.LBB311_1124:                           ;   in Loop: Header=BB311_811 Depth=1
	v_and_b32_e32 v10, 7, v28
	v_ffbh_u32_e32 v16, v10
	v_bfe_u32 v11, v28, 3, 4
	v_min_u32_e32 v16, 32, v16
	v_subrev_u32_e32 v21, 28, v16
	v_sub_u32_e32 v16, 29, v16
	v_cmp_eq_u32_e64 s[0:1], 0, v11
	v_lshlrev_b64 v[26:27], v21, v[28:29]
	v_and_b32_e32 v21, 7, v26
	v_cndmask_b32_e64 v11, v11, v16, s[0:1]
	v_lshlrev_b32_e32 v16, 8, v28
	v_lshl_add_u32 v11, v11, 10, v57
	v_cndmask_b32_e64 v10, v10, v21, s[0:1]
	v_and_or_b32 v11, v16, s17, v11
	v_lshl_or_b32 v10, v10, 7, v11
	v_cvt_f32_f16_e32 v54, v10
.LBB311_1125:                           ;   in Loop: Header=BB311_811 Depth=1
	s_or_b64 exec, exec, s[12:13]
	v_lshrrev_b32_e32 v28, 16, v50
	v_cmp_gt_i16_sdwa s[8:9], v28, s3 src0_sel:BYTE_0 src1_sel:DWORD
	s_mov_b64 s[0:1], 0
                                        ; implicit-def: $sgpr20
	s_and_saveexec_b64 s[12:13], s[8:9]
	s_xor_b64 s[8:9], exec, s[12:13]
	s_cbranch_execnz .LBB311_1515
; %bb.1126:                             ;   in Loop: Header=BB311_811 Depth=1
	s_or_saveexec_b64 s[8:9], s[8:9]
	v_mov_b32_e32 v53, s20
	s_xor_b64 exec, exec, s[8:9]
	s_cbranch_execnz .LBB311_1518
.LBB311_1127:                           ;   in Loop: Header=BB311_811 Depth=1
	s_or_b64 exec, exec, s[8:9]
	s_and_saveexec_b64 s[8:9], s[0:1]
	s_cbranch_execz .LBB311_1129
.LBB311_1128:                           ;   in Loop: Header=BB311_811 Depth=1
	v_bfe_u32 v10, v50, 16, 3
	v_ffbh_u32_e32 v16, v10
	v_bfe_u32 v11, v50, 19, 4
	v_min_u32_e32 v16, 32, v16
	v_subrev_u32_e32 v21, 28, v16
	v_sub_u32_e32 v16, 29, v16
	v_cmp_eq_u32_e64 s[0:1], 0, v11
	v_lshlrev_b64 v[26:27], v21, v[28:29]
	v_and_b32_e32 v21, 7, v26
	v_cndmask_b32_e64 v11, v11, v16, s[0:1]
	v_lshlrev_b32_e32 v16, 8, v28
	v_lshl_add_u32 v11, v11, 10, v57
	v_cndmask_b32_e64 v10, v10, v21, s[0:1]
	v_and_or_b32 v11, v16, s17, v11
	v_lshl_or_b32 v10, v10, 7, v11
	v_cvt_f32_f16_e32 v53, v10
.LBB311_1129:                           ;   in Loop: Header=BB311_811 Depth=1
	s_or_b64 exec, exec, s[8:9]
	v_lshrrev_b32_e32 v28, 24, v50
	v_cmp_lt_i16_e64 s[0:1], s3, v28
	s_mov_b64 s[8:9], 0
                                        ; implicit-def: $sgpr26
	s_and_saveexec_b64 s[12:13], s[0:1]
	s_xor_b64 s[12:13], exec, s[12:13]
	s_cbranch_execnz .LBB311_1519
; %bb.1130:                             ;   in Loop: Header=BB311_811 Depth=1
	s_or_saveexec_b64 s[12:13], s[12:13]
	v_mov_b32_e32 v55, s26
	s_xor_b64 exec, exec, s[12:13]
	s_cbranch_execnz .LBB311_1522
.LBB311_1131:                           ;   in Loop: Header=BB311_811 Depth=1
	s_or_b64 exec, exec, s[12:13]
	s_and_saveexec_b64 s[12:13], s[8:9]
	s_cbranch_execz .LBB311_1133
.LBB311_1132:                           ;   in Loop: Header=BB311_811 Depth=1
	v_bfe_u32 v10, v50, 24, 3
	v_ffbh_u32_e32 v16, v10
	v_bfe_u32 v11, v50, 27, 4
	v_min_u32_e32 v16, 32, v16
	v_subrev_u32_e32 v21, 28, v16
	v_sub_u32_e32 v16, 29, v16
	v_cmp_eq_u32_e64 s[0:1], 0, v11
	v_lshlrev_b64 v[26:27], v21, v[28:29]
	v_and_b32_e32 v21, 7, v26
	v_cndmask_b32_e64 v11, v11, v16, s[0:1]
	v_lshlrev_b32_e32 v16, 8, v28
	v_lshl_add_u32 v11, v11, 10, v57
	v_cndmask_b32_e64 v10, v10, v21, s[0:1]
	v_and_or_b32 v11, v16, s17, v11
	v_lshl_or_b32 v10, v10, 7, v11
	v_cvt_f32_f16_e32 v55, v10
.LBB311_1133:                           ;   in Loop: Header=BB311_811 Depth=1
	s_or_b64 exec, exec, s[12:13]
	v_cmp_gt_i16_sdwa s[8:9], v51, s3 src0_sel:BYTE_0 src1_sel:DWORD
	s_mov_b64 s[0:1], 0
                                        ; implicit-def: $sgpr20
	s_and_saveexec_b64 s[12:13], s[8:9]
	s_xor_b64 s[8:9], exec, s[12:13]
	s_cbranch_execnz .LBB311_1523
; %bb.1134:                             ;   in Loop: Header=BB311_811 Depth=1
	s_or_saveexec_b64 s[8:9], s[8:9]
	v_mov_b32_e32 v16, s20
	s_xor_b64 exec, exec, s[8:9]
	s_cbranch_execnz .LBB311_1526
.LBB311_1135:                           ;   in Loop: Header=BB311_811 Depth=1
	s_or_b64 exec, exec, s[8:9]
	v_mov_b32_e32 v28, v51
	s_and_saveexec_b64 s[8:9], s[0:1]
	s_cbranch_execz .LBB311_1137
.LBB311_1136:                           ;   in Loop: Header=BB311_811 Depth=1
	v_and_b32_e32 v10, 7, v51
	v_ffbh_u32_e32 v10, v10
	v_bfe_u32 v11, v51, 3, 4
	v_min_u32_e32 v10, 32, v10
	v_subrev_u32_e32 v16, 28, v10
	v_sub_u32_e32 v10, 29, v10
	v_cmp_eq_u32_e64 s[0:1], 0, v11
	s_nop 1
	v_cndmask_b32_e64 v10, v11, v10, s[0:1]
	v_cndmask_b32_e64 v11, 0, v16, s[0:1]
	v_lshlrev_b64 v[26:27], v11, v[28:29]
	v_lshlrev_b32_e32 v16, 8, v51
	v_lshl_add_u32 v10, v10, 10, v57
	v_lshlrev_b32_e32 v11, 7, v26
	v_and_or_b32 v10, v16, s17, v10
	v_and_or_b32 v10, v11, s22, v10
	v_cvt_f32_f16_e32 v16, v10
.LBB311_1137:                           ;   in Loop: Header=BB311_811 Depth=1
	s_or_b64 exec, exec, s[8:9]
	v_lshrrev_b16_e32 v28, 8, v28
	v_cmp_lt_i16_e64 s[0:1], s3, v28
	s_mov_b64 s[8:9], 0
                                        ; implicit-def: $sgpr26
	s_and_saveexec_b64 s[12:13], s[0:1]
	s_xor_b64 s[12:13], exec, s[12:13]
	s_cbranch_execnz .LBB311_1527
; %bb.1138:                             ;   in Loop: Header=BB311_811 Depth=1
	s_or_saveexec_b64 s[12:13], s[12:13]
	v_mov_b32_e32 v21, s26
	s_xor_b64 exec, exec, s[12:13]
	s_cbranch_execnz .LBB311_1530
.LBB311_1139:                           ;   in Loop: Header=BB311_811 Depth=1
	s_or_b64 exec, exec, s[12:13]
	s_and_saveexec_b64 s[12:13], s[8:9]
	s_cbranch_execz .LBB311_1141
.LBB311_1140:                           ;   in Loop: Header=BB311_811 Depth=1
	v_and_b32_e32 v10, 7, v28
	v_ffbh_u32_e32 v21, v10
	v_bfe_u32 v11, v28, 3, 4
	v_min_u32_e32 v21, 32, v21
	v_subrev_u32_e32 v26, 28, v21
	v_sub_u32_e32 v21, 29, v21
	v_cmp_eq_u32_e64 s[0:1], 0, v11
	v_lshlrev_b64 v[26:27], v26, v[28:29]
	v_and_b32_e32 v26, 7, v26
	v_cndmask_b32_e64 v11, v11, v21, s[0:1]
	v_lshlrev_b32_e32 v21, 8, v28
	v_lshl_add_u32 v11, v11, 10, v57
	v_cndmask_b32_e64 v10, v10, v26, s[0:1]
	v_and_or_b32 v11, v21, s17, v11
	v_lshl_or_b32 v10, v10, 7, v11
	v_cvt_f32_f16_e32 v21, v10
.LBB311_1141:                           ;   in Loop: Header=BB311_811 Depth=1
	s_or_b64 exec, exec, s[12:13]
	v_lshrrev_b32_e32 v28, 16, v51
	v_cmp_gt_i16_sdwa s[8:9], v28, s3 src0_sel:BYTE_0 src1_sel:DWORD
	s_mov_b64 s[0:1], 0
                                        ; implicit-def: $sgpr20
	s_and_saveexec_b64 s[12:13], s[8:9]
	s_xor_b64 s[8:9], exec, s[12:13]
	s_cbranch_execnz .LBB311_1531
; %bb.1142:                             ;   in Loop: Header=BB311_811 Depth=1
	s_or_saveexec_b64 s[8:9], s[8:9]
	v_mov_b32_e32 v26, s20
	s_xor_b64 exec, exec, s[8:9]
	s_cbranch_execnz .LBB311_1534
.LBB311_1143:                           ;   in Loop: Header=BB311_811 Depth=1
	s_or_b64 exec, exec, s[8:9]
	s_and_saveexec_b64 s[8:9], s[0:1]
	s_cbranch_execz .LBB311_1145
.LBB311_1144:                           ;   in Loop: Header=BB311_811 Depth=1
	v_bfe_u32 v10, v51, 16, 3
	v_ffbh_u32_e32 v26, v10
	v_min_u32_e32 v49, 32, v26
	v_subrev_u32_e32 v26, 28, v49
	v_bfe_u32 v11, v51, 19, 4
	v_lshlrev_b64 v[26:27], v26, v[28:29]
	v_sub_u32_e32 v27, 29, v49
	v_cmp_eq_u32_e64 s[0:1], 0, v11
	v_and_b32_e32 v26, 7, v26
	s_nop 0
	v_cndmask_b32_e64 v11, v11, v27, s[0:1]
	v_cndmask_b32_e64 v10, v10, v26, s[0:1]
	v_lshlrev_b32_e32 v26, 8, v28
	v_lshl_add_u32 v11, v11, 10, v57
	v_and_or_b32 v11, v26, s17, v11
	v_lshl_or_b32 v10, v10, 7, v11
	v_cvt_f32_f16_e32 v26, v10
.LBB311_1145:                           ;   in Loop: Header=BB311_811 Depth=1
	s_or_b64 exec, exec, s[8:9]
	v_lshrrev_b32_e32 v28, 24, v51
	v_cmp_lt_i16_e64 s[0:1], s3, v28
	s_mov_b64 s[8:9], 0
                                        ; implicit-def: $sgpr26
	s_and_saveexec_b64 s[12:13], s[0:1]
	s_xor_b64 s[12:13], exec, s[12:13]
	s_cbranch_execnz .LBB311_1535
; %bb.1146:                             ;   in Loop: Header=BB311_811 Depth=1
	s_or_saveexec_b64 s[12:13], s[12:13]
	v_mov_b32_e32 v49, s26
	s_xor_b64 exec, exec, s[12:13]
	s_cbranch_execnz .LBB311_1538
.LBB311_1147:                           ;   in Loop: Header=BB311_811 Depth=1
	s_or_b64 exec, exec, s[12:13]
	s_and_saveexec_b64 s[12:13], s[8:9]
	s_cbranch_execz .LBB311_1149
.LBB311_1148:                           ;   in Loop: Header=BB311_811 Depth=1
	v_bfe_u32 v10, v51, 24, 3
	v_ffbh_u32_e32 v27, v10
	v_bfe_u32 v11, v51, 27, 4
	v_min_u32_e32 v27, 32, v27
	v_subrev_u32_e32 v49, 28, v27
	v_sub_u32_e32 v27, 29, v27
	v_cmp_eq_u32_e64 s[0:1], 0, v11
	v_lshlrev_b64 v[50:51], v49, v[28:29]
	v_and_b32_e32 v49, 7, v50
	v_cndmask_b32_e64 v11, v11, v27, s[0:1]
	v_lshlrev_b32_e32 v27, 8, v28
	v_lshl_add_u32 v11, v11, 10, v57
	v_cndmask_b32_e64 v10, v10, v49, s[0:1]
	v_and_or_b32 v11, v27, s17, v11
	v_lshl_or_b32 v10, v10, 7, v11
	v_cvt_f32_f16_e32 v49, v10
.LBB311_1149:                           ;   in Loop: Header=BB311_811 Depth=1
	s_or_b64 exec, exec, s[12:13]
	v_pk_mul_f32 v[50:51], v[48:49], v[54:55] op_sel_hi:[0,1]
	v_pk_mul_f32 v[52:53], v[48:49], v[52:53] op_sel_hi:[0,1]
	v_cvt_f16_f32_e32 v10, v51
	v_cvt_f16_f32_e32 v11, v50
	v_cvt_f16_f32_e32 v27, v53
	v_cvt_f16_f32_e32 v28, v52
	v_fma_mixlo_f16 v26, v48, v26, 0
	v_pack_b32_f16 v10, v11, v10
	v_pack_b32_f16 v11, v28, v27
	v_perm_b32 v27, v11, v10, s23
	v_perm_b32 v28, v11, v10, s24
	v_fma_mixlo_f16 v10, v48, v21, 0
	v_lshlrev_b32_e32 v10, 16, v10
	v_fma_mixlo_f16 v11, v48, v16, 0
	v_or_b32_sdwa v16, v10, v11 dst_sel:DWORD dst_unused:UNUSED_PAD src0_sel:DWORD src1_sel:WORD_0
	v_fma_mixlo_f16 v10, v48, v49, 0
	v_lshlrev_b32_e32 v10, 16, v10
	v_or_b32_sdwa v21, v10, v26 dst_sel:DWORD dst_unused:UNUSED_PAD src0_sel:DWORD src1_sel:WORD_0
	s_and_saveexec_b64 s[8:9], vcc
	s_cbranch_execz .LBB311_1151
; %bb.1150:                             ;   in Loop: Header=BB311_811 Depth=1
	v_lshrrev_b32_e32 v10, 16, v28
	v_cmp_lt_i32_e64 s[0:1], v45, v17
	v_accvgpr_read_b32 v48, a8
	s_nop 0
	v_cndmask_b32_e64 v10, 0, v10, s[0:1]
	v_cmp_lt_i32_e64 s[0:1], v7, v48
	s_nop 1
	v_cndmask_b32_e64 v11, 0, v28, s[0:1]
	v_perm_b32 v28, v10, v11, s25
	v_lshrrev_b32_e32 v10, 16, v27
	v_cmp_lt_i32_e64 s[0:1], v47, v17
	s_nop 1
	v_cndmask_b32_e64 v10, 0, v10, s[0:1]
	v_cmp_lt_i32_e64 s[0:1], v62, v48
	s_nop 1
	v_cndmask_b32_e64 v11, 0, v27, s[0:1]
	v_perm_b32 v27, v10, v11, s25
	v_lshrrev_b32_e32 v10, 16, v16
	v_cmp_lt_i32_e64 s[0:1], v61, v17
	;; [unrolled: 8-line block ×3, first 2 shown]
	s_nop 1
	v_cndmask_b32_e64 v10, 0, v10, s[0:1]
	v_cmp_lt_i32_e64 s[0:1], v58, v48
	s_nop 1
	v_cndmask_b32_e64 v11, 0, v26, s[0:1]
	v_perm_b32 v21, v10, v11, s25
.LBB311_1151:                           ;   in Loop: Header=BB311_811 Depth=1
	s_or_b64 exec, exec, s[8:9]
	;;#ASMSTART
	v_pk_mul_f16 v10, v42, v28;

	;;#ASMEND
	;;#ASMSTART
	v_pk_mul_f16 v11, v5, v27;

	;;#ASMEND
	;; [unrolled: 4-line block ×4, first 2 shown]
	s_mov_b64 s[0:1], 0
	;;#ASMSTART
	v_pk_add_f16 v10, v10, v11;

	;;#ASMEND
                                        ; implicit-def: $sgpr20
	s_nop 0
	;;#ASMSTART
	v_pk_add_f16 v10, v10, v16;

	;;#ASMEND
	s_nop 0
	;;#ASMSTART
	v_pk_add_f16 v10, v10, v21;

	;;#ASMEND
	s_nop 0
	v_lshrrev_b32_e32 v11, 16, v10
	v_and_b32_e32 v10, 0xffff, v10
	;;#ASMSTART
	v_cvt_f32_f16 v21, v10;
	;;#ASMEND
	;;#ASMSTART
	v_cvt_f32_f16 v26, v11;
	;;#ASMEND
	v_accvgpr_read_b32 v10, a30
	v_accvgpr_read_b32 v11, a31
	v_lshl_add_u64 v[48:49], v[18:19], 0, v[10:11]
	v_accvgpr_read_b32 v11, a5
	flat_load_dwordx2 v[50:51], v[48:49]
	v_accvgpr_read_b32 v10, a4
	flat_load_dword v48, v[10:11]
	s_waitcnt vmcnt(0) lgkmcnt(0)
	v_cmp_gt_i16_sdwa s[8:9], v50, s3 src0_sel:BYTE_0 src1_sel:DWORD
	s_and_saveexec_b64 s[12:13], s[8:9]
	s_xor_b64 s[8:9], exec, s[12:13]
	s_cbranch_execnz .LBB311_1539
; %bb.1152:                             ;   in Loop: Header=BB311_811 Depth=1
	s_or_saveexec_b64 s[8:9], s[8:9]
	v_mov_b32_e32 v52, s20
	s_xor_b64 exec, exec, s[8:9]
	s_cbranch_execnz .LBB311_1542
.LBB311_1153:                           ;   in Loop: Header=BB311_811 Depth=1
	s_or_b64 exec, exec, s[8:9]
	s_and_saveexec_b64 s[8:9], s[0:1]
	s_cbranch_execz .LBB311_1155
.LBB311_1154:                           ;   in Loop: Header=BB311_811 Depth=1
	v_and_b32_e32 v10, 7, v50
	v_ffbh_u32_e32 v10, v10
	v_bfe_u32 v11, v50, 3, 4
	v_min_u32_e32 v10, 32, v10
	v_subrev_u32_e32 v16, 28, v10
	v_sub_u32_e32 v10, 29, v10
	v_cmp_eq_u32_e64 s[0:1], 0, v11
	s_nop 1
	v_cndmask_b32_e64 v10, v11, v10, s[0:1]
	v_cndmask_b32_e64 v11, 0, v16, s[0:1]
	v_lshlrev_b64 v[52:53], v11, v[50:51]
	v_lshlrev_b32_e32 v16, 8, v50
	v_lshl_add_u32 v10, v10, 10, v57
	v_lshlrev_b32_e32 v11, 7, v52
	v_and_or_b32 v10, v16, s17, v10
	v_and_or_b32 v10, v11, s22, v10
	v_cvt_f32_f16_e32 v52, v10
.LBB311_1155:                           ;   in Loop: Header=BB311_811 Depth=1
	s_or_b64 exec, exec, s[8:9]
	v_lshrrev_b16_e32 v28, 8, v50
	v_cmp_lt_i16_e64 s[0:1], s3, v28
	s_mov_b64 s[8:9], 0
                                        ; implicit-def: $sgpr26
	s_and_saveexec_b64 s[12:13], s[0:1]
	s_xor_b64 s[12:13], exec, s[12:13]
	s_cbranch_execnz .LBB311_1543
; %bb.1156:                             ;   in Loop: Header=BB311_811 Depth=1
	s_or_saveexec_b64 s[12:13], s[12:13]
	v_mov_b32_e32 v54, s26
	s_xor_b64 exec, exec, s[12:13]
	s_cbranch_execnz .LBB311_1546
.LBB311_1157:                           ;   in Loop: Header=BB311_811 Depth=1
	s_or_b64 exec, exec, s[12:13]
	s_and_saveexec_b64 s[12:13], s[8:9]
	s_cbranch_execz .LBB311_1159
.LBB311_1158:                           ;   in Loop: Header=BB311_811 Depth=1
	v_and_b32_e32 v10, 7, v28
	v_ffbh_u32_e32 v16, v10
	v_bfe_u32 v11, v28, 3, 4
	v_min_u32_e32 v16, 32, v16
	v_subrev_u32_e32 v27, 28, v16
	v_sub_u32_e32 v16, 29, v16
	v_cmp_eq_u32_e64 s[0:1], 0, v11
	v_lshlrev_b64 v[54:55], v27, v[28:29]
	v_and_b32_e32 v27, 7, v54
	v_cndmask_b32_e64 v11, v11, v16, s[0:1]
	v_lshlrev_b32_e32 v16, 8, v28
	v_lshl_add_u32 v11, v11, 10, v57
	v_cndmask_b32_e64 v10, v10, v27, s[0:1]
	v_and_or_b32 v11, v16, s17, v11
	v_lshl_or_b32 v10, v10, 7, v11
	v_cvt_f32_f16_e32 v54, v10
.LBB311_1159:                           ;   in Loop: Header=BB311_811 Depth=1
	s_or_b64 exec, exec, s[12:13]
	v_lshrrev_b32_e32 v28, 16, v50
	v_cmp_gt_i16_sdwa s[8:9], v28, s3 src0_sel:BYTE_0 src1_sel:DWORD
	s_mov_b64 s[0:1], 0
                                        ; implicit-def: $sgpr20
	s_and_saveexec_b64 s[12:13], s[8:9]
	s_xor_b64 s[8:9], exec, s[12:13]
	s_cbranch_execnz .LBB311_1547
; %bb.1160:                             ;   in Loop: Header=BB311_811 Depth=1
	s_or_saveexec_b64 s[8:9], s[8:9]
	v_mov_b32_e32 v53, s20
	s_xor_b64 exec, exec, s[8:9]
	s_cbranch_execnz .LBB311_1550
.LBB311_1161:                           ;   in Loop: Header=BB311_811 Depth=1
	s_or_b64 exec, exec, s[8:9]
	s_and_saveexec_b64 s[8:9], s[0:1]
	s_cbranch_execz .LBB311_1163
.LBB311_1162:                           ;   in Loop: Header=BB311_811 Depth=1
	v_bfe_u32 v16, v50, 16, 3
	v_ffbh_u32_e32 v10, v16
	v_min_u32_e32 v49, 32, v10
	v_subrev_u32_e32 v10, 28, v49
	v_bfe_u32 v27, v50, 19, 4
	v_lshlrev_b64 v[10:11], v10, v[28:29]
	v_sub_u32_e32 v11, 29, v49
	v_cmp_eq_u32_e64 s[0:1], 0, v27
	v_and_b32_e32 v10, 7, v10
	s_nop 0
	v_cndmask_b32_e64 v11, v27, v11, s[0:1]
	v_cndmask_b32_e64 v10, v16, v10, s[0:1]
	v_lshlrev_b32_e32 v16, 8, v28
	v_lshl_add_u32 v11, v11, 10, v57
	v_and_or_b32 v11, v16, s17, v11
	v_lshl_or_b32 v10, v10, 7, v11
	v_cvt_f32_f16_e32 v53, v10
.LBB311_1163:                           ;   in Loop: Header=BB311_811 Depth=1
	s_or_b64 exec, exec, s[8:9]
	v_lshrrev_b32_e32 v28, 24, v50
	v_cmp_lt_i16_e64 s[0:1], s3, v28
	s_mov_b64 s[8:9], 0
                                        ; implicit-def: $sgpr26
	s_and_saveexec_b64 s[12:13], s[0:1]
	s_xor_b64 s[12:13], exec, s[12:13]
	s_cbranch_execnz .LBB311_1551
; %bb.1164:                             ;   in Loop: Header=BB311_811 Depth=1
	s_or_saveexec_b64 s[12:13], s[12:13]
	v_mov_b32_e32 v55, s26
	s_xor_b64 exec, exec, s[12:13]
	s_cbranch_execnz .LBB311_1554
.LBB311_1165:                           ;   in Loop: Header=BB311_811 Depth=1
	s_or_b64 exec, exec, s[12:13]
	s_and_saveexec_b64 s[12:13], s[8:9]
	s_cbranch_execz .LBB311_1167
.LBB311_1166:                           ;   in Loop: Header=BB311_811 Depth=1
	v_bfe_u32 v16, v50, 24, 3
	v_ffbh_u32_e32 v10, v16
	v_min_u32_e32 v49, 32, v10
	v_subrev_u32_e32 v10, 28, v49
	v_bfe_u32 v27, v50, 27, 4
	v_lshlrev_b64 v[10:11], v10, v[28:29]
	v_sub_u32_e32 v11, 29, v49
	v_cmp_eq_u32_e64 s[0:1], 0, v27
	v_and_b32_e32 v10, 7, v10
	s_nop 0
	v_cndmask_b32_e64 v11, v27, v11, s[0:1]
	v_cndmask_b32_e64 v10, v16, v10, s[0:1]
	v_lshlrev_b32_e32 v16, 8, v28
	v_lshl_add_u32 v11, v11, 10, v57
	v_and_or_b32 v11, v16, s17, v11
	v_lshl_or_b32 v10, v10, 7, v11
	v_cvt_f32_f16_e32 v55, v10
.LBB311_1167:                           ;   in Loop: Header=BB311_811 Depth=1
	s_or_b64 exec, exec, s[12:13]
	v_cmp_gt_i16_sdwa s[8:9], v51, s3 src0_sel:BYTE_0 src1_sel:DWORD
	s_mov_b64 s[0:1], 0
                                        ; implicit-def: $sgpr20
	s_and_saveexec_b64 s[12:13], s[8:9]
	s_xor_b64 s[8:9], exec, s[12:13]
	s_cbranch_execnz .LBB311_1555
; %bb.1168:                             ;   in Loop: Header=BB311_811 Depth=1
	s_or_saveexec_b64 s[8:9], s[8:9]
	v_mov_b32_e32 v16, s20
	s_xor_b64 exec, exec, s[8:9]
	s_cbranch_execnz .LBB311_1558
.LBB311_1169:                           ;   in Loop: Header=BB311_811 Depth=1
	s_or_b64 exec, exec, s[8:9]
	v_mov_b32_e32 v28, v51
	s_and_saveexec_b64 s[8:9], s[0:1]
	s_cbranch_execz .LBB311_1171
.LBB311_1170:                           ;   in Loop: Header=BB311_811 Depth=1
	v_and_b32_e32 v10, 7, v51
	v_ffbh_u32_e32 v10, v10
	v_bfe_u32 v11, v51, 3, 4
	v_min_u32_e32 v10, 32, v10
	v_subrev_u32_e32 v16, 28, v10
	v_sub_u32_e32 v10, 29, v10
	v_cmp_eq_u32_e64 s[0:1], 0, v11
	s_nop 1
	v_cndmask_b32_e64 v27, v11, v10, s[0:1]
	v_cndmask_b32_e64 v10, 0, v16, s[0:1]
	v_lshlrev_b64 v[10:11], v10, v[28:29]
	v_lshlrev_b32_e32 v11, 8, v51
	v_lshl_add_u32 v16, v27, 10, v57
	v_lshlrev_b32_e32 v10, 7, v10
	v_and_or_b32 v11, v11, s17, v16
	v_and_or_b32 v10, v10, s22, v11
	v_cvt_f32_f16_e32 v16, v10
.LBB311_1171:                           ;   in Loop: Header=BB311_811 Depth=1
	s_or_b64 exec, exec, s[8:9]
	v_lshrrev_b16_e32 v28, 8, v28
	v_cmp_lt_i16_e64 s[0:1], s3, v28
	s_mov_b64 s[8:9], 0
                                        ; implicit-def: $sgpr26
	s_and_saveexec_b64 s[12:13], s[0:1]
	s_xor_b64 s[12:13], exec, s[12:13]
	s_cbranch_execnz .LBB311_1559
; %bb.1172:                             ;   in Loop: Header=BB311_811 Depth=1
	s_or_saveexec_b64 s[12:13], s[12:13]
	v_mov_b32_e32 v27, s26
	s_xor_b64 exec, exec, s[12:13]
	s_cbranch_execnz .LBB311_1562
.LBB311_1173:                           ;   in Loop: Header=BB311_811 Depth=1
	s_or_b64 exec, exec, s[12:13]
	s_and_saveexec_b64 s[12:13], s[8:9]
	s_cbranch_execz .LBB311_1175
.LBB311_1174:                           ;   in Loop: Header=BB311_811 Depth=1
	v_and_b32_e32 v27, 7, v28
	v_ffbh_u32_e32 v10, v27
	v_min_u32_e32 v50, 32, v10
	v_subrev_u32_e32 v10, 28, v50
	v_bfe_u32 v49, v28, 3, 4
	v_lshlrev_b64 v[10:11], v10, v[28:29]
	v_sub_u32_e32 v11, 29, v50
	v_cmp_eq_u32_e64 s[0:1], 0, v49
	v_and_b32_e32 v10, 7, v10
	s_nop 0
	v_cndmask_b32_e64 v11, v49, v11, s[0:1]
	v_cndmask_b32_e64 v10, v27, v10, s[0:1]
	v_lshlrev_b32_e32 v27, 8, v28
	v_lshl_add_u32 v11, v11, 10, v57
	v_and_or_b32 v11, v27, s17, v11
	v_lshl_or_b32 v10, v10, 7, v11
	v_cvt_f32_f16_e32 v27, v10
.LBB311_1175:                           ;   in Loop: Header=BB311_811 Depth=1
	s_or_b64 exec, exec, s[12:13]
	v_lshrrev_b32_e32 v28, 16, v51
	v_cmp_gt_i16_sdwa s[8:9], v28, s3 src0_sel:BYTE_0 src1_sel:DWORD
	s_mov_b64 s[0:1], 0
                                        ; implicit-def: $sgpr20
	s_and_saveexec_b64 s[12:13], s[8:9]
	s_xor_b64 s[8:9], exec, s[12:13]
	s_cbranch_execnz .LBB311_1563
; %bb.1176:                             ;   in Loop: Header=BB311_811 Depth=1
	s_or_saveexec_b64 s[8:9], s[8:9]
	v_mov_b32_e32 v49, s20
	s_xor_b64 exec, exec, s[8:9]
	s_cbranch_execnz .LBB311_1566
.LBB311_1177:                           ;   in Loop: Header=BB311_811 Depth=1
	s_or_b64 exec, exec, s[8:9]
	s_and_saveexec_b64 s[8:9], s[0:1]
	s_cbranch_execz .LBB311_1179
.LBB311_1178:                           ;   in Loop: Header=BB311_811 Depth=1
	v_bfe_u32 v49, v51, 16, 3
	v_ffbh_u32_e32 v10, v49
	v_min_u32_e32 v46, 32, v10
	v_subrev_u32_e32 v10, 28, v46
	v_bfe_u32 v50, v51, 19, 4
	v_lshlrev_b64 v[10:11], v10, v[28:29]
	v_sub_u32_e32 v11, 29, v46
	v_cmp_eq_u32_e64 s[0:1], 0, v50
	v_and_b32_e32 v10, 7, v10
	v_lshlrev_b32_e32 v28, 8, v28
	v_cndmask_b32_e64 v11, v50, v11, s[0:1]
	v_lshl_add_u32 v11, v11, 10, v57
	v_cndmask_b32_e64 v10, v49, v10, s[0:1]
	v_and_or_b32 v11, v28, s17, v11
	v_lshl_or_b32 v10, v10, 7, v11
	v_cvt_f32_f16_e32 v49, v10
.LBB311_1179:                           ;   in Loop: Header=BB311_811 Depth=1
	s_or_b64 exec, exec, s[8:9]
	v_lshrrev_b32_e32 v28, 24, v51
	v_cmp_lt_i16_e64 s[0:1], s3, v28
	s_mov_b64 s[8:9], 0
                                        ; implicit-def: $sgpr26
	s_and_saveexec_b64 s[12:13], s[0:1]
	s_xor_b64 s[12:13], exec, s[12:13]
	s_cbranch_execnz .LBB311_1567
; %bb.1180:                             ;   in Loop: Header=BB311_811 Depth=1
	s_or_saveexec_b64 s[12:13], s[12:13]
	v_mov_b32_e32 v46, s26
	s_xor_b64 exec, exec, s[12:13]
	s_cbranch_execnz .LBB311_1570
.LBB311_1181:                           ;   in Loop: Header=BB311_811 Depth=1
	s_or_b64 exec, exec, s[12:13]
	s_and_saveexec_b64 s[12:13], s[8:9]
	s_cbranch_execz .LBB311_1183
.LBB311_1182:                           ;   in Loop: Header=BB311_811 Depth=1
	v_bfe_u32 v50, v51, 24, 3
	v_ffbh_u32_e32 v10, v50
	v_min_u32_e32 v46, 32, v10
	v_subrev_u32_e32 v10, 28, v46
	v_bfe_u32 v51, v51, 27, 4
	v_lshlrev_b64 v[10:11], v10, v[28:29]
	v_sub_u32_e32 v11, 29, v46
	v_cmp_eq_u32_e64 s[0:1], 0, v51
	v_and_b32_e32 v10, 7, v10
	v_lshlrev_b32_e32 v28, 8, v28
	v_cndmask_b32_e64 v11, v51, v11, s[0:1]
	v_lshl_add_u32 v11, v11, 10, v57
	v_cndmask_b32_e64 v10, v50, v10, s[0:1]
	v_and_or_b32 v11, v28, s17, v11
	v_lshl_or_b32 v10, v10, 7, v11
	v_cvt_f32_f16_e32 v46, v10
.LBB311_1183:                           ;   in Loop: Header=BB311_811 Depth=1
	s_or_b64 exec, exec, s[12:13]
	v_pk_mul_f32 v[10:11], v[48:49], v[54:55] op_sel_hi:[0,1]
	v_pk_mul_f32 v[50:51], v[48:49], v[52:53] op_sel_hi:[0,1]
	v_cvt_f16_f32_e32 v11, v11
	v_cvt_f16_f32_e32 v10, v10
	;; [unrolled: 1-line block ×4, first 2 shown]
	v_fma_mixlo_f16 v49, v48, v49, 0
	v_pack_b32_f16 v10, v10, v11
	v_pack_b32_f16 v11, v50, v28
	v_perm_b32 v28, v11, v10, s23
	v_perm_b32 v50, v11, v10, s24
	v_fma_mixlo_f16 v10, v48, v27, 0
	v_lshlrev_b32_e32 v10, 16, v10
	v_fma_mixlo_f16 v11, v48, v16, 0
	v_or_b32_sdwa v16, v10, v11 dst_sel:DWORD dst_unused:UNUSED_PAD src0_sel:DWORD src1_sel:WORD_0
	v_fma_mixlo_f16 v10, v48, v46, 0
	v_lshlrev_b32_e32 v10, 16, v10
	v_or_b32_sdwa v27, v10, v49 dst_sel:DWORD dst_unused:UNUSED_PAD src0_sel:DWORD src1_sel:WORD_0
	s_and_saveexec_b64 s[8:9], vcc
	s_cbranch_execz .LBB311_1185
; %bb.1184:                             ;   in Loop: Header=BB311_811 Depth=1
	v_lshrrev_b32_e32 v10, 16, v50
	v_cmp_lt_i32_e64 s[0:1], v45, v17
	v_accvgpr_read_b32 v48, a8
	s_nop 0
	v_cndmask_b32_e64 v10, 0, v10, s[0:1]
	v_cmp_lt_i32_e64 s[0:1], v7, v48
	s_nop 1
	v_cndmask_b32_e64 v11, 0, v50, s[0:1]
	v_perm_b32 v50, v10, v11, s25
	v_lshrrev_b32_e32 v10, 16, v28
	v_cmp_lt_i32_e64 s[0:1], v47, v17
	s_nop 1
	v_cndmask_b32_e64 v10, 0, v10, s[0:1]
	v_cmp_lt_i32_e64 s[0:1], v62, v48
	s_nop 1
	v_cndmask_b32_e64 v11, 0, v28, s[0:1]
	v_perm_b32 v28, v10, v11, s25
	v_lshrrev_b32_e32 v10, 16, v16
	v_cmp_lt_i32_e64 s[0:1], v61, v17
	;; [unrolled: 8-line block ×3, first 2 shown]
	s_nop 1
	v_cndmask_b32_e64 v10, 0, v10, s[0:1]
	v_cmp_lt_i32_e64 s[0:1], v58, v48
	s_nop 1
	v_cndmask_b32_e64 v11, 0, v49, s[0:1]
	v_perm_b32 v27, v10, v11, s25
.LBB311_1185:                           ;   in Loop: Header=BB311_811 Depth=1
	s_or_b64 exec, exec, s[8:9]
	;;#ASMSTART
	v_pk_mul_f16 v10, v42, v50;

	;;#ASMEND
	;;#ASMSTART
	v_pk_mul_f16 v11, v5, v28;

	;;#ASMEND
	;; [unrolled: 4-line block ×4, first 2 shown]
	s_mov_b64 s[0:1], 0
	;;#ASMSTART
	v_pk_add_f16 v10, v10, v11;

	;;#ASMEND
                                        ; implicit-def: $sgpr20
	s_nop 0
	;;#ASMSTART
	v_pk_add_f16 v10, v10, v16;

	;;#ASMEND
	s_nop 0
	;;#ASMSTART
	v_pk_add_f16 v10, v10, v27;

	;;#ASMEND
	s_nop 0
	v_lshrrev_b32_e32 v11, 16, v10
	v_and_b32_e32 v10, 0xffff, v10
	;;#ASMSTART
	v_cvt_f32_f16 v16, v10;
	;;#ASMEND
	;;#ASMSTART
	v_cvt_f32_f16 v27, v11;
	;;#ASMEND
	v_accvgpr_read_b32 v10, a32
	v_accvgpr_read_b32 v11, a33
	v_lshl_add_u64 v[10:11], v[18:19], 0, v[10:11]
	flat_load_dwordx2 v[48:49], v[10:11]
	v_accvgpr_read_b32 v11, a5
	v_accvgpr_read_b32 v10, a4
	flat_load_dword v18, v[10:11]
	s_waitcnt vmcnt(0) lgkmcnt(0)
	v_cmp_gt_i16_sdwa s[8:9], v48, s3 src0_sel:BYTE_0 src1_sel:DWORD
	s_and_saveexec_b64 s[12:13], s[8:9]
	s_xor_b64 s[8:9], exec, s[12:13]
	s_cbranch_execnz .LBB311_1571
; %bb.1186:                             ;   in Loop: Header=BB311_811 Depth=1
	s_or_saveexec_b64 s[8:9], s[8:9]
	v_mov_b32_e32 v50, s20
	s_xor_b64 exec, exec, s[8:9]
	s_cbranch_execnz .LBB311_1574
.LBB311_1187:                           ;   in Loop: Header=BB311_811 Depth=1
	s_or_b64 exec, exec, s[8:9]
	s_and_saveexec_b64 s[8:9], s[0:1]
	s_cbranch_execz .LBB311_1189
.LBB311_1188:                           ;   in Loop: Header=BB311_811 Depth=1
	v_and_b32_e32 v10, 7, v48
	v_ffbh_u32_e32 v10, v10
	v_bfe_u32 v11, v48, 3, 4
	v_min_u32_e32 v10, 32, v10
	v_subrev_u32_e32 v19, 28, v10
	v_sub_u32_e32 v10, 29, v10
	v_cmp_eq_u32_e64 s[0:1], 0, v11
	s_nop 1
	v_cndmask_b32_e64 v28, v11, v10, s[0:1]
	v_cndmask_b32_e64 v10, 0, v19, s[0:1]
	v_lshlrev_b64 v[10:11], v10, v[48:49]
	v_lshlrev_b32_e32 v11, 8, v48
	v_lshl_add_u32 v19, v28, 10, v57
	v_lshlrev_b32_e32 v10, 7, v10
	v_and_or_b32 v11, v11, s17, v19
	v_and_or_b32 v10, v10, s22, v11
	v_cvt_f32_f16_e32 v50, v10
.LBB311_1189:                           ;   in Loop: Header=BB311_811 Depth=1
	s_or_b64 exec, exec, s[8:9]
	v_lshrrev_b16_e32 v28, 8, v48
	v_cmp_lt_i16_e64 s[0:1], s3, v28
	s_mov_b64 s[8:9], 0
                                        ; implicit-def: $sgpr26
	s_and_saveexec_b64 s[12:13], s[0:1]
	s_xor_b64 s[12:13], exec, s[12:13]
	s_cbranch_execnz .LBB311_1575
; %bb.1190:                             ;   in Loop: Header=BB311_811 Depth=1
	s_or_saveexec_b64 s[12:13], s[12:13]
	v_mov_b32_e32 v52, s26
	s_xor_b64 exec, exec, s[12:13]
	s_cbranch_execnz .LBB311_1578
.LBB311_1191:                           ;   in Loop: Header=BB311_811 Depth=1
	s_or_b64 exec, exec, s[12:13]
	s_and_saveexec_b64 s[12:13], s[8:9]
	s_cbranch_execz .LBB311_1193
.LBB311_1192:                           ;   in Loop: Header=BB311_811 Depth=1
	v_and_b32_e32 v19, 7, v28
	v_ffbh_u32_e32 v10, v19
	v_min_u32_e32 v52, 32, v10
	v_subrev_u32_e32 v10, 28, v52
	v_bfe_u32 v51, v28, 3, 4
	v_lshlrev_b64 v[10:11], v10, v[28:29]
	v_sub_u32_e32 v11, 29, v52
	v_cmp_eq_u32_e64 s[0:1], 0, v51
	v_and_b32_e32 v10, 7, v10
	s_nop 0
	v_cndmask_b32_e64 v11, v51, v11, s[0:1]
	v_cndmask_b32_e64 v10, v19, v10, s[0:1]
	v_lshlrev_b32_e32 v19, 8, v28
	v_lshl_add_u32 v11, v11, 10, v57
	v_and_or_b32 v11, v19, s17, v11
	v_lshl_or_b32 v10, v10, 7, v11
	v_cvt_f32_f16_e32 v52, v10
.LBB311_1193:                           ;   in Loop: Header=BB311_811 Depth=1
	s_or_b64 exec, exec, s[12:13]
	v_lshrrev_b32_e32 v28, 16, v48
	v_cmp_gt_i16_sdwa s[8:9], v28, s3 src0_sel:BYTE_0 src1_sel:DWORD
	s_mov_b64 s[0:1], 0
                                        ; implicit-def: $sgpr20
	s_and_saveexec_b64 s[12:13], s[8:9]
	s_xor_b64 s[8:9], exec, s[12:13]
	s_cbranch_execnz .LBB311_1579
; %bb.1194:                             ;   in Loop: Header=BB311_811 Depth=1
	s_or_saveexec_b64 s[8:9], s[8:9]
	v_mov_b32_e32 v51, s20
	s_xor_b64 exec, exec, s[8:9]
	s_cbranch_execnz .LBB311_1582
.LBB311_1195:                           ;   in Loop: Header=BB311_811 Depth=1
	s_or_b64 exec, exec, s[8:9]
	s_and_saveexec_b64 s[8:9], s[0:1]
	s_cbranch_execz .LBB311_1197
.LBB311_1196:                           ;   in Loop: Header=BB311_811 Depth=1
	v_bfe_u32 v19, v48, 16, 3
	v_ffbh_u32_e32 v10, v19
	v_min_u32_e32 v53, 32, v10
	v_subrev_u32_e32 v10, 28, v53
	v_bfe_u32 v51, v48, 19, 4
	v_lshlrev_b64 v[10:11], v10, v[28:29]
	v_sub_u32_e32 v11, 29, v53
	v_cmp_eq_u32_e64 s[0:1], 0, v51
	v_and_b32_e32 v10, 7, v10
	s_nop 0
	v_cndmask_b32_e64 v11, v51, v11, s[0:1]
	v_cndmask_b32_e64 v10, v19, v10, s[0:1]
	v_lshlrev_b32_e32 v19, 8, v28
	v_lshl_add_u32 v11, v11, 10, v57
	v_and_or_b32 v11, v19, s17, v11
	v_lshl_or_b32 v10, v10, 7, v11
	v_cvt_f32_f16_e32 v51, v10
.LBB311_1197:                           ;   in Loop: Header=BB311_811 Depth=1
	s_or_b64 exec, exec, s[8:9]
	v_lshrrev_b32_e32 v28, 24, v48
	v_cmp_lt_i16_e64 s[0:1], s3, v28
	s_mov_b64 s[8:9], 0
                                        ; implicit-def: $sgpr26
	s_and_saveexec_b64 s[12:13], s[0:1]
	s_xor_b64 s[12:13], exec, s[12:13]
	s_cbranch_execnz .LBB311_1583
; %bb.1198:                             ;   in Loop: Header=BB311_811 Depth=1
	s_or_saveexec_b64 s[12:13], s[12:13]
	v_mov_b32_e32 v53, s26
	s_xor_b64 exec, exec, s[12:13]
	s_cbranch_execnz .LBB311_1586
.LBB311_1199:                           ;   in Loop: Header=BB311_811 Depth=1
	s_or_b64 exec, exec, s[12:13]
	s_and_saveexec_b64 s[12:13], s[8:9]
	s_cbranch_execz .LBB311_1201
.LBB311_1200:                           ;   in Loop: Header=BB311_811 Depth=1
	v_bfe_u32 v19, v48, 24, 3
	v_ffbh_u32_e32 v10, v19
	v_min_u32_e32 v53, 32, v10
	v_subrev_u32_e32 v10, 28, v53
	v_bfe_u32 v48, v48, 27, 4
	v_lshlrev_b64 v[10:11], v10, v[28:29]
	v_sub_u32_e32 v11, 29, v53
	v_cmp_eq_u32_e64 s[0:1], 0, v48
	v_and_b32_e32 v10, 7, v10
	s_nop 0
	v_cndmask_b32_e64 v11, v48, v11, s[0:1]
	v_cndmask_b32_e64 v10, v19, v10, s[0:1]
	v_lshlrev_b32_e32 v19, 8, v28
	v_lshl_add_u32 v11, v11, 10, v57
	v_and_or_b32 v11, v19, s17, v11
	v_lshl_or_b32 v10, v10, 7, v11
	v_cvt_f32_f16_e32 v53, v10
.LBB311_1201:                           ;   in Loop: Header=BB311_811 Depth=1
	s_or_b64 exec, exec, s[12:13]
	v_cmp_gt_i16_sdwa s[8:9], v49, s3 src0_sel:BYTE_0 src1_sel:DWORD
	s_mov_b64 s[0:1], 0
                                        ; implicit-def: $sgpr20
	s_and_saveexec_b64 s[12:13], s[8:9]
	s_xor_b64 s[8:9], exec, s[12:13]
	s_cbranch_execnz .LBB311_1587
; %bb.1202:                             ;   in Loop: Header=BB311_811 Depth=1
	s_or_saveexec_b64 s[8:9], s[8:9]
	v_mov_b32_e32 v19, s20
	s_xor_b64 exec, exec, s[8:9]
	s_cbranch_execnz .LBB311_1590
.LBB311_1203:                           ;   in Loop: Header=BB311_811 Depth=1
	s_or_b64 exec, exec, s[8:9]
	v_mov_b32_e32 v28, v49
	s_and_saveexec_b64 s[8:9], s[0:1]
	s_cbranch_execz .LBB311_1205
.LBB311_1204:                           ;   in Loop: Header=BB311_811 Depth=1
	v_and_b32_e32 v10, 7, v49
	v_ffbh_u32_e32 v10, v10
	v_bfe_u32 v11, v49, 3, 4
	v_min_u32_e32 v10, 32, v10
	v_subrev_u32_e32 v19, 28, v10
	v_sub_u32_e32 v10, 29, v10
	v_cmp_eq_u32_e64 s[0:1], 0, v11
	s_nop 1
	v_cndmask_b32_e64 v48, v11, v10, s[0:1]
	v_cndmask_b32_e64 v10, 0, v19, s[0:1]
	v_lshlrev_b64 v[10:11], v10, v[28:29]
	v_lshlrev_b32_e32 v11, 8, v49
	v_lshl_add_u32 v19, v48, 10, v57
	v_lshlrev_b32_e32 v10, 7, v10
	v_and_or_b32 v11, v11, s17, v19
	v_and_or_b32 v10, v10, s22, v11
	v_cvt_f32_f16_e32 v19, v10
.LBB311_1205:                           ;   in Loop: Header=BB311_811 Depth=1
	s_or_b64 exec, exec, s[8:9]
	v_lshrrev_b16_e32 v28, 8, v28
	v_cmp_lt_i16_e64 s[0:1], s3, v28
	s_mov_b64 s[8:9], 0
                                        ; implicit-def: $sgpr26
	s_and_saveexec_b64 s[12:13], s[0:1]
	s_xor_b64 s[12:13], exec, s[12:13]
	s_cbranch_execnz .LBB311_1591
; %bb.1206:                             ;   in Loop: Header=BB311_811 Depth=1
	s_or_saveexec_b64 s[12:13], s[12:13]
	v_mov_b32_e32 v48, s26
	s_xor_b64 exec, exec, s[12:13]
	s_cbranch_execnz .LBB311_1594
.LBB311_1207:                           ;   in Loop: Header=BB311_811 Depth=1
	s_or_b64 exec, exec, s[12:13]
	s_and_saveexec_b64 s[12:13], s[8:9]
	s_cbranch_execz .LBB311_1209
.LBB311_1208:                           ;   in Loop: Header=BB311_811 Depth=1
	v_and_b32_e32 v48, 7, v28
	v_ffbh_u32_e32 v10, v48
	v_min_u32_e32 v55, 32, v10
	v_subrev_u32_e32 v10, 28, v55
	v_bfe_u32 v54, v28, 3, 4
	v_lshlrev_b64 v[10:11], v10, v[28:29]
	v_sub_u32_e32 v11, 29, v55
	v_cmp_eq_u32_e64 s[0:1], 0, v54
	v_and_b32_e32 v10, 7, v10
	v_lshlrev_b32_e32 v28, 8, v28
	v_cndmask_b32_e64 v11, v54, v11, s[0:1]
	v_lshl_add_u32 v11, v11, 10, v57
	v_cndmask_b32_e64 v10, v48, v10, s[0:1]
	v_and_or_b32 v11, v28, s17, v11
	v_lshl_or_b32 v10, v10, 7, v11
	v_cvt_f32_f16_e32 v48, v10
.LBB311_1209:                           ;   in Loop: Header=BB311_811 Depth=1
	s_or_b64 exec, exec, s[12:13]
	v_lshrrev_b32_e32 v28, 16, v49
	v_cmp_gt_i16_sdwa s[8:9], v28, s3 src0_sel:BYTE_0 src1_sel:DWORD
	s_mov_b64 s[0:1], 0
                                        ; implicit-def: $sgpr20
	s_and_saveexec_b64 s[12:13], s[8:9]
	s_xor_b64 s[8:9], exec, s[12:13]
	s_cbranch_execnz .LBB311_1595
; %bb.1210:                             ;   in Loop: Header=BB311_811 Depth=1
	s_or_saveexec_b64 s[8:9], s[8:9]
	v_mov_b32_e32 v54, s20
	s_xor_b64 exec, exec, s[8:9]
	s_cbranch_execnz .LBB311_1598
.LBB311_1211:                           ;   in Loop: Header=BB311_811 Depth=1
	s_or_b64 exec, exec, s[8:9]
	s_and_saveexec_b64 s[8:9], s[0:1]
	s_cbranch_execz .LBB311_1213
.LBB311_1212:                           ;   in Loop: Header=BB311_811 Depth=1
	v_bfe_u32 v54, v49, 16, 3
	v_ffbh_u32_e32 v10, v54
	v_min_u32_e32 v46, 32, v10
	v_subrev_u32_e32 v10, 28, v46
	v_bfe_u32 v55, v49, 19, 4
	v_lshlrev_b64 v[10:11], v10, v[28:29]
	v_sub_u32_e32 v11, 29, v46
	v_cmp_eq_u32_e64 s[0:1], 0, v55
	v_and_b32_e32 v10, 7, v10
	v_lshlrev_b32_e32 v28, 8, v28
	v_cndmask_b32_e64 v11, v55, v11, s[0:1]
	v_lshl_add_u32 v11, v11, 10, v57
	v_cndmask_b32_e64 v10, v54, v10, s[0:1]
	v_and_or_b32 v11, v28, s17, v11
	v_lshl_or_b32 v10, v10, 7, v11
	v_cvt_f32_f16_e32 v54, v10
.LBB311_1213:                           ;   in Loop: Header=BB311_811 Depth=1
	s_or_b64 exec, exec, s[8:9]
	v_lshrrev_b32_e32 v28, 24, v49
	v_cmp_lt_i16_e64 s[0:1], s3, v28
	s_mov_b64 s[8:9], 0
                                        ; implicit-def: $sgpr26
	s_and_saveexec_b64 s[12:13], s[0:1]
	s_xor_b64 s[12:13], exec, s[12:13]
	s_cbranch_execnz .LBB311_1599
; %bb.1214:                             ;   in Loop: Header=BB311_811 Depth=1
	s_or_saveexec_b64 s[12:13], s[12:13]
	v_mov_b32_e32 v55, s26
	s_xor_b64 exec, exec, s[12:13]
	s_cbranch_execnz .LBB311_1602
.LBB311_1215:                           ;   in Loop: Header=BB311_811 Depth=1
	s_or_b64 exec, exec, s[12:13]
	s_and_saveexec_b64 s[12:13], s[8:9]
	s_cbranch_execz .LBB311_1217
.LBB311_1216:                           ;   in Loop: Header=BB311_811 Depth=1
	v_bfe_u32 v55, v49, 24, 3
	v_ffbh_u32_e32 v10, v55
	v_min_u32_e32 v46, 32, v10
	v_subrev_u32_e32 v10, 28, v46
	v_bfe_u32 v49, v49, 27, 4
	v_lshlrev_b64 v[10:11], v10, v[28:29]
	v_sub_u32_e32 v11, 29, v46
	v_cmp_eq_u32_e64 s[0:1], 0, v49
	v_and_b32_e32 v10, 7, v10
	v_lshlrev_b32_e32 v28, 8, v28
	v_cndmask_b32_e64 v11, v49, v11, s[0:1]
	v_lshl_add_u32 v11, v11, 10, v57
	v_cndmask_b32_e64 v10, v55, v10, s[0:1]
	v_and_or_b32 v11, v28, s17, v11
	v_lshl_or_b32 v10, v10, 7, v11
	v_cvt_f32_f16_e32 v55, v10
.LBB311_1217:                           ;   in Loop: Header=BB311_811 Depth=1
	s_or_b64 exec, exec, s[12:13]
	v_pk_mul_f32 v[10:11], v[18:19], v[52:53] op_sel_hi:[0,1]
	v_pk_mul_f32 v[50:51], v[18:19], v[50:51] op_sel_hi:[0,1]
	v_cvt_f16_f32_e32 v11, v11
	v_cvt_f16_f32_e32 v10, v10
	;; [unrolled: 1-line block ×4, first 2 shown]
	v_pack_b32_f16 v10, v10, v11
	v_pack_b32_f16 v11, v49, v28
	v_perm_b32 v28, v11, v10, s23
	v_perm_b32 v49, v11, v10, s24
	v_fma_mixlo_f16 v10, v18, v48, 0
	v_lshlrev_b32_e32 v10, 16, v10
	v_fma_mixlo_f16 v11, v18, v19, 0
	v_or_b32_sdwa v19, v10, v11 dst_sel:DWORD dst_unused:UNUSED_PAD src0_sel:DWORD src1_sel:WORD_0
	v_fma_mixlo_f16 v10, v18, v55, 0
	v_fma_mixlo_f16 v48, v18, v54, 0
	v_lshlrev_b32_e32 v10, 16, v10
	v_or_b32_sdwa v18, v10, v48 dst_sel:DWORD dst_unused:UNUSED_PAD src0_sel:DWORD src1_sel:WORD_0
	s_and_saveexec_b64 s[0:1], vcc
	s_cbranch_execz .LBB311_810
; %bb.1218:                             ;   in Loop: Header=BB311_811 Depth=1
	v_lshrrev_b32_e32 v10, 16, v49
	v_cmp_lt_i32_e32 vcc, v45, v17
	v_accvgpr_read_b32 v50, a8
	s_nop 0
	v_cndmask_b32_e32 v10, 0, v10, vcc
	v_cmp_lt_i32_e32 vcc, v7, v50
	s_nop 1
	v_cndmask_b32_e32 v11, 0, v49, vcc
	v_perm_b32 v49, v10, v11, s25
	v_lshrrev_b32_e32 v10, 16, v28
	v_cmp_lt_i32_e32 vcc, v47, v17
	s_nop 1
	v_cndmask_b32_e32 v10, 0, v10, vcc
	v_cmp_lt_i32_e32 vcc, v62, v50
	s_nop 1
	v_cndmask_b32_e32 v11, 0, v28, vcc
	v_perm_b32 v28, v10, v11, s25
	v_lshrrev_b32_e32 v10, 16, v19
	v_cmp_lt_i32_e32 vcc, v61, v17
	;; [unrolled: 8-line block ×3, first 2 shown]
	s_nop 1
	v_cndmask_b32_e32 v10, 0, v10, vcc
	v_cmp_lt_i32_e32 vcc, v58, v50
	s_nop 1
	v_cndmask_b32_e32 v11, 0, v48, vcc
	v_perm_b32 v18, v10, v11, s25
	s_branch .LBB311_810
.LBB311_1219:                           ;   in Loop: Header=BB311_811 Depth=1
	v_cmp_eq_u16_sdwa s[26:27], v52, s15 src0_sel:BYTE_0 src1_sel:DWORD
	s_mov_b64 s[0:1], -1
                                        ; implicit-def: $sgpr20
	s_and_saveexec_b64 s[12:13], s[26:27]
; %bb.1220:                             ;   in Loop: Header=BB311_811 Depth=1
	s_mov_b32 s20, 0x7fc02000
	s_xor_b64 s[0:1], exec, -1
; %bb.1221:                             ;   in Loop: Header=BB311_811 Depth=1
	s_or_b64 exec, exec, s[12:13]
	s_and_b64 s[0:1], s[0:1], exec
	s_or_saveexec_b64 s[8:9], s[8:9]
	v_mov_b32_e32 v54, s20
	s_xor_b64 exec, exec, s[8:9]
	s_cbranch_execz .LBB311_813
.LBB311_1222:                           ;   in Loop: Header=BB311_811 Depth=1
	v_cmp_ne_u16_sdwa s[12:13], v52, v29 src0_sel:BYTE_0 src1_sel:DWORD
	s_andn2_b64 s[0:1], s[0:1], exec
	s_and_b64 s[12:13], s[12:13], exec
	v_mov_b32_e32 v54, 0
	s_or_b64 s[0:1], s[0:1], s[12:13]
	s_or_b64 exec, exec, s[8:9]
	s_and_saveexec_b64 s[8:9], s[0:1]
	s_cbranch_execnz .LBB311_814
	s_branch .LBB311_815
.LBB311_1223:                           ;   in Loop: Header=BB311_811 Depth=1
	v_cmp_eq_u16_e32 vcc, s15, v28
	s_mov_b64 s[0:1], -1
                                        ; implicit-def: $sgpr20
	s_and_saveexec_b64 s[12:13], vcc
; %bb.1224:                             ;   in Loop: Header=BB311_811 Depth=1
	s_mov_b32 s20, 0x7fc02000
	s_xor_b64 s[0:1], exec, -1
; %bb.1225:                             ;   in Loop: Header=BB311_811 Depth=1
	s_or_b64 exec, exec, s[12:13]
	s_and_b64 s[0:1], s[0:1], exec
	s_or_saveexec_b64 s[8:9], s[8:9]
	v_mov_b32_e32 v40, s20
	s_xor_b64 exec, exec, s[8:9]
	s_cbranch_execz .LBB311_817
.LBB311_1226:                           ;   in Loop: Header=BB311_811 Depth=1
	v_cmp_ne_u16_e32 vcc, 0, v28
	s_andn2_b64 s[0:1], s[0:1], exec
	s_and_b64 s[12:13], vcc, exec
	v_mov_b32_e32 v40, 0
	s_or_b64 s[0:1], s[0:1], s[12:13]
	s_or_b64 exec, exec, s[8:9]
	s_and_saveexec_b64 s[8:9], s[0:1]
	s_cbranch_execnz .LBB311_818
	s_branch .LBB311_819
.LBB311_1227:                           ;   in Loop: Header=BB311_811 Depth=1
	v_cmp_eq_u16_sdwa s[26:27], v28, s15 src0_sel:BYTE_0 src1_sel:DWORD
	s_mov_b64 s[0:1], -1
                                        ; implicit-def: $sgpr20
	s_and_saveexec_b64 s[12:13], s[26:27]
; %bb.1228:                             ;   in Loop: Header=BB311_811 Depth=1
	s_mov_b32 s20, 0x7fc02000
	s_xor_b64 s[0:1], exec, -1
; %bb.1229:                             ;   in Loop: Header=BB311_811 Depth=1
	s_or_b64 exec, exec, s[12:13]
	s_and_b64 s[0:1], s[0:1], exec
	s_or_saveexec_b64 s[8:9], s[8:9]
	v_mov_b32_e32 v55, s20
	s_xor_b64 exec, exec, s[8:9]
	s_cbranch_execz .LBB311_821
.LBB311_1230:                           ;   in Loop: Header=BB311_811 Depth=1
	v_cmp_ne_u16_sdwa s[12:13], v28, v29 src0_sel:BYTE_0 src1_sel:DWORD
	s_andn2_b64 s[0:1], s[0:1], exec
	s_and_b64 s[12:13], s[12:13], exec
	v_mov_b32_e32 v55, 0
	s_or_b64 s[0:1], s[0:1], s[12:13]
	s_or_b64 exec, exec, s[8:9]
	s_and_saveexec_b64 s[8:9], s[0:1]
	s_cbranch_execnz .LBB311_822
	s_branch .LBB311_823
.LBB311_1231:                           ;   in Loop: Header=BB311_811 Depth=1
	v_cmp_eq_u16_e32 vcc, s15, v28
	s_mov_b64 s[0:1], -1
                                        ; implicit-def: $sgpr20
	s_and_saveexec_b64 s[12:13], vcc
; %bb.1232:                             ;   in Loop: Header=BB311_811 Depth=1
	s_mov_b32 s20, 0x7fc02000
	s_xor_b64 s[0:1], exec, -1
; %bb.1233:                             ;   in Loop: Header=BB311_811 Depth=1
	s_or_b64 exec, exec, s[12:13]
	s_and_b64 s[0:1], s[0:1], exec
	s_or_saveexec_b64 s[8:9], s[8:9]
	v_mov_b32_e32 v41, s20
	s_xor_b64 exec, exec, s[8:9]
	s_cbranch_execz .LBB311_825
.LBB311_1234:                           ;   in Loop: Header=BB311_811 Depth=1
	v_cmp_ne_u16_e32 vcc, 0, v28
	s_andn2_b64 s[0:1], s[0:1], exec
	s_and_b64 s[12:13], vcc, exec
	v_mov_b32_e32 v41, 0
	s_or_b64 s[0:1], s[0:1], s[12:13]
	s_or_b64 exec, exec, s[8:9]
	s_and_saveexec_b64 s[8:9], s[0:1]
	s_cbranch_execnz .LBB311_826
	s_branch .LBB311_827
.LBB311_1235:                           ;   in Loop: Header=BB311_811 Depth=1
	v_cmp_eq_u16_sdwa s[26:27], v53, s15 src0_sel:BYTE_0 src1_sel:DWORD
	s_mov_b64 s[0:1], -1
                                        ; implicit-def: $sgpr20
	s_and_saveexec_b64 s[12:13], s[26:27]
; %bb.1236:                             ;   in Loop: Header=BB311_811 Depth=1
	s_mov_b32 s20, 0x7fc02000
	s_xor_b64 s[0:1], exec, -1
; %bb.1237:                             ;   in Loop: Header=BB311_811 Depth=1
	s_or_b64 exec, exec, s[12:13]
	s_and_b64 s[0:1], s[0:1], exec
	s_or_saveexec_b64 s[8:9], s[8:9]
	v_mov_b32_e32 v22, s20
	s_xor_b64 exec, exec, s[8:9]
	s_cbranch_execz .LBB311_829
.LBB311_1238:                           ;   in Loop: Header=BB311_811 Depth=1
	v_cmp_ne_u16_sdwa s[12:13], v53, v29 src0_sel:BYTE_0 src1_sel:DWORD
	s_andn2_b64 s[0:1], s[0:1], exec
	s_and_b64 s[12:13], s[12:13], exec
	v_mov_b32_e32 v22, 0
	s_or_b64 s[0:1], s[0:1], s[12:13]
	s_or_b64 exec, exec, s[8:9]
	v_mov_b32_e32 v28, v53
	s_and_saveexec_b64 s[8:9], s[0:1]
	s_cbranch_execnz .LBB311_830
	s_branch .LBB311_831
.LBB311_1239:                           ;   in Loop: Header=BB311_811 Depth=1
	v_cmp_eq_u16_e32 vcc, s15, v28
	s_mov_b64 s[0:1], -1
                                        ; implicit-def: $sgpr20
	s_and_saveexec_b64 s[12:13], vcc
; %bb.1240:                             ;   in Loop: Header=BB311_811 Depth=1
	s_mov_b32 s20, 0x7fc02000
	s_xor_b64 s[0:1], exec, -1
; %bb.1241:                             ;   in Loop: Header=BB311_811 Depth=1
	s_or_b64 exec, exec, s[12:13]
	s_and_b64 s[0:1], s[0:1], exec
	s_or_saveexec_b64 s[8:9], s[8:9]
	v_mov_b32_e32 v26, s20
	s_xor_b64 exec, exec, s[8:9]
	s_cbranch_execz .LBB311_833
.LBB311_1242:                           ;   in Loop: Header=BB311_811 Depth=1
	v_cmp_ne_u16_e32 vcc, 0, v28
	s_andn2_b64 s[0:1], s[0:1], exec
	s_and_b64 s[12:13], vcc, exec
	v_mov_b32_e32 v26, 0
	s_or_b64 s[0:1], s[0:1], s[12:13]
	s_or_b64 exec, exec, s[8:9]
	s_and_saveexec_b64 s[8:9], s[0:1]
	s_cbranch_execnz .LBB311_834
	s_branch .LBB311_835
.LBB311_1243:                           ;   in Loop: Header=BB311_811 Depth=1
	v_cmp_eq_u16_sdwa s[26:27], v28, s15 src0_sel:BYTE_0 src1_sel:DWORD
	s_mov_b64 s[0:1], -1
                                        ; implicit-def: $sgpr20
	s_and_saveexec_b64 s[12:13], s[26:27]
; %bb.1244:                             ;   in Loop: Header=BB311_811 Depth=1
	s_mov_b32 s20, 0x7fc02000
	s_xor_b64 s[0:1], exec, -1
; %bb.1245:                             ;   in Loop: Header=BB311_811 Depth=1
	s_or_b64 exec, exec, s[12:13]
	s_and_b64 s[0:1], s[0:1], exec
	s_or_saveexec_b64 s[8:9], s[8:9]
	v_mov_b32_e32 v27, s20
	s_xor_b64 exec, exec, s[8:9]
	s_cbranch_execz .LBB311_837
.LBB311_1246:                           ;   in Loop: Header=BB311_811 Depth=1
	v_cmp_ne_u16_sdwa s[12:13], v28, v29 src0_sel:BYTE_0 src1_sel:DWORD
	s_andn2_b64 s[0:1], s[0:1], exec
	s_and_b64 s[12:13], s[12:13], exec
	v_mov_b32_e32 v27, 0
	s_or_b64 s[0:1], s[0:1], s[12:13]
	s_or_b64 exec, exec, s[8:9]
	s_and_saveexec_b64 s[8:9], s[0:1]
	s_cbranch_execnz .LBB311_838
	s_branch .LBB311_839
.LBB311_1247:                           ;   in Loop: Header=BB311_811 Depth=1
	v_cmp_eq_u16_e32 vcc, s15, v28
	s_mov_b64 s[0:1], -1
                                        ; implicit-def: $sgpr20
	s_and_saveexec_b64 s[12:13], vcc
; %bb.1248:                             ;   in Loop: Header=BB311_811 Depth=1
	s_mov_b32 s20, 0x7fc02000
	s_xor_b64 s[0:1], exec, -1
; %bb.1249:                             ;   in Loop: Header=BB311_811 Depth=1
	s_or_b64 exec, exec, s[12:13]
	s_and_b64 s[0:1], s[0:1], exec
	s_or_saveexec_b64 s[8:9], s[8:9]
	v_mov_b32_e32 v33, s20
	s_xor_b64 exec, exec, s[8:9]
	s_cbranch_execz .LBB311_841
.LBB311_1250:                           ;   in Loop: Header=BB311_811 Depth=1
	v_cmp_ne_u16_e32 vcc, 0, v28
	s_andn2_b64 s[0:1], s[0:1], exec
	s_and_b64 s[12:13], vcc, exec
	v_mov_b32_e32 v33, 0
	s_or_b64 s[0:1], s[0:1], s[12:13]
	s_or_b64 exec, exec, s[8:9]
	s_and_saveexec_b64 s[8:9], s[0:1]
	s_cbranch_execnz .LBB311_842
	s_branch .LBB311_843
.LBB311_1251:                           ;   in Loop: Header=BB311_811 Depth=1
	v_cmp_eq_u16_sdwa s[26:27], v52, s15 src0_sel:BYTE_0 src1_sel:DWORD
	s_mov_b64 s[0:1], -1
                                        ; implicit-def: $sgpr20
	s_and_saveexec_b64 s[12:13], s[26:27]
; %bb.1252:                             ;   in Loop: Header=BB311_811 Depth=1
	s_mov_b32 s20, 0x7fc02000
	s_xor_b64 s[0:1], exec, -1
; %bb.1253:                             ;   in Loop: Header=BB311_811 Depth=1
	s_or_b64 exec, exec, s[12:13]
	s_and_b64 s[0:1], s[0:1], exec
	s_or_saveexec_b64 s[8:9], s[8:9]
	v_mov_b32_e32 v54, s20
	s_xor_b64 exec, exec, s[8:9]
	s_cbranch_execz .LBB311_847
.LBB311_1254:                           ;   in Loop: Header=BB311_811 Depth=1
	v_cmp_ne_u16_sdwa s[12:13], v52, v29 src0_sel:BYTE_0 src1_sel:DWORD
	s_andn2_b64 s[0:1], s[0:1], exec
	s_and_b64 s[12:13], s[12:13], exec
	v_mov_b32_e32 v54, 0
	s_or_b64 s[0:1], s[0:1], s[12:13]
	s_or_b64 exec, exec, s[8:9]
	s_and_saveexec_b64 s[8:9], s[0:1]
	s_cbranch_execnz .LBB311_848
	s_branch .LBB311_849
.LBB311_1255:                           ;   in Loop: Header=BB311_811 Depth=1
	v_cmp_eq_u16_e64 s[0:1], s15, v28
	s_mov_b64 s[8:9], -1
                                        ; implicit-def: $sgpr26
	s_and_saveexec_b64 s[20:21], s[0:1]
; %bb.1256:                             ;   in Loop: Header=BB311_811 Depth=1
	s_mov_b32 s26, 0x7fc02000
	s_xor_b64 s[8:9], exec, -1
; %bb.1257:                             ;   in Loop: Header=BB311_811 Depth=1
	s_or_b64 exec, exec, s[20:21]
	s_and_b64 s[8:9], s[8:9], exec
	s_or_saveexec_b64 s[12:13], s[12:13]
	v_mov_b32_e32 v40, s26
	s_xor_b64 exec, exec, s[12:13]
	s_cbranch_execz .LBB311_851
.LBB311_1258:                           ;   in Loop: Header=BB311_811 Depth=1
	v_cmp_ne_u16_e64 s[0:1], 0, v28
	s_andn2_b64 s[8:9], s[8:9], exec
	s_and_b64 s[0:1], s[0:1], exec
	v_mov_b32_e32 v40, 0
	s_or_b64 s[8:9], s[8:9], s[0:1]
	s_or_b64 exec, exec, s[12:13]
	s_and_saveexec_b64 s[12:13], s[8:9]
	s_cbranch_execnz .LBB311_852
	s_branch .LBB311_853
.LBB311_1259:                           ;   in Loop: Header=BB311_811 Depth=1
	v_cmp_eq_u16_sdwa s[26:27], v28, s15 src0_sel:BYTE_0 src1_sel:DWORD
	s_mov_b64 s[0:1], -1
                                        ; implicit-def: $sgpr20
	s_and_saveexec_b64 s[12:13], s[26:27]
; %bb.1260:                             ;   in Loop: Header=BB311_811 Depth=1
	s_mov_b32 s20, 0x7fc02000
	s_xor_b64 s[0:1], exec, -1
; %bb.1261:                             ;   in Loop: Header=BB311_811 Depth=1
	s_or_b64 exec, exec, s[12:13]
	s_and_b64 s[0:1], s[0:1], exec
	s_or_saveexec_b64 s[8:9], s[8:9]
	v_mov_b32_e32 v55, s20
	s_xor_b64 exec, exec, s[8:9]
	s_cbranch_execz .LBB311_855
.LBB311_1262:                           ;   in Loop: Header=BB311_811 Depth=1
	v_cmp_ne_u16_sdwa s[12:13], v28, v29 src0_sel:BYTE_0 src1_sel:DWORD
	s_andn2_b64 s[0:1], s[0:1], exec
	s_and_b64 s[12:13], s[12:13], exec
	v_mov_b32_e32 v55, 0
	s_or_b64 s[0:1], s[0:1], s[12:13]
	s_or_b64 exec, exec, s[8:9]
	s_and_saveexec_b64 s[8:9], s[0:1]
	s_cbranch_execnz .LBB311_856
	s_branch .LBB311_857
.LBB311_1263:                           ;   in Loop: Header=BB311_811 Depth=1
	v_cmp_eq_u16_e64 s[0:1], s15, v28
	s_mov_b64 s[8:9], -1
                                        ; implicit-def: $sgpr26
	s_and_saveexec_b64 s[20:21], s[0:1]
; %bb.1264:                             ;   in Loop: Header=BB311_811 Depth=1
	s_mov_b32 s26, 0x7fc02000
	s_xor_b64 s[8:9], exec, -1
; %bb.1265:                             ;   in Loop: Header=BB311_811 Depth=1
	s_or_b64 exec, exec, s[20:21]
	s_and_b64 s[8:9], s[8:9], exec
	s_or_saveexec_b64 s[12:13], s[12:13]
	v_mov_b32_e32 v41, s26
	s_xor_b64 exec, exec, s[12:13]
	s_cbranch_execz .LBB311_859
.LBB311_1266:                           ;   in Loop: Header=BB311_811 Depth=1
	v_cmp_ne_u16_e64 s[0:1], 0, v28
	s_andn2_b64 s[8:9], s[8:9], exec
	s_and_b64 s[0:1], s[0:1], exec
	v_mov_b32_e32 v41, 0
	s_or_b64 s[8:9], s[8:9], s[0:1]
	s_or_b64 exec, exec, s[12:13]
	s_and_saveexec_b64 s[12:13], s[8:9]
	s_cbranch_execnz .LBB311_860
	s_branch .LBB311_861
.LBB311_1267:                           ;   in Loop: Header=BB311_811 Depth=1
	v_cmp_eq_u16_sdwa s[26:27], v53, s15 src0_sel:BYTE_0 src1_sel:DWORD
	s_mov_b64 s[0:1], -1
                                        ; implicit-def: $sgpr20
	s_and_saveexec_b64 s[12:13], s[26:27]
; %bb.1268:                             ;   in Loop: Header=BB311_811 Depth=1
	s_mov_b32 s20, 0x7fc02000
	s_xor_b64 s[0:1], exec, -1
; %bb.1269:                             ;   in Loop: Header=BB311_811 Depth=1
	s_or_b64 exec, exec, s[12:13]
	s_and_b64 s[0:1], s[0:1], exec
	s_or_saveexec_b64 s[8:9], s[8:9]
	v_mov_b32_e32 v6, s20
	s_xor_b64 exec, exec, s[8:9]
	s_cbranch_execz .LBB311_863
.LBB311_1270:                           ;   in Loop: Header=BB311_811 Depth=1
	v_cmp_ne_u16_sdwa s[12:13], v53, v29 src0_sel:BYTE_0 src1_sel:DWORD
	s_andn2_b64 s[0:1], s[0:1], exec
	s_and_b64 s[12:13], s[12:13], exec
	v_mov_b32_e32 v6, 0
	s_or_b64 s[0:1], s[0:1], s[12:13]
	s_or_b64 exec, exec, s[8:9]
	v_mov_b32_e32 v28, v53
	s_and_saveexec_b64 s[8:9], s[0:1]
	s_cbranch_execnz .LBB311_864
	s_branch .LBB311_865
.LBB311_1271:                           ;   in Loop: Header=BB311_811 Depth=1
	v_cmp_eq_u16_e64 s[0:1], s15, v28
	s_mov_b64 s[8:9], -1
                                        ; implicit-def: $sgpr26
	s_and_saveexec_b64 s[20:21], s[0:1]
; %bb.1272:                             ;   in Loop: Header=BB311_811 Depth=1
	s_mov_b32 s26, 0x7fc02000
	s_xor_b64 s[8:9], exec, -1
; %bb.1273:                             ;   in Loop: Header=BB311_811 Depth=1
	s_or_b64 exec, exec, s[20:21]
	s_and_b64 s[8:9], s[8:9], exec
	s_or_saveexec_b64 s[12:13], s[12:13]
	v_mov_b32_e32 v10, s26
	s_xor_b64 exec, exec, s[12:13]
	s_cbranch_execz .LBB311_867
.LBB311_1274:                           ;   in Loop: Header=BB311_811 Depth=1
	v_cmp_ne_u16_e64 s[0:1], 0, v28
	s_andn2_b64 s[8:9], s[8:9], exec
	s_and_b64 s[0:1], s[0:1], exec
	v_mov_b32_e32 v10, 0
	s_or_b64 s[8:9], s[8:9], s[0:1]
	s_or_b64 exec, exec, s[12:13]
	s_and_saveexec_b64 s[12:13], s[8:9]
	s_cbranch_execnz .LBB311_868
	s_branch .LBB311_869
.LBB311_1275:                           ;   in Loop: Header=BB311_811 Depth=1
	v_cmp_eq_u16_sdwa s[26:27], v28, s15 src0_sel:BYTE_0 src1_sel:DWORD
	s_mov_b64 s[0:1], -1
                                        ; implicit-def: $sgpr20
	s_and_saveexec_b64 s[12:13], s[26:27]
; %bb.1276:                             ;   in Loop: Header=BB311_811 Depth=1
	s_mov_b32 s20, 0x7fc02000
	s_xor_b64 s[0:1], exec, -1
; %bb.1277:                             ;   in Loop: Header=BB311_811 Depth=1
	s_or_b64 exec, exec, s[12:13]
	s_and_b64 s[0:1], s[0:1], exec
	s_or_saveexec_b64 s[8:9], s[8:9]
	v_mov_b32_e32 v11, s20
	s_xor_b64 exec, exec, s[8:9]
	s_cbranch_execz .LBB311_871
.LBB311_1278:                           ;   in Loop: Header=BB311_811 Depth=1
	v_cmp_ne_u16_sdwa s[12:13], v28, v29 src0_sel:BYTE_0 src1_sel:DWORD
	s_andn2_b64 s[0:1], s[0:1], exec
	s_and_b64 s[12:13], s[12:13], exec
	v_mov_b32_e32 v11, 0
	s_or_b64 s[0:1], s[0:1], s[12:13]
	s_or_b64 exec, exec, s[8:9]
	s_and_saveexec_b64 s[8:9], s[0:1]
	s_cbranch_execnz .LBB311_872
	s_branch .LBB311_873
.LBB311_1279:                           ;   in Loop: Header=BB311_811 Depth=1
	v_cmp_eq_u16_e64 s[0:1], s15, v28
	s_mov_b64 s[8:9], -1
                                        ; implicit-def: $sgpr26
	s_and_saveexec_b64 s[20:21], s[0:1]
; %bb.1280:                             ;   in Loop: Header=BB311_811 Depth=1
	s_mov_b32 s26, 0x7fc02000
	s_xor_b64 s[8:9], exec, -1
; %bb.1281:                             ;   in Loop: Header=BB311_811 Depth=1
	s_or_b64 exec, exec, s[20:21]
	s_and_b64 s[8:9], s[8:9], exec
	s_or_saveexec_b64 s[12:13], s[12:13]
	v_mov_b32_e32 v21, s26
	s_xor_b64 exec, exec, s[12:13]
	s_cbranch_execz .LBB311_875
.LBB311_1282:                           ;   in Loop: Header=BB311_811 Depth=1
	v_cmp_ne_u16_e64 s[0:1], 0, v28
	s_andn2_b64 s[8:9], s[8:9], exec
	s_and_b64 s[0:1], s[0:1], exec
	v_mov_b32_e32 v21, 0
	s_or_b64 s[8:9], s[8:9], s[0:1]
	s_or_b64 exec, exec, s[12:13]
	s_and_saveexec_b64 s[12:13], s[8:9]
	s_cbranch_execnz .LBB311_876
	s_branch .LBB311_877
.LBB311_1283:                           ;   in Loop: Header=BB311_811 Depth=1
	v_cmp_eq_u16_sdwa s[26:27], v52, s15 src0_sel:BYTE_0 src1_sel:DWORD
	s_mov_b64 s[0:1], -1
                                        ; implicit-def: $sgpr20
	s_and_saveexec_b64 s[12:13], s[26:27]
; %bb.1284:                             ;   in Loop: Header=BB311_811 Depth=1
	s_mov_b32 s20, 0x7fc02000
	s_xor_b64 s[0:1], exec, -1
; %bb.1285:                             ;   in Loop: Header=BB311_811 Depth=1
	s_or_b64 exec, exec, s[12:13]
	s_and_b64 s[0:1], s[0:1], exec
	s_or_saveexec_b64 s[8:9], s[8:9]
	v_mov_b32_e32 v54, s20
	s_xor_b64 exec, exec, s[8:9]
	s_cbranch_execz .LBB311_881
.LBB311_1286:                           ;   in Loop: Header=BB311_811 Depth=1
	v_cmp_ne_u16_sdwa s[12:13], v52, v29 src0_sel:BYTE_0 src1_sel:DWORD
	s_andn2_b64 s[0:1], s[0:1], exec
	s_and_b64 s[12:13], s[12:13], exec
	v_mov_b32_e32 v54, 0
	s_or_b64 s[0:1], s[0:1], s[12:13]
	s_or_b64 exec, exec, s[8:9]
	s_and_saveexec_b64 s[8:9], s[0:1]
	s_cbranch_execnz .LBB311_882
	s_branch .LBB311_883
.LBB311_1287:                           ;   in Loop: Header=BB311_811 Depth=1
	v_cmp_eq_u16_e64 s[0:1], s15, v28
	s_mov_b64 s[8:9], -1
                                        ; implicit-def: $sgpr26
	s_and_saveexec_b64 s[20:21], s[0:1]
; %bb.1288:                             ;   in Loop: Header=BB311_811 Depth=1
	s_mov_b32 s26, 0x7fc02000
	s_xor_b64 s[8:9], exec, -1
; %bb.1289:                             ;   in Loop: Header=BB311_811 Depth=1
	s_or_b64 exec, exec, s[20:21]
	s_and_b64 s[8:9], s[8:9], exec
	s_or_saveexec_b64 s[12:13], s[12:13]
	v_mov_b32_e32 v40, s26
	s_xor_b64 exec, exec, s[12:13]
	s_cbranch_execz .LBB311_885
.LBB311_1290:                           ;   in Loop: Header=BB311_811 Depth=1
	v_cmp_ne_u16_e64 s[0:1], 0, v28
	s_andn2_b64 s[8:9], s[8:9], exec
	s_and_b64 s[0:1], s[0:1], exec
	v_mov_b32_e32 v40, 0
	s_or_b64 s[8:9], s[8:9], s[0:1]
	s_or_b64 exec, exec, s[12:13]
	s_and_saveexec_b64 s[12:13], s[8:9]
	s_cbranch_execnz .LBB311_886
	s_branch .LBB311_887
.LBB311_1291:                           ;   in Loop: Header=BB311_811 Depth=1
	v_cmp_eq_u16_sdwa s[26:27], v28, s15 src0_sel:BYTE_0 src1_sel:DWORD
	s_mov_b64 s[0:1], -1
                                        ; implicit-def: $sgpr20
	s_and_saveexec_b64 s[12:13], s[26:27]
; %bb.1292:                             ;   in Loop: Header=BB311_811 Depth=1
	s_mov_b32 s20, 0x7fc02000
	s_xor_b64 s[0:1], exec, -1
; %bb.1293:                             ;   in Loop: Header=BB311_811 Depth=1
	s_or_b64 exec, exec, s[12:13]
	s_and_b64 s[0:1], s[0:1], exec
	s_or_saveexec_b64 s[8:9], s[8:9]
	v_mov_b32_e32 v55, s20
	s_xor_b64 exec, exec, s[8:9]
	s_cbranch_execz .LBB311_889
.LBB311_1294:                           ;   in Loop: Header=BB311_811 Depth=1
	v_cmp_ne_u16_sdwa s[12:13], v28, v29 src0_sel:BYTE_0 src1_sel:DWORD
	s_andn2_b64 s[0:1], s[0:1], exec
	s_and_b64 s[12:13], s[12:13], exec
	v_mov_b32_e32 v55, 0
	s_or_b64 s[0:1], s[0:1], s[12:13]
	s_or_b64 exec, exec, s[8:9]
	s_and_saveexec_b64 s[8:9], s[0:1]
	s_cbranch_execnz .LBB311_890
	s_branch .LBB311_891
.LBB311_1295:                           ;   in Loop: Header=BB311_811 Depth=1
	v_cmp_eq_u16_e64 s[0:1], s15, v28
	s_mov_b64 s[8:9], -1
                                        ; implicit-def: $sgpr26
	s_and_saveexec_b64 s[20:21], s[0:1]
; %bb.1296:                             ;   in Loop: Header=BB311_811 Depth=1
	s_mov_b32 s26, 0x7fc02000
	s_xor_b64 s[8:9], exec, -1
; %bb.1297:                             ;   in Loop: Header=BB311_811 Depth=1
	s_or_b64 exec, exec, s[20:21]
	s_and_b64 s[8:9], s[8:9], exec
	s_or_saveexec_b64 s[12:13], s[12:13]
	v_mov_b32_e32 v41, s26
	s_xor_b64 exec, exec, s[12:13]
	s_cbranch_execz .LBB311_893
.LBB311_1298:                           ;   in Loop: Header=BB311_811 Depth=1
	v_cmp_ne_u16_e64 s[0:1], 0, v28
	s_andn2_b64 s[8:9], s[8:9], exec
	s_and_b64 s[0:1], s[0:1], exec
	v_mov_b32_e32 v41, 0
	s_or_b64 s[8:9], s[8:9], s[0:1]
	s_or_b64 exec, exec, s[12:13]
	s_and_saveexec_b64 s[12:13], s[8:9]
	s_cbranch_execnz .LBB311_894
	s_branch .LBB311_895
.LBB311_1299:                           ;   in Loop: Header=BB311_811 Depth=1
	v_cmp_eq_u16_sdwa s[26:27], v53, s15 src0_sel:BYTE_0 src1_sel:DWORD
	s_mov_b64 s[0:1], -1
                                        ; implicit-def: $sgpr20
	s_and_saveexec_b64 s[12:13], s[26:27]
; %bb.1300:                             ;   in Loop: Header=BB311_811 Depth=1
	s_mov_b32 s20, 0x7fc02000
	s_xor_b64 s[0:1], exec, -1
; %bb.1301:                             ;   in Loop: Header=BB311_811 Depth=1
	s_or_b64 exec, exec, s[12:13]
	s_and_b64 s[0:1], s[0:1], exec
	s_or_saveexec_b64 s[8:9], s[8:9]
	v_mov_b32_e32 v6, s20
	s_xor_b64 exec, exec, s[8:9]
	s_cbranch_execz .LBB311_897
.LBB311_1302:                           ;   in Loop: Header=BB311_811 Depth=1
	v_cmp_ne_u16_sdwa s[12:13], v53, v29 src0_sel:BYTE_0 src1_sel:DWORD
	s_andn2_b64 s[0:1], s[0:1], exec
	s_and_b64 s[12:13], s[12:13], exec
	v_mov_b32_e32 v6, 0
	s_or_b64 s[0:1], s[0:1], s[12:13]
	s_or_b64 exec, exec, s[8:9]
	v_mov_b32_e32 v28, v53
	s_and_saveexec_b64 s[8:9], s[0:1]
	s_cbranch_execnz .LBB311_898
	s_branch .LBB311_899
.LBB311_1303:                           ;   in Loop: Header=BB311_811 Depth=1
	v_cmp_eq_u16_e64 s[0:1], s15, v28
	s_mov_b64 s[8:9], -1
                                        ; implicit-def: $sgpr26
	s_and_saveexec_b64 s[20:21], s[0:1]
; %bb.1304:                             ;   in Loop: Header=BB311_811 Depth=1
	s_mov_b32 s26, 0x7fc02000
	s_xor_b64 s[8:9], exec, -1
; %bb.1305:                             ;   in Loop: Header=BB311_811 Depth=1
	s_or_b64 exec, exec, s[20:21]
	s_and_b64 s[8:9], s[8:9], exec
	s_or_saveexec_b64 s[12:13], s[12:13]
	v_mov_b32_e32 v11, s26
	s_xor_b64 exec, exec, s[12:13]
	s_cbranch_execz .LBB311_901
.LBB311_1306:                           ;   in Loop: Header=BB311_811 Depth=1
	v_cmp_ne_u16_e64 s[0:1], 0, v28
	s_andn2_b64 s[8:9], s[8:9], exec
	s_and_b64 s[0:1], s[0:1], exec
	v_mov_b32_e32 v11, 0
	s_or_b64 s[8:9], s[8:9], s[0:1]
	s_or_b64 exec, exec, s[12:13]
	s_and_saveexec_b64 s[12:13], s[8:9]
	s_cbranch_execnz .LBB311_902
	s_branch .LBB311_903
.LBB311_1307:                           ;   in Loop: Header=BB311_811 Depth=1
	v_cmp_eq_u16_sdwa s[26:27], v28, s15 src0_sel:BYTE_0 src1_sel:DWORD
	s_mov_b64 s[0:1], -1
                                        ; implicit-def: $sgpr20
	s_and_saveexec_b64 s[12:13], s[26:27]
; %bb.1308:                             ;   in Loop: Header=BB311_811 Depth=1
	s_mov_b32 s20, 0x7fc02000
	s_xor_b64 s[0:1], exec, -1
; %bb.1309:                             ;   in Loop: Header=BB311_811 Depth=1
	s_or_b64 exec, exec, s[12:13]
	s_and_b64 s[0:1], s[0:1], exec
	s_or_saveexec_b64 s[8:9], s[8:9]
	v_mov_b32_e32 v16, s20
	s_xor_b64 exec, exec, s[8:9]
	s_cbranch_execz .LBB311_905
.LBB311_1310:                           ;   in Loop: Header=BB311_811 Depth=1
	v_cmp_ne_u16_sdwa s[12:13], v28, v29 src0_sel:BYTE_0 src1_sel:DWORD
	s_andn2_b64 s[0:1], s[0:1], exec
	s_and_b64 s[12:13], s[12:13], exec
	v_mov_b32_e32 v16, 0
	s_or_b64 s[0:1], s[0:1], s[12:13]
	s_or_b64 exec, exec, s[8:9]
	s_and_saveexec_b64 s[8:9], s[0:1]
	s_cbranch_execnz .LBB311_906
	s_branch .LBB311_907
.LBB311_1311:                           ;   in Loop: Header=BB311_811 Depth=1
	v_cmp_eq_u16_e64 s[0:1], s15, v28
	s_mov_b64 s[8:9], -1
                                        ; implicit-def: $sgpr26
	s_and_saveexec_b64 s[20:21], s[0:1]
; %bb.1312:                             ;   in Loop: Header=BB311_811 Depth=1
	s_mov_b32 s26, 0x7fc02000
	s_xor_b64 s[8:9], exec, -1
; %bb.1313:                             ;   in Loop: Header=BB311_811 Depth=1
	s_or_b64 exec, exec, s[20:21]
	s_and_b64 s[8:9], s[8:9], exec
	s_or_saveexec_b64 s[12:13], s[12:13]
	v_mov_b32_e32 v22, s26
	s_xor_b64 exec, exec, s[12:13]
	s_cbranch_execz .LBB311_909
.LBB311_1314:                           ;   in Loop: Header=BB311_811 Depth=1
	v_cmp_ne_u16_e64 s[0:1], 0, v28
	s_andn2_b64 s[8:9], s[8:9], exec
	s_and_b64 s[0:1], s[0:1], exec
	v_mov_b32_e32 v22, 0
	s_or_b64 s[8:9], s[8:9], s[0:1]
	s_or_b64 exec, exec, s[12:13]
	s_and_saveexec_b64 s[12:13], s[8:9]
	s_cbranch_execnz .LBB311_910
	s_branch .LBB311_911
.LBB311_1315:                           ;   in Loop: Header=BB311_811 Depth=1
	v_cmp_eq_u16_sdwa s[26:27], v52, s15 src0_sel:BYTE_0 src1_sel:DWORD
	s_mov_b64 s[0:1], -1
                                        ; implicit-def: $sgpr20
	s_and_saveexec_b64 s[12:13], s[26:27]
; %bb.1316:                             ;   in Loop: Header=BB311_811 Depth=1
	s_mov_b32 s20, 0x7fc02000
	s_xor_b64 s[0:1], exec, -1
; %bb.1317:                             ;   in Loop: Header=BB311_811 Depth=1
	s_or_b64 exec, exec, s[12:13]
	s_and_b64 s[0:1], s[0:1], exec
	s_or_saveexec_b64 s[8:9], s[8:9]
	v_mov_b32_e32 v54, s20
	s_xor_b64 exec, exec, s[8:9]
	s_cbranch_execz .LBB311_915
.LBB311_1318:                           ;   in Loop: Header=BB311_811 Depth=1
	v_cmp_ne_u16_sdwa s[12:13], v52, v29 src0_sel:BYTE_0 src1_sel:DWORD
	s_andn2_b64 s[0:1], s[0:1], exec
	s_and_b64 s[12:13], s[12:13], exec
	v_mov_b32_e32 v54, 0
	s_or_b64 s[0:1], s[0:1], s[12:13]
	s_or_b64 exec, exec, s[8:9]
	s_and_saveexec_b64 s[8:9], s[0:1]
	s_cbranch_execnz .LBB311_916
	s_branch .LBB311_917
.LBB311_1319:                           ;   in Loop: Header=BB311_811 Depth=1
	v_cmp_eq_u16_e64 s[0:1], s15, v28
	s_mov_b64 s[8:9], -1
                                        ; implicit-def: $sgpr26
	s_and_saveexec_b64 s[20:21], s[0:1]
; %bb.1320:                             ;   in Loop: Header=BB311_811 Depth=1
	s_mov_b32 s26, 0x7fc02000
	s_xor_b64 s[8:9], exec, -1
; %bb.1321:                             ;   in Loop: Header=BB311_811 Depth=1
	s_or_b64 exec, exec, s[20:21]
	s_and_b64 s[8:9], s[8:9], exec
	s_or_saveexec_b64 s[12:13], s[12:13]
	v_mov_b32_e32 v40, s26
	s_xor_b64 exec, exec, s[12:13]
	s_cbranch_execz .LBB311_919
.LBB311_1322:                           ;   in Loop: Header=BB311_811 Depth=1
	v_cmp_ne_u16_e64 s[0:1], 0, v28
	s_andn2_b64 s[8:9], s[8:9], exec
	s_and_b64 s[0:1], s[0:1], exec
	v_mov_b32_e32 v40, 0
	s_or_b64 s[8:9], s[8:9], s[0:1]
	s_or_b64 exec, exec, s[12:13]
	s_and_saveexec_b64 s[12:13], s[8:9]
	s_cbranch_execnz .LBB311_920
	s_branch .LBB311_921
.LBB311_1323:                           ;   in Loop: Header=BB311_811 Depth=1
	v_cmp_eq_u16_sdwa s[26:27], v28, s15 src0_sel:BYTE_0 src1_sel:DWORD
	s_mov_b64 s[0:1], -1
                                        ; implicit-def: $sgpr20
	s_and_saveexec_b64 s[12:13], s[26:27]
; %bb.1324:                             ;   in Loop: Header=BB311_811 Depth=1
	s_mov_b32 s20, 0x7fc02000
	s_xor_b64 s[0:1], exec, -1
; %bb.1325:                             ;   in Loop: Header=BB311_811 Depth=1
	s_or_b64 exec, exec, s[12:13]
	s_and_b64 s[0:1], s[0:1], exec
	s_or_saveexec_b64 s[8:9], s[8:9]
	v_mov_b32_e32 v55, s20
	s_xor_b64 exec, exec, s[8:9]
	s_cbranch_execz .LBB311_923
.LBB311_1326:                           ;   in Loop: Header=BB311_811 Depth=1
	v_cmp_ne_u16_sdwa s[12:13], v28, v29 src0_sel:BYTE_0 src1_sel:DWORD
	s_andn2_b64 s[0:1], s[0:1], exec
	s_and_b64 s[12:13], s[12:13], exec
	v_mov_b32_e32 v55, 0
	s_or_b64 s[0:1], s[0:1], s[12:13]
	s_or_b64 exec, exec, s[8:9]
	s_and_saveexec_b64 s[8:9], s[0:1]
	s_cbranch_execnz .LBB311_924
	s_branch .LBB311_925
.LBB311_1327:                           ;   in Loop: Header=BB311_811 Depth=1
	v_cmp_eq_u16_e64 s[0:1], s15, v28
	s_mov_b64 s[8:9], -1
                                        ; implicit-def: $sgpr26
	s_and_saveexec_b64 s[20:21], s[0:1]
; %bb.1328:                             ;   in Loop: Header=BB311_811 Depth=1
	s_mov_b32 s26, 0x7fc02000
	s_xor_b64 s[8:9], exec, -1
; %bb.1329:                             ;   in Loop: Header=BB311_811 Depth=1
	s_or_b64 exec, exec, s[20:21]
	s_and_b64 s[8:9], s[8:9], exec
	s_or_saveexec_b64 s[12:13], s[12:13]
	v_mov_b32_e32 v41, s26
	s_xor_b64 exec, exec, s[12:13]
	s_cbranch_execz .LBB311_927
.LBB311_1330:                           ;   in Loop: Header=BB311_811 Depth=1
	v_cmp_ne_u16_e64 s[0:1], 0, v28
	s_andn2_b64 s[8:9], s[8:9], exec
	s_and_b64 s[0:1], s[0:1], exec
	v_mov_b32_e32 v41, 0
	s_or_b64 s[8:9], s[8:9], s[0:1]
	s_or_b64 exec, exec, s[12:13]
	s_and_saveexec_b64 s[12:13], s[8:9]
	s_cbranch_execnz .LBB311_928
	s_branch .LBB311_929
.LBB311_1331:                           ;   in Loop: Header=BB311_811 Depth=1
	v_cmp_eq_u16_sdwa s[26:27], v53, s15 src0_sel:BYTE_0 src1_sel:DWORD
	s_mov_b64 s[0:1], -1
                                        ; implicit-def: $sgpr20
	s_and_saveexec_b64 s[12:13], s[26:27]
; %bb.1332:                             ;   in Loop: Header=BB311_811 Depth=1
	s_mov_b32 s20, 0x7fc02000
	s_xor_b64 s[0:1], exec, -1
; %bb.1333:                             ;   in Loop: Header=BB311_811 Depth=1
	s_or_b64 exec, exec, s[12:13]
	s_and_b64 s[0:1], s[0:1], exec
	s_or_saveexec_b64 s[8:9], s[8:9]
	v_mov_b32_e32 v6, s20
	s_xor_b64 exec, exec, s[8:9]
	s_cbranch_execz .LBB311_931
.LBB311_1334:                           ;   in Loop: Header=BB311_811 Depth=1
	v_cmp_ne_u16_sdwa s[12:13], v53, v29 src0_sel:BYTE_0 src1_sel:DWORD
	s_andn2_b64 s[0:1], s[0:1], exec
	s_and_b64 s[12:13], s[12:13], exec
	v_mov_b32_e32 v6, 0
	s_or_b64 s[0:1], s[0:1], s[12:13]
	s_or_b64 exec, exec, s[8:9]
	v_mov_b32_e32 v28, v53
	s_and_saveexec_b64 s[8:9], s[0:1]
	s_cbranch_execnz .LBB311_932
	s_branch .LBB311_933
.LBB311_1335:                           ;   in Loop: Header=BB311_811 Depth=1
	v_cmp_eq_u16_e64 s[0:1], s15, v28
	s_mov_b64 s[8:9], -1
                                        ; implicit-def: $sgpr26
	s_and_saveexec_b64 s[20:21], s[0:1]
; %bb.1336:                             ;   in Loop: Header=BB311_811 Depth=1
	s_mov_b32 s26, 0x7fc02000
	s_xor_b64 s[8:9], exec, -1
; %bb.1337:                             ;   in Loop: Header=BB311_811 Depth=1
	s_or_b64 exec, exec, s[20:21]
	s_and_b64 s[8:9], s[8:9], exec
	s_or_saveexec_b64 s[12:13], s[12:13]
	v_mov_b32_e32 v16, s26
	s_xor_b64 exec, exec, s[12:13]
	s_cbranch_execz .LBB311_935
.LBB311_1338:                           ;   in Loop: Header=BB311_811 Depth=1
	v_cmp_ne_u16_e64 s[0:1], 0, v28
	s_andn2_b64 s[8:9], s[8:9], exec
	s_and_b64 s[0:1], s[0:1], exec
	v_mov_b32_e32 v16, 0
	s_or_b64 s[8:9], s[8:9], s[0:1]
	s_or_b64 exec, exec, s[12:13]
	s_and_saveexec_b64 s[12:13], s[8:9]
	s_cbranch_execnz .LBB311_936
	s_branch .LBB311_937
.LBB311_1339:                           ;   in Loop: Header=BB311_811 Depth=1
	v_cmp_eq_u16_sdwa s[26:27], v28, s15 src0_sel:BYTE_0 src1_sel:DWORD
	s_mov_b64 s[0:1], -1
                                        ; implicit-def: $sgpr20
	s_and_saveexec_b64 s[12:13], s[26:27]
; %bb.1340:                             ;   in Loop: Header=BB311_811 Depth=1
	s_mov_b32 s20, 0x7fc02000
	s_xor_b64 s[0:1], exec, -1
; %bb.1341:                             ;   in Loop: Header=BB311_811 Depth=1
	s_or_b64 exec, exec, s[12:13]
	s_and_b64 s[0:1], s[0:1], exec
	s_or_saveexec_b64 s[8:9], s[8:9]
	v_mov_b32_e32 v20, s20
	s_xor_b64 exec, exec, s[8:9]
	s_cbranch_execz .LBB311_939
.LBB311_1342:                           ;   in Loop: Header=BB311_811 Depth=1
	v_cmp_ne_u16_sdwa s[12:13], v28, v29 src0_sel:BYTE_0 src1_sel:DWORD
	s_andn2_b64 s[0:1], s[0:1], exec
	s_and_b64 s[12:13], s[12:13], exec
	v_mov_b32_e32 v20, 0
	s_or_b64 s[0:1], s[0:1], s[12:13]
	s_or_b64 exec, exec, s[8:9]
	s_and_saveexec_b64 s[8:9], s[0:1]
	s_cbranch_execnz .LBB311_940
	s_branch .LBB311_941
.LBB311_1343:                           ;   in Loop: Header=BB311_811 Depth=1
	v_cmp_eq_u16_e64 s[0:1], s15, v28
	s_mov_b64 s[8:9], -1
                                        ; implicit-def: $sgpr26
	s_and_saveexec_b64 s[20:21], s[0:1]
; %bb.1344:                             ;   in Loop: Header=BB311_811 Depth=1
	s_mov_b32 s26, 0x7fc02000
	s_xor_b64 s[8:9], exec, -1
; %bb.1345:                             ;   in Loop: Header=BB311_811 Depth=1
	s_or_b64 exec, exec, s[20:21]
	s_and_b64 s[8:9], s[8:9], exec
	s_or_saveexec_b64 s[12:13], s[12:13]
	v_mov_b32_e32 v26, s26
	s_xor_b64 exec, exec, s[12:13]
	s_cbranch_execz .LBB311_943
.LBB311_1346:                           ;   in Loop: Header=BB311_811 Depth=1
	v_cmp_ne_u16_e64 s[0:1], 0, v28
	s_andn2_b64 s[8:9], s[8:9], exec
	s_and_b64 s[0:1], s[0:1], exec
	v_mov_b32_e32 v26, 0
	s_or_b64 s[8:9], s[8:9], s[0:1]
	s_or_b64 exec, exec, s[12:13]
	s_and_saveexec_b64 s[12:13], s[8:9]
	s_cbranch_execnz .LBB311_944
	s_branch .LBB311_945
.LBB311_1347:                           ;   in Loop: Header=BB311_811 Depth=1
	v_cmp_eq_u16_sdwa s[26:27], v52, s15 src0_sel:BYTE_0 src1_sel:DWORD
	s_mov_b64 s[0:1], -1
                                        ; implicit-def: $sgpr20
	s_and_saveexec_b64 s[12:13], s[26:27]
; %bb.1348:                             ;   in Loop: Header=BB311_811 Depth=1
	s_mov_b32 s20, 0x7fc02000
	s_xor_b64 s[0:1], exec, -1
; %bb.1349:                             ;   in Loop: Header=BB311_811 Depth=1
	s_or_b64 exec, exec, s[12:13]
	s_and_b64 s[0:1], s[0:1], exec
	s_or_saveexec_b64 s[8:9], s[8:9]
	v_mov_b32_e32 v54, s20
	s_xor_b64 exec, exec, s[8:9]
	s_cbranch_execz .LBB311_949
.LBB311_1350:                           ;   in Loop: Header=BB311_811 Depth=1
	v_cmp_ne_u16_sdwa s[12:13], v52, v29 src0_sel:BYTE_0 src1_sel:DWORD
	s_andn2_b64 s[0:1], s[0:1], exec
	s_and_b64 s[12:13], s[12:13], exec
	v_mov_b32_e32 v54, 0
	s_or_b64 s[0:1], s[0:1], s[12:13]
	s_or_b64 exec, exec, s[8:9]
	s_and_saveexec_b64 s[8:9], s[0:1]
	s_cbranch_execnz .LBB311_950
	s_branch .LBB311_951
.LBB311_1351:                           ;   in Loop: Header=BB311_811 Depth=1
	v_cmp_eq_u16_e64 s[0:1], s15, v28
	s_mov_b64 s[8:9], -1
                                        ; implicit-def: $sgpr26
	s_and_saveexec_b64 s[20:21], s[0:1]
; %bb.1352:                             ;   in Loop: Header=BB311_811 Depth=1
	s_mov_b32 s26, 0x7fc02000
	s_xor_b64 s[8:9], exec, -1
; %bb.1353:                             ;   in Loop: Header=BB311_811 Depth=1
	s_or_b64 exec, exec, s[20:21]
	s_and_b64 s[8:9], s[8:9], exec
	s_or_saveexec_b64 s[12:13], s[12:13]
	v_mov_b32_e32 v40, s26
	s_xor_b64 exec, exec, s[12:13]
	s_cbranch_execz .LBB311_953
.LBB311_1354:                           ;   in Loop: Header=BB311_811 Depth=1
	v_cmp_ne_u16_e64 s[0:1], 0, v28
	s_andn2_b64 s[8:9], s[8:9], exec
	s_and_b64 s[0:1], s[0:1], exec
	v_mov_b32_e32 v40, 0
	s_or_b64 s[8:9], s[8:9], s[0:1]
	s_or_b64 exec, exec, s[12:13]
	s_and_saveexec_b64 s[12:13], s[8:9]
	s_cbranch_execnz .LBB311_954
	s_branch .LBB311_955
.LBB311_1355:                           ;   in Loop: Header=BB311_811 Depth=1
	v_cmp_eq_u16_sdwa s[26:27], v28, s15 src0_sel:BYTE_0 src1_sel:DWORD
	s_mov_b64 s[0:1], -1
                                        ; implicit-def: $sgpr20
	s_and_saveexec_b64 s[12:13], s[26:27]
; %bb.1356:                             ;   in Loop: Header=BB311_811 Depth=1
	s_mov_b32 s20, 0x7fc02000
	s_xor_b64 s[0:1], exec, -1
; %bb.1357:                             ;   in Loop: Header=BB311_811 Depth=1
	s_or_b64 exec, exec, s[12:13]
	s_and_b64 s[0:1], s[0:1], exec
	s_or_saveexec_b64 s[8:9], s[8:9]
	v_mov_b32_e32 v55, s20
	s_xor_b64 exec, exec, s[8:9]
	s_cbranch_execz .LBB311_957
.LBB311_1358:                           ;   in Loop: Header=BB311_811 Depth=1
	v_cmp_ne_u16_sdwa s[12:13], v28, v29 src0_sel:BYTE_0 src1_sel:DWORD
	s_andn2_b64 s[0:1], s[0:1], exec
	s_and_b64 s[12:13], s[12:13], exec
	v_mov_b32_e32 v55, 0
	s_or_b64 s[0:1], s[0:1], s[12:13]
	s_or_b64 exec, exec, s[8:9]
	s_and_saveexec_b64 s[8:9], s[0:1]
	s_cbranch_execnz .LBB311_958
	s_branch .LBB311_959
.LBB311_1359:                           ;   in Loop: Header=BB311_811 Depth=1
	v_cmp_eq_u16_e64 s[0:1], s15, v28
	s_mov_b64 s[8:9], -1
                                        ; implicit-def: $sgpr26
	s_and_saveexec_b64 s[20:21], s[0:1]
; %bb.1360:                             ;   in Loop: Header=BB311_811 Depth=1
	s_mov_b32 s26, 0x7fc02000
	s_xor_b64 s[8:9], exec, -1
; %bb.1361:                             ;   in Loop: Header=BB311_811 Depth=1
	s_or_b64 exec, exec, s[20:21]
	s_and_b64 s[8:9], s[8:9], exec
	s_or_saveexec_b64 s[12:13], s[12:13]
	v_mov_b32_e32 v41, s26
	s_xor_b64 exec, exec, s[12:13]
	s_cbranch_execz .LBB311_961
.LBB311_1362:                           ;   in Loop: Header=BB311_811 Depth=1
	v_cmp_ne_u16_e64 s[0:1], 0, v28
	s_andn2_b64 s[8:9], s[8:9], exec
	s_and_b64 s[0:1], s[0:1], exec
	v_mov_b32_e32 v41, 0
	s_or_b64 s[8:9], s[8:9], s[0:1]
	s_or_b64 exec, exec, s[12:13]
	s_and_saveexec_b64 s[12:13], s[8:9]
	s_cbranch_execnz .LBB311_962
	s_branch .LBB311_963
.LBB311_1363:                           ;   in Loop: Header=BB311_811 Depth=1
	v_cmp_eq_u16_sdwa s[26:27], v53, s15 src0_sel:BYTE_0 src1_sel:DWORD
	s_mov_b64 s[0:1], -1
                                        ; implicit-def: $sgpr20
	s_and_saveexec_b64 s[12:13], s[26:27]
; %bb.1364:                             ;   in Loop: Header=BB311_811 Depth=1
	s_mov_b32 s20, 0x7fc02000
	s_xor_b64 s[0:1], exec, -1
; %bb.1365:                             ;   in Loop: Header=BB311_811 Depth=1
	s_or_b64 exec, exec, s[12:13]
	s_and_b64 s[0:1], s[0:1], exec
	s_or_saveexec_b64 s[8:9], s[8:9]
	v_mov_b32_e32 v6, s20
	s_xor_b64 exec, exec, s[8:9]
	s_cbranch_execz .LBB311_965
.LBB311_1366:                           ;   in Loop: Header=BB311_811 Depth=1
	v_cmp_ne_u16_sdwa s[12:13], v53, v29 src0_sel:BYTE_0 src1_sel:DWORD
	s_andn2_b64 s[0:1], s[0:1], exec
	s_and_b64 s[12:13], s[12:13], exec
	v_mov_b32_e32 v6, 0
	s_or_b64 s[0:1], s[0:1], s[12:13]
	s_or_b64 exec, exec, s[8:9]
	v_mov_b32_e32 v28, v53
	s_and_saveexec_b64 s[8:9], s[0:1]
	s_cbranch_execnz .LBB311_966
	s_branch .LBB311_967
.LBB311_1367:                           ;   in Loop: Header=BB311_811 Depth=1
	v_cmp_eq_u16_e64 s[0:1], s15, v28
	s_mov_b64 s[8:9], -1
                                        ; implicit-def: $sgpr26
	s_and_saveexec_b64 s[20:21], s[0:1]
; %bb.1368:                             ;   in Loop: Header=BB311_811 Depth=1
	s_mov_b32 s26, 0x7fc02000
	s_xor_b64 s[8:9], exec, -1
; %bb.1369:                             ;   in Loop: Header=BB311_811 Depth=1
	s_or_b64 exec, exec, s[20:21]
	s_and_b64 s[8:9], s[8:9], exec
	s_or_saveexec_b64 s[12:13], s[12:13]
	v_mov_b32_e32 v16, s26
	s_xor_b64 exec, exec, s[12:13]
	s_cbranch_execz .LBB311_969
.LBB311_1370:                           ;   in Loop: Header=BB311_811 Depth=1
	v_cmp_ne_u16_e64 s[0:1], 0, v28
	s_andn2_b64 s[8:9], s[8:9], exec
	s_and_b64 s[0:1], s[0:1], exec
	v_mov_b32_e32 v16, 0
	s_or_b64 s[8:9], s[8:9], s[0:1]
	s_or_b64 exec, exec, s[12:13]
	s_and_saveexec_b64 s[12:13], s[8:9]
	s_cbranch_execnz .LBB311_970
	s_branch .LBB311_971
.LBB311_1371:                           ;   in Loop: Header=BB311_811 Depth=1
	v_cmp_eq_u16_sdwa s[26:27], v28, s15 src0_sel:BYTE_0 src1_sel:DWORD
	s_mov_b64 s[0:1], -1
                                        ; implicit-def: $sgpr20
	s_and_saveexec_b64 s[12:13], s[26:27]
; %bb.1372:                             ;   in Loop: Header=BB311_811 Depth=1
	s_mov_b32 s20, 0x7fc02000
	s_xor_b64 s[0:1], exec, -1
; %bb.1373:                             ;   in Loop: Header=BB311_811 Depth=1
	s_or_b64 exec, exec, s[12:13]
	s_and_b64 s[0:1], s[0:1], exec
	s_or_saveexec_b64 s[8:9], s[8:9]
	v_mov_b32_e32 v20, s20
	s_xor_b64 exec, exec, s[8:9]
	s_cbranch_execz .LBB311_973
.LBB311_1374:                           ;   in Loop: Header=BB311_811 Depth=1
	v_cmp_ne_u16_sdwa s[12:13], v28, v29 src0_sel:BYTE_0 src1_sel:DWORD
	s_andn2_b64 s[0:1], s[0:1], exec
	s_and_b64 s[12:13], s[12:13], exec
	v_mov_b32_e32 v20, 0
	s_or_b64 s[0:1], s[0:1], s[12:13]
	s_or_b64 exec, exec, s[8:9]
	s_and_saveexec_b64 s[8:9], s[0:1]
	s_cbranch_execnz .LBB311_974
	s_branch .LBB311_975
.LBB311_1375:                           ;   in Loop: Header=BB311_811 Depth=1
	v_cmp_eq_u16_e64 s[0:1], s15, v28
	s_mov_b64 s[8:9], -1
                                        ; implicit-def: $sgpr26
	s_and_saveexec_b64 s[20:21], s[0:1]
; %bb.1376:                             ;   in Loop: Header=BB311_811 Depth=1
	s_mov_b32 s26, 0x7fc02000
	s_xor_b64 s[8:9], exec, -1
; %bb.1377:                             ;   in Loop: Header=BB311_811 Depth=1
	s_or_b64 exec, exec, s[20:21]
	s_and_b64 s[8:9], s[8:9], exec
	s_or_saveexec_b64 s[12:13], s[12:13]
	v_mov_b32_e32 v26, s26
	s_xor_b64 exec, exec, s[12:13]
	s_cbranch_execz .LBB311_977
.LBB311_1378:                           ;   in Loop: Header=BB311_811 Depth=1
	v_cmp_ne_u16_e64 s[0:1], 0, v28
	s_andn2_b64 s[8:9], s[8:9], exec
	s_and_b64 s[0:1], s[0:1], exec
	v_mov_b32_e32 v26, 0
	s_or_b64 s[8:9], s[8:9], s[0:1]
	s_or_b64 exec, exec, s[12:13]
	s_and_saveexec_b64 s[12:13], s[8:9]
	s_cbranch_execnz .LBB311_978
	s_branch .LBB311_979
.LBB311_1379:                           ;   in Loop: Header=BB311_811 Depth=1
	v_cmp_eq_u16_sdwa s[26:27], v52, s15 src0_sel:BYTE_0 src1_sel:DWORD
	s_mov_b64 s[0:1], -1
                                        ; implicit-def: $sgpr20
	s_and_saveexec_b64 s[12:13], s[26:27]
; %bb.1380:                             ;   in Loop: Header=BB311_811 Depth=1
	s_mov_b32 s20, 0x7fc02000
	s_xor_b64 s[0:1], exec, -1
; %bb.1381:                             ;   in Loop: Header=BB311_811 Depth=1
	s_or_b64 exec, exec, s[12:13]
	s_and_b64 s[0:1], s[0:1], exec
	s_or_saveexec_b64 s[8:9], s[8:9]
	v_mov_b32_e32 v54, s20
	s_xor_b64 exec, exec, s[8:9]
	s_cbranch_execz .LBB311_983
.LBB311_1382:                           ;   in Loop: Header=BB311_811 Depth=1
	v_cmp_ne_u16_sdwa s[12:13], v52, v29 src0_sel:BYTE_0 src1_sel:DWORD
	s_andn2_b64 s[0:1], s[0:1], exec
	s_and_b64 s[12:13], s[12:13], exec
	v_mov_b32_e32 v54, 0
	s_or_b64 s[0:1], s[0:1], s[12:13]
	s_or_b64 exec, exec, s[8:9]
	s_and_saveexec_b64 s[8:9], s[0:1]
	s_cbranch_execnz .LBB311_984
	s_branch .LBB311_985
.LBB311_1383:                           ;   in Loop: Header=BB311_811 Depth=1
	v_cmp_eq_u16_e64 s[0:1], s15, v28
	s_mov_b64 s[8:9], -1
                                        ; implicit-def: $sgpr26
	s_and_saveexec_b64 s[20:21], s[0:1]
; %bb.1384:                             ;   in Loop: Header=BB311_811 Depth=1
	s_mov_b32 s26, 0x7fc02000
	s_xor_b64 s[8:9], exec, -1
; %bb.1385:                             ;   in Loop: Header=BB311_811 Depth=1
	s_or_b64 exec, exec, s[20:21]
	s_and_b64 s[8:9], s[8:9], exec
	s_or_saveexec_b64 s[12:13], s[12:13]
	v_mov_b32_e32 v40, s26
	s_xor_b64 exec, exec, s[12:13]
	s_cbranch_execz .LBB311_987
.LBB311_1386:                           ;   in Loop: Header=BB311_811 Depth=1
	v_cmp_ne_u16_e64 s[0:1], 0, v28
	s_andn2_b64 s[8:9], s[8:9], exec
	s_and_b64 s[0:1], s[0:1], exec
	v_mov_b32_e32 v40, 0
	s_or_b64 s[8:9], s[8:9], s[0:1]
	s_or_b64 exec, exec, s[12:13]
	s_and_saveexec_b64 s[12:13], s[8:9]
	s_cbranch_execnz .LBB311_988
	s_branch .LBB311_989
.LBB311_1387:                           ;   in Loop: Header=BB311_811 Depth=1
	v_cmp_eq_u16_sdwa s[26:27], v28, s15 src0_sel:BYTE_0 src1_sel:DWORD
	s_mov_b64 s[0:1], -1
                                        ; implicit-def: $sgpr20
	s_and_saveexec_b64 s[12:13], s[26:27]
; %bb.1388:                             ;   in Loop: Header=BB311_811 Depth=1
	s_mov_b32 s20, 0x7fc02000
	s_xor_b64 s[0:1], exec, -1
; %bb.1389:                             ;   in Loop: Header=BB311_811 Depth=1
	s_or_b64 exec, exec, s[12:13]
	s_and_b64 s[0:1], s[0:1], exec
	s_or_saveexec_b64 s[8:9], s[8:9]
	v_mov_b32_e32 v55, s20
	s_xor_b64 exec, exec, s[8:9]
	s_cbranch_execz .LBB311_991
.LBB311_1390:                           ;   in Loop: Header=BB311_811 Depth=1
	v_cmp_ne_u16_sdwa s[12:13], v28, v29 src0_sel:BYTE_0 src1_sel:DWORD
	s_andn2_b64 s[0:1], s[0:1], exec
	s_and_b64 s[12:13], s[12:13], exec
	v_mov_b32_e32 v55, 0
	s_or_b64 s[0:1], s[0:1], s[12:13]
	s_or_b64 exec, exec, s[8:9]
	s_and_saveexec_b64 s[8:9], s[0:1]
	s_cbranch_execnz .LBB311_992
	s_branch .LBB311_993
.LBB311_1391:                           ;   in Loop: Header=BB311_811 Depth=1
	v_cmp_eq_u16_e64 s[0:1], s15, v28
	s_mov_b64 s[8:9], -1
                                        ; implicit-def: $sgpr26
	s_and_saveexec_b64 s[20:21], s[0:1]
; %bb.1392:                             ;   in Loop: Header=BB311_811 Depth=1
	s_mov_b32 s26, 0x7fc02000
	s_xor_b64 s[8:9], exec, -1
; %bb.1393:                             ;   in Loop: Header=BB311_811 Depth=1
	s_or_b64 exec, exec, s[20:21]
	s_and_b64 s[8:9], s[8:9], exec
	s_or_saveexec_b64 s[12:13], s[12:13]
	v_mov_b32_e32 v41, s26
	s_xor_b64 exec, exec, s[12:13]
	s_cbranch_execz .LBB311_995
.LBB311_1394:                           ;   in Loop: Header=BB311_811 Depth=1
	v_cmp_ne_u16_e64 s[0:1], 0, v28
	s_andn2_b64 s[8:9], s[8:9], exec
	s_and_b64 s[0:1], s[0:1], exec
	v_mov_b32_e32 v41, 0
	s_or_b64 s[8:9], s[8:9], s[0:1]
	s_or_b64 exec, exec, s[12:13]
	s_and_saveexec_b64 s[12:13], s[8:9]
	s_cbranch_execnz .LBB311_996
	s_branch .LBB311_997
.LBB311_1395:                           ;   in Loop: Header=BB311_811 Depth=1
	v_cmp_eq_u16_sdwa s[26:27], v53, s15 src0_sel:BYTE_0 src1_sel:DWORD
	s_mov_b64 s[0:1], -1
                                        ; implicit-def: $sgpr20
	s_and_saveexec_b64 s[12:13], s[26:27]
; %bb.1396:                             ;   in Loop: Header=BB311_811 Depth=1
	s_mov_b32 s20, 0x7fc02000
	s_xor_b64 s[0:1], exec, -1
; %bb.1397:                             ;   in Loop: Header=BB311_811 Depth=1
	s_or_b64 exec, exec, s[12:13]
	s_and_b64 s[0:1], s[0:1], exec
	s_or_saveexec_b64 s[8:9], s[8:9]
	v_mov_b32_e32 v6, s20
	s_xor_b64 exec, exec, s[8:9]
	s_cbranch_execz .LBB311_999
.LBB311_1398:                           ;   in Loop: Header=BB311_811 Depth=1
	v_cmp_ne_u16_sdwa s[12:13], v53, v29 src0_sel:BYTE_0 src1_sel:DWORD
	s_andn2_b64 s[0:1], s[0:1], exec
	s_and_b64 s[12:13], s[12:13], exec
	v_mov_b32_e32 v6, 0
	s_or_b64 s[0:1], s[0:1], s[12:13]
	s_or_b64 exec, exec, s[8:9]
	v_mov_b32_e32 v28, v53
	s_and_saveexec_b64 s[8:9], s[0:1]
	s_cbranch_execnz .LBB311_1000
	s_branch .LBB311_1001
.LBB311_1399:                           ;   in Loop: Header=BB311_811 Depth=1
	v_cmp_eq_u16_e64 s[0:1], s15, v28
	s_mov_b64 s[8:9], -1
                                        ; implicit-def: $sgpr26
	s_and_saveexec_b64 s[20:21], s[0:1]
; %bb.1400:                             ;   in Loop: Header=BB311_811 Depth=1
	s_mov_b32 s26, 0x7fc02000
	s_xor_b64 s[8:9], exec, -1
; %bb.1401:                             ;   in Loop: Header=BB311_811 Depth=1
	s_or_b64 exec, exec, s[20:21]
	s_and_b64 s[8:9], s[8:9], exec
	s_or_saveexec_b64 s[12:13], s[12:13]
	v_mov_b32_e32 v16, s26
	s_xor_b64 exec, exec, s[12:13]
	s_cbranch_execz .LBB311_1003
.LBB311_1402:                           ;   in Loop: Header=BB311_811 Depth=1
	v_cmp_ne_u16_e64 s[0:1], 0, v28
	s_andn2_b64 s[8:9], s[8:9], exec
	s_and_b64 s[0:1], s[0:1], exec
	v_mov_b32_e32 v16, 0
	s_or_b64 s[8:9], s[8:9], s[0:1]
	s_or_b64 exec, exec, s[12:13]
	s_and_saveexec_b64 s[12:13], s[8:9]
	s_cbranch_execnz .LBB311_1004
	s_branch .LBB311_1005
.LBB311_1403:                           ;   in Loop: Header=BB311_811 Depth=1
	v_cmp_eq_u16_sdwa s[26:27], v28, s15 src0_sel:BYTE_0 src1_sel:DWORD
	s_mov_b64 s[0:1], -1
                                        ; implicit-def: $sgpr20
	s_and_saveexec_b64 s[12:13], s[26:27]
; %bb.1404:                             ;   in Loop: Header=BB311_811 Depth=1
	s_mov_b32 s20, 0x7fc02000
	s_xor_b64 s[0:1], exec, -1
; %bb.1405:                             ;   in Loop: Header=BB311_811 Depth=1
	s_or_b64 exec, exec, s[12:13]
	s_and_b64 s[0:1], s[0:1], exec
	s_or_saveexec_b64 s[8:9], s[8:9]
	v_mov_b32_e32 v20, s20
	s_xor_b64 exec, exec, s[8:9]
	s_cbranch_execz .LBB311_1007
.LBB311_1406:                           ;   in Loop: Header=BB311_811 Depth=1
	v_cmp_ne_u16_sdwa s[12:13], v28, v29 src0_sel:BYTE_0 src1_sel:DWORD
	s_andn2_b64 s[0:1], s[0:1], exec
	s_and_b64 s[12:13], s[12:13], exec
	v_mov_b32_e32 v20, 0
	s_or_b64 s[0:1], s[0:1], s[12:13]
	s_or_b64 exec, exec, s[8:9]
	s_and_saveexec_b64 s[8:9], s[0:1]
	s_cbranch_execnz .LBB311_1008
	s_branch .LBB311_1009
.LBB311_1407:                           ;   in Loop: Header=BB311_811 Depth=1
	v_cmp_eq_u16_e64 s[0:1], s15, v28
	s_mov_b64 s[8:9], -1
                                        ; implicit-def: $sgpr26
	s_and_saveexec_b64 s[20:21], s[0:1]
; %bb.1408:                             ;   in Loop: Header=BB311_811 Depth=1
	s_mov_b32 s26, 0x7fc02000
	s_xor_b64 s[8:9], exec, -1
; %bb.1409:                             ;   in Loop: Header=BB311_811 Depth=1
	s_or_b64 exec, exec, s[20:21]
	s_and_b64 s[8:9], s[8:9], exec
	s_or_saveexec_b64 s[12:13], s[12:13]
	v_mov_b32_e32 v26, s26
	s_xor_b64 exec, exec, s[12:13]
	s_cbranch_execz .LBB311_1011
.LBB311_1410:                           ;   in Loop: Header=BB311_811 Depth=1
	v_cmp_ne_u16_e64 s[0:1], 0, v28
	s_andn2_b64 s[8:9], s[8:9], exec
	s_and_b64 s[0:1], s[0:1], exec
	v_mov_b32_e32 v26, 0
	s_or_b64 s[8:9], s[8:9], s[0:1]
	s_or_b64 exec, exec, s[12:13]
	s_and_saveexec_b64 s[12:13], s[8:9]
	s_cbranch_execnz .LBB311_1012
	s_branch .LBB311_1013
.LBB311_1411:                           ;   in Loop: Header=BB311_811 Depth=1
	v_cmp_eq_u16_sdwa s[26:27], v52, s15 src0_sel:BYTE_0 src1_sel:DWORD
	s_mov_b64 s[0:1], -1
                                        ; implicit-def: $sgpr20
	s_and_saveexec_b64 s[12:13], s[26:27]
; %bb.1412:                             ;   in Loop: Header=BB311_811 Depth=1
	s_mov_b32 s20, 0x7fc02000
	s_xor_b64 s[0:1], exec, -1
; %bb.1413:                             ;   in Loop: Header=BB311_811 Depth=1
	s_or_b64 exec, exec, s[12:13]
	s_and_b64 s[0:1], s[0:1], exec
	s_or_saveexec_b64 s[8:9], s[8:9]
	v_mov_b32_e32 v54, s20
	s_xor_b64 exec, exec, s[8:9]
	s_cbranch_execz .LBB311_1017
.LBB311_1414:                           ;   in Loop: Header=BB311_811 Depth=1
	v_cmp_ne_u16_sdwa s[12:13], v52, v29 src0_sel:BYTE_0 src1_sel:DWORD
	s_andn2_b64 s[0:1], s[0:1], exec
	s_and_b64 s[12:13], s[12:13], exec
	v_mov_b32_e32 v54, 0
	s_or_b64 s[0:1], s[0:1], s[12:13]
	s_or_b64 exec, exec, s[8:9]
	s_and_saveexec_b64 s[8:9], s[0:1]
	s_cbranch_execnz .LBB311_1018
	s_branch .LBB311_1019
.LBB311_1415:                           ;   in Loop: Header=BB311_811 Depth=1
	v_cmp_eq_u16_e64 s[0:1], s15, v28
	s_mov_b64 s[8:9], -1
                                        ; implicit-def: $sgpr26
	s_and_saveexec_b64 s[20:21], s[0:1]
; %bb.1416:                             ;   in Loop: Header=BB311_811 Depth=1
	s_mov_b32 s26, 0x7fc02000
	s_xor_b64 s[8:9], exec, -1
; %bb.1417:                             ;   in Loop: Header=BB311_811 Depth=1
	s_or_b64 exec, exec, s[20:21]
	s_and_b64 s[8:9], s[8:9], exec
	s_or_saveexec_b64 s[12:13], s[12:13]
	v_mov_b32_e32 v40, s26
	s_xor_b64 exec, exec, s[12:13]
	s_cbranch_execz .LBB311_1021
.LBB311_1418:                           ;   in Loop: Header=BB311_811 Depth=1
	v_cmp_ne_u16_e64 s[0:1], 0, v28
	s_andn2_b64 s[8:9], s[8:9], exec
	s_and_b64 s[0:1], s[0:1], exec
	v_mov_b32_e32 v40, 0
	s_or_b64 s[8:9], s[8:9], s[0:1]
	s_or_b64 exec, exec, s[12:13]
	s_and_saveexec_b64 s[12:13], s[8:9]
	s_cbranch_execnz .LBB311_1022
	s_branch .LBB311_1023
.LBB311_1419:                           ;   in Loop: Header=BB311_811 Depth=1
	v_cmp_eq_u16_sdwa s[26:27], v28, s15 src0_sel:BYTE_0 src1_sel:DWORD
	s_mov_b64 s[0:1], -1
                                        ; implicit-def: $sgpr20
	s_and_saveexec_b64 s[12:13], s[26:27]
; %bb.1420:                             ;   in Loop: Header=BB311_811 Depth=1
	s_mov_b32 s20, 0x7fc02000
	s_xor_b64 s[0:1], exec, -1
; %bb.1421:                             ;   in Loop: Header=BB311_811 Depth=1
	s_or_b64 exec, exec, s[12:13]
	s_and_b64 s[0:1], s[0:1], exec
	s_or_saveexec_b64 s[8:9], s[8:9]
	v_mov_b32_e32 v55, s20
	s_xor_b64 exec, exec, s[8:9]
	s_cbranch_execz .LBB311_1025
.LBB311_1422:                           ;   in Loop: Header=BB311_811 Depth=1
	v_cmp_ne_u16_sdwa s[12:13], v28, v29 src0_sel:BYTE_0 src1_sel:DWORD
	s_andn2_b64 s[0:1], s[0:1], exec
	s_and_b64 s[12:13], s[12:13], exec
	v_mov_b32_e32 v55, 0
	s_or_b64 s[0:1], s[0:1], s[12:13]
	s_or_b64 exec, exec, s[8:9]
	s_and_saveexec_b64 s[8:9], s[0:1]
	s_cbranch_execnz .LBB311_1026
	s_branch .LBB311_1027
.LBB311_1423:                           ;   in Loop: Header=BB311_811 Depth=1
	v_cmp_eq_u16_e64 s[0:1], s15, v28
	s_mov_b64 s[8:9], -1
                                        ; implicit-def: $sgpr26
	s_and_saveexec_b64 s[20:21], s[0:1]
; %bb.1424:                             ;   in Loop: Header=BB311_811 Depth=1
	s_mov_b32 s26, 0x7fc02000
	s_xor_b64 s[8:9], exec, -1
; %bb.1425:                             ;   in Loop: Header=BB311_811 Depth=1
	s_or_b64 exec, exec, s[20:21]
	s_and_b64 s[8:9], s[8:9], exec
	s_or_saveexec_b64 s[12:13], s[12:13]
	v_mov_b32_e32 v41, s26
	s_xor_b64 exec, exec, s[12:13]
	s_cbranch_execz .LBB311_1029
.LBB311_1426:                           ;   in Loop: Header=BB311_811 Depth=1
	v_cmp_ne_u16_e64 s[0:1], 0, v28
	s_andn2_b64 s[8:9], s[8:9], exec
	s_and_b64 s[0:1], s[0:1], exec
	v_mov_b32_e32 v41, 0
	s_or_b64 s[8:9], s[8:9], s[0:1]
	s_or_b64 exec, exec, s[12:13]
	s_and_saveexec_b64 s[12:13], s[8:9]
	s_cbranch_execnz .LBB311_1030
	s_branch .LBB311_1031
.LBB311_1427:                           ;   in Loop: Header=BB311_811 Depth=1
	v_cmp_eq_u16_sdwa s[26:27], v53, s15 src0_sel:BYTE_0 src1_sel:DWORD
	s_mov_b64 s[0:1], -1
                                        ; implicit-def: $sgpr20
	s_and_saveexec_b64 s[12:13], s[26:27]
; %bb.1428:                             ;   in Loop: Header=BB311_811 Depth=1
	s_mov_b32 s20, 0x7fc02000
	s_xor_b64 s[0:1], exec, -1
; %bb.1429:                             ;   in Loop: Header=BB311_811 Depth=1
	s_or_b64 exec, exec, s[12:13]
	s_and_b64 s[0:1], s[0:1], exec
	s_or_saveexec_b64 s[8:9], s[8:9]
	v_mov_b32_e32 v6, s20
	s_xor_b64 exec, exec, s[8:9]
	s_cbranch_execz .LBB311_1033
.LBB311_1430:                           ;   in Loop: Header=BB311_811 Depth=1
	v_cmp_ne_u16_sdwa s[12:13], v53, v29 src0_sel:BYTE_0 src1_sel:DWORD
	s_andn2_b64 s[0:1], s[0:1], exec
	s_and_b64 s[12:13], s[12:13], exec
	v_mov_b32_e32 v6, 0
	s_or_b64 s[0:1], s[0:1], s[12:13]
	s_or_b64 exec, exec, s[8:9]
	v_mov_b32_e32 v28, v53
	s_and_saveexec_b64 s[8:9], s[0:1]
	s_cbranch_execnz .LBB311_1034
	s_branch .LBB311_1035
.LBB311_1431:                           ;   in Loop: Header=BB311_811 Depth=1
	v_cmp_eq_u16_e64 s[0:1], s15, v28
	s_mov_b64 s[8:9], -1
                                        ; implicit-def: $sgpr26
	s_and_saveexec_b64 s[20:21], s[0:1]
; %bb.1432:                             ;   in Loop: Header=BB311_811 Depth=1
	s_mov_b32 s26, 0x7fc02000
	s_xor_b64 s[8:9], exec, -1
; %bb.1433:                             ;   in Loop: Header=BB311_811 Depth=1
	s_or_b64 exec, exec, s[20:21]
	s_and_b64 s[8:9], s[8:9], exec
	s_or_saveexec_b64 s[12:13], s[12:13]
	v_mov_b32_e32 v16, s26
	s_xor_b64 exec, exec, s[12:13]
	s_cbranch_execz .LBB311_1037
.LBB311_1434:                           ;   in Loop: Header=BB311_811 Depth=1
	v_cmp_ne_u16_e64 s[0:1], 0, v28
	s_andn2_b64 s[8:9], s[8:9], exec
	s_and_b64 s[0:1], s[0:1], exec
	v_mov_b32_e32 v16, 0
	s_or_b64 s[8:9], s[8:9], s[0:1]
	s_or_b64 exec, exec, s[12:13]
	s_and_saveexec_b64 s[12:13], s[8:9]
	s_cbranch_execnz .LBB311_1038
	s_branch .LBB311_1039
.LBB311_1435:                           ;   in Loop: Header=BB311_811 Depth=1
	v_cmp_eq_u16_sdwa s[26:27], v28, s15 src0_sel:BYTE_0 src1_sel:DWORD
	s_mov_b64 s[0:1], -1
                                        ; implicit-def: $sgpr20
	s_and_saveexec_b64 s[12:13], s[26:27]
; %bb.1436:                             ;   in Loop: Header=BB311_811 Depth=1
	s_mov_b32 s20, 0x7fc02000
	s_xor_b64 s[0:1], exec, -1
; %bb.1437:                             ;   in Loop: Header=BB311_811 Depth=1
	s_or_b64 exec, exec, s[12:13]
	s_and_b64 s[0:1], s[0:1], exec
	s_or_saveexec_b64 s[8:9], s[8:9]
	v_mov_b32_e32 v20, s20
	s_xor_b64 exec, exec, s[8:9]
	s_cbranch_execz .LBB311_1041
.LBB311_1438:                           ;   in Loop: Header=BB311_811 Depth=1
	v_cmp_ne_u16_sdwa s[12:13], v28, v29 src0_sel:BYTE_0 src1_sel:DWORD
	s_andn2_b64 s[0:1], s[0:1], exec
	s_and_b64 s[12:13], s[12:13], exec
	v_mov_b32_e32 v20, 0
	s_or_b64 s[0:1], s[0:1], s[12:13]
	s_or_b64 exec, exec, s[8:9]
	s_and_saveexec_b64 s[8:9], s[0:1]
	s_cbranch_execnz .LBB311_1042
	s_branch .LBB311_1043
.LBB311_1439:                           ;   in Loop: Header=BB311_811 Depth=1
	v_cmp_eq_u16_e64 s[0:1], s15, v28
	s_mov_b64 s[8:9], -1
                                        ; implicit-def: $sgpr26
	s_and_saveexec_b64 s[20:21], s[0:1]
; %bb.1440:                             ;   in Loop: Header=BB311_811 Depth=1
	s_mov_b32 s26, 0x7fc02000
	s_xor_b64 s[8:9], exec, -1
; %bb.1441:                             ;   in Loop: Header=BB311_811 Depth=1
	s_or_b64 exec, exec, s[20:21]
	s_and_b64 s[8:9], s[8:9], exec
	s_or_saveexec_b64 s[12:13], s[12:13]
	v_mov_b32_e32 v27, s26
	s_xor_b64 exec, exec, s[12:13]
	s_cbranch_execz .LBB311_1045
.LBB311_1442:                           ;   in Loop: Header=BB311_811 Depth=1
	v_cmp_ne_u16_e64 s[0:1], 0, v28
	s_andn2_b64 s[8:9], s[8:9], exec
	s_and_b64 s[0:1], s[0:1], exec
	v_mov_b32_e32 v27, 0
	s_or_b64 s[8:9], s[8:9], s[0:1]
	s_or_b64 exec, exec, s[12:13]
	s_and_saveexec_b64 s[12:13], s[8:9]
	s_cbranch_execnz .LBB311_1046
	s_branch .LBB311_1047
.LBB311_1443:                           ;   in Loop: Header=BB311_811 Depth=1
	v_cmp_eq_u16_sdwa s[26:27], v50, s15 src0_sel:BYTE_0 src1_sel:DWORD
	s_mov_b64 s[0:1], -1
                                        ; implicit-def: $sgpr20
	s_and_saveexec_b64 s[12:13], s[26:27]
; %bb.1444:                             ;   in Loop: Header=BB311_811 Depth=1
	s_mov_b32 s20, 0x7fc02000
	s_xor_b64 s[0:1], exec, -1
; %bb.1445:                             ;   in Loop: Header=BB311_811 Depth=1
	s_or_b64 exec, exec, s[12:13]
	s_and_b64 s[0:1], s[0:1], exec
	s_or_saveexec_b64 s[8:9], s[8:9]
	v_mov_b32_e32 v52, s20
	s_xor_b64 exec, exec, s[8:9]
	s_cbranch_execz .LBB311_1051
.LBB311_1446:                           ;   in Loop: Header=BB311_811 Depth=1
	v_cmp_ne_u16_sdwa s[12:13], v50, v29 src0_sel:BYTE_0 src1_sel:DWORD
	s_andn2_b64 s[0:1], s[0:1], exec
	s_and_b64 s[12:13], s[12:13], exec
	v_mov_b32_e32 v52, 0
	s_or_b64 s[0:1], s[0:1], s[12:13]
	s_or_b64 exec, exec, s[8:9]
	s_and_saveexec_b64 s[8:9], s[0:1]
	s_cbranch_execnz .LBB311_1052
	s_branch .LBB311_1053
.LBB311_1447:                           ;   in Loop: Header=BB311_811 Depth=1
	v_cmp_eq_u16_e64 s[0:1], s15, v28
	s_mov_b64 s[8:9], -1
                                        ; implicit-def: $sgpr26
	s_and_saveexec_b64 s[20:21], s[0:1]
; %bb.1448:                             ;   in Loop: Header=BB311_811 Depth=1
	s_mov_b32 s26, 0x7fc02000
	s_xor_b64 s[8:9], exec, -1
; %bb.1449:                             ;   in Loop: Header=BB311_811 Depth=1
	s_or_b64 exec, exec, s[20:21]
	s_and_b64 s[8:9], s[8:9], exec
	s_or_saveexec_b64 s[12:13], s[12:13]
	v_mov_b32_e32 v54, s26
	s_xor_b64 exec, exec, s[12:13]
	s_cbranch_execz .LBB311_1055
.LBB311_1450:                           ;   in Loop: Header=BB311_811 Depth=1
	v_cmp_ne_u16_e64 s[0:1], 0, v28
	s_andn2_b64 s[8:9], s[8:9], exec
	s_and_b64 s[0:1], s[0:1], exec
	v_mov_b32_e32 v54, 0
	s_or_b64 s[8:9], s[8:9], s[0:1]
	s_or_b64 exec, exec, s[12:13]
	s_and_saveexec_b64 s[12:13], s[8:9]
	s_cbranch_execnz .LBB311_1056
	s_branch .LBB311_1057
.LBB311_1451:                           ;   in Loop: Header=BB311_811 Depth=1
	v_cmp_eq_u16_sdwa s[26:27], v28, s15 src0_sel:BYTE_0 src1_sel:DWORD
	s_mov_b64 s[0:1], -1
                                        ; implicit-def: $sgpr20
	s_and_saveexec_b64 s[12:13], s[26:27]
; %bb.1452:                             ;   in Loop: Header=BB311_811 Depth=1
	s_mov_b32 s20, 0x7fc02000
	s_xor_b64 s[0:1], exec, -1
; %bb.1453:                             ;   in Loop: Header=BB311_811 Depth=1
	s_or_b64 exec, exec, s[12:13]
	s_and_b64 s[0:1], s[0:1], exec
	s_or_saveexec_b64 s[8:9], s[8:9]
	v_mov_b32_e32 v53, s20
	s_xor_b64 exec, exec, s[8:9]
	s_cbranch_execz .LBB311_1059
.LBB311_1454:                           ;   in Loop: Header=BB311_811 Depth=1
	v_cmp_ne_u16_sdwa s[12:13], v28, v29 src0_sel:BYTE_0 src1_sel:DWORD
	s_andn2_b64 s[0:1], s[0:1], exec
	s_and_b64 s[12:13], s[12:13], exec
	v_mov_b32_e32 v53, 0
	s_or_b64 s[0:1], s[0:1], s[12:13]
	s_or_b64 exec, exec, s[8:9]
	s_and_saveexec_b64 s[8:9], s[0:1]
	s_cbranch_execnz .LBB311_1060
	s_branch .LBB311_1061
.LBB311_1455:                           ;   in Loop: Header=BB311_811 Depth=1
	v_cmp_eq_u16_e64 s[0:1], s15, v28
	s_mov_b64 s[8:9], -1
                                        ; implicit-def: $sgpr26
	s_and_saveexec_b64 s[20:21], s[0:1]
; %bb.1456:                             ;   in Loop: Header=BB311_811 Depth=1
	s_mov_b32 s26, 0x7fc02000
	s_xor_b64 s[8:9], exec, -1
; %bb.1457:                             ;   in Loop: Header=BB311_811 Depth=1
	s_or_b64 exec, exec, s[20:21]
	s_and_b64 s[8:9], s[8:9], exec
	s_or_saveexec_b64 s[12:13], s[12:13]
	v_mov_b32_e32 v55, s26
	s_xor_b64 exec, exec, s[12:13]
	s_cbranch_execz .LBB311_1063
.LBB311_1458:                           ;   in Loop: Header=BB311_811 Depth=1
	v_cmp_ne_u16_e64 s[0:1], 0, v28
	s_andn2_b64 s[8:9], s[8:9], exec
	s_and_b64 s[0:1], s[0:1], exec
	v_mov_b32_e32 v55, 0
	s_or_b64 s[8:9], s[8:9], s[0:1]
	s_or_b64 exec, exec, s[12:13]
	s_and_saveexec_b64 s[12:13], s[8:9]
	s_cbranch_execnz .LBB311_1064
	s_branch .LBB311_1065
.LBB311_1459:                           ;   in Loop: Header=BB311_811 Depth=1
	v_cmp_eq_u16_sdwa s[26:27], v51, s15 src0_sel:BYTE_0 src1_sel:DWORD
	s_mov_b64 s[0:1], -1
                                        ; implicit-def: $sgpr20
	s_and_saveexec_b64 s[12:13], s[26:27]
; %bb.1460:                             ;   in Loop: Header=BB311_811 Depth=1
	s_mov_b32 s20, 0x7fc02000
	s_xor_b64 s[0:1], exec, -1
; %bb.1461:                             ;   in Loop: Header=BB311_811 Depth=1
	s_or_b64 exec, exec, s[12:13]
	s_and_b64 s[0:1], s[0:1], exec
	s_or_saveexec_b64 s[8:9], s[8:9]
	v_mov_b32_e32 v6, s20
	s_xor_b64 exec, exec, s[8:9]
	s_cbranch_execz .LBB311_1067
.LBB311_1462:                           ;   in Loop: Header=BB311_811 Depth=1
	v_cmp_ne_u16_sdwa s[12:13], v51, v29 src0_sel:BYTE_0 src1_sel:DWORD
	s_andn2_b64 s[0:1], s[0:1], exec
	s_and_b64 s[12:13], s[12:13], exec
	v_mov_b32_e32 v6, 0
	s_or_b64 s[0:1], s[0:1], s[12:13]
	s_or_b64 exec, exec, s[8:9]
	v_mov_b32_e32 v28, v51
	s_and_saveexec_b64 s[8:9], s[0:1]
	s_cbranch_execnz .LBB311_1068
	s_branch .LBB311_1069
.LBB311_1463:                           ;   in Loop: Header=BB311_811 Depth=1
	v_cmp_eq_u16_e64 s[0:1], s15, v28
	s_mov_b64 s[8:9], -1
                                        ; implicit-def: $sgpr26
	s_and_saveexec_b64 s[20:21], s[0:1]
; %bb.1464:                             ;   in Loop: Header=BB311_811 Depth=1
	s_mov_b32 s26, 0x7fc02000
	s_xor_b64 s[8:9], exec, -1
; %bb.1465:                             ;   in Loop: Header=BB311_811 Depth=1
	s_or_b64 exec, exec, s[20:21]
	s_and_b64 s[8:9], s[8:9], exec
	s_or_saveexec_b64 s[12:13], s[12:13]
	v_mov_b32_e32 v16, s26
	s_xor_b64 exec, exec, s[12:13]
	s_cbranch_execz .LBB311_1071
.LBB311_1466:                           ;   in Loop: Header=BB311_811 Depth=1
	v_cmp_ne_u16_e64 s[0:1], 0, v28
	s_andn2_b64 s[8:9], s[8:9], exec
	s_and_b64 s[0:1], s[0:1], exec
	v_mov_b32_e32 v16, 0
	s_or_b64 s[8:9], s[8:9], s[0:1]
	s_or_b64 exec, exec, s[12:13]
	s_and_saveexec_b64 s[12:13], s[8:9]
	s_cbranch_execnz .LBB311_1072
	s_branch .LBB311_1073
.LBB311_1467:                           ;   in Loop: Header=BB311_811 Depth=1
	v_cmp_eq_u16_sdwa s[26:27], v28, s15 src0_sel:BYTE_0 src1_sel:DWORD
	s_mov_b64 s[0:1], -1
                                        ; implicit-def: $sgpr20
	s_and_saveexec_b64 s[12:13], s[26:27]
; %bb.1468:                             ;   in Loop: Header=BB311_811 Depth=1
	s_mov_b32 s20, 0x7fc02000
	s_xor_b64 s[0:1], exec, -1
; %bb.1469:                             ;   in Loop: Header=BB311_811 Depth=1
	s_or_b64 exec, exec, s[12:13]
	s_and_b64 s[0:1], s[0:1], exec
	s_or_saveexec_b64 s[8:9], s[8:9]
	v_mov_b32_e32 v20, s20
	s_xor_b64 exec, exec, s[8:9]
	s_cbranch_execz .LBB311_1075
.LBB311_1470:                           ;   in Loop: Header=BB311_811 Depth=1
	v_cmp_ne_u16_sdwa s[12:13], v28, v29 src0_sel:BYTE_0 src1_sel:DWORD
	s_andn2_b64 s[0:1], s[0:1], exec
	s_and_b64 s[12:13], s[12:13], exec
	v_mov_b32_e32 v20, 0
	s_or_b64 s[0:1], s[0:1], s[12:13]
	s_or_b64 exec, exec, s[8:9]
	s_and_saveexec_b64 s[8:9], s[0:1]
	s_cbranch_execnz .LBB311_1076
	s_branch .LBB311_1077
.LBB311_1471:                           ;   in Loop: Header=BB311_811 Depth=1
	v_cmp_eq_u16_e64 s[0:1], s15, v28
	s_mov_b64 s[8:9], -1
                                        ; implicit-def: $sgpr26
	s_and_saveexec_b64 s[20:21], s[0:1]
; %bb.1472:                             ;   in Loop: Header=BB311_811 Depth=1
	s_mov_b32 s26, 0x7fc02000
	s_xor_b64 s[8:9], exec, -1
; %bb.1473:                             ;   in Loop: Header=BB311_811 Depth=1
	s_or_b64 exec, exec, s[20:21]
	s_and_b64 s[8:9], s[8:9], exec
	s_or_saveexec_b64 s[12:13], s[12:13]
	v_mov_b32_e32 v27, s26
	s_xor_b64 exec, exec, s[12:13]
	s_cbranch_execz .LBB311_1079
.LBB311_1474:                           ;   in Loop: Header=BB311_811 Depth=1
	v_cmp_ne_u16_e64 s[0:1], 0, v28
	s_andn2_b64 s[8:9], s[8:9], exec
	s_and_b64 s[0:1], s[0:1], exec
	v_mov_b32_e32 v27, 0
	s_or_b64 s[8:9], s[8:9], s[0:1]
	s_or_b64 exec, exec, s[12:13]
	s_and_saveexec_b64 s[12:13], s[8:9]
	s_cbranch_execnz .LBB311_1080
	s_branch .LBB311_1081
.LBB311_1475:                           ;   in Loop: Header=BB311_811 Depth=1
	v_cmp_eq_u16_sdwa s[26:27], v50, s15 src0_sel:BYTE_0 src1_sel:DWORD
	s_mov_b64 s[0:1], -1
                                        ; implicit-def: $sgpr20
	s_and_saveexec_b64 s[12:13], s[26:27]
; %bb.1476:                             ;   in Loop: Header=BB311_811 Depth=1
	s_mov_b32 s20, 0x7fc02000
	s_xor_b64 s[0:1], exec, -1
; %bb.1477:                             ;   in Loop: Header=BB311_811 Depth=1
	s_or_b64 exec, exec, s[12:13]
	s_and_b64 s[0:1], s[0:1], exec
	s_or_saveexec_b64 s[8:9], s[8:9]
	v_mov_b32_e32 v52, s20
	s_xor_b64 exec, exec, s[8:9]
	s_cbranch_execz .LBB311_1085
.LBB311_1478:                           ;   in Loop: Header=BB311_811 Depth=1
	v_cmp_ne_u16_sdwa s[12:13], v50, v29 src0_sel:BYTE_0 src1_sel:DWORD
	s_andn2_b64 s[0:1], s[0:1], exec
	s_and_b64 s[12:13], s[12:13], exec
	v_mov_b32_e32 v52, 0
	s_or_b64 s[0:1], s[0:1], s[12:13]
	s_or_b64 exec, exec, s[8:9]
	s_and_saveexec_b64 s[8:9], s[0:1]
	s_cbranch_execnz .LBB311_1086
	s_branch .LBB311_1087
.LBB311_1479:                           ;   in Loop: Header=BB311_811 Depth=1
	v_cmp_eq_u16_e64 s[0:1], s15, v28
	s_mov_b64 s[8:9], -1
                                        ; implicit-def: $sgpr26
	s_and_saveexec_b64 s[20:21], s[0:1]
; %bb.1480:                             ;   in Loop: Header=BB311_811 Depth=1
	s_mov_b32 s26, 0x7fc02000
	s_xor_b64 s[8:9], exec, -1
; %bb.1481:                             ;   in Loop: Header=BB311_811 Depth=1
	s_or_b64 exec, exec, s[20:21]
	s_and_b64 s[8:9], s[8:9], exec
	s_or_saveexec_b64 s[12:13], s[12:13]
	v_mov_b32_e32 v54, s26
	s_xor_b64 exec, exec, s[12:13]
	s_cbranch_execz .LBB311_1089
.LBB311_1482:                           ;   in Loop: Header=BB311_811 Depth=1
	v_cmp_ne_u16_e64 s[0:1], 0, v28
	s_andn2_b64 s[8:9], s[8:9], exec
	s_and_b64 s[0:1], s[0:1], exec
	v_mov_b32_e32 v54, 0
	s_or_b64 s[8:9], s[8:9], s[0:1]
	s_or_b64 exec, exec, s[12:13]
	s_and_saveexec_b64 s[12:13], s[8:9]
	s_cbranch_execnz .LBB311_1090
	s_branch .LBB311_1091
.LBB311_1483:                           ;   in Loop: Header=BB311_811 Depth=1
	v_cmp_eq_u16_sdwa s[26:27], v28, s15 src0_sel:BYTE_0 src1_sel:DWORD
	s_mov_b64 s[0:1], -1
                                        ; implicit-def: $sgpr20
	s_and_saveexec_b64 s[12:13], s[26:27]
; %bb.1484:                             ;   in Loop: Header=BB311_811 Depth=1
	s_mov_b32 s20, 0x7fc02000
	s_xor_b64 s[0:1], exec, -1
; %bb.1485:                             ;   in Loop: Header=BB311_811 Depth=1
	s_or_b64 exec, exec, s[12:13]
	s_and_b64 s[0:1], s[0:1], exec
	s_or_saveexec_b64 s[8:9], s[8:9]
	v_mov_b32_e32 v53, s20
	s_xor_b64 exec, exec, s[8:9]
	s_cbranch_execz .LBB311_1093
.LBB311_1486:                           ;   in Loop: Header=BB311_811 Depth=1
	v_cmp_ne_u16_sdwa s[12:13], v28, v29 src0_sel:BYTE_0 src1_sel:DWORD
	s_andn2_b64 s[0:1], s[0:1], exec
	s_and_b64 s[12:13], s[12:13], exec
	v_mov_b32_e32 v53, 0
	s_or_b64 s[0:1], s[0:1], s[12:13]
	s_or_b64 exec, exec, s[8:9]
	s_and_saveexec_b64 s[8:9], s[0:1]
	s_cbranch_execnz .LBB311_1094
	s_branch .LBB311_1095
.LBB311_1487:                           ;   in Loop: Header=BB311_811 Depth=1
	v_cmp_eq_u16_e64 s[0:1], s15, v28
	s_mov_b64 s[8:9], -1
                                        ; implicit-def: $sgpr26
	s_and_saveexec_b64 s[20:21], s[0:1]
; %bb.1488:                             ;   in Loop: Header=BB311_811 Depth=1
	s_mov_b32 s26, 0x7fc02000
	s_xor_b64 s[8:9], exec, -1
; %bb.1489:                             ;   in Loop: Header=BB311_811 Depth=1
	s_or_b64 exec, exec, s[20:21]
	s_and_b64 s[8:9], s[8:9], exec
	s_or_saveexec_b64 s[12:13], s[12:13]
	v_mov_b32_e32 v55, s26
	s_xor_b64 exec, exec, s[12:13]
	s_cbranch_execz .LBB311_1097
.LBB311_1490:                           ;   in Loop: Header=BB311_811 Depth=1
	v_cmp_ne_u16_e64 s[0:1], 0, v28
	s_andn2_b64 s[8:9], s[8:9], exec
	s_and_b64 s[0:1], s[0:1], exec
	v_mov_b32_e32 v55, 0
	s_or_b64 s[8:9], s[8:9], s[0:1]
	s_or_b64 exec, exec, s[12:13]
	s_and_saveexec_b64 s[12:13], s[8:9]
	s_cbranch_execnz .LBB311_1098
	s_branch .LBB311_1099
.LBB311_1491:                           ;   in Loop: Header=BB311_811 Depth=1
	v_cmp_eq_u16_sdwa s[26:27], v51, s15 src0_sel:BYTE_0 src1_sel:DWORD
	s_mov_b64 s[0:1], -1
                                        ; implicit-def: $sgpr20
	s_and_saveexec_b64 s[12:13], s[26:27]
; %bb.1492:                             ;   in Loop: Header=BB311_811 Depth=1
	s_mov_b32 s20, 0x7fc02000
	s_xor_b64 s[0:1], exec, -1
; %bb.1493:                             ;   in Loop: Header=BB311_811 Depth=1
	s_or_b64 exec, exec, s[12:13]
	s_and_b64 s[0:1], s[0:1], exec
	s_or_saveexec_b64 s[8:9], s[8:9]
	v_mov_b32_e32 v16, s20
	s_xor_b64 exec, exec, s[8:9]
	s_cbranch_execz .LBB311_1101
.LBB311_1494:                           ;   in Loop: Header=BB311_811 Depth=1
	v_cmp_ne_u16_sdwa s[12:13], v51, v29 src0_sel:BYTE_0 src1_sel:DWORD
	s_andn2_b64 s[0:1], s[0:1], exec
	s_and_b64 s[12:13], s[12:13], exec
	v_mov_b32_e32 v16, 0
	s_or_b64 s[0:1], s[0:1], s[12:13]
	s_or_b64 exec, exec, s[8:9]
	v_mov_b32_e32 v28, v51
	s_and_saveexec_b64 s[8:9], s[0:1]
	s_cbranch_execnz .LBB311_1102
	s_branch .LBB311_1103
.LBB311_1495:                           ;   in Loop: Header=BB311_811 Depth=1
	v_cmp_eq_u16_e64 s[0:1], s15, v28
	s_mov_b64 s[8:9], -1
                                        ; implicit-def: $sgpr26
	s_and_saveexec_b64 s[20:21], s[0:1]
; %bb.1496:                             ;   in Loop: Header=BB311_811 Depth=1
	s_mov_b32 s26, 0x7fc02000
	s_xor_b64 s[8:9], exec, -1
; %bb.1497:                             ;   in Loop: Header=BB311_811 Depth=1
	s_or_b64 exec, exec, s[20:21]
	s_and_b64 s[8:9], s[8:9], exec
	s_or_saveexec_b64 s[12:13], s[12:13]
	v_mov_b32_e32 v20, s26
	s_xor_b64 exec, exec, s[12:13]
	s_cbranch_execz .LBB311_1105
.LBB311_1498:                           ;   in Loop: Header=BB311_811 Depth=1
	v_cmp_ne_u16_e64 s[0:1], 0, v28
	s_andn2_b64 s[8:9], s[8:9], exec
	s_and_b64 s[0:1], s[0:1], exec
	v_mov_b32_e32 v20, 0
	s_or_b64 s[8:9], s[8:9], s[0:1]
	s_or_b64 exec, exec, s[12:13]
	s_and_saveexec_b64 s[12:13], s[8:9]
	s_cbranch_execnz .LBB311_1106
	s_branch .LBB311_1107
.LBB311_1499:                           ;   in Loop: Header=BB311_811 Depth=1
	v_cmp_eq_u16_sdwa s[26:27], v28, s15 src0_sel:BYTE_0 src1_sel:DWORD
	s_mov_b64 s[0:1], -1
                                        ; implicit-def: $sgpr20
	s_and_saveexec_b64 s[12:13], s[26:27]
; %bb.1500:                             ;   in Loop: Header=BB311_811 Depth=1
	s_mov_b32 s20, 0x7fc02000
	s_xor_b64 s[0:1], exec, -1
; %bb.1501:                             ;   in Loop: Header=BB311_811 Depth=1
	s_or_b64 exec, exec, s[12:13]
	s_and_b64 s[0:1], s[0:1], exec
	s_or_saveexec_b64 s[8:9], s[8:9]
	v_mov_b32_e32 v21, s20
	s_xor_b64 exec, exec, s[8:9]
	s_cbranch_execz .LBB311_1109
.LBB311_1502:                           ;   in Loop: Header=BB311_811 Depth=1
	v_cmp_ne_u16_sdwa s[12:13], v28, v29 src0_sel:BYTE_0 src1_sel:DWORD
	s_andn2_b64 s[0:1], s[0:1], exec
	s_and_b64 s[12:13], s[12:13], exec
	v_mov_b32_e32 v21, 0
	s_or_b64 s[0:1], s[0:1], s[12:13]
	s_or_b64 exec, exec, s[8:9]
	s_and_saveexec_b64 s[8:9], s[0:1]
	s_cbranch_execnz .LBB311_1110
	s_branch .LBB311_1111
.LBB311_1503:                           ;   in Loop: Header=BB311_811 Depth=1
	v_cmp_eq_u16_e64 s[0:1], s15, v28
	s_mov_b64 s[8:9], -1
                                        ; implicit-def: $sgpr26
	s_and_saveexec_b64 s[20:21], s[0:1]
; %bb.1504:                             ;   in Loop: Header=BB311_811 Depth=1
	s_mov_b32 s26, 0x7fc02000
	s_xor_b64 s[8:9], exec, -1
; %bb.1505:                             ;   in Loop: Header=BB311_811 Depth=1
	s_or_b64 exec, exec, s[20:21]
	s_and_b64 s[8:9], s[8:9], exec
	s_or_saveexec_b64 s[12:13], s[12:13]
	v_mov_b32_e32 v39, s26
	s_xor_b64 exec, exec, s[12:13]
	s_cbranch_execz .LBB311_1113
.LBB311_1506:                           ;   in Loop: Header=BB311_811 Depth=1
	v_cmp_ne_u16_e64 s[0:1], 0, v28
	s_andn2_b64 s[8:9], s[8:9], exec
	s_and_b64 s[0:1], s[0:1], exec
	v_mov_b32_e32 v39, 0
	s_or_b64 s[8:9], s[8:9], s[0:1]
	s_or_b64 exec, exec, s[12:13]
	s_and_saveexec_b64 s[12:13], s[8:9]
	s_cbranch_execnz .LBB311_1114
	s_branch .LBB311_1115
.LBB311_1507:                           ;   in Loop: Header=BB311_811 Depth=1
	v_cmp_eq_u16_sdwa s[26:27], v50, s15 src0_sel:BYTE_0 src1_sel:DWORD
	s_mov_b64 s[0:1], -1
                                        ; implicit-def: $sgpr20
	s_and_saveexec_b64 s[12:13], s[26:27]
; %bb.1508:                             ;   in Loop: Header=BB311_811 Depth=1
	s_mov_b32 s20, 0x7fc02000
	s_xor_b64 s[0:1], exec, -1
; %bb.1509:                             ;   in Loop: Header=BB311_811 Depth=1
	s_or_b64 exec, exec, s[12:13]
	s_and_b64 s[0:1], s[0:1], exec
	s_or_saveexec_b64 s[8:9], s[8:9]
	v_mov_b32_e32 v52, s20
	s_xor_b64 exec, exec, s[8:9]
	s_cbranch_execz .LBB311_1119
.LBB311_1510:                           ;   in Loop: Header=BB311_811 Depth=1
	v_cmp_ne_u16_sdwa s[12:13], v50, v29 src0_sel:BYTE_0 src1_sel:DWORD
	s_andn2_b64 s[0:1], s[0:1], exec
	s_and_b64 s[12:13], s[12:13], exec
	v_mov_b32_e32 v52, 0
	s_or_b64 s[0:1], s[0:1], s[12:13]
	s_or_b64 exec, exec, s[8:9]
	s_and_saveexec_b64 s[8:9], s[0:1]
	s_cbranch_execnz .LBB311_1120
	s_branch .LBB311_1121
.LBB311_1511:                           ;   in Loop: Header=BB311_811 Depth=1
	v_cmp_eq_u16_e64 s[0:1], s15, v28
	s_mov_b64 s[8:9], -1
                                        ; implicit-def: $sgpr26
	s_and_saveexec_b64 s[20:21], s[0:1]
; %bb.1512:                             ;   in Loop: Header=BB311_811 Depth=1
	s_mov_b32 s26, 0x7fc02000
	s_xor_b64 s[8:9], exec, -1
; %bb.1513:                             ;   in Loop: Header=BB311_811 Depth=1
	s_or_b64 exec, exec, s[20:21]
	s_and_b64 s[8:9], s[8:9], exec
	s_or_saveexec_b64 s[12:13], s[12:13]
	v_mov_b32_e32 v54, s26
	s_xor_b64 exec, exec, s[12:13]
	s_cbranch_execz .LBB311_1123
.LBB311_1514:                           ;   in Loop: Header=BB311_811 Depth=1
	v_cmp_ne_u16_e64 s[0:1], 0, v28
	s_andn2_b64 s[8:9], s[8:9], exec
	s_and_b64 s[0:1], s[0:1], exec
	v_mov_b32_e32 v54, 0
	s_or_b64 s[8:9], s[8:9], s[0:1]
	s_or_b64 exec, exec, s[12:13]
	s_and_saveexec_b64 s[12:13], s[8:9]
	s_cbranch_execnz .LBB311_1124
	s_branch .LBB311_1125
.LBB311_1515:                           ;   in Loop: Header=BB311_811 Depth=1
	v_cmp_eq_u16_sdwa s[26:27], v28, s15 src0_sel:BYTE_0 src1_sel:DWORD
	s_mov_b64 s[0:1], -1
                                        ; implicit-def: $sgpr20
	s_and_saveexec_b64 s[12:13], s[26:27]
; %bb.1516:                             ;   in Loop: Header=BB311_811 Depth=1
	s_mov_b32 s20, 0x7fc02000
	s_xor_b64 s[0:1], exec, -1
; %bb.1517:                             ;   in Loop: Header=BB311_811 Depth=1
	s_or_b64 exec, exec, s[12:13]
	s_and_b64 s[0:1], s[0:1], exec
	s_or_saveexec_b64 s[8:9], s[8:9]
	v_mov_b32_e32 v53, s20
	s_xor_b64 exec, exec, s[8:9]
	s_cbranch_execz .LBB311_1127
.LBB311_1518:                           ;   in Loop: Header=BB311_811 Depth=1
	v_cmp_ne_u16_sdwa s[12:13], v28, v29 src0_sel:BYTE_0 src1_sel:DWORD
	s_andn2_b64 s[0:1], s[0:1], exec
	s_and_b64 s[12:13], s[12:13], exec
	v_mov_b32_e32 v53, 0
	s_or_b64 s[0:1], s[0:1], s[12:13]
	s_or_b64 exec, exec, s[8:9]
	s_and_saveexec_b64 s[8:9], s[0:1]
	s_cbranch_execnz .LBB311_1128
	s_branch .LBB311_1129
.LBB311_1519:                           ;   in Loop: Header=BB311_811 Depth=1
	v_cmp_eq_u16_e64 s[0:1], s15, v28
	s_mov_b64 s[8:9], -1
                                        ; implicit-def: $sgpr26
	s_and_saveexec_b64 s[20:21], s[0:1]
; %bb.1520:                             ;   in Loop: Header=BB311_811 Depth=1
	s_mov_b32 s26, 0x7fc02000
	s_xor_b64 s[8:9], exec, -1
; %bb.1521:                             ;   in Loop: Header=BB311_811 Depth=1
	s_or_b64 exec, exec, s[20:21]
	s_and_b64 s[8:9], s[8:9], exec
	s_or_saveexec_b64 s[12:13], s[12:13]
	v_mov_b32_e32 v55, s26
	s_xor_b64 exec, exec, s[12:13]
	s_cbranch_execz .LBB311_1131
.LBB311_1522:                           ;   in Loop: Header=BB311_811 Depth=1
	v_cmp_ne_u16_e64 s[0:1], 0, v28
	s_andn2_b64 s[8:9], s[8:9], exec
	s_and_b64 s[0:1], s[0:1], exec
	v_mov_b32_e32 v55, 0
	s_or_b64 s[8:9], s[8:9], s[0:1]
	s_or_b64 exec, exec, s[12:13]
	s_and_saveexec_b64 s[12:13], s[8:9]
	s_cbranch_execnz .LBB311_1132
	s_branch .LBB311_1133
.LBB311_1523:                           ;   in Loop: Header=BB311_811 Depth=1
	v_cmp_eq_u16_sdwa s[26:27], v51, s15 src0_sel:BYTE_0 src1_sel:DWORD
	s_mov_b64 s[0:1], -1
                                        ; implicit-def: $sgpr20
	s_and_saveexec_b64 s[12:13], s[26:27]
; %bb.1524:                             ;   in Loop: Header=BB311_811 Depth=1
	s_mov_b32 s20, 0x7fc02000
	s_xor_b64 s[0:1], exec, -1
; %bb.1525:                             ;   in Loop: Header=BB311_811 Depth=1
	s_or_b64 exec, exec, s[12:13]
	s_and_b64 s[0:1], s[0:1], exec
	s_or_saveexec_b64 s[8:9], s[8:9]
	v_mov_b32_e32 v16, s20
	s_xor_b64 exec, exec, s[8:9]
	s_cbranch_execz .LBB311_1135
.LBB311_1526:                           ;   in Loop: Header=BB311_811 Depth=1
	v_cmp_ne_u16_sdwa s[12:13], v51, v29 src0_sel:BYTE_0 src1_sel:DWORD
	s_andn2_b64 s[0:1], s[0:1], exec
	s_and_b64 s[12:13], s[12:13], exec
	v_mov_b32_e32 v16, 0
	s_or_b64 s[0:1], s[0:1], s[12:13]
	s_or_b64 exec, exec, s[8:9]
	v_mov_b32_e32 v28, v51
	s_and_saveexec_b64 s[8:9], s[0:1]
	s_cbranch_execnz .LBB311_1136
	s_branch .LBB311_1137
.LBB311_1527:                           ;   in Loop: Header=BB311_811 Depth=1
	v_cmp_eq_u16_e64 s[0:1], s15, v28
	s_mov_b64 s[8:9], -1
                                        ; implicit-def: $sgpr26
	s_and_saveexec_b64 s[20:21], s[0:1]
; %bb.1528:                             ;   in Loop: Header=BB311_811 Depth=1
	s_mov_b32 s26, 0x7fc02000
	s_xor_b64 s[8:9], exec, -1
; %bb.1529:                             ;   in Loop: Header=BB311_811 Depth=1
	s_or_b64 exec, exec, s[20:21]
	s_and_b64 s[8:9], s[8:9], exec
	s_or_saveexec_b64 s[12:13], s[12:13]
	v_mov_b32_e32 v21, s26
	s_xor_b64 exec, exec, s[12:13]
	s_cbranch_execz .LBB311_1139
.LBB311_1530:                           ;   in Loop: Header=BB311_811 Depth=1
	v_cmp_ne_u16_e64 s[0:1], 0, v28
	s_andn2_b64 s[8:9], s[8:9], exec
	s_and_b64 s[0:1], s[0:1], exec
	v_mov_b32_e32 v21, 0
	s_or_b64 s[8:9], s[8:9], s[0:1]
	s_or_b64 exec, exec, s[12:13]
	s_and_saveexec_b64 s[12:13], s[8:9]
	s_cbranch_execnz .LBB311_1140
	s_branch .LBB311_1141
.LBB311_1531:                           ;   in Loop: Header=BB311_811 Depth=1
	v_cmp_eq_u16_sdwa s[26:27], v28, s15 src0_sel:BYTE_0 src1_sel:DWORD
	s_mov_b64 s[0:1], -1
                                        ; implicit-def: $sgpr20
	s_and_saveexec_b64 s[12:13], s[26:27]
; %bb.1532:                             ;   in Loop: Header=BB311_811 Depth=1
	s_mov_b32 s20, 0x7fc02000
	s_xor_b64 s[0:1], exec, -1
; %bb.1533:                             ;   in Loop: Header=BB311_811 Depth=1
	s_or_b64 exec, exec, s[12:13]
	s_and_b64 s[0:1], s[0:1], exec
	s_or_saveexec_b64 s[8:9], s[8:9]
	v_mov_b32_e32 v26, s20
	s_xor_b64 exec, exec, s[8:9]
	s_cbranch_execz .LBB311_1143
.LBB311_1534:                           ;   in Loop: Header=BB311_811 Depth=1
	v_cmp_ne_u16_sdwa s[12:13], v28, v29 src0_sel:BYTE_0 src1_sel:DWORD
	s_andn2_b64 s[0:1], s[0:1], exec
	s_and_b64 s[12:13], s[12:13], exec
	v_mov_b32_e32 v26, 0
	s_or_b64 s[0:1], s[0:1], s[12:13]
	s_or_b64 exec, exec, s[8:9]
	s_and_saveexec_b64 s[8:9], s[0:1]
	s_cbranch_execnz .LBB311_1144
	s_branch .LBB311_1145
.LBB311_1535:                           ;   in Loop: Header=BB311_811 Depth=1
	v_cmp_eq_u16_e64 s[0:1], s15, v28
	s_mov_b64 s[8:9], -1
                                        ; implicit-def: $sgpr26
	s_and_saveexec_b64 s[20:21], s[0:1]
; %bb.1536:                             ;   in Loop: Header=BB311_811 Depth=1
	s_mov_b32 s26, 0x7fc02000
	s_xor_b64 s[8:9], exec, -1
; %bb.1537:                             ;   in Loop: Header=BB311_811 Depth=1
	s_or_b64 exec, exec, s[20:21]
	s_and_b64 s[8:9], s[8:9], exec
	s_or_saveexec_b64 s[12:13], s[12:13]
	v_mov_b32_e32 v49, s26
	s_xor_b64 exec, exec, s[12:13]
	s_cbranch_execz .LBB311_1147
.LBB311_1538:                           ;   in Loop: Header=BB311_811 Depth=1
	v_cmp_ne_u16_e64 s[0:1], 0, v28
	s_andn2_b64 s[8:9], s[8:9], exec
	s_and_b64 s[0:1], s[0:1], exec
	v_mov_b32_e32 v49, 0
	s_or_b64 s[8:9], s[8:9], s[0:1]
	s_or_b64 exec, exec, s[12:13]
	s_and_saveexec_b64 s[12:13], s[8:9]
	s_cbranch_execnz .LBB311_1148
	s_branch .LBB311_1149
.LBB311_1539:                           ;   in Loop: Header=BB311_811 Depth=1
	v_cmp_eq_u16_sdwa s[26:27], v50, s15 src0_sel:BYTE_0 src1_sel:DWORD
	s_mov_b64 s[0:1], -1
                                        ; implicit-def: $sgpr20
	s_and_saveexec_b64 s[12:13], s[26:27]
; %bb.1540:                             ;   in Loop: Header=BB311_811 Depth=1
	s_mov_b32 s20, 0x7fc02000
	s_xor_b64 s[0:1], exec, -1
; %bb.1541:                             ;   in Loop: Header=BB311_811 Depth=1
	s_or_b64 exec, exec, s[12:13]
	s_and_b64 s[0:1], s[0:1], exec
	s_or_saveexec_b64 s[8:9], s[8:9]
	v_mov_b32_e32 v52, s20
	s_xor_b64 exec, exec, s[8:9]
	s_cbranch_execz .LBB311_1153
.LBB311_1542:                           ;   in Loop: Header=BB311_811 Depth=1
	v_cmp_ne_u16_sdwa s[12:13], v50, v29 src0_sel:BYTE_0 src1_sel:DWORD
	s_andn2_b64 s[0:1], s[0:1], exec
	s_and_b64 s[12:13], s[12:13], exec
	v_mov_b32_e32 v52, 0
	s_or_b64 s[0:1], s[0:1], s[12:13]
	s_or_b64 exec, exec, s[8:9]
	s_and_saveexec_b64 s[8:9], s[0:1]
	s_cbranch_execnz .LBB311_1154
	s_branch .LBB311_1155
.LBB311_1543:                           ;   in Loop: Header=BB311_811 Depth=1
	v_cmp_eq_u16_e64 s[0:1], s15, v28
	s_mov_b64 s[8:9], -1
                                        ; implicit-def: $sgpr26
	s_and_saveexec_b64 s[20:21], s[0:1]
; %bb.1544:                             ;   in Loop: Header=BB311_811 Depth=1
	s_mov_b32 s26, 0x7fc02000
	s_xor_b64 s[8:9], exec, -1
; %bb.1545:                             ;   in Loop: Header=BB311_811 Depth=1
	s_or_b64 exec, exec, s[20:21]
	s_and_b64 s[8:9], s[8:9], exec
	s_or_saveexec_b64 s[12:13], s[12:13]
	v_mov_b32_e32 v54, s26
	s_xor_b64 exec, exec, s[12:13]
	s_cbranch_execz .LBB311_1157
.LBB311_1546:                           ;   in Loop: Header=BB311_811 Depth=1
	v_cmp_ne_u16_e64 s[0:1], 0, v28
	s_andn2_b64 s[8:9], s[8:9], exec
	s_and_b64 s[0:1], s[0:1], exec
	v_mov_b32_e32 v54, 0
	s_or_b64 s[8:9], s[8:9], s[0:1]
	s_or_b64 exec, exec, s[12:13]
	s_and_saveexec_b64 s[12:13], s[8:9]
	s_cbranch_execnz .LBB311_1158
	s_branch .LBB311_1159
.LBB311_1547:                           ;   in Loop: Header=BB311_811 Depth=1
	v_cmp_eq_u16_sdwa s[26:27], v28, s15 src0_sel:BYTE_0 src1_sel:DWORD
	s_mov_b64 s[0:1], -1
                                        ; implicit-def: $sgpr20
	s_and_saveexec_b64 s[12:13], s[26:27]
; %bb.1548:                             ;   in Loop: Header=BB311_811 Depth=1
	s_mov_b32 s20, 0x7fc02000
	s_xor_b64 s[0:1], exec, -1
; %bb.1549:                             ;   in Loop: Header=BB311_811 Depth=1
	s_or_b64 exec, exec, s[12:13]
	s_and_b64 s[0:1], s[0:1], exec
	s_or_saveexec_b64 s[8:9], s[8:9]
	v_mov_b32_e32 v53, s20
	s_xor_b64 exec, exec, s[8:9]
	s_cbranch_execz .LBB311_1161
.LBB311_1550:                           ;   in Loop: Header=BB311_811 Depth=1
	v_cmp_ne_u16_sdwa s[12:13], v28, v29 src0_sel:BYTE_0 src1_sel:DWORD
	s_andn2_b64 s[0:1], s[0:1], exec
	s_and_b64 s[12:13], s[12:13], exec
	v_mov_b32_e32 v53, 0
	s_or_b64 s[0:1], s[0:1], s[12:13]
	s_or_b64 exec, exec, s[8:9]
	s_and_saveexec_b64 s[8:9], s[0:1]
	s_cbranch_execnz .LBB311_1162
	s_branch .LBB311_1163
.LBB311_1551:                           ;   in Loop: Header=BB311_811 Depth=1
	v_cmp_eq_u16_e64 s[0:1], s15, v28
	s_mov_b64 s[8:9], -1
                                        ; implicit-def: $sgpr26
	s_and_saveexec_b64 s[20:21], s[0:1]
; %bb.1552:                             ;   in Loop: Header=BB311_811 Depth=1
	s_mov_b32 s26, 0x7fc02000
	s_xor_b64 s[8:9], exec, -1
; %bb.1553:                             ;   in Loop: Header=BB311_811 Depth=1
	s_or_b64 exec, exec, s[20:21]
	s_and_b64 s[8:9], s[8:9], exec
	s_or_saveexec_b64 s[12:13], s[12:13]
	v_mov_b32_e32 v55, s26
	s_xor_b64 exec, exec, s[12:13]
	s_cbranch_execz .LBB311_1165
.LBB311_1554:                           ;   in Loop: Header=BB311_811 Depth=1
	v_cmp_ne_u16_e64 s[0:1], 0, v28
	s_andn2_b64 s[8:9], s[8:9], exec
	s_and_b64 s[0:1], s[0:1], exec
	v_mov_b32_e32 v55, 0
	s_or_b64 s[8:9], s[8:9], s[0:1]
	s_or_b64 exec, exec, s[12:13]
	s_and_saveexec_b64 s[12:13], s[8:9]
	s_cbranch_execnz .LBB311_1166
	s_branch .LBB311_1167
.LBB311_1555:                           ;   in Loop: Header=BB311_811 Depth=1
	v_cmp_eq_u16_sdwa s[26:27], v51, s15 src0_sel:BYTE_0 src1_sel:DWORD
	s_mov_b64 s[0:1], -1
                                        ; implicit-def: $sgpr20
	s_and_saveexec_b64 s[12:13], s[26:27]
; %bb.1556:                             ;   in Loop: Header=BB311_811 Depth=1
	s_mov_b32 s20, 0x7fc02000
	s_xor_b64 s[0:1], exec, -1
; %bb.1557:                             ;   in Loop: Header=BB311_811 Depth=1
	s_or_b64 exec, exec, s[12:13]
	s_and_b64 s[0:1], s[0:1], exec
	s_or_saveexec_b64 s[8:9], s[8:9]
	v_mov_b32_e32 v16, s20
	s_xor_b64 exec, exec, s[8:9]
	s_cbranch_execz .LBB311_1169
.LBB311_1558:                           ;   in Loop: Header=BB311_811 Depth=1
	v_cmp_ne_u16_sdwa s[12:13], v51, v29 src0_sel:BYTE_0 src1_sel:DWORD
	s_andn2_b64 s[0:1], s[0:1], exec
	s_and_b64 s[12:13], s[12:13], exec
	v_mov_b32_e32 v16, 0
	s_or_b64 s[0:1], s[0:1], s[12:13]
	s_or_b64 exec, exec, s[8:9]
	v_mov_b32_e32 v28, v51
	s_and_saveexec_b64 s[8:9], s[0:1]
	s_cbranch_execnz .LBB311_1170
	s_branch .LBB311_1171
.LBB311_1559:                           ;   in Loop: Header=BB311_811 Depth=1
	v_cmp_eq_u16_e64 s[0:1], s15, v28
	s_mov_b64 s[8:9], -1
                                        ; implicit-def: $sgpr26
	s_and_saveexec_b64 s[20:21], s[0:1]
; %bb.1560:                             ;   in Loop: Header=BB311_811 Depth=1
	s_mov_b32 s26, 0x7fc02000
	s_xor_b64 s[8:9], exec, -1
; %bb.1561:                             ;   in Loop: Header=BB311_811 Depth=1
	s_or_b64 exec, exec, s[20:21]
	s_and_b64 s[8:9], s[8:9], exec
	s_or_saveexec_b64 s[12:13], s[12:13]
	v_mov_b32_e32 v27, s26
	s_xor_b64 exec, exec, s[12:13]
	s_cbranch_execz .LBB311_1173
.LBB311_1562:                           ;   in Loop: Header=BB311_811 Depth=1
	v_cmp_ne_u16_e64 s[0:1], 0, v28
	s_andn2_b64 s[8:9], s[8:9], exec
	s_and_b64 s[0:1], s[0:1], exec
	v_mov_b32_e32 v27, 0
	s_or_b64 s[8:9], s[8:9], s[0:1]
	s_or_b64 exec, exec, s[12:13]
	s_and_saveexec_b64 s[12:13], s[8:9]
	s_cbranch_execnz .LBB311_1174
	s_branch .LBB311_1175
.LBB311_1563:                           ;   in Loop: Header=BB311_811 Depth=1
	v_cmp_eq_u16_sdwa s[26:27], v28, s15 src0_sel:BYTE_0 src1_sel:DWORD
	s_mov_b64 s[0:1], -1
                                        ; implicit-def: $sgpr20
	s_and_saveexec_b64 s[12:13], s[26:27]
; %bb.1564:                             ;   in Loop: Header=BB311_811 Depth=1
	s_mov_b32 s20, 0x7fc02000
	s_xor_b64 s[0:1], exec, -1
; %bb.1565:                             ;   in Loop: Header=BB311_811 Depth=1
	s_or_b64 exec, exec, s[12:13]
	s_and_b64 s[0:1], s[0:1], exec
	s_or_saveexec_b64 s[8:9], s[8:9]
	v_mov_b32_e32 v49, s20
	s_xor_b64 exec, exec, s[8:9]
	s_cbranch_execz .LBB311_1177
.LBB311_1566:                           ;   in Loop: Header=BB311_811 Depth=1
	v_cmp_ne_u16_sdwa s[12:13], v28, v29 src0_sel:BYTE_0 src1_sel:DWORD
	s_andn2_b64 s[0:1], s[0:1], exec
	s_and_b64 s[12:13], s[12:13], exec
	v_mov_b32_e32 v49, 0
	s_or_b64 s[0:1], s[0:1], s[12:13]
	s_or_b64 exec, exec, s[8:9]
	s_and_saveexec_b64 s[8:9], s[0:1]
	s_cbranch_execnz .LBB311_1178
	s_branch .LBB311_1179
.LBB311_1567:                           ;   in Loop: Header=BB311_811 Depth=1
	v_cmp_eq_u16_e64 s[0:1], s15, v28
	s_mov_b64 s[8:9], -1
                                        ; implicit-def: $sgpr26
	s_and_saveexec_b64 s[20:21], s[0:1]
; %bb.1568:                             ;   in Loop: Header=BB311_811 Depth=1
	s_mov_b32 s26, 0x7fc02000
	s_xor_b64 s[8:9], exec, -1
; %bb.1569:                             ;   in Loop: Header=BB311_811 Depth=1
	s_or_b64 exec, exec, s[20:21]
	s_and_b64 s[8:9], s[8:9], exec
	s_or_saveexec_b64 s[12:13], s[12:13]
	v_mov_b32_e32 v46, s26
	s_xor_b64 exec, exec, s[12:13]
	s_cbranch_execz .LBB311_1181
.LBB311_1570:                           ;   in Loop: Header=BB311_811 Depth=1
	v_cmp_ne_u16_e64 s[0:1], 0, v28
	s_andn2_b64 s[8:9], s[8:9], exec
	s_and_b64 s[0:1], s[0:1], exec
	v_mov_b32_e32 v46, 0
	s_or_b64 s[8:9], s[8:9], s[0:1]
	s_or_b64 exec, exec, s[12:13]
	s_and_saveexec_b64 s[12:13], s[8:9]
	s_cbranch_execnz .LBB311_1182
	s_branch .LBB311_1183
.LBB311_1571:                           ;   in Loop: Header=BB311_811 Depth=1
	v_cmp_eq_u16_sdwa s[26:27], v48, s15 src0_sel:BYTE_0 src1_sel:DWORD
	s_mov_b64 s[0:1], -1
                                        ; implicit-def: $sgpr20
	s_and_saveexec_b64 s[12:13], s[26:27]
; %bb.1572:                             ;   in Loop: Header=BB311_811 Depth=1
	s_mov_b32 s20, 0x7fc02000
	s_xor_b64 s[0:1], exec, -1
; %bb.1573:                             ;   in Loop: Header=BB311_811 Depth=1
	s_or_b64 exec, exec, s[12:13]
	s_and_b64 s[0:1], s[0:1], exec
	s_or_saveexec_b64 s[8:9], s[8:9]
	v_mov_b32_e32 v50, s20
	s_xor_b64 exec, exec, s[8:9]
	s_cbranch_execz .LBB311_1187
.LBB311_1574:                           ;   in Loop: Header=BB311_811 Depth=1
	v_cmp_ne_u16_sdwa s[12:13], v48, v29 src0_sel:BYTE_0 src1_sel:DWORD
	s_andn2_b64 s[0:1], s[0:1], exec
	s_and_b64 s[12:13], s[12:13], exec
	v_mov_b32_e32 v50, 0
	s_or_b64 s[0:1], s[0:1], s[12:13]
	s_or_b64 exec, exec, s[8:9]
	s_and_saveexec_b64 s[8:9], s[0:1]
	s_cbranch_execnz .LBB311_1188
	s_branch .LBB311_1189
.LBB311_1575:                           ;   in Loop: Header=BB311_811 Depth=1
	v_cmp_eq_u16_e64 s[0:1], s15, v28
	s_mov_b64 s[8:9], -1
                                        ; implicit-def: $sgpr26
	s_and_saveexec_b64 s[20:21], s[0:1]
; %bb.1576:                             ;   in Loop: Header=BB311_811 Depth=1
	s_mov_b32 s26, 0x7fc02000
	s_xor_b64 s[8:9], exec, -1
; %bb.1577:                             ;   in Loop: Header=BB311_811 Depth=1
	s_or_b64 exec, exec, s[20:21]
	s_and_b64 s[8:9], s[8:9], exec
	s_or_saveexec_b64 s[12:13], s[12:13]
	v_mov_b32_e32 v52, s26
	s_xor_b64 exec, exec, s[12:13]
	s_cbranch_execz .LBB311_1191
.LBB311_1578:                           ;   in Loop: Header=BB311_811 Depth=1
	v_cmp_ne_u16_e64 s[0:1], 0, v28
	s_andn2_b64 s[8:9], s[8:9], exec
	s_and_b64 s[0:1], s[0:1], exec
	v_mov_b32_e32 v52, 0
	s_or_b64 s[8:9], s[8:9], s[0:1]
	s_or_b64 exec, exec, s[12:13]
	s_and_saveexec_b64 s[12:13], s[8:9]
	s_cbranch_execnz .LBB311_1192
	s_branch .LBB311_1193
.LBB311_1579:                           ;   in Loop: Header=BB311_811 Depth=1
	v_cmp_eq_u16_sdwa s[26:27], v28, s15 src0_sel:BYTE_0 src1_sel:DWORD
	s_mov_b64 s[0:1], -1
                                        ; implicit-def: $sgpr20
	s_and_saveexec_b64 s[12:13], s[26:27]
; %bb.1580:                             ;   in Loop: Header=BB311_811 Depth=1
	s_mov_b32 s20, 0x7fc02000
	s_xor_b64 s[0:1], exec, -1
; %bb.1581:                             ;   in Loop: Header=BB311_811 Depth=1
	s_or_b64 exec, exec, s[12:13]
	s_and_b64 s[0:1], s[0:1], exec
	s_or_saveexec_b64 s[8:9], s[8:9]
	v_mov_b32_e32 v51, s20
	s_xor_b64 exec, exec, s[8:9]
	s_cbranch_execz .LBB311_1195
.LBB311_1582:                           ;   in Loop: Header=BB311_811 Depth=1
	v_cmp_ne_u16_sdwa s[12:13], v28, v29 src0_sel:BYTE_0 src1_sel:DWORD
	s_andn2_b64 s[0:1], s[0:1], exec
	s_and_b64 s[12:13], s[12:13], exec
	v_mov_b32_e32 v51, 0
	s_or_b64 s[0:1], s[0:1], s[12:13]
	s_or_b64 exec, exec, s[8:9]
	s_and_saveexec_b64 s[8:9], s[0:1]
	s_cbranch_execnz .LBB311_1196
	s_branch .LBB311_1197
.LBB311_1583:                           ;   in Loop: Header=BB311_811 Depth=1
	v_cmp_eq_u16_e64 s[0:1], s15, v28
	s_mov_b64 s[8:9], -1
                                        ; implicit-def: $sgpr26
	s_and_saveexec_b64 s[20:21], s[0:1]
; %bb.1584:                             ;   in Loop: Header=BB311_811 Depth=1
	s_mov_b32 s26, 0x7fc02000
	s_xor_b64 s[8:9], exec, -1
; %bb.1585:                             ;   in Loop: Header=BB311_811 Depth=1
	s_or_b64 exec, exec, s[20:21]
	s_and_b64 s[8:9], s[8:9], exec
	s_or_saveexec_b64 s[12:13], s[12:13]
	v_mov_b32_e32 v53, s26
	s_xor_b64 exec, exec, s[12:13]
	s_cbranch_execz .LBB311_1199
.LBB311_1586:                           ;   in Loop: Header=BB311_811 Depth=1
	v_cmp_ne_u16_e64 s[0:1], 0, v28
	s_andn2_b64 s[8:9], s[8:9], exec
	s_and_b64 s[0:1], s[0:1], exec
	v_mov_b32_e32 v53, 0
	s_or_b64 s[8:9], s[8:9], s[0:1]
	s_or_b64 exec, exec, s[12:13]
	s_and_saveexec_b64 s[12:13], s[8:9]
	s_cbranch_execnz .LBB311_1200
	s_branch .LBB311_1201
.LBB311_1587:                           ;   in Loop: Header=BB311_811 Depth=1
	v_cmp_eq_u16_sdwa s[26:27], v49, s15 src0_sel:BYTE_0 src1_sel:DWORD
	s_mov_b64 s[0:1], -1
                                        ; implicit-def: $sgpr20
	s_and_saveexec_b64 s[12:13], s[26:27]
; %bb.1588:                             ;   in Loop: Header=BB311_811 Depth=1
	s_mov_b32 s20, 0x7fc02000
	s_xor_b64 s[0:1], exec, -1
; %bb.1589:                             ;   in Loop: Header=BB311_811 Depth=1
	s_or_b64 exec, exec, s[12:13]
	s_and_b64 s[0:1], s[0:1], exec
	s_or_saveexec_b64 s[8:9], s[8:9]
	v_mov_b32_e32 v19, s20
	s_xor_b64 exec, exec, s[8:9]
	s_cbranch_execz .LBB311_1203
.LBB311_1590:                           ;   in Loop: Header=BB311_811 Depth=1
	v_cmp_ne_u16_sdwa s[12:13], v49, v29 src0_sel:BYTE_0 src1_sel:DWORD
	s_andn2_b64 s[0:1], s[0:1], exec
	s_and_b64 s[12:13], s[12:13], exec
	v_mov_b32_e32 v19, 0
	s_or_b64 s[0:1], s[0:1], s[12:13]
	s_or_b64 exec, exec, s[8:9]
	v_mov_b32_e32 v28, v49
	s_and_saveexec_b64 s[8:9], s[0:1]
	s_cbranch_execnz .LBB311_1204
	s_branch .LBB311_1205
.LBB311_1591:                           ;   in Loop: Header=BB311_811 Depth=1
	v_cmp_eq_u16_e64 s[0:1], s15, v28
	s_mov_b64 s[8:9], -1
                                        ; implicit-def: $sgpr26
	s_and_saveexec_b64 s[20:21], s[0:1]
; %bb.1592:                             ;   in Loop: Header=BB311_811 Depth=1
	s_mov_b32 s26, 0x7fc02000
	s_xor_b64 s[8:9], exec, -1
; %bb.1593:                             ;   in Loop: Header=BB311_811 Depth=1
	s_or_b64 exec, exec, s[20:21]
	s_and_b64 s[8:9], s[8:9], exec
	s_or_saveexec_b64 s[12:13], s[12:13]
	v_mov_b32_e32 v48, s26
	s_xor_b64 exec, exec, s[12:13]
	s_cbranch_execz .LBB311_1207
.LBB311_1594:                           ;   in Loop: Header=BB311_811 Depth=1
	v_cmp_ne_u16_e64 s[0:1], 0, v28
	s_andn2_b64 s[8:9], s[8:9], exec
	s_and_b64 s[0:1], s[0:1], exec
	v_mov_b32_e32 v48, 0
	s_or_b64 s[8:9], s[8:9], s[0:1]
	s_or_b64 exec, exec, s[12:13]
	s_and_saveexec_b64 s[12:13], s[8:9]
	s_cbranch_execnz .LBB311_1208
	s_branch .LBB311_1209
.LBB311_1595:                           ;   in Loop: Header=BB311_811 Depth=1
	v_cmp_eq_u16_sdwa s[26:27], v28, s15 src0_sel:BYTE_0 src1_sel:DWORD
	s_mov_b64 s[0:1], -1
                                        ; implicit-def: $sgpr20
	s_and_saveexec_b64 s[12:13], s[26:27]
; %bb.1596:                             ;   in Loop: Header=BB311_811 Depth=1
	s_mov_b32 s20, 0x7fc02000
	s_xor_b64 s[0:1], exec, -1
; %bb.1597:                             ;   in Loop: Header=BB311_811 Depth=1
	s_or_b64 exec, exec, s[12:13]
	s_and_b64 s[0:1], s[0:1], exec
	s_or_saveexec_b64 s[8:9], s[8:9]
	v_mov_b32_e32 v54, s20
	s_xor_b64 exec, exec, s[8:9]
	s_cbranch_execz .LBB311_1211
.LBB311_1598:                           ;   in Loop: Header=BB311_811 Depth=1
	v_cmp_ne_u16_sdwa s[12:13], v28, v29 src0_sel:BYTE_0 src1_sel:DWORD
	s_andn2_b64 s[0:1], s[0:1], exec
	s_and_b64 s[12:13], s[12:13], exec
	v_mov_b32_e32 v54, 0
	s_or_b64 s[0:1], s[0:1], s[12:13]
	s_or_b64 exec, exec, s[8:9]
	s_and_saveexec_b64 s[8:9], s[0:1]
	s_cbranch_execnz .LBB311_1212
	s_branch .LBB311_1213
.LBB311_1599:                           ;   in Loop: Header=BB311_811 Depth=1
	v_cmp_eq_u16_e64 s[0:1], s15, v28
	s_mov_b64 s[8:9], -1
                                        ; implicit-def: $sgpr26
	s_and_saveexec_b64 s[20:21], s[0:1]
; %bb.1600:                             ;   in Loop: Header=BB311_811 Depth=1
	s_mov_b32 s26, 0x7fc02000
	s_xor_b64 s[8:9], exec, -1
; %bb.1601:                             ;   in Loop: Header=BB311_811 Depth=1
	s_or_b64 exec, exec, s[20:21]
	s_and_b64 s[8:9], s[8:9], exec
	s_or_saveexec_b64 s[12:13], s[12:13]
	v_mov_b32_e32 v55, s26
	s_xor_b64 exec, exec, s[12:13]
	s_cbranch_execz .LBB311_1215
.LBB311_1602:                           ;   in Loop: Header=BB311_811 Depth=1
	v_cmp_ne_u16_e64 s[0:1], 0, v28
	s_andn2_b64 s[8:9], s[8:9], exec
	s_and_b64 s[0:1], s[0:1], exec
	v_mov_b32_e32 v55, 0
	s_or_b64 s[8:9], s[8:9], s[0:1]
	s_or_b64 exec, exec, s[12:13]
	s_and_saveexec_b64 s[12:13], s[8:9]
	s_cbranch_execnz .LBB311_1216
	s_branch .LBB311_1217
.LBB311_1603:
	s_or_b64 exec, exec, s[6:7]
	v_accvgpr_read_b32 v26, a16
	v_accvgpr_read_b32 v27, a17
	;; [unrolled: 1-line block ×4, first 2 shown]
.LBB311_1604:
	s_or_b64 exec, exec, s[4:5]
	ds_bpermute_b32 v4, v27, v30
	ds_bpermute_b32 v5, v27, v31
	;; [unrolled: 1-line block ×6, first 2 shown]
	s_waitcnt lgkmcnt(0)
	v_pk_add_f32 v[4:5], v[30:31], v[4:5]
	ds_bpermute_b32 v10, v28, v4
	ds_bpermute_b32 v11, v28, v5
	v_pk_add_f32 v[16:17], v[24:25], v[6:7]
	ds_bpermute_b32 v18, v28, v16
	ds_bpermute_b32 v19, v28, v17
	s_waitcnt lgkmcnt(0)
	v_pk_add_f32 v[6:7], v[4:5], v[10:11]
	v_pk_add_f32 v[4:5], v[12:13], v[14:15]
	ds_bpermute_b32 v12, v27, v2
	ds_bpermute_b32 v13, v27, v3
	s_barrier
	s_waitcnt lgkmcnt(0)
	ds_bpermute_b32 v10, v27, v8
	ds_bpermute_b32 v11, v27, v9
	v_pk_add_f32 v[2:3], v[2:3], v[12:13]
	v_pk_add_f32 v[12:13], v[16:17], v[18:19]
	scratch_load_dword v16, off, s32 offset:372 ; 4-byte Folded Reload
	ds_bpermute_b32 v24, v27, v0
	ds_bpermute_b32 v25, v27, v1
	;; [unrolled: 1-line block ×4, first 2 shown]
	s_waitcnt lgkmcnt(0)
	v_pk_add_f32 v[8:9], v[8:9], v[10:11]
	ds_bpermute_b32 v20, v28, v8
	ds_bpermute_b32 v21, v28, v9
	;; [unrolled: 1-line block ×4, first 2 shown]
	v_pk_add_f32 v[0:1], v[0:1], v[24:25]
	v_pk_add_f32 v[10:11], v[4:5], v[14:15]
	ds_bpermute_b32 v14, v28, v0
	ds_bpermute_b32 v15, v28, v1
	s_waitcnt lgkmcnt(0)
	v_pk_add_f32 v[8:9], v[8:9], v[20:21]
	v_pk_add_f32 v[2:3], v[2:3], v[22:23]
	s_waitcnt vmcnt(0)
	v_and_b32_e32 v4, 0x3c3, v16
	v_cmp_ne_u32_e32 vcc, 64, v4
	s_and_saveexec_b64 s[0:1], vcc
	s_xor_b64 s[0:1], exec, s[0:1]
; %bb.1605:
                                        ; implicit-def: $vgpr26
; %bb.1606:
	s_or_saveexec_b64 s[0:1], s[0:1]
	v_pk_add_f32 v[0:1], v[0:1], v[14:15]
	s_xor_b64 exec, exec, s[0:1]
	s_cbranch_execz .LBB311_1608
; %bb.1607:
	s_ashr_i32 s17, s16, 31
	s_lshl_b64 s[4:5], s[16:17], 2
	s_getpc_b64 s[6:7]
	s_add_u32 s6, s6, llvm.amdgcn.dynlds.offset.table@rel32@lo+4
	s_addc_u32 s7, s7, llvm.amdgcn.dynlds.offset.table@rel32@hi+12
	s_add_u32 s4, s4, s6
	s_addc_u32 s5, s5, s7
	s_load_dword s3, s[4:5], 0x0
	s_waitcnt lgkmcnt(0)
	v_add_u32_e32 v5, s3, v26
	ds_write2_b32 v5, v6, v7 offset1:16
	ds_write2_b32 v5, v12, v13 offset0:32 offset1:48
	ds_write2_b32 v5, v10, v11 offset0:64 offset1:80
	;; [unrolled: 1-line block ×5, first 2 shown]
.LBB311_1608:
	s_or_b64 exec, exec, s[0:1]
	v_cmp_gt_u32_e32 vcc, 64, v16
	s_waitcnt lgkmcnt(0)
	s_barrier
	s_and_saveexec_b64 s[0:1], vcc
	s_cbranch_execz .LBB311_1623
; %bb.1609:
	v_cmp_eq_u32_e32 vcc, 0, v32
	v_lshrrev_b32_e32 v5, 2, v16
	s_and_saveexec_b64 s[4:5], vcc
	s_cbranch_execnz .LBB311_1626
; %bb.1610:
	s_or_b64 exec, exec, s[4:5]
	s_and_saveexec_b64 s[4:5], vcc
	s_cbranch_execnz .LBB311_1627
.LBB311_1611:
	s_or_b64 exec, exec, s[4:5]
	s_and_saveexec_b64 s[4:5], vcc
	s_cbranch_execnz .LBB311_1628
.LBB311_1612:
	s_or_b64 exec, exec, s[4:5]
	s_and_saveexec_b64 s[4:5], vcc
	s_cbranch_execnz .LBB311_1629
.LBB311_1613:
	s_or_b64 exec, exec, s[4:5]
	s_and_saveexec_b64 s[4:5], vcc
	s_cbranch_execnz .LBB311_1630
.LBB311_1614:
	s_or_b64 exec, exec, s[4:5]
	s_and_saveexec_b64 s[4:5], vcc
	s_cbranch_execnz .LBB311_1631
.LBB311_1615:
	s_or_b64 exec, exec, s[4:5]
	s_and_saveexec_b64 s[4:5], vcc
	s_cbranch_execnz .LBB311_1632
.LBB311_1616:
	s_or_b64 exec, exec, s[4:5]
	s_and_saveexec_b64 s[4:5], vcc
	s_cbranch_execnz .LBB311_1633
.LBB311_1617:
	s_or_b64 exec, exec, s[4:5]
	s_and_saveexec_b64 s[4:5], vcc
	s_cbranch_execnz .LBB311_1634
.LBB311_1618:
	s_or_b64 exec, exec, s[4:5]
	s_and_saveexec_b64 s[4:5], vcc
	s_cbranch_execnz .LBB311_1635
.LBB311_1619:
	s_or_b64 exec, exec, s[4:5]
	s_and_saveexec_b64 s[4:5], vcc
	s_cbranch_execnz .LBB311_1636
.LBB311_1620:
	s_or_b64 exec, exec, s[4:5]
	s_and_saveexec_b64 s[4:5], vcc
	s_cbranch_execz .LBB311_1622
.LBB311_1621:
	s_ashr_i32 s17, s16, 31
	s_lshl_b64 s[6:7], s[16:17], 2
	s_getpc_b64 s[8:9]
	s_add_u32 s8, s8, llvm.amdgcn.dynlds.offset.table@rel32@lo+4
	s_addc_u32 s9, s9, llvm.amdgcn.dynlds.offset.table@rel32@hi+12
	s_add_u32 s6, s6, s8
	s_addc_u32 s7, s7, s9
	s_load_dword s3, s[6:7], 0x0
	s_waitcnt lgkmcnt(0)
	v_lshl_add_u32 v5, v5, 2, s3
	ds_read_b32 v5, v5 offset:704
	s_waitcnt lgkmcnt(0)
	v_add_f32_e32 v1, v5, v1
.LBB311_1622:
	s_or_b64 exec, exec, s[4:5]
.LBB311_1623:
	s_or_b64 exec, exec, s[0:1]
	v_cmp_eq_u32_e32 vcc, 0, v4
	s_barrier
	s_and_b64 exec, exec, vcc
	s_cbranch_execz .LBB311_1625
; %bb.1624:
	scratch_load_dwordx2 v[4:5], off, s32 offset:376 ; 8-byte Folded Reload
	s_mul_i32 s0, s2, 0xc0
	s_mul_i32 s2, s18, s19
	;; [unrolled: 1-line block ×3, first 2 shown]
	s_ashr_i32 s1, s0, 31
	s_ashr_i32 s3, s2, 31
	;; [unrolled: 1-line block ×3, first 2 shown]
	s_lshl_b64 s[0:1], s[0:1], 1
	s_lshl_b64 s[2:3], s[2:3], 1
	;; [unrolled: 1-line block ×3, first 2 shown]
	s_add_u32 s2, s4, s2
	s_addc_u32 s3, s5, s3
	s_add_u32 s0, s2, s0
	s_addc_u32 s1, s3, s1
	v_lshrrev_b32_e32 v14, 1, v16
	v_mov_b32_e32 v15, 0
	;;#ASMSTART
	v_cvt_f16_f32 v6, v6;

	;;#ASMEND
	s_waitcnt vmcnt(0)
	v_lshl_add_u64 v[4:5], s[0:1], 0, v[4:5]
	v_lshl_add_u64 v[4:5], v[4:5], 0, v[14:15]
	flat_store_short v[4:5], v6
	;;#ASMSTART
	v_cvt_f16_f32 v6, v7;

	;;#ASMEND
	flat_store_short v[4:5], v6 offset:32
	;;#ASMSTART
	v_cvt_f16_f32 v6, v12;

	;;#ASMEND
	flat_store_short v[4:5], v6 offset:64
	;; [unrolled: 5-line block ×11, first 2 shown]
.LBB311_1625:
	s_or_b64 exec, exec, s[10:11]
	scratch_load_dword a63, off, s32        ; 4-byte Folded Reload
	scratch_load_dword a62, off, s32 offset:4 ; 4-byte Folded Reload
	scratch_load_dword a61, off, s32 offset:8 ; 4-byte Folded Reload
	;; [unrolled: 1-line block ×46, first 2 shown]
	v_readlane_b32 s30, v63, 12
	v_readlane_b32 s31, v63, 13
	;; [unrolled: 1-line block ×14, first 2 shown]
	s_or_saveexec_b64 s[0:1], -1
	scratch_load_dword v63, off, s32 offset:440 ; 4-byte Folded Reload
	s_mov_b64 exec, s[0:1]
	s_waitcnt vmcnt(0) lgkmcnt(0)
	s_setpc_b64 s[30:31]
.LBB311_1626:
	s_ashr_i32 s17, s16, 31
	s_lshl_b64 s[6:7], s[16:17], 2
	s_getpc_b64 s[8:9]
	s_add_u32 s8, s8, llvm.amdgcn.dynlds.offset.table@rel32@lo+4
	s_addc_u32 s9, s9, llvm.amdgcn.dynlds.offset.table@rel32@hi+12
	s_add_u32 s6, s6, s8
	s_addc_u32 s7, s7, s9
	s_load_dword s3, s[6:7], 0x0
	s_waitcnt lgkmcnt(0)
	v_lshl_add_u32 v14, v5, 2, s3
	ds_read_b32 v14, v14
	s_waitcnt lgkmcnt(0)
	v_add_f32_e32 v6, v14, v6
	s_or_b64 exec, exec, s[4:5]
	s_and_saveexec_b64 s[4:5], vcc
	s_cbranch_execz .LBB311_1611
.LBB311_1627:
	s_ashr_i32 s17, s16, 31
	s_lshl_b64 s[6:7], s[16:17], 2
	s_getpc_b64 s[8:9]
	s_add_u32 s8, s8, llvm.amdgcn.dynlds.offset.table@rel32@lo+4
	s_addc_u32 s9, s9, llvm.amdgcn.dynlds.offset.table@rel32@hi+12
	s_add_u32 s6, s6, s8
	s_addc_u32 s7, s7, s9
	s_load_dword s3, s[6:7], 0x0
	s_waitcnt lgkmcnt(0)
	v_lshl_add_u32 v14, v5, 2, s3
	ds_read_b32 v14, v14 offset:64
	s_waitcnt lgkmcnt(0)
	v_add_f32_e32 v7, v14, v7
	s_or_b64 exec, exec, s[4:5]
	s_and_saveexec_b64 s[4:5], vcc
	s_cbranch_execz .LBB311_1612
.LBB311_1628:
	s_ashr_i32 s17, s16, 31
	s_lshl_b64 s[6:7], s[16:17], 2
	s_getpc_b64 s[8:9]
	s_add_u32 s8, s8, llvm.amdgcn.dynlds.offset.table@rel32@lo+4
	s_addc_u32 s9, s9, llvm.amdgcn.dynlds.offset.table@rel32@hi+12
	s_add_u32 s6, s6, s8
	s_addc_u32 s7, s7, s9
	s_load_dword s3, s[6:7], 0x0
	s_waitcnt lgkmcnt(0)
	v_lshl_add_u32 v14, v5, 2, s3
	ds_read_b32 v14, v14 offset:128
	s_waitcnt lgkmcnt(0)
	v_add_f32_e32 v12, v14, v12
	s_or_b64 exec, exec, s[4:5]
	s_and_saveexec_b64 s[4:5], vcc
	s_cbranch_execz .LBB311_1613
.LBB311_1629:
	s_ashr_i32 s17, s16, 31
	s_lshl_b64 s[6:7], s[16:17], 2
	s_getpc_b64 s[8:9]
	s_add_u32 s8, s8, llvm.amdgcn.dynlds.offset.table@rel32@lo+4
	s_addc_u32 s9, s9, llvm.amdgcn.dynlds.offset.table@rel32@hi+12
	s_add_u32 s6, s6, s8
	s_addc_u32 s7, s7, s9
	s_load_dword s3, s[6:7], 0x0
	s_waitcnt lgkmcnt(0)
	v_lshl_add_u32 v14, v5, 2, s3
	ds_read_b32 v14, v14 offset:192
	s_waitcnt lgkmcnt(0)
	v_add_f32_e32 v13, v14, v13
	s_or_b64 exec, exec, s[4:5]
	s_and_saveexec_b64 s[4:5], vcc
	s_cbranch_execz .LBB311_1614
.LBB311_1630:
	s_ashr_i32 s17, s16, 31
	s_lshl_b64 s[6:7], s[16:17], 2
	s_getpc_b64 s[8:9]
	s_add_u32 s8, s8, llvm.amdgcn.dynlds.offset.table@rel32@lo+4
	s_addc_u32 s9, s9, llvm.amdgcn.dynlds.offset.table@rel32@hi+12
	s_add_u32 s6, s6, s8
	s_addc_u32 s7, s7, s9
	s_load_dword s3, s[6:7], 0x0
	s_waitcnt lgkmcnt(0)
	v_lshl_add_u32 v14, v5, 2, s3
	ds_read_b32 v14, v14 offset:256
	s_waitcnt lgkmcnt(0)
	v_add_f32_e32 v10, v14, v10
	s_or_b64 exec, exec, s[4:5]
	s_and_saveexec_b64 s[4:5], vcc
	s_cbranch_execz .LBB311_1615
.LBB311_1631:
	s_ashr_i32 s17, s16, 31
	s_lshl_b64 s[6:7], s[16:17], 2
	s_getpc_b64 s[8:9]
	s_add_u32 s8, s8, llvm.amdgcn.dynlds.offset.table@rel32@lo+4
	s_addc_u32 s9, s9, llvm.amdgcn.dynlds.offset.table@rel32@hi+12
	s_add_u32 s6, s6, s8
	s_addc_u32 s7, s7, s9
	s_load_dword s3, s[6:7], 0x0
	s_waitcnt lgkmcnt(0)
	v_lshl_add_u32 v14, v5, 2, s3
	ds_read_b32 v14, v14 offset:320
	s_waitcnt lgkmcnt(0)
	v_add_f32_e32 v11, v14, v11
	s_or_b64 exec, exec, s[4:5]
	s_and_saveexec_b64 s[4:5], vcc
	s_cbranch_execz .LBB311_1616
.LBB311_1632:
	s_ashr_i32 s17, s16, 31
	s_lshl_b64 s[6:7], s[16:17], 2
	s_getpc_b64 s[8:9]
	s_add_u32 s8, s8, llvm.amdgcn.dynlds.offset.table@rel32@lo+4
	s_addc_u32 s9, s9, llvm.amdgcn.dynlds.offset.table@rel32@hi+12
	s_add_u32 s6, s6, s8
	s_addc_u32 s7, s7, s9
	s_load_dword s3, s[6:7], 0x0
	s_waitcnt lgkmcnt(0)
	v_lshl_add_u32 v14, v5, 2, s3
	ds_read_b32 v14, v14 offset:384
	s_waitcnt lgkmcnt(0)
	v_add_f32_e32 v8, v14, v8
	s_or_b64 exec, exec, s[4:5]
	s_and_saveexec_b64 s[4:5], vcc
	s_cbranch_execz .LBB311_1617
.LBB311_1633:
	s_ashr_i32 s17, s16, 31
	s_lshl_b64 s[6:7], s[16:17], 2
	s_getpc_b64 s[8:9]
	s_add_u32 s8, s8, llvm.amdgcn.dynlds.offset.table@rel32@lo+4
	s_addc_u32 s9, s9, llvm.amdgcn.dynlds.offset.table@rel32@hi+12
	s_add_u32 s6, s6, s8
	s_addc_u32 s7, s7, s9
	s_load_dword s3, s[6:7], 0x0
	s_waitcnt lgkmcnt(0)
	v_lshl_add_u32 v14, v5, 2, s3
	ds_read_b32 v14, v14 offset:448
	s_waitcnt lgkmcnt(0)
	v_add_f32_e32 v9, v14, v9
	s_or_b64 exec, exec, s[4:5]
	s_and_saveexec_b64 s[4:5], vcc
	s_cbranch_execz .LBB311_1618
.LBB311_1634:
	s_ashr_i32 s17, s16, 31
	s_lshl_b64 s[6:7], s[16:17], 2
	s_getpc_b64 s[8:9]
	s_add_u32 s8, s8, llvm.amdgcn.dynlds.offset.table@rel32@lo+4
	s_addc_u32 s9, s9, llvm.amdgcn.dynlds.offset.table@rel32@hi+12
	s_add_u32 s6, s6, s8
	s_addc_u32 s7, s7, s9
	s_load_dword s3, s[6:7], 0x0
	s_waitcnt lgkmcnt(0)
	v_lshl_add_u32 v14, v5, 2, s3
	ds_read_b32 v14, v14 offset:512
	s_waitcnt lgkmcnt(0)
	v_add_f32_e32 v2, v14, v2
	s_or_b64 exec, exec, s[4:5]
	s_and_saveexec_b64 s[4:5], vcc
	s_cbranch_execz .LBB311_1619
.LBB311_1635:
	s_ashr_i32 s17, s16, 31
	s_lshl_b64 s[6:7], s[16:17], 2
	s_getpc_b64 s[8:9]
	s_add_u32 s8, s8, llvm.amdgcn.dynlds.offset.table@rel32@lo+4
	s_addc_u32 s9, s9, llvm.amdgcn.dynlds.offset.table@rel32@hi+12
	s_add_u32 s6, s6, s8
	s_addc_u32 s7, s7, s9
	s_load_dword s3, s[6:7], 0x0
	s_waitcnt lgkmcnt(0)
	v_lshl_add_u32 v14, v5, 2, s3
	ds_read_b32 v14, v14 offset:576
	s_waitcnt lgkmcnt(0)
	v_add_f32_e32 v3, v14, v3
	s_or_b64 exec, exec, s[4:5]
	s_and_saveexec_b64 s[4:5], vcc
	s_cbranch_execz .LBB311_1620
.LBB311_1636:
	s_ashr_i32 s17, s16, 31
	s_lshl_b64 s[6:7], s[16:17], 2
	s_getpc_b64 s[8:9]
	s_add_u32 s8, s8, llvm.amdgcn.dynlds.offset.table@rel32@lo+4
	s_addc_u32 s9, s9, llvm.amdgcn.dynlds.offset.table@rel32@hi+12
	s_add_u32 s6, s6, s8
	s_addc_u32 s7, s7, s9
	s_load_dword s3, s[6:7], 0x0
	s_waitcnt lgkmcnt(0)
	v_lshl_add_u32 v14, v5, 2, s3
	ds_read_b32 v14, v14 offset:640
	s_waitcnt lgkmcnt(0)
	v_add_f32_e32 v0, v14, v0
	s_or_b64 exec, exec, s[4:5]
	s_and_saveexec_b64 s[4:5], vcc
	s_cbranch_execnz .LBB311_1621
	s_branch .LBB311_1622
.Lfunc_end311:
	.size	_ZN4vllm22paged_attention_kernelIthLi192ELi32ELi128ELNS_18Fp8KVCacheDataTypeE1ELb0ELi512EEEvPfS2_PT_PKS3_PKT0_S9_ifPKiSB_iPKfiiiSD_SD_iiiii, .Lfunc_end311-_ZN4vllm22paged_attention_kernelIthLi192ELi32ELi128ELNS_18Fp8KVCacheDataTypeE1ELb0ELi512EEEvPfS2_PT_PKS3_PKT0_S9_ifPKiSB_iPKfiiiSD_SD_iiiii
                                        ; -- End function
	.section	.AMDGPU.csdata,"",@progbits
; Function info:
; codeLenInByte = 65704
; NumSgprs: 52
; NumVgprs: 64
; NumAgprs: 64
; TotalNumVgprs: 128
; ScratchSize: 448
; MemoryBound: 0
	.section	.text._ZN4vllm25paged_attention_v2_kernelIthLi192ELi32ELi128ELNS_18Fp8KVCacheDataTypeE1ELb0ELi512EEEvPfS2_PT_PKS3_PKT0_S9_ifPKiSB_iPKfiiiSD_SD_iiiii,"axG",@progbits,_ZN4vllm25paged_attention_v2_kernelIthLi192ELi32ELi128ELNS_18Fp8KVCacheDataTypeE1ELb0ELi512EEEvPfS2_PT_PKS3_PKT0_S9_ifPKiSB_iPKfiiiSD_SD_iiiii,comdat
	.protected	_ZN4vllm25paged_attention_v2_kernelIthLi192ELi32ELi128ELNS_18Fp8KVCacheDataTypeE1ELb0ELi512EEEvPfS2_PT_PKS3_PKT0_S9_ifPKiSB_iPKfiiiSD_SD_iiiii ; -- Begin function _ZN4vllm25paged_attention_v2_kernelIthLi192ELi32ELi128ELNS_18Fp8KVCacheDataTypeE1ELb0ELi512EEEvPfS2_PT_PKS3_PKT0_S9_ifPKiSB_iPKfiiiSD_SD_iiiii
	.globl	_ZN4vllm25paged_attention_v2_kernelIthLi192ELi32ELi128ELNS_18Fp8KVCacheDataTypeE1ELb0ELi512EEEvPfS2_PT_PKS3_PKT0_S9_ifPKiSB_iPKfiiiSD_SD_iiiii
	.p2align	8
	.type	_ZN4vllm25paged_attention_v2_kernelIthLi192ELi32ELi128ELNS_18Fp8KVCacheDataTypeE1ELb0ELi512EEEvPfS2_PT_PKS3_PKT0_S9_ifPKiSB_iPKfiiiSD_SD_iiiii,@function
_ZN4vllm25paged_attention_v2_kernelIthLi192ELi32ELi128ELNS_18Fp8KVCacheDataTypeE1ELb0ELi512EEEvPfS2_PT_PKS3_PKT0_S9_ifPKiSB_iPKfiiiSD_SD_iiiii: ; @_ZN4vllm25paged_attention_v2_kernelIthLi192ELi32ELi128ELNS_18Fp8KVCacheDataTypeE1ELb0ELi512EEEvPfS2_PT_PKS3_PKT0_S9_ifPKiSB_iPKfiiiSD_SD_iiiii
; %bb.0:
	s_load_dwordx8 s[24:31], s[0:1], 0x0
	s_load_dwordx8 s[16:23], s[0:1], 0x20
	s_load_dwordx2 s[6:7], s[0:1], 0x40
	s_load_dwordx2 s[10:11], s[0:1], 0x50
	s_load_dword s5, s[0:1], 0x48
	s_load_dwordx8 s[36:43], s[0:1], 0x58
	s_add_u32 s8, s0, 0x90
	s_addc_u32 s9, s1, 0
	s_mov_b32 s12, s2
	s_mov_b32 s13, s3
	;; [unrolled: 1-line block ×4, first 2 shown]
	v_mov_b32_e32 v31, v0
	s_waitcnt lgkmcnt(0)
	v_mov_b32_e32 v0, s24
	v_mov_b32_e32 v1, s25
	v_mov_b32_e32 v2, s26
	v_mov_b32_e32 v3, s27
	v_mov_b32_e32 v4, s28
	v_mov_b32_e32 v5, s29
	v_mov_b32_e32 v6, s30
	v_mov_b32_e32 v7, s31
	v_mov_b32_e32 v8, s16
	v_mov_b32_e32 v9, s17
	v_mov_b32_e32 v10, s18
	v_mov_b32_e32 v11, s19
	v_mov_b32_e32 v12, s20
	v_mov_b32_e32 v13, s21
	v_mov_b32_e32 v14, s22
	v_mov_b32_e32 v15, s23
	v_mov_b32_e32 v16, s6
	v_mov_b32_e32 v17, s7
	v_mov_b32_e32 v18, s5
	v_mov_b32_e32 v19, s10
	v_mov_b32_e32 v20, s11
	v_mov_b32_e32 v21, s36
	v_mov_b32_e32 v22, s37
	v_mov_b32_e32 v23, s38
	v_mov_b32_e32 v24, s40
	v_mov_b32_e32 v25, s41
	v_mov_b32_e32 v26, s42
	v_mov_b32_e32 v27, s43
	s_mov_b32 s32, 0
	s_getpc_b64 s[0:1]
	s_add_u32 s0, s0, _ZN4vllm22paged_attention_kernelIthLi192ELi32ELi128ELNS_18Fp8KVCacheDataTypeE1ELb0ELi512EEEvPfS2_PT_PKS3_PKT0_S9_ifPKiSB_iPKfiiiSD_SD_iiiii@rel32@lo+4
	s_addc_u32 s1, s1, _ZN4vllm22paged_attention_kernelIthLi192ELi32ELi128ELNS_18Fp8KVCacheDataTypeE1ELb0ELi512EEEvPfS2_PT_PKS3_PKT0_S9_ifPKiSB_iPKfiiiSD_SD_iiiii@rel32@hi+12
	s_swappc_b64 s[30:31], s[0:1]
	s_endpgm
	.section	.rodata,"a",@progbits
	.p2align	6, 0x0
	.amdhsa_kernel _ZN4vllm25paged_attention_v2_kernelIthLi192ELi32ELi128ELNS_18Fp8KVCacheDataTypeE1ELb0ELi512EEEvPfS2_PT_PKS3_PKT0_S9_ifPKiSB_iPKfiiiSD_SD_iiiii
		.amdhsa_group_segment_fixed_size 400
		.amdhsa_private_segment_fixed_size 448
		.amdhsa_kernarg_size 400
		.amdhsa_user_sgpr_count 2
		.amdhsa_user_sgpr_dispatch_ptr 0
		.amdhsa_user_sgpr_queue_ptr 0
		.amdhsa_user_sgpr_kernarg_segment_ptr 1
		.amdhsa_user_sgpr_dispatch_id 0
		.amdhsa_user_sgpr_kernarg_preload_length 0
		.amdhsa_user_sgpr_kernarg_preload_offset 0
		.amdhsa_user_sgpr_private_segment_size 0
		.amdhsa_uses_dynamic_stack 0
		.amdhsa_enable_private_segment 1
		.amdhsa_system_sgpr_workgroup_id_x 1
		.amdhsa_system_sgpr_workgroup_id_y 1
		.amdhsa_system_sgpr_workgroup_id_z 1
		.amdhsa_system_sgpr_workgroup_info 0
		.amdhsa_system_vgpr_workitem_id 0
		.amdhsa_next_free_vgpr 128
		.amdhsa_next_free_sgpr 46
		.amdhsa_accum_offset 64
		.amdhsa_reserve_vcc 1
		.amdhsa_float_round_mode_32 0
		.amdhsa_float_round_mode_16_64 0
		.amdhsa_float_denorm_mode_32 3
		.amdhsa_float_denorm_mode_16_64 3
		.amdhsa_dx10_clamp 1
		.amdhsa_ieee_mode 1
		.amdhsa_fp16_overflow 0
		.amdhsa_tg_split 0
		.amdhsa_exception_fp_ieee_invalid_op 0
		.amdhsa_exception_fp_denorm_src 0
		.amdhsa_exception_fp_ieee_div_zero 0
		.amdhsa_exception_fp_ieee_overflow 0
		.amdhsa_exception_fp_ieee_underflow 0
		.amdhsa_exception_fp_ieee_inexact 0
		.amdhsa_exception_int_div_zero 0
	.end_amdhsa_kernel
	.section	.text._ZN4vllm25paged_attention_v2_kernelIthLi192ELi32ELi128ELNS_18Fp8KVCacheDataTypeE1ELb0ELi512EEEvPfS2_PT_PKS3_PKT0_S9_ifPKiSB_iPKfiiiSD_SD_iiiii,"axG",@progbits,_ZN4vllm25paged_attention_v2_kernelIthLi192ELi32ELi128ELNS_18Fp8KVCacheDataTypeE1ELb0ELi512EEEvPfS2_PT_PKS3_PKT0_S9_ifPKiSB_iPKfiiiSD_SD_iiiii,comdat
.Lfunc_end312:
	.size	_ZN4vllm25paged_attention_v2_kernelIthLi192ELi32ELi128ELNS_18Fp8KVCacheDataTypeE1ELb0ELi512EEEvPfS2_PT_PKS3_PKT0_S9_ifPKiSB_iPKfiiiSD_SD_iiiii, .Lfunc_end312-_ZN4vllm25paged_attention_v2_kernelIthLi192ELi32ELi128ELNS_18Fp8KVCacheDataTypeE1ELb0ELi512EEEvPfS2_PT_PKS3_PKT0_S9_ifPKiSB_iPKfiiiSD_SD_iiiii
                                        ; -- End function
	.section	.AMDGPU.csdata,"",@progbits
; Kernel info:
; codeLenInByte = 228
; NumSgprs: 52
; NumVgprs: 64
; NumAgprs: 64
; TotalNumVgprs: 128
; ScratchSize: 448
; MemoryBound: 0
; FloatMode: 240
; IeeeMode: 1
; LDSByteSize: 400 bytes/workgroup (compile time only)
; SGPRBlocks: 6
; VGPRBlocks: 15
; NumSGPRsForWavesPerEU: 52
; NumVGPRsForWavesPerEU: 128
; AccumOffset: 64
; Occupancy: 4
; WaveLimiterHint : 1
; COMPUTE_PGM_RSRC2:SCRATCH_EN: 1
; COMPUTE_PGM_RSRC2:USER_SGPR: 2
; COMPUTE_PGM_RSRC2:TRAP_HANDLER: 0
; COMPUTE_PGM_RSRC2:TGID_X_EN: 1
; COMPUTE_PGM_RSRC2:TGID_Y_EN: 1
; COMPUTE_PGM_RSRC2:TGID_Z_EN: 1
; COMPUTE_PGM_RSRC2:TIDIG_COMP_CNT: 0
; COMPUTE_PGM_RSRC3_GFX90A:ACCUM_OFFSET: 15
; COMPUTE_PGM_RSRC3_GFX90A:TG_SPLIT: 0
	.text
	.p2align	2                               ; -- Begin function _ZN4vllm22paged_attention_kernelIthLi256ELi32ELi128ELNS_18Fp8KVCacheDataTypeE1ELb0ELi512EEEvPfS2_PT_PKS3_PKT0_S9_ifPKiSB_iPKfiiiSD_SD_iiiii
	.type	_ZN4vllm22paged_attention_kernelIthLi256ELi32ELi128ELNS_18Fp8KVCacheDataTypeE1ELb0ELi512EEEvPfS2_PT_PKS3_PKT0_S9_ifPKiSB_iPKfiiiSD_SD_iiiii,@function
_ZN4vllm22paged_attention_kernelIthLi256ELi32ELi128ELNS_18Fp8KVCacheDataTypeE1ELb0ELi512EEEvPfS2_PT_PKS3_PKT0_S9_ifPKiSB_iPKfiiiSD_SD_iiiii: ; @_ZN4vllm22paged_attention_kernelIthLi256ELi32ELi128ELNS_18Fp8KVCacheDataTypeE1ELb0ELi512EEEvPfS2_PT_PKS3_PKT0_S9_ifPKiSB_iPKfiiiSD_SD_iiiii
; %bb.0:
	s_waitcnt vmcnt(0) expcnt(0) lgkmcnt(0)
	s_or_saveexec_b64 s[0:1], -1
	scratch_store_dword off, v63, s32 offset:680 ; 4-byte Folded Spill
	s_mov_b64 exec, s[0:1]
	scratch_store_dword off, v40, s32 offset:184 ; 4-byte Folded Spill
	scratch_store_dword off, v41, s32 offset:180 ; 4-byte Folded Spill
	;; [unrolled: 1-line block ×46, first 2 shown]
	scratch_store_dword off, a63, s32       ; 4-byte Folded Spill
	v_writelane_b32 v63, s34, 0
	v_writelane_b32 v63, s35, 1
	;; [unrolled: 1-line block ×23, first 2 shown]
	s_nop 1
	v_writelane_b32 v63, s31, 23
	s_mov_b32 s20, s13
	s_ashr_i32 s21, s13, 31
	scratch_store_dwordx2 off, v[26:27], s32 offset:188 ; 8-byte Folded Spill
	scratch_store_dwordx2 off, v[24:25], s32 offset:556 ; 8-byte Folded Spill
	;; [unrolled: 1-line block ×4, first 2 shown]
	scratch_store_dword off, v13, s32 offset:592 ; 4-byte Folded Spill
	scratch_store_dwordx2 off, v[10:11], s32 offset:616 ; 8-byte Folded Spill
	scratch_store_dwordx2 off, v[2:3], s32 offset:624 ; 8-byte Folded Spill
	v_mov_b32_e32 v25, v1
	v_mov_b32_e32 v24, v0
	v_lshl_add_u64 v[0:1], s[20:21], 2, v[16:17]
	flat_load_dword v0, v[0:1]
	s_lshl_b32 s21, s14, 9
	v_mov_b32_e32 v29, v20
	v_mov_b32_e32 v28, v19
	s_waitcnt vmcnt(0) lgkmcnt(0)
	v_mov_b32_e32 v2, v0
	v_cmp_lt_i32_e32 vcc, s21, v0
	scratch_store_dwordx2 off, v[2:3], s32 offset:196 ; 8-byte Folded Spill
	s_and_saveexec_b64 s[10:11], vcc
	s_cbranch_execz .LBB313_2149
; %bb.1:
	v_sub_u32_e32 v0, 0, v12
	v_max_i32_e32 v0, v12, v0
	v_cvt_f32_u32_e32 v1, v0
	scratch_store_dwordx2 off, v[4:5], s32 offset:652 ; 8-byte Folded Spill
	s_load_dword s0, s[8:9], 0x10
	s_load_dword s2, s[8:9], 0x0
	v_sub_u32_e32 v3, 0, v0
	v_rcp_iflag_f32_e32 v1, v1
	s_mov_b32 s16, s15
	s_waitcnt lgkmcnt(0)
	s_lshr_b32 s0, s0, 16
	s_cmp_lg_u32 s0, 0
	v_mul_f32_e32 v1, 0x4f7ffffe, v1
	v_cvt_u32_f32_e32 v1, v1
	s_cselect_b64 s[0:1], -1, 0
	s_cmp_lg_u64 s[0:1], 0
	s_addc_u32 s15, s2, 0
	v_mul_lo_u32 v3, v3, v1
	v_mul_hi_u32 v3, v1, v3
	s_abs_i32 s0, s15
	v_add_u32_e32 v1, v1, v3
	v_mul_hi_u32 v1, s0, v1
	v_mul_lo_u32 v3, v1, v0
	v_sub_u32_e32 v3, s0, v3
	v_add_u32_e32 v4, 1, v1
	v_cmp_ge_u32_e32 vcc, v3, v0
	v_xor_b32_e32 v2, s15, v12
	v_ashrrev_i32_e32 v2, 31, v2
	v_cndmask_b32_e32 v1, v1, v4, vcc
	v_sub_u32_e32 v4, v3, v0
	v_cndmask_b32_e32 v3, v3, v4, vcc
	v_add_u32_e32 v4, 1, v1
	v_cmp_ge_u32_e32 vcc, v3, v0
	s_abs_i32 s4, s12
	s_nop 0
	v_cndmask_b32_e32 v0, v1, v4, vcc
	v_xor_b32_e32 v0, v0, v2
	v_sub_u32_e32 v1, v0, v2
	v_sub_u32_e32 v0, 0, v1
	v_max_i32_e32 v0, v1, v0
	v_cvt_f32_u32_e32 v2, v0
	v_sub_u32_e32 v3, 0, v0
	v_cmp_ne_u64_e32 vcc, 0, v[28:29]
	v_rcp_iflag_f32_e32 v2, v2
	s_nop 0
	v_mul_f32_e32 v2, 0x4f7ffffe, v2
	v_cvt_u32_f32_e32 v2, v2
	v_mul_lo_u32 v3, v3, v2
	v_mul_hi_u32 v3, v2, v3
	v_add_u32_e32 v2, v2, v3
	v_mad_u64_u32 v[32:33], s[0:1], s4, v2, 0
	v_mov_b32_e32 v2, 0
	scratch_store_dword off, v2, s32 offset:588 ; 4-byte Folded Spill
	s_and_saveexec_b64 s[0:1], vcc
	s_cbranch_execz .LBB313_3
; %bb.2:
	s_ashr_i32 s13, s12, 31
	v_lshl_add_u64 v[2:3], s[12:13], 2, v[28:29]
	flat_load_dword v2, v[2:3]
	s_waitcnt vmcnt(0) lgkmcnt(0)
	scratch_store_dword off, v2, s32 offset:588 ; 4-byte Folded Spill
.LBB313_3:
	s_or_b64 exec, exec, s[0:1]
	v_and_b32_e32 v19, 0x3ff, v31
	s_ashr_i32 s5, s12, 31
	v_ashrrev_i32_e32 v2, 31, v1
	v_and_b32_e32 v1, 1, v19
	s_lshl_b32 s18, s12, 8
	v_cmp_gt_u32_e64 s[0:1], 64, v19
	v_lshlrev_b32_e32 v4, 3, v19
	scratch_store_dwordx2 off, v[4:5], s32 offset:660 ; 8-byte Folded Spill
	s_and_saveexec_b64 s[2:3], s[0:1]
	s_cbranch_execz .LBB313_5
; %bb.4:
	v_mul_lo_u32 v4, s20, v21
	v_ashrrev_i32_e32 v5, 31, v4
	v_lshl_add_u64 v[4:5], v[4:5], 1, v[6:7]
	s_ashr_i32 s19, s18, 31
	v_lshl_add_u64 v[4:5], s[18:19], 1, v[4:5]
	v_lshlrev_b32_e32 v6, 3, v19
	v_mov_b32_e32 v7, 0
	v_lshl_add_u64 v[4:5], v[4:5], 0, v[6:7]
	flat_load_dwordx2 v[4:5], v[4:5]
	v_lshlrev_b32_e32 v3, 2, v19
	v_and_b32_e32 v3, 0xff8, v3
	v_mov_b32_e32 v10, v6
	v_lshl_add_u32 v3, v1, 8, v3
	scratch_store_dwordx2 off, v[10:11], s32 offset:660 ; 8-byte Folded Spill
	s_waitcnt vmcnt(0) lgkmcnt(0)
	ds_write_b64 v3, v[4:5]
.LBB313_5:
	s_or_b64 exec, exec, s[2:3]
	scratch_load_dwordx2 v[4:5], off, s32 offset:196 ; 8-byte Folded Reload
	s_lshl_b32 s19, s14, 4
	s_add_i32 s2, s19, 16
	v_xor_b32_e32 v2, s5, v2
	v_lshrrev_b32_e32 v7, 6, v19
                                        ; implicit-def: $sgpr6
	s_waitcnt vmcnt(0)
	v_add_u32_e32 v3, 31, v4
	v_ashrrev_i32_e32 v4, 31, v3
	v_lshrrev_b32_e32 v4, 27, v4
	v_add_u32_e32 v3, v3, v4
	v_ashrrev_i32_e32 v3, 5, v3
	scratch_store_dword off, v3, s32 offset:668 ; 4-byte Folded Spill
	v_min_i32_e32 v6, s2, v3
	v_mul_lo_u32 v3, v33, v0
	v_sub_u32_e32 v3, s4, v3
	v_add_u32_e32 v4, 1, v33
	v_cmp_ge_u32_e32 vcc, v3, v0
	v_sub_u32_e32 v5, v3, v0
	s_waitcnt lgkmcnt(0)
	v_cndmask_b32_e32 v4, v33, v4, vcc
	v_cndmask_b32_e32 v3, v3, v5, vcc
	v_add_u32_e32 v5, 1, v4
	v_cmp_ge_u32_e32 vcc, v3, v0
	s_barrier
	s_nop 0
	v_cndmask_b32_e32 v0, v4, v5, vcc
	v_xor_b32_e32 v0, v0, v2
	v_mul_lo_u32 v4, s20, v18
	v_sub_u32_e32 v3, v0, v2
	v_ashrrev_i32_e32 v5, 31, v4
	v_or_b32_e32 v0, s19, v7
	scratch_store_dwordx2 off, v[4:5], s32 offset:632 ; 8-byte Folded Spill
	scratch_store_dword off, v7, s32 offset:600 ; 4-byte Folded Spill
	v_cmp_lt_i32_e64 s[2:3], v0, v6
	v_mov_b32_e32 v4, v0
	v_cmp_ge_i32_e32 vcc, v0, v6
	v_mbcnt_lo_u32_b32 v2, -1, 0
                                        ; implicit-def: $vgpr0
	scratch_store_dword off, v6, s32 offset:464 ; 4-byte Folded Spill
                                        ; kill: killed $vgpr0
                                        ; implicit-def: $vgpr0
	s_and_saveexec_b64 s[4:5], vcc
	s_xor_b64 s[4:5], exec, s[4:5]
	s_cbranch_execz .LBB313_7
; %bb.6:
	v_mbcnt_hi_u32_b32 v0, -1, v2
	scratch_store_dword off, v0, s32 offset:552 ; 4-byte Folded Spill
	v_and_b32_e32 v0, 64, v0
                                        ; implicit-def: $vgpr1
	v_add_u32_e32 v0, 64, v0
	s_mov_b32 s6, 0xff7fffff
                                        ; kill: killed $vgpr1
                                        ; implicit-def: $vgpr1
                                        ; implicit-def: $vgpr2
                                        ; kill: killed $vgpr1
	scratch_store_dwordx2 off, v[2:3], s32 offset:556 ; 8-byte Folded Spill
                                        ; implicit-def: $vgpr8
                                        ; implicit-def: $vgpr1
                                        ; implicit-def: $vgpr2
.LBB313_7:
	s_or_saveexec_b64 s[22:23], s[4:5]
	s_load_dword s50, s[8:9], 0x14
	s_load_dword s13, s[8:9], 0x8
	v_mul_lo_u32 v6, v3, v23
	v_lshrrev_b32_e32 v3, 6, v19
	v_mov_b32_e32 v13, s6
	v_ashrrev_i32_e32 v5, 31, v4
	v_ashrrev_i32_e32 v7, 31, v6
	v_lshlrev_b32_e32 v3, 5, v3
	scratch_store_dwordx2 off, v[4:5], s32 offset:204 ; 8-byte Folded Spill
	scratch_store_dwordx2 off, v[6:7], s32 offset:644 ; 8-byte Folded Spill
	scratch_store_dword off, v3, s32 offset:640 ; 4-byte Folded Spill
	scratch_store_dword off, v19, s32 offset:612 ; 4-byte Folded Spill
	s_xor_b64 exec, exec, s[22:23]
	s_cbranch_execz .LBB313_1037
; %bb.8:
	scratch_load_dwordx2 v[4:5], off, s32 offset:644 ; 8-byte Folded Reload
	scratch_load_dwordx2 v[6:7], off, s32 offset:632 ; 8-byte Folded Reload
	v_bfe_u32 v3, v19, 1, 5
	v_lshlrev_b32_e32 v0, 8, v1
	scratch_store_dword off, v0, s32 offset:568 ; 4-byte Folded Spill
	scratch_load_dword v0, off, s32 offset:588 ; 4-byte Folded Reload
	v_cmp_eq_u32_e64 s[4:5], 0, v1
	s_ashr_i32 s17, s16, 31
	s_lshl_b64 s[8:9], s[16:17], 2
	s_getpc_b64 s[24:25]
	s_add_u32 s24, s24, llvm.amdgcn.dynlds.offset.table@rel32@lo+4
	s_addc_u32 s25, s25, llvm.amdgcn.dynlds.offset.table@rel32@hi+12
	s_add_u32 s8, s8, s24
	s_addc_u32 s9, s9, s25
	s_mov_b64 s[24:25], 0
	s_movk_i32 s17, 0x7f
	s_movk_i32 s51, 0x80
	s_mov_b32 s52, 0x8000
	s_mov_b64 s[26:27], 0x1000
	s_mov_b64 s[28:29], 0x1200
	s_mov_b64 s[30:31], 0x1400
	s_mov_b64 s[34:35], 0x1600
	s_mov_b64 s[36:37], 0x1800
	s_mov_b64 s[38:39], 0x1a00
	s_mov_b64 s[40:41], 0x1c00
	s_mov_b64 s[42:43], 0x1e00
	v_mov_b32_e32 v32, 0x1c00
	scratch_store_dwordx2 off, v[24:25], s32 offset:672 ; 8-byte Folded Spill
	s_waitcnt vmcnt(4)
	v_lshl_add_u64 v[4:5], v[8:9], 0, v[4:5]
	v_lshlrev_b32_e32 v8, 4, v3
	v_mov_b32_e32 v9, 0
	v_lshl_add_u64 v[4:5], v[4:5], 0, v[8:9]
	scratch_store_dwordx2 off, v[4:5], s32 offset:572 ; 8-byte Folded Spill
	v_lshlrev_b32_e32 v4, 2, v1
	v_mov_b32_e32 v5, v9
	scratch_store_dwordx2 off, v[4:5], s32 offset:580 ; 8-byte Folded Spill
	scratch_load_dwordx2 v[4:5], off, s32 offset:204 ; 8-byte Folded Reload
	s_waitcnt vmcnt(4)
	v_cmp_neq_f32_e64 s[6:7], 0, v0
	s_waitcnt vmcnt(0)
	v_lshlrev_b64 v[0:1], 2, v[4:5]
	v_lshl_add_u64 v[0:1], v[6:7], 2, v[0:1]
	scratch_load_dwordx2 v[6:7], off, s32 offset:604 ; 8-byte Folded Reload
	s_waitcnt vmcnt(0)
	v_lshl_add_u64 v[0:1], v[6:7], 0, v[0:1]
	scratch_store_dwordx2 off, v[0:1], s32 offset:212 ; 8-byte Folded Spill
	scratch_load_dwordx2 v[0:1], off, s32 offset:196 ; 8-byte Folded Reload
	v_mov_b32_e32 v6, v4
	scratch_load_dword v1, off, s32 offset:600 ; 4-byte Folded Reload
	s_waitcnt vmcnt(1)
	v_sub_u32_e32 v0, 1, v0
	scratch_store_dword off, v0, s32 offset:596 ; 4-byte Folded Spill
	scratch_load_dword v0, off, s32 offset:640 ; 4-byte Folded Reload
	s_waitcnt vmcnt(0)
	v_add3_u32 v0, s21, v0, v3
	scratch_store_dword off, v0, s32 offset:456 ; 4-byte Folded Spill
	v_lshlrev_b32_e32 v0, 2, v3
	v_lshl_or_b32 v0, v1, 7, v0
	scratch_store_dword off, v0, s32 offset:460 ; 4-byte Folded Spill
	v_mov_b32_e32 v0, 0xff7fffff
	scratch_store_dword off, v0, s32 offset:564 ; 4-byte Folded Spill
	v_mbcnt_hi_u32_b32 v0, -1, v2
	scratch_store_dword off, v0, s32 offset:552 ; 4-byte Folded Spill
	s_branch .LBB313_10
.LBB313_9:                              ;   in Loop: Header=BB313_10 Depth=1
	s_or_b64 exec, exec, s[44:45]
	s_waitcnt lgkmcnt(0)
	scratch_load_dwordx2 v[2:3], off, s32 offset:212 ; 8-byte Folded Reload
	scratch_load_dword v1, off, s32 offset:456 ; 4-byte Folded Reload
	s_waitcnt vmcnt(2)
	v_add_u32_e32 v6, 2, v6
	s_waitcnt vmcnt(1)
	v_lshl_add_u64 v[2:3], v[2:3], 0, 8
	s_waitcnt vmcnt(0)
	v_add_u32_e32 v1, 64, v1
	scratch_store_dword off, v1, s32 offset:456 ; 4-byte Folded Spill
	scratch_load_dword v1, off, s32 offset:464 ; 4-byte Folded Reload
	s_waitcnt vmcnt(0)
	v_cmp_ge_i32_e32 vcc, v6, v1
	scratch_load_dword v1, off, s32 offset:460 ; 4-byte Folded Reload
	s_or_b64 s[24:25], vcc, s[24:25]
	scratch_store_dwordx2 off, v[2:3], s32 offset:212 ; 8-byte Folded Spill
	s_waitcnt vmcnt(1)
	v_add_u32_e32 v1, 0x100, v1
	scratch_store_dword off, v1, s32 offset:460 ; 4-byte Folded Spill
	s_andn2_b64 exec, exec, s[24:25]
	s_cbranch_execz .LBB313_1036
.LBB313_10:                             ; =>This Inner Loop Header: Depth=1
	scratch_load_dwordx2 v[0:1], off, s32 offset:212 ; 8-byte Folded Reload
                                        ; implicit-def: $sgpr48
	s_nop 0
	scratch_store_dword off, v6, s32 offset:476 ; 4-byte Folded Spill
	s_waitcnt vmcnt(1)
	flat_load_dword v0, v[0:1]
	s_nop 0
	scratch_load_dwordx2 v[4:5], off, s32 offset:572 ; 8-byte Folded Reload
	scratch_load_dwordx2 v[2:3], off, s32 offset:468 ; 8-byte Folded Reload
	s_waitcnt vmcnt(0) lgkmcnt(0)
	v_mad_i64_i32 v[0:1], vcc, v0, v2, v[4:5]
	scratch_load_dwordx2 v[2:3], off, s32 offset:580 ; 8-byte Folded Reload
	s_mov_b64 vcc, 0
	s_waitcnt vmcnt(0)
	v_lshl_add_u64 v[36:37], v[0:1], 0, v[2:3]
	flat_load_dword v12, v[36:37]
	scratch_load_dwordx2 v[0:1], off, s32 offset:556 ; 8-byte Folded Reload
	s_waitcnt vmcnt(0) lgkmcnt(0)
	v_cmp_gt_i16_sdwa s[44:45], v12, s17 src0_sel:BYTE_0 src1_sel:DWORD
	flat_load_dword v4, v[0:1]
	s_and_saveexec_b64 s[46:47], s[44:45]
	s_xor_b64 s[44:45], exec, s[46:47]
	s_cbranch_execnz .LBB313_760
; %bb.11:                               ;   in Loop: Header=BB313_10 Depth=1
	s_or_saveexec_b64 s[44:45], s[44:45]
	v_mov_b32_e32 v0, s48
	s_xor_b64 exec, exec, s[44:45]
	s_cbranch_execnz .LBB313_763
.LBB313_12:                             ;   in Loop: Header=BB313_10 Depth=1
	s_or_b64 exec, exec, s[44:45]
	s_and_saveexec_b64 s[44:45], vcc
	s_cbranch_execz .LBB313_14
.LBB313_13:                             ;   in Loop: Header=BB313_10 Depth=1
	v_and_b32_e32 v2, 7, v12
	v_ffbh_u32_e32 v0, v2
	v_min_u32_e32 v5, 32, v0
	v_subrev_u32_e32 v0, 28, v5
	v_bfe_u32 v3, v12, 3, 4
	v_lshlrev_b64 v[0:1], v0, v[12:13]
	v_sub_u32_e32 v1, 29, v5
	v_cmp_eq_u32_e32 vcc, 0, v3
	v_and_b32_e32 v0, 7, v0
	s_nop 0
	v_cndmask_b32_e32 v1, v3, v1, vcc
	v_cndmask_b32_e32 v0, v2, v0, vcc
	v_lshlrev_b32_e32 v2, 8, v12
	v_lshl_add_u32 v1, v1, 10, v32
	v_and_or_b32 v1, v2, s52, v1
	v_lshl_or_b32 v0, v0, 7, v1
	v_cvt_f32_f16_e32 v0, v0
.LBB313_14:                             ;   in Loop: Header=BB313_10 Depth=1
	s_or_b64 exec, exec, s[44:45]
	v_lshrrev_b16_e32 v8, 8, v12
	v_cmp_lt_i16_e32 vcc, s17, v8
	s_mov_b64 s[44:45], 0
	scratch_store_dword off, v0, s32 offset:480 ; 4-byte Folded Spill
                                        ; implicit-def: $sgpr53
	s_and_saveexec_b64 s[46:47], vcc
	s_xor_b64 s[46:47], exec, s[46:47]
	s_cbranch_execnz .LBB313_764
; %bb.15:                               ;   in Loop: Header=BB313_10 Depth=1
	s_or_saveexec_b64 s[46:47], s[46:47]
	v_mov_b32_e32 v59, s53
	s_xor_b64 exec, exec, s[46:47]
	s_cbranch_execnz .LBB313_767
.LBB313_16:                             ;   in Loop: Header=BB313_10 Depth=1
	s_or_b64 exec, exec, s[46:47]
	s_and_saveexec_b64 s[46:47], s[44:45]
	s_cbranch_execz .LBB313_18
.LBB313_17:                             ;   in Loop: Header=BB313_10 Depth=1
	v_and_b32_e32 v2, 7, v8
	v_ffbh_u32_e32 v0, v2
	v_min_u32_e32 v5, 32, v0
	v_subrev_u32_e32 v0, 28, v5
	v_bfe_u32 v3, v8, 3, 4
	v_lshlrev_b64 v[0:1], v0, v[8:9]
	v_sub_u32_e32 v1, 29, v5
	v_cmp_eq_u32_e32 vcc, 0, v3
	v_and_b32_e32 v0, 7, v0
	s_nop 0
	v_cndmask_b32_e32 v1, v3, v1, vcc
	v_cndmask_b32_e32 v0, v2, v0, vcc
	v_lshlrev_b32_e32 v2, 8, v8
	v_lshl_add_u32 v1, v1, 10, v32
	v_and_or_b32 v1, v2, s52, v1
	v_lshl_or_b32 v0, v0, 7, v1
	v_cvt_f32_f16_e32 v59, v0
.LBB313_18:                             ;   in Loop: Header=BB313_10 Depth=1
	s_or_b64 exec, exec, s[46:47]
	v_lshrrev_b32_e32 v8, 16, v12
	v_cmp_gt_i16_sdwa s[44:45], v8, s17 src0_sel:BYTE_0 src1_sel:DWORD
	s_mov_b64 vcc, 0
                                        ; implicit-def: $sgpr48
	s_and_saveexec_b64 s[46:47], s[44:45]
	s_xor_b64 s[44:45], exec, s[46:47]
	s_cbranch_execz .LBB313_22
; %bb.19:                               ;   in Loop: Header=BB313_10 Depth=1
	v_cmp_eq_u16_sdwa s[54:55], v8, s51 src0_sel:BYTE_0 src1_sel:DWORD
	s_mov_b64 vcc, -1
                                        ; implicit-def: $sgpr48
	s_and_saveexec_b64 s[46:47], s[54:55]
; %bb.20:                               ;   in Loop: Header=BB313_10 Depth=1
	s_mov_b32 s48, 0x7fc02000
	s_xor_b64 vcc, exec, -1
; %bb.21:                               ;   in Loop: Header=BB313_10 Depth=1
	s_or_b64 exec, exec, s[46:47]
	s_and_b64 vcc, vcc, exec
.LBB313_22:                             ;   in Loop: Header=BB313_10 Depth=1
	s_or_saveexec_b64 s[44:45], s[44:45]
	v_mov_b32_e32 v0, s48
	scratch_store_dword off, v0, s32 offset:220 ; 4-byte Folded Spill
	s_xor_b64 exec, exec, s[44:45]
	s_cbranch_execz .LBB313_24
; %bb.23:                               ;   in Loop: Header=BB313_10 Depth=1
	v_cmp_ne_u16_sdwa s[46:47], v8, v9 src0_sel:BYTE_0 src1_sel:DWORD
	s_andn2_b64 vcc, vcc, exec
	s_and_b64 s[46:47], s[46:47], exec
	v_mov_b32_e32 v0, 0
	s_or_b64 vcc, vcc, s[46:47]
	scratch_store_dword off, v0, s32 offset:220 ; 4-byte Folded Spill
.LBB313_24:                             ;   in Loop: Header=BB313_10 Depth=1
	s_or_b64 exec, exec, s[44:45]
	s_and_saveexec_b64 s[44:45], vcc
	s_cbranch_execz .LBB313_26
; %bb.25:                               ;   in Loop: Header=BB313_10 Depth=1
	v_bfe_u32 v2, v12, 16, 3
	v_ffbh_u32_e32 v0, v2
	v_min_u32_e32 v5, 32, v0
	v_subrev_u32_e32 v0, 28, v5
	v_bfe_u32 v3, v12, 19, 4
	v_lshlrev_b64 v[0:1], v0, v[8:9]
	v_sub_u32_e32 v1, 29, v5
	v_cmp_eq_u32_e32 vcc, 0, v3
	v_and_b32_e32 v0, 7, v0
	s_nop 0
	v_cndmask_b32_e32 v1, v3, v1, vcc
	v_cndmask_b32_e32 v0, v2, v0, vcc
	v_lshlrev_b32_e32 v2, 8, v8
	v_lshl_add_u32 v1, v1, 10, v32
	v_and_or_b32 v1, v2, s52, v1
	v_lshl_or_b32 v0, v0, 7, v1
	v_cvt_f32_f16_e32 v0, v0
	scratch_store_dword off, v0, s32 offset:220 ; 4-byte Folded Spill
.LBB313_26:                             ;   in Loop: Header=BB313_10 Depth=1
	s_or_b64 exec, exec, s[44:45]
	v_lshrrev_b32_e32 v8, 24, v12
	v_cmp_lt_i16_e32 vcc, s17, v8
	s_mov_b64 s[44:45], 0
                                        ; implicit-def: $sgpr53
	s_and_saveexec_b64 s[46:47], vcc
	s_xor_b64 s[46:47], exec, s[46:47]
	s_cbranch_execz .LBB313_30
; %bb.27:                               ;   in Loop: Header=BB313_10 Depth=1
	v_cmp_eq_u16_e32 vcc, s51, v8
	s_mov_b64 s[44:45], -1
                                        ; implicit-def: $sgpr53
	s_and_saveexec_b64 s[48:49], vcc
; %bb.28:                               ;   in Loop: Header=BB313_10 Depth=1
	s_mov_b32 s53, 0x7fc02000
	s_xor_b64 s[44:45], exec, -1
; %bb.29:                               ;   in Loop: Header=BB313_10 Depth=1
	s_or_b64 exec, exec, s[48:49]
	s_and_b64 s[44:45], s[44:45], exec
.LBB313_30:                             ;   in Loop: Header=BB313_10 Depth=1
	s_or_saveexec_b64 s[46:47], s[46:47]
	v_mov_b32_e32 v0, s53
	scratch_store_dword off, v0, s32 offset:224 ; 4-byte Folded Spill
	s_xor_b64 exec, exec, s[46:47]
	s_cbranch_execz .LBB313_32
; %bb.31:                               ;   in Loop: Header=BB313_10 Depth=1
	v_cmp_ne_u16_e32 vcc, 0, v8
	s_andn2_b64 s[44:45], s[44:45], exec
	s_and_b64 vcc, vcc, exec
	v_mov_b32_e32 v0, 0
	s_or_b64 s[44:45], s[44:45], vcc
	scratch_store_dword off, v0, s32 offset:224 ; 4-byte Folded Spill
.LBB313_32:                             ;   in Loop: Header=BB313_10 Depth=1
	s_or_b64 exec, exec, s[46:47]
	s_and_saveexec_b64 s[46:47], s[44:45]
	s_cbranch_execz .LBB313_34
; %bb.33:                               ;   in Loop: Header=BB313_10 Depth=1
	v_bfe_u32 v2, v12, 24, 3
	v_ffbh_u32_e32 v0, v2
	v_min_u32_e32 v5, 32, v0
	v_subrev_u32_e32 v0, 28, v5
	v_bfe_u32 v3, v12, 27, 4
	v_lshlrev_b64 v[0:1], v0, v[8:9]
	v_sub_u32_e32 v1, 29, v5
	v_cmp_eq_u32_e32 vcc, 0, v3
	v_and_b32_e32 v0, 7, v0
	s_nop 0
	v_cndmask_b32_e32 v1, v3, v1, vcc
	v_cndmask_b32_e32 v0, v2, v0, vcc
	v_lshlrev_b32_e32 v2, 8, v8
	v_lshl_add_u32 v1, v1, 10, v32
	v_and_or_b32 v1, v2, s52, v1
	v_lshl_or_b32 v0, v0, 7, v1
	v_cvt_f32_f16_e32 v0, v0
	scratch_store_dword off, v0, s32 offset:224 ; 4-byte Folded Spill
.LBB313_34:                             ;   in Loop: Header=BB313_10 Depth=1
	s_or_b64 exec, exec, s[46:47]
	flat_load_dword v12, v[36:37] offset:8
	s_mov_b64 vcc, 0
                                        ; implicit-def: $sgpr48
	s_waitcnt vmcnt(0) lgkmcnt(0)
	v_cmp_gt_i16_sdwa s[44:45], v12, s17 src0_sel:BYTE_0 src1_sel:DWORD
	s_and_saveexec_b64 s[46:47], s[44:45]
	s_xor_b64 s[44:45], exec, s[46:47]
	s_cbranch_execnz .LBB313_768
; %bb.35:                               ;   in Loop: Header=BB313_10 Depth=1
	s_or_saveexec_b64 s[44:45], s[44:45]
	v_mov_b32_e32 v0, s48
	s_xor_b64 exec, exec, s[44:45]
	s_cbranch_execnz .LBB313_771
.LBB313_36:                             ;   in Loop: Header=BB313_10 Depth=1
	s_or_b64 exec, exec, s[44:45]
	s_and_saveexec_b64 s[44:45], vcc
	s_cbranch_execz .LBB313_38
.LBB313_37:                             ;   in Loop: Header=BB313_10 Depth=1
	v_and_b32_e32 v2, 7, v12
	v_ffbh_u32_e32 v0, v2
	v_min_u32_e32 v5, 32, v0
	v_subrev_u32_e32 v0, 28, v5
	v_bfe_u32 v3, v12, 3, 4
	v_lshlrev_b64 v[0:1], v0, v[12:13]
	v_sub_u32_e32 v1, 29, v5
	v_cmp_eq_u32_e32 vcc, 0, v3
	v_and_b32_e32 v0, 7, v0
	s_nop 0
	v_cndmask_b32_e32 v1, v3, v1, vcc
	v_cndmask_b32_e32 v0, v2, v0, vcc
	v_lshlrev_b32_e32 v2, 8, v12
	v_lshl_add_u32 v1, v1, 10, v32
	v_and_or_b32 v1, v2, s52, v1
	v_lshl_or_b32 v0, v0, 7, v1
	v_cvt_f32_f16_e32 v0, v0
.LBB313_38:                             ;   in Loop: Header=BB313_10 Depth=1
	s_or_b64 exec, exec, s[44:45]
	v_lshrrev_b16_e32 v8, 8, v12
	v_cmp_lt_i16_e32 vcc, s17, v8
	s_mov_b64 s[44:45], 0
	scratch_store_dword off, v0, s32 offset:484 ; 4-byte Folded Spill
                                        ; implicit-def: $sgpr53
	s_and_saveexec_b64 s[46:47], vcc
	s_xor_b64 s[46:47], exec, s[46:47]
	s_cbranch_execz .LBB313_42
; %bb.39:                               ;   in Loop: Header=BB313_10 Depth=1
	v_cmp_eq_u16_e32 vcc, s51, v8
	s_mov_b64 s[44:45], -1
                                        ; implicit-def: $sgpr53
	s_and_saveexec_b64 s[48:49], vcc
; %bb.40:                               ;   in Loop: Header=BB313_10 Depth=1
	s_mov_b32 s53, 0x7fc02000
	s_xor_b64 s[44:45], exec, -1
; %bb.41:                               ;   in Loop: Header=BB313_10 Depth=1
	s_or_b64 exec, exec, s[48:49]
	s_and_b64 s[44:45], s[44:45], exec
.LBB313_42:                             ;   in Loop: Header=BB313_10 Depth=1
	s_or_saveexec_b64 s[46:47], s[46:47]
	v_mov_b32_e32 v0, s53
	scratch_store_dword off, v0, s32 offset:228 ; 4-byte Folded Spill
	s_xor_b64 exec, exec, s[46:47]
	s_cbranch_execz .LBB313_44
; %bb.43:                               ;   in Loop: Header=BB313_10 Depth=1
	v_cmp_ne_u16_e32 vcc, 0, v8
	s_andn2_b64 s[44:45], s[44:45], exec
	s_and_b64 vcc, vcc, exec
	v_mov_b32_e32 v0, 0
	s_or_b64 s[44:45], s[44:45], vcc
	scratch_store_dword off, v0, s32 offset:228 ; 4-byte Folded Spill
.LBB313_44:                             ;   in Loop: Header=BB313_10 Depth=1
	s_or_b64 exec, exec, s[46:47]
	s_and_saveexec_b64 s[46:47], s[44:45]
	s_cbranch_execz .LBB313_46
; %bb.45:                               ;   in Loop: Header=BB313_10 Depth=1
	v_and_b32_e32 v2, 7, v8
	v_ffbh_u32_e32 v0, v2
	v_min_u32_e32 v5, 32, v0
	v_subrev_u32_e32 v0, 28, v5
	v_bfe_u32 v3, v8, 3, 4
	v_lshlrev_b64 v[0:1], v0, v[8:9]
	v_sub_u32_e32 v1, 29, v5
	v_cmp_eq_u32_e32 vcc, 0, v3
	v_and_b32_e32 v0, 7, v0
	s_nop 0
	v_cndmask_b32_e32 v1, v3, v1, vcc
	v_cndmask_b32_e32 v0, v2, v0, vcc
	v_lshlrev_b32_e32 v2, 8, v8
	v_lshl_add_u32 v1, v1, 10, v32
	v_and_or_b32 v1, v2, s52, v1
	v_lshl_or_b32 v0, v0, 7, v1
	v_cvt_f32_f16_e32 v0, v0
	scratch_store_dword off, v0, s32 offset:228 ; 4-byte Folded Spill
.LBB313_46:                             ;   in Loop: Header=BB313_10 Depth=1
	s_or_b64 exec, exec, s[46:47]
	v_lshrrev_b32_e32 v8, 16, v12
	v_cmp_gt_i16_sdwa s[44:45], v8, s17 src0_sel:BYTE_0 src1_sel:DWORD
	s_mov_b64 vcc, 0
                                        ; implicit-def: $sgpr48
	s_and_saveexec_b64 s[46:47], s[44:45]
	s_xor_b64 s[44:45], exec, s[46:47]
	s_cbranch_execz .LBB313_50
; %bb.47:                               ;   in Loop: Header=BB313_10 Depth=1
	v_cmp_eq_u16_sdwa s[54:55], v8, s51 src0_sel:BYTE_0 src1_sel:DWORD
	s_mov_b64 vcc, -1
                                        ; implicit-def: $sgpr48
	s_and_saveexec_b64 s[46:47], s[54:55]
; %bb.48:                               ;   in Loop: Header=BB313_10 Depth=1
	s_mov_b32 s48, 0x7fc02000
	s_xor_b64 vcc, exec, -1
; %bb.49:                               ;   in Loop: Header=BB313_10 Depth=1
	s_or_b64 exec, exec, s[46:47]
	s_and_b64 vcc, vcc, exec
.LBB313_50:                             ;   in Loop: Header=BB313_10 Depth=1
	s_or_saveexec_b64 s[44:45], s[44:45]
	v_mov_b32_e32 v0, s48
	scratch_store_dword off, v0, s32 offset:232 ; 4-byte Folded Spill
	s_xor_b64 exec, exec, s[44:45]
	s_cbranch_execz .LBB313_52
; %bb.51:                               ;   in Loop: Header=BB313_10 Depth=1
	v_cmp_ne_u16_sdwa s[46:47], v8, v9 src0_sel:BYTE_0 src1_sel:DWORD
	s_andn2_b64 vcc, vcc, exec
	s_and_b64 s[46:47], s[46:47], exec
	v_mov_b32_e32 v0, 0
	s_or_b64 vcc, vcc, s[46:47]
	scratch_store_dword off, v0, s32 offset:232 ; 4-byte Folded Spill
.LBB313_52:                             ;   in Loop: Header=BB313_10 Depth=1
	s_or_b64 exec, exec, s[44:45]
	s_and_saveexec_b64 s[44:45], vcc
	s_cbranch_execz .LBB313_54
; %bb.53:                               ;   in Loop: Header=BB313_10 Depth=1
	v_bfe_u32 v2, v12, 16, 3
	v_ffbh_u32_e32 v0, v2
	v_min_u32_e32 v5, 32, v0
	v_subrev_u32_e32 v0, 28, v5
	v_bfe_u32 v3, v12, 19, 4
	v_lshlrev_b64 v[0:1], v0, v[8:9]
	v_sub_u32_e32 v1, 29, v5
	v_cmp_eq_u32_e32 vcc, 0, v3
	v_and_b32_e32 v0, 7, v0
	s_nop 0
	v_cndmask_b32_e32 v1, v3, v1, vcc
	v_cndmask_b32_e32 v0, v2, v0, vcc
	v_lshlrev_b32_e32 v2, 8, v8
	v_lshl_add_u32 v1, v1, 10, v32
	v_and_or_b32 v1, v2, s52, v1
	v_lshl_or_b32 v0, v0, 7, v1
	v_cvt_f32_f16_e32 v0, v0
	scratch_store_dword off, v0, s32 offset:232 ; 4-byte Folded Spill
.LBB313_54:                             ;   in Loop: Header=BB313_10 Depth=1
	s_or_b64 exec, exec, s[44:45]
	v_lshrrev_b32_e32 v8, 24, v12
	v_cmp_lt_i16_e32 vcc, s17, v8
	s_mov_b64 s[44:45], 0
                                        ; implicit-def: $sgpr53
	s_and_saveexec_b64 s[46:47], vcc
	s_xor_b64 s[46:47], exec, s[46:47]
	s_cbranch_execz .LBB313_58
; %bb.55:                               ;   in Loop: Header=BB313_10 Depth=1
	v_cmp_eq_u16_e32 vcc, s51, v8
	s_mov_b64 s[44:45], -1
                                        ; implicit-def: $sgpr53
	s_and_saveexec_b64 s[48:49], vcc
; %bb.56:                               ;   in Loop: Header=BB313_10 Depth=1
	s_mov_b32 s53, 0x7fc02000
	s_xor_b64 s[44:45], exec, -1
; %bb.57:                               ;   in Loop: Header=BB313_10 Depth=1
	s_or_b64 exec, exec, s[48:49]
	s_and_b64 s[44:45], s[44:45], exec
.LBB313_58:                             ;   in Loop: Header=BB313_10 Depth=1
	s_or_saveexec_b64 s[46:47], s[46:47]
	v_mov_b32_e32 v0, s53
	scratch_store_dword off, v0, s32 offset:236 ; 4-byte Folded Spill
	s_xor_b64 exec, exec, s[46:47]
	s_cbranch_execz .LBB313_60
; %bb.59:                               ;   in Loop: Header=BB313_10 Depth=1
	v_cmp_ne_u16_e32 vcc, 0, v8
	s_andn2_b64 s[44:45], s[44:45], exec
	s_and_b64 vcc, vcc, exec
	v_mov_b32_e32 v0, 0
	s_or_b64 s[44:45], s[44:45], vcc
	scratch_store_dword off, v0, s32 offset:236 ; 4-byte Folded Spill
.LBB313_60:                             ;   in Loop: Header=BB313_10 Depth=1
	s_or_b64 exec, exec, s[46:47]
	s_and_saveexec_b64 s[46:47], s[44:45]
	s_cbranch_execz .LBB313_62
; %bb.61:                               ;   in Loop: Header=BB313_10 Depth=1
	v_bfe_u32 v2, v12, 24, 3
	v_ffbh_u32_e32 v0, v2
	v_min_u32_e32 v5, 32, v0
	v_subrev_u32_e32 v0, 28, v5
	v_bfe_u32 v3, v12, 27, 4
	v_lshlrev_b64 v[0:1], v0, v[8:9]
	v_sub_u32_e32 v1, 29, v5
	v_cmp_eq_u32_e32 vcc, 0, v3
	v_and_b32_e32 v0, 7, v0
	s_nop 0
	v_cndmask_b32_e32 v1, v3, v1, vcc
	v_cndmask_b32_e32 v0, v2, v0, vcc
	v_lshlrev_b32_e32 v2, 8, v8
	v_lshl_add_u32 v1, v1, 10, v32
	v_and_or_b32 v1, v2, s52, v1
	v_lshl_or_b32 v0, v0, 7, v1
	v_cvt_f32_f16_e32 v0, v0
	scratch_store_dword off, v0, s32 offset:236 ; 4-byte Folded Spill
.LBB313_62:                             ;   in Loop: Header=BB313_10 Depth=1
	s_or_b64 exec, exec, s[46:47]
	flat_load_dword v12, v[36:37] offset:512
	s_mov_b64 vcc, 0
                                        ; implicit-def: $sgpr48
	s_waitcnt vmcnt(0) lgkmcnt(0)
	v_cmp_gt_i16_sdwa s[44:45], v12, s17 src0_sel:BYTE_0 src1_sel:DWORD
	s_and_saveexec_b64 s[46:47], s[44:45]
	s_xor_b64 s[44:45], exec, s[46:47]
	s_cbranch_execnz .LBB313_772
; %bb.63:                               ;   in Loop: Header=BB313_10 Depth=1
	s_or_saveexec_b64 s[44:45], s[44:45]
	v_mov_b32_e32 v0, s48
	s_xor_b64 exec, exec, s[44:45]
	s_cbranch_execnz .LBB313_775
.LBB313_64:                             ;   in Loop: Header=BB313_10 Depth=1
	s_or_b64 exec, exec, s[44:45]
	s_and_saveexec_b64 s[44:45], vcc
	s_cbranch_execz .LBB313_66
.LBB313_65:                             ;   in Loop: Header=BB313_10 Depth=1
	v_and_b32_e32 v2, 7, v12
	v_ffbh_u32_e32 v0, v2
	v_min_u32_e32 v5, 32, v0
	v_subrev_u32_e32 v0, 28, v5
	v_bfe_u32 v3, v12, 3, 4
	v_lshlrev_b64 v[0:1], v0, v[12:13]
	v_sub_u32_e32 v1, 29, v5
	v_cmp_eq_u32_e32 vcc, 0, v3
	v_and_b32_e32 v0, 7, v0
	s_nop 0
	v_cndmask_b32_e32 v1, v3, v1, vcc
	v_cndmask_b32_e32 v0, v2, v0, vcc
	v_lshlrev_b32_e32 v2, 8, v12
	v_lshl_add_u32 v1, v1, 10, v32
	v_and_or_b32 v1, v2, s52, v1
	v_lshl_or_b32 v0, v0, 7, v1
	v_cvt_f32_f16_e32 v0, v0
.LBB313_66:                             ;   in Loop: Header=BB313_10 Depth=1
	s_or_b64 exec, exec, s[44:45]
	v_lshrrev_b16_e32 v8, 8, v12
	v_cmp_lt_i16_e32 vcc, s17, v8
	s_mov_b64 s[44:45], 0
	scratch_store_dword off, v0, s32 offset:488 ; 4-byte Folded Spill
                                        ; implicit-def: $sgpr53
	s_and_saveexec_b64 s[46:47], vcc
	s_xor_b64 s[46:47], exec, s[46:47]
	s_cbranch_execz .LBB313_70
; %bb.67:                               ;   in Loop: Header=BB313_10 Depth=1
	v_cmp_eq_u16_e32 vcc, s51, v8
	s_mov_b64 s[44:45], -1
                                        ; implicit-def: $sgpr53
	s_and_saveexec_b64 s[48:49], vcc
; %bb.68:                               ;   in Loop: Header=BB313_10 Depth=1
	s_mov_b32 s53, 0x7fc02000
	s_xor_b64 s[44:45], exec, -1
; %bb.69:                               ;   in Loop: Header=BB313_10 Depth=1
	s_or_b64 exec, exec, s[48:49]
	s_and_b64 s[44:45], s[44:45], exec
.LBB313_70:                             ;   in Loop: Header=BB313_10 Depth=1
	s_or_saveexec_b64 s[46:47], s[46:47]
	v_mov_b32_e32 v0, s53
	scratch_store_dword off, v0, s32 offset:240 ; 4-byte Folded Spill
	s_xor_b64 exec, exec, s[46:47]
	s_cbranch_execz .LBB313_72
; %bb.71:                               ;   in Loop: Header=BB313_10 Depth=1
	v_cmp_ne_u16_e32 vcc, 0, v8
	s_andn2_b64 s[44:45], s[44:45], exec
	s_and_b64 vcc, vcc, exec
	v_mov_b32_e32 v0, 0
	s_or_b64 s[44:45], s[44:45], vcc
	scratch_store_dword off, v0, s32 offset:240 ; 4-byte Folded Spill
.LBB313_72:                             ;   in Loop: Header=BB313_10 Depth=1
	s_or_b64 exec, exec, s[46:47]
	s_and_saveexec_b64 s[46:47], s[44:45]
	s_cbranch_execz .LBB313_74
; %bb.73:                               ;   in Loop: Header=BB313_10 Depth=1
	v_and_b32_e32 v2, 7, v8
	v_ffbh_u32_e32 v0, v2
	v_min_u32_e32 v5, 32, v0
	v_subrev_u32_e32 v0, 28, v5
	v_bfe_u32 v3, v8, 3, 4
	v_lshlrev_b64 v[0:1], v0, v[8:9]
	v_sub_u32_e32 v1, 29, v5
	v_cmp_eq_u32_e32 vcc, 0, v3
	v_and_b32_e32 v0, 7, v0
	s_nop 0
	v_cndmask_b32_e32 v1, v3, v1, vcc
	v_cndmask_b32_e32 v0, v2, v0, vcc
	v_lshlrev_b32_e32 v2, 8, v8
	v_lshl_add_u32 v1, v1, 10, v32
	v_and_or_b32 v1, v2, s52, v1
	v_lshl_or_b32 v0, v0, 7, v1
	v_cvt_f32_f16_e32 v0, v0
	scratch_store_dword off, v0, s32 offset:240 ; 4-byte Folded Spill
.LBB313_74:                             ;   in Loop: Header=BB313_10 Depth=1
	s_or_b64 exec, exec, s[46:47]
	v_lshrrev_b32_e32 v8, 16, v12
	v_cmp_gt_i16_sdwa s[44:45], v8, s17 src0_sel:BYTE_0 src1_sel:DWORD
	s_mov_b64 vcc, 0
                                        ; implicit-def: $sgpr48
	s_and_saveexec_b64 s[46:47], s[44:45]
	s_xor_b64 s[44:45], exec, s[46:47]
	s_cbranch_execz .LBB313_78
; %bb.75:                               ;   in Loop: Header=BB313_10 Depth=1
	v_cmp_eq_u16_sdwa s[54:55], v8, s51 src0_sel:BYTE_0 src1_sel:DWORD
	s_mov_b64 vcc, -1
                                        ; implicit-def: $sgpr48
	s_and_saveexec_b64 s[46:47], s[54:55]
; %bb.76:                               ;   in Loop: Header=BB313_10 Depth=1
	s_mov_b32 s48, 0x7fc02000
	s_xor_b64 vcc, exec, -1
; %bb.77:                               ;   in Loop: Header=BB313_10 Depth=1
	s_or_b64 exec, exec, s[46:47]
	s_and_b64 vcc, vcc, exec
.LBB313_78:                             ;   in Loop: Header=BB313_10 Depth=1
	s_or_saveexec_b64 s[44:45], s[44:45]
	v_mov_b32_e32 v0, s48
	scratch_store_dword off, v0, s32 offset:244 ; 4-byte Folded Spill
	s_xor_b64 exec, exec, s[44:45]
	s_cbranch_execz .LBB313_80
; %bb.79:                               ;   in Loop: Header=BB313_10 Depth=1
	v_cmp_ne_u16_sdwa s[46:47], v8, v9 src0_sel:BYTE_0 src1_sel:DWORD
	s_andn2_b64 vcc, vcc, exec
	s_and_b64 s[46:47], s[46:47], exec
	v_mov_b32_e32 v0, 0
	s_or_b64 vcc, vcc, s[46:47]
	scratch_store_dword off, v0, s32 offset:244 ; 4-byte Folded Spill
.LBB313_80:                             ;   in Loop: Header=BB313_10 Depth=1
	s_or_b64 exec, exec, s[44:45]
	s_and_saveexec_b64 s[44:45], vcc
	s_cbranch_execz .LBB313_82
; %bb.81:                               ;   in Loop: Header=BB313_10 Depth=1
	v_bfe_u32 v2, v12, 16, 3
	v_ffbh_u32_e32 v0, v2
	v_min_u32_e32 v5, 32, v0
	v_subrev_u32_e32 v0, 28, v5
	v_bfe_u32 v3, v12, 19, 4
	v_lshlrev_b64 v[0:1], v0, v[8:9]
	v_sub_u32_e32 v1, 29, v5
	v_cmp_eq_u32_e32 vcc, 0, v3
	v_and_b32_e32 v0, 7, v0
	s_nop 0
	v_cndmask_b32_e32 v1, v3, v1, vcc
	v_cndmask_b32_e32 v0, v2, v0, vcc
	v_lshlrev_b32_e32 v2, 8, v8
	v_lshl_add_u32 v1, v1, 10, v32
	v_and_or_b32 v1, v2, s52, v1
	v_lshl_or_b32 v0, v0, 7, v1
	v_cvt_f32_f16_e32 v0, v0
	scratch_store_dword off, v0, s32 offset:244 ; 4-byte Folded Spill
.LBB313_82:                             ;   in Loop: Header=BB313_10 Depth=1
	s_or_b64 exec, exec, s[44:45]
	v_lshrrev_b32_e32 v8, 24, v12
	v_cmp_lt_i16_e32 vcc, s17, v8
	s_mov_b64 s[44:45], 0
                                        ; implicit-def: $sgpr53
	s_and_saveexec_b64 s[46:47], vcc
	s_xor_b64 s[46:47], exec, s[46:47]
	s_cbranch_execz .LBB313_86
; %bb.83:                               ;   in Loop: Header=BB313_10 Depth=1
	v_cmp_eq_u16_e32 vcc, s51, v8
	s_mov_b64 s[44:45], -1
                                        ; implicit-def: $sgpr53
	s_and_saveexec_b64 s[48:49], vcc
; %bb.84:                               ;   in Loop: Header=BB313_10 Depth=1
	s_mov_b32 s53, 0x7fc02000
	s_xor_b64 s[44:45], exec, -1
; %bb.85:                               ;   in Loop: Header=BB313_10 Depth=1
	s_or_b64 exec, exec, s[48:49]
	s_and_b64 s[44:45], s[44:45], exec
.LBB313_86:                             ;   in Loop: Header=BB313_10 Depth=1
	s_or_saveexec_b64 s[46:47], s[46:47]
	v_mov_b32_e32 v0, s53
	scratch_store_dword off, v0, s32 offset:248 ; 4-byte Folded Spill
	s_xor_b64 exec, exec, s[46:47]
	s_cbranch_execz .LBB313_88
; %bb.87:                               ;   in Loop: Header=BB313_10 Depth=1
	v_cmp_ne_u16_e32 vcc, 0, v8
	s_andn2_b64 s[44:45], s[44:45], exec
	s_and_b64 vcc, vcc, exec
	v_mov_b32_e32 v0, 0
	s_or_b64 s[44:45], s[44:45], vcc
	scratch_store_dword off, v0, s32 offset:248 ; 4-byte Folded Spill
.LBB313_88:                             ;   in Loop: Header=BB313_10 Depth=1
	s_or_b64 exec, exec, s[46:47]
	s_and_saveexec_b64 s[46:47], s[44:45]
	s_cbranch_execz .LBB313_90
; %bb.89:                               ;   in Loop: Header=BB313_10 Depth=1
	v_bfe_u32 v2, v12, 24, 3
	v_ffbh_u32_e32 v0, v2
	v_min_u32_e32 v5, 32, v0
	v_subrev_u32_e32 v0, 28, v5
	v_bfe_u32 v3, v12, 27, 4
	v_lshlrev_b64 v[0:1], v0, v[8:9]
	v_sub_u32_e32 v1, 29, v5
	v_cmp_eq_u32_e32 vcc, 0, v3
	v_and_b32_e32 v0, 7, v0
	s_nop 0
	v_cndmask_b32_e32 v1, v3, v1, vcc
	v_cndmask_b32_e32 v0, v2, v0, vcc
	v_lshlrev_b32_e32 v2, 8, v8
	v_lshl_add_u32 v1, v1, 10, v32
	v_and_or_b32 v1, v2, s52, v1
	v_lshl_or_b32 v0, v0, 7, v1
	v_cvt_f32_f16_e32 v0, v0
	scratch_store_dword off, v0, s32 offset:248 ; 4-byte Folded Spill
.LBB313_90:                             ;   in Loop: Header=BB313_10 Depth=1
	s_or_b64 exec, exec, s[46:47]
	flat_load_dword v12, v[36:37] offset:520
	s_mov_b64 vcc, 0
                                        ; implicit-def: $sgpr48
	s_waitcnt vmcnt(0) lgkmcnt(0)
	v_cmp_gt_i16_sdwa s[44:45], v12, s17 src0_sel:BYTE_0 src1_sel:DWORD
	s_and_saveexec_b64 s[46:47], s[44:45]
	s_xor_b64 s[44:45], exec, s[46:47]
	s_cbranch_execnz .LBB313_776
; %bb.91:                               ;   in Loop: Header=BB313_10 Depth=1
	s_or_saveexec_b64 s[44:45], s[44:45]
	v_mov_b32_e32 v0, s48
	s_xor_b64 exec, exec, s[44:45]
	s_cbranch_execnz .LBB313_779
.LBB313_92:                             ;   in Loop: Header=BB313_10 Depth=1
	s_or_b64 exec, exec, s[44:45]
	s_and_saveexec_b64 s[44:45], vcc
	s_cbranch_execz .LBB313_94
.LBB313_93:                             ;   in Loop: Header=BB313_10 Depth=1
	v_and_b32_e32 v2, 7, v12
	v_ffbh_u32_e32 v0, v2
	v_min_u32_e32 v5, 32, v0
	v_subrev_u32_e32 v0, 28, v5
	v_bfe_u32 v3, v12, 3, 4
	v_lshlrev_b64 v[0:1], v0, v[12:13]
	v_sub_u32_e32 v1, 29, v5
	v_cmp_eq_u32_e32 vcc, 0, v3
	v_and_b32_e32 v0, 7, v0
	s_nop 0
	v_cndmask_b32_e32 v1, v3, v1, vcc
	v_cndmask_b32_e32 v0, v2, v0, vcc
	v_lshlrev_b32_e32 v2, 8, v12
	v_lshl_add_u32 v1, v1, 10, v32
	v_and_or_b32 v1, v2, s52, v1
	v_lshl_or_b32 v0, v0, 7, v1
	v_cvt_f32_f16_e32 v0, v0
.LBB313_94:                             ;   in Loop: Header=BB313_10 Depth=1
	s_or_b64 exec, exec, s[44:45]
	v_lshrrev_b16_e32 v8, 8, v12
	v_cmp_lt_i16_e32 vcc, s17, v8
	s_mov_b64 s[44:45], 0
	scratch_store_dword off, v0, s32 offset:492 ; 4-byte Folded Spill
                                        ; implicit-def: $sgpr53
	s_and_saveexec_b64 s[46:47], vcc
	s_xor_b64 s[46:47], exec, s[46:47]
	s_cbranch_execz .LBB313_98
; %bb.95:                               ;   in Loop: Header=BB313_10 Depth=1
	v_cmp_eq_u16_e32 vcc, s51, v8
	s_mov_b64 s[44:45], -1
                                        ; implicit-def: $sgpr53
	s_and_saveexec_b64 s[48:49], vcc
; %bb.96:                               ;   in Loop: Header=BB313_10 Depth=1
	s_mov_b32 s53, 0x7fc02000
	s_xor_b64 s[44:45], exec, -1
; %bb.97:                               ;   in Loop: Header=BB313_10 Depth=1
	s_or_b64 exec, exec, s[48:49]
	s_and_b64 s[44:45], s[44:45], exec
.LBB313_98:                             ;   in Loop: Header=BB313_10 Depth=1
	s_or_saveexec_b64 s[46:47], s[46:47]
	v_mov_b32_e32 v0, s53
	scratch_store_dword off, v0, s32 offset:252 ; 4-byte Folded Spill
	s_xor_b64 exec, exec, s[46:47]
	s_cbranch_execz .LBB313_100
; %bb.99:                               ;   in Loop: Header=BB313_10 Depth=1
	v_cmp_ne_u16_e32 vcc, 0, v8
	s_andn2_b64 s[44:45], s[44:45], exec
	s_and_b64 vcc, vcc, exec
	v_mov_b32_e32 v0, 0
	s_or_b64 s[44:45], s[44:45], vcc
	scratch_store_dword off, v0, s32 offset:252 ; 4-byte Folded Spill
.LBB313_100:                            ;   in Loop: Header=BB313_10 Depth=1
	s_or_b64 exec, exec, s[46:47]
	s_and_saveexec_b64 s[46:47], s[44:45]
	s_cbranch_execz .LBB313_102
; %bb.101:                              ;   in Loop: Header=BB313_10 Depth=1
	v_and_b32_e32 v2, 7, v8
	v_ffbh_u32_e32 v0, v2
	v_min_u32_e32 v5, 32, v0
	v_subrev_u32_e32 v0, 28, v5
	v_bfe_u32 v3, v8, 3, 4
	v_lshlrev_b64 v[0:1], v0, v[8:9]
	v_sub_u32_e32 v1, 29, v5
	v_cmp_eq_u32_e32 vcc, 0, v3
	v_and_b32_e32 v0, 7, v0
	s_nop 0
	v_cndmask_b32_e32 v1, v3, v1, vcc
	v_cndmask_b32_e32 v0, v2, v0, vcc
	v_lshlrev_b32_e32 v2, 8, v8
	v_lshl_add_u32 v1, v1, 10, v32
	v_and_or_b32 v1, v2, s52, v1
	v_lshl_or_b32 v0, v0, 7, v1
	v_cvt_f32_f16_e32 v0, v0
	scratch_store_dword off, v0, s32 offset:252 ; 4-byte Folded Spill
.LBB313_102:                            ;   in Loop: Header=BB313_10 Depth=1
	s_or_b64 exec, exec, s[46:47]
	v_lshrrev_b32_e32 v8, 16, v12
	v_cmp_gt_i16_sdwa s[44:45], v8, s17 src0_sel:BYTE_0 src1_sel:DWORD
	s_mov_b64 vcc, 0
                                        ; implicit-def: $sgpr48
	s_and_saveexec_b64 s[46:47], s[44:45]
	s_xor_b64 s[44:45], exec, s[46:47]
	s_cbranch_execz .LBB313_106
; %bb.103:                              ;   in Loop: Header=BB313_10 Depth=1
	v_cmp_eq_u16_sdwa s[54:55], v8, s51 src0_sel:BYTE_0 src1_sel:DWORD
	s_mov_b64 vcc, -1
                                        ; implicit-def: $sgpr48
	s_and_saveexec_b64 s[46:47], s[54:55]
; %bb.104:                              ;   in Loop: Header=BB313_10 Depth=1
	s_mov_b32 s48, 0x7fc02000
	s_xor_b64 vcc, exec, -1
; %bb.105:                              ;   in Loop: Header=BB313_10 Depth=1
	s_or_b64 exec, exec, s[46:47]
	s_and_b64 vcc, vcc, exec
.LBB313_106:                            ;   in Loop: Header=BB313_10 Depth=1
	s_or_saveexec_b64 s[44:45], s[44:45]
	v_mov_b32_e32 v0, s48
	scratch_store_dword off, v0, s32 offset:256 ; 4-byte Folded Spill
	s_xor_b64 exec, exec, s[44:45]
	s_cbranch_execz .LBB313_108
; %bb.107:                              ;   in Loop: Header=BB313_10 Depth=1
	v_cmp_ne_u16_sdwa s[46:47], v8, v9 src0_sel:BYTE_0 src1_sel:DWORD
	s_andn2_b64 vcc, vcc, exec
	s_and_b64 s[46:47], s[46:47], exec
	v_mov_b32_e32 v0, 0
	s_or_b64 vcc, vcc, s[46:47]
	scratch_store_dword off, v0, s32 offset:256 ; 4-byte Folded Spill
.LBB313_108:                            ;   in Loop: Header=BB313_10 Depth=1
	s_or_b64 exec, exec, s[44:45]
	s_and_saveexec_b64 s[44:45], vcc
	s_cbranch_execz .LBB313_110
; %bb.109:                              ;   in Loop: Header=BB313_10 Depth=1
	v_bfe_u32 v2, v12, 16, 3
	v_ffbh_u32_e32 v0, v2
	v_min_u32_e32 v5, 32, v0
	v_subrev_u32_e32 v0, 28, v5
	v_bfe_u32 v3, v12, 19, 4
	v_lshlrev_b64 v[0:1], v0, v[8:9]
	v_sub_u32_e32 v1, 29, v5
	v_cmp_eq_u32_e32 vcc, 0, v3
	v_and_b32_e32 v0, 7, v0
	s_nop 0
	v_cndmask_b32_e32 v1, v3, v1, vcc
	v_cndmask_b32_e32 v0, v2, v0, vcc
	v_lshlrev_b32_e32 v2, 8, v8
	v_lshl_add_u32 v1, v1, 10, v32
	v_and_or_b32 v1, v2, s52, v1
	v_lshl_or_b32 v0, v0, 7, v1
	v_cvt_f32_f16_e32 v0, v0
	scratch_store_dword off, v0, s32 offset:256 ; 4-byte Folded Spill
.LBB313_110:                            ;   in Loop: Header=BB313_10 Depth=1
	s_or_b64 exec, exec, s[44:45]
	v_lshrrev_b32_e32 v8, 24, v12
	v_cmp_lt_i16_e32 vcc, s17, v8
	s_mov_b64 s[44:45], 0
                                        ; implicit-def: $sgpr53
	s_and_saveexec_b64 s[46:47], vcc
	s_xor_b64 s[46:47], exec, s[46:47]
	s_cbranch_execz .LBB313_114
; %bb.111:                              ;   in Loop: Header=BB313_10 Depth=1
	v_cmp_eq_u16_e32 vcc, s51, v8
	s_mov_b64 s[44:45], -1
                                        ; implicit-def: $sgpr53
	s_and_saveexec_b64 s[48:49], vcc
; %bb.112:                              ;   in Loop: Header=BB313_10 Depth=1
	s_mov_b32 s53, 0x7fc02000
	s_xor_b64 s[44:45], exec, -1
; %bb.113:                              ;   in Loop: Header=BB313_10 Depth=1
	s_or_b64 exec, exec, s[48:49]
	s_and_b64 s[44:45], s[44:45], exec
.LBB313_114:                            ;   in Loop: Header=BB313_10 Depth=1
	s_or_saveexec_b64 s[46:47], s[46:47]
	v_mov_b32_e32 v0, s53
	scratch_store_dword off, v0, s32 offset:260 ; 4-byte Folded Spill
	s_xor_b64 exec, exec, s[46:47]
	s_cbranch_execz .LBB313_116
; %bb.115:                              ;   in Loop: Header=BB313_10 Depth=1
	v_cmp_ne_u16_e32 vcc, 0, v8
	s_andn2_b64 s[44:45], s[44:45], exec
	s_and_b64 vcc, vcc, exec
	v_mov_b32_e32 v0, 0
	s_or_b64 s[44:45], s[44:45], vcc
	scratch_store_dword off, v0, s32 offset:260 ; 4-byte Folded Spill
.LBB313_116:                            ;   in Loop: Header=BB313_10 Depth=1
	s_or_b64 exec, exec, s[46:47]
	s_and_saveexec_b64 s[46:47], s[44:45]
	s_cbranch_execz .LBB313_118
; %bb.117:                              ;   in Loop: Header=BB313_10 Depth=1
	v_bfe_u32 v2, v12, 24, 3
	v_ffbh_u32_e32 v0, v2
	v_min_u32_e32 v5, 32, v0
	v_subrev_u32_e32 v0, 28, v5
	v_bfe_u32 v3, v12, 27, 4
	v_lshlrev_b64 v[0:1], v0, v[8:9]
	v_sub_u32_e32 v1, 29, v5
	v_cmp_eq_u32_e32 vcc, 0, v3
	v_and_b32_e32 v0, 7, v0
	s_nop 0
	v_cndmask_b32_e32 v1, v3, v1, vcc
	v_cndmask_b32_e32 v0, v2, v0, vcc
	v_lshlrev_b32_e32 v2, 8, v8
	v_lshl_add_u32 v1, v1, 10, v32
	v_and_or_b32 v1, v2, s52, v1
	v_lshl_or_b32 v0, v0, 7, v1
	v_cvt_f32_f16_e32 v0, v0
	scratch_store_dword off, v0, s32 offset:260 ; 4-byte Folded Spill
.LBB313_118:                            ;   in Loop: Header=BB313_10 Depth=1
	s_or_b64 exec, exec, s[46:47]
	flat_load_dword v12, v[36:37] offset:1024
	s_mov_b64 vcc, 0
                                        ; implicit-def: $sgpr48
	s_waitcnt vmcnt(0) lgkmcnt(0)
	v_cmp_gt_i16_sdwa s[44:45], v12, s17 src0_sel:BYTE_0 src1_sel:DWORD
	s_and_saveexec_b64 s[46:47], s[44:45]
	s_xor_b64 s[44:45], exec, s[46:47]
	s_cbranch_execnz .LBB313_780
; %bb.119:                              ;   in Loop: Header=BB313_10 Depth=1
	s_or_saveexec_b64 s[44:45], s[44:45]
	v_mov_b32_e32 v0, s48
	s_xor_b64 exec, exec, s[44:45]
	s_cbranch_execnz .LBB313_783
.LBB313_120:                            ;   in Loop: Header=BB313_10 Depth=1
	s_or_b64 exec, exec, s[44:45]
	s_and_saveexec_b64 s[44:45], vcc
	s_cbranch_execz .LBB313_122
.LBB313_121:                            ;   in Loop: Header=BB313_10 Depth=1
	v_and_b32_e32 v2, 7, v12
	v_ffbh_u32_e32 v0, v2
	v_min_u32_e32 v5, 32, v0
	v_subrev_u32_e32 v0, 28, v5
	v_bfe_u32 v3, v12, 3, 4
	v_lshlrev_b64 v[0:1], v0, v[12:13]
	v_sub_u32_e32 v1, 29, v5
	v_cmp_eq_u32_e32 vcc, 0, v3
	v_and_b32_e32 v0, 7, v0
	s_nop 0
	v_cndmask_b32_e32 v1, v3, v1, vcc
	v_cndmask_b32_e32 v0, v2, v0, vcc
	v_lshlrev_b32_e32 v2, 8, v12
	v_lshl_add_u32 v1, v1, 10, v32
	v_and_or_b32 v1, v2, s52, v1
	v_lshl_or_b32 v0, v0, 7, v1
	v_cvt_f32_f16_e32 v0, v0
.LBB313_122:                            ;   in Loop: Header=BB313_10 Depth=1
	s_or_b64 exec, exec, s[44:45]
	v_lshrrev_b16_e32 v8, 8, v12
	v_cmp_lt_i16_e32 vcc, s17, v8
	s_mov_b64 s[44:45], 0
	scratch_store_dword off, v0, s32 offset:496 ; 4-byte Folded Spill
                                        ; implicit-def: $sgpr53
	s_and_saveexec_b64 s[46:47], vcc
	s_xor_b64 s[46:47], exec, s[46:47]
	s_cbranch_execz .LBB313_126
; %bb.123:                              ;   in Loop: Header=BB313_10 Depth=1
	v_cmp_eq_u16_e32 vcc, s51, v8
	s_mov_b64 s[44:45], -1
                                        ; implicit-def: $sgpr53
	s_and_saveexec_b64 s[48:49], vcc
; %bb.124:                              ;   in Loop: Header=BB313_10 Depth=1
	s_mov_b32 s53, 0x7fc02000
	s_xor_b64 s[44:45], exec, -1
; %bb.125:                              ;   in Loop: Header=BB313_10 Depth=1
	s_or_b64 exec, exec, s[48:49]
	s_and_b64 s[44:45], s[44:45], exec
.LBB313_126:                            ;   in Loop: Header=BB313_10 Depth=1
	s_or_saveexec_b64 s[46:47], s[46:47]
	v_mov_b32_e32 v0, s53
	scratch_store_dword off, v0, s32 offset:264 ; 4-byte Folded Spill
	s_xor_b64 exec, exec, s[46:47]
	s_cbranch_execz .LBB313_128
; %bb.127:                              ;   in Loop: Header=BB313_10 Depth=1
	v_cmp_ne_u16_e32 vcc, 0, v8
	s_andn2_b64 s[44:45], s[44:45], exec
	s_and_b64 vcc, vcc, exec
	v_mov_b32_e32 v0, 0
	s_or_b64 s[44:45], s[44:45], vcc
	scratch_store_dword off, v0, s32 offset:264 ; 4-byte Folded Spill
.LBB313_128:                            ;   in Loop: Header=BB313_10 Depth=1
	s_or_b64 exec, exec, s[46:47]
	s_and_saveexec_b64 s[46:47], s[44:45]
	s_cbranch_execz .LBB313_130
; %bb.129:                              ;   in Loop: Header=BB313_10 Depth=1
	v_and_b32_e32 v2, 7, v8
	v_ffbh_u32_e32 v0, v2
	v_min_u32_e32 v5, 32, v0
	v_subrev_u32_e32 v0, 28, v5
	v_bfe_u32 v3, v8, 3, 4
	v_lshlrev_b64 v[0:1], v0, v[8:9]
	v_sub_u32_e32 v1, 29, v5
	v_cmp_eq_u32_e32 vcc, 0, v3
	v_and_b32_e32 v0, 7, v0
	s_nop 0
	v_cndmask_b32_e32 v1, v3, v1, vcc
	v_cndmask_b32_e32 v0, v2, v0, vcc
	v_lshlrev_b32_e32 v2, 8, v8
	v_lshl_add_u32 v1, v1, 10, v32
	v_and_or_b32 v1, v2, s52, v1
	v_lshl_or_b32 v0, v0, 7, v1
	v_cvt_f32_f16_e32 v0, v0
	scratch_store_dword off, v0, s32 offset:264 ; 4-byte Folded Spill
.LBB313_130:                            ;   in Loop: Header=BB313_10 Depth=1
	s_or_b64 exec, exec, s[46:47]
	v_lshrrev_b32_e32 v8, 16, v12
	v_cmp_gt_i16_sdwa s[44:45], v8, s17 src0_sel:BYTE_0 src1_sel:DWORD
	s_mov_b64 vcc, 0
                                        ; implicit-def: $sgpr48
	s_and_saveexec_b64 s[46:47], s[44:45]
	s_xor_b64 s[44:45], exec, s[46:47]
	s_cbranch_execz .LBB313_134
; %bb.131:                              ;   in Loop: Header=BB313_10 Depth=1
	v_cmp_eq_u16_sdwa s[54:55], v8, s51 src0_sel:BYTE_0 src1_sel:DWORD
	s_mov_b64 vcc, -1
                                        ; implicit-def: $sgpr48
	s_and_saveexec_b64 s[46:47], s[54:55]
; %bb.132:                              ;   in Loop: Header=BB313_10 Depth=1
	s_mov_b32 s48, 0x7fc02000
	s_xor_b64 vcc, exec, -1
; %bb.133:                              ;   in Loop: Header=BB313_10 Depth=1
	s_or_b64 exec, exec, s[46:47]
	s_and_b64 vcc, vcc, exec
.LBB313_134:                            ;   in Loop: Header=BB313_10 Depth=1
	s_or_saveexec_b64 s[44:45], s[44:45]
	v_mov_b32_e32 v0, s48
	scratch_store_dword off, v0, s32 offset:268 ; 4-byte Folded Spill
	s_xor_b64 exec, exec, s[44:45]
	s_cbranch_execz .LBB313_136
; %bb.135:                              ;   in Loop: Header=BB313_10 Depth=1
	v_cmp_ne_u16_sdwa s[46:47], v8, v9 src0_sel:BYTE_0 src1_sel:DWORD
	s_andn2_b64 vcc, vcc, exec
	s_and_b64 s[46:47], s[46:47], exec
	v_mov_b32_e32 v0, 0
	s_or_b64 vcc, vcc, s[46:47]
	scratch_store_dword off, v0, s32 offset:268 ; 4-byte Folded Spill
.LBB313_136:                            ;   in Loop: Header=BB313_10 Depth=1
	s_or_b64 exec, exec, s[44:45]
	s_and_saveexec_b64 s[44:45], vcc
	s_cbranch_execz .LBB313_138
; %bb.137:                              ;   in Loop: Header=BB313_10 Depth=1
	v_bfe_u32 v2, v12, 16, 3
	v_ffbh_u32_e32 v0, v2
	v_min_u32_e32 v5, 32, v0
	v_subrev_u32_e32 v0, 28, v5
	v_bfe_u32 v3, v12, 19, 4
	v_lshlrev_b64 v[0:1], v0, v[8:9]
	v_sub_u32_e32 v1, 29, v5
	v_cmp_eq_u32_e32 vcc, 0, v3
	v_and_b32_e32 v0, 7, v0
	s_nop 0
	v_cndmask_b32_e32 v1, v3, v1, vcc
	v_cndmask_b32_e32 v0, v2, v0, vcc
	v_lshlrev_b32_e32 v2, 8, v8
	v_lshl_add_u32 v1, v1, 10, v32
	v_and_or_b32 v1, v2, s52, v1
	v_lshl_or_b32 v0, v0, 7, v1
	v_cvt_f32_f16_e32 v0, v0
	scratch_store_dword off, v0, s32 offset:268 ; 4-byte Folded Spill
.LBB313_138:                            ;   in Loop: Header=BB313_10 Depth=1
	s_or_b64 exec, exec, s[44:45]
	v_lshrrev_b32_e32 v8, 24, v12
	v_cmp_lt_i16_e32 vcc, s17, v8
	s_mov_b64 s[44:45], 0
                                        ; implicit-def: $sgpr53
	s_and_saveexec_b64 s[46:47], vcc
	s_xor_b64 s[46:47], exec, s[46:47]
	s_cbranch_execz .LBB313_142
; %bb.139:                              ;   in Loop: Header=BB313_10 Depth=1
	v_cmp_eq_u16_e32 vcc, s51, v8
	s_mov_b64 s[44:45], -1
                                        ; implicit-def: $sgpr53
	s_and_saveexec_b64 s[48:49], vcc
; %bb.140:                              ;   in Loop: Header=BB313_10 Depth=1
	s_mov_b32 s53, 0x7fc02000
	s_xor_b64 s[44:45], exec, -1
; %bb.141:                              ;   in Loop: Header=BB313_10 Depth=1
	s_or_b64 exec, exec, s[48:49]
	s_and_b64 s[44:45], s[44:45], exec
.LBB313_142:                            ;   in Loop: Header=BB313_10 Depth=1
	s_or_saveexec_b64 s[46:47], s[46:47]
	v_mov_b32_e32 v0, s53
	scratch_store_dword off, v0, s32 offset:272 ; 4-byte Folded Spill
	s_xor_b64 exec, exec, s[46:47]
	s_cbranch_execz .LBB313_144
; %bb.143:                              ;   in Loop: Header=BB313_10 Depth=1
	v_cmp_ne_u16_e32 vcc, 0, v8
	s_andn2_b64 s[44:45], s[44:45], exec
	s_and_b64 vcc, vcc, exec
	v_mov_b32_e32 v0, 0
	s_or_b64 s[44:45], s[44:45], vcc
	scratch_store_dword off, v0, s32 offset:272 ; 4-byte Folded Spill
.LBB313_144:                            ;   in Loop: Header=BB313_10 Depth=1
	s_or_b64 exec, exec, s[46:47]
	s_and_saveexec_b64 s[46:47], s[44:45]
	s_cbranch_execz .LBB313_146
; %bb.145:                              ;   in Loop: Header=BB313_10 Depth=1
	v_bfe_u32 v2, v12, 24, 3
	v_ffbh_u32_e32 v0, v2
	v_min_u32_e32 v5, 32, v0
	v_subrev_u32_e32 v0, 28, v5
	v_bfe_u32 v3, v12, 27, 4
	v_lshlrev_b64 v[0:1], v0, v[8:9]
	v_sub_u32_e32 v1, 29, v5
	v_cmp_eq_u32_e32 vcc, 0, v3
	v_and_b32_e32 v0, 7, v0
	s_nop 0
	v_cndmask_b32_e32 v1, v3, v1, vcc
	v_cndmask_b32_e32 v0, v2, v0, vcc
	v_lshlrev_b32_e32 v2, 8, v8
	v_lshl_add_u32 v1, v1, 10, v32
	v_and_or_b32 v1, v2, s52, v1
	v_lshl_or_b32 v0, v0, 7, v1
	v_cvt_f32_f16_e32 v0, v0
	scratch_store_dword off, v0, s32 offset:272 ; 4-byte Folded Spill
.LBB313_146:                            ;   in Loop: Header=BB313_10 Depth=1
	s_or_b64 exec, exec, s[46:47]
	flat_load_dword v12, v[36:37] offset:1032
	s_mov_b64 vcc, 0
                                        ; implicit-def: $sgpr48
	s_waitcnt vmcnt(0) lgkmcnt(0)
	v_cmp_gt_i16_sdwa s[44:45], v12, s17 src0_sel:BYTE_0 src1_sel:DWORD
	s_and_saveexec_b64 s[46:47], s[44:45]
	s_xor_b64 s[44:45], exec, s[46:47]
	s_cbranch_execnz .LBB313_784
; %bb.147:                              ;   in Loop: Header=BB313_10 Depth=1
	s_or_saveexec_b64 s[44:45], s[44:45]
	v_mov_b32_e32 v0, s48
	s_xor_b64 exec, exec, s[44:45]
	s_cbranch_execnz .LBB313_787
.LBB313_148:                            ;   in Loop: Header=BB313_10 Depth=1
	s_or_b64 exec, exec, s[44:45]
	s_and_saveexec_b64 s[44:45], vcc
	s_cbranch_execz .LBB313_150
.LBB313_149:                            ;   in Loop: Header=BB313_10 Depth=1
	v_and_b32_e32 v2, 7, v12
	v_ffbh_u32_e32 v0, v2
	v_min_u32_e32 v5, 32, v0
	v_subrev_u32_e32 v0, 28, v5
	v_bfe_u32 v3, v12, 3, 4
	v_lshlrev_b64 v[0:1], v0, v[12:13]
	v_sub_u32_e32 v1, 29, v5
	v_cmp_eq_u32_e32 vcc, 0, v3
	v_and_b32_e32 v0, 7, v0
	s_nop 0
	v_cndmask_b32_e32 v1, v3, v1, vcc
	v_cndmask_b32_e32 v0, v2, v0, vcc
	v_lshlrev_b32_e32 v2, 8, v12
	v_lshl_add_u32 v1, v1, 10, v32
	v_and_or_b32 v1, v2, s52, v1
	v_lshl_or_b32 v0, v0, 7, v1
	v_cvt_f32_f16_e32 v0, v0
.LBB313_150:                            ;   in Loop: Header=BB313_10 Depth=1
	s_or_b64 exec, exec, s[44:45]
	v_lshrrev_b16_e32 v8, 8, v12
	v_cmp_lt_i16_e32 vcc, s17, v8
	s_mov_b64 s[44:45], 0
	scratch_store_dword off, v0, s32 offset:500 ; 4-byte Folded Spill
                                        ; implicit-def: $sgpr53
	s_and_saveexec_b64 s[46:47], vcc
	s_xor_b64 s[46:47], exec, s[46:47]
	s_cbranch_execz .LBB313_154
; %bb.151:                              ;   in Loop: Header=BB313_10 Depth=1
	v_cmp_eq_u16_e32 vcc, s51, v8
	s_mov_b64 s[44:45], -1
                                        ; implicit-def: $sgpr53
	s_and_saveexec_b64 s[48:49], vcc
; %bb.152:                              ;   in Loop: Header=BB313_10 Depth=1
	s_mov_b32 s53, 0x7fc02000
	s_xor_b64 s[44:45], exec, -1
; %bb.153:                              ;   in Loop: Header=BB313_10 Depth=1
	s_or_b64 exec, exec, s[48:49]
	s_and_b64 s[44:45], s[44:45], exec
.LBB313_154:                            ;   in Loop: Header=BB313_10 Depth=1
	s_or_saveexec_b64 s[46:47], s[46:47]
	v_mov_b32_e32 v0, s53
	scratch_store_dword off, v0, s32 offset:276 ; 4-byte Folded Spill
	s_xor_b64 exec, exec, s[46:47]
	s_cbranch_execz .LBB313_156
; %bb.155:                              ;   in Loop: Header=BB313_10 Depth=1
	v_cmp_ne_u16_e32 vcc, 0, v8
	s_andn2_b64 s[44:45], s[44:45], exec
	s_and_b64 vcc, vcc, exec
	v_mov_b32_e32 v0, 0
	s_or_b64 s[44:45], s[44:45], vcc
	scratch_store_dword off, v0, s32 offset:276 ; 4-byte Folded Spill
.LBB313_156:                            ;   in Loop: Header=BB313_10 Depth=1
	s_or_b64 exec, exec, s[46:47]
	s_and_saveexec_b64 s[46:47], s[44:45]
	s_cbranch_execz .LBB313_158
; %bb.157:                              ;   in Loop: Header=BB313_10 Depth=1
	v_and_b32_e32 v2, 7, v8
	v_ffbh_u32_e32 v0, v2
	v_min_u32_e32 v5, 32, v0
	v_subrev_u32_e32 v0, 28, v5
	v_bfe_u32 v3, v8, 3, 4
	v_lshlrev_b64 v[0:1], v0, v[8:9]
	v_sub_u32_e32 v1, 29, v5
	v_cmp_eq_u32_e32 vcc, 0, v3
	v_and_b32_e32 v0, 7, v0
	s_nop 0
	v_cndmask_b32_e32 v1, v3, v1, vcc
	v_cndmask_b32_e32 v0, v2, v0, vcc
	v_lshlrev_b32_e32 v2, 8, v8
	v_lshl_add_u32 v1, v1, 10, v32
	v_and_or_b32 v1, v2, s52, v1
	v_lshl_or_b32 v0, v0, 7, v1
	v_cvt_f32_f16_e32 v0, v0
	scratch_store_dword off, v0, s32 offset:276 ; 4-byte Folded Spill
.LBB313_158:                            ;   in Loop: Header=BB313_10 Depth=1
	s_or_b64 exec, exec, s[46:47]
	v_lshrrev_b32_e32 v8, 16, v12
	v_cmp_gt_i16_sdwa s[44:45], v8, s17 src0_sel:BYTE_0 src1_sel:DWORD
	s_mov_b64 vcc, 0
                                        ; implicit-def: $sgpr48
	s_and_saveexec_b64 s[46:47], s[44:45]
	s_xor_b64 s[44:45], exec, s[46:47]
	s_cbranch_execz .LBB313_162
; %bb.159:                              ;   in Loop: Header=BB313_10 Depth=1
	v_cmp_eq_u16_sdwa s[54:55], v8, s51 src0_sel:BYTE_0 src1_sel:DWORD
	s_mov_b64 vcc, -1
                                        ; implicit-def: $sgpr48
	s_and_saveexec_b64 s[46:47], s[54:55]
; %bb.160:                              ;   in Loop: Header=BB313_10 Depth=1
	s_mov_b32 s48, 0x7fc02000
	s_xor_b64 vcc, exec, -1
; %bb.161:                              ;   in Loop: Header=BB313_10 Depth=1
	s_or_b64 exec, exec, s[46:47]
	s_and_b64 vcc, vcc, exec
.LBB313_162:                            ;   in Loop: Header=BB313_10 Depth=1
	s_or_saveexec_b64 s[44:45], s[44:45]
	v_mov_b32_e32 v0, s48
	scratch_store_dword off, v0, s32 offset:280 ; 4-byte Folded Spill
	s_xor_b64 exec, exec, s[44:45]
	s_cbranch_execz .LBB313_164
; %bb.163:                              ;   in Loop: Header=BB313_10 Depth=1
	v_cmp_ne_u16_sdwa s[46:47], v8, v9 src0_sel:BYTE_0 src1_sel:DWORD
	s_andn2_b64 vcc, vcc, exec
	s_and_b64 s[46:47], s[46:47], exec
	v_mov_b32_e32 v0, 0
	s_or_b64 vcc, vcc, s[46:47]
	scratch_store_dword off, v0, s32 offset:280 ; 4-byte Folded Spill
.LBB313_164:                            ;   in Loop: Header=BB313_10 Depth=1
	s_or_b64 exec, exec, s[44:45]
	s_and_saveexec_b64 s[44:45], vcc
	s_cbranch_execz .LBB313_166
; %bb.165:                              ;   in Loop: Header=BB313_10 Depth=1
	v_bfe_u32 v2, v12, 16, 3
	v_ffbh_u32_e32 v0, v2
	v_min_u32_e32 v5, 32, v0
	v_subrev_u32_e32 v0, 28, v5
	v_bfe_u32 v3, v12, 19, 4
	v_lshlrev_b64 v[0:1], v0, v[8:9]
	v_sub_u32_e32 v1, 29, v5
	v_cmp_eq_u32_e32 vcc, 0, v3
	v_and_b32_e32 v0, 7, v0
	s_nop 0
	v_cndmask_b32_e32 v1, v3, v1, vcc
	v_cndmask_b32_e32 v0, v2, v0, vcc
	v_lshlrev_b32_e32 v2, 8, v8
	v_lshl_add_u32 v1, v1, 10, v32
	v_and_or_b32 v1, v2, s52, v1
	v_lshl_or_b32 v0, v0, 7, v1
	v_cvt_f32_f16_e32 v0, v0
	scratch_store_dword off, v0, s32 offset:280 ; 4-byte Folded Spill
.LBB313_166:                            ;   in Loop: Header=BB313_10 Depth=1
	s_or_b64 exec, exec, s[44:45]
	v_lshrrev_b32_e32 v8, 24, v12
	v_cmp_lt_i16_e32 vcc, s17, v8
	s_mov_b64 s[44:45], 0
                                        ; implicit-def: $sgpr53
	s_and_saveexec_b64 s[46:47], vcc
	s_xor_b64 s[46:47], exec, s[46:47]
	s_cbranch_execz .LBB313_170
; %bb.167:                              ;   in Loop: Header=BB313_10 Depth=1
	v_cmp_eq_u16_e32 vcc, s51, v8
	s_mov_b64 s[44:45], -1
                                        ; implicit-def: $sgpr53
	s_and_saveexec_b64 s[48:49], vcc
; %bb.168:                              ;   in Loop: Header=BB313_10 Depth=1
	s_mov_b32 s53, 0x7fc02000
	s_xor_b64 s[44:45], exec, -1
; %bb.169:                              ;   in Loop: Header=BB313_10 Depth=1
	s_or_b64 exec, exec, s[48:49]
	s_and_b64 s[44:45], s[44:45], exec
.LBB313_170:                            ;   in Loop: Header=BB313_10 Depth=1
	s_or_saveexec_b64 s[46:47], s[46:47]
	v_mov_b32_e32 v0, s53
	scratch_store_dword off, v0, s32 offset:284 ; 4-byte Folded Spill
	s_xor_b64 exec, exec, s[46:47]
	s_cbranch_execz .LBB313_172
; %bb.171:                              ;   in Loop: Header=BB313_10 Depth=1
	v_cmp_ne_u16_e32 vcc, 0, v8
	s_andn2_b64 s[44:45], s[44:45], exec
	s_and_b64 vcc, vcc, exec
	v_mov_b32_e32 v0, 0
	s_or_b64 s[44:45], s[44:45], vcc
	scratch_store_dword off, v0, s32 offset:284 ; 4-byte Folded Spill
.LBB313_172:                            ;   in Loop: Header=BB313_10 Depth=1
	s_or_b64 exec, exec, s[46:47]
	s_and_saveexec_b64 s[46:47], s[44:45]
	s_cbranch_execz .LBB313_174
; %bb.173:                              ;   in Loop: Header=BB313_10 Depth=1
	v_bfe_u32 v2, v12, 24, 3
	v_ffbh_u32_e32 v0, v2
	v_min_u32_e32 v5, 32, v0
	v_subrev_u32_e32 v0, 28, v5
	v_bfe_u32 v3, v12, 27, 4
	v_lshlrev_b64 v[0:1], v0, v[8:9]
	v_sub_u32_e32 v1, 29, v5
	v_cmp_eq_u32_e32 vcc, 0, v3
	v_and_b32_e32 v0, 7, v0
	s_nop 0
	v_cndmask_b32_e32 v1, v3, v1, vcc
	v_cndmask_b32_e32 v0, v2, v0, vcc
	v_lshlrev_b32_e32 v2, 8, v8
	v_lshl_add_u32 v1, v1, 10, v32
	v_and_or_b32 v1, v2, s52, v1
	v_lshl_or_b32 v0, v0, 7, v1
	v_cvt_f32_f16_e32 v0, v0
	scratch_store_dword off, v0, s32 offset:284 ; 4-byte Folded Spill
.LBB313_174:                            ;   in Loop: Header=BB313_10 Depth=1
	s_or_b64 exec, exec, s[46:47]
	flat_load_dword v12, v[36:37] offset:1536
	s_mov_b64 vcc, 0
                                        ; implicit-def: $sgpr48
	s_waitcnt vmcnt(0) lgkmcnt(0)
	v_cmp_gt_i16_sdwa s[44:45], v12, s17 src0_sel:BYTE_0 src1_sel:DWORD
	s_and_saveexec_b64 s[46:47], s[44:45]
	s_xor_b64 s[44:45], exec, s[46:47]
	s_cbranch_execnz .LBB313_788
; %bb.175:                              ;   in Loop: Header=BB313_10 Depth=1
	s_or_saveexec_b64 s[44:45], s[44:45]
	v_mov_b32_e32 v0, s48
	s_xor_b64 exec, exec, s[44:45]
	s_cbranch_execnz .LBB313_791
.LBB313_176:                            ;   in Loop: Header=BB313_10 Depth=1
	s_or_b64 exec, exec, s[44:45]
	s_and_saveexec_b64 s[44:45], vcc
	s_cbranch_execz .LBB313_178
.LBB313_177:                            ;   in Loop: Header=BB313_10 Depth=1
	v_and_b32_e32 v2, 7, v12
	v_ffbh_u32_e32 v0, v2
	v_min_u32_e32 v5, 32, v0
	v_subrev_u32_e32 v0, 28, v5
	v_bfe_u32 v3, v12, 3, 4
	v_lshlrev_b64 v[0:1], v0, v[12:13]
	v_sub_u32_e32 v1, 29, v5
	v_cmp_eq_u32_e32 vcc, 0, v3
	v_and_b32_e32 v0, 7, v0
	s_nop 0
	v_cndmask_b32_e32 v1, v3, v1, vcc
	v_cndmask_b32_e32 v0, v2, v0, vcc
	v_lshlrev_b32_e32 v2, 8, v12
	v_lshl_add_u32 v1, v1, 10, v32
	v_and_or_b32 v1, v2, s52, v1
	v_lshl_or_b32 v0, v0, 7, v1
	v_cvt_f32_f16_e32 v0, v0
.LBB313_178:                            ;   in Loop: Header=BB313_10 Depth=1
	s_or_b64 exec, exec, s[44:45]
	v_lshrrev_b16_e32 v8, 8, v12
	v_cmp_lt_i16_e32 vcc, s17, v8
	s_mov_b64 s[44:45], 0
	scratch_store_dword off, v0, s32 offset:504 ; 4-byte Folded Spill
                                        ; implicit-def: $sgpr53
	s_and_saveexec_b64 s[46:47], vcc
	s_xor_b64 s[46:47], exec, s[46:47]
	s_cbranch_execz .LBB313_182
; %bb.179:                              ;   in Loop: Header=BB313_10 Depth=1
	v_cmp_eq_u16_e32 vcc, s51, v8
	s_mov_b64 s[44:45], -1
                                        ; implicit-def: $sgpr53
	s_and_saveexec_b64 s[48:49], vcc
; %bb.180:                              ;   in Loop: Header=BB313_10 Depth=1
	s_mov_b32 s53, 0x7fc02000
	s_xor_b64 s[44:45], exec, -1
; %bb.181:                              ;   in Loop: Header=BB313_10 Depth=1
	s_or_b64 exec, exec, s[48:49]
	s_and_b64 s[44:45], s[44:45], exec
.LBB313_182:                            ;   in Loop: Header=BB313_10 Depth=1
	s_or_saveexec_b64 s[46:47], s[46:47]
	v_mov_b32_e32 v0, s53
	scratch_store_dword off, v0, s32 offset:288 ; 4-byte Folded Spill
	s_xor_b64 exec, exec, s[46:47]
	s_cbranch_execz .LBB313_184
; %bb.183:                              ;   in Loop: Header=BB313_10 Depth=1
	v_cmp_ne_u16_e32 vcc, 0, v8
	s_andn2_b64 s[44:45], s[44:45], exec
	s_and_b64 vcc, vcc, exec
	v_mov_b32_e32 v0, 0
	s_or_b64 s[44:45], s[44:45], vcc
	scratch_store_dword off, v0, s32 offset:288 ; 4-byte Folded Spill
.LBB313_184:                            ;   in Loop: Header=BB313_10 Depth=1
	s_or_b64 exec, exec, s[46:47]
	s_and_saveexec_b64 s[46:47], s[44:45]
	s_cbranch_execz .LBB313_186
; %bb.185:                              ;   in Loop: Header=BB313_10 Depth=1
	v_and_b32_e32 v2, 7, v8
	v_ffbh_u32_e32 v0, v2
	v_min_u32_e32 v5, 32, v0
	v_subrev_u32_e32 v0, 28, v5
	v_bfe_u32 v3, v8, 3, 4
	v_lshlrev_b64 v[0:1], v0, v[8:9]
	v_sub_u32_e32 v1, 29, v5
	v_cmp_eq_u32_e32 vcc, 0, v3
	v_and_b32_e32 v0, 7, v0
	s_nop 0
	v_cndmask_b32_e32 v1, v3, v1, vcc
	v_cndmask_b32_e32 v0, v2, v0, vcc
	v_lshlrev_b32_e32 v2, 8, v8
	v_lshl_add_u32 v1, v1, 10, v32
	v_and_or_b32 v1, v2, s52, v1
	v_lshl_or_b32 v0, v0, 7, v1
	v_cvt_f32_f16_e32 v0, v0
	scratch_store_dword off, v0, s32 offset:288 ; 4-byte Folded Spill
.LBB313_186:                            ;   in Loop: Header=BB313_10 Depth=1
	s_or_b64 exec, exec, s[46:47]
	v_lshrrev_b32_e32 v8, 16, v12
	v_cmp_gt_i16_sdwa s[44:45], v8, s17 src0_sel:BYTE_0 src1_sel:DWORD
	s_mov_b64 vcc, 0
                                        ; implicit-def: $sgpr48
	s_and_saveexec_b64 s[46:47], s[44:45]
	s_xor_b64 s[44:45], exec, s[46:47]
	s_cbranch_execz .LBB313_190
; %bb.187:                              ;   in Loop: Header=BB313_10 Depth=1
	v_cmp_eq_u16_sdwa s[54:55], v8, s51 src0_sel:BYTE_0 src1_sel:DWORD
	s_mov_b64 vcc, -1
                                        ; implicit-def: $sgpr48
	s_and_saveexec_b64 s[46:47], s[54:55]
; %bb.188:                              ;   in Loop: Header=BB313_10 Depth=1
	s_mov_b32 s48, 0x7fc02000
	s_xor_b64 vcc, exec, -1
; %bb.189:                              ;   in Loop: Header=BB313_10 Depth=1
	s_or_b64 exec, exec, s[46:47]
	s_and_b64 vcc, vcc, exec
.LBB313_190:                            ;   in Loop: Header=BB313_10 Depth=1
	s_or_saveexec_b64 s[44:45], s[44:45]
	v_mov_b32_e32 v0, s48
	scratch_store_dword off, v0, s32 offset:292 ; 4-byte Folded Spill
	s_xor_b64 exec, exec, s[44:45]
	s_cbranch_execz .LBB313_192
; %bb.191:                              ;   in Loop: Header=BB313_10 Depth=1
	v_cmp_ne_u16_sdwa s[46:47], v8, v9 src0_sel:BYTE_0 src1_sel:DWORD
	s_andn2_b64 vcc, vcc, exec
	s_and_b64 s[46:47], s[46:47], exec
	v_mov_b32_e32 v0, 0
	s_or_b64 vcc, vcc, s[46:47]
	scratch_store_dword off, v0, s32 offset:292 ; 4-byte Folded Spill
.LBB313_192:                            ;   in Loop: Header=BB313_10 Depth=1
	s_or_b64 exec, exec, s[44:45]
	s_and_saveexec_b64 s[44:45], vcc
	s_cbranch_execz .LBB313_194
; %bb.193:                              ;   in Loop: Header=BB313_10 Depth=1
	v_bfe_u32 v2, v12, 16, 3
	v_ffbh_u32_e32 v0, v2
	v_min_u32_e32 v5, 32, v0
	v_subrev_u32_e32 v0, 28, v5
	v_bfe_u32 v3, v12, 19, 4
	v_lshlrev_b64 v[0:1], v0, v[8:9]
	v_sub_u32_e32 v1, 29, v5
	v_cmp_eq_u32_e32 vcc, 0, v3
	v_and_b32_e32 v0, 7, v0
	s_nop 0
	v_cndmask_b32_e32 v1, v3, v1, vcc
	v_cndmask_b32_e32 v0, v2, v0, vcc
	v_lshlrev_b32_e32 v2, 8, v8
	v_lshl_add_u32 v1, v1, 10, v32
	v_and_or_b32 v1, v2, s52, v1
	v_lshl_or_b32 v0, v0, 7, v1
	v_cvt_f32_f16_e32 v0, v0
	scratch_store_dword off, v0, s32 offset:292 ; 4-byte Folded Spill
.LBB313_194:                            ;   in Loop: Header=BB313_10 Depth=1
	s_or_b64 exec, exec, s[44:45]
	v_lshrrev_b32_e32 v8, 24, v12
	v_cmp_lt_i16_e32 vcc, s17, v8
	s_mov_b64 s[44:45], 0
                                        ; implicit-def: $sgpr53
	s_and_saveexec_b64 s[46:47], vcc
	s_xor_b64 s[46:47], exec, s[46:47]
	s_cbranch_execz .LBB313_198
; %bb.195:                              ;   in Loop: Header=BB313_10 Depth=1
	v_cmp_eq_u16_e32 vcc, s51, v8
	s_mov_b64 s[44:45], -1
                                        ; implicit-def: $sgpr53
	s_and_saveexec_b64 s[48:49], vcc
; %bb.196:                              ;   in Loop: Header=BB313_10 Depth=1
	s_mov_b32 s53, 0x7fc02000
	s_xor_b64 s[44:45], exec, -1
; %bb.197:                              ;   in Loop: Header=BB313_10 Depth=1
	s_or_b64 exec, exec, s[48:49]
	s_and_b64 s[44:45], s[44:45], exec
.LBB313_198:                            ;   in Loop: Header=BB313_10 Depth=1
	s_or_saveexec_b64 s[46:47], s[46:47]
	v_mov_b32_e32 v0, s53
	scratch_store_dword off, v0, s32 offset:296 ; 4-byte Folded Spill
	s_xor_b64 exec, exec, s[46:47]
	s_cbranch_execz .LBB313_200
; %bb.199:                              ;   in Loop: Header=BB313_10 Depth=1
	v_cmp_ne_u16_e32 vcc, 0, v8
	s_andn2_b64 s[44:45], s[44:45], exec
	s_and_b64 vcc, vcc, exec
	v_mov_b32_e32 v0, 0
	s_or_b64 s[44:45], s[44:45], vcc
	scratch_store_dword off, v0, s32 offset:296 ; 4-byte Folded Spill
.LBB313_200:                            ;   in Loop: Header=BB313_10 Depth=1
	s_or_b64 exec, exec, s[46:47]
	s_and_saveexec_b64 s[46:47], s[44:45]
	s_cbranch_execz .LBB313_202
; %bb.201:                              ;   in Loop: Header=BB313_10 Depth=1
	v_bfe_u32 v2, v12, 24, 3
	v_ffbh_u32_e32 v0, v2
	v_min_u32_e32 v5, 32, v0
	v_subrev_u32_e32 v0, 28, v5
	v_bfe_u32 v3, v12, 27, 4
	v_lshlrev_b64 v[0:1], v0, v[8:9]
	v_sub_u32_e32 v1, 29, v5
	v_cmp_eq_u32_e32 vcc, 0, v3
	v_and_b32_e32 v0, 7, v0
	s_nop 0
	v_cndmask_b32_e32 v1, v3, v1, vcc
	v_cndmask_b32_e32 v0, v2, v0, vcc
	v_lshlrev_b32_e32 v2, 8, v8
	v_lshl_add_u32 v1, v1, 10, v32
	v_and_or_b32 v1, v2, s52, v1
	v_lshl_or_b32 v0, v0, 7, v1
	v_cvt_f32_f16_e32 v0, v0
	scratch_store_dword off, v0, s32 offset:296 ; 4-byte Folded Spill
.LBB313_202:                            ;   in Loop: Header=BB313_10 Depth=1
	s_or_b64 exec, exec, s[46:47]
	flat_load_dword v12, v[36:37] offset:1544
	s_mov_b64 vcc, 0
                                        ; implicit-def: $sgpr48
	s_waitcnt vmcnt(0) lgkmcnt(0)
	v_cmp_gt_i16_sdwa s[44:45], v12, s17 src0_sel:BYTE_0 src1_sel:DWORD
	s_and_saveexec_b64 s[46:47], s[44:45]
	s_xor_b64 s[44:45], exec, s[46:47]
	s_cbranch_execnz .LBB313_792
; %bb.203:                              ;   in Loop: Header=BB313_10 Depth=1
	s_or_saveexec_b64 s[44:45], s[44:45]
	v_mov_b32_e32 v0, s48
	s_xor_b64 exec, exec, s[44:45]
	s_cbranch_execnz .LBB313_795
.LBB313_204:                            ;   in Loop: Header=BB313_10 Depth=1
	s_or_b64 exec, exec, s[44:45]
	s_and_saveexec_b64 s[44:45], vcc
	s_cbranch_execz .LBB313_206
.LBB313_205:                            ;   in Loop: Header=BB313_10 Depth=1
	v_and_b32_e32 v2, 7, v12
	v_ffbh_u32_e32 v0, v2
	v_min_u32_e32 v5, 32, v0
	v_subrev_u32_e32 v0, 28, v5
	v_bfe_u32 v3, v12, 3, 4
	v_lshlrev_b64 v[0:1], v0, v[12:13]
	v_sub_u32_e32 v1, 29, v5
	v_cmp_eq_u32_e32 vcc, 0, v3
	v_and_b32_e32 v0, 7, v0
	s_nop 0
	v_cndmask_b32_e32 v1, v3, v1, vcc
	v_cndmask_b32_e32 v0, v2, v0, vcc
	v_lshlrev_b32_e32 v2, 8, v12
	v_lshl_add_u32 v1, v1, 10, v32
	v_and_or_b32 v1, v2, s52, v1
	v_lshl_or_b32 v0, v0, 7, v1
	v_cvt_f32_f16_e32 v0, v0
.LBB313_206:                            ;   in Loop: Header=BB313_10 Depth=1
	s_or_b64 exec, exec, s[44:45]
	v_lshrrev_b16_e32 v8, 8, v12
	v_cmp_lt_i16_e32 vcc, s17, v8
	s_mov_b64 s[44:45], 0
	scratch_store_dword off, v0, s32 offset:508 ; 4-byte Folded Spill
                                        ; implicit-def: $sgpr53
	s_and_saveexec_b64 s[46:47], vcc
	s_xor_b64 s[46:47], exec, s[46:47]
	s_cbranch_execz .LBB313_210
; %bb.207:                              ;   in Loop: Header=BB313_10 Depth=1
	v_cmp_eq_u16_e32 vcc, s51, v8
	s_mov_b64 s[44:45], -1
                                        ; implicit-def: $sgpr53
	s_and_saveexec_b64 s[48:49], vcc
; %bb.208:                              ;   in Loop: Header=BB313_10 Depth=1
	s_mov_b32 s53, 0x7fc02000
	s_xor_b64 s[44:45], exec, -1
; %bb.209:                              ;   in Loop: Header=BB313_10 Depth=1
	s_or_b64 exec, exec, s[48:49]
	s_and_b64 s[44:45], s[44:45], exec
.LBB313_210:                            ;   in Loop: Header=BB313_10 Depth=1
	s_or_saveexec_b64 s[46:47], s[46:47]
	v_mov_b32_e32 v0, s53
	scratch_store_dword off, v0, s32 offset:300 ; 4-byte Folded Spill
	s_xor_b64 exec, exec, s[46:47]
	s_cbranch_execz .LBB313_212
; %bb.211:                              ;   in Loop: Header=BB313_10 Depth=1
	v_cmp_ne_u16_e32 vcc, 0, v8
	s_andn2_b64 s[44:45], s[44:45], exec
	s_and_b64 vcc, vcc, exec
	v_mov_b32_e32 v0, 0
	s_or_b64 s[44:45], s[44:45], vcc
	scratch_store_dword off, v0, s32 offset:300 ; 4-byte Folded Spill
.LBB313_212:                            ;   in Loop: Header=BB313_10 Depth=1
	s_or_b64 exec, exec, s[46:47]
	s_and_saveexec_b64 s[46:47], s[44:45]
	s_cbranch_execz .LBB313_214
; %bb.213:                              ;   in Loop: Header=BB313_10 Depth=1
	v_and_b32_e32 v2, 7, v8
	v_ffbh_u32_e32 v0, v2
	v_min_u32_e32 v5, 32, v0
	v_subrev_u32_e32 v0, 28, v5
	v_bfe_u32 v3, v8, 3, 4
	v_lshlrev_b64 v[0:1], v0, v[8:9]
	v_sub_u32_e32 v1, 29, v5
	v_cmp_eq_u32_e32 vcc, 0, v3
	v_and_b32_e32 v0, 7, v0
	s_nop 0
	v_cndmask_b32_e32 v1, v3, v1, vcc
	v_cndmask_b32_e32 v0, v2, v0, vcc
	v_lshlrev_b32_e32 v2, 8, v8
	v_lshl_add_u32 v1, v1, 10, v32
	v_and_or_b32 v1, v2, s52, v1
	v_lshl_or_b32 v0, v0, 7, v1
	v_cvt_f32_f16_e32 v0, v0
	scratch_store_dword off, v0, s32 offset:300 ; 4-byte Folded Spill
.LBB313_214:                            ;   in Loop: Header=BB313_10 Depth=1
	s_or_b64 exec, exec, s[46:47]
	v_lshrrev_b32_e32 v8, 16, v12
	v_cmp_gt_i16_sdwa s[44:45], v8, s17 src0_sel:BYTE_0 src1_sel:DWORD
	s_mov_b64 vcc, 0
                                        ; implicit-def: $sgpr48
	s_and_saveexec_b64 s[46:47], s[44:45]
	s_xor_b64 s[44:45], exec, s[46:47]
	s_cbranch_execz .LBB313_218
; %bb.215:                              ;   in Loop: Header=BB313_10 Depth=1
	v_cmp_eq_u16_sdwa s[54:55], v8, s51 src0_sel:BYTE_0 src1_sel:DWORD
	s_mov_b64 vcc, -1
                                        ; implicit-def: $sgpr48
	s_and_saveexec_b64 s[46:47], s[54:55]
; %bb.216:                              ;   in Loop: Header=BB313_10 Depth=1
	s_mov_b32 s48, 0x7fc02000
	s_xor_b64 vcc, exec, -1
; %bb.217:                              ;   in Loop: Header=BB313_10 Depth=1
	s_or_b64 exec, exec, s[46:47]
	s_and_b64 vcc, vcc, exec
.LBB313_218:                            ;   in Loop: Header=BB313_10 Depth=1
	s_or_saveexec_b64 s[44:45], s[44:45]
	v_mov_b32_e32 v0, s48
	scratch_store_dword off, v0, s32 offset:304 ; 4-byte Folded Spill
	s_xor_b64 exec, exec, s[44:45]
	s_cbranch_execz .LBB313_220
; %bb.219:                              ;   in Loop: Header=BB313_10 Depth=1
	v_cmp_ne_u16_sdwa s[46:47], v8, v9 src0_sel:BYTE_0 src1_sel:DWORD
	s_andn2_b64 vcc, vcc, exec
	s_and_b64 s[46:47], s[46:47], exec
	v_mov_b32_e32 v0, 0
	s_or_b64 vcc, vcc, s[46:47]
	scratch_store_dword off, v0, s32 offset:304 ; 4-byte Folded Spill
.LBB313_220:                            ;   in Loop: Header=BB313_10 Depth=1
	s_or_b64 exec, exec, s[44:45]
	s_and_saveexec_b64 s[44:45], vcc
	s_cbranch_execz .LBB313_222
; %bb.221:                              ;   in Loop: Header=BB313_10 Depth=1
	v_bfe_u32 v2, v12, 16, 3
	v_ffbh_u32_e32 v0, v2
	v_min_u32_e32 v5, 32, v0
	v_subrev_u32_e32 v0, 28, v5
	v_bfe_u32 v3, v12, 19, 4
	v_lshlrev_b64 v[0:1], v0, v[8:9]
	v_sub_u32_e32 v1, 29, v5
	v_cmp_eq_u32_e32 vcc, 0, v3
	v_and_b32_e32 v0, 7, v0
	s_nop 0
	v_cndmask_b32_e32 v1, v3, v1, vcc
	v_cndmask_b32_e32 v0, v2, v0, vcc
	v_lshlrev_b32_e32 v2, 8, v8
	v_lshl_add_u32 v1, v1, 10, v32
	v_and_or_b32 v1, v2, s52, v1
	v_lshl_or_b32 v0, v0, 7, v1
	v_cvt_f32_f16_e32 v0, v0
	scratch_store_dword off, v0, s32 offset:304 ; 4-byte Folded Spill
.LBB313_222:                            ;   in Loop: Header=BB313_10 Depth=1
	s_or_b64 exec, exec, s[44:45]
	v_lshrrev_b32_e32 v8, 24, v12
	v_cmp_lt_i16_e32 vcc, s17, v8
	s_mov_b64 s[44:45], 0
                                        ; implicit-def: $sgpr53
	s_and_saveexec_b64 s[46:47], vcc
	s_xor_b64 s[46:47], exec, s[46:47]
	s_cbranch_execz .LBB313_226
; %bb.223:                              ;   in Loop: Header=BB313_10 Depth=1
	v_cmp_eq_u16_e32 vcc, s51, v8
	s_mov_b64 s[44:45], -1
                                        ; implicit-def: $sgpr53
	s_and_saveexec_b64 s[48:49], vcc
; %bb.224:                              ;   in Loop: Header=BB313_10 Depth=1
	s_mov_b32 s53, 0x7fc02000
	s_xor_b64 s[44:45], exec, -1
; %bb.225:                              ;   in Loop: Header=BB313_10 Depth=1
	s_or_b64 exec, exec, s[48:49]
	s_and_b64 s[44:45], s[44:45], exec
.LBB313_226:                            ;   in Loop: Header=BB313_10 Depth=1
	s_or_saveexec_b64 s[46:47], s[46:47]
	v_mov_b32_e32 v0, s53
	scratch_store_dword off, v0, s32 offset:308 ; 4-byte Folded Spill
	s_xor_b64 exec, exec, s[46:47]
	s_cbranch_execz .LBB313_228
; %bb.227:                              ;   in Loop: Header=BB313_10 Depth=1
	v_cmp_ne_u16_e32 vcc, 0, v8
	s_andn2_b64 s[44:45], s[44:45], exec
	s_and_b64 vcc, vcc, exec
	v_mov_b32_e32 v0, 0
	s_or_b64 s[44:45], s[44:45], vcc
	scratch_store_dword off, v0, s32 offset:308 ; 4-byte Folded Spill
.LBB313_228:                            ;   in Loop: Header=BB313_10 Depth=1
	s_or_b64 exec, exec, s[46:47]
	s_and_saveexec_b64 s[46:47], s[44:45]
	s_cbranch_execz .LBB313_230
; %bb.229:                              ;   in Loop: Header=BB313_10 Depth=1
	v_bfe_u32 v2, v12, 24, 3
	v_ffbh_u32_e32 v0, v2
	v_min_u32_e32 v5, 32, v0
	v_subrev_u32_e32 v0, 28, v5
	v_bfe_u32 v3, v12, 27, 4
	v_lshlrev_b64 v[0:1], v0, v[8:9]
	v_sub_u32_e32 v1, 29, v5
	v_cmp_eq_u32_e32 vcc, 0, v3
	v_and_b32_e32 v0, 7, v0
	s_nop 0
	v_cndmask_b32_e32 v1, v3, v1, vcc
	v_cndmask_b32_e32 v0, v2, v0, vcc
	v_lshlrev_b32_e32 v2, 8, v8
	v_lshl_add_u32 v1, v1, 10, v32
	v_and_or_b32 v1, v2, s52, v1
	v_lshl_or_b32 v0, v0, 7, v1
	v_cvt_f32_f16_e32 v0, v0
	scratch_store_dword off, v0, s32 offset:308 ; 4-byte Folded Spill
.LBB313_230:                            ;   in Loop: Header=BB313_10 Depth=1
	s_or_b64 exec, exec, s[46:47]
	flat_load_dword v12, v[36:37] offset:2048
	s_mov_b64 vcc, 0
                                        ; implicit-def: $sgpr48
	s_waitcnt vmcnt(0) lgkmcnt(0)
	v_cmp_gt_i16_sdwa s[44:45], v12, s17 src0_sel:BYTE_0 src1_sel:DWORD
	s_and_saveexec_b64 s[46:47], s[44:45]
	s_xor_b64 s[44:45], exec, s[46:47]
	s_cbranch_execnz .LBB313_796
; %bb.231:                              ;   in Loop: Header=BB313_10 Depth=1
	s_or_saveexec_b64 s[44:45], s[44:45]
	v_mov_b32_e32 v0, s48
	s_xor_b64 exec, exec, s[44:45]
	s_cbranch_execnz .LBB313_799
.LBB313_232:                            ;   in Loop: Header=BB313_10 Depth=1
	s_or_b64 exec, exec, s[44:45]
	s_and_saveexec_b64 s[44:45], vcc
	s_cbranch_execz .LBB313_234
.LBB313_233:                            ;   in Loop: Header=BB313_10 Depth=1
	v_and_b32_e32 v2, 7, v12
	v_ffbh_u32_e32 v0, v2
	v_min_u32_e32 v5, 32, v0
	v_subrev_u32_e32 v0, 28, v5
	v_bfe_u32 v3, v12, 3, 4
	v_lshlrev_b64 v[0:1], v0, v[12:13]
	v_sub_u32_e32 v1, 29, v5
	v_cmp_eq_u32_e32 vcc, 0, v3
	v_and_b32_e32 v0, 7, v0
	s_nop 0
	v_cndmask_b32_e32 v1, v3, v1, vcc
	v_cndmask_b32_e32 v0, v2, v0, vcc
	v_lshlrev_b32_e32 v2, 8, v12
	v_lshl_add_u32 v1, v1, 10, v32
	v_and_or_b32 v1, v2, s52, v1
	v_lshl_or_b32 v0, v0, 7, v1
	v_cvt_f32_f16_e32 v0, v0
.LBB313_234:                            ;   in Loop: Header=BB313_10 Depth=1
	s_or_b64 exec, exec, s[44:45]
	v_lshrrev_b16_e32 v8, 8, v12
	v_cmp_lt_i16_e32 vcc, s17, v8
	s_mov_b64 s[44:45], 0
	scratch_store_dword off, v0, s32 offset:520 ; 4-byte Folded Spill
                                        ; implicit-def: $sgpr53
	s_and_saveexec_b64 s[46:47], vcc
	s_xor_b64 s[46:47], exec, s[46:47]
	s_cbranch_execz .LBB313_238
; %bb.235:                              ;   in Loop: Header=BB313_10 Depth=1
	v_cmp_eq_u16_e32 vcc, s51, v8
	s_mov_b64 s[44:45], -1
                                        ; implicit-def: $sgpr53
	s_and_saveexec_b64 s[48:49], vcc
; %bb.236:                              ;   in Loop: Header=BB313_10 Depth=1
	s_mov_b32 s53, 0x7fc02000
	s_xor_b64 s[44:45], exec, -1
; %bb.237:                              ;   in Loop: Header=BB313_10 Depth=1
	s_or_b64 exec, exec, s[48:49]
	s_and_b64 s[44:45], s[44:45], exec
.LBB313_238:                            ;   in Loop: Header=BB313_10 Depth=1
	s_or_saveexec_b64 s[46:47], s[46:47]
	v_mov_b32_e32 v0, s53
	scratch_store_dword off, v0, s32 offset:312 ; 4-byte Folded Spill
	s_xor_b64 exec, exec, s[46:47]
	s_cbranch_execz .LBB313_240
; %bb.239:                              ;   in Loop: Header=BB313_10 Depth=1
	v_cmp_ne_u16_e32 vcc, 0, v8
	s_andn2_b64 s[44:45], s[44:45], exec
	s_and_b64 vcc, vcc, exec
	v_mov_b32_e32 v0, 0
	s_or_b64 s[44:45], s[44:45], vcc
	scratch_store_dword off, v0, s32 offset:312 ; 4-byte Folded Spill
.LBB313_240:                            ;   in Loop: Header=BB313_10 Depth=1
	s_or_b64 exec, exec, s[46:47]
	s_and_saveexec_b64 s[46:47], s[44:45]
	s_cbranch_execz .LBB313_242
; %bb.241:                              ;   in Loop: Header=BB313_10 Depth=1
	v_and_b32_e32 v2, 7, v8
	v_ffbh_u32_e32 v0, v2
	v_min_u32_e32 v5, 32, v0
	v_subrev_u32_e32 v0, 28, v5
	v_bfe_u32 v3, v8, 3, 4
	v_lshlrev_b64 v[0:1], v0, v[8:9]
	v_sub_u32_e32 v1, 29, v5
	v_cmp_eq_u32_e32 vcc, 0, v3
	v_and_b32_e32 v0, 7, v0
	s_nop 0
	v_cndmask_b32_e32 v1, v3, v1, vcc
	v_cndmask_b32_e32 v0, v2, v0, vcc
	v_lshlrev_b32_e32 v2, 8, v8
	v_lshl_add_u32 v1, v1, 10, v32
	v_and_or_b32 v1, v2, s52, v1
	v_lshl_or_b32 v0, v0, 7, v1
	v_cvt_f32_f16_e32 v0, v0
	scratch_store_dword off, v0, s32 offset:312 ; 4-byte Folded Spill
.LBB313_242:                            ;   in Loop: Header=BB313_10 Depth=1
	s_or_b64 exec, exec, s[46:47]
	v_lshrrev_b32_e32 v8, 16, v12
	v_cmp_gt_i16_sdwa s[44:45], v8, s17 src0_sel:BYTE_0 src1_sel:DWORD
	s_mov_b64 vcc, 0
                                        ; implicit-def: $sgpr48
	s_and_saveexec_b64 s[46:47], s[44:45]
	s_xor_b64 s[44:45], exec, s[46:47]
	s_cbranch_execz .LBB313_246
; %bb.243:                              ;   in Loop: Header=BB313_10 Depth=1
	v_cmp_eq_u16_sdwa s[54:55], v8, s51 src0_sel:BYTE_0 src1_sel:DWORD
	s_mov_b64 vcc, -1
                                        ; implicit-def: $sgpr48
	s_and_saveexec_b64 s[46:47], s[54:55]
; %bb.244:                              ;   in Loop: Header=BB313_10 Depth=1
	s_mov_b32 s48, 0x7fc02000
	s_xor_b64 vcc, exec, -1
; %bb.245:                              ;   in Loop: Header=BB313_10 Depth=1
	s_or_b64 exec, exec, s[46:47]
	s_and_b64 vcc, vcc, exec
.LBB313_246:                            ;   in Loop: Header=BB313_10 Depth=1
	s_or_saveexec_b64 s[44:45], s[44:45]
	v_mov_b32_e32 v0, s48
	scratch_store_dword off, v0, s32 offset:316 ; 4-byte Folded Spill
	s_xor_b64 exec, exec, s[44:45]
	s_cbranch_execz .LBB313_248
; %bb.247:                              ;   in Loop: Header=BB313_10 Depth=1
	v_cmp_ne_u16_sdwa s[46:47], v8, v9 src0_sel:BYTE_0 src1_sel:DWORD
	s_andn2_b64 vcc, vcc, exec
	s_and_b64 s[46:47], s[46:47], exec
	v_mov_b32_e32 v0, 0
	s_or_b64 vcc, vcc, s[46:47]
	scratch_store_dword off, v0, s32 offset:316 ; 4-byte Folded Spill
.LBB313_248:                            ;   in Loop: Header=BB313_10 Depth=1
	s_or_b64 exec, exec, s[44:45]
	s_and_saveexec_b64 s[44:45], vcc
	s_cbranch_execz .LBB313_250
; %bb.249:                              ;   in Loop: Header=BB313_10 Depth=1
	v_bfe_u32 v2, v12, 16, 3
	v_ffbh_u32_e32 v0, v2
	v_min_u32_e32 v5, 32, v0
	v_subrev_u32_e32 v0, 28, v5
	v_bfe_u32 v3, v12, 19, 4
	v_lshlrev_b64 v[0:1], v0, v[8:9]
	v_sub_u32_e32 v1, 29, v5
	v_cmp_eq_u32_e32 vcc, 0, v3
	v_and_b32_e32 v0, 7, v0
	s_nop 0
	v_cndmask_b32_e32 v1, v3, v1, vcc
	v_cndmask_b32_e32 v0, v2, v0, vcc
	v_lshlrev_b32_e32 v2, 8, v8
	v_lshl_add_u32 v1, v1, 10, v32
	v_and_or_b32 v1, v2, s52, v1
	v_lshl_or_b32 v0, v0, 7, v1
	v_cvt_f32_f16_e32 v0, v0
	scratch_store_dword off, v0, s32 offset:316 ; 4-byte Folded Spill
.LBB313_250:                            ;   in Loop: Header=BB313_10 Depth=1
	s_or_b64 exec, exec, s[44:45]
	v_lshrrev_b32_e32 v8, 24, v12
	v_cmp_lt_i16_e32 vcc, s17, v8
	s_mov_b64 s[44:45], 0
                                        ; implicit-def: $sgpr53
	s_and_saveexec_b64 s[46:47], vcc
	s_xor_b64 s[46:47], exec, s[46:47]
	s_cbranch_execz .LBB313_254
; %bb.251:                              ;   in Loop: Header=BB313_10 Depth=1
	v_cmp_eq_u16_e32 vcc, s51, v8
	s_mov_b64 s[44:45], -1
                                        ; implicit-def: $sgpr53
	s_and_saveexec_b64 s[48:49], vcc
; %bb.252:                              ;   in Loop: Header=BB313_10 Depth=1
	s_mov_b32 s53, 0x7fc02000
	s_xor_b64 s[44:45], exec, -1
; %bb.253:                              ;   in Loop: Header=BB313_10 Depth=1
	s_or_b64 exec, exec, s[48:49]
	s_and_b64 s[44:45], s[44:45], exec
.LBB313_254:                            ;   in Loop: Header=BB313_10 Depth=1
	s_or_saveexec_b64 s[46:47], s[46:47]
	v_mov_b32_e32 v0, s53
	scratch_store_dword off, v0, s32 offset:320 ; 4-byte Folded Spill
	s_xor_b64 exec, exec, s[46:47]
	s_cbranch_execz .LBB313_256
; %bb.255:                              ;   in Loop: Header=BB313_10 Depth=1
	v_cmp_ne_u16_e32 vcc, 0, v8
	s_andn2_b64 s[44:45], s[44:45], exec
	s_and_b64 vcc, vcc, exec
	v_mov_b32_e32 v0, 0
	s_or_b64 s[44:45], s[44:45], vcc
	scratch_store_dword off, v0, s32 offset:320 ; 4-byte Folded Spill
.LBB313_256:                            ;   in Loop: Header=BB313_10 Depth=1
	s_or_b64 exec, exec, s[46:47]
	s_and_saveexec_b64 s[46:47], s[44:45]
	s_cbranch_execz .LBB313_258
; %bb.257:                              ;   in Loop: Header=BB313_10 Depth=1
	v_bfe_u32 v2, v12, 24, 3
	v_ffbh_u32_e32 v0, v2
	v_min_u32_e32 v5, 32, v0
	v_subrev_u32_e32 v0, 28, v5
	v_bfe_u32 v3, v12, 27, 4
	v_lshlrev_b64 v[0:1], v0, v[8:9]
	v_sub_u32_e32 v1, 29, v5
	v_cmp_eq_u32_e32 vcc, 0, v3
	v_and_b32_e32 v0, 7, v0
	s_nop 0
	v_cndmask_b32_e32 v1, v3, v1, vcc
	v_cndmask_b32_e32 v0, v2, v0, vcc
	v_lshlrev_b32_e32 v2, 8, v8
	v_lshl_add_u32 v1, v1, 10, v32
	v_and_or_b32 v1, v2, s52, v1
	v_lshl_or_b32 v0, v0, 7, v1
	v_cvt_f32_f16_e32 v0, v0
	scratch_store_dword off, v0, s32 offset:320 ; 4-byte Folded Spill
.LBB313_258:                            ;   in Loop: Header=BB313_10 Depth=1
	s_or_b64 exec, exec, s[46:47]
	flat_load_dword v12, v[36:37] offset:2056
	s_mov_b64 vcc, 0
                                        ; implicit-def: $sgpr48
	s_waitcnt vmcnt(0) lgkmcnt(0)
	v_cmp_gt_i16_sdwa s[44:45], v12, s17 src0_sel:BYTE_0 src1_sel:DWORD
	s_and_saveexec_b64 s[46:47], s[44:45]
	s_xor_b64 s[44:45], exec, s[46:47]
	s_cbranch_execz .LBB313_262
; %bb.259:                              ;   in Loop: Header=BB313_10 Depth=1
	v_cmp_eq_u16_sdwa s[54:55], v12, s51 src0_sel:BYTE_0 src1_sel:DWORD
	s_mov_b64 vcc, -1
                                        ; implicit-def: $sgpr48
	s_and_saveexec_b64 s[46:47], s[54:55]
; %bb.260:                              ;   in Loop: Header=BB313_10 Depth=1
	s_mov_b32 s48, 0x7fc02000
	s_xor_b64 vcc, exec, -1
; %bb.261:                              ;   in Loop: Header=BB313_10 Depth=1
	s_or_b64 exec, exec, s[46:47]
	s_and_b64 vcc, vcc, exec
.LBB313_262:                            ;   in Loop: Header=BB313_10 Depth=1
	s_or_saveexec_b64 s[44:45], s[44:45]
	v_mov_b32_e32 v0, s48
	scratch_store_dword off, v0, s32 offset:324 ; 4-byte Folded Spill
	s_xor_b64 exec, exec, s[44:45]
	s_cbranch_execz .LBB313_264
; %bb.263:                              ;   in Loop: Header=BB313_10 Depth=1
	v_cmp_ne_u16_sdwa s[46:47], v12, v9 src0_sel:BYTE_0 src1_sel:DWORD
	s_andn2_b64 vcc, vcc, exec
	s_and_b64 s[46:47], s[46:47], exec
	v_mov_b32_e32 v0, 0
	s_or_b64 vcc, vcc, s[46:47]
	scratch_store_dword off, v0, s32 offset:324 ; 4-byte Folded Spill
.LBB313_264:                            ;   in Loop: Header=BB313_10 Depth=1
	s_or_b64 exec, exec, s[44:45]
	s_and_saveexec_b64 s[44:45], vcc
	s_cbranch_execz .LBB313_266
; %bb.265:                              ;   in Loop: Header=BB313_10 Depth=1
	v_and_b32_e32 v2, 7, v12
	v_ffbh_u32_e32 v0, v2
	v_min_u32_e32 v5, 32, v0
	v_subrev_u32_e32 v0, 28, v5
	v_bfe_u32 v3, v12, 3, 4
	v_lshlrev_b64 v[0:1], v0, v[12:13]
	v_sub_u32_e32 v1, 29, v5
	v_cmp_eq_u32_e32 vcc, 0, v3
	v_and_b32_e32 v0, 7, v0
	s_nop 0
	v_cndmask_b32_e32 v1, v3, v1, vcc
	v_cndmask_b32_e32 v0, v2, v0, vcc
	v_lshlrev_b32_e32 v2, 8, v12
	v_lshl_add_u32 v1, v1, 10, v32
	v_and_or_b32 v1, v2, s52, v1
	v_lshl_or_b32 v0, v0, 7, v1
	v_cvt_f32_f16_e32 v0, v0
	scratch_store_dword off, v0, s32 offset:324 ; 4-byte Folded Spill
.LBB313_266:                            ;   in Loop: Header=BB313_10 Depth=1
	s_or_b64 exec, exec, s[44:45]
	v_lshrrev_b16_e32 v8, 8, v12
	v_cmp_lt_i16_e32 vcc, s17, v8
	s_mov_b64 s[44:45], 0
                                        ; implicit-def: $sgpr53
	s_and_saveexec_b64 s[46:47], vcc
	s_xor_b64 s[46:47], exec, s[46:47]
	s_cbranch_execz .LBB313_270
; %bb.267:                              ;   in Loop: Header=BB313_10 Depth=1
	v_cmp_eq_u16_e32 vcc, s51, v8
	s_mov_b64 s[44:45], -1
                                        ; implicit-def: $sgpr53
	s_and_saveexec_b64 s[48:49], vcc
; %bb.268:                              ;   in Loop: Header=BB313_10 Depth=1
	s_mov_b32 s53, 0x7fc02000
	s_xor_b64 s[44:45], exec, -1
; %bb.269:                              ;   in Loop: Header=BB313_10 Depth=1
	s_or_b64 exec, exec, s[48:49]
	s_and_b64 s[44:45], s[44:45], exec
.LBB313_270:                            ;   in Loop: Header=BB313_10 Depth=1
	s_or_saveexec_b64 s[46:47], s[46:47]
	v_mov_b32_e32 v0, s53
	scratch_store_dword off, v0, s32 offset:328 ; 4-byte Folded Spill
	s_xor_b64 exec, exec, s[46:47]
	s_cbranch_execz .LBB313_272
; %bb.271:                              ;   in Loop: Header=BB313_10 Depth=1
	v_cmp_ne_u16_e32 vcc, 0, v8
	s_andn2_b64 s[44:45], s[44:45], exec
	s_and_b64 vcc, vcc, exec
	v_mov_b32_e32 v0, 0
	s_or_b64 s[44:45], s[44:45], vcc
	scratch_store_dword off, v0, s32 offset:328 ; 4-byte Folded Spill
.LBB313_272:                            ;   in Loop: Header=BB313_10 Depth=1
	s_or_b64 exec, exec, s[46:47]
	s_and_saveexec_b64 s[46:47], s[44:45]
	s_cbranch_execz .LBB313_274
; %bb.273:                              ;   in Loop: Header=BB313_10 Depth=1
	v_and_b32_e32 v2, 7, v8
	v_ffbh_u32_e32 v0, v2
	v_min_u32_e32 v5, 32, v0
	v_subrev_u32_e32 v0, 28, v5
	v_bfe_u32 v3, v8, 3, 4
	v_lshlrev_b64 v[0:1], v0, v[8:9]
	v_sub_u32_e32 v1, 29, v5
	v_cmp_eq_u32_e32 vcc, 0, v3
	v_and_b32_e32 v0, 7, v0
	s_nop 0
	v_cndmask_b32_e32 v1, v3, v1, vcc
	v_cndmask_b32_e32 v0, v2, v0, vcc
	v_lshlrev_b32_e32 v2, 8, v8
	v_lshl_add_u32 v1, v1, 10, v32
	v_and_or_b32 v1, v2, s52, v1
	v_lshl_or_b32 v0, v0, 7, v1
	v_cvt_f32_f16_e32 v0, v0
	scratch_store_dword off, v0, s32 offset:328 ; 4-byte Folded Spill
.LBB313_274:                            ;   in Loop: Header=BB313_10 Depth=1
	s_or_b64 exec, exec, s[46:47]
	v_lshrrev_b32_e32 v8, 16, v12
	v_cmp_gt_i16_sdwa s[44:45], v8, s17 src0_sel:BYTE_0 src1_sel:DWORD
	s_mov_b64 vcc, 0
                                        ; implicit-def: $sgpr48
	s_and_saveexec_b64 s[46:47], s[44:45]
	s_xor_b64 s[44:45], exec, s[46:47]
	s_cbranch_execz .LBB313_278
; %bb.275:                              ;   in Loop: Header=BB313_10 Depth=1
	v_cmp_eq_u16_sdwa s[54:55], v8, s51 src0_sel:BYTE_0 src1_sel:DWORD
	s_mov_b64 vcc, -1
                                        ; implicit-def: $sgpr48
	s_and_saveexec_b64 s[46:47], s[54:55]
; %bb.276:                              ;   in Loop: Header=BB313_10 Depth=1
	s_mov_b32 s48, 0x7fc02000
	s_xor_b64 vcc, exec, -1
; %bb.277:                              ;   in Loop: Header=BB313_10 Depth=1
	s_or_b64 exec, exec, s[46:47]
	s_and_b64 vcc, vcc, exec
.LBB313_278:                            ;   in Loop: Header=BB313_10 Depth=1
	s_or_saveexec_b64 s[44:45], s[44:45]
	v_mov_b32_e32 v0, s48
	scratch_store_dword off, v0, s32 offset:332 ; 4-byte Folded Spill
	s_xor_b64 exec, exec, s[44:45]
	s_cbranch_execz .LBB313_280
; %bb.279:                              ;   in Loop: Header=BB313_10 Depth=1
	v_cmp_ne_u16_sdwa s[46:47], v8, v9 src0_sel:BYTE_0 src1_sel:DWORD
	s_andn2_b64 vcc, vcc, exec
	s_and_b64 s[46:47], s[46:47], exec
	v_mov_b32_e32 v0, 0
	s_or_b64 vcc, vcc, s[46:47]
	scratch_store_dword off, v0, s32 offset:332 ; 4-byte Folded Spill
.LBB313_280:                            ;   in Loop: Header=BB313_10 Depth=1
	s_or_b64 exec, exec, s[44:45]
	s_and_saveexec_b64 s[44:45], vcc
	s_cbranch_execz .LBB313_282
; %bb.281:                              ;   in Loop: Header=BB313_10 Depth=1
	v_bfe_u32 v2, v12, 16, 3
	v_ffbh_u32_e32 v0, v2
	v_min_u32_e32 v5, 32, v0
	v_subrev_u32_e32 v0, 28, v5
	v_bfe_u32 v3, v12, 19, 4
	v_lshlrev_b64 v[0:1], v0, v[8:9]
	v_sub_u32_e32 v1, 29, v5
	v_cmp_eq_u32_e32 vcc, 0, v3
	v_and_b32_e32 v0, 7, v0
	s_nop 0
	v_cndmask_b32_e32 v1, v3, v1, vcc
	v_cndmask_b32_e32 v0, v2, v0, vcc
	v_lshlrev_b32_e32 v2, 8, v8
	v_lshl_add_u32 v1, v1, 10, v32
	v_and_or_b32 v1, v2, s52, v1
	v_lshl_or_b32 v0, v0, 7, v1
	v_cvt_f32_f16_e32 v0, v0
	scratch_store_dword off, v0, s32 offset:332 ; 4-byte Folded Spill
.LBB313_282:                            ;   in Loop: Header=BB313_10 Depth=1
	s_or_b64 exec, exec, s[44:45]
	v_lshrrev_b32_e32 v8, 24, v12
	v_cmp_lt_i16_e32 vcc, s17, v8
	s_mov_b64 s[44:45], 0
                                        ; implicit-def: $sgpr53
	s_and_saveexec_b64 s[46:47], vcc
	s_xor_b64 s[46:47], exec, s[46:47]
	s_cbranch_execz .LBB313_286
; %bb.283:                              ;   in Loop: Header=BB313_10 Depth=1
	v_cmp_eq_u16_e32 vcc, s51, v8
	s_mov_b64 s[44:45], -1
                                        ; implicit-def: $sgpr53
	s_and_saveexec_b64 s[48:49], vcc
; %bb.284:                              ;   in Loop: Header=BB313_10 Depth=1
	s_mov_b32 s53, 0x7fc02000
	s_xor_b64 s[44:45], exec, -1
; %bb.285:                              ;   in Loop: Header=BB313_10 Depth=1
	s_or_b64 exec, exec, s[48:49]
	s_and_b64 s[44:45], s[44:45], exec
.LBB313_286:                            ;   in Loop: Header=BB313_10 Depth=1
	s_or_saveexec_b64 s[46:47], s[46:47]
	v_mov_b32_e32 v0, s53
	scratch_store_dword off, v0, s32 offset:336 ; 4-byte Folded Spill
	s_xor_b64 exec, exec, s[46:47]
	s_cbranch_execz .LBB313_288
; %bb.287:                              ;   in Loop: Header=BB313_10 Depth=1
	v_cmp_ne_u16_e32 vcc, 0, v8
	s_andn2_b64 s[44:45], s[44:45], exec
	s_and_b64 vcc, vcc, exec
	v_mov_b32_e32 v0, 0
	s_or_b64 s[44:45], s[44:45], vcc
	scratch_store_dword off, v0, s32 offset:336 ; 4-byte Folded Spill
.LBB313_288:                            ;   in Loop: Header=BB313_10 Depth=1
	s_or_b64 exec, exec, s[46:47]
	s_and_saveexec_b64 s[46:47], s[44:45]
	s_cbranch_execz .LBB313_290
; %bb.289:                              ;   in Loop: Header=BB313_10 Depth=1
	v_bfe_u32 v2, v12, 24, 3
	v_ffbh_u32_e32 v0, v2
	v_min_u32_e32 v5, 32, v0
	v_subrev_u32_e32 v0, 28, v5
	v_bfe_u32 v3, v12, 27, 4
	v_lshlrev_b64 v[0:1], v0, v[8:9]
	v_sub_u32_e32 v1, 29, v5
	v_cmp_eq_u32_e32 vcc, 0, v3
	v_and_b32_e32 v0, 7, v0
	s_nop 0
	v_cndmask_b32_e32 v1, v3, v1, vcc
	v_cndmask_b32_e32 v0, v2, v0, vcc
	v_lshlrev_b32_e32 v2, 8, v8
	v_lshl_add_u32 v1, v1, 10, v32
	v_and_or_b32 v1, v2, s52, v1
	v_lshl_or_b32 v0, v0, 7, v1
	v_cvt_f32_f16_e32 v0, v0
	scratch_store_dword off, v0, s32 offset:336 ; 4-byte Folded Spill
.LBB313_290:                            ;   in Loop: Header=BB313_10 Depth=1
	s_or_b64 exec, exec, s[46:47]
	flat_load_dword v12, v[36:37] offset:2560
	s_mov_b64 vcc, 0
                                        ; implicit-def: $sgpr48
	s_waitcnt vmcnt(0) lgkmcnt(0)
	v_cmp_gt_i16_sdwa s[44:45], v12, s17 src0_sel:BYTE_0 src1_sel:DWORD
	s_and_saveexec_b64 s[46:47], s[44:45]
	s_xor_b64 s[44:45], exec, s[46:47]
	s_cbranch_execz .LBB313_294
; %bb.291:                              ;   in Loop: Header=BB313_10 Depth=1
	v_cmp_eq_u16_sdwa s[54:55], v12, s51 src0_sel:BYTE_0 src1_sel:DWORD
	s_mov_b64 vcc, -1
                                        ; implicit-def: $sgpr48
	s_and_saveexec_b64 s[46:47], s[54:55]
; %bb.292:                              ;   in Loop: Header=BB313_10 Depth=1
	s_mov_b32 s48, 0x7fc02000
	s_xor_b64 vcc, exec, -1
; %bb.293:                              ;   in Loop: Header=BB313_10 Depth=1
	s_or_b64 exec, exec, s[46:47]
	s_and_b64 vcc, vcc, exec
.LBB313_294:                            ;   in Loop: Header=BB313_10 Depth=1
	s_or_saveexec_b64 s[44:45], s[44:45]
	v_mov_b32_e32 v0, s48
	scratch_store_dword off, v0, s32 offset:340 ; 4-byte Folded Spill
	s_xor_b64 exec, exec, s[44:45]
	s_cbranch_execz .LBB313_296
; %bb.295:                              ;   in Loop: Header=BB313_10 Depth=1
	v_cmp_ne_u16_sdwa s[46:47], v12, v9 src0_sel:BYTE_0 src1_sel:DWORD
	s_andn2_b64 vcc, vcc, exec
	s_and_b64 s[46:47], s[46:47], exec
	v_mov_b32_e32 v0, 0
	s_or_b64 vcc, vcc, s[46:47]
	scratch_store_dword off, v0, s32 offset:340 ; 4-byte Folded Spill
.LBB313_296:                            ;   in Loop: Header=BB313_10 Depth=1
	s_or_b64 exec, exec, s[44:45]
	s_and_saveexec_b64 s[44:45], vcc
	s_cbranch_execz .LBB313_298
; %bb.297:                              ;   in Loop: Header=BB313_10 Depth=1
	v_and_b32_e32 v2, 7, v12
	v_ffbh_u32_e32 v0, v2
	v_min_u32_e32 v5, 32, v0
	v_subrev_u32_e32 v0, 28, v5
	v_bfe_u32 v3, v12, 3, 4
	v_lshlrev_b64 v[0:1], v0, v[12:13]
	v_sub_u32_e32 v1, 29, v5
	v_cmp_eq_u32_e32 vcc, 0, v3
	v_and_b32_e32 v0, 7, v0
	s_nop 0
	v_cndmask_b32_e32 v1, v3, v1, vcc
	v_cndmask_b32_e32 v0, v2, v0, vcc
	v_lshlrev_b32_e32 v2, 8, v12
	v_lshl_add_u32 v1, v1, 10, v32
	v_and_or_b32 v1, v2, s52, v1
	v_lshl_or_b32 v0, v0, 7, v1
	v_cvt_f32_f16_e32 v0, v0
	scratch_store_dword off, v0, s32 offset:340 ; 4-byte Folded Spill
.LBB313_298:                            ;   in Loop: Header=BB313_10 Depth=1
	s_or_b64 exec, exec, s[44:45]
	v_lshrrev_b16_e32 v8, 8, v12
	v_cmp_lt_i16_e32 vcc, s17, v8
	s_mov_b64 s[44:45], 0
                                        ; implicit-def: $sgpr53
	s_and_saveexec_b64 s[46:47], vcc
	s_xor_b64 s[46:47], exec, s[46:47]
	s_cbranch_execz .LBB313_302
; %bb.299:                              ;   in Loop: Header=BB313_10 Depth=1
	v_cmp_eq_u16_e32 vcc, s51, v8
	s_mov_b64 s[44:45], -1
                                        ; implicit-def: $sgpr53
	s_and_saveexec_b64 s[48:49], vcc
; %bb.300:                              ;   in Loop: Header=BB313_10 Depth=1
	s_mov_b32 s53, 0x7fc02000
	s_xor_b64 s[44:45], exec, -1
; %bb.301:                              ;   in Loop: Header=BB313_10 Depth=1
	s_or_b64 exec, exec, s[48:49]
	s_and_b64 s[44:45], s[44:45], exec
.LBB313_302:                            ;   in Loop: Header=BB313_10 Depth=1
	s_or_saveexec_b64 s[46:47], s[46:47]
	v_mov_b32_e32 v0, s53
	scratch_store_dword off, v0, s32 offset:352 ; 4-byte Folded Spill
	s_xor_b64 exec, exec, s[46:47]
	s_cbranch_execz .LBB313_304
; %bb.303:                              ;   in Loop: Header=BB313_10 Depth=1
	v_cmp_ne_u16_e32 vcc, 0, v8
	s_andn2_b64 s[44:45], s[44:45], exec
	s_and_b64 vcc, vcc, exec
	v_mov_b32_e32 v0, 0
	s_or_b64 s[44:45], s[44:45], vcc
	scratch_store_dword off, v0, s32 offset:352 ; 4-byte Folded Spill
.LBB313_304:                            ;   in Loop: Header=BB313_10 Depth=1
	s_or_b64 exec, exec, s[46:47]
	s_and_saveexec_b64 s[46:47], s[44:45]
	s_cbranch_execz .LBB313_306
; %bb.305:                              ;   in Loop: Header=BB313_10 Depth=1
	v_and_b32_e32 v2, 7, v8
	v_ffbh_u32_e32 v0, v2
	v_min_u32_e32 v5, 32, v0
	v_subrev_u32_e32 v0, 28, v5
	v_bfe_u32 v3, v8, 3, 4
	v_lshlrev_b64 v[0:1], v0, v[8:9]
	v_sub_u32_e32 v1, 29, v5
	v_cmp_eq_u32_e32 vcc, 0, v3
	v_and_b32_e32 v0, 7, v0
	s_nop 0
	v_cndmask_b32_e32 v1, v3, v1, vcc
	v_cndmask_b32_e32 v0, v2, v0, vcc
	v_lshlrev_b32_e32 v2, 8, v8
	v_lshl_add_u32 v1, v1, 10, v32
	v_and_or_b32 v1, v2, s52, v1
	v_lshl_or_b32 v0, v0, 7, v1
	v_cvt_f32_f16_e32 v0, v0
	scratch_store_dword off, v0, s32 offset:352 ; 4-byte Folded Spill
.LBB313_306:                            ;   in Loop: Header=BB313_10 Depth=1
	s_or_b64 exec, exec, s[46:47]
	v_lshrrev_b32_e32 v8, 16, v12
	v_cmp_gt_i16_sdwa s[44:45], v8, s17 src0_sel:BYTE_0 src1_sel:DWORD
	s_mov_b64 vcc, 0
                                        ; implicit-def: $sgpr48
	s_and_saveexec_b64 s[46:47], s[44:45]
	s_xor_b64 s[44:45], exec, s[46:47]
	s_cbranch_execz .LBB313_310
; %bb.307:                              ;   in Loop: Header=BB313_10 Depth=1
	v_cmp_eq_u16_sdwa s[54:55], v8, s51 src0_sel:BYTE_0 src1_sel:DWORD
	s_mov_b64 vcc, -1
                                        ; implicit-def: $sgpr48
	s_and_saveexec_b64 s[46:47], s[54:55]
; %bb.308:                              ;   in Loop: Header=BB313_10 Depth=1
	s_mov_b32 s48, 0x7fc02000
	s_xor_b64 vcc, exec, -1
; %bb.309:                              ;   in Loop: Header=BB313_10 Depth=1
	s_or_b64 exec, exec, s[46:47]
	s_and_b64 vcc, vcc, exec
.LBB313_310:                            ;   in Loop: Header=BB313_10 Depth=1
	s_or_saveexec_b64 s[44:45], s[44:45]
	v_mov_b32_e32 v0, s48
	scratch_store_dword off, v0, s32 offset:344 ; 4-byte Folded Spill
	s_xor_b64 exec, exec, s[44:45]
	s_cbranch_execz .LBB313_312
; %bb.311:                              ;   in Loop: Header=BB313_10 Depth=1
	v_cmp_ne_u16_sdwa s[46:47], v8, v9 src0_sel:BYTE_0 src1_sel:DWORD
	s_andn2_b64 vcc, vcc, exec
	s_and_b64 s[46:47], s[46:47], exec
	v_mov_b32_e32 v0, 0
	s_or_b64 vcc, vcc, s[46:47]
	scratch_store_dword off, v0, s32 offset:344 ; 4-byte Folded Spill
.LBB313_312:                            ;   in Loop: Header=BB313_10 Depth=1
	s_or_b64 exec, exec, s[44:45]
	s_and_saveexec_b64 s[44:45], vcc
	s_cbranch_execz .LBB313_314
; %bb.313:                              ;   in Loop: Header=BB313_10 Depth=1
	v_bfe_u32 v2, v12, 16, 3
	v_ffbh_u32_e32 v0, v2
	v_min_u32_e32 v5, 32, v0
	v_subrev_u32_e32 v0, 28, v5
	v_bfe_u32 v3, v12, 19, 4
	v_lshlrev_b64 v[0:1], v0, v[8:9]
	v_sub_u32_e32 v1, 29, v5
	v_cmp_eq_u32_e32 vcc, 0, v3
	v_and_b32_e32 v0, 7, v0
	s_nop 0
	v_cndmask_b32_e32 v1, v3, v1, vcc
	v_cndmask_b32_e32 v0, v2, v0, vcc
	v_lshlrev_b32_e32 v2, 8, v8
	v_lshl_add_u32 v1, v1, 10, v32
	v_and_or_b32 v1, v2, s52, v1
	v_lshl_or_b32 v0, v0, 7, v1
	v_cvt_f32_f16_e32 v0, v0
	scratch_store_dword off, v0, s32 offset:344 ; 4-byte Folded Spill
.LBB313_314:                            ;   in Loop: Header=BB313_10 Depth=1
	s_or_b64 exec, exec, s[44:45]
	v_lshrrev_b32_e32 v8, 24, v12
	v_cmp_lt_i16_e32 vcc, s17, v8
	s_mov_b64 s[44:45], 0
                                        ; implicit-def: $sgpr53
	s_and_saveexec_b64 s[46:47], vcc
	s_xor_b64 s[46:47], exec, s[46:47]
	s_cbranch_execz .LBB313_318
; %bb.315:                              ;   in Loop: Header=BB313_10 Depth=1
	v_cmp_eq_u16_e32 vcc, s51, v8
	s_mov_b64 s[44:45], -1
                                        ; implicit-def: $sgpr53
	s_and_saveexec_b64 s[48:49], vcc
; %bb.316:                              ;   in Loop: Header=BB313_10 Depth=1
	s_mov_b32 s53, 0x7fc02000
	s_xor_b64 s[44:45], exec, -1
; %bb.317:                              ;   in Loop: Header=BB313_10 Depth=1
	s_or_b64 exec, exec, s[48:49]
	s_and_b64 s[44:45], s[44:45], exec
.LBB313_318:                            ;   in Loop: Header=BB313_10 Depth=1
	s_or_saveexec_b64 s[46:47], s[46:47]
	v_mov_b32_e32 v0, s53
	scratch_store_dword off, v0, s32 offset:348 ; 4-byte Folded Spill
	s_xor_b64 exec, exec, s[46:47]
	s_cbranch_execz .LBB313_320
; %bb.319:                              ;   in Loop: Header=BB313_10 Depth=1
	v_cmp_ne_u16_e32 vcc, 0, v8
	s_andn2_b64 s[44:45], s[44:45], exec
	s_and_b64 vcc, vcc, exec
	v_mov_b32_e32 v0, 0
	s_or_b64 s[44:45], s[44:45], vcc
	scratch_store_dword off, v0, s32 offset:348 ; 4-byte Folded Spill
.LBB313_320:                            ;   in Loop: Header=BB313_10 Depth=1
	s_or_b64 exec, exec, s[46:47]
	s_and_saveexec_b64 s[46:47], s[44:45]
	s_cbranch_execz .LBB313_322
; %bb.321:                              ;   in Loop: Header=BB313_10 Depth=1
	v_bfe_u32 v2, v12, 24, 3
	v_ffbh_u32_e32 v0, v2
	v_min_u32_e32 v5, 32, v0
	v_subrev_u32_e32 v0, 28, v5
	v_bfe_u32 v3, v12, 27, 4
	v_lshlrev_b64 v[0:1], v0, v[8:9]
	v_sub_u32_e32 v1, 29, v5
	v_cmp_eq_u32_e32 vcc, 0, v3
	v_and_b32_e32 v0, 7, v0
	s_nop 0
	v_cndmask_b32_e32 v1, v3, v1, vcc
	v_cndmask_b32_e32 v0, v2, v0, vcc
	v_lshlrev_b32_e32 v2, 8, v8
	v_lshl_add_u32 v1, v1, 10, v32
	v_and_or_b32 v1, v2, s52, v1
	v_lshl_or_b32 v0, v0, 7, v1
	v_cvt_f32_f16_e32 v0, v0
	scratch_store_dword off, v0, s32 offset:348 ; 4-byte Folded Spill
.LBB313_322:                            ;   in Loop: Header=BB313_10 Depth=1
	s_or_b64 exec, exec, s[46:47]
	flat_load_dword v12, v[36:37] offset:2568
	s_mov_b64 vcc, 0
                                        ; implicit-def: $sgpr48
	s_waitcnt vmcnt(0) lgkmcnt(0)
	v_cmp_gt_i16_sdwa s[44:45], v12, s17 src0_sel:BYTE_0 src1_sel:DWORD
	s_and_saveexec_b64 s[46:47], s[44:45]
	s_xor_b64 s[44:45], exec, s[46:47]
	s_cbranch_execz .LBB313_326
; %bb.323:                              ;   in Loop: Header=BB313_10 Depth=1
	v_cmp_eq_u16_sdwa s[54:55], v12, s51 src0_sel:BYTE_0 src1_sel:DWORD
	s_mov_b64 vcc, -1
                                        ; implicit-def: $sgpr48
	s_and_saveexec_b64 s[46:47], s[54:55]
; %bb.324:                              ;   in Loop: Header=BB313_10 Depth=1
	s_mov_b32 s48, 0x7fc02000
	s_xor_b64 vcc, exec, -1
; %bb.325:                              ;   in Loop: Header=BB313_10 Depth=1
	s_or_b64 exec, exec, s[46:47]
	s_and_b64 vcc, vcc, exec
.LBB313_326:                            ;   in Loop: Header=BB313_10 Depth=1
	s_or_saveexec_b64 s[44:45], s[44:45]
	v_mov_b32_e32 v0, s48
	scratch_store_dword off, v0, s32 offset:356 ; 4-byte Folded Spill
	s_xor_b64 exec, exec, s[44:45]
	s_cbranch_execz .LBB313_328
; %bb.327:                              ;   in Loop: Header=BB313_10 Depth=1
	v_cmp_ne_u16_sdwa s[46:47], v12, v9 src0_sel:BYTE_0 src1_sel:DWORD
	s_andn2_b64 vcc, vcc, exec
	s_and_b64 s[46:47], s[46:47], exec
	v_mov_b32_e32 v0, 0
	s_or_b64 vcc, vcc, s[46:47]
	scratch_store_dword off, v0, s32 offset:356 ; 4-byte Folded Spill
.LBB313_328:                            ;   in Loop: Header=BB313_10 Depth=1
	s_or_b64 exec, exec, s[44:45]
	s_and_saveexec_b64 s[44:45], vcc
	s_cbranch_execz .LBB313_330
; %bb.329:                              ;   in Loop: Header=BB313_10 Depth=1
	v_and_b32_e32 v2, 7, v12
	v_ffbh_u32_e32 v0, v2
	v_min_u32_e32 v5, 32, v0
	v_subrev_u32_e32 v0, 28, v5
	v_bfe_u32 v3, v12, 3, 4
	v_lshlrev_b64 v[0:1], v0, v[12:13]
	v_sub_u32_e32 v1, 29, v5
	v_cmp_eq_u32_e32 vcc, 0, v3
	v_and_b32_e32 v0, 7, v0
	s_nop 0
	v_cndmask_b32_e32 v1, v3, v1, vcc
	v_cndmask_b32_e32 v0, v2, v0, vcc
	v_lshlrev_b32_e32 v2, 8, v12
	v_lshl_add_u32 v1, v1, 10, v32
	v_and_or_b32 v1, v2, s52, v1
	v_lshl_or_b32 v0, v0, 7, v1
	v_cvt_f32_f16_e32 v0, v0
	scratch_store_dword off, v0, s32 offset:356 ; 4-byte Folded Spill
.LBB313_330:                            ;   in Loop: Header=BB313_10 Depth=1
	s_or_b64 exec, exec, s[44:45]
	v_lshrrev_b16_e32 v8, 8, v12
	v_cmp_lt_i16_e32 vcc, s17, v8
	s_mov_b64 s[44:45], 0
                                        ; implicit-def: $sgpr53
	s_and_saveexec_b64 s[46:47], vcc
	s_xor_b64 s[46:47], exec, s[46:47]
	s_cbranch_execz .LBB313_334
; %bb.331:                              ;   in Loop: Header=BB313_10 Depth=1
	v_cmp_eq_u16_e32 vcc, s51, v8
	s_mov_b64 s[44:45], -1
                                        ; implicit-def: $sgpr53
	s_and_saveexec_b64 s[48:49], vcc
; %bb.332:                              ;   in Loop: Header=BB313_10 Depth=1
	s_mov_b32 s53, 0x7fc02000
	s_xor_b64 s[44:45], exec, -1
; %bb.333:                              ;   in Loop: Header=BB313_10 Depth=1
	s_or_b64 exec, exec, s[48:49]
	s_and_b64 s[44:45], s[44:45], exec
.LBB313_334:                            ;   in Loop: Header=BB313_10 Depth=1
	s_or_saveexec_b64 s[46:47], s[46:47]
	v_mov_b32_e32 v0, s53
	scratch_store_dword off, v0, s32 offset:368 ; 4-byte Folded Spill
	s_xor_b64 exec, exec, s[46:47]
	s_cbranch_execz .LBB313_336
; %bb.335:                              ;   in Loop: Header=BB313_10 Depth=1
	v_cmp_ne_u16_e32 vcc, 0, v8
	s_andn2_b64 s[44:45], s[44:45], exec
	s_and_b64 vcc, vcc, exec
	v_mov_b32_e32 v0, 0
	s_or_b64 s[44:45], s[44:45], vcc
	scratch_store_dword off, v0, s32 offset:368 ; 4-byte Folded Spill
.LBB313_336:                            ;   in Loop: Header=BB313_10 Depth=1
	s_or_b64 exec, exec, s[46:47]
	s_and_saveexec_b64 s[46:47], s[44:45]
	s_cbranch_execz .LBB313_338
; %bb.337:                              ;   in Loop: Header=BB313_10 Depth=1
	v_and_b32_e32 v2, 7, v8
	v_ffbh_u32_e32 v0, v2
	v_min_u32_e32 v5, 32, v0
	v_subrev_u32_e32 v0, 28, v5
	v_bfe_u32 v3, v8, 3, 4
	v_lshlrev_b64 v[0:1], v0, v[8:9]
	v_sub_u32_e32 v1, 29, v5
	v_cmp_eq_u32_e32 vcc, 0, v3
	v_and_b32_e32 v0, 7, v0
	s_nop 0
	v_cndmask_b32_e32 v1, v3, v1, vcc
	v_cndmask_b32_e32 v0, v2, v0, vcc
	v_lshlrev_b32_e32 v2, 8, v8
	v_lshl_add_u32 v1, v1, 10, v32
	v_and_or_b32 v1, v2, s52, v1
	v_lshl_or_b32 v0, v0, 7, v1
	v_cvt_f32_f16_e32 v0, v0
	scratch_store_dword off, v0, s32 offset:368 ; 4-byte Folded Spill
.LBB313_338:                            ;   in Loop: Header=BB313_10 Depth=1
	s_or_b64 exec, exec, s[46:47]
	v_lshrrev_b32_e32 v8, 16, v12
	v_cmp_gt_i16_sdwa s[44:45], v8, s17 src0_sel:BYTE_0 src1_sel:DWORD
	s_mov_b64 vcc, 0
                                        ; implicit-def: $sgpr48
	s_and_saveexec_b64 s[46:47], s[44:45]
	s_xor_b64 s[44:45], exec, s[46:47]
	s_cbranch_execz .LBB313_342
; %bb.339:                              ;   in Loop: Header=BB313_10 Depth=1
	v_cmp_eq_u16_sdwa s[54:55], v8, s51 src0_sel:BYTE_0 src1_sel:DWORD
	s_mov_b64 vcc, -1
                                        ; implicit-def: $sgpr48
	s_and_saveexec_b64 s[46:47], s[54:55]
; %bb.340:                              ;   in Loop: Header=BB313_10 Depth=1
	s_mov_b32 s48, 0x7fc02000
	s_xor_b64 vcc, exec, -1
; %bb.341:                              ;   in Loop: Header=BB313_10 Depth=1
	s_or_b64 exec, exec, s[46:47]
	s_and_b64 vcc, vcc, exec
.LBB313_342:                            ;   in Loop: Header=BB313_10 Depth=1
	s_or_saveexec_b64 s[44:45], s[44:45]
	v_mov_b32_e32 v0, s48
	scratch_store_dword off, v0, s32 offset:360 ; 4-byte Folded Spill
	s_xor_b64 exec, exec, s[44:45]
	s_cbranch_execz .LBB313_344
; %bb.343:                              ;   in Loop: Header=BB313_10 Depth=1
	v_cmp_ne_u16_sdwa s[46:47], v8, v9 src0_sel:BYTE_0 src1_sel:DWORD
	s_andn2_b64 vcc, vcc, exec
	s_and_b64 s[46:47], s[46:47], exec
	v_mov_b32_e32 v0, 0
	s_or_b64 vcc, vcc, s[46:47]
	scratch_store_dword off, v0, s32 offset:360 ; 4-byte Folded Spill
.LBB313_344:                            ;   in Loop: Header=BB313_10 Depth=1
	s_or_b64 exec, exec, s[44:45]
	s_and_saveexec_b64 s[44:45], vcc
	s_cbranch_execz .LBB313_346
; %bb.345:                              ;   in Loop: Header=BB313_10 Depth=1
	v_bfe_u32 v2, v12, 16, 3
	v_ffbh_u32_e32 v0, v2
	v_min_u32_e32 v5, 32, v0
	v_subrev_u32_e32 v0, 28, v5
	v_bfe_u32 v3, v12, 19, 4
	v_lshlrev_b64 v[0:1], v0, v[8:9]
	v_sub_u32_e32 v1, 29, v5
	v_cmp_eq_u32_e32 vcc, 0, v3
	v_and_b32_e32 v0, 7, v0
	s_nop 0
	v_cndmask_b32_e32 v1, v3, v1, vcc
	v_cndmask_b32_e32 v0, v2, v0, vcc
	v_lshlrev_b32_e32 v2, 8, v8
	v_lshl_add_u32 v1, v1, 10, v32
	v_and_or_b32 v1, v2, s52, v1
	v_lshl_or_b32 v0, v0, 7, v1
	v_cvt_f32_f16_e32 v0, v0
	scratch_store_dword off, v0, s32 offset:360 ; 4-byte Folded Spill
.LBB313_346:                            ;   in Loop: Header=BB313_10 Depth=1
	s_or_b64 exec, exec, s[44:45]
	v_lshrrev_b32_e32 v8, 24, v12
	v_cmp_lt_i16_e32 vcc, s17, v8
	s_mov_b64 s[44:45], 0
                                        ; implicit-def: $sgpr53
	s_and_saveexec_b64 s[46:47], vcc
	s_xor_b64 s[46:47], exec, s[46:47]
	s_cbranch_execz .LBB313_350
; %bb.347:                              ;   in Loop: Header=BB313_10 Depth=1
	v_cmp_eq_u16_e32 vcc, s51, v8
	s_mov_b64 s[44:45], -1
                                        ; implicit-def: $sgpr53
	s_and_saveexec_b64 s[48:49], vcc
; %bb.348:                              ;   in Loop: Header=BB313_10 Depth=1
	s_mov_b32 s53, 0x7fc02000
	s_xor_b64 s[44:45], exec, -1
; %bb.349:                              ;   in Loop: Header=BB313_10 Depth=1
	s_or_b64 exec, exec, s[48:49]
	s_and_b64 s[44:45], s[44:45], exec
.LBB313_350:                            ;   in Loop: Header=BB313_10 Depth=1
	s_or_saveexec_b64 s[46:47], s[46:47]
	v_mov_b32_e32 v0, s53
	scratch_store_dword off, v0, s32 offset:364 ; 4-byte Folded Spill
	s_xor_b64 exec, exec, s[46:47]
	s_cbranch_execz .LBB313_352
; %bb.351:                              ;   in Loop: Header=BB313_10 Depth=1
	v_cmp_ne_u16_e32 vcc, 0, v8
	s_andn2_b64 s[44:45], s[44:45], exec
	s_and_b64 vcc, vcc, exec
	v_mov_b32_e32 v0, 0
	s_or_b64 s[44:45], s[44:45], vcc
	scratch_store_dword off, v0, s32 offset:364 ; 4-byte Folded Spill
.LBB313_352:                            ;   in Loop: Header=BB313_10 Depth=1
	s_or_b64 exec, exec, s[46:47]
	s_and_saveexec_b64 s[46:47], s[44:45]
	s_cbranch_execz .LBB313_354
; %bb.353:                              ;   in Loop: Header=BB313_10 Depth=1
	v_bfe_u32 v2, v12, 24, 3
	v_ffbh_u32_e32 v0, v2
	v_min_u32_e32 v5, 32, v0
	v_subrev_u32_e32 v0, 28, v5
	v_bfe_u32 v3, v12, 27, 4
	v_lshlrev_b64 v[0:1], v0, v[8:9]
	v_sub_u32_e32 v1, 29, v5
	v_cmp_eq_u32_e32 vcc, 0, v3
	v_and_b32_e32 v0, 7, v0
	s_nop 0
	v_cndmask_b32_e32 v1, v3, v1, vcc
	v_cndmask_b32_e32 v0, v2, v0, vcc
	v_lshlrev_b32_e32 v2, 8, v8
	v_lshl_add_u32 v1, v1, 10, v32
	v_and_or_b32 v1, v2, s52, v1
	v_lshl_or_b32 v0, v0, 7, v1
	v_cvt_f32_f16_e32 v0, v0
	scratch_store_dword off, v0, s32 offset:364 ; 4-byte Folded Spill
.LBB313_354:                            ;   in Loop: Header=BB313_10 Depth=1
	s_or_b64 exec, exec, s[46:47]
	flat_load_dword v12, v[36:37] offset:3072
	s_mov_b64 vcc, 0
                                        ; implicit-def: $sgpr48
	s_waitcnt vmcnt(0) lgkmcnt(0)
	v_cmp_gt_i16_sdwa s[44:45], v12, s17 src0_sel:BYTE_0 src1_sel:DWORD
	s_and_saveexec_b64 s[46:47], s[44:45]
	s_xor_b64 s[44:45], exec, s[46:47]
	s_cbranch_execz .LBB313_358
; %bb.355:                              ;   in Loop: Header=BB313_10 Depth=1
	v_cmp_eq_u16_sdwa s[54:55], v12, s51 src0_sel:BYTE_0 src1_sel:DWORD
	s_mov_b64 vcc, -1
                                        ; implicit-def: $sgpr48
	s_and_saveexec_b64 s[46:47], s[54:55]
; %bb.356:                              ;   in Loop: Header=BB313_10 Depth=1
	s_mov_b32 s48, 0x7fc02000
	s_xor_b64 vcc, exec, -1
; %bb.357:                              ;   in Loop: Header=BB313_10 Depth=1
	s_or_b64 exec, exec, s[46:47]
	s_and_b64 vcc, vcc, exec
.LBB313_358:                            ;   in Loop: Header=BB313_10 Depth=1
	s_or_saveexec_b64 s[44:45], s[44:45]
	v_mov_b32_e32 v0, s48
	scratch_store_dword off, v0, s32 offset:372 ; 4-byte Folded Spill
	s_xor_b64 exec, exec, s[44:45]
	s_cbranch_execz .LBB313_360
; %bb.359:                              ;   in Loop: Header=BB313_10 Depth=1
	v_cmp_ne_u16_sdwa s[46:47], v12, v9 src0_sel:BYTE_0 src1_sel:DWORD
	s_andn2_b64 vcc, vcc, exec
	s_and_b64 s[46:47], s[46:47], exec
	v_mov_b32_e32 v0, 0
	s_or_b64 vcc, vcc, s[46:47]
	scratch_store_dword off, v0, s32 offset:372 ; 4-byte Folded Spill
.LBB313_360:                            ;   in Loop: Header=BB313_10 Depth=1
	s_or_b64 exec, exec, s[44:45]
	s_and_saveexec_b64 s[44:45], vcc
	s_cbranch_execz .LBB313_362
; %bb.361:                              ;   in Loop: Header=BB313_10 Depth=1
	v_and_b32_e32 v2, 7, v12
	v_ffbh_u32_e32 v0, v2
	v_min_u32_e32 v5, 32, v0
	v_subrev_u32_e32 v0, 28, v5
	v_bfe_u32 v3, v12, 3, 4
	v_lshlrev_b64 v[0:1], v0, v[12:13]
	v_sub_u32_e32 v1, 29, v5
	v_cmp_eq_u32_e32 vcc, 0, v3
	v_and_b32_e32 v0, 7, v0
	s_nop 0
	v_cndmask_b32_e32 v1, v3, v1, vcc
	v_cndmask_b32_e32 v0, v2, v0, vcc
	v_lshlrev_b32_e32 v2, 8, v12
	v_lshl_add_u32 v1, v1, 10, v32
	v_and_or_b32 v1, v2, s52, v1
	v_lshl_or_b32 v0, v0, 7, v1
	v_cvt_f32_f16_e32 v0, v0
	scratch_store_dword off, v0, s32 offset:372 ; 4-byte Folded Spill
.LBB313_362:                            ;   in Loop: Header=BB313_10 Depth=1
	s_or_b64 exec, exec, s[44:45]
	v_lshrrev_b16_e32 v8, 8, v12
	v_cmp_lt_i16_e32 vcc, s17, v8
	s_mov_b64 s[44:45], 0
                                        ; implicit-def: $sgpr53
	s_and_saveexec_b64 s[46:47], vcc
	s_xor_b64 s[46:47], exec, s[46:47]
	s_cbranch_execz .LBB313_366
; %bb.363:                              ;   in Loop: Header=BB313_10 Depth=1
	v_cmp_eq_u16_e32 vcc, s51, v8
	s_mov_b64 s[44:45], -1
                                        ; implicit-def: $sgpr53
	s_and_saveexec_b64 s[48:49], vcc
; %bb.364:                              ;   in Loop: Header=BB313_10 Depth=1
	s_mov_b32 s53, 0x7fc02000
	s_xor_b64 s[44:45], exec, -1
; %bb.365:                              ;   in Loop: Header=BB313_10 Depth=1
	s_or_b64 exec, exec, s[48:49]
	s_and_b64 s[44:45], s[44:45], exec
.LBB313_366:                            ;   in Loop: Header=BB313_10 Depth=1
	s_or_saveexec_b64 s[46:47], s[46:47]
	v_mov_b32_e32 v0, s53
	scratch_store_dword off, v0, s32 offset:384 ; 4-byte Folded Spill
	s_xor_b64 exec, exec, s[46:47]
	s_cbranch_execz .LBB313_368
; %bb.367:                              ;   in Loop: Header=BB313_10 Depth=1
	v_cmp_ne_u16_e32 vcc, 0, v8
	s_andn2_b64 s[44:45], s[44:45], exec
	s_and_b64 vcc, vcc, exec
	v_mov_b32_e32 v0, 0
	s_or_b64 s[44:45], s[44:45], vcc
	scratch_store_dword off, v0, s32 offset:384 ; 4-byte Folded Spill
.LBB313_368:                            ;   in Loop: Header=BB313_10 Depth=1
	s_or_b64 exec, exec, s[46:47]
	s_and_saveexec_b64 s[46:47], s[44:45]
	s_cbranch_execz .LBB313_370
; %bb.369:                              ;   in Loop: Header=BB313_10 Depth=1
	v_and_b32_e32 v2, 7, v8
	v_ffbh_u32_e32 v0, v2
	v_min_u32_e32 v5, 32, v0
	v_subrev_u32_e32 v0, 28, v5
	v_bfe_u32 v3, v8, 3, 4
	v_lshlrev_b64 v[0:1], v0, v[8:9]
	v_sub_u32_e32 v1, 29, v5
	v_cmp_eq_u32_e32 vcc, 0, v3
	v_and_b32_e32 v0, 7, v0
	s_nop 0
	v_cndmask_b32_e32 v1, v3, v1, vcc
	v_cndmask_b32_e32 v0, v2, v0, vcc
	v_lshlrev_b32_e32 v2, 8, v8
	v_lshl_add_u32 v1, v1, 10, v32
	v_and_or_b32 v1, v2, s52, v1
	v_lshl_or_b32 v0, v0, 7, v1
	v_cvt_f32_f16_e32 v0, v0
	scratch_store_dword off, v0, s32 offset:384 ; 4-byte Folded Spill
.LBB313_370:                            ;   in Loop: Header=BB313_10 Depth=1
	s_or_b64 exec, exec, s[46:47]
	v_lshrrev_b32_e32 v8, 16, v12
	v_cmp_gt_i16_sdwa s[44:45], v8, s17 src0_sel:BYTE_0 src1_sel:DWORD
	s_mov_b64 vcc, 0
                                        ; implicit-def: $sgpr48
	s_and_saveexec_b64 s[46:47], s[44:45]
	s_xor_b64 s[44:45], exec, s[46:47]
	s_cbranch_execz .LBB313_374
; %bb.371:                              ;   in Loop: Header=BB313_10 Depth=1
	v_cmp_eq_u16_sdwa s[54:55], v8, s51 src0_sel:BYTE_0 src1_sel:DWORD
	s_mov_b64 vcc, -1
                                        ; implicit-def: $sgpr48
	s_and_saveexec_b64 s[46:47], s[54:55]
; %bb.372:                              ;   in Loop: Header=BB313_10 Depth=1
	s_mov_b32 s48, 0x7fc02000
	s_xor_b64 vcc, exec, -1
; %bb.373:                              ;   in Loop: Header=BB313_10 Depth=1
	s_or_b64 exec, exec, s[46:47]
	s_and_b64 vcc, vcc, exec
.LBB313_374:                            ;   in Loop: Header=BB313_10 Depth=1
	s_or_saveexec_b64 s[44:45], s[44:45]
	v_mov_b32_e32 v0, s48
	scratch_store_dword off, v0, s32 offset:376 ; 4-byte Folded Spill
	s_xor_b64 exec, exec, s[44:45]
	s_cbranch_execz .LBB313_376
; %bb.375:                              ;   in Loop: Header=BB313_10 Depth=1
	v_cmp_ne_u16_sdwa s[46:47], v8, v9 src0_sel:BYTE_0 src1_sel:DWORD
	s_andn2_b64 vcc, vcc, exec
	s_and_b64 s[46:47], s[46:47], exec
	v_mov_b32_e32 v0, 0
	s_or_b64 vcc, vcc, s[46:47]
	scratch_store_dword off, v0, s32 offset:376 ; 4-byte Folded Spill
.LBB313_376:                            ;   in Loop: Header=BB313_10 Depth=1
	s_or_b64 exec, exec, s[44:45]
	s_and_saveexec_b64 s[44:45], vcc
	s_cbranch_execz .LBB313_378
; %bb.377:                              ;   in Loop: Header=BB313_10 Depth=1
	v_bfe_u32 v2, v12, 16, 3
	v_ffbh_u32_e32 v0, v2
	v_min_u32_e32 v5, 32, v0
	v_subrev_u32_e32 v0, 28, v5
	v_bfe_u32 v3, v12, 19, 4
	v_lshlrev_b64 v[0:1], v0, v[8:9]
	v_sub_u32_e32 v1, 29, v5
	v_cmp_eq_u32_e32 vcc, 0, v3
	v_and_b32_e32 v0, 7, v0
	s_nop 0
	v_cndmask_b32_e32 v1, v3, v1, vcc
	v_cndmask_b32_e32 v0, v2, v0, vcc
	v_lshlrev_b32_e32 v2, 8, v8
	v_lshl_add_u32 v1, v1, 10, v32
	v_and_or_b32 v1, v2, s52, v1
	v_lshl_or_b32 v0, v0, 7, v1
	v_cvt_f32_f16_e32 v0, v0
	scratch_store_dword off, v0, s32 offset:376 ; 4-byte Folded Spill
.LBB313_378:                            ;   in Loop: Header=BB313_10 Depth=1
	s_or_b64 exec, exec, s[44:45]
	v_lshrrev_b32_e32 v8, 24, v12
	v_cmp_lt_i16_e32 vcc, s17, v8
	s_mov_b64 s[44:45], 0
                                        ; implicit-def: $sgpr53
	s_and_saveexec_b64 s[46:47], vcc
	s_xor_b64 s[46:47], exec, s[46:47]
	s_cbranch_execz .LBB313_382
; %bb.379:                              ;   in Loop: Header=BB313_10 Depth=1
	v_cmp_eq_u16_e32 vcc, s51, v8
	s_mov_b64 s[44:45], -1
                                        ; implicit-def: $sgpr53
	s_and_saveexec_b64 s[48:49], vcc
; %bb.380:                              ;   in Loop: Header=BB313_10 Depth=1
	s_mov_b32 s53, 0x7fc02000
	s_xor_b64 s[44:45], exec, -1
; %bb.381:                              ;   in Loop: Header=BB313_10 Depth=1
	s_or_b64 exec, exec, s[48:49]
	s_and_b64 s[44:45], s[44:45], exec
.LBB313_382:                            ;   in Loop: Header=BB313_10 Depth=1
	s_or_saveexec_b64 s[46:47], s[46:47]
	v_mov_b32_e32 v0, s53
	scratch_store_dword off, v0, s32 offset:380 ; 4-byte Folded Spill
	s_xor_b64 exec, exec, s[46:47]
	s_cbranch_execz .LBB313_384
; %bb.383:                              ;   in Loop: Header=BB313_10 Depth=1
	v_cmp_ne_u16_e32 vcc, 0, v8
	s_andn2_b64 s[44:45], s[44:45], exec
	s_and_b64 vcc, vcc, exec
	v_mov_b32_e32 v0, 0
	s_or_b64 s[44:45], s[44:45], vcc
	scratch_store_dword off, v0, s32 offset:380 ; 4-byte Folded Spill
.LBB313_384:                            ;   in Loop: Header=BB313_10 Depth=1
	s_or_b64 exec, exec, s[46:47]
	s_and_saveexec_b64 s[46:47], s[44:45]
	s_cbranch_execz .LBB313_386
; %bb.385:                              ;   in Loop: Header=BB313_10 Depth=1
	v_bfe_u32 v2, v12, 24, 3
	v_ffbh_u32_e32 v0, v2
	v_min_u32_e32 v5, 32, v0
	v_subrev_u32_e32 v0, 28, v5
	v_bfe_u32 v3, v12, 27, 4
	v_lshlrev_b64 v[0:1], v0, v[8:9]
	v_sub_u32_e32 v1, 29, v5
	v_cmp_eq_u32_e32 vcc, 0, v3
	v_and_b32_e32 v0, 7, v0
	s_nop 0
	v_cndmask_b32_e32 v1, v3, v1, vcc
	v_cndmask_b32_e32 v0, v2, v0, vcc
	v_lshlrev_b32_e32 v2, 8, v8
	v_lshl_add_u32 v1, v1, 10, v32
	v_and_or_b32 v1, v2, s52, v1
	v_lshl_or_b32 v0, v0, 7, v1
	v_cvt_f32_f16_e32 v0, v0
	scratch_store_dword off, v0, s32 offset:380 ; 4-byte Folded Spill
.LBB313_386:                            ;   in Loop: Header=BB313_10 Depth=1
	s_or_b64 exec, exec, s[46:47]
	flat_load_dword v12, v[36:37] offset:3080
	s_mov_b64 vcc, 0
                                        ; implicit-def: $sgpr48
	s_waitcnt vmcnt(0) lgkmcnt(0)
	v_cmp_gt_i16_sdwa s[44:45], v12, s17 src0_sel:BYTE_0 src1_sel:DWORD
	s_and_saveexec_b64 s[46:47], s[44:45]
	s_xor_b64 s[44:45], exec, s[46:47]
	s_cbranch_execz .LBB313_390
; %bb.387:                              ;   in Loop: Header=BB313_10 Depth=1
	v_cmp_eq_u16_sdwa s[54:55], v12, s51 src0_sel:BYTE_0 src1_sel:DWORD
	s_mov_b64 vcc, -1
                                        ; implicit-def: $sgpr48
	s_and_saveexec_b64 s[46:47], s[54:55]
; %bb.388:                              ;   in Loop: Header=BB313_10 Depth=1
	s_mov_b32 s48, 0x7fc02000
	s_xor_b64 vcc, exec, -1
; %bb.389:                              ;   in Loop: Header=BB313_10 Depth=1
	s_or_b64 exec, exec, s[46:47]
	s_and_b64 vcc, vcc, exec
.LBB313_390:                            ;   in Loop: Header=BB313_10 Depth=1
	s_or_saveexec_b64 s[44:45], s[44:45]
	v_mov_b32_e32 v0, s48
	scratch_store_dword off, v0, s32 offset:388 ; 4-byte Folded Spill
	s_xor_b64 exec, exec, s[44:45]
	s_cbranch_execz .LBB313_392
; %bb.391:                              ;   in Loop: Header=BB313_10 Depth=1
	v_cmp_ne_u16_sdwa s[46:47], v12, v9 src0_sel:BYTE_0 src1_sel:DWORD
	s_andn2_b64 vcc, vcc, exec
	s_and_b64 s[46:47], s[46:47], exec
	v_mov_b32_e32 v0, 0
	s_or_b64 vcc, vcc, s[46:47]
	scratch_store_dword off, v0, s32 offset:388 ; 4-byte Folded Spill
.LBB313_392:                            ;   in Loop: Header=BB313_10 Depth=1
	s_or_b64 exec, exec, s[44:45]
	s_and_saveexec_b64 s[44:45], vcc
	s_cbranch_execz .LBB313_394
; %bb.393:                              ;   in Loop: Header=BB313_10 Depth=1
	v_and_b32_e32 v2, 7, v12
	v_ffbh_u32_e32 v0, v2
	v_min_u32_e32 v5, 32, v0
	v_subrev_u32_e32 v0, 28, v5
	v_bfe_u32 v3, v12, 3, 4
	v_lshlrev_b64 v[0:1], v0, v[12:13]
	v_sub_u32_e32 v1, 29, v5
	v_cmp_eq_u32_e32 vcc, 0, v3
	v_and_b32_e32 v0, 7, v0
	s_nop 0
	v_cndmask_b32_e32 v1, v3, v1, vcc
	v_cndmask_b32_e32 v0, v2, v0, vcc
	v_lshlrev_b32_e32 v2, 8, v12
	v_lshl_add_u32 v1, v1, 10, v32
	v_and_or_b32 v1, v2, s52, v1
	v_lshl_or_b32 v0, v0, 7, v1
	v_cvt_f32_f16_e32 v0, v0
	scratch_store_dword off, v0, s32 offset:388 ; 4-byte Folded Spill
.LBB313_394:                            ;   in Loop: Header=BB313_10 Depth=1
	s_or_b64 exec, exec, s[44:45]
	v_lshrrev_b16_e32 v8, 8, v12
	v_cmp_lt_i16_e32 vcc, s17, v8
	s_mov_b64 s[44:45], 0
                                        ; implicit-def: $sgpr53
	s_and_saveexec_b64 s[46:47], vcc
	s_xor_b64 s[46:47], exec, s[46:47]
	s_cbranch_execz .LBB313_398
; %bb.395:                              ;   in Loop: Header=BB313_10 Depth=1
	v_cmp_eq_u16_e32 vcc, s51, v8
	s_mov_b64 s[44:45], -1
                                        ; implicit-def: $sgpr53
	s_and_saveexec_b64 s[48:49], vcc
; %bb.396:                              ;   in Loop: Header=BB313_10 Depth=1
	s_mov_b32 s53, 0x7fc02000
	s_xor_b64 s[44:45], exec, -1
; %bb.397:                              ;   in Loop: Header=BB313_10 Depth=1
	s_or_b64 exec, exec, s[48:49]
	s_and_b64 s[44:45], s[44:45], exec
.LBB313_398:                            ;   in Loop: Header=BB313_10 Depth=1
	s_or_saveexec_b64 s[46:47], s[46:47]
	v_mov_b32_e32 v0, s53
	scratch_store_dword off, v0, s32 offset:400 ; 4-byte Folded Spill
	s_xor_b64 exec, exec, s[46:47]
	s_cbranch_execz .LBB313_400
; %bb.399:                              ;   in Loop: Header=BB313_10 Depth=1
	v_cmp_ne_u16_e32 vcc, 0, v8
	s_andn2_b64 s[44:45], s[44:45], exec
	s_and_b64 vcc, vcc, exec
	v_mov_b32_e32 v0, 0
	s_or_b64 s[44:45], s[44:45], vcc
	scratch_store_dword off, v0, s32 offset:400 ; 4-byte Folded Spill
.LBB313_400:                            ;   in Loop: Header=BB313_10 Depth=1
	s_or_b64 exec, exec, s[46:47]
	s_and_saveexec_b64 s[46:47], s[44:45]
	s_cbranch_execz .LBB313_402
; %bb.401:                              ;   in Loop: Header=BB313_10 Depth=1
	v_and_b32_e32 v2, 7, v8
	v_ffbh_u32_e32 v0, v2
	v_min_u32_e32 v5, 32, v0
	v_subrev_u32_e32 v0, 28, v5
	v_bfe_u32 v3, v8, 3, 4
	v_lshlrev_b64 v[0:1], v0, v[8:9]
	v_sub_u32_e32 v1, 29, v5
	v_cmp_eq_u32_e32 vcc, 0, v3
	v_and_b32_e32 v0, 7, v0
	s_nop 0
	v_cndmask_b32_e32 v1, v3, v1, vcc
	v_cndmask_b32_e32 v0, v2, v0, vcc
	v_lshlrev_b32_e32 v2, 8, v8
	v_lshl_add_u32 v1, v1, 10, v32
	v_and_or_b32 v1, v2, s52, v1
	v_lshl_or_b32 v0, v0, 7, v1
	v_cvt_f32_f16_e32 v0, v0
	scratch_store_dword off, v0, s32 offset:400 ; 4-byte Folded Spill
.LBB313_402:                            ;   in Loop: Header=BB313_10 Depth=1
	s_or_b64 exec, exec, s[46:47]
	v_lshrrev_b32_e32 v8, 16, v12
	v_cmp_gt_i16_sdwa s[44:45], v8, s17 src0_sel:BYTE_0 src1_sel:DWORD
	s_mov_b64 vcc, 0
                                        ; implicit-def: $sgpr48
	s_and_saveexec_b64 s[46:47], s[44:45]
	s_xor_b64 s[44:45], exec, s[46:47]
	s_cbranch_execz .LBB313_406
; %bb.403:                              ;   in Loop: Header=BB313_10 Depth=1
	v_cmp_eq_u16_sdwa s[54:55], v8, s51 src0_sel:BYTE_0 src1_sel:DWORD
	s_mov_b64 vcc, -1
                                        ; implicit-def: $sgpr48
	s_and_saveexec_b64 s[46:47], s[54:55]
; %bb.404:                              ;   in Loop: Header=BB313_10 Depth=1
	s_mov_b32 s48, 0x7fc02000
	s_xor_b64 vcc, exec, -1
; %bb.405:                              ;   in Loop: Header=BB313_10 Depth=1
	s_or_b64 exec, exec, s[46:47]
	s_and_b64 vcc, vcc, exec
.LBB313_406:                            ;   in Loop: Header=BB313_10 Depth=1
	s_or_saveexec_b64 s[44:45], s[44:45]
	v_mov_b32_e32 v0, s48
	scratch_store_dword off, v0, s32 offset:392 ; 4-byte Folded Spill
	s_xor_b64 exec, exec, s[44:45]
	s_cbranch_execz .LBB313_408
; %bb.407:                              ;   in Loop: Header=BB313_10 Depth=1
	v_cmp_ne_u16_sdwa s[46:47], v8, v9 src0_sel:BYTE_0 src1_sel:DWORD
	s_andn2_b64 vcc, vcc, exec
	s_and_b64 s[46:47], s[46:47], exec
	v_mov_b32_e32 v0, 0
	s_or_b64 vcc, vcc, s[46:47]
	scratch_store_dword off, v0, s32 offset:392 ; 4-byte Folded Spill
.LBB313_408:                            ;   in Loop: Header=BB313_10 Depth=1
	s_or_b64 exec, exec, s[44:45]
	s_and_saveexec_b64 s[44:45], vcc
	s_cbranch_execz .LBB313_410
; %bb.409:                              ;   in Loop: Header=BB313_10 Depth=1
	v_bfe_u32 v2, v12, 16, 3
	v_ffbh_u32_e32 v0, v2
	v_min_u32_e32 v5, 32, v0
	v_subrev_u32_e32 v0, 28, v5
	v_bfe_u32 v3, v12, 19, 4
	v_lshlrev_b64 v[0:1], v0, v[8:9]
	v_sub_u32_e32 v1, 29, v5
	v_cmp_eq_u32_e32 vcc, 0, v3
	v_and_b32_e32 v0, 7, v0
	s_nop 0
	v_cndmask_b32_e32 v1, v3, v1, vcc
	v_cndmask_b32_e32 v0, v2, v0, vcc
	v_lshlrev_b32_e32 v2, 8, v8
	v_lshl_add_u32 v1, v1, 10, v32
	v_and_or_b32 v1, v2, s52, v1
	v_lshl_or_b32 v0, v0, 7, v1
	v_cvt_f32_f16_e32 v0, v0
	scratch_store_dword off, v0, s32 offset:392 ; 4-byte Folded Spill
.LBB313_410:                            ;   in Loop: Header=BB313_10 Depth=1
	s_or_b64 exec, exec, s[44:45]
	v_lshrrev_b32_e32 v8, 24, v12
	v_cmp_lt_i16_e32 vcc, s17, v8
	s_mov_b64 s[44:45], 0
                                        ; implicit-def: $sgpr53
	s_and_saveexec_b64 s[46:47], vcc
	s_xor_b64 s[46:47], exec, s[46:47]
	s_cbranch_execz .LBB313_414
; %bb.411:                              ;   in Loop: Header=BB313_10 Depth=1
	v_cmp_eq_u16_e32 vcc, s51, v8
	s_mov_b64 s[44:45], -1
                                        ; implicit-def: $sgpr53
	s_and_saveexec_b64 s[48:49], vcc
; %bb.412:                              ;   in Loop: Header=BB313_10 Depth=1
	s_mov_b32 s53, 0x7fc02000
	s_xor_b64 s[44:45], exec, -1
; %bb.413:                              ;   in Loop: Header=BB313_10 Depth=1
	s_or_b64 exec, exec, s[48:49]
	s_and_b64 s[44:45], s[44:45], exec
.LBB313_414:                            ;   in Loop: Header=BB313_10 Depth=1
	s_or_saveexec_b64 s[46:47], s[46:47]
	v_mov_b32_e32 v0, s53
	scratch_store_dword off, v0, s32 offset:396 ; 4-byte Folded Spill
	s_xor_b64 exec, exec, s[46:47]
	s_cbranch_execz .LBB313_416
; %bb.415:                              ;   in Loop: Header=BB313_10 Depth=1
	v_cmp_ne_u16_e32 vcc, 0, v8
	s_andn2_b64 s[44:45], s[44:45], exec
	s_and_b64 vcc, vcc, exec
	v_mov_b32_e32 v0, 0
	s_or_b64 s[44:45], s[44:45], vcc
	scratch_store_dword off, v0, s32 offset:396 ; 4-byte Folded Spill
.LBB313_416:                            ;   in Loop: Header=BB313_10 Depth=1
	s_or_b64 exec, exec, s[46:47]
	s_and_saveexec_b64 s[46:47], s[44:45]
	s_cbranch_execz .LBB313_418
; %bb.417:                              ;   in Loop: Header=BB313_10 Depth=1
	v_bfe_u32 v2, v12, 24, 3
	v_ffbh_u32_e32 v0, v2
	v_min_u32_e32 v5, 32, v0
	v_subrev_u32_e32 v0, 28, v5
	v_bfe_u32 v3, v12, 27, 4
	v_lshlrev_b64 v[0:1], v0, v[8:9]
	v_sub_u32_e32 v1, 29, v5
	v_cmp_eq_u32_e32 vcc, 0, v3
	v_and_b32_e32 v0, 7, v0
	s_nop 0
	v_cndmask_b32_e32 v1, v3, v1, vcc
	v_cndmask_b32_e32 v0, v2, v0, vcc
	v_lshlrev_b32_e32 v2, 8, v8
	v_lshl_add_u32 v1, v1, 10, v32
	v_and_or_b32 v1, v2, s52, v1
	v_lshl_or_b32 v0, v0, 7, v1
	v_cvt_f32_f16_e32 v0, v0
	scratch_store_dword off, v0, s32 offset:396 ; 4-byte Folded Spill
.LBB313_418:                            ;   in Loop: Header=BB313_10 Depth=1
	s_or_b64 exec, exec, s[46:47]
	flat_load_dword v12, v[36:37] offset:3584
	s_mov_b64 vcc, 0
                                        ; implicit-def: $sgpr48
	s_waitcnt vmcnt(0) lgkmcnt(0)
	v_cmp_gt_i16_sdwa s[44:45], v12, s17 src0_sel:BYTE_0 src1_sel:DWORD
	s_and_saveexec_b64 s[46:47], s[44:45]
	s_xor_b64 s[44:45], exec, s[46:47]
	s_cbranch_execz .LBB313_422
; %bb.419:                              ;   in Loop: Header=BB313_10 Depth=1
	v_cmp_eq_u16_sdwa s[54:55], v12, s51 src0_sel:BYTE_0 src1_sel:DWORD
	s_mov_b64 vcc, -1
                                        ; implicit-def: $sgpr48
	s_and_saveexec_b64 s[46:47], s[54:55]
; %bb.420:                              ;   in Loop: Header=BB313_10 Depth=1
	s_mov_b32 s48, 0x7fc02000
	s_xor_b64 vcc, exec, -1
; %bb.421:                              ;   in Loop: Header=BB313_10 Depth=1
	s_or_b64 exec, exec, s[46:47]
	s_and_b64 vcc, vcc, exec
.LBB313_422:                            ;   in Loop: Header=BB313_10 Depth=1
	s_or_saveexec_b64 s[44:45], s[44:45]
	v_mov_b32_e32 v0, s48
	scratch_store_dword off, v0, s32 offset:404 ; 4-byte Folded Spill
	s_xor_b64 exec, exec, s[44:45]
	s_cbranch_execz .LBB313_424
; %bb.423:                              ;   in Loop: Header=BB313_10 Depth=1
	v_cmp_ne_u16_sdwa s[46:47], v12, v9 src0_sel:BYTE_0 src1_sel:DWORD
	s_andn2_b64 vcc, vcc, exec
	s_and_b64 s[46:47], s[46:47], exec
	v_mov_b32_e32 v0, 0
	s_or_b64 vcc, vcc, s[46:47]
	scratch_store_dword off, v0, s32 offset:404 ; 4-byte Folded Spill
.LBB313_424:                            ;   in Loop: Header=BB313_10 Depth=1
	s_or_b64 exec, exec, s[44:45]
	s_and_saveexec_b64 s[44:45], vcc
	s_cbranch_execz .LBB313_426
; %bb.425:                              ;   in Loop: Header=BB313_10 Depth=1
	v_and_b32_e32 v2, 7, v12
	v_ffbh_u32_e32 v0, v2
	v_min_u32_e32 v5, 32, v0
	v_subrev_u32_e32 v0, 28, v5
	v_bfe_u32 v3, v12, 3, 4
	v_lshlrev_b64 v[0:1], v0, v[12:13]
	v_sub_u32_e32 v1, 29, v5
	v_cmp_eq_u32_e32 vcc, 0, v3
	v_and_b32_e32 v0, 7, v0
	s_nop 0
	v_cndmask_b32_e32 v1, v3, v1, vcc
	v_cndmask_b32_e32 v0, v2, v0, vcc
	v_lshlrev_b32_e32 v2, 8, v12
	v_lshl_add_u32 v1, v1, 10, v32
	v_and_or_b32 v1, v2, s52, v1
	v_lshl_or_b32 v0, v0, 7, v1
	v_cvt_f32_f16_e32 v0, v0
	scratch_store_dword off, v0, s32 offset:404 ; 4-byte Folded Spill
.LBB313_426:                            ;   in Loop: Header=BB313_10 Depth=1
	s_or_b64 exec, exec, s[44:45]
	v_lshrrev_b16_e32 v8, 8, v12
	v_cmp_lt_i16_e32 vcc, s17, v8
	s_mov_b64 s[44:45], 0
                                        ; implicit-def: $sgpr53
	s_and_saveexec_b64 s[46:47], vcc
	s_xor_b64 s[46:47], exec, s[46:47]
	s_cbranch_execz .LBB313_430
; %bb.427:                              ;   in Loop: Header=BB313_10 Depth=1
	v_cmp_eq_u16_e32 vcc, s51, v8
	s_mov_b64 s[44:45], -1
                                        ; implicit-def: $sgpr53
	s_and_saveexec_b64 s[48:49], vcc
; %bb.428:                              ;   in Loop: Header=BB313_10 Depth=1
	s_mov_b32 s53, 0x7fc02000
	s_xor_b64 s[44:45], exec, -1
; %bb.429:                              ;   in Loop: Header=BB313_10 Depth=1
	s_or_b64 exec, exec, s[48:49]
	s_and_b64 s[44:45], s[44:45], exec
.LBB313_430:                            ;   in Loop: Header=BB313_10 Depth=1
	s_or_saveexec_b64 s[46:47], s[46:47]
	v_mov_b32_e32 v0, s53
	scratch_store_dword off, v0, s32 offset:416 ; 4-byte Folded Spill
	s_xor_b64 exec, exec, s[46:47]
	s_cbranch_execz .LBB313_432
; %bb.431:                              ;   in Loop: Header=BB313_10 Depth=1
	v_cmp_ne_u16_e32 vcc, 0, v8
	s_andn2_b64 s[44:45], s[44:45], exec
	s_and_b64 vcc, vcc, exec
	v_mov_b32_e32 v0, 0
	s_or_b64 s[44:45], s[44:45], vcc
	scratch_store_dword off, v0, s32 offset:416 ; 4-byte Folded Spill
.LBB313_432:                            ;   in Loop: Header=BB313_10 Depth=1
	s_or_b64 exec, exec, s[46:47]
	s_and_saveexec_b64 s[46:47], s[44:45]
	s_cbranch_execz .LBB313_434
; %bb.433:                              ;   in Loop: Header=BB313_10 Depth=1
	v_and_b32_e32 v2, 7, v8
	v_ffbh_u32_e32 v0, v2
	v_min_u32_e32 v5, 32, v0
	v_subrev_u32_e32 v0, 28, v5
	v_bfe_u32 v3, v8, 3, 4
	v_lshlrev_b64 v[0:1], v0, v[8:9]
	v_sub_u32_e32 v1, 29, v5
	v_cmp_eq_u32_e32 vcc, 0, v3
	v_and_b32_e32 v0, 7, v0
	s_nop 0
	v_cndmask_b32_e32 v1, v3, v1, vcc
	v_cndmask_b32_e32 v0, v2, v0, vcc
	v_lshlrev_b32_e32 v2, 8, v8
	v_lshl_add_u32 v1, v1, 10, v32
	v_and_or_b32 v1, v2, s52, v1
	v_lshl_or_b32 v0, v0, 7, v1
	v_cvt_f32_f16_e32 v0, v0
	scratch_store_dword off, v0, s32 offset:416 ; 4-byte Folded Spill
.LBB313_434:                            ;   in Loop: Header=BB313_10 Depth=1
	s_or_b64 exec, exec, s[46:47]
	v_lshrrev_b32_e32 v8, 16, v12
	v_cmp_gt_i16_sdwa s[44:45], v8, s17 src0_sel:BYTE_0 src1_sel:DWORD
	s_mov_b64 vcc, 0
                                        ; implicit-def: $sgpr48
	s_and_saveexec_b64 s[46:47], s[44:45]
	s_xor_b64 s[44:45], exec, s[46:47]
	s_cbranch_execz .LBB313_438
; %bb.435:                              ;   in Loop: Header=BB313_10 Depth=1
	v_cmp_eq_u16_sdwa s[54:55], v8, s51 src0_sel:BYTE_0 src1_sel:DWORD
	s_mov_b64 vcc, -1
                                        ; implicit-def: $sgpr48
	s_and_saveexec_b64 s[46:47], s[54:55]
; %bb.436:                              ;   in Loop: Header=BB313_10 Depth=1
	s_mov_b32 s48, 0x7fc02000
	s_xor_b64 vcc, exec, -1
; %bb.437:                              ;   in Loop: Header=BB313_10 Depth=1
	s_or_b64 exec, exec, s[46:47]
	s_and_b64 vcc, vcc, exec
.LBB313_438:                            ;   in Loop: Header=BB313_10 Depth=1
	s_or_saveexec_b64 s[44:45], s[44:45]
	v_mov_b32_e32 v0, s48
	scratch_store_dword off, v0, s32 offset:408 ; 4-byte Folded Spill
	s_xor_b64 exec, exec, s[44:45]
	s_cbranch_execz .LBB313_440
; %bb.439:                              ;   in Loop: Header=BB313_10 Depth=1
	v_cmp_ne_u16_sdwa s[46:47], v8, v9 src0_sel:BYTE_0 src1_sel:DWORD
	s_andn2_b64 vcc, vcc, exec
	s_and_b64 s[46:47], s[46:47], exec
	v_mov_b32_e32 v0, 0
	s_or_b64 vcc, vcc, s[46:47]
	scratch_store_dword off, v0, s32 offset:408 ; 4-byte Folded Spill
.LBB313_440:                            ;   in Loop: Header=BB313_10 Depth=1
	s_or_b64 exec, exec, s[44:45]
	s_and_saveexec_b64 s[44:45], vcc
	s_cbranch_execz .LBB313_442
; %bb.441:                              ;   in Loop: Header=BB313_10 Depth=1
	v_bfe_u32 v2, v12, 16, 3
	v_ffbh_u32_e32 v0, v2
	v_min_u32_e32 v5, 32, v0
	v_subrev_u32_e32 v0, 28, v5
	v_bfe_u32 v3, v12, 19, 4
	v_lshlrev_b64 v[0:1], v0, v[8:9]
	v_sub_u32_e32 v1, 29, v5
	v_cmp_eq_u32_e32 vcc, 0, v3
	v_and_b32_e32 v0, 7, v0
	s_nop 0
	v_cndmask_b32_e32 v1, v3, v1, vcc
	v_cndmask_b32_e32 v0, v2, v0, vcc
	v_lshlrev_b32_e32 v2, 8, v8
	v_lshl_add_u32 v1, v1, 10, v32
	v_and_or_b32 v1, v2, s52, v1
	v_lshl_or_b32 v0, v0, 7, v1
	v_cvt_f32_f16_e32 v0, v0
	scratch_store_dword off, v0, s32 offset:408 ; 4-byte Folded Spill
.LBB313_442:                            ;   in Loop: Header=BB313_10 Depth=1
	s_or_b64 exec, exec, s[44:45]
	v_lshrrev_b32_e32 v8, 24, v12
	v_cmp_lt_i16_e32 vcc, s17, v8
	s_mov_b64 s[44:45], 0
                                        ; implicit-def: $sgpr53
	s_and_saveexec_b64 s[46:47], vcc
	s_xor_b64 s[46:47], exec, s[46:47]
	s_cbranch_execz .LBB313_446
; %bb.443:                              ;   in Loop: Header=BB313_10 Depth=1
	v_cmp_eq_u16_e32 vcc, s51, v8
	s_mov_b64 s[44:45], -1
                                        ; implicit-def: $sgpr53
	s_and_saveexec_b64 s[48:49], vcc
; %bb.444:                              ;   in Loop: Header=BB313_10 Depth=1
	s_mov_b32 s53, 0x7fc02000
	s_xor_b64 s[44:45], exec, -1
; %bb.445:                              ;   in Loop: Header=BB313_10 Depth=1
	s_or_b64 exec, exec, s[48:49]
	s_and_b64 s[44:45], s[44:45], exec
.LBB313_446:                            ;   in Loop: Header=BB313_10 Depth=1
	s_or_saveexec_b64 s[46:47], s[46:47]
	v_mov_b32_e32 v0, s53
	scratch_store_dword off, v0, s32 offset:412 ; 4-byte Folded Spill
	s_xor_b64 exec, exec, s[46:47]
	s_cbranch_execz .LBB313_448
; %bb.447:                              ;   in Loop: Header=BB313_10 Depth=1
	v_cmp_ne_u16_e32 vcc, 0, v8
	s_andn2_b64 s[44:45], s[44:45], exec
	s_and_b64 vcc, vcc, exec
	v_mov_b32_e32 v0, 0
	s_or_b64 s[44:45], s[44:45], vcc
	scratch_store_dword off, v0, s32 offset:412 ; 4-byte Folded Spill
.LBB313_448:                            ;   in Loop: Header=BB313_10 Depth=1
	s_or_b64 exec, exec, s[46:47]
	s_and_saveexec_b64 s[46:47], s[44:45]
	s_cbranch_execz .LBB313_450
; %bb.449:                              ;   in Loop: Header=BB313_10 Depth=1
	v_bfe_u32 v2, v12, 24, 3
	v_ffbh_u32_e32 v0, v2
	v_min_u32_e32 v5, 32, v0
	v_subrev_u32_e32 v0, 28, v5
	v_bfe_u32 v3, v12, 27, 4
	v_lshlrev_b64 v[0:1], v0, v[8:9]
	v_sub_u32_e32 v1, 29, v5
	v_cmp_eq_u32_e32 vcc, 0, v3
	v_and_b32_e32 v0, 7, v0
	s_nop 0
	v_cndmask_b32_e32 v1, v3, v1, vcc
	v_cndmask_b32_e32 v0, v2, v0, vcc
	v_lshlrev_b32_e32 v2, 8, v8
	v_lshl_add_u32 v1, v1, 10, v32
	v_and_or_b32 v1, v2, s52, v1
	v_lshl_or_b32 v0, v0, 7, v1
	v_cvt_f32_f16_e32 v0, v0
	scratch_store_dword off, v0, s32 offset:412 ; 4-byte Folded Spill
.LBB313_450:                            ;   in Loop: Header=BB313_10 Depth=1
	s_or_b64 exec, exec, s[46:47]
	flat_load_dword v12, v[36:37] offset:3592
	s_mov_b64 vcc, 0
                                        ; implicit-def: $sgpr48
	s_waitcnt vmcnt(0) lgkmcnt(0)
	v_cmp_gt_i16_sdwa s[44:45], v12, s17 src0_sel:BYTE_0 src1_sel:DWORD
	s_and_saveexec_b64 s[46:47], s[44:45]
	s_xor_b64 s[44:45], exec, s[46:47]
	s_cbranch_execz .LBB313_454
; %bb.451:                              ;   in Loop: Header=BB313_10 Depth=1
	v_cmp_eq_u16_sdwa s[54:55], v12, s51 src0_sel:BYTE_0 src1_sel:DWORD
	s_mov_b64 vcc, -1
                                        ; implicit-def: $sgpr48
	s_and_saveexec_b64 s[46:47], s[54:55]
; %bb.452:                              ;   in Loop: Header=BB313_10 Depth=1
	s_mov_b32 s48, 0x7fc02000
	s_xor_b64 vcc, exec, -1
; %bb.453:                              ;   in Loop: Header=BB313_10 Depth=1
	s_or_b64 exec, exec, s[46:47]
	s_and_b64 vcc, vcc, exec
.LBB313_454:                            ;   in Loop: Header=BB313_10 Depth=1
	s_or_saveexec_b64 s[44:45], s[44:45]
	v_mov_b32_e32 v0, s48
	scratch_store_dword off, v0, s32 offset:420 ; 4-byte Folded Spill
	s_xor_b64 exec, exec, s[44:45]
	s_cbranch_execz .LBB313_456
; %bb.455:                              ;   in Loop: Header=BB313_10 Depth=1
	v_cmp_ne_u16_sdwa s[46:47], v12, v9 src0_sel:BYTE_0 src1_sel:DWORD
	s_andn2_b64 vcc, vcc, exec
	s_and_b64 s[46:47], s[46:47], exec
	v_mov_b32_e32 v0, 0
	s_or_b64 vcc, vcc, s[46:47]
	scratch_store_dword off, v0, s32 offset:420 ; 4-byte Folded Spill
.LBB313_456:                            ;   in Loop: Header=BB313_10 Depth=1
	s_or_b64 exec, exec, s[44:45]
	s_and_saveexec_b64 s[44:45], vcc
	s_cbranch_execz .LBB313_458
; %bb.457:                              ;   in Loop: Header=BB313_10 Depth=1
	v_and_b32_e32 v2, 7, v12
	v_ffbh_u32_e32 v0, v2
	v_min_u32_e32 v5, 32, v0
	v_subrev_u32_e32 v0, 28, v5
	v_bfe_u32 v3, v12, 3, 4
	v_lshlrev_b64 v[0:1], v0, v[12:13]
	v_sub_u32_e32 v1, 29, v5
	v_cmp_eq_u32_e32 vcc, 0, v3
	v_and_b32_e32 v0, 7, v0
	s_nop 0
	v_cndmask_b32_e32 v1, v3, v1, vcc
	v_cndmask_b32_e32 v0, v2, v0, vcc
	v_lshlrev_b32_e32 v2, 8, v12
	v_lshl_add_u32 v1, v1, 10, v32
	v_and_or_b32 v1, v2, s52, v1
	v_lshl_or_b32 v0, v0, 7, v1
	v_cvt_f32_f16_e32 v0, v0
	scratch_store_dword off, v0, s32 offset:420 ; 4-byte Folded Spill
.LBB313_458:                            ;   in Loop: Header=BB313_10 Depth=1
	s_or_b64 exec, exec, s[44:45]
	v_lshrrev_b16_e32 v8, 8, v12
	v_cmp_lt_i16_e32 vcc, s17, v8
	s_mov_b64 s[44:45], 0
                                        ; implicit-def: $sgpr53
	s_and_saveexec_b64 s[46:47], vcc
	s_xor_b64 s[46:47], exec, s[46:47]
	s_cbranch_execz .LBB313_462
; %bb.459:                              ;   in Loop: Header=BB313_10 Depth=1
	v_cmp_eq_u16_e32 vcc, s51, v8
	s_mov_b64 s[44:45], -1
                                        ; implicit-def: $sgpr53
	s_and_saveexec_b64 s[48:49], vcc
; %bb.460:                              ;   in Loop: Header=BB313_10 Depth=1
	s_mov_b32 s53, 0x7fc02000
	s_xor_b64 s[44:45], exec, -1
; %bb.461:                              ;   in Loop: Header=BB313_10 Depth=1
	s_or_b64 exec, exec, s[48:49]
	s_and_b64 s[44:45], s[44:45], exec
.LBB313_462:                            ;   in Loop: Header=BB313_10 Depth=1
	s_or_saveexec_b64 s[46:47], s[46:47]
	v_mov_b32_e32 v0, s53
	scratch_store_dword off, v0, s32 offset:424 ; 4-byte Folded Spill
	s_xor_b64 exec, exec, s[46:47]
	s_cbranch_execz .LBB313_464
; %bb.463:                              ;   in Loop: Header=BB313_10 Depth=1
	v_cmp_ne_u16_e32 vcc, 0, v8
	s_andn2_b64 s[44:45], s[44:45], exec
	s_and_b64 vcc, vcc, exec
	v_mov_b32_e32 v0, 0
	s_or_b64 s[44:45], s[44:45], vcc
	scratch_store_dword off, v0, s32 offset:424 ; 4-byte Folded Spill
.LBB313_464:                            ;   in Loop: Header=BB313_10 Depth=1
	s_or_b64 exec, exec, s[46:47]
	s_and_saveexec_b64 s[46:47], s[44:45]
	s_cbranch_execz .LBB313_466
; %bb.465:                              ;   in Loop: Header=BB313_10 Depth=1
	v_and_b32_e32 v2, 7, v8
	v_ffbh_u32_e32 v0, v2
	v_min_u32_e32 v5, 32, v0
	v_subrev_u32_e32 v0, 28, v5
	v_bfe_u32 v3, v8, 3, 4
	v_lshlrev_b64 v[0:1], v0, v[8:9]
	v_sub_u32_e32 v1, 29, v5
	v_cmp_eq_u32_e32 vcc, 0, v3
	v_and_b32_e32 v0, 7, v0
	s_nop 0
	v_cndmask_b32_e32 v1, v3, v1, vcc
	v_cndmask_b32_e32 v0, v2, v0, vcc
	v_lshlrev_b32_e32 v2, 8, v8
	v_lshl_add_u32 v1, v1, 10, v32
	v_and_or_b32 v1, v2, s52, v1
	v_lshl_or_b32 v0, v0, 7, v1
	v_cvt_f32_f16_e32 v0, v0
	scratch_store_dword off, v0, s32 offset:424 ; 4-byte Folded Spill
.LBB313_466:                            ;   in Loop: Header=BB313_10 Depth=1
	s_or_b64 exec, exec, s[46:47]
	v_lshrrev_b32_e32 v8, 16, v12
	v_cmp_gt_i16_sdwa s[44:45], v8, s17 src0_sel:BYTE_0 src1_sel:DWORD
	s_mov_b64 vcc, 0
                                        ; implicit-def: $sgpr48
	s_and_saveexec_b64 s[46:47], s[44:45]
	s_xor_b64 s[44:45], exec, s[46:47]
	s_cbranch_execnz .LBB313_800
; %bb.467:                              ;   in Loop: Header=BB313_10 Depth=1
	s_or_saveexec_b64 s[44:45], s[44:45]
	v_mov_b32_e32 v0, s48
	s_xor_b64 exec, exec, s[44:45]
	s_cbranch_execnz .LBB313_803
.LBB313_468:                            ;   in Loop: Header=BB313_10 Depth=1
	s_or_b64 exec, exec, s[44:45]
	s_and_saveexec_b64 s[44:45], vcc
	s_cbranch_execz .LBB313_470
.LBB313_469:                            ;   in Loop: Header=BB313_10 Depth=1
	v_bfe_u32 v2, v12, 16, 3
	v_ffbh_u32_e32 v0, v2
	v_min_u32_e32 v5, 32, v0
	v_subrev_u32_e32 v0, 28, v5
	v_bfe_u32 v3, v12, 19, 4
	v_lshlrev_b64 v[0:1], v0, v[8:9]
	v_sub_u32_e32 v1, 29, v5
	v_cmp_eq_u32_e32 vcc, 0, v3
	v_and_b32_e32 v0, 7, v0
	s_nop 0
	v_cndmask_b32_e32 v1, v3, v1, vcc
	v_cndmask_b32_e32 v0, v2, v0, vcc
	v_lshlrev_b32_e32 v2, 8, v8
	v_lshl_add_u32 v1, v1, 10, v32
	v_and_or_b32 v1, v2, s52, v1
	v_lshl_or_b32 v0, v0, 7, v1
	v_cvt_f32_f16_e32 v0, v0
.LBB313_470:                            ;   in Loop: Header=BB313_10 Depth=1
	s_or_b64 exec, exec, s[44:45]
	v_lshrrev_b32_e32 v8, 24, v12
	v_cmp_lt_i16_e32 vcc, s17, v8
	s_mov_b64 s[44:45], 0
                                        ; implicit-def: $sgpr53
	s_and_saveexec_b64 s[46:47], vcc
	s_xor_b64 s[46:47], exec, s[46:47]
	s_cbranch_execnz .LBB313_804
; %bb.471:                              ;   in Loop: Header=BB313_10 Depth=1
	s_or_saveexec_b64 s[46:47], s[46:47]
	v_mov_b32_e32 v1, s53
	s_xor_b64 exec, exec, s[46:47]
	s_cbranch_execnz .LBB313_807
.LBB313_472:                            ;   in Loop: Header=BB313_10 Depth=1
	s_or_b64 exec, exec, s[46:47]
	v_accvgpr_write_b32 a0, v0
	s_and_saveexec_b64 s[46:47], s[44:45]
	s_cbranch_execz .LBB313_474
.LBB313_473:                            ;   in Loop: Header=BB313_10 Depth=1
	v_bfe_u32 v2, v12, 24, 3
	v_ffbh_u32_e32 v0, v2
	v_min_u32_e32 v5, 32, v0
	v_subrev_u32_e32 v0, 28, v5
	v_bfe_u32 v3, v12, 27, 4
	v_lshlrev_b64 v[0:1], v0, v[8:9]
	v_sub_u32_e32 v1, 29, v5
	v_cmp_eq_u32_e32 vcc, 0, v3
	v_and_b32_e32 v0, 7, v0
	s_nop 0
	v_cndmask_b32_e32 v1, v3, v1, vcc
	v_cndmask_b32_e32 v0, v2, v0, vcc
	v_lshlrev_b32_e32 v2, 8, v8
	v_lshl_add_u32 v1, v1, 10, v32
	v_and_or_b32 v1, v2, s52, v1
	v_lshl_or_b32 v0, v0, 7, v1
	v_cvt_f32_f16_e32 v1, v0
.LBB313_474:                            ;   in Loop: Header=BB313_10 Depth=1
	s_or_b64 exec, exec, s[46:47]
	v_add_co_u32_e32 v0, vcc, 0x1000, v36
	v_accvgpr_write_b32 a1, v1
	s_nop 0
	v_addc_co_u32_e32 v1, vcc, 0, v37, vcc
	flat_load_dword v12, v[0:1]
	s_mov_b64 vcc, 0
                                        ; implicit-def: $sgpr48
	s_waitcnt vmcnt(0) lgkmcnt(0)
	v_cmp_gt_i16_sdwa s[44:45], v12, s17 src0_sel:BYTE_0 src1_sel:DWORD
	s_and_saveexec_b64 s[46:47], s[44:45]
	s_xor_b64 s[44:45], exec, s[46:47]
	s_cbranch_execz .LBB313_478
; %bb.475:                              ;   in Loop: Header=BB313_10 Depth=1
	v_cmp_eq_u16_sdwa s[54:55], v12, s51 src0_sel:BYTE_0 src1_sel:DWORD
	s_mov_b64 vcc, -1
                                        ; implicit-def: $sgpr48
	s_and_saveexec_b64 s[46:47], s[54:55]
; %bb.476:                              ;   in Loop: Header=BB313_10 Depth=1
	s_mov_b32 s48, 0x7fc02000
	s_xor_b64 vcc, exec, -1
; %bb.477:                              ;   in Loop: Header=BB313_10 Depth=1
	s_or_b64 exec, exec, s[46:47]
	s_and_b64 vcc, vcc, exec
.LBB313_478:                            ;   in Loop: Header=BB313_10 Depth=1
	s_or_saveexec_b64 s[44:45], s[44:45]
	v_mov_b32_e32 v0, s48
	scratch_store_dword off, v0, s32 offset:428 ; 4-byte Folded Spill
	s_xor_b64 exec, exec, s[44:45]
	s_cbranch_execz .LBB313_480
; %bb.479:                              ;   in Loop: Header=BB313_10 Depth=1
	v_cmp_ne_u16_sdwa s[46:47], v12, v9 src0_sel:BYTE_0 src1_sel:DWORD
	s_andn2_b64 vcc, vcc, exec
	s_and_b64 s[46:47], s[46:47], exec
	v_mov_b32_e32 v0, 0
	s_or_b64 vcc, vcc, s[46:47]
	scratch_store_dword off, v0, s32 offset:428 ; 4-byte Folded Spill
.LBB313_480:                            ;   in Loop: Header=BB313_10 Depth=1
	s_or_b64 exec, exec, s[44:45]
	s_and_saveexec_b64 s[44:45], vcc
	s_cbranch_execz .LBB313_482
; %bb.481:                              ;   in Loop: Header=BB313_10 Depth=1
	v_and_b32_e32 v2, 7, v12
	v_ffbh_u32_e32 v0, v2
	v_min_u32_e32 v5, 32, v0
	v_subrev_u32_e32 v0, 28, v5
	v_bfe_u32 v3, v12, 3, 4
	v_lshlrev_b64 v[0:1], v0, v[12:13]
	v_sub_u32_e32 v1, 29, v5
	v_cmp_eq_u32_e32 vcc, 0, v3
	v_and_b32_e32 v0, 7, v0
	s_nop 0
	v_cndmask_b32_e32 v1, v3, v1, vcc
	v_cndmask_b32_e32 v0, v2, v0, vcc
	v_lshlrev_b32_e32 v2, 8, v12
	v_lshl_add_u32 v1, v1, 10, v32
	v_and_or_b32 v1, v2, s52, v1
	v_lshl_or_b32 v0, v0, 7, v1
	v_cvt_f32_f16_e32 v0, v0
	scratch_store_dword off, v0, s32 offset:428 ; 4-byte Folded Spill
.LBB313_482:                            ;   in Loop: Header=BB313_10 Depth=1
	s_or_b64 exec, exec, s[44:45]
	v_lshrrev_b16_e32 v8, 8, v12
	v_lshl_add_u64 v[38:39], v[36:37], 0, s[26:27]
	v_cmp_lt_i16_e32 vcc, s17, v8
	s_mov_b64 s[44:45], 0
                                        ; implicit-def: $sgpr53
	s_and_saveexec_b64 s[46:47], vcc
	s_xor_b64 s[46:47], exec, s[46:47]
	s_cbranch_execz .LBB313_486
; %bb.483:                              ;   in Loop: Header=BB313_10 Depth=1
	v_cmp_eq_u16_e32 vcc, s51, v8
	s_mov_b64 s[44:45], -1
                                        ; implicit-def: $sgpr53
	s_and_saveexec_b64 s[48:49], vcc
; %bb.484:                              ;   in Loop: Header=BB313_10 Depth=1
	s_mov_b32 s53, 0x7fc02000
	s_xor_b64 s[44:45], exec, -1
; %bb.485:                              ;   in Loop: Header=BB313_10 Depth=1
	s_or_b64 exec, exec, s[48:49]
	s_and_b64 s[44:45], s[44:45], exec
.LBB313_486:                            ;   in Loop: Header=BB313_10 Depth=1
	s_or_saveexec_b64 s[46:47], s[46:47]
	v_mov_b32_e32 v0, s53
	scratch_store_dword off, v0, s32 offset:440 ; 4-byte Folded Spill
	s_xor_b64 exec, exec, s[46:47]
	s_cbranch_execz .LBB313_488
; %bb.487:                              ;   in Loop: Header=BB313_10 Depth=1
	v_cmp_ne_u16_e32 vcc, 0, v8
	s_andn2_b64 s[44:45], s[44:45], exec
	s_and_b64 vcc, vcc, exec
	v_mov_b32_e32 v0, 0
	s_or_b64 s[44:45], s[44:45], vcc
	scratch_store_dword off, v0, s32 offset:440 ; 4-byte Folded Spill
.LBB313_488:                            ;   in Loop: Header=BB313_10 Depth=1
	s_or_b64 exec, exec, s[46:47]
	s_and_saveexec_b64 s[46:47], s[44:45]
	s_cbranch_execz .LBB313_490
; %bb.489:                              ;   in Loop: Header=BB313_10 Depth=1
	v_and_b32_e32 v2, 7, v8
	v_ffbh_u32_e32 v0, v2
	v_min_u32_e32 v5, 32, v0
	v_subrev_u32_e32 v0, 28, v5
	v_bfe_u32 v3, v8, 3, 4
	v_lshlrev_b64 v[0:1], v0, v[8:9]
	v_sub_u32_e32 v1, 29, v5
	v_cmp_eq_u32_e32 vcc, 0, v3
	v_and_b32_e32 v0, 7, v0
	s_nop 0
	v_cndmask_b32_e32 v1, v3, v1, vcc
	v_cndmask_b32_e32 v0, v2, v0, vcc
	v_lshlrev_b32_e32 v2, 8, v8
	v_lshl_add_u32 v1, v1, 10, v32
	v_and_or_b32 v1, v2, s52, v1
	v_lshl_or_b32 v0, v0, 7, v1
	v_cvt_f32_f16_e32 v0, v0
	scratch_store_dword off, v0, s32 offset:440 ; 4-byte Folded Spill
.LBB313_490:                            ;   in Loop: Header=BB313_10 Depth=1
	s_or_b64 exec, exec, s[46:47]
	v_lshrrev_b32_e32 v8, 16, v12
	v_cmp_gt_i16_sdwa s[44:45], v8, s17 src0_sel:BYTE_0 src1_sel:DWORD
	s_mov_b64 vcc, 0
                                        ; implicit-def: $sgpr48
	s_and_saveexec_b64 s[46:47], s[44:45]
	s_xor_b64 s[44:45], exec, s[46:47]
	s_cbranch_execz .LBB313_494
; %bb.491:                              ;   in Loop: Header=BB313_10 Depth=1
	v_cmp_eq_u16_sdwa s[54:55], v8, s51 src0_sel:BYTE_0 src1_sel:DWORD
	s_mov_b64 vcc, -1
                                        ; implicit-def: $sgpr48
	s_and_saveexec_b64 s[46:47], s[54:55]
; %bb.492:                              ;   in Loop: Header=BB313_10 Depth=1
	s_mov_b32 s48, 0x7fc02000
	s_xor_b64 vcc, exec, -1
; %bb.493:                              ;   in Loop: Header=BB313_10 Depth=1
	s_or_b64 exec, exec, s[46:47]
	s_and_b64 vcc, vcc, exec
.LBB313_494:                            ;   in Loop: Header=BB313_10 Depth=1
	s_or_saveexec_b64 s[44:45], s[44:45]
	v_mov_b32_e32 v0, s48
	scratch_store_dword off, v0, s32 offset:432 ; 4-byte Folded Spill
	s_xor_b64 exec, exec, s[44:45]
	s_cbranch_execz .LBB313_496
; %bb.495:                              ;   in Loop: Header=BB313_10 Depth=1
	v_cmp_ne_u16_sdwa s[46:47], v8, v9 src0_sel:BYTE_0 src1_sel:DWORD
	s_andn2_b64 vcc, vcc, exec
	s_and_b64 s[46:47], s[46:47], exec
	v_mov_b32_e32 v0, 0
	s_or_b64 vcc, vcc, s[46:47]
	scratch_store_dword off, v0, s32 offset:432 ; 4-byte Folded Spill
.LBB313_496:                            ;   in Loop: Header=BB313_10 Depth=1
	s_or_b64 exec, exec, s[44:45]
	s_and_saveexec_b64 s[44:45], vcc
	s_cbranch_execz .LBB313_498
; %bb.497:                              ;   in Loop: Header=BB313_10 Depth=1
	v_bfe_u32 v2, v12, 16, 3
	v_ffbh_u32_e32 v0, v2
	v_min_u32_e32 v5, 32, v0
	v_subrev_u32_e32 v0, 28, v5
	v_bfe_u32 v3, v12, 19, 4
	v_lshlrev_b64 v[0:1], v0, v[8:9]
	v_sub_u32_e32 v1, 29, v5
	v_cmp_eq_u32_e32 vcc, 0, v3
	v_and_b32_e32 v0, 7, v0
	s_nop 0
	v_cndmask_b32_e32 v1, v3, v1, vcc
	v_cndmask_b32_e32 v0, v2, v0, vcc
	v_lshlrev_b32_e32 v2, 8, v8
	v_lshl_add_u32 v1, v1, 10, v32
	v_and_or_b32 v1, v2, s52, v1
	v_lshl_or_b32 v0, v0, 7, v1
	v_cvt_f32_f16_e32 v0, v0
	scratch_store_dword off, v0, s32 offset:432 ; 4-byte Folded Spill
.LBB313_498:                            ;   in Loop: Header=BB313_10 Depth=1
	s_or_b64 exec, exec, s[44:45]
	v_lshrrev_b32_e32 v8, 24, v12
	v_cmp_lt_i16_e32 vcc, s17, v8
	s_mov_b64 s[44:45], 0
                                        ; implicit-def: $sgpr53
	s_and_saveexec_b64 s[46:47], vcc
	s_xor_b64 s[46:47], exec, s[46:47]
	s_cbranch_execz .LBB313_502
; %bb.499:                              ;   in Loop: Header=BB313_10 Depth=1
	v_cmp_eq_u16_e32 vcc, s51, v8
	s_mov_b64 s[44:45], -1
                                        ; implicit-def: $sgpr53
	s_and_saveexec_b64 s[48:49], vcc
; %bb.500:                              ;   in Loop: Header=BB313_10 Depth=1
	s_mov_b32 s53, 0x7fc02000
	s_xor_b64 s[44:45], exec, -1
; %bb.501:                              ;   in Loop: Header=BB313_10 Depth=1
	s_or_b64 exec, exec, s[48:49]
	s_and_b64 s[44:45], s[44:45], exec
.LBB313_502:                            ;   in Loop: Header=BB313_10 Depth=1
	s_or_saveexec_b64 s[46:47], s[46:47]
	v_mov_b32_e32 v0, s53
	scratch_store_dword off, v0, s32 offset:436 ; 4-byte Folded Spill
	s_xor_b64 exec, exec, s[46:47]
	s_cbranch_execz .LBB313_504
; %bb.503:                              ;   in Loop: Header=BB313_10 Depth=1
	v_cmp_ne_u16_e32 vcc, 0, v8
	s_andn2_b64 s[44:45], s[44:45], exec
	s_and_b64 vcc, vcc, exec
	v_mov_b32_e32 v0, 0
	s_or_b64 s[44:45], s[44:45], vcc
	scratch_store_dword off, v0, s32 offset:436 ; 4-byte Folded Spill
.LBB313_504:                            ;   in Loop: Header=BB313_10 Depth=1
	s_or_b64 exec, exec, s[46:47]
	s_and_saveexec_b64 s[46:47], s[44:45]
	s_cbranch_execz .LBB313_506
; %bb.505:                              ;   in Loop: Header=BB313_10 Depth=1
	v_bfe_u32 v2, v12, 24, 3
	v_ffbh_u32_e32 v0, v2
	v_min_u32_e32 v5, 32, v0
	v_subrev_u32_e32 v0, 28, v5
	v_bfe_u32 v3, v12, 27, 4
	v_lshlrev_b64 v[0:1], v0, v[8:9]
	v_sub_u32_e32 v1, 29, v5
	v_cmp_eq_u32_e32 vcc, 0, v3
	v_and_b32_e32 v0, 7, v0
	s_nop 0
	v_cndmask_b32_e32 v1, v3, v1, vcc
	v_cndmask_b32_e32 v0, v2, v0, vcc
	v_lshlrev_b32_e32 v2, 8, v8
	v_lshl_add_u32 v1, v1, 10, v32
	v_and_or_b32 v1, v2, s52, v1
	v_lshl_or_b32 v0, v0, 7, v1
	v_cvt_f32_f16_e32 v0, v0
	scratch_store_dword off, v0, s32 offset:436 ; 4-byte Folded Spill
.LBB313_506:                            ;   in Loop: Header=BB313_10 Depth=1
	s_or_b64 exec, exec, s[46:47]
	flat_load_dword v12, v[38:39] offset:8
	s_mov_b64 vcc, 0
                                        ; implicit-def: $sgpr48
	s_waitcnt vmcnt(0) lgkmcnt(0)
	v_cmp_gt_i16_sdwa s[44:45], v12, s17 src0_sel:BYTE_0 src1_sel:DWORD
	s_and_saveexec_b64 s[46:47], s[44:45]
	s_xor_b64 s[44:45], exec, s[46:47]
	s_cbranch_execz .LBB313_510
; %bb.507:                              ;   in Loop: Header=BB313_10 Depth=1
	v_cmp_eq_u16_sdwa s[54:55], v12, s51 src0_sel:BYTE_0 src1_sel:DWORD
	s_mov_b64 vcc, -1
                                        ; implicit-def: $sgpr48
	s_and_saveexec_b64 s[46:47], s[54:55]
; %bb.508:                              ;   in Loop: Header=BB313_10 Depth=1
	s_mov_b32 s48, 0x7fc02000
	s_xor_b64 vcc, exec, -1
; %bb.509:                              ;   in Loop: Header=BB313_10 Depth=1
	s_or_b64 exec, exec, s[46:47]
	s_and_b64 vcc, vcc, exec
.LBB313_510:                            ;   in Loop: Header=BB313_10 Depth=1
	s_or_saveexec_b64 s[44:45], s[44:45]
	v_mov_b32_e32 v0, s48
	scratch_store_dword off, v0, s32 offset:444 ; 4-byte Folded Spill
	s_xor_b64 exec, exec, s[44:45]
	s_cbranch_execz .LBB313_512
; %bb.511:                              ;   in Loop: Header=BB313_10 Depth=1
	v_cmp_ne_u16_sdwa s[46:47], v12, v9 src0_sel:BYTE_0 src1_sel:DWORD
	s_andn2_b64 vcc, vcc, exec
	s_and_b64 s[46:47], s[46:47], exec
	v_mov_b32_e32 v0, 0
	s_or_b64 vcc, vcc, s[46:47]
	scratch_store_dword off, v0, s32 offset:444 ; 4-byte Folded Spill
.LBB313_512:                            ;   in Loop: Header=BB313_10 Depth=1
	s_or_b64 exec, exec, s[44:45]
	s_and_saveexec_b64 s[44:45], vcc
	s_cbranch_execz .LBB313_514
; %bb.513:                              ;   in Loop: Header=BB313_10 Depth=1
	v_and_b32_e32 v2, 7, v12
	v_ffbh_u32_e32 v0, v2
	v_min_u32_e32 v5, 32, v0
	v_subrev_u32_e32 v0, 28, v5
	v_bfe_u32 v3, v12, 3, 4
	v_lshlrev_b64 v[0:1], v0, v[12:13]
	v_sub_u32_e32 v1, 29, v5
	v_cmp_eq_u32_e32 vcc, 0, v3
	v_and_b32_e32 v0, 7, v0
	s_nop 0
	v_cndmask_b32_e32 v1, v3, v1, vcc
	v_cndmask_b32_e32 v0, v2, v0, vcc
	v_lshlrev_b32_e32 v2, 8, v12
	v_lshl_add_u32 v1, v1, 10, v32
	v_and_or_b32 v1, v2, s52, v1
	v_lshl_or_b32 v0, v0, 7, v1
	v_cvt_f32_f16_e32 v0, v0
	scratch_store_dword off, v0, s32 offset:444 ; 4-byte Folded Spill
.LBB313_514:                            ;   in Loop: Header=BB313_10 Depth=1
	s_or_b64 exec, exec, s[44:45]
	v_lshrrev_b16_e32 v8, 8, v12
	v_cmp_lt_i16_e32 vcc, s17, v8
	s_mov_b64 s[44:45], 0
                                        ; implicit-def: $sgpr53
	s_and_saveexec_b64 s[46:47], vcc
	s_xor_b64 s[46:47], exec, s[46:47]
	s_cbranch_execz .LBB313_518
; %bb.515:                              ;   in Loop: Header=BB313_10 Depth=1
	v_cmp_eq_u16_e32 vcc, s51, v8
	s_mov_b64 s[44:45], -1
                                        ; implicit-def: $sgpr53
	s_and_saveexec_b64 s[48:49], vcc
; %bb.516:                              ;   in Loop: Header=BB313_10 Depth=1
	s_mov_b32 s53, 0x7fc02000
	s_xor_b64 s[44:45], exec, -1
; %bb.517:                              ;   in Loop: Header=BB313_10 Depth=1
	s_or_b64 exec, exec, s[48:49]
	s_and_b64 s[44:45], s[44:45], exec
.LBB313_518:                            ;   in Loop: Header=BB313_10 Depth=1
	s_or_saveexec_b64 s[46:47], s[46:47]
	v_mov_b32_e32 v0, s53
	scratch_store_dword off, v0, s32 offset:448 ; 4-byte Folded Spill
	s_xor_b64 exec, exec, s[46:47]
	s_cbranch_execz .LBB313_520
; %bb.519:                              ;   in Loop: Header=BB313_10 Depth=1
	v_cmp_ne_u16_e32 vcc, 0, v8
	s_andn2_b64 s[44:45], s[44:45], exec
	s_and_b64 vcc, vcc, exec
	v_mov_b32_e32 v0, 0
	s_or_b64 s[44:45], s[44:45], vcc
	scratch_store_dword off, v0, s32 offset:448 ; 4-byte Folded Spill
.LBB313_520:                            ;   in Loop: Header=BB313_10 Depth=1
	s_or_b64 exec, exec, s[46:47]
	s_and_saveexec_b64 s[46:47], s[44:45]
	s_cbranch_execz .LBB313_522
; %bb.521:                              ;   in Loop: Header=BB313_10 Depth=1
	v_and_b32_e32 v2, 7, v8
	v_ffbh_u32_e32 v0, v2
	v_min_u32_e32 v5, 32, v0
	v_subrev_u32_e32 v0, 28, v5
	v_bfe_u32 v3, v8, 3, 4
	v_lshlrev_b64 v[0:1], v0, v[8:9]
	v_sub_u32_e32 v1, 29, v5
	v_cmp_eq_u32_e32 vcc, 0, v3
	v_and_b32_e32 v0, 7, v0
	s_nop 0
	v_cndmask_b32_e32 v1, v3, v1, vcc
	v_cndmask_b32_e32 v0, v2, v0, vcc
	v_lshlrev_b32_e32 v2, 8, v8
	v_lshl_add_u32 v1, v1, 10, v32
	v_and_or_b32 v1, v2, s52, v1
	v_lshl_or_b32 v0, v0, 7, v1
	v_cvt_f32_f16_e32 v0, v0
	scratch_store_dword off, v0, s32 offset:448 ; 4-byte Folded Spill
.LBB313_522:                            ;   in Loop: Header=BB313_10 Depth=1
	s_or_b64 exec, exec, s[46:47]
	v_lshrrev_b32_e32 v8, 16, v12
	v_cmp_gt_i16_sdwa s[44:45], v8, s17 src0_sel:BYTE_0 src1_sel:DWORD
	s_mov_b64 vcc, 0
                                        ; implicit-def: $sgpr48
	s_and_saveexec_b64 s[46:47], s[44:45]
	s_xor_b64 s[44:45], exec, s[46:47]
	s_cbranch_execnz .LBB313_808
; %bb.523:                              ;   in Loop: Header=BB313_10 Depth=1
	s_or_saveexec_b64 s[44:45], s[44:45]
	v_mov_b32_e32 v0, s48
	s_xor_b64 exec, exec, s[44:45]
	s_cbranch_execnz .LBB313_811
.LBB313_524:                            ;   in Loop: Header=BB313_10 Depth=1
	s_or_b64 exec, exec, s[44:45]
	s_and_saveexec_b64 s[44:45], vcc
	s_cbranch_execz .LBB313_526
.LBB313_525:                            ;   in Loop: Header=BB313_10 Depth=1
	v_bfe_u32 v2, v12, 16, 3
	v_ffbh_u32_e32 v0, v2
	v_min_u32_e32 v5, 32, v0
	v_subrev_u32_e32 v0, 28, v5
	v_bfe_u32 v3, v12, 19, 4
	v_lshlrev_b64 v[0:1], v0, v[8:9]
	v_sub_u32_e32 v1, 29, v5
	v_cmp_eq_u32_e32 vcc, 0, v3
	v_and_b32_e32 v0, 7, v0
	s_nop 0
	v_cndmask_b32_e32 v1, v3, v1, vcc
	v_cndmask_b32_e32 v0, v2, v0, vcc
	v_lshlrev_b32_e32 v2, 8, v8
	v_lshl_add_u32 v1, v1, 10, v32
	v_and_or_b32 v1, v2, s52, v1
	v_lshl_or_b32 v0, v0, 7, v1
	v_cvt_f32_f16_e32 v0, v0
.LBB313_526:                            ;   in Loop: Header=BB313_10 Depth=1
	s_or_b64 exec, exec, s[44:45]
	v_lshrrev_b32_e32 v8, 24, v12
	v_cmp_lt_i16_e32 vcc, s17, v8
	s_mov_b64 s[44:45], 0
                                        ; implicit-def: $sgpr53
	s_and_saveexec_b64 s[46:47], vcc
	s_xor_b64 s[46:47], exec, s[46:47]
	s_cbranch_execnz .LBB313_812
; %bb.527:                              ;   in Loop: Header=BB313_10 Depth=1
	s_or_saveexec_b64 s[46:47], s[46:47]
	v_mov_b32_e32 v1, s53
	s_xor_b64 exec, exec, s[46:47]
	s_cbranch_execnz .LBB313_815
.LBB313_528:                            ;   in Loop: Header=BB313_10 Depth=1
	s_or_b64 exec, exec, s[46:47]
	v_accvgpr_write_b32 a53, v0
	s_and_saveexec_b64 s[46:47], s[44:45]
	s_cbranch_execz .LBB313_530
.LBB313_529:                            ;   in Loop: Header=BB313_10 Depth=1
	v_bfe_u32 v2, v12, 24, 3
	v_ffbh_u32_e32 v0, v2
	v_min_u32_e32 v5, 32, v0
	v_subrev_u32_e32 v0, 28, v5
	v_bfe_u32 v3, v12, 27, 4
	v_lshlrev_b64 v[0:1], v0, v[8:9]
	v_sub_u32_e32 v1, 29, v5
	v_cmp_eq_u32_e32 vcc, 0, v3
	v_and_b32_e32 v0, 7, v0
	s_nop 0
	v_cndmask_b32_e32 v1, v3, v1, vcc
	v_cndmask_b32_e32 v0, v2, v0, vcc
	v_lshlrev_b32_e32 v2, 8, v8
	v_lshl_add_u32 v1, v1, 10, v32
	v_and_or_b32 v1, v2, s52, v1
	v_lshl_or_b32 v0, v0, 7, v1
	v_cvt_f32_f16_e32 v1, v0
.LBB313_530:                            ;   in Loop: Header=BB313_10 Depth=1
	s_or_b64 exec, exec, s[46:47]
	v_add_co_u32_e32 v0, vcc, 0x1000, v36
	v_accvgpr_write_b32 a54, v1
	s_nop 0
	v_addc_co_u32_e32 v1, vcc, 0, v37, vcc
	flat_load_dword v12, v[0:1] offset:512
	s_mov_b64 vcc, 0
                                        ; implicit-def: $sgpr48
	s_waitcnt vmcnt(0) lgkmcnt(0)
	v_cmp_gt_i16_sdwa s[44:45], v12, s17 src0_sel:BYTE_0 src1_sel:DWORD
	s_and_saveexec_b64 s[46:47], s[44:45]
	s_xor_b64 s[44:45], exec, s[46:47]
	s_cbranch_execz .LBB313_534
; %bb.531:                              ;   in Loop: Header=BB313_10 Depth=1
	v_cmp_eq_u16_sdwa s[54:55], v12, s51 src0_sel:BYTE_0 src1_sel:DWORD
	s_mov_b64 vcc, -1
                                        ; implicit-def: $sgpr48
	s_and_saveexec_b64 s[46:47], s[54:55]
; %bb.532:                              ;   in Loop: Header=BB313_10 Depth=1
	s_mov_b32 s48, 0x7fc02000
	s_xor_b64 vcc, exec, -1
; %bb.533:                              ;   in Loop: Header=BB313_10 Depth=1
	s_or_b64 exec, exec, s[46:47]
	s_and_b64 vcc, vcc, exec
.LBB313_534:                            ;   in Loop: Header=BB313_10 Depth=1
	s_or_saveexec_b64 s[44:45], s[44:45]
	v_mov_b32_e32 v0, s48
	scratch_store_dword off, v0, s32 offset:452 ; 4-byte Folded Spill
	s_xor_b64 exec, exec, s[44:45]
	s_cbranch_execz .LBB313_536
; %bb.535:                              ;   in Loop: Header=BB313_10 Depth=1
	v_cmp_ne_u16_sdwa s[46:47], v12, v9 src0_sel:BYTE_0 src1_sel:DWORD
	s_andn2_b64 vcc, vcc, exec
	s_and_b64 s[46:47], s[46:47], exec
	v_mov_b32_e32 v0, 0
	s_or_b64 vcc, vcc, s[46:47]
	scratch_store_dword off, v0, s32 offset:452 ; 4-byte Folded Spill
.LBB313_536:                            ;   in Loop: Header=BB313_10 Depth=1
	s_or_b64 exec, exec, s[44:45]
	s_and_saveexec_b64 s[44:45], vcc
	s_cbranch_execz .LBB313_538
; %bb.537:                              ;   in Loop: Header=BB313_10 Depth=1
	v_and_b32_e32 v2, 7, v12
	v_ffbh_u32_e32 v0, v2
	v_min_u32_e32 v5, 32, v0
	v_subrev_u32_e32 v0, 28, v5
	v_bfe_u32 v3, v12, 3, 4
	v_lshlrev_b64 v[0:1], v0, v[12:13]
	v_sub_u32_e32 v1, 29, v5
	v_cmp_eq_u32_e32 vcc, 0, v3
	v_and_b32_e32 v0, 7, v0
	s_nop 0
	v_cndmask_b32_e32 v1, v3, v1, vcc
	v_cndmask_b32_e32 v0, v2, v0, vcc
	v_lshlrev_b32_e32 v2, 8, v12
	v_lshl_add_u32 v1, v1, 10, v32
	v_and_or_b32 v1, v2, s52, v1
	v_lshl_or_b32 v0, v0, 7, v1
	v_cvt_f32_f16_e32 v0, v0
	scratch_store_dword off, v0, s32 offset:452 ; 4-byte Folded Spill
.LBB313_538:                            ;   in Loop: Header=BB313_10 Depth=1
	s_or_b64 exec, exec, s[44:45]
	v_lshrrev_b16_e32 v8, 8, v12
	v_lshl_add_u64 v[38:39], v[36:37], 0, s[28:29]
	v_cmp_lt_i16_e32 vcc, s17, v8
	s_mov_b64 s[44:45], 0
                                        ; implicit-def: $sgpr53
	s_and_saveexec_b64 s[46:47], vcc
	s_xor_b64 s[46:47], exec, s[46:47]
	s_cbranch_execnz .LBB313_816
; %bb.539:                              ;   in Loop: Header=BB313_10 Depth=1
	s_or_saveexec_b64 s[46:47], s[46:47]
	v_mov_b32_e32 v13, s53
	s_xor_b64 exec, exec, s[46:47]
	s_cbranch_execnz .LBB313_819
.LBB313_540:                            ;   in Loop: Header=BB313_10 Depth=1
	s_or_b64 exec, exec, s[46:47]
	s_and_saveexec_b64 s[46:47], s[44:45]
	s_cbranch_execz .LBB313_542
.LBB313_541:                            ;   in Loop: Header=BB313_10 Depth=1
	v_and_b32_e32 v2, 7, v8
	v_ffbh_u32_e32 v0, v2
	v_min_u32_e32 v5, 32, v0
	v_subrev_u32_e32 v0, 28, v5
	v_bfe_u32 v3, v8, 3, 4
	v_lshlrev_b64 v[0:1], v0, v[8:9]
	v_sub_u32_e32 v1, 29, v5
	v_cmp_eq_u32_e32 vcc, 0, v3
	v_and_b32_e32 v0, 7, v0
	s_nop 0
	v_cndmask_b32_e32 v1, v3, v1, vcc
	v_cndmask_b32_e32 v0, v2, v0, vcc
	v_lshlrev_b32_e32 v2, 8, v8
	v_lshl_add_u32 v1, v1, 10, v32
	v_and_or_b32 v1, v2, s52, v1
	v_lshl_or_b32 v0, v0, 7, v1
	v_cvt_f32_f16_e32 v13, v0
.LBB313_542:                            ;   in Loop: Header=BB313_10 Depth=1
	s_or_b64 exec, exec, s[46:47]
	v_lshrrev_b32_e32 v8, 16, v12
	v_cmp_gt_i16_sdwa s[44:45], v8, s17 src0_sel:BYTE_0 src1_sel:DWORD
	s_mov_b64 vcc, 0
                                        ; implicit-def: $sgpr48
	s_and_saveexec_b64 s[46:47], s[44:45]
	s_xor_b64 s[44:45], exec, s[46:47]
	s_cbranch_execnz .LBB313_820
; %bb.543:                              ;   in Loop: Header=BB313_10 Depth=1
	s_or_saveexec_b64 s[44:45], s[44:45]
	v_mov_b32_e32 v44, s48
	s_xor_b64 exec, exec, s[44:45]
	s_cbranch_execnz .LBB313_823
.LBB313_544:                            ;   in Loop: Header=BB313_10 Depth=1
	s_or_b64 exec, exec, s[44:45]
	s_and_saveexec_b64 s[44:45], vcc
	s_cbranch_execz .LBB313_546
.LBB313_545:                            ;   in Loop: Header=BB313_10 Depth=1
	v_bfe_u32 v2, v12, 16, 3
	v_ffbh_u32_e32 v0, v2
	v_min_u32_e32 v5, 32, v0
	v_subrev_u32_e32 v0, 28, v5
	v_bfe_u32 v3, v12, 19, 4
	v_lshlrev_b64 v[0:1], v0, v[8:9]
	v_sub_u32_e32 v1, 29, v5
	v_cmp_eq_u32_e32 vcc, 0, v3
	v_and_b32_e32 v0, 7, v0
	s_nop 0
	v_cndmask_b32_e32 v1, v3, v1, vcc
	v_cndmask_b32_e32 v0, v2, v0, vcc
	v_lshlrev_b32_e32 v2, 8, v8
	v_lshl_add_u32 v1, v1, 10, v32
	v_and_or_b32 v1, v2, s52, v1
	v_lshl_or_b32 v0, v0, 7, v1
	v_cvt_f32_f16_e32 v44, v0
.LBB313_546:                            ;   in Loop: Header=BB313_10 Depth=1
	s_or_b64 exec, exec, s[44:45]
	v_lshrrev_b32_e32 v8, 24, v12
	v_cmp_lt_i16_e32 vcc, s17, v8
	s_mov_b64 s[44:45], 0
                                        ; implicit-def: $sgpr53
	s_and_saveexec_b64 s[46:47], vcc
	s_xor_b64 s[46:47], exec, s[46:47]
	s_cbranch_execnz .LBB313_824
; %bb.547:                              ;   in Loop: Header=BB313_10 Depth=1
	s_or_saveexec_b64 s[46:47], s[46:47]
	v_mov_b32_e32 v17, s53
	s_xor_b64 exec, exec, s[46:47]
	s_cbranch_execnz .LBB313_827
.LBB313_548:                            ;   in Loop: Header=BB313_10 Depth=1
	s_or_b64 exec, exec, s[46:47]
	s_and_saveexec_b64 s[46:47], s[44:45]
	s_cbranch_execz .LBB313_550
.LBB313_549:                            ;   in Loop: Header=BB313_10 Depth=1
	v_bfe_u32 v2, v12, 24, 3
	v_ffbh_u32_e32 v0, v2
	v_min_u32_e32 v5, 32, v0
	v_subrev_u32_e32 v0, 28, v5
	v_bfe_u32 v3, v12, 27, 4
	v_lshlrev_b64 v[0:1], v0, v[8:9]
	v_sub_u32_e32 v1, 29, v5
	v_cmp_eq_u32_e32 vcc, 0, v3
	v_and_b32_e32 v0, 7, v0
	s_nop 0
	v_cndmask_b32_e32 v1, v3, v1, vcc
	v_cndmask_b32_e32 v0, v2, v0, vcc
	v_lshlrev_b32_e32 v2, 8, v8
	v_lshl_add_u32 v1, v1, 10, v32
	v_and_or_b32 v1, v2, s52, v1
	v_lshl_or_b32 v0, v0, 7, v1
	v_cvt_f32_f16_e32 v17, v0
.LBB313_550:                            ;   in Loop: Header=BB313_10 Depth=1
	s_or_b64 exec, exec, s[46:47]
	flat_load_dword v12, v[38:39] offset:8
	s_mov_b64 vcc, 0
                                        ; implicit-def: $sgpr48
	s_waitcnt vmcnt(0) lgkmcnt(0)
	v_cmp_gt_i16_sdwa s[44:45], v12, s17 src0_sel:BYTE_0 src1_sel:DWORD
	s_and_saveexec_b64 s[46:47], s[44:45]
	s_xor_b64 s[44:45], exec, s[46:47]
	s_cbranch_execnz .LBB313_828
; %bb.551:                              ;   in Loop: Header=BB313_10 Depth=1
	s_or_saveexec_b64 s[44:45], s[44:45]
	v_mov_b32_e32 v15, s48
	s_xor_b64 exec, exec, s[44:45]
	s_cbranch_execnz .LBB313_831
.LBB313_552:                            ;   in Loop: Header=BB313_10 Depth=1
	s_or_b64 exec, exec, s[44:45]
	s_and_saveexec_b64 s[44:45], vcc
	s_cbranch_execz .LBB313_554
.LBB313_553:                            ;   in Loop: Header=BB313_10 Depth=1
	v_and_b32_e32 v2, 7, v12
	v_ffbh_u32_e32 v0, v2
	v_min_u32_e32 v5, 32, v0
	v_subrev_u32_e32 v0, 28, v5
	v_bfe_u32 v3, v12, 3, 4
	v_lshlrev_b64 v[0:1], v0, v[12:13]
	v_sub_u32_e32 v1, 29, v5
	v_cmp_eq_u32_e32 vcc, 0, v3
	v_and_b32_e32 v0, 7, v0
	s_nop 0
	v_cndmask_b32_e32 v1, v3, v1, vcc
	v_cndmask_b32_e32 v0, v2, v0, vcc
	v_lshlrev_b32_e32 v2, 8, v12
	v_lshl_add_u32 v1, v1, 10, v32
	v_and_or_b32 v1, v2, s52, v1
	v_lshl_or_b32 v0, v0, 7, v1
	v_cvt_f32_f16_e32 v15, v0
.LBB313_554:                            ;   in Loop: Header=BB313_10 Depth=1
	s_or_b64 exec, exec, s[44:45]
	v_lshrrev_b16_e32 v8, 8, v12
	v_cmp_lt_i16_e32 vcc, s17, v8
	s_mov_b64 s[44:45], 0
                                        ; implicit-def: $sgpr53
	s_and_saveexec_b64 s[46:47], vcc
	s_xor_b64 s[46:47], exec, s[46:47]
	s_cbranch_execnz .LBB313_832
; %bb.555:                              ;   in Loop: Header=BB313_10 Depth=1
	s_or_saveexec_b64 s[46:47], s[46:47]
	v_mov_b32_e32 v14, s53
	s_xor_b64 exec, exec, s[46:47]
	s_cbranch_execnz .LBB313_835
.LBB313_556:                            ;   in Loop: Header=BB313_10 Depth=1
	s_or_b64 exec, exec, s[46:47]
	s_and_saveexec_b64 s[46:47], s[44:45]
	s_cbranch_execz .LBB313_558
.LBB313_557:                            ;   in Loop: Header=BB313_10 Depth=1
	v_and_b32_e32 v2, 7, v8
	v_ffbh_u32_e32 v0, v2
	v_min_u32_e32 v5, 32, v0
	v_subrev_u32_e32 v0, 28, v5
	v_bfe_u32 v3, v8, 3, 4
	v_lshlrev_b64 v[0:1], v0, v[8:9]
	v_sub_u32_e32 v1, 29, v5
	v_cmp_eq_u32_e32 vcc, 0, v3
	v_and_b32_e32 v0, 7, v0
	s_nop 0
	v_cndmask_b32_e32 v1, v3, v1, vcc
	v_cndmask_b32_e32 v0, v2, v0, vcc
	v_lshlrev_b32_e32 v2, 8, v8
	v_lshl_add_u32 v1, v1, 10, v32
	v_and_or_b32 v1, v2, s52, v1
	v_lshl_or_b32 v0, v0, 7, v1
	v_cvt_f32_f16_e32 v14, v0
.LBB313_558:                            ;   in Loop: Header=BB313_10 Depth=1
	s_or_b64 exec, exec, s[46:47]
	v_lshrrev_b32_e32 v8, 16, v12
	v_cmp_gt_i16_sdwa s[44:45], v8, s17 src0_sel:BYTE_0 src1_sel:DWORD
	s_mov_b64 vcc, 0
                                        ; implicit-def: $sgpr48
	s_and_saveexec_b64 s[46:47], s[44:45]
	s_xor_b64 s[44:45], exec, s[46:47]
	s_cbranch_execnz .LBB313_836
; %bb.559:                              ;   in Loop: Header=BB313_10 Depth=1
	s_or_saveexec_b64 s[44:45], s[44:45]
	v_mov_b32_e32 v23, s48
	s_xor_b64 exec, exec, s[44:45]
	s_cbranch_execnz .LBB313_839
.LBB313_560:                            ;   in Loop: Header=BB313_10 Depth=1
	s_or_b64 exec, exec, s[44:45]
	s_and_saveexec_b64 s[44:45], vcc
	s_cbranch_execz .LBB313_562
.LBB313_561:                            ;   in Loop: Header=BB313_10 Depth=1
	v_bfe_u32 v2, v12, 16, 3
	v_ffbh_u32_e32 v0, v2
	v_min_u32_e32 v5, 32, v0
	v_subrev_u32_e32 v0, 28, v5
	v_bfe_u32 v3, v12, 19, 4
	v_lshlrev_b64 v[0:1], v0, v[8:9]
	v_sub_u32_e32 v1, 29, v5
	v_cmp_eq_u32_e32 vcc, 0, v3
	v_and_b32_e32 v0, 7, v0
	s_nop 0
	v_cndmask_b32_e32 v1, v3, v1, vcc
	v_cndmask_b32_e32 v0, v2, v0, vcc
	v_lshlrev_b32_e32 v2, 8, v8
	v_lshl_add_u32 v1, v1, 10, v32
	v_and_or_b32 v1, v2, s52, v1
	v_lshl_or_b32 v0, v0, 7, v1
	v_cvt_f32_f16_e32 v23, v0
.LBB313_562:                            ;   in Loop: Header=BB313_10 Depth=1
	s_or_b64 exec, exec, s[44:45]
	v_lshrrev_b32_e32 v8, 24, v12
	v_cmp_lt_i16_e32 vcc, s17, v8
	s_mov_b64 s[44:45], 0
                                        ; implicit-def: $sgpr53
	s_and_saveexec_b64 s[46:47], vcc
	s_xor_b64 s[46:47], exec, s[46:47]
	s_cbranch_execnz .LBB313_840
; %bb.563:                              ;   in Loop: Header=BB313_10 Depth=1
	s_or_saveexec_b64 s[46:47], s[46:47]
	v_mov_b32_e32 v2, s53
	s_xor_b64 exec, exec, s[46:47]
	s_cbranch_execnz .LBB313_843
.LBB313_564:                            ;   in Loop: Header=BB313_10 Depth=1
	s_or_b64 exec, exec, s[46:47]
	s_and_saveexec_b64 s[46:47], s[44:45]
	s_cbranch_execz .LBB313_566
.LBB313_565:                            ;   in Loop: Header=BB313_10 Depth=1
	v_bfe_u32 v2, v12, 24, 3
	v_ffbh_u32_e32 v0, v2
	v_min_u32_e32 v5, 32, v0
	v_subrev_u32_e32 v0, 28, v5
	v_bfe_u32 v3, v12, 27, 4
	v_lshlrev_b64 v[0:1], v0, v[8:9]
	v_sub_u32_e32 v1, 29, v5
	v_cmp_eq_u32_e32 vcc, 0, v3
	v_and_b32_e32 v0, 7, v0
	s_nop 0
	v_cndmask_b32_e32 v1, v3, v1, vcc
	v_cndmask_b32_e32 v0, v2, v0, vcc
	v_lshlrev_b32_e32 v2, 8, v8
	v_lshl_add_u32 v1, v1, 10, v32
	v_and_or_b32 v1, v2, s52, v1
	v_lshl_or_b32 v0, v0, 7, v1
	v_cvt_f32_f16_e32 v2, v0
.LBB313_566:                            ;   in Loop: Header=BB313_10 Depth=1
	s_or_b64 exec, exec, s[46:47]
	v_add_co_u32_e32 v0, vcc, 0x1000, v36
                                        ; implicit-def: $sgpr48
	s_nop 1
	v_addc_co_u32_e32 v1, vcc, 0, v37, vcc
	flat_load_dword v12, v[0:1] offset:1024
	s_mov_b64 vcc, 0
	s_waitcnt vmcnt(0) lgkmcnt(0)
	v_cmp_gt_i16_sdwa s[44:45], v12, s17 src0_sel:BYTE_0 src1_sel:DWORD
	s_and_saveexec_b64 s[46:47], s[44:45]
	s_xor_b64 s[44:45], exec, s[46:47]
	s_cbranch_execnz .LBB313_844
; %bb.567:                              ;   in Loop: Header=BB313_10 Depth=1
	s_or_saveexec_b64 s[44:45], s[44:45]
	v_mov_b32_e32 v57, s48
	s_xor_b64 exec, exec, s[44:45]
	s_cbranch_execnz .LBB313_847
.LBB313_568:                            ;   in Loop: Header=BB313_10 Depth=1
	s_or_b64 exec, exec, s[44:45]
	s_and_saveexec_b64 s[44:45], vcc
	s_cbranch_execz .LBB313_570
.LBB313_569:                            ;   in Loop: Header=BB313_10 Depth=1
	v_and_b32_e32 v3, 7, v12
	v_ffbh_u32_e32 v0, v3
	v_min_u32_e32 v6, 32, v0
	v_subrev_u32_e32 v0, 28, v6
	v_bfe_u32 v5, v12, 3, 4
	v_lshlrev_b64 v[0:1], v0, v[12:13]
	v_sub_u32_e32 v1, 29, v6
	v_cmp_eq_u32_e32 vcc, 0, v5
	v_and_b32_e32 v0, 7, v0
	s_nop 0
	v_cndmask_b32_e32 v1, v5, v1, vcc
	v_cndmask_b32_e32 v0, v3, v0, vcc
	v_lshlrev_b32_e32 v3, 8, v12
	v_lshl_add_u32 v1, v1, 10, v32
	v_and_or_b32 v1, v3, s52, v1
	v_lshl_or_b32 v0, v0, 7, v1
	v_cvt_f32_f16_e32 v57, v0
.LBB313_570:                            ;   in Loop: Header=BB313_10 Depth=1
	s_or_b64 exec, exec, s[44:45]
	v_lshrrev_b16_e32 v8, 8, v12
	v_lshl_add_u64 v[38:39], v[36:37], 0, s[30:31]
	v_cmp_lt_i16_e32 vcc, s17, v8
	s_mov_b64 s[44:45], 0
                                        ; implicit-def: $sgpr53
	s_and_saveexec_b64 s[46:47], vcc
	s_xor_b64 s[46:47], exec, s[46:47]
	s_cbranch_execnz .LBB313_848
; %bb.571:                              ;   in Loop: Header=BB313_10 Depth=1
	s_or_saveexec_b64 s[46:47], s[46:47]
	v_mov_b32_e32 v24, s53
	s_xor_b64 exec, exec, s[46:47]
	s_cbranch_execnz .LBB313_851
.LBB313_572:                            ;   in Loop: Header=BB313_10 Depth=1
	s_or_b64 exec, exec, s[46:47]
	s_and_saveexec_b64 s[46:47], s[44:45]
	s_cbranch_execz .LBB313_574
.LBB313_573:                            ;   in Loop: Header=BB313_10 Depth=1
	v_and_b32_e32 v3, 7, v8
	v_ffbh_u32_e32 v0, v3
	v_min_u32_e32 v6, 32, v0
	v_subrev_u32_e32 v0, 28, v6
	v_bfe_u32 v5, v8, 3, 4
	v_lshlrev_b64 v[0:1], v0, v[8:9]
	v_sub_u32_e32 v1, 29, v6
	v_cmp_eq_u32_e32 vcc, 0, v5
	v_and_b32_e32 v0, 7, v0
	s_nop 0
	v_cndmask_b32_e32 v1, v5, v1, vcc
	v_cndmask_b32_e32 v0, v3, v0, vcc
	v_lshlrev_b32_e32 v3, 8, v8
	v_lshl_add_u32 v1, v1, 10, v32
	v_and_or_b32 v1, v3, s52, v1
	v_lshl_or_b32 v0, v0, 7, v1
	v_cvt_f32_f16_e32 v24, v0
.LBB313_574:                            ;   in Loop: Header=BB313_10 Depth=1
	s_or_b64 exec, exec, s[46:47]
	v_lshrrev_b32_e32 v8, 16, v12
	v_cmp_gt_i16_sdwa s[44:45], v8, s17 src0_sel:BYTE_0 src1_sel:DWORD
	s_mov_b64 vcc, 0
                                        ; implicit-def: $sgpr48
	s_and_saveexec_b64 s[46:47], s[44:45]
	s_xor_b64 s[44:45], exec, s[46:47]
	s_cbranch_execnz .LBB313_852
; %bb.575:                              ;   in Loop: Header=BB313_10 Depth=1
	s_or_saveexec_b64 s[44:45], s[44:45]
	v_mov_b32_e32 v30, s48
	s_xor_b64 exec, exec, s[44:45]
	s_cbranch_execnz .LBB313_855
.LBB313_576:                            ;   in Loop: Header=BB313_10 Depth=1
	s_or_b64 exec, exec, s[44:45]
	s_and_saveexec_b64 s[44:45], vcc
	s_cbranch_execz .LBB313_578
.LBB313_577:                            ;   in Loop: Header=BB313_10 Depth=1
	v_bfe_u32 v3, v12, 16, 3
	v_ffbh_u32_e32 v0, v3
	v_min_u32_e32 v6, 32, v0
	v_subrev_u32_e32 v0, 28, v6
	v_bfe_u32 v5, v12, 19, 4
	v_lshlrev_b64 v[0:1], v0, v[8:9]
	v_sub_u32_e32 v1, 29, v6
	v_cmp_eq_u32_e32 vcc, 0, v5
	v_and_b32_e32 v0, 7, v0
	s_nop 0
	v_cndmask_b32_e32 v1, v5, v1, vcc
	v_cndmask_b32_e32 v0, v3, v0, vcc
	v_lshlrev_b32_e32 v3, 8, v8
	v_lshl_add_u32 v1, v1, 10, v32
	v_and_or_b32 v1, v3, s52, v1
	v_lshl_or_b32 v0, v0, 7, v1
	v_cvt_f32_f16_e32 v30, v0
.LBB313_578:                            ;   in Loop: Header=BB313_10 Depth=1
	s_or_b64 exec, exec, s[44:45]
	v_lshrrev_b32_e32 v8, 24, v12
	v_cmp_lt_i16_e32 vcc, s17, v8
	s_mov_b64 s[44:45], 0
                                        ; implicit-def: $sgpr53
	s_and_saveexec_b64 s[46:47], vcc
	s_xor_b64 s[46:47], exec, s[46:47]
	s_cbranch_execnz .LBB313_856
; %bb.579:                              ;   in Loop: Header=BB313_10 Depth=1
	s_or_saveexec_b64 s[46:47], s[46:47]
	v_mov_b32_e32 v62, s53
	s_xor_b64 exec, exec, s[46:47]
	s_cbranch_execnz .LBB313_859
.LBB313_580:                            ;   in Loop: Header=BB313_10 Depth=1
	s_or_b64 exec, exec, s[46:47]
	s_and_saveexec_b64 s[46:47], s[44:45]
	s_cbranch_execz .LBB313_582
.LBB313_581:                            ;   in Loop: Header=BB313_10 Depth=1
	v_bfe_u32 v3, v12, 24, 3
	v_ffbh_u32_e32 v0, v3
	v_min_u32_e32 v6, 32, v0
	v_subrev_u32_e32 v0, 28, v6
	v_bfe_u32 v5, v12, 27, 4
	v_lshlrev_b64 v[0:1], v0, v[8:9]
	v_sub_u32_e32 v1, 29, v6
	v_cmp_eq_u32_e32 vcc, 0, v5
	v_and_b32_e32 v0, 7, v0
	s_nop 0
	v_cndmask_b32_e32 v1, v5, v1, vcc
	v_cndmask_b32_e32 v0, v3, v0, vcc
	v_lshlrev_b32_e32 v3, 8, v8
	v_lshl_add_u32 v1, v1, 10, v32
	v_and_or_b32 v1, v3, s52, v1
	v_lshl_or_b32 v0, v0, 7, v1
	v_cvt_f32_f16_e32 v62, v0
.LBB313_582:                            ;   in Loop: Header=BB313_10 Depth=1
	s_or_b64 exec, exec, s[46:47]
	flat_load_dword v12, v[38:39] offset:8
	s_mov_b64 vcc, 0
                                        ; implicit-def: $sgpr48
	s_waitcnt vmcnt(0) lgkmcnt(0)
	v_cmp_gt_i16_sdwa s[44:45], v12, s17 src0_sel:BYTE_0 src1_sel:DWORD
	s_and_saveexec_b64 s[46:47], s[44:45]
	s_xor_b64 s[44:45], exec, s[46:47]
	s_cbranch_execnz .LBB313_860
; %bb.583:                              ;   in Loop: Header=BB313_10 Depth=1
	s_or_saveexec_b64 s[44:45], s[44:45]
	v_mov_b32_e32 v5, s48
	s_xor_b64 exec, exec, s[44:45]
	s_cbranch_execnz .LBB313_863
.LBB313_584:                            ;   in Loop: Header=BB313_10 Depth=1
	s_or_b64 exec, exec, s[44:45]
	s_and_saveexec_b64 s[44:45], vcc
	s_cbranch_execz .LBB313_586
.LBB313_585:                            ;   in Loop: Header=BB313_10 Depth=1
	v_and_b32_e32 v3, 7, v12
	v_ffbh_u32_e32 v0, v3
	v_min_u32_e32 v6, 32, v0
	v_subrev_u32_e32 v0, 28, v6
	v_bfe_u32 v5, v12, 3, 4
	v_lshlrev_b64 v[0:1], v0, v[12:13]
	v_sub_u32_e32 v1, 29, v6
	v_cmp_eq_u32_e32 vcc, 0, v5
	v_and_b32_e32 v0, 7, v0
	s_nop 0
	v_cndmask_b32_e32 v1, v5, v1, vcc
	v_cndmask_b32_e32 v0, v3, v0, vcc
	v_lshlrev_b32_e32 v3, 8, v12
	v_lshl_add_u32 v1, v1, 10, v32
	v_and_or_b32 v1, v3, s52, v1
	v_lshl_or_b32 v0, v0, 7, v1
	v_cvt_f32_f16_e32 v5, v0
.LBB313_586:                            ;   in Loop: Header=BB313_10 Depth=1
	s_or_b64 exec, exec, s[44:45]
	v_lshrrev_b16_e32 v8, 8, v12
	v_cmp_lt_i16_e32 vcc, s17, v8
	s_mov_b64 s[44:45], 0
                                        ; implicit-def: $sgpr53
	s_and_saveexec_b64 s[46:47], vcc
	s_xor_b64 s[46:47], exec, s[46:47]
	s_cbranch_execnz .LBB313_864
; %bb.587:                              ;   in Loop: Header=BB313_10 Depth=1
	s_or_saveexec_b64 s[46:47], s[46:47]
	v_mov_b32_e32 v41, s53
	s_xor_b64 exec, exec, s[46:47]
	s_cbranch_execnz .LBB313_867
.LBB313_588:                            ;   in Loop: Header=BB313_10 Depth=1
	s_or_b64 exec, exec, s[46:47]
	s_and_saveexec_b64 s[46:47], s[44:45]
	s_cbranch_execz .LBB313_590
.LBB313_589:                            ;   in Loop: Header=BB313_10 Depth=1
	v_and_b32_e32 v3, 7, v8
	v_ffbh_u32_e32 v0, v3
	v_min_u32_e32 v7, 32, v0
	v_subrev_u32_e32 v0, 28, v7
	v_bfe_u32 v6, v8, 3, 4
	v_lshlrev_b64 v[0:1], v0, v[8:9]
	v_sub_u32_e32 v1, 29, v7
	v_cmp_eq_u32_e32 vcc, 0, v6
	v_and_b32_e32 v0, 7, v0
	s_nop 0
	v_cndmask_b32_e32 v1, v6, v1, vcc
	v_cndmask_b32_e32 v0, v3, v0, vcc
	v_lshlrev_b32_e32 v3, 8, v8
	v_lshl_add_u32 v1, v1, 10, v32
	v_and_or_b32 v1, v3, s52, v1
	v_lshl_or_b32 v0, v0, 7, v1
	v_cvt_f32_f16_e32 v41, v0
.LBB313_590:                            ;   in Loop: Header=BB313_10 Depth=1
	s_or_b64 exec, exec, s[46:47]
	v_lshrrev_b32_e32 v8, 16, v12
	v_cmp_gt_i16_sdwa s[44:45], v8, s17 src0_sel:BYTE_0 src1_sel:DWORD
	s_mov_b64 vcc, 0
                                        ; implicit-def: $sgpr48
	s_and_saveexec_b64 s[46:47], s[44:45]
	s_xor_b64 s[44:45], exec, s[46:47]
	s_cbranch_execnz .LBB313_868
; %bb.591:                              ;   in Loop: Header=BB313_10 Depth=1
	s_or_saveexec_b64 s[44:45], s[44:45]
	v_mov_b32_e32 v53, s48
	s_xor_b64 exec, exec, s[44:45]
	s_cbranch_execnz .LBB313_871
.LBB313_592:                            ;   in Loop: Header=BB313_10 Depth=1
	s_or_b64 exec, exec, s[44:45]
	s_and_saveexec_b64 s[44:45], vcc
	s_cbranch_execz .LBB313_594
.LBB313_593:                            ;   in Loop: Header=BB313_10 Depth=1
	v_bfe_u32 v3, v12, 16, 3
	v_ffbh_u32_e32 v0, v3
	v_min_u32_e32 v7, 32, v0
	v_subrev_u32_e32 v0, 28, v7
	v_bfe_u32 v6, v12, 19, 4
	v_lshlrev_b64 v[0:1], v0, v[8:9]
	v_sub_u32_e32 v1, 29, v7
	v_cmp_eq_u32_e32 vcc, 0, v6
	v_and_b32_e32 v0, 7, v0
	s_nop 0
	v_cndmask_b32_e32 v1, v6, v1, vcc
	v_cndmask_b32_e32 v0, v3, v0, vcc
	v_lshlrev_b32_e32 v3, 8, v8
	v_lshl_add_u32 v1, v1, 10, v32
	v_and_or_b32 v1, v3, s52, v1
	v_lshl_or_b32 v0, v0, 7, v1
	v_cvt_f32_f16_e32 v53, v0
.LBB313_594:                            ;   in Loop: Header=BB313_10 Depth=1
	s_or_b64 exec, exec, s[44:45]
	v_lshrrev_b32_e32 v8, 24, v12
	v_cmp_lt_i16_e32 vcc, s17, v8
	s_mov_b64 s[44:45], 0
                                        ; implicit-def: $sgpr53
	s_and_saveexec_b64 s[46:47], vcc
	s_xor_b64 s[46:47], exec, s[46:47]
	s_cbranch_execnz .LBB313_872
; %bb.595:                              ;   in Loop: Header=BB313_10 Depth=1
	s_or_saveexec_b64 s[46:47], s[46:47]
	v_mov_b32_e32 v48, s53
	s_xor_b64 exec, exec, s[46:47]
	s_cbranch_execnz .LBB313_875
.LBB313_596:                            ;   in Loop: Header=BB313_10 Depth=1
	s_or_b64 exec, exec, s[46:47]
	s_and_saveexec_b64 s[46:47], s[44:45]
	s_cbranch_execz .LBB313_598
.LBB313_597:                            ;   in Loop: Header=BB313_10 Depth=1
	v_bfe_u32 v3, v12, 24, 3
	v_ffbh_u32_e32 v0, v3
	v_min_u32_e32 v7, 32, v0
	v_subrev_u32_e32 v0, 28, v7
	v_bfe_u32 v6, v12, 27, 4
	v_lshlrev_b64 v[0:1], v0, v[8:9]
	v_sub_u32_e32 v1, 29, v7
	v_cmp_eq_u32_e32 vcc, 0, v6
	v_and_b32_e32 v0, 7, v0
	s_nop 0
	v_cndmask_b32_e32 v1, v6, v1, vcc
	v_cndmask_b32_e32 v0, v3, v0, vcc
	v_lshlrev_b32_e32 v3, 8, v8
	v_lshl_add_u32 v1, v1, 10, v32
	v_and_or_b32 v1, v3, s52, v1
	v_lshl_or_b32 v0, v0, 7, v1
	v_cvt_f32_f16_e32 v48, v0
.LBB313_598:                            ;   in Loop: Header=BB313_10 Depth=1
	s_or_b64 exec, exec, s[46:47]
	v_add_co_u32_e32 v0, vcc, 0x1000, v36
                                        ; implicit-def: $sgpr48
	s_nop 1
	v_addc_co_u32_e32 v1, vcc, 0, v37, vcc
	flat_load_dword v12, v[0:1] offset:1536
	s_mov_b64 vcc, 0
	s_waitcnt vmcnt(0) lgkmcnt(0)
	v_cmp_gt_i16_sdwa s[44:45], v12, s17 src0_sel:BYTE_0 src1_sel:DWORD
	s_and_saveexec_b64 s[46:47], s[44:45]
	s_xor_b64 s[44:45], exec, s[46:47]
	s_cbranch_execnz .LBB313_876
; %bb.599:                              ;   in Loop: Header=BB313_10 Depth=1
	s_or_saveexec_b64 s[44:45], s[44:45]
	v_mov_b32_e32 v43, s48
	s_xor_b64 exec, exec, s[44:45]
	s_cbranch_execnz .LBB313_879
.LBB313_600:                            ;   in Loop: Header=BB313_10 Depth=1
	s_or_b64 exec, exec, s[44:45]
	s_and_saveexec_b64 s[44:45], vcc
	s_cbranch_execz .LBB313_602
.LBB313_601:                            ;   in Loop: Header=BB313_10 Depth=1
	v_and_b32_e32 v3, 7, v12
	v_ffbh_u32_e32 v0, v3
	v_min_u32_e32 v7, 32, v0
	v_subrev_u32_e32 v0, 28, v7
	v_bfe_u32 v6, v12, 3, 4
	v_lshlrev_b64 v[0:1], v0, v[12:13]
	v_sub_u32_e32 v1, 29, v7
	v_cmp_eq_u32_e32 vcc, 0, v6
	v_and_b32_e32 v0, 7, v0
	s_nop 0
	v_cndmask_b32_e32 v1, v6, v1, vcc
	v_cndmask_b32_e32 v0, v3, v0, vcc
	v_lshlrev_b32_e32 v3, 8, v12
	v_lshl_add_u32 v1, v1, 10, v32
	v_and_or_b32 v1, v3, s52, v1
	v_lshl_or_b32 v0, v0, 7, v1
	v_cvt_f32_f16_e32 v43, v0
.LBB313_602:                            ;   in Loop: Header=BB313_10 Depth=1
	s_or_b64 exec, exec, s[44:45]
	v_lshrrev_b16_e32 v8, 8, v12
	v_lshl_add_u64 v[38:39], v[36:37], 0, s[34:35]
	v_cmp_lt_i16_e32 vcc, s17, v8
	s_mov_b64 s[44:45], 0
                                        ; implicit-def: $sgpr53
	s_and_saveexec_b64 s[46:47], vcc
	s_xor_b64 s[46:47], exec, s[46:47]
	s_cbranch_execnz .LBB313_880
; %bb.603:                              ;   in Loop: Header=BB313_10 Depth=1
	s_or_saveexec_b64 s[46:47], s[46:47]
	v_mov_b32_e32 v21, s53
	s_xor_b64 exec, exec, s[46:47]
	s_cbranch_execnz .LBB313_883
.LBB313_604:                            ;   in Loop: Header=BB313_10 Depth=1
	s_or_b64 exec, exec, s[46:47]
	s_and_saveexec_b64 s[46:47], s[44:45]
	s_cbranch_execz .LBB313_606
.LBB313_605:                            ;   in Loop: Header=BB313_10 Depth=1
	v_and_b32_e32 v3, 7, v8
	v_ffbh_u32_e32 v0, v3
	v_min_u32_e32 v7, 32, v0
	v_subrev_u32_e32 v0, 28, v7
	v_bfe_u32 v6, v8, 3, 4
	v_lshlrev_b64 v[0:1], v0, v[8:9]
	v_sub_u32_e32 v1, 29, v7
	v_cmp_eq_u32_e32 vcc, 0, v6
	v_and_b32_e32 v0, 7, v0
	s_nop 0
	v_cndmask_b32_e32 v1, v6, v1, vcc
	v_cndmask_b32_e32 v0, v3, v0, vcc
	v_lshlrev_b32_e32 v3, 8, v8
	v_lshl_add_u32 v1, v1, 10, v32
	v_and_or_b32 v1, v3, s52, v1
	v_lshl_or_b32 v0, v0, 7, v1
	v_cvt_f32_f16_e32 v21, v0
.LBB313_606:                            ;   in Loop: Header=BB313_10 Depth=1
	s_or_b64 exec, exec, s[46:47]
	v_lshrrev_b32_e32 v8, 16, v12
	v_cmp_gt_i16_sdwa s[44:45], v8, s17 src0_sel:BYTE_0 src1_sel:DWORD
	s_mov_b64 vcc, 0
                                        ; implicit-def: $sgpr48
	s_and_saveexec_b64 s[46:47], s[44:45]
	s_xor_b64 s[44:45], exec, s[46:47]
	s_cbranch_execnz .LBB313_884
; %bb.607:                              ;   in Loop: Header=BB313_10 Depth=1
	s_or_saveexec_b64 s[44:45], s[44:45]
	v_mov_b32_e32 v58, s48
	s_xor_b64 exec, exec, s[44:45]
	s_cbranch_execnz .LBB313_887
.LBB313_608:                            ;   in Loop: Header=BB313_10 Depth=1
	s_or_b64 exec, exec, s[44:45]
	s_and_saveexec_b64 s[44:45], vcc
	s_cbranch_execz .LBB313_610
.LBB313_609:                            ;   in Loop: Header=BB313_10 Depth=1
	v_bfe_u32 v3, v12, 16, 3
	v_ffbh_u32_e32 v0, v3
	v_min_u32_e32 v7, 32, v0
	v_subrev_u32_e32 v0, 28, v7
	v_bfe_u32 v6, v12, 19, 4
	v_lshlrev_b64 v[0:1], v0, v[8:9]
	v_sub_u32_e32 v1, 29, v7
	v_cmp_eq_u32_e32 vcc, 0, v6
	v_and_b32_e32 v0, 7, v0
	s_nop 0
	v_cndmask_b32_e32 v1, v6, v1, vcc
	v_cndmask_b32_e32 v0, v3, v0, vcc
	v_lshlrev_b32_e32 v3, 8, v8
	v_lshl_add_u32 v1, v1, 10, v32
	v_and_or_b32 v1, v3, s52, v1
	v_lshl_or_b32 v0, v0, 7, v1
	v_cvt_f32_f16_e32 v58, v0
.LBB313_610:                            ;   in Loop: Header=BB313_10 Depth=1
	s_or_b64 exec, exec, s[44:45]
	v_lshrrev_b32_e32 v8, 24, v12
	v_cmp_lt_i16_e32 vcc, s17, v8
	s_mov_b64 s[44:45], 0
                                        ; implicit-def: $sgpr53
	s_and_saveexec_b64 s[46:47], vcc
	s_xor_b64 s[46:47], exec, s[46:47]
	s_cbranch_execnz .LBB313_888
; %bb.611:                              ;   in Loop: Header=BB313_10 Depth=1
	s_or_saveexec_b64 s[46:47], s[46:47]
	v_mov_b32_e32 v33, s53
	s_xor_b64 exec, exec, s[46:47]
	s_cbranch_execnz .LBB313_891
.LBB313_612:                            ;   in Loop: Header=BB313_10 Depth=1
	s_or_b64 exec, exec, s[46:47]
	s_and_saveexec_b64 s[46:47], s[44:45]
	s_cbranch_execz .LBB313_614
.LBB313_613:                            ;   in Loop: Header=BB313_10 Depth=1
	v_bfe_u32 v3, v12, 24, 3
	v_ffbh_u32_e32 v0, v3
	v_min_u32_e32 v7, 32, v0
	v_subrev_u32_e32 v0, 28, v7
	v_bfe_u32 v6, v12, 27, 4
	v_lshlrev_b64 v[0:1], v0, v[8:9]
	v_sub_u32_e32 v1, 29, v7
	v_cmp_eq_u32_e32 vcc, 0, v6
	v_and_b32_e32 v0, 7, v0
	s_nop 0
	v_cndmask_b32_e32 v1, v6, v1, vcc
	v_cndmask_b32_e32 v0, v3, v0, vcc
	v_lshlrev_b32_e32 v3, 8, v8
	v_lshl_add_u32 v1, v1, 10, v32
	v_and_or_b32 v1, v3, s52, v1
	v_lshl_or_b32 v0, v0, 7, v1
	v_cvt_f32_f16_e32 v33, v0
.LBB313_614:                            ;   in Loop: Header=BB313_10 Depth=1
	s_or_b64 exec, exec, s[46:47]
	flat_load_dword v12, v[38:39] offset:8
	s_mov_b64 vcc, 0
                                        ; implicit-def: $sgpr48
	s_waitcnt vmcnt(0) lgkmcnt(0)
	v_cmp_gt_i16_sdwa s[44:45], v12, s17 src0_sel:BYTE_0 src1_sel:DWORD
	s_and_saveexec_b64 s[46:47], s[44:45]
	s_xor_b64 s[44:45], exec, s[46:47]
	s_cbranch_execnz .LBB313_892
; %bb.615:                              ;   in Loop: Header=BB313_10 Depth=1
	s_or_saveexec_b64 s[44:45], s[44:45]
	v_mov_b32_e32 v26, s48
	s_xor_b64 exec, exec, s[44:45]
	s_cbranch_execnz .LBB313_895
.LBB313_616:                            ;   in Loop: Header=BB313_10 Depth=1
	s_or_b64 exec, exec, s[44:45]
	s_and_saveexec_b64 s[44:45], vcc
	s_cbranch_execz .LBB313_618
.LBB313_617:                            ;   in Loop: Header=BB313_10 Depth=1
	v_and_b32_e32 v3, 7, v12
	v_ffbh_u32_e32 v0, v3
	v_min_u32_e32 v7, 32, v0
	v_subrev_u32_e32 v0, 28, v7
	v_bfe_u32 v6, v12, 3, 4
	v_lshlrev_b64 v[0:1], v0, v[12:13]
	v_sub_u32_e32 v1, 29, v7
	v_cmp_eq_u32_e32 vcc, 0, v6
	v_and_b32_e32 v0, 7, v0
	s_nop 0
	v_cndmask_b32_e32 v1, v6, v1, vcc
	v_cndmask_b32_e32 v0, v3, v0, vcc
	v_lshlrev_b32_e32 v3, 8, v12
	v_lshl_add_u32 v1, v1, 10, v32
	v_and_or_b32 v1, v3, s52, v1
	v_lshl_or_b32 v0, v0, 7, v1
	v_cvt_f32_f16_e32 v26, v0
.LBB313_618:                            ;   in Loop: Header=BB313_10 Depth=1
	s_or_b64 exec, exec, s[44:45]
	v_lshrrev_b16_e32 v8, 8, v12
	v_cmp_lt_i16_e32 vcc, s17, v8
	s_mov_b64 s[44:45], 0
                                        ; implicit-def: $sgpr53
	s_and_saveexec_b64 s[46:47], vcc
	s_xor_b64 s[46:47], exec, s[46:47]
	s_cbranch_execnz .LBB313_896
; %bb.619:                              ;   in Loop: Header=BB313_10 Depth=1
	s_or_saveexec_b64 s[46:47], s[46:47]
	v_mov_b32_e32 v55, s53
	s_xor_b64 exec, exec, s[46:47]
	s_cbranch_execnz .LBB313_899
.LBB313_620:                            ;   in Loop: Header=BB313_10 Depth=1
	s_or_b64 exec, exec, s[46:47]
	s_and_saveexec_b64 s[46:47], s[44:45]
	s_cbranch_execz .LBB313_622
.LBB313_621:                            ;   in Loop: Header=BB313_10 Depth=1
	v_and_b32_e32 v3, 7, v8
	v_ffbh_u32_e32 v0, v3
	v_min_u32_e32 v7, 32, v0
	v_subrev_u32_e32 v0, 28, v7
	v_bfe_u32 v6, v8, 3, 4
	v_lshlrev_b64 v[0:1], v0, v[8:9]
	v_sub_u32_e32 v1, 29, v7
	v_cmp_eq_u32_e32 vcc, 0, v6
	v_and_b32_e32 v0, 7, v0
	s_nop 0
	v_cndmask_b32_e32 v1, v6, v1, vcc
	v_cndmask_b32_e32 v0, v3, v0, vcc
	v_lshlrev_b32_e32 v3, 8, v8
	v_lshl_add_u32 v1, v1, 10, v32
	v_and_or_b32 v1, v3, s52, v1
	v_lshl_or_b32 v0, v0, 7, v1
	v_cvt_f32_f16_e32 v55, v0
.LBB313_622:                            ;   in Loop: Header=BB313_10 Depth=1
	s_or_b64 exec, exec, s[46:47]
	v_lshrrev_b32_e32 v8, 16, v12
	v_cmp_gt_i16_sdwa s[44:45], v8, s17 src0_sel:BYTE_0 src1_sel:DWORD
	s_mov_b64 vcc, 0
                                        ; implicit-def: $sgpr48
	s_and_saveexec_b64 s[46:47], s[44:45]
	s_xor_b64 s[44:45], exec, s[46:47]
	s_cbranch_execnz .LBB313_900
; %bb.623:                              ;   in Loop: Header=BB313_10 Depth=1
	s_or_saveexec_b64 s[44:45], s[44:45]
	v_mov_b32_e32 v28, s48
	s_xor_b64 exec, exec, s[44:45]
	s_cbranch_execnz .LBB313_903
.LBB313_624:                            ;   in Loop: Header=BB313_10 Depth=1
	s_or_b64 exec, exec, s[44:45]
	s_and_saveexec_b64 s[44:45], vcc
	s_cbranch_execz .LBB313_626
.LBB313_625:                            ;   in Loop: Header=BB313_10 Depth=1
	v_bfe_u32 v3, v12, 16, 3
	v_ffbh_u32_e32 v0, v3
	v_min_u32_e32 v7, 32, v0
	v_subrev_u32_e32 v0, 28, v7
	v_bfe_u32 v6, v12, 19, 4
	v_lshlrev_b64 v[0:1], v0, v[8:9]
	v_sub_u32_e32 v1, 29, v7
	v_cmp_eq_u32_e32 vcc, 0, v6
	v_and_b32_e32 v0, 7, v0
	s_nop 0
	v_cndmask_b32_e32 v1, v6, v1, vcc
	v_cndmask_b32_e32 v0, v3, v0, vcc
	v_lshlrev_b32_e32 v3, 8, v8
	v_lshl_add_u32 v1, v1, 10, v32
	v_and_or_b32 v1, v3, s52, v1
	v_lshl_or_b32 v0, v0, 7, v1
	v_cvt_f32_f16_e32 v28, v0
.LBB313_626:                            ;   in Loop: Header=BB313_10 Depth=1
	s_or_b64 exec, exec, s[44:45]
	v_lshrrev_b32_e32 v8, 24, v12
	v_cmp_lt_i16_e32 vcc, s17, v8
	s_mov_b64 s[44:45], 0
                                        ; implicit-def: $sgpr53
	s_and_saveexec_b64 s[46:47], vcc
	s_xor_b64 s[46:47], exec, s[46:47]
	s_cbranch_execnz .LBB313_904
; %bb.627:                              ;   in Loop: Header=BB313_10 Depth=1
	s_or_saveexec_b64 s[46:47], s[46:47]
	v_mov_b32_e32 v20, s53
	s_xor_b64 exec, exec, s[46:47]
	s_cbranch_execnz .LBB313_907
.LBB313_628:                            ;   in Loop: Header=BB313_10 Depth=1
	s_or_b64 exec, exec, s[46:47]
	s_and_saveexec_b64 s[46:47], s[44:45]
	s_cbranch_execz .LBB313_630
.LBB313_629:                            ;   in Loop: Header=BB313_10 Depth=1
	v_bfe_u32 v3, v12, 24, 3
	v_ffbh_u32_e32 v0, v3
	v_min_u32_e32 v7, 32, v0
	v_subrev_u32_e32 v0, 28, v7
	v_bfe_u32 v6, v12, 27, 4
	v_lshlrev_b64 v[0:1], v0, v[8:9]
	v_sub_u32_e32 v1, 29, v7
	v_cmp_eq_u32_e32 vcc, 0, v6
	v_and_b32_e32 v0, 7, v0
	s_nop 0
	v_cndmask_b32_e32 v1, v6, v1, vcc
	v_cndmask_b32_e32 v0, v3, v0, vcc
	v_lshlrev_b32_e32 v3, 8, v8
	v_lshl_add_u32 v1, v1, 10, v32
	v_and_or_b32 v1, v3, s52, v1
	v_lshl_or_b32 v0, v0, 7, v1
	v_cvt_f32_f16_e32 v20, v0
.LBB313_630:                            ;   in Loop: Header=BB313_10 Depth=1
	s_or_b64 exec, exec, s[46:47]
	v_add_co_u32_e32 v0, vcc, 0x1000, v36
                                        ; implicit-def: $sgpr48
	s_nop 1
	v_addc_co_u32_e32 v1, vcc, 0, v37, vcc
	flat_load_dword v12, v[0:1] offset:2048
	s_mov_b64 vcc, 0
	s_waitcnt vmcnt(0) lgkmcnt(0)
	v_cmp_gt_i16_sdwa s[44:45], v12, s17 src0_sel:BYTE_0 src1_sel:DWORD
	s_and_saveexec_b64 s[46:47], s[44:45]
	s_xor_b64 s[44:45], exec, s[46:47]
	s_cbranch_execnz .LBB313_908
; %bb.631:                              ;   in Loop: Header=BB313_10 Depth=1
	s_or_saveexec_b64 s[44:45], s[44:45]
	v_mov_b32_e32 v29, s48
	s_xor_b64 exec, exec, s[44:45]
	s_cbranch_execnz .LBB313_911
.LBB313_632:                            ;   in Loop: Header=BB313_10 Depth=1
	s_or_b64 exec, exec, s[44:45]
	s_and_saveexec_b64 s[44:45], vcc
	s_cbranch_execz .LBB313_634
.LBB313_633:                            ;   in Loop: Header=BB313_10 Depth=1
	v_and_b32_e32 v3, 7, v12
	v_ffbh_u32_e32 v0, v3
	v_min_u32_e32 v7, 32, v0
	v_subrev_u32_e32 v0, 28, v7
	v_bfe_u32 v6, v12, 3, 4
	v_lshlrev_b64 v[0:1], v0, v[12:13]
	v_sub_u32_e32 v1, 29, v7
	v_cmp_eq_u32_e32 vcc, 0, v6
	v_and_b32_e32 v0, 7, v0
	s_nop 0
	v_cndmask_b32_e32 v1, v6, v1, vcc
	v_cndmask_b32_e32 v0, v3, v0, vcc
	v_lshlrev_b32_e32 v3, 8, v12
	v_lshl_add_u32 v1, v1, 10, v32
	v_and_or_b32 v1, v3, s52, v1
	v_lshl_or_b32 v0, v0, 7, v1
	v_cvt_f32_f16_e32 v29, v0
.LBB313_634:                            ;   in Loop: Header=BB313_10 Depth=1
	s_or_b64 exec, exec, s[44:45]
	v_lshrrev_b16_e32 v8, 8, v12
	v_lshl_add_u64 v[38:39], v[36:37], 0, s[36:37]
	v_cmp_lt_i16_e32 vcc, s17, v8
	s_mov_b64 s[44:45], 0
                                        ; implicit-def: $sgpr53
	s_and_saveexec_b64 s[46:47], vcc
	s_xor_b64 s[46:47], exec, s[46:47]
	s_cbranch_execnz .LBB313_912
; %bb.635:                              ;   in Loop: Header=BB313_10 Depth=1
	s_or_saveexec_b64 s[46:47], s[46:47]
	v_mov_b32_e32 v35, s53
	s_xor_b64 exec, exec, s[46:47]
	s_cbranch_execnz .LBB313_915
.LBB313_636:                            ;   in Loop: Header=BB313_10 Depth=1
	s_or_b64 exec, exec, s[46:47]
	s_and_saveexec_b64 s[46:47], s[44:45]
	s_cbranch_execz .LBB313_638
.LBB313_637:                            ;   in Loop: Header=BB313_10 Depth=1
	v_and_b32_e32 v3, 7, v8
	v_ffbh_u32_e32 v0, v3
	v_min_u32_e32 v7, 32, v0
	v_subrev_u32_e32 v0, 28, v7
	v_bfe_u32 v6, v8, 3, 4
	v_lshlrev_b64 v[0:1], v0, v[8:9]
	v_sub_u32_e32 v1, 29, v7
	v_cmp_eq_u32_e32 vcc, 0, v6
	v_and_b32_e32 v0, 7, v0
	s_nop 0
	v_cndmask_b32_e32 v1, v6, v1, vcc
	v_cndmask_b32_e32 v0, v3, v0, vcc
	v_lshlrev_b32_e32 v3, 8, v8
	v_lshl_add_u32 v1, v1, 10, v32
	v_and_or_b32 v1, v3, s52, v1
	v_lshl_or_b32 v0, v0, 7, v1
	v_cvt_f32_f16_e32 v35, v0
.LBB313_638:                            ;   in Loop: Header=BB313_10 Depth=1
	s_or_b64 exec, exec, s[46:47]
	v_lshrrev_b32_e32 v8, 16, v12
	v_cmp_gt_i16_sdwa s[44:45], v8, s17 src0_sel:BYTE_0 src1_sel:DWORD
	s_mov_b64 vcc, 0
                                        ; implicit-def: $sgpr48
	s_and_saveexec_b64 s[46:47], s[44:45]
	s_xor_b64 s[44:45], exec, s[46:47]
	s_cbranch_execnz .LBB313_916
; %bb.639:                              ;   in Loop: Header=BB313_10 Depth=1
	s_or_saveexec_b64 s[44:45], s[44:45]
	v_mov_b32_e32 v11, s48
	s_xor_b64 exec, exec, s[44:45]
	s_cbranch_execnz .LBB313_919
.LBB313_640:                            ;   in Loop: Header=BB313_10 Depth=1
	s_or_b64 exec, exec, s[44:45]
	s_and_saveexec_b64 s[44:45], vcc
	s_cbranch_execz .LBB313_642
.LBB313_641:                            ;   in Loop: Header=BB313_10 Depth=1
	v_bfe_u32 v3, v12, 16, 3
	v_ffbh_u32_e32 v0, v3
	v_min_u32_e32 v7, 32, v0
	v_subrev_u32_e32 v0, 28, v7
	v_bfe_u32 v6, v12, 19, 4
	v_lshlrev_b64 v[0:1], v0, v[8:9]
	v_sub_u32_e32 v1, 29, v7
	v_cmp_eq_u32_e32 vcc, 0, v6
	v_and_b32_e32 v0, 7, v0
	s_nop 0
	v_cndmask_b32_e32 v1, v6, v1, vcc
	v_cndmask_b32_e32 v0, v3, v0, vcc
	v_lshlrev_b32_e32 v3, 8, v8
	v_lshl_add_u32 v1, v1, 10, v32
	v_and_or_b32 v1, v3, s52, v1
	v_lshl_or_b32 v0, v0, 7, v1
	v_cvt_f32_f16_e32 v11, v0
.LBB313_642:                            ;   in Loop: Header=BB313_10 Depth=1
	s_or_b64 exec, exec, s[44:45]
	v_lshrrev_b32_e32 v8, 24, v12
	v_cmp_lt_i16_e32 vcc, s17, v8
	s_mov_b64 s[44:45], 0
                                        ; implicit-def: $sgpr53
	s_and_saveexec_b64 s[46:47], vcc
	s_xor_b64 s[46:47], exec, s[46:47]
	s_cbranch_execnz .LBB313_920
; %bb.643:                              ;   in Loop: Header=BB313_10 Depth=1
	s_or_saveexec_b64 s[46:47], s[46:47]
	v_mov_b32_e32 v49, s53
	s_xor_b64 exec, exec, s[46:47]
	s_cbranch_execnz .LBB313_923
.LBB313_644:                            ;   in Loop: Header=BB313_10 Depth=1
	s_or_b64 exec, exec, s[46:47]
	s_and_saveexec_b64 s[46:47], s[44:45]
	s_cbranch_execz .LBB313_646
.LBB313_645:                            ;   in Loop: Header=BB313_10 Depth=1
	v_bfe_u32 v3, v12, 24, 3
	v_ffbh_u32_e32 v0, v3
	v_min_u32_e32 v7, 32, v0
	v_subrev_u32_e32 v0, 28, v7
	v_bfe_u32 v6, v12, 27, 4
	v_lshlrev_b64 v[0:1], v0, v[8:9]
	v_sub_u32_e32 v1, 29, v7
	v_cmp_eq_u32_e32 vcc, 0, v6
	v_and_b32_e32 v0, 7, v0
	s_nop 0
	v_cndmask_b32_e32 v1, v6, v1, vcc
	v_cndmask_b32_e32 v0, v3, v0, vcc
	v_lshlrev_b32_e32 v3, 8, v8
	v_lshl_add_u32 v1, v1, 10, v32
	v_and_or_b32 v1, v3, s52, v1
	v_lshl_or_b32 v0, v0, 7, v1
	v_cvt_f32_f16_e32 v49, v0
.LBB313_646:                            ;   in Loop: Header=BB313_10 Depth=1
	s_or_b64 exec, exec, s[46:47]
	flat_load_dword v12, v[38:39] offset:8
	s_mov_b64 vcc, 0
                                        ; implicit-def: $sgpr48
	s_waitcnt vmcnt(0) lgkmcnt(0)
	v_cmp_gt_i16_sdwa s[44:45], v12, s17 src0_sel:BYTE_0 src1_sel:DWORD
	s_and_saveexec_b64 s[46:47], s[44:45]
	s_xor_b64 s[44:45], exec, s[46:47]
	s_cbranch_execnz .LBB313_924
; %bb.647:                              ;   in Loop: Header=BB313_10 Depth=1
	s_or_saveexec_b64 s[44:45], s[44:45]
	v_mov_b32_e32 v54, s48
	s_xor_b64 exec, exec, s[44:45]
	s_cbranch_execnz .LBB313_927
.LBB313_648:                            ;   in Loop: Header=BB313_10 Depth=1
	s_or_b64 exec, exec, s[44:45]
	s_and_saveexec_b64 s[44:45], vcc
	s_cbranch_execz .LBB313_650
.LBB313_649:                            ;   in Loop: Header=BB313_10 Depth=1
	v_and_b32_e32 v3, 7, v12
	v_ffbh_u32_e32 v0, v3
	v_min_u32_e32 v7, 32, v0
	v_subrev_u32_e32 v0, 28, v7
	v_bfe_u32 v6, v12, 3, 4
	v_lshlrev_b64 v[0:1], v0, v[12:13]
	v_sub_u32_e32 v1, 29, v7
	v_cmp_eq_u32_e32 vcc, 0, v6
	v_and_b32_e32 v0, 7, v0
	s_nop 0
	v_cndmask_b32_e32 v1, v6, v1, vcc
	v_cndmask_b32_e32 v0, v3, v0, vcc
	v_lshlrev_b32_e32 v3, 8, v12
	v_lshl_add_u32 v1, v1, 10, v32
	v_and_or_b32 v1, v3, s52, v1
	v_lshl_or_b32 v0, v0, 7, v1
	v_cvt_f32_f16_e32 v54, v0
.LBB313_650:                            ;   in Loop: Header=BB313_10 Depth=1
	s_or_b64 exec, exec, s[44:45]
	v_lshrrev_b16_e32 v8, 8, v12
	v_cmp_lt_i16_e32 vcc, s17, v8
	s_mov_b64 s[44:45], 0
                                        ; implicit-def: $sgpr53
	s_and_saveexec_b64 s[46:47], vcc
	s_xor_b64 s[46:47], exec, s[46:47]
	s_cbranch_execnz .LBB313_928
; %bb.651:                              ;   in Loop: Header=BB313_10 Depth=1
	s_or_saveexec_b64 s[46:47], s[46:47]
	v_mov_b32_e32 v31, s53
	s_xor_b64 exec, exec, s[46:47]
	s_cbranch_execnz .LBB313_931
.LBB313_652:                            ;   in Loop: Header=BB313_10 Depth=1
	s_or_b64 exec, exec, s[46:47]
	s_and_saveexec_b64 s[46:47], s[44:45]
	s_cbranch_execz .LBB313_654
.LBB313_653:                            ;   in Loop: Header=BB313_10 Depth=1
	v_and_b32_e32 v3, 7, v8
	v_ffbh_u32_e32 v0, v3
	v_min_u32_e32 v7, 32, v0
	v_subrev_u32_e32 v0, 28, v7
	v_bfe_u32 v6, v8, 3, 4
	v_lshlrev_b64 v[0:1], v0, v[8:9]
	v_sub_u32_e32 v1, 29, v7
	v_cmp_eq_u32_e32 vcc, 0, v6
	v_and_b32_e32 v0, 7, v0
	s_nop 0
	v_cndmask_b32_e32 v1, v6, v1, vcc
	v_cndmask_b32_e32 v0, v3, v0, vcc
	v_lshlrev_b32_e32 v3, 8, v8
	v_lshl_add_u32 v1, v1, 10, v32
	v_and_or_b32 v1, v3, s52, v1
	v_lshl_or_b32 v0, v0, 7, v1
	v_cvt_f32_f16_e32 v31, v0
.LBB313_654:                            ;   in Loop: Header=BB313_10 Depth=1
	s_or_b64 exec, exec, s[46:47]
	v_lshrrev_b32_e32 v8, 16, v12
	v_cmp_gt_i16_sdwa s[44:45], v8, s17 src0_sel:BYTE_0 src1_sel:DWORD
	s_mov_b64 vcc, 0
                                        ; implicit-def: $sgpr48
	s_and_saveexec_b64 s[46:47], s[44:45]
	s_xor_b64 s[44:45], exec, s[46:47]
	s_cbranch_execnz .LBB313_932
; %bb.655:                              ;   in Loop: Header=BB313_10 Depth=1
	s_or_saveexec_b64 s[44:45], s[44:45]
	v_mov_b32_e32 v50, s48
	s_xor_b64 exec, exec, s[44:45]
	s_cbranch_execnz .LBB313_935
.LBB313_656:                            ;   in Loop: Header=BB313_10 Depth=1
	s_or_b64 exec, exec, s[44:45]
	s_and_saveexec_b64 s[44:45], vcc
	s_cbranch_execz .LBB313_658
.LBB313_657:                            ;   in Loop: Header=BB313_10 Depth=1
	v_bfe_u32 v3, v12, 16, 3
	v_ffbh_u32_e32 v0, v3
	v_min_u32_e32 v7, 32, v0
	v_subrev_u32_e32 v0, 28, v7
	v_bfe_u32 v6, v12, 19, 4
	v_lshlrev_b64 v[0:1], v0, v[8:9]
	v_sub_u32_e32 v1, 29, v7
	v_cmp_eq_u32_e32 vcc, 0, v6
	v_and_b32_e32 v0, 7, v0
	s_nop 0
	v_cndmask_b32_e32 v1, v6, v1, vcc
	v_cndmask_b32_e32 v0, v3, v0, vcc
	v_lshlrev_b32_e32 v3, 8, v8
	v_lshl_add_u32 v1, v1, 10, v32
	v_and_or_b32 v1, v3, s52, v1
	v_lshl_or_b32 v0, v0, 7, v1
	v_cvt_f32_f16_e32 v50, v0
.LBB313_658:                            ;   in Loop: Header=BB313_10 Depth=1
	s_or_b64 exec, exec, s[44:45]
	v_lshrrev_b32_e32 v8, 24, v12
	v_cmp_lt_i16_e32 vcc, s17, v8
	s_mov_b64 s[44:45], 0
                                        ; implicit-def: $sgpr53
	s_and_saveexec_b64 s[46:47], vcc
	s_xor_b64 s[46:47], exec, s[46:47]
	s_cbranch_execnz .LBB313_936
; %bb.659:                              ;   in Loop: Header=BB313_10 Depth=1
	s_or_saveexec_b64 s[46:47], s[46:47]
	v_mov_b32_e32 v6, s53
	s_xor_b64 exec, exec, s[46:47]
	s_cbranch_execnz .LBB313_939
.LBB313_660:                            ;   in Loop: Header=BB313_10 Depth=1
	s_or_b64 exec, exec, s[46:47]
	s_and_saveexec_b64 s[46:47], s[44:45]
	s_cbranch_execz .LBB313_662
.LBB313_661:                            ;   in Loop: Header=BB313_10 Depth=1
	v_bfe_u32 v3, v12, 24, 3
	v_ffbh_u32_e32 v0, v3
	v_min_u32_e32 v7, 32, v0
	v_subrev_u32_e32 v0, 28, v7
	v_bfe_u32 v6, v12, 27, 4
	v_lshlrev_b64 v[0:1], v0, v[8:9]
	v_sub_u32_e32 v1, 29, v7
	v_cmp_eq_u32_e32 vcc, 0, v6
	v_and_b32_e32 v0, 7, v0
	s_nop 0
	v_cndmask_b32_e32 v1, v6, v1, vcc
	v_cndmask_b32_e32 v0, v3, v0, vcc
	v_lshlrev_b32_e32 v3, 8, v8
	v_lshl_add_u32 v1, v1, 10, v32
	v_and_or_b32 v1, v3, s52, v1
	v_lshl_or_b32 v0, v0, 7, v1
	v_cvt_f32_f16_e32 v6, v0
.LBB313_662:                            ;   in Loop: Header=BB313_10 Depth=1
	s_or_b64 exec, exec, s[46:47]
	v_add_co_u32_e32 v0, vcc, 0x1000, v36
                                        ; implicit-def: $sgpr48
	s_nop 1
	v_addc_co_u32_e32 v1, vcc, 0, v37, vcc
	flat_load_dword v12, v[0:1] offset:2560
	s_mov_b64 vcc, 0
	s_waitcnt vmcnt(0) lgkmcnt(0)
	v_cmp_gt_i16_sdwa s[44:45], v12, s17 src0_sel:BYTE_0 src1_sel:DWORD
	s_and_saveexec_b64 s[46:47], s[44:45]
	s_xor_b64 s[44:45], exec, s[46:47]
	s_cbranch_execnz .LBB313_940
; %bb.663:                              ;   in Loop: Header=BB313_10 Depth=1
	s_or_saveexec_b64 s[44:45], s[44:45]
	v_mov_b32_e32 v19, s48
	s_xor_b64 exec, exec, s[44:45]
	s_cbranch_execnz .LBB313_943
.LBB313_664:                            ;   in Loop: Header=BB313_10 Depth=1
	s_or_b64 exec, exec, s[44:45]
	s_and_saveexec_b64 s[44:45], vcc
	s_cbranch_execz .LBB313_666
.LBB313_665:                            ;   in Loop: Header=BB313_10 Depth=1
	v_and_b32_e32 v3, 7, v12
	v_ffbh_u32_e32 v0, v3
	v_min_u32_e32 v8, 32, v0
	v_subrev_u32_e32 v0, 28, v8
	v_bfe_u32 v7, v12, 3, 4
	v_lshlrev_b64 v[0:1], v0, v[12:13]
	v_sub_u32_e32 v1, 29, v8
	v_cmp_eq_u32_e32 vcc, 0, v7
	v_and_b32_e32 v0, 7, v0
	s_nop 0
	v_cndmask_b32_e32 v1, v7, v1, vcc
	v_cndmask_b32_e32 v0, v3, v0, vcc
	v_lshlrev_b32_e32 v3, 8, v12
	v_lshl_add_u32 v1, v1, 10, v32
	v_and_or_b32 v1, v3, s52, v1
	v_lshl_or_b32 v0, v0, 7, v1
	v_cvt_f32_f16_e32 v19, v0
.LBB313_666:                            ;   in Loop: Header=BB313_10 Depth=1
	s_or_b64 exec, exec, s[44:45]
	v_lshrrev_b16_e32 v8, 8, v12
	v_lshl_add_u64 v[38:39], v[36:37], 0, s[38:39]
	v_cmp_lt_i16_e32 vcc, s17, v8
	s_mov_b64 s[44:45], 0
                                        ; implicit-def: $sgpr53
	s_and_saveexec_b64 s[46:47], vcc
	s_xor_b64 s[46:47], exec, s[46:47]
	s_cbranch_execnz .LBB313_944
; %bb.667:                              ;   in Loop: Header=BB313_10 Depth=1
	s_or_saveexec_b64 s[46:47], s[46:47]
	v_mov_b32_e32 v52, s53
	s_xor_b64 exec, exec, s[46:47]
	s_cbranch_execnz .LBB313_947
.LBB313_668:                            ;   in Loop: Header=BB313_10 Depth=1
	s_or_b64 exec, exec, s[46:47]
	s_and_saveexec_b64 s[46:47], s[44:45]
	s_cbranch_execz .LBB313_670
.LBB313_669:                            ;   in Loop: Header=BB313_10 Depth=1
	v_and_b32_e32 v3, 7, v8
	v_ffbh_u32_e32 v0, v3
	v_min_u32_e32 v10, 32, v0
	v_subrev_u32_e32 v0, 28, v10
	v_bfe_u32 v7, v8, 3, 4
	v_lshlrev_b64 v[0:1], v0, v[8:9]
	v_sub_u32_e32 v1, 29, v10
	v_cmp_eq_u32_e32 vcc, 0, v7
	v_and_b32_e32 v0, 7, v0
	s_nop 0
	v_cndmask_b32_e32 v1, v7, v1, vcc
	v_cndmask_b32_e32 v0, v3, v0, vcc
	v_lshlrev_b32_e32 v3, 8, v8
	v_lshl_add_u32 v1, v1, 10, v32
	v_and_or_b32 v1, v3, s52, v1
	v_lshl_or_b32 v0, v0, 7, v1
	v_cvt_f32_f16_e32 v52, v0
.LBB313_670:                            ;   in Loop: Header=BB313_10 Depth=1
	s_or_b64 exec, exec, s[46:47]
	v_lshrrev_b32_e32 v8, 16, v12
	v_cmp_gt_i16_sdwa s[44:45], v8, s17 src0_sel:BYTE_0 src1_sel:DWORD
	s_mov_b64 vcc, 0
                                        ; implicit-def: $sgpr48
	s_and_saveexec_b64 s[46:47], s[44:45]
	s_xor_b64 s[44:45], exec, s[46:47]
	s_cbranch_execnz .LBB313_948
; %bb.671:                              ;   in Loop: Header=BB313_10 Depth=1
	s_or_saveexec_b64 s[44:45], s[44:45]
	v_mov_b32_e32 v56, s48
	s_xor_b64 exec, exec, s[44:45]
	s_cbranch_execnz .LBB313_951
.LBB313_672:                            ;   in Loop: Header=BB313_10 Depth=1
	s_or_b64 exec, exec, s[44:45]
	s_and_saveexec_b64 s[44:45], vcc
	s_cbranch_execz .LBB313_674
.LBB313_673:                            ;   in Loop: Header=BB313_10 Depth=1
	v_bfe_u32 v3, v12, 16, 3
	v_ffbh_u32_e32 v0, v3
	v_min_u32_e32 v10, 32, v0
	v_subrev_u32_e32 v0, 28, v10
	v_bfe_u32 v7, v12, 19, 4
	v_lshlrev_b64 v[0:1], v0, v[8:9]
	v_sub_u32_e32 v1, 29, v10
	v_cmp_eq_u32_e32 vcc, 0, v7
	v_and_b32_e32 v0, 7, v0
	s_nop 0
	v_cndmask_b32_e32 v1, v7, v1, vcc
	v_cndmask_b32_e32 v0, v3, v0, vcc
	v_lshlrev_b32_e32 v3, 8, v8
	v_lshl_add_u32 v1, v1, 10, v32
	v_and_or_b32 v1, v3, s52, v1
	v_lshl_or_b32 v0, v0, 7, v1
	v_cvt_f32_f16_e32 v56, v0
.LBB313_674:                            ;   in Loop: Header=BB313_10 Depth=1
	s_or_b64 exec, exec, s[44:45]
	v_lshrrev_b32_e32 v8, 24, v12
	v_cmp_lt_i16_e32 vcc, s17, v8
	s_mov_b64 s[44:45], 0
                                        ; implicit-def: $sgpr53
	s_and_saveexec_b64 s[46:47], vcc
	s_xor_b64 s[46:47], exec, s[46:47]
	s_cbranch_execnz .LBB313_952
; %bb.675:                              ;   in Loop: Header=BB313_10 Depth=1
	s_or_saveexec_b64 s[46:47], s[46:47]
	v_mov_b32_e32 v1, s53
	s_xor_b64 exec, exec, s[46:47]
	s_cbranch_execnz .LBB313_955
.LBB313_676:                            ;   in Loop: Header=BB313_10 Depth=1
	s_or_b64 exec, exec, s[46:47]
	s_and_saveexec_b64 s[46:47], s[44:45]
	s_cbranch_execz .LBB313_678
.LBB313_677:                            ;   in Loop: Header=BB313_10 Depth=1
	v_bfe_u32 v3, v12, 24, 3
	v_ffbh_u32_e32 v0, v3
	v_min_u32_e32 v10, 32, v0
	v_subrev_u32_e32 v0, 28, v10
	v_bfe_u32 v7, v12, 27, 4
	v_lshlrev_b64 v[0:1], v0, v[8:9]
	v_sub_u32_e32 v1, 29, v10
	v_cmp_eq_u32_e32 vcc, 0, v7
	v_and_b32_e32 v0, 7, v0
	s_nop 0
	v_cndmask_b32_e32 v1, v7, v1, vcc
	v_cndmask_b32_e32 v0, v3, v0, vcc
	v_lshlrev_b32_e32 v3, 8, v8
	v_lshl_add_u32 v1, v1, 10, v32
	v_and_or_b32 v1, v3, s52, v1
	v_lshl_or_b32 v0, v0, 7, v1
	v_cvt_f32_f16_e32 v1, v0
.LBB313_678:                            ;   in Loop: Header=BB313_10 Depth=1
	s_or_b64 exec, exec, s[46:47]
	flat_load_dword v12, v[38:39] offset:8
	s_mov_b64 vcc, 0
                                        ; implicit-def: $sgpr48
	s_waitcnt vmcnt(0) lgkmcnt(0)
	v_cmp_gt_i16_sdwa s[44:45], v12, s17 src0_sel:BYTE_0 src1_sel:DWORD
	s_and_saveexec_b64 s[46:47], s[44:45]
	s_xor_b64 s[44:45], exec, s[46:47]
	s_cbranch_execnz .LBB313_956
; %bb.679:                              ;   in Loop: Header=BB313_10 Depth=1
	s_or_saveexec_b64 s[44:45], s[44:45]
	v_mov_b32_e32 v10, s48
	s_xor_b64 exec, exec, s[44:45]
	s_cbranch_execnz .LBB313_959
.LBB313_680:                            ;   in Loop: Header=BB313_10 Depth=1
	s_or_b64 exec, exec, s[44:45]
	s_and_saveexec_b64 s[44:45], vcc
	s_cbranch_execz .LBB313_682
.LBB313_681:                            ;   in Loop: Header=BB313_10 Depth=1
	v_and_b32_e32 v0, 7, v12
	v_ffbh_u32_e32 v7, v0
	v_bfe_u32 v3, v12, 3, 4
	v_min_u32_e32 v7, 32, v7
	v_subrev_u32_e32 v8, 28, v7
	v_sub_u32_e32 v7, 29, v7
	v_cmp_eq_u32_e32 vcc, 0, v3
	v_lshlrev_b64 v[38:39], v8, v[12:13]
	v_and_b32_e32 v8, 7, v38
	v_cndmask_b32_e32 v3, v3, v7, vcc
	v_lshlrev_b32_e32 v7, 8, v12
	v_lshl_add_u32 v3, v3, 10, v32
	v_cndmask_b32_e32 v0, v0, v8, vcc
	v_and_or_b32 v3, v7, s52, v3
	v_lshl_or_b32 v0, v0, 7, v3
	v_cvt_f32_f16_e32 v10, v0
.LBB313_682:                            ;   in Loop: Header=BB313_10 Depth=1
	s_or_b64 exec, exec, s[44:45]
	v_lshrrev_b16_e32 v8, 8, v12
	v_cmp_lt_i16_e32 vcc, s17, v8
	s_mov_b64 s[44:45], 0
                                        ; implicit-def: $sgpr53
	s_and_saveexec_b64 s[46:47], vcc
	s_xor_b64 s[46:47], exec, s[46:47]
	s_cbranch_execnz .LBB313_960
; %bb.683:                              ;   in Loop: Header=BB313_10 Depth=1
	s_or_saveexec_b64 s[46:47], s[46:47]
	v_mov_b32_e32 v7, s53
	s_xor_b64 exec, exec, s[46:47]
	s_cbranch_execnz .LBB313_963
.LBB313_684:                            ;   in Loop: Header=BB313_10 Depth=1
	s_or_b64 exec, exec, s[46:47]
	s_and_saveexec_b64 s[46:47], s[44:45]
	s_cbranch_execz .LBB313_686
.LBB313_685:                            ;   in Loop: Header=BB313_10 Depth=1
	v_and_b32_e32 v0, 7, v8
	v_ffbh_u32_e32 v7, v0
	v_bfe_u32 v3, v8, 3, 4
	v_min_u32_e32 v7, 32, v7
	v_subrev_u32_e32 v16, 28, v7
	v_sub_u32_e32 v7, 29, v7
	v_cmp_eq_u32_e32 vcc, 0, v3
	v_lshlrev_b64 v[38:39], v16, v[8:9]
	v_and_b32_e32 v16, 7, v38
	v_cndmask_b32_e32 v3, v3, v7, vcc
	v_lshlrev_b32_e32 v7, 8, v8
	v_lshl_add_u32 v3, v3, 10, v32
	v_cndmask_b32_e32 v0, v0, v16, vcc
	v_and_or_b32 v3, v7, s52, v3
	v_lshl_or_b32 v0, v0, 7, v3
	v_cvt_f32_f16_e32 v7, v0
.LBB313_686:                            ;   in Loop: Header=BB313_10 Depth=1
	s_or_b64 exec, exec, s[46:47]
	v_lshrrev_b32_e32 v8, 16, v12
	v_cmp_gt_i16_sdwa s[44:45], v8, s17 src0_sel:BYTE_0 src1_sel:DWORD
	s_mov_b64 vcc, 0
                                        ; implicit-def: $sgpr48
	s_and_saveexec_b64 s[46:47], s[44:45]
	s_xor_b64 s[44:45], exec, s[46:47]
	s_cbranch_execnz .LBB313_964
; %bb.687:                              ;   in Loop: Header=BB313_10 Depth=1
	s_or_saveexec_b64 s[44:45], s[44:45]
	v_mov_b32_e32 v0, s48
	s_xor_b64 exec, exec, s[44:45]
	s_cbranch_execnz .LBB313_967
.LBB313_688:                            ;   in Loop: Header=BB313_10 Depth=1
	s_or_b64 exec, exec, s[44:45]
	s_and_saveexec_b64 s[44:45], vcc
	s_cbranch_execz .LBB313_690
.LBB313_689:                            ;   in Loop: Header=BB313_10 Depth=1
	v_bfe_u32 v0, v12, 16, 3
	v_ffbh_u32_e32 v16, v0
	v_bfe_u32 v3, v12, 19, 4
	v_min_u32_e32 v16, 32, v16
	v_subrev_u32_e32 v18, 28, v16
	v_sub_u32_e32 v16, 29, v16
	v_cmp_eq_u32_e32 vcc, 0, v3
	v_lshlrev_b64 v[38:39], v18, v[8:9]
	v_and_b32_e32 v18, 7, v38
	v_cndmask_b32_e32 v3, v3, v16, vcc
	v_lshlrev_b32_e32 v8, 8, v8
	v_lshl_add_u32 v3, v3, 10, v32
	v_cndmask_b32_e32 v0, v0, v18, vcc
	v_and_or_b32 v3, v8, s52, v3
	v_lshl_or_b32 v0, v0, 7, v3
	v_cvt_f32_f16_e32 v0, v0
.LBB313_690:                            ;   in Loop: Header=BB313_10 Depth=1
	s_or_b64 exec, exec, s[44:45]
	v_lshrrev_b32_e32 v8, 24, v12
	v_cmp_lt_i16_e32 vcc, s17, v8
	s_mov_b64 s[44:45], 0
                                        ; implicit-def: $sgpr53
	s_and_saveexec_b64 s[46:47], vcc
	s_xor_b64 s[46:47], exec, s[46:47]
	s_cbranch_execnz .LBB313_968
; %bb.691:                              ;   in Loop: Header=BB313_10 Depth=1
	s_or_saveexec_b64 s[46:47], s[46:47]
	v_mov_b32_e32 v18, s53
	s_xor_b64 exec, exec, s[46:47]
	s_cbranch_execnz .LBB313_971
.LBB313_692:                            ;   in Loop: Header=BB313_10 Depth=1
	s_or_b64 exec, exec, s[46:47]
	s_and_saveexec_b64 s[46:47], s[44:45]
	s_cbranch_execz .LBB313_694
.LBB313_693:                            ;   in Loop: Header=BB313_10 Depth=1
	v_bfe_u32 v3, v12, 24, 3
	v_ffbh_u32_e32 v16, v3
	v_bfe_u32 v12, v12, 27, 4
	v_min_u32_e32 v16, 32, v16
	v_subrev_u32_e32 v18, 28, v16
	v_sub_u32_e32 v16, 29, v16
	v_cmp_eq_u32_e32 vcc, 0, v12
	v_lshlrev_b64 v[38:39], v18, v[8:9]
	v_and_b32_e32 v18, 7, v38
	v_cndmask_b32_e32 v12, v12, v16, vcc
	v_lshlrev_b32_e32 v8, 8, v8
	v_lshl_add_u32 v12, v12, 10, v32
	v_cndmask_b32_e32 v3, v3, v18, vcc
	v_and_or_b32 v8, v8, s52, v12
	v_lshl_or_b32 v3, v3, 7, v8
	v_cvt_f32_f16_e32 v18, v3
.LBB313_694:                            ;   in Loop: Header=BB313_10 Depth=1
	s_or_b64 exec, exec, s[46:47]
	v_add_co_u32_e32 v38, vcc, 0x1000, v36
                                        ; implicit-def: $sgpr48
	s_nop 1
	v_addc_co_u32_e32 v39, vcc, 0, v37, vcc
	flat_load_dword v12, v[38:39] offset:3072
	s_mov_b64 vcc, 0
	s_waitcnt vmcnt(0) lgkmcnt(0)
	v_cmp_gt_i16_sdwa s[44:45], v12, s17 src0_sel:BYTE_0 src1_sel:DWORD
	s_and_saveexec_b64 s[46:47], s[44:45]
	s_xor_b64 s[44:45], exec, s[46:47]
	s_cbranch_execnz .LBB313_972
; %bb.695:                              ;   in Loop: Header=BB313_10 Depth=1
	s_or_saveexec_b64 s[44:45], s[44:45]
	v_mov_b32_e32 v3, s48
	s_xor_b64 exec, exec, s[44:45]
	s_cbranch_execnz .LBB313_975
.LBB313_696:                            ;   in Loop: Header=BB313_10 Depth=1
	s_or_b64 exec, exec, s[44:45]
	s_and_saveexec_b64 s[44:45], vcc
	s_cbranch_execz .LBB313_698
.LBB313_697:                            ;   in Loop: Header=BB313_10 Depth=1
	v_and_b32_e32 v3, 7, v12
	v_ffbh_u32_e32 v16, v3
	v_bfe_u32 v8, v12, 3, 4
	v_min_u32_e32 v16, 32, v16
	v_subrev_u32_e32 v22, 28, v16
	v_sub_u32_e32 v16, 29, v16
	v_cmp_eq_u32_e32 vcc, 0, v8
	v_lshlrev_b64 v[38:39], v22, v[12:13]
	v_and_b32_e32 v22, 7, v38
	v_cndmask_b32_e32 v8, v8, v16, vcc
	v_lshlrev_b32_e32 v16, 8, v12
	v_lshl_add_u32 v8, v8, 10, v32
	v_cndmask_b32_e32 v3, v3, v22, vcc
	v_and_or_b32 v8, v16, s52, v8
	v_lshl_or_b32 v3, v3, 7, v8
	v_cvt_f32_f16_e32 v3, v3
.LBB313_698:                            ;   in Loop: Header=BB313_10 Depth=1
	s_or_b64 exec, exec, s[44:45]
	v_lshrrev_b16_e32 v8, 8, v12
	v_lshl_add_u64 v[38:39], v[36:37], 0, s[40:41]
	v_cmp_lt_i16_e32 vcc, s17, v8
	s_mov_b64 s[44:45], 0
                                        ; implicit-def: $sgpr53
	s_and_saveexec_b64 s[46:47], vcc
	s_xor_b64 s[46:47], exec, s[46:47]
	s_cbranch_execnz .LBB313_976
; %bb.699:                              ;   in Loop: Header=BB313_10 Depth=1
	s_or_saveexec_b64 s[46:47], s[46:47]
	v_mov_b32_e32 v27, s53
	s_xor_b64 exec, exec, s[46:47]
	s_cbranch_execnz .LBB313_979
.LBB313_700:                            ;   in Loop: Header=BB313_10 Depth=1
	s_or_b64 exec, exec, s[46:47]
	s_and_saveexec_b64 s[46:47], s[44:45]
	s_cbranch_execz .LBB313_702
.LBB313_701:                            ;   in Loop: Header=BB313_10 Depth=1
	v_and_b32_e32 v16, 7, v8
	v_ffbh_u32_e32 v25, v16
	v_bfe_u32 v22, v8, 3, 4
	v_min_u32_e32 v25, 32, v25
	v_subrev_u32_e32 v27, 28, v25
	v_sub_u32_e32 v25, 29, v25
	v_cmp_eq_u32_e32 vcc, 0, v22
	v_lshlrev_b64 v[46:47], v27, v[8:9]
	v_and_b32_e32 v27, 7, v46
	v_cndmask_b32_e32 v22, v22, v25, vcc
	v_lshlrev_b32_e32 v8, 8, v8
	v_lshl_add_u32 v22, v22, 10, v32
	v_cndmask_b32_e32 v16, v16, v27, vcc
	v_and_or_b32 v8, v8, s52, v22
	v_lshl_or_b32 v8, v16, 7, v8
	v_cvt_f32_f16_e32 v27, v8
.LBB313_702:                            ;   in Loop: Header=BB313_10 Depth=1
	s_or_b64 exec, exec, s[46:47]
	v_lshrrev_b32_e32 v8, 16, v12
	v_cmp_gt_i16_sdwa s[44:45], v8, s17 src0_sel:BYTE_0 src1_sel:DWORD
	s_mov_b64 vcc, 0
                                        ; implicit-def: $sgpr48
	s_and_saveexec_b64 s[46:47], s[44:45]
	s_xor_b64 s[44:45], exec, s[46:47]
	s_cbranch_execnz .LBB313_980
; %bb.703:                              ;   in Loop: Header=BB313_10 Depth=1
	s_or_saveexec_b64 s[44:45], s[44:45]
	v_mov_b32_e32 v34, s48
	s_xor_b64 exec, exec, s[44:45]
	s_cbranch_execnz .LBB313_983
.LBB313_704:                            ;   in Loop: Header=BB313_10 Depth=1
	s_or_b64 exec, exec, s[44:45]
	s_and_saveexec_b64 s[44:45], vcc
	s_cbranch_execz .LBB313_706
.LBB313_705:                            ;   in Loop: Header=BB313_10 Depth=1
	v_bfe_u32 v16, v12, 16, 3
	v_ffbh_u32_e32 v25, v16
	v_bfe_u32 v22, v12, 19, 4
	v_min_u32_e32 v25, 32, v25
	v_subrev_u32_e32 v34, 28, v25
	v_sub_u32_e32 v25, 29, v25
	v_cmp_eq_u32_e32 vcc, 0, v22
	v_lshlrev_b64 v[46:47], v34, v[8:9]
	v_and_b32_e32 v34, 7, v46
	v_cndmask_b32_e32 v22, v22, v25, vcc
	v_lshlrev_b32_e32 v8, 8, v8
	v_lshl_add_u32 v22, v22, 10, v32
	v_cndmask_b32_e32 v16, v16, v34, vcc
	v_and_or_b32 v8, v8, s52, v22
	v_lshl_or_b32 v8, v16, 7, v8
	v_cvt_f32_f16_e32 v34, v8
.LBB313_706:                            ;   in Loop: Header=BB313_10 Depth=1
	s_or_b64 exec, exec, s[44:45]
	v_lshrrev_b32_e32 v8, 24, v12
	v_cmp_lt_i16_e32 vcc, s17, v8
	s_mov_b64 s[44:45], 0
                                        ; implicit-def: $sgpr53
	s_and_saveexec_b64 s[46:47], vcc
	s_xor_b64 s[46:47], exec, s[46:47]
	s_cbranch_execnz .LBB313_984
; %bb.707:                              ;   in Loop: Header=BB313_10 Depth=1
	s_or_saveexec_b64 s[46:47], s[46:47]
	v_mov_b32_e32 v51, s53
	s_xor_b64 exec, exec, s[46:47]
	s_cbranch_execnz .LBB313_987
.LBB313_708:                            ;   in Loop: Header=BB313_10 Depth=1
	s_or_b64 exec, exec, s[46:47]
	s_and_saveexec_b64 s[46:47], s[44:45]
	s_cbranch_execz .LBB313_710
.LBB313_709:                            ;   in Loop: Header=BB313_10 Depth=1
	v_bfe_u32 v16, v12, 24, 3
	v_ffbh_u32_e32 v22, v16
	v_bfe_u32 v12, v12, 27, 4
	v_min_u32_e32 v22, 32, v22
	v_subrev_u32_e32 v25, 28, v22
	v_sub_u32_e32 v22, 29, v22
	v_cmp_eq_u32_e32 vcc, 0, v12
	v_lshlrev_b64 v[46:47], v25, v[8:9]
	v_and_b32_e32 v25, 7, v46
	v_cndmask_b32_e32 v12, v12, v22, vcc
	v_lshlrev_b32_e32 v8, 8, v8
	v_lshl_add_u32 v12, v12, 10, v32
	v_cndmask_b32_e32 v16, v16, v25, vcc
	v_and_or_b32 v8, v8, s52, v12
	v_lshl_or_b32 v8, v16, 7, v8
	v_cvt_f32_f16_e32 v51, v8
.LBB313_710:                            ;   in Loop: Header=BB313_10 Depth=1
	s_or_b64 exec, exec, s[46:47]
	flat_load_dword v12, v[38:39] offset:8
	s_mov_b64 vcc, 0
                                        ; implicit-def: $sgpr48
	s_waitcnt vmcnt(0) lgkmcnt(0)
	v_cmp_gt_i16_sdwa s[44:45], v12, s17 src0_sel:BYTE_0 src1_sel:DWORD
	s_and_saveexec_b64 s[46:47], s[44:45]
	s_xor_b64 s[44:45], exec, s[46:47]
	s_cbranch_execnz .LBB313_988
; %bb.711:                              ;   in Loop: Header=BB313_10 Depth=1
	s_or_saveexec_b64 s[44:45], s[44:45]
	v_mov_b32_e32 v38, s48
	s_xor_b64 exec, exec, s[44:45]
	s_cbranch_execnz .LBB313_991
.LBB313_712:                            ;   in Loop: Header=BB313_10 Depth=1
	s_or_b64 exec, exec, s[44:45]
	s_and_saveexec_b64 s[44:45], vcc
	s_cbranch_execz .LBB313_714
.LBB313_713:                            ;   in Loop: Header=BB313_10 Depth=1
	v_and_b32_e32 v8, 7, v12
	v_ffbh_u32_e32 v22, v8
	v_bfe_u32 v16, v12, 3, 4
	v_min_u32_e32 v22, 32, v22
	v_subrev_u32_e32 v25, 28, v22
	v_sub_u32_e32 v22, 29, v22
	v_cmp_eq_u32_e32 vcc, 0, v16
	v_lshlrev_b64 v[38:39], v25, v[12:13]
	v_and_b32_e32 v25, 7, v38
	v_cndmask_b32_e32 v16, v16, v22, vcc
	v_lshlrev_b32_e32 v22, 8, v12
	v_lshl_add_u32 v16, v16, 10, v32
	v_cndmask_b32_e32 v8, v8, v25, vcc
	v_and_or_b32 v16, v22, s52, v16
	v_lshl_or_b32 v8, v8, 7, v16
	v_cvt_f32_f16_e32 v38, v8
.LBB313_714:                            ;   in Loop: Header=BB313_10 Depth=1
	s_or_b64 exec, exec, s[44:45]
	v_lshrrev_b16_e32 v8, 8, v12
	v_cmp_lt_i16_e32 vcc, s17, v8
	s_mov_b64 s[44:45], 0
                                        ; implicit-def: $sgpr53
	s_and_saveexec_b64 s[46:47], vcc
	s_xor_b64 s[46:47], exec, s[46:47]
	s_cbranch_execnz .LBB313_992
; %bb.715:                              ;   in Loop: Header=BB313_10 Depth=1
	s_or_saveexec_b64 s[46:47], s[46:47]
	v_mov_b32_e32 v39, s53
	s_xor_b64 exec, exec, s[46:47]
	s_cbranch_execnz .LBB313_995
.LBB313_716:                            ;   in Loop: Header=BB313_10 Depth=1
	s_or_b64 exec, exec, s[46:47]
	s_and_saveexec_b64 s[46:47], s[44:45]
	s_cbranch_execz .LBB313_718
.LBB313_717:                            ;   in Loop: Header=BB313_10 Depth=1
	v_and_b32_e32 v16, 7, v8
	v_ffbh_u32_e32 v25, v16
	v_bfe_u32 v22, v8, 3, 4
	v_min_u32_e32 v25, 32, v25
	v_subrev_u32_e32 v39, 28, v25
	v_sub_u32_e32 v25, 29, v25
	v_cmp_eq_u32_e32 vcc, 0, v22
	v_lshlrev_b64 v[46:47], v39, v[8:9]
	v_and_b32_e32 v39, 7, v46
	v_cndmask_b32_e32 v22, v22, v25, vcc
	v_lshlrev_b32_e32 v8, 8, v8
	v_lshl_add_u32 v22, v22, 10, v32
	v_cndmask_b32_e32 v16, v16, v39, vcc
	v_and_or_b32 v8, v8, s52, v22
	v_lshl_or_b32 v8, v16, 7, v8
	v_cvt_f32_f16_e32 v39, v8
.LBB313_718:                            ;   in Loop: Header=BB313_10 Depth=1
	s_or_b64 exec, exec, s[46:47]
	v_lshrrev_b32_e32 v8, 16, v12
	v_cmp_gt_i16_sdwa s[44:45], v8, s17 src0_sel:BYTE_0 src1_sel:DWORD
	s_mov_b64 vcc, 0
                                        ; implicit-def: $sgpr48
	s_and_saveexec_b64 s[46:47], s[44:45]
	s_xor_b64 s[44:45], exec, s[46:47]
	s_cbranch_execnz .LBB313_996
; %bb.719:                              ;   in Loop: Header=BB313_10 Depth=1
	s_or_saveexec_b64 s[44:45], s[44:45]
	v_mov_b32_e32 v16, s48
	s_xor_b64 exec, exec, s[44:45]
	s_cbranch_execnz .LBB313_999
.LBB313_720:                            ;   in Loop: Header=BB313_10 Depth=1
	s_or_b64 exec, exec, s[44:45]
	s_and_saveexec_b64 s[44:45], vcc
	s_cbranch_execz .LBB313_722
.LBB313_721:                            ;   in Loop: Header=BB313_10 Depth=1
	v_bfe_u32 v16, v12, 16, 3
	v_ffbh_u32_e32 v25, v16
	v_bfe_u32 v22, v12, 19, 4
	v_min_u32_e32 v25, 32, v25
	v_subrev_u32_e32 v40, 28, v25
	v_sub_u32_e32 v25, 29, v25
	v_cmp_eq_u32_e32 vcc, 0, v22
	v_lshlrev_b64 v[46:47], v40, v[8:9]
	v_and_b32_e32 v40, 7, v46
	v_cndmask_b32_e32 v22, v22, v25, vcc
	v_lshlrev_b32_e32 v8, 8, v8
	v_lshl_add_u32 v22, v22, 10, v32
	v_cndmask_b32_e32 v16, v16, v40, vcc
	v_and_or_b32 v8, v8, s52, v22
	v_lshl_or_b32 v8, v16, 7, v8
	v_cvt_f32_f16_e32 v16, v8
.LBB313_722:                            ;   in Loop: Header=BB313_10 Depth=1
	s_or_b64 exec, exec, s[44:45]
	v_lshrrev_b32_e32 v8, 24, v12
	v_cmp_lt_i16_e32 vcc, s17, v8
	s_mov_b64 s[44:45], 0
                                        ; implicit-def: $sgpr53
	s_and_saveexec_b64 s[46:47], vcc
	s_xor_b64 s[46:47], exec, s[46:47]
	s_cbranch_execnz .LBB313_1000
; %bb.723:                              ;   in Loop: Header=BB313_10 Depth=1
	s_or_saveexec_b64 s[46:47], s[46:47]
	v_mov_b32_e32 v42, s53
	s_xor_b64 exec, exec, s[46:47]
	s_cbranch_execnz .LBB313_1003
.LBB313_724:                            ;   in Loop: Header=BB313_10 Depth=1
	s_or_b64 exec, exec, s[46:47]
	s_and_saveexec_b64 s[46:47], s[44:45]
	s_cbranch_execz .LBB313_726
.LBB313_725:                            ;   in Loop: Header=BB313_10 Depth=1
	v_bfe_u32 v22, v12, 24, 3
	v_ffbh_u32_e32 v25, v22
	v_bfe_u32 v12, v12, 27, 4
	v_min_u32_e32 v25, 32, v25
	v_subrev_u32_e32 v40, 28, v25
	v_sub_u32_e32 v25, 29, v25
	v_cmp_eq_u32_e32 vcc, 0, v12
	v_lshlrev_b64 v[46:47], v40, v[8:9]
	v_and_b32_e32 v40, 7, v46
	v_cndmask_b32_e32 v12, v12, v25, vcc
	v_lshlrev_b32_e32 v8, 8, v8
	v_lshl_add_u32 v12, v12, 10, v32
	v_cndmask_b32_e32 v22, v22, v40, vcc
	v_and_or_b32 v8, v8, s52, v12
	v_lshl_or_b32 v8, v22, 7, v8
	v_cvt_f32_f16_e32 v42, v8
.LBB313_726:                            ;   in Loop: Header=BB313_10 Depth=1
	s_or_b64 exec, exec, s[46:47]
	v_add_co_u32_e32 v46, vcc, 0x1000, v36
                                        ; implicit-def: $sgpr48
	s_nop 1
	v_addc_co_u32_e32 v47, vcc, 0, v37, vcc
	flat_load_dword v12, v[46:47] offset:3584
	s_mov_b64 vcc, 0
	s_waitcnt vmcnt(0) lgkmcnt(0)
	v_cmp_gt_i16_sdwa s[44:45], v12, s17 src0_sel:BYTE_0 src1_sel:DWORD
	s_and_saveexec_b64 s[46:47], s[44:45]
	s_xor_b64 s[44:45], exec, s[46:47]
	s_cbranch_execnz .LBB313_1004
; %bb.727:                              ;   in Loop: Header=BB313_10 Depth=1
	s_or_saveexec_b64 s[44:45], s[44:45]
	v_mov_b32_e32 v45, s48
	s_xor_b64 exec, exec, s[44:45]
	s_cbranch_execnz .LBB313_1007
.LBB313_728:                            ;   in Loop: Header=BB313_10 Depth=1
	s_or_b64 exec, exec, s[44:45]
	s_and_saveexec_b64 s[44:45], vcc
	s_cbranch_execz .LBB313_730
.LBB313_729:                            ;   in Loop: Header=BB313_10 Depth=1
	v_and_b32_e32 v8, 7, v12
	v_ffbh_u32_e32 v25, v8
	v_bfe_u32 v22, v12, 3, 4
	v_min_u32_e32 v25, 32, v25
	v_subrev_u32_e32 v40, 28, v25
	v_sub_u32_e32 v25, 29, v25
	v_cmp_eq_u32_e32 vcc, 0, v22
	v_lshlrev_b64 v[46:47], v40, v[12:13]
	v_and_b32_e32 v40, 7, v46
	v_cndmask_b32_e32 v22, v22, v25, vcc
	v_lshlrev_b32_e32 v25, 8, v12
	v_lshl_add_u32 v22, v22, 10, v32
	v_cndmask_b32_e32 v8, v8, v40, vcc
	v_and_or_b32 v22, v25, s52, v22
	v_lshl_or_b32 v8, v8, 7, v22
	v_cvt_f32_f16_e32 v45, v8
.LBB313_730:                            ;   in Loop: Header=BB313_10 Depth=1
	s_or_b64 exec, exec, s[44:45]
	v_lshrrev_b16_e32 v8, 8, v12
	v_lshl_add_u64 v[36:37], v[36:37], 0, s[42:43]
	v_cmp_lt_i16_e32 vcc, s17, v8
	s_mov_b64 s[44:45], 0
                                        ; implicit-def: $sgpr53
	s_and_saveexec_b64 s[46:47], vcc
	s_xor_b64 s[46:47], exec, s[46:47]
	s_cbranch_execnz .LBB313_1008
; %bb.731:                              ;   in Loop: Header=BB313_10 Depth=1
	s_or_saveexec_b64 s[46:47], s[46:47]
	v_mov_b32_e32 v46, s53
	s_xor_b64 exec, exec, s[46:47]
	s_cbranch_execnz .LBB313_1011
.LBB313_732:                            ;   in Loop: Header=BB313_10 Depth=1
	s_or_b64 exec, exec, s[46:47]
	s_and_saveexec_b64 s[46:47], s[44:45]
	s_cbranch_execz .LBB313_734
.LBB313_733:                            ;   in Loop: Header=BB313_10 Depth=1
	v_and_b32_e32 v22, 7, v8
	v_ffbh_u32_e32 v40, v22
	v_bfe_u32 v25, v8, 3, 4
	v_min_u32_e32 v40, 32, v40
	v_subrev_u32_e32 v46, 28, v40
	v_sub_u32_e32 v40, 29, v40
	v_cmp_eq_u32_e32 vcc, 0, v25
	v_lshlrev_b64 v[46:47], v46, v[8:9]
	v_and_b32_e32 v46, 7, v46
	v_cndmask_b32_e32 v25, v25, v40, vcc
	v_lshlrev_b32_e32 v8, 8, v8
	v_lshl_add_u32 v25, v25, 10, v32
	v_cndmask_b32_e32 v22, v22, v46, vcc
	v_and_or_b32 v8, v8, s52, v25
	v_lshl_or_b32 v8, v22, 7, v8
	v_cvt_f32_f16_e32 v46, v8
.LBB313_734:                            ;   in Loop: Header=BB313_10 Depth=1
	s_or_b64 exec, exec, s[46:47]
	v_lshrrev_b32_e32 v8, 16, v12
	v_cmp_gt_i16_sdwa s[44:45], v8, s17 src0_sel:BYTE_0 src1_sel:DWORD
	s_mov_b64 vcc, 0
                                        ; implicit-def: $sgpr48
	s_and_saveexec_b64 s[46:47], s[44:45]
	s_xor_b64 s[44:45], exec, s[46:47]
	s_cbranch_execnz .LBB313_1012
; %bb.735:                              ;   in Loop: Header=BB313_10 Depth=1
	s_or_saveexec_b64 s[44:45], s[44:45]
	v_mov_b32_e32 v47, s48
	s_xor_b64 exec, exec, s[44:45]
	s_cbranch_execnz .LBB313_1015
.LBB313_736:                            ;   in Loop: Header=BB313_10 Depth=1
	s_or_b64 exec, exec, s[44:45]
	s_and_saveexec_b64 s[44:45], vcc
	s_cbranch_execz .LBB313_738
.LBB313_737:                            ;   in Loop: Header=BB313_10 Depth=1
	v_bfe_u32 v22, v12, 16, 3
	v_ffbh_u32_e32 v40, v22
	v_bfe_u32 v25, v12, 19, 4
	v_min_u32_e32 v40, 32, v40
	v_subrev_u32_e32 v47, 28, v40
	v_sub_u32_e32 v40, 29, v40
	v_cmp_eq_u32_e32 vcc, 0, v25
	v_lshlrev_b64 v[60:61], v47, v[8:9]
	v_and_b32_e32 v47, 7, v60
	v_cndmask_b32_e32 v25, v25, v40, vcc
	v_lshlrev_b32_e32 v8, 8, v8
	v_lshl_add_u32 v25, v25, 10, v32
	v_cndmask_b32_e32 v22, v22, v47, vcc
	v_and_or_b32 v8, v8, s52, v25
	v_lshl_or_b32 v8, v22, 7, v8
	v_cvt_f32_f16_e32 v47, v8
.LBB313_738:                            ;   in Loop: Header=BB313_10 Depth=1
	s_or_b64 exec, exec, s[44:45]
	v_lshrrev_b32_e32 v8, 24, v12
	v_cmp_lt_i16_e32 vcc, s17, v8
	s_mov_b64 s[44:45], 0
                                        ; implicit-def: $sgpr53
	s_and_saveexec_b64 s[46:47], vcc
	s_xor_b64 s[46:47], exec, s[46:47]
	s_cbranch_execnz .LBB313_1016
; %bb.739:                              ;   in Loop: Header=BB313_10 Depth=1
	s_or_saveexec_b64 s[46:47], s[46:47]
	v_mov_b32_e32 v40, s53
	s_xor_b64 exec, exec, s[46:47]
	s_cbranch_execnz .LBB313_1019
.LBB313_740:                            ;   in Loop: Header=BB313_10 Depth=1
	s_or_b64 exec, exec, s[46:47]
	s_and_saveexec_b64 s[46:47], s[44:45]
	s_cbranch_execz .LBB313_742
.LBB313_741:                            ;   in Loop: Header=BB313_10 Depth=1
	v_bfe_u32 v22, v12, 24, 3
	v_ffbh_u32_e32 v25, v22
	v_bfe_u32 v12, v12, 27, 4
	v_min_u32_e32 v25, 32, v25
	v_subrev_u32_e32 v40, 28, v25
	v_sub_u32_e32 v25, 29, v25
	v_cmp_eq_u32_e32 vcc, 0, v12
	v_lshlrev_b64 v[60:61], v40, v[8:9]
	v_and_b32_e32 v40, 7, v60
	v_cndmask_b32_e32 v12, v12, v25, vcc
	v_lshlrev_b32_e32 v8, 8, v8
	v_lshl_add_u32 v12, v12, 10, v32
	v_cndmask_b32_e32 v22, v22, v40, vcc
	v_and_or_b32 v8, v8, s52, v12
	v_lshl_or_b32 v8, v22, 7, v8
	v_cvt_f32_f16_e32 v40, v8
.LBB313_742:                            ;   in Loop: Header=BB313_10 Depth=1
	s_or_b64 exec, exec, s[46:47]
	flat_load_dword v12, v[36:37] offset:8
	s_mov_b64 vcc, 0
                                        ; implicit-def: $sgpr48
	s_waitcnt vmcnt(0) lgkmcnt(0)
	v_cmp_gt_i16_sdwa s[44:45], v12, s17 src0_sel:BYTE_0 src1_sel:DWORD
	s_and_saveexec_b64 s[46:47], s[44:45]
	s_xor_b64 s[44:45], exec, s[46:47]
	s_cbranch_execnz .LBB313_1020
; %bb.743:                              ;   in Loop: Header=BB313_10 Depth=1
	s_or_saveexec_b64 s[44:45], s[44:45]
	v_mov_b32_e32 v37, s48
	s_xor_b64 exec, exec, s[44:45]
	s_cbranch_execnz .LBB313_1023
.LBB313_744:                            ;   in Loop: Header=BB313_10 Depth=1
	s_or_b64 exec, exec, s[44:45]
	s_and_saveexec_b64 s[44:45], vcc
	s_cbranch_execz .LBB313_746
.LBB313_745:                            ;   in Loop: Header=BB313_10 Depth=1
	v_and_b32_e32 v8, 7, v12
	v_ffbh_u32_e32 v25, v8
	v_bfe_u32 v22, v12, 3, 4
	v_min_u32_e32 v25, 32, v25
	v_subrev_u32_e32 v36, 28, v25
	v_sub_u32_e32 v25, 29, v25
	v_cmp_eq_u32_e32 vcc, 0, v22
	v_lshlrev_b64 v[36:37], v36, v[12:13]
	v_and_b32_e32 v36, 7, v36
	v_cndmask_b32_e32 v22, v22, v25, vcc
	v_lshlrev_b32_e32 v25, 8, v12
	v_lshl_add_u32 v22, v22, 10, v32
	v_cndmask_b32_e32 v8, v8, v36, vcc
	v_and_or_b32 v22, v25, s52, v22
	v_lshl_or_b32 v8, v8, 7, v22
	v_cvt_f32_f16_e32 v37, v8
.LBB313_746:                            ;   in Loop: Header=BB313_10 Depth=1
	s_or_b64 exec, exec, s[44:45]
	v_lshrrev_b16_e32 v8, 8, v12
	v_cmp_lt_i16_e32 vcc, s17, v8
	s_mov_b64 s[44:45], 0
                                        ; implicit-def: $sgpr53
	s_and_saveexec_b64 s[46:47], vcc
	s_xor_b64 s[46:47], exec, s[46:47]
	s_cbranch_execnz .LBB313_1024
; %bb.747:                              ;   in Loop: Header=BB313_10 Depth=1
	s_or_saveexec_b64 s[46:47], s[46:47]
	v_mov_b32_e32 v36, s53
	s_xor_b64 exec, exec, s[46:47]
	s_cbranch_execnz .LBB313_1027
.LBB313_748:                            ;   in Loop: Header=BB313_10 Depth=1
	s_or_b64 exec, exec, s[46:47]
	s_and_saveexec_b64 s[46:47], s[44:45]
	s_cbranch_execz .LBB313_750
.LBB313_749:                            ;   in Loop: Header=BB313_10 Depth=1
	v_and_b32_e32 v22, 7, v8
	v_ffbh_u32_e32 v36, v22
	v_bfe_u32 v25, v8, 3, 4
	v_min_u32_e32 v36, 32, v36
	v_accvgpr_write_b32 a42, v59
	v_subrev_u32_e32 v59, 28, v36
	v_sub_u32_e32 v36, 29, v36
	v_cmp_eq_u32_e32 vcc, 0, v25
	v_lshlrev_b64 v[60:61], v59, v[8:9]
	v_and_b32_e32 v59, 7, v60
	v_cndmask_b32_e32 v25, v25, v36, vcc
	v_lshlrev_b32_e32 v8, 8, v8
	v_lshl_add_u32 v25, v25, 10, v32
	v_cndmask_b32_e32 v22, v22, v59, vcc
	v_and_or_b32 v8, v8, s52, v25
	v_lshl_or_b32 v8, v22, 7, v8
	v_cvt_f32_f16_e32 v36, v8
	v_accvgpr_read_b32 v59, a42
.LBB313_750:                            ;   in Loop: Header=BB313_10 Depth=1
	s_or_b64 exec, exec, s[46:47]
	v_lshrrev_b32_e32 v8, 16, v12
	v_cmp_gt_i16_sdwa s[44:45], v8, s17 src0_sel:BYTE_0 src1_sel:DWORD
	s_mov_b64 vcc, 0
                                        ; implicit-def: $sgpr48
	s_and_saveexec_b64 s[46:47], s[44:45]
	s_xor_b64 s[44:45], exec, s[46:47]
	s_cbranch_execnz .LBB313_1028
; %bb.751:                              ;   in Loop: Header=BB313_10 Depth=1
	s_or_saveexec_b64 s[44:45], s[44:45]
	v_mov_b32_e32 v22, s48
	s_xor_b64 exec, exec, s[44:45]
	s_cbranch_execnz .LBB313_1031
.LBB313_752:                            ;   in Loop: Header=BB313_10 Depth=1
	s_or_b64 exec, exec, s[44:45]
	s_and_saveexec_b64 s[44:45], vcc
	s_cbranch_execz .LBB313_754
.LBB313_753:                            ;   in Loop: Header=BB313_10 Depth=1
	v_bfe_u32 v22, v12, 16, 3
	v_accvgpr_write_b32 a42, v59
	v_ffbh_u32_e32 v59, v22
	v_bfe_u32 v25, v12, 19, 4
	v_min_u32_e32 v59, 32, v59
	v_subrev_u32_e32 v60, 28, v59
	v_sub_u32_e32 v59, 29, v59
	v_cmp_eq_u32_e32 vcc, 0, v25
	v_lshlrev_b64 v[60:61], v60, v[8:9]
	v_and_b32_e32 v60, 7, v60
	v_cndmask_b32_e32 v25, v25, v59, vcc
	v_lshlrev_b32_e32 v8, 8, v8
	v_lshl_add_u32 v25, v25, 10, v32
	v_cndmask_b32_e32 v22, v22, v60, vcc
	v_and_or_b32 v8, v8, s52, v25
	v_lshl_or_b32 v8, v22, 7, v8
	v_cvt_f32_f16_e32 v22, v8
	v_accvgpr_read_b32 v59, a42
.LBB313_754:                            ;   in Loop: Header=BB313_10 Depth=1
	s_or_b64 exec, exec, s[44:45]
	v_lshrrev_b32_e32 v8, 24, v12
	v_cmp_lt_i16_e32 vcc, s17, v8
	s_mov_b64 s[44:45], 0
                                        ; implicit-def: $sgpr53
	s_and_saveexec_b64 s[46:47], vcc
	s_xor_b64 s[46:47], exec, s[46:47]
	s_cbranch_execnz .LBB313_1032
; %bb.755:                              ;   in Loop: Header=BB313_10 Depth=1
	s_or_saveexec_b64 s[46:47], s[46:47]
	v_mov_b32_e32 v25, s53
	s_xor_b64 exec, exec, s[46:47]
	s_cbranch_execnz .LBB313_1035
.LBB313_756:                            ;   in Loop: Header=BB313_10 Depth=1
	s_or_b64 exec, exec, s[46:47]
	v_accvgpr_write_b32 a42, v59
	s_and_saveexec_b64 s[46:47], s[44:45]
	s_cbranch_execz .LBB313_758
.LBB313_757:                            ;   in Loop: Header=BB313_10 Depth=1
	v_bfe_u32 v25, v12, 24, 3
	v_ffbh_u32_e32 v59, v25
	v_bfe_u32 v12, v12, 27, 4
	v_min_u32_e32 v59, 32, v59
	v_subrev_u32_e32 v60, 28, v59
	v_sub_u32_e32 v59, 29, v59
	v_cmp_eq_u32_e32 vcc, 0, v12
	v_lshlrev_b64 v[60:61], v60, v[8:9]
	v_and_b32_e32 v60, 7, v60
	v_cndmask_b32_e32 v12, v12, v59, vcc
	v_lshlrev_b32_e32 v8, 8, v8
	v_lshl_add_u32 v12, v12, 10, v32
	v_cndmask_b32_e32 v25, v25, v60, vcc
	v_and_or_b32 v8, v8, s52, v12
	v_lshl_or_b32 v8, v25, 7, v8
	v_cvt_f32_f16_e32 v25, v8
.LBB313_758:                            ;   in Loop: Header=BB313_10 Depth=1
	s_or_b64 exec, exec, s[46:47]
	v_fma_mixlo_f16 v0, v4, v0, 0
	v_accvgpr_write_b32 a59, v0
	v_fma_mixlo_f16 v0, v4, v18, 0
	v_accvgpr_write_b32 a60, v0
	;; [unrolled: 2-line block ×35, first 2 shown]
	scratch_load_dword v0, off, s32 offset:452 ; 4-byte Folded Reload
	v_fma_mixlo_f16 v8, v4, v46, 0
	scratch_store_dword off, v8, s32 offset:524 ; 4-byte Folded Spill
	v_fma_mixlo_f16 v8, v4, v45, 0
	v_fma_mixlo_f16 v3, v4, v3, 0
	v_accvgpr_write_b32 a61, v3
	v_fma_mixlo_f16 v3, v4, v34, 0
	v_accvgpr_write_b32 a63, v3
	v_fma_mixlo_f16 v3, v4, v51, 0
	scratch_store_dword off, v8, s32 offset:528 ; 4-byte Folded Spill
	v_fma_mixlo_f16 v8, v4, v47, 0
	scratch_store_dword off, v8, s32 offset:516 ; 4-byte Folded Spill
	;; [unrolled: 2-line block ×7, first 2 shown]
	v_fma_mixlo_f16 v8, v4, v27, 0
	v_accvgpr_write_b32 a62, v8
	scratch_store_dword off, v3, s32 offset:548 ; 4-byte Folded Spill
	v_fma_mixlo_f16 v3, v4, v7, 0
	v_accvgpr_write_b32 a58, v3
	v_fma_mixlo_f16 v3, v4, v10, 0
	v_accvgpr_write_b32 a57, v3
	scratch_load_dword v6, off, s32 offset:276 ; 4-byte Folded Reload
	s_waitcnt vmcnt(10)
	v_fma_mixlo_f16 v0, v4, v0, 0
	v_accvgpr_write_b32 a39, v0
	v_fma_mixlo_f16 v0, v4, v44, 0
	v_accvgpr_write_b32 a14, v0
	;; [unrolled: 2-line block ×3, first 2 shown]
	scratch_load_dword v0, off, s32 offset:448 ; 4-byte Folded Reload
	s_waitcnt vmcnt(1)
	v_fma_mixlo_f16 v62, v4, v6, 0
	scratch_load_dword v6, off, s32 offset:500 ; 4-byte Folded Reload
	s_waitcnt vmcnt(1)
	v_fma_mixlo_f16 v0, v4, v0, 0
	v_accvgpr_write_b32 a52, v0
	scratch_load_dword v0, off, s32 offset:444 ; 4-byte Folded Reload
	s_waitcnt vmcnt(1)
	v_fma_mixlo_f16 v53, v4, v6, 0
	scratch_load_dword v6, off, s32 offset:280 ; 4-byte Folded Reload
	s_waitcnt vmcnt(1)
	v_fma_mixlo_f16 v0, v4, v0, 0
	v_accvgpr_write_b32 a36, v0
	v_accvgpr_read_b32 v0, a53
	v_fma_mixlo_f16 v0, v4, v0, 0
	v_accvgpr_write_b32 a51, v0
	v_accvgpr_read_b32 v0, a54
	v_fma_mixlo_f16 v0, v4, v0, 0
	v_accvgpr_write_b32 a53, v0
	scratch_load_dword v0, off, s32 offset:440 ; 4-byte Folded Reload
	s_waitcnt vmcnt(1)
	v_fma_mixlo_f16 v50, v4, v6, 0
	scratch_load_dword v6, off, s32 offset:284 ; 4-byte Folded Reload
	s_waitcnt vmcnt(1)
	v_fma_mixlo_f16 v0, v4, v0, 0
	v_accvgpr_write_b32 a13, v0
	scratch_load_dword v0, off, s32 offset:428 ; 4-byte Folded Reload
	s_waitcnt vmcnt(1)
	v_fma_mixlo_f16 v61, v4, v6, 0
	scratch_load_dword v6, off, s32 offset:264 ; 4-byte Folded Reload
	s_waitcnt vmcnt(1)
	;; [unrolled: 7-line block ×3, first 2 shown]
	v_fma_mixlo_f16 v0, v4, v0, 0
	v_accvgpr_write_b32 a54, v0
	scratch_load_dword v0, off, s32 offset:436 ; 4-byte Folded Reload
	s_waitcnt vmcnt(1)
	v_fma_mixlo_f16 v19, v4, v6, 0
	scratch_load_dword v6, off, s32 offset:268 ; 4-byte Folded Reload
	v_and_b32_e32 v19, 0xffff, v19
	s_waitcnt vmcnt(1)
	v_fma_mixlo_f16 v0, v4, v0, 0
	v_accvgpr_write_b32 a37, v0
	scratch_load_dword v0, off, s32 offset:424 ; 4-byte Folded Reload
	s_waitcnt vmcnt(1)
	v_fma_mixlo_f16 v17, v4, v6, 0
	scratch_load_dword v6, off, s32 offset:272 ; 4-byte Folded Reload
	v_and_b32_e32 v17, 0xffff, v17
	s_waitcnt vmcnt(1)
	v_fma_mixlo_f16 v0, v4, v0, 0
	v_accvgpr_write_b32 a9, v0
	scratch_load_dword v0, off, s32 offset:420 ; 4-byte Folded Reload
	s_waitcnt vmcnt(1)
	v_fma_mixlo_f16 v44, v4, v6, 0
	scratch_load_dword v6, off, s32 offset:252 ; 4-byte Folded Reload
	s_waitcnt vmcnt(1)
	v_fma_mixlo_f16 v0, v4, v0, 0
	v_accvgpr_write_b32 a8, v0
	v_accvgpr_read_b32 v0, a0
	v_fma_mixlo_f16 v0, v4, v0, 0
	v_accvgpr_write_b32 a10, v0
	v_accvgpr_read_b32 v0, a1
	v_fma_mixlo_f16 v0, v4, v0, 0
	v_accvgpr_write_b32 a11, v0
	scratch_load_dword v0, off, s32 offset:416 ; 4-byte Folded Reload
	s_waitcnt vmcnt(1)
	v_fma_mixlo_f16 v52, v4, v6, 0
	scratch_load_dword v6, off, s32 offset:492 ; 4-byte Folded Reload
	s_waitcnt vmcnt(1)
	v_fma_mixlo_f16 v0, v4, v0, 0
	v_accvgpr_write_b32 a5, v0
	scratch_load_dword v0, off, s32 offset:404 ; 4-byte Folded Reload
	s_waitcnt vmcnt(1)
	v_fma_mixlo_f16 v11, v4, v6, 0
	scratch_load_dword v6, off, s32 offset:256 ; 4-byte Folded Reload
	v_and_b32_e32 v11, 0xffff, v11
	s_waitcnt vmcnt(1)
	v_fma_mixlo_f16 v0, v4, v0, 0
	v_accvgpr_write_b32 a4, v0
	scratch_load_dword v0, off, s32 offset:408 ; 4-byte Folded Reload
	s_waitcnt vmcnt(1)
	v_fma_mixlo_f16 v35, v4, v6, 0
	scratch_load_dword v6, off, s32 offset:260 ; 4-byte Folded Reload
	s_waitcnt vmcnt(1)
	v_fma_mixlo_f16 v0, v4, v0, 0
	v_accvgpr_write_b32 a6, v0
	scratch_load_dword v0, off, s32 offset:412 ; 4-byte Folded Reload
	s_waitcnt vmcnt(1)
	v_fma_mixlo_f16 v28, v4, v6, 0
	scratch_load_dword v6, off, s32 offset:240 ; 4-byte Folded Reload
	;; [unrolled: 7-line block ×7, first 2 shown]
	s_waitcnt vmcnt(1)
	v_fma_mixlo_f16 v45, v4, v0, 0
	scratch_load_dword v0, off, s32 offset:372 ; 4-byte Folded Reload
	s_waitcnt vmcnt(1)
	v_fma_mixlo_f16 v21, v4, v6, 0
	scratch_load_dword v6, off, s32 offset:232 ; 4-byte Folded Reload
	;; [unrolled: 3-line block ×4, first 2 shown]
	v_and_b32_e32 v15, 0xffff, v15
	s_waitcnt vmcnt(1)
	v_fma_mixlo_f16 v47, v4, v0, 0
	scratch_load_dword v0, off, s32 offset:380 ; 4-byte Folded Reload
	s_waitcnt vmcnt(1)
	v_fma_mixlo_f16 v14, v4, v6, 0
	v_accvgpr_read_b32 v6, a42
	v_fma_mixlo_f16 v56, v4, v6, 0
	scratch_load_dword v6, off, s32 offset:480 ; 4-byte Folded Reload
	v_and_b32_e32 v14, 0xffff, v14
	s_waitcnt vmcnt(1)
	v_fma_mixlo_f16 v46, v4, v0, 0
	scratch_load_dword v0, off, s32 offset:368 ; 4-byte Folded Reload
	s_waitcnt vmcnt(1)
	v_fma_mixlo_f16 v10, v4, v6, 0
	scratch_load_dword v6, off, s32 offset:220 ; 4-byte Folded Reload
	;; [unrolled: 3-line block ×5, first 2 shown]
	s_waitcnt vmcnt(1)
	v_fma_mixlo_f16 v23, v4, v6, 0
	v_fma_mixlo_f16 v6, v4, v36, 0
	scratch_store_dword off, v6, s32 offset:228 ; 4-byte Folded Spill
	v_fma_mixlo_f16 v6, v4, v37, 0
	v_accvgpr_write_b32 a42, v6
	v_fma_mixlo_f16 v6, v4, v22, 0
	scratch_store_dword off, v6, s32 offset:224 ; 4-byte Folded Spill
	scratch_load_dword v6, off, s32 offset:568 ; 4-byte Folded Reload
	s_waitcnt vmcnt(3)
	v_fma_mixlo_f16 v38, v4, v0, 0
	scratch_load_dword v0, off, s32 offset:364 ; 4-byte Folded Reload
	s_waitcnt vmcnt(1)
	ds_read_b64 v[36:37], v6
	s_waitcnt lgkmcnt(0)
	v_and_b32_e32 v22, 0xffff, v36
	s_waitcnt vmcnt(0)
	v_fma_mixlo_f16 v39, v4, v0, 0
	scratch_load_dword v0, off, s32 offset:352 ; 4-byte Folded Reload
	s_waitcnt vmcnt(0)
	v_fma_mixlo_f16 v33, v4, v0, 0
	scratch_load_dword v0, off, s32 offset:340 ; 4-byte Folded Reload
	;; [unrolled: 3-line block ×14, first 2 shown]
	v_and_b32_e32 v2, 0xffff, v2
	s_waitcnt vmcnt(0)
	v_fma_mixlo_f16 v1, v4, v0, 0
	scratch_load_dword v0, off, s32 offset:304 ; 4-byte Folded Reload
	v_and_b32_e32 v1, 0xffff, v1
	s_waitcnt vmcnt(0)
	v_fma_mixlo_f16 v3, v4, v0, 0
	scratch_load_dword v0, off, s32 offset:308 ; 4-byte Folded Reload
	s_waitcnt vmcnt(0)
	v_fma_mixlo_f16 v5, v4, v0, 0
	scratch_load_dword v0, off, s32 offset:288 ; 4-byte Folded Reload
	;; [unrolled: 3-line block ×5, first 2 shown]
	s_waitcnt vmcnt(0)
	v_fma_mixlo_f16 v0, v4, v0, 0
	v_fma_mixlo_f16 v4, v4, v25, 0
	scratch_store_dword off, v4, s32 offset:220 ; 4-byte Folded Spill
	v_lshrrev_b32_e32 v4, 16, v36
	;;#ASMSTART
	v_cvt_f32_f16 v25, v22;
	;;#ASMEND
	;;#ASMSTART
	v_cvt_f32_f16 v36, v4;
	;;#ASMEND
	v_and_b32_e32 v0, 0xffff, v0
	v_and_b32_e32 v4, 0xffff, v10
	;;#ASMSTART
	v_cvt_f32_f16 v10, v4;
	;;#ASMEND
	v_and_b32_e32 v22, 0xffff, v37
	v_and_b32_e32 v4, 0xffff, v56
	;;#ASMSTART
	v_cvt_f32_f16 v56, v4;
	;;#ASMEND
	v_lshrrev_b32_e32 v4, 16, v37
	;;#ASMSTART
	v_cvt_f32_f16 v37, v22;
	;;#ASMEND
	;;#ASMSTART
	v_cvt_f32_f16 v20, v4;
	;;#ASMEND
	v_and_b32_e32 v4, 0xffff, v40
	;;#ASMSTART
	v_cvt_f32_f16 v40, v4;
	;;#ASMEND
	v_and_b32_e32 v4, 0xffff, v23
	;;#ASMSTART
	v_cvt_f32_f16 v41, v4;
	;;#ASMEND
	ds_read_b64 v[22:23], v6 offset:8
	s_waitcnt lgkmcnt(0)
	v_lshrrev_b32_e32 v4, 16, v22
	v_and_b32_e32 v22, 0xffff, v22
	;;#ASMSTART
	v_cvt_f32_f16 v22, v22;
	;;#ASMEND
	;;#ASMSTART
	v_cvt_f32_f16 v57, v4;
	;;#ASMEND
	v_and_b32_e32 v4, 0xffff, v21
	v_and_b32_e32 v21, 0xffff, v24
	;;#ASMSTART
	v_cvt_f32_f16 v4, v4;
	;;#ASMEND
	;;#ASMSTART
	v_cvt_f32_f16 v21, v21;
	;;#ASMEND
	s_nop 0
	v_mul_f32_e32 v4, v22, v4
	v_fmac_f32_e32 v4, v25, v10
	v_mul_f32_e32 v25, v57, v21
	v_lshrrev_b32_e32 v10, 16, v23
	v_and_b32_e32 v21, 0xffff, v23
	;;#ASMSTART
	v_cvt_f32_f16 v21, v21;
	;;#ASMEND
	;;#ASMSTART
	v_cvt_f32_f16 v10, v10;
	;;#ASMEND
	;; [unrolled: 3-line block ×4, first 2 shown]
	v_fmac_f32_e32 v25, v36, v56
	v_mul_f32_e32 v14, v21, v15
	v_mul_f32_e32 v15, v10, v22
	ds_read_b64 v[22:23], v6 offset:16
	v_and_b32_e32 v21, 0xffff, v43
	v_fmac_f32_e32 v14, v37, v40
	v_fmac_f32_e32 v15, v20, v41
	s_waitcnt lgkmcnt(0)
	v_lshrrev_b32_e32 v10, 16, v22
	v_and_b32_e32 v20, 0xffff, v22
	v_and_b32_e32 v22, 0xffff, v48
	;;#ASMSTART
	v_cvt_f32_f16 v20, v20;
	;;#ASMEND
	;;#ASMSTART
	v_cvt_f32_f16 v10, v10;
	;;#ASMEND
	;;#ASMSTART
	v_cvt_f32_f16 v21, v21;
	;;#ASMEND
	;;#ASMSTART
	v_cvt_f32_f16 v22, v22;
	;;#ASMEND
	s_nop 0
	v_fmac_f32_e32 v4, v20, v21
	v_fmac_f32_e32 v25, v10, v22
	v_lshrrev_b32_e32 v10, 16, v23
	v_and_b32_e32 v20, 0xffff, v23
	v_and_b32_e32 v21, 0xffff, v29
	v_and_b32_e32 v22, 0xffff, v55
	;;#ASMSTART
	v_cvt_f32_f16 v20, v20;
	;;#ASMEND
	;;#ASMSTART
	v_cvt_f32_f16 v10, v10;
	;;#ASMEND
	;;#ASMSTART
	v_cvt_f32_f16 v21, v21;
	;;#ASMEND
	;;#ASMSTART
	v_cvt_f32_f16 v22, v22;
	;;#ASMEND
	s_nop 0
	v_fmac_f32_e32 v15, v10, v22
	v_fmac_f32_e32 v14, v20, v21
	ds_read_b64 v[22:23], v6 offset:24
	v_and_b32_e32 v21, 0xffff, v52
	s_waitcnt lgkmcnt(0)
	v_lshrrev_b32_e32 v10, 16, v22
	v_and_b32_e32 v20, 0xffff, v22
	;;#ASMSTART
	v_cvt_f32_f16 v20, v20;
	;;#ASMEND
	;;#ASMSTART
	v_cvt_f32_f16 v10, v10;
	;;#ASMEND
	;;#ASMSTART
	v_cvt_f32_f16 v11, v11;
	;;#ASMEND
	;;#ASMSTART
	v_cvt_f32_f16 v21, v21;
	;;#ASMEND
	s_nop 0
	v_fmac_f32_e32 v4, v20, v11
	v_fmac_f32_e32 v25, v10, v21
	v_lshrrev_b32_e32 v10, 16, v23
	v_and_b32_e32 v11, 0xffff, v23
	v_and_b32_e32 v20, 0xffff, v35
	v_and_b32_e32 v21, 0xffff, v28
	;;#ASMSTART
	v_cvt_f32_f16 v11, v11;
	;;#ASMEND
	;;#ASMSTART
	v_cvt_f32_f16 v10, v10;
	;;#ASMEND
	;;#ASMSTART
	v_cvt_f32_f16 v20, v20;
	;;#ASMEND
	;;#ASMSTART
	v_cvt_f32_f16 v21, v21;
	;;#ASMEND
	s_nop 0
	v_fmac_f32_e32 v14, v11, v20
	v_fmac_f32_e32 v15, v10, v21
	ds_read_b64 v[10:11], v6 offset:32
	v_and_b32_e32 v21, 0xffff, v26
	s_waitcnt lgkmcnt(0)
	v_lshrrev_b32_e32 v20, 16, v10
	;; [unrolled: 39-line block ×3, first 2 shown]
	v_and_b32_e32 v10, 0xffff, v10
	;;#ASMSTART
	v_cvt_f32_f16 v10, v10;
	;;#ASMEND
	;;#ASMSTART
	v_cvt_f32_f16 v17, v17;
	;;#ASMEND
	;; [unrolled: 3-line block ×4, first 2 shown]
	s_nop 0
	v_fmac_f32_e32 v4, v10, v19
	v_fmac_f32_e32 v25, v17, v20
	v_lshrrev_b32_e32 v10, 16, v11
	v_and_b32_e32 v11, 0xffff, v11
	v_and_b32_e32 v17, 0xffff, v50
	;; [unrolled: 1-line block ×4, first 2 shown]
	;;#ASMSTART
	v_cvt_f32_f16 v11, v11;
	;;#ASMEND
	;;#ASMSTART
	v_cvt_f32_f16 v10, v10;
	;;#ASMEND
	;; [unrolled: 3-line block ×4, first 2 shown]
	s_nop 0
	v_fmac_f32_e32 v14, v11, v17
	v_fmac_f32_e32 v15, v10, v19
	ds_read_b64 v[10:11], v6 offset:48
	v_and_b32_e32 v19, 0xffff, v31
	s_waitcnt lgkmcnt(0)
	v_lshrrev_b32_e32 v17, 16, v10
	v_and_b32_e32 v10, 0xffff, v10
	;;#ASMSTART
	v_cvt_f32_f16 v10, v10;
	;;#ASMEND
	;;#ASMSTART
	v_cvt_f32_f16 v17, v17;
	;;#ASMEND
	;; [unrolled: 3-line block ×4, first 2 shown]
	s_nop 0
	v_fmac_f32_e32 v4, v10, v19
	v_fmac_f32_e32 v25, v17, v20
	v_lshrrev_b32_e32 v10, 16, v11
	v_and_b32_e32 v11, 0xffff, v11
	v_and_b32_e32 v17, 0xffff, v54
	;;#ASMSTART
	v_cvt_f32_f16 v11, v11;
	;;#ASMEND
	;;#ASMSTART
	v_cvt_f32_f16 v10, v10;
	;;#ASMEND
	;;#ASMSTART
	v_cvt_f32_f16 v17, v17;
	;;#ASMEND
	;;#ASMSTART
	v_cvt_f32_f16 v0, v0;
	;;#ASMEND
	s_nop 0
	v_fmac_f32_e32 v14, v11, v17
	v_fmac_f32_e32 v15, v10, v0
	ds_read_b64 v[10:11], v6 offset:56
	s_waitcnt lgkmcnt(0)
	v_lshrrev_b32_e32 v0, 16, v10
	v_and_b32_e32 v10, 0xffff, v10
	;;#ASMSTART
	v_cvt_f32_f16 v10, v10;
	;;#ASMEND
	;;#ASMSTART
	v_cvt_f32_f16 v0, v0;
	;;#ASMEND
	;;#ASMSTART
	v_cvt_f32_f16 v1, v1;
	;;#ASMEND
	;;#ASMSTART
	v_cvt_f32_f16 v2, v2;
	;;#ASMEND
	s_nop 0
	v_fmac_f32_e32 v4, v10, v1
	v_fmac_f32_e32 v25, v0, v2
	v_lshrrev_b32_e32 v0, 16, v11
	v_and_b32_e32 v1, 0xffff, v11
	v_and_b32_e32 v2, 0xffff, v3
	v_and_b32_e32 v3, 0xffff, v5
	v_and_b32_e32 v5, 0xffff, v8
	;;#ASMSTART
	v_cvt_f32_f16 v1, v1;
	;;#ASMEND
	;;#ASMSTART
	v_cvt_f32_f16 v0, v0;
	;;#ASMEND
	;;#ASMSTART
	v_cvt_f32_f16 v2, v2;
	;;#ASMEND
	;;#ASMSTART
	v_cvt_f32_f16 v3, v3;
	;;#ASMEND
	s_nop 0
	v_fmac_f32_e32 v14, v1, v2
	v_fmac_f32_e32 v15, v0, v3
	ds_read_b64 v[0:1], v6 offset:64
	v_and_b32_e32 v3, 0xffff, v7
	s_waitcnt lgkmcnt(0)
	v_lshrrev_b32_e32 v2, 16, v0
	v_and_b32_e32 v0, 0xffff, v0
	;;#ASMSTART
	v_cvt_f32_f16 v0, v0;
	;;#ASMEND
	;;#ASMSTART
	v_cvt_f32_f16 v2, v2;
	;;#ASMEND
	;;#ASMSTART
	v_cvt_f32_f16 v3, v3;
	;;#ASMEND
	;;#ASMSTART
	v_cvt_f32_f16 v5, v5;
	;;#ASMEND
	s_nop 0
	v_fmac_f32_e32 v4, v0, v3
	v_fmac_f32_e32 v25, v2, v5
	v_lshrrev_b32_e32 v0, 16, v1
	v_and_b32_e32 v1, 0xffff, v1
	v_and_b32_e32 v2, 0xffff, v16
	v_and_b32_e32 v3, 0xffff, v12
	v_and_b32_e32 v5, 0xffff, v49
	;;#ASMSTART
	v_cvt_f32_f16 v1, v1;
	;;#ASMEND
	;;#ASMSTART
	v_cvt_f32_f16 v0, v0;
	;;#ASMEND
	;;#ASMSTART
	v_cvt_f32_f16 v2, v2;
	;;#ASMEND
	;;#ASMSTART
	v_cvt_f32_f16 v3, v3;
	;;#ASMEND
	s_nop 0
	v_fmac_f32_e32 v14, v1, v2
	v_fmac_f32_e32 v15, v0, v3
	ds_read_b64 v[0:1], v6 offset:72
	v_and_b32_e32 v3, 0xffff, v59
	;; [unrolled: 40-line block ×5, first 2 shown]
	s_waitcnt lgkmcnt(0)
	v_lshrrev_b32_e32 v2, 16, v0
	v_and_b32_e32 v0, 0xffff, v0
	;;#ASMSTART
	v_cvt_f32_f16 v0, v0;
	;;#ASMEND
	;;#ASMSTART
	v_cvt_f32_f16 v2, v2;
	;;#ASMEND
	;; [unrolled: 3-line block ×4, first 2 shown]
	s_nop 0
	v_fmac_f32_e32 v4, v0, v3
	v_fmac_f32_e32 v25, v2, v5
	v_lshrrev_b32_e32 v0, 16, v1
	v_and_b32_e32 v1, 0xffff, v1
	v_and_b32_e32 v2, 0xffff, v47
	;; [unrolled: 1-line block ×3, first 2 shown]
	v_accvgpr_read_b32 v5, a1
	;;#ASMSTART
	v_cvt_f32_f16 v1, v1;
	;;#ASMEND
	;;#ASMSTART
	v_cvt_f32_f16 v0, v0;
	;;#ASMEND
	;; [unrolled: 3-line block ×4, first 2 shown]
	v_and_b32_e32 v5, 0xffff, v5
	v_fmac_f32_e32 v14, v1, v2
	v_fmac_f32_e32 v15, v0, v3
	ds_read_b64 v[0:1], v6 offset:104
	v_accvgpr_read_b32 v3, a0
	v_and_b32_e32 v3, 0xffff, v3
	s_waitcnt lgkmcnt(0)
	v_lshrrev_b32_e32 v2, 16, v0
	v_and_b32_e32 v0, 0xffff, v0
	;;#ASMSTART
	v_cvt_f32_f16 v0, v0;
	;;#ASMEND
	;;#ASMSTART
	v_cvt_f32_f16 v2, v2;
	;;#ASMEND
	;;#ASMSTART
	v_cvt_f32_f16 v3, v3;
	;;#ASMEND
	;;#ASMSTART
	v_cvt_f32_f16 v5, v5;
	;;#ASMEND
	s_nop 0
	v_fmac_f32_e32 v4, v0, v3
	v_fmac_f32_e32 v25, v2, v5
	v_lshrrev_b32_e32 v0, 16, v1
	v_and_b32_e32 v1, 0xffff, v1
	v_accvgpr_read_b32 v2, a2
	v_accvgpr_read_b32 v3, a3
	v_accvgpr_read_b32 v5, a5
	;;#ASMSTART
	v_cvt_f32_f16 v1, v1;
	;;#ASMEND
	;;#ASMSTART
	v_cvt_f32_f16 v0, v0;
	;;#ASMEND
	v_and_b32_e32 v2, 0xffff, v2
	v_and_b32_e32 v3, 0xffff, v3
	v_and_b32_e32 v5, 0xffff, v5
	;;#ASMSTART
	v_cvt_f32_f16 v2, v2;
	;;#ASMEND
	;;#ASMSTART
	v_cvt_f32_f16 v3, v3;
	;;#ASMEND
	s_nop 0
	v_fmac_f32_e32 v14, v1, v2
	v_fmac_f32_e32 v15, v0, v3
	ds_read_b64 v[0:1], v6 offset:112
	v_accvgpr_read_b32 v3, a4
	v_and_b32_e32 v3, 0xffff, v3
	s_waitcnt lgkmcnt(0)
	v_lshrrev_b32_e32 v2, 16, v0
	v_and_b32_e32 v0, 0xffff, v0
	;;#ASMSTART
	v_cvt_f32_f16 v0, v0;
	;;#ASMEND
	;;#ASMSTART
	v_cvt_f32_f16 v2, v2;
	;;#ASMEND
	;;#ASMSTART
	v_cvt_f32_f16 v3, v3;
	;;#ASMEND
	;;#ASMSTART
	v_cvt_f32_f16 v5, v5;
	;;#ASMEND
	s_nop 0
	v_fmac_f32_e32 v4, v0, v3
	v_fmac_f32_e32 v25, v2, v5
	v_lshrrev_b32_e32 v0, 16, v1
	v_and_b32_e32 v1, 0xffff, v1
	v_accvgpr_read_b32 v2, a6
	v_accvgpr_read_b32 v3, a7
	v_accvgpr_read_b32 v5, a9
	;;#ASMSTART
	v_cvt_f32_f16 v1, v1;
	;;#ASMEND
	;;#ASMSTART
	v_cvt_f32_f16 v0, v0;
	;;#ASMEND
	v_and_b32_e32 v2, 0xffff, v2
	v_and_b32_e32 v3, 0xffff, v3
	v_and_b32_e32 v5, 0xffff, v5
	;;#ASMSTART
	v_cvt_f32_f16 v2, v2;
	;;#ASMEND
	;;#ASMSTART
	v_cvt_f32_f16 v3, v3;
	;;#ASMEND
	s_nop 0
	;; [unrolled: 44-line block ×5, first 2 shown]
	v_fmac_f32_e32 v14, v1, v2
	v_fmac_f32_e32 v15, v0, v3
	ds_read_b64 v[0:1], v6 offset:144
	v_accvgpr_read_b32 v3, a39
	v_and_b32_e32 v3, 0xffff, v3
	s_waitcnt lgkmcnt(0)
	v_lshrrev_b32_e32 v2, 16, v0
	v_and_b32_e32 v0, 0xffff, v0
	;;#ASMSTART
	v_cvt_f32_f16 v0, v0;
	;;#ASMEND
	;;#ASMSTART
	v_cvt_f32_f16 v2, v2;
	;;#ASMEND
	;; [unrolled: 3-line block ×4, first 2 shown]
	s_nop 0
	v_fmac_f32_e32 v4, v0, v3
	v_fmac_f32_e32 v25, v2, v5
	v_accvgpr_read_b32 v2, a14
	v_accvgpr_read_b32 v3, a50
	v_lshrrev_b32_e32 v0, 16, v1
	v_and_b32_e32 v1, 0xffff, v1
	v_accvgpr_read_b32 v5, a15
	v_and_b32_e32 v2, 0xffff, v2
	v_and_b32_e32 v3, 0xffff, v3
	;;#ASMSTART
	v_cvt_f32_f16 v1, v1;
	;;#ASMEND
	;;#ASMSTART
	v_cvt_f32_f16 v0, v0;
	;;#ASMEND
	;; [unrolled: 3-line block ×4, first 2 shown]
	ds_read_b64 v[36:37], v6 offset:152
	v_fmac_f32_e32 v14, v1, v2
	v_fmac_f32_e32 v15, v0, v3
	v_accvgpr_read_b32 v2, a49
	v_accvgpr_read_b32 v3, a48
	s_waitcnt lgkmcnt(0)
	v_lshrrev_b32_e32 v0, 16, v36
	v_and_b32_e32 v1, 0xffff, v36
	v_and_b32_e32 v2, 0xffff, v2
	;; [unrolled: 1-line block ×3, first 2 shown]
	;;#ASMSTART
	v_cvt_f32_f16 v1, v1;
	;;#ASMEND
	;;#ASMSTART
	v_cvt_f32_f16 v0, v0;
	;;#ASMEND
	;; [unrolled: 3-line block ×4, first 2 shown]
	v_and_b32_e32 v5, 0xffff, v5
	v_fmac_f32_e32 v4, v1, v2
	v_fmac_f32_e32 v25, v0, v3
	v_lshrrev_b32_e32 v0, 16, v37
	v_and_b32_e32 v1, 0xffff, v37
	v_accvgpr_read_b32 v2, a47
	v_accvgpr_read_b32 v3, a46
	;;#ASMSTART
	v_cvt_f32_f16 v1, v1;
	;;#ASMEND
	;;#ASMSTART
	v_cvt_f32_f16 v0, v0;
	;;#ASMEND
	v_and_b32_e32 v2, 0xffff, v2
	v_and_b32_e32 v3, 0xffff, v3
	;;#ASMSTART
	v_cvt_f32_f16 v2, v2;
	;;#ASMEND
	;;#ASMSTART
	v_cvt_f32_f16 v3, v3;
	;;#ASMEND
	s_nop 0
	v_fmac_f32_e32 v14, v1, v2
	v_fmac_f32_e32 v15, v0, v3
	ds_read_b64 v[0:1], v6 offset:160
	v_accvgpr_read_b32 v3, a45
	v_and_b32_e32 v3, 0xffff, v3
	s_waitcnt lgkmcnt(0)
	v_lshrrev_b32_e32 v2, 16, v0
	v_and_b32_e32 v0, 0xffff, v0
	;;#ASMSTART
	v_cvt_f32_f16 v0, v0;
	;;#ASMEND
	;;#ASMSTART
	v_cvt_f32_f16 v2, v2;
	;;#ASMEND
	;; [unrolled: 3-line block ×4, first 2 shown]
	s_nop 0
	v_fmac_f32_e32 v4, v0, v3
	v_fmac_f32_e32 v25, v2, v5
	v_accvgpr_read_b32 v2, a16
	v_accvgpr_read_b32 v3, a40
	v_lshrrev_b32_e32 v0, 16, v1
	v_and_b32_e32 v1, 0xffff, v1
	v_and_b32_e32 v2, 0xffff, v2
	;; [unrolled: 1-line block ×3, first 2 shown]
	;;#ASMSTART
	v_cvt_f32_f16 v1, v1;
	;;#ASMEND
	;;#ASMSTART
	v_cvt_f32_f16 v0, v0;
	;;#ASMEND
	;; [unrolled: 3-line block ×4, first 2 shown]
	ds_read_b64 v[36:37], v6 offset:168
	v_fmac_f32_e32 v14, v1, v2
	v_fmac_f32_e32 v15, v0, v3
	v_accvgpr_read_b32 v2, a29
	v_accvgpr_read_b32 v3, a27
	s_waitcnt lgkmcnt(0)
	v_lshrrev_b32_e32 v0, 16, v36
	v_and_b32_e32 v1, 0xffff, v36
	v_and_b32_e32 v2, 0xffff, v2
	;; [unrolled: 1-line block ×3, first 2 shown]
	;;#ASMSTART
	v_cvt_f32_f16 v1, v1;
	;;#ASMEND
	;;#ASMSTART
	v_cvt_f32_f16 v0, v0;
	;;#ASMEND
	;; [unrolled: 3-line block ×4, first 2 shown]
	v_accvgpr_read_b32 v5, a32
	v_fmac_f32_e32 v4, v1, v2
	v_fmac_f32_e32 v25, v0, v3
	v_lshrrev_b32_e32 v0, 16, v37
	v_and_b32_e32 v1, 0xffff, v37
	v_accvgpr_read_b32 v2, a26
	v_accvgpr_read_b32 v3, a17
	;;#ASMSTART
	v_cvt_f32_f16 v1, v1;
	;;#ASMEND
	;;#ASMSTART
	v_cvt_f32_f16 v0, v0;
	;;#ASMEND
	v_and_b32_e32 v2, 0xffff, v2
	v_and_b32_e32 v3, 0xffff, v3
	;;#ASMSTART
	v_cvt_f32_f16 v2, v2;
	;;#ASMEND
	;;#ASMSTART
	v_cvt_f32_f16 v3, v3;
	;;#ASMEND
	v_and_b32_e32 v5, 0xffff, v5
	v_fmac_f32_e32 v14, v1, v2
	v_fmac_f32_e32 v15, v0, v3
	ds_read_b64 v[0:1], v6 offset:176
	v_accvgpr_read_b32 v3, a33
	v_and_b32_e32 v3, 0xffff, v3
	s_waitcnt lgkmcnt(0)
	v_lshrrev_b32_e32 v2, 16, v0
	v_and_b32_e32 v0, 0xffff, v0
	;;#ASMSTART
	v_cvt_f32_f16 v0, v0;
	;;#ASMEND
	;;#ASMSTART
	v_cvt_f32_f16 v2, v2;
	;;#ASMEND
	;;#ASMSTART
	v_cvt_f32_f16 v3, v3;
	;;#ASMEND
	;;#ASMSTART
	v_cvt_f32_f16 v5, v5;
	;;#ASMEND
	s_nop 0
	v_fmac_f32_e32 v4, v0, v3
	v_fmac_f32_e32 v25, v2, v5
	v_lshrrev_b32_e32 v0, 16, v1
	v_and_b32_e32 v1, 0xffff, v1
	v_accvgpr_read_b32 v2, a31
	v_accvgpr_read_b32 v3, a30
	;;#ASMSTART
	v_cvt_f32_f16 v1, v1;
	;;#ASMEND
	;;#ASMSTART
	v_cvt_f32_f16 v0, v0;
	;;#ASMEND
	v_and_b32_e32 v2, 0xffff, v2
	v_and_b32_e32 v3, 0xffff, v3
	;;#ASMSTART
	v_cvt_f32_f16 v2, v2;
	;;#ASMEND
	;;#ASMSTART
	v_cvt_f32_f16 v3, v3;
	;;#ASMEND
	v_accvgpr_read_b32 v5, a18
	v_fmac_f32_e32 v14, v1, v2
	v_fmac_f32_e32 v15, v0, v3
	ds_read_b64 v[0:1], v6 offset:184
	v_accvgpr_read_b32 v3, a28
	v_and_b32_e32 v3, 0xffff, v3
	v_and_b32_e32 v5, 0xffff, v5
	s_waitcnt lgkmcnt(0)
	v_lshrrev_b32_e32 v2, 16, v0
	v_and_b32_e32 v0, 0xffff, v0
	;;#ASMSTART
	v_cvt_f32_f16 v0, v0;
	;;#ASMEND
	;;#ASMSTART
	v_cvt_f32_f16 v2, v2;
	;;#ASMEND
	;;#ASMSTART
	v_cvt_f32_f16 v3, v3;
	;;#ASMEND
	;;#ASMSTART
	v_cvt_f32_f16 v5, v5;
	;;#ASMEND
	s_nop 0
	v_fmac_f32_e32 v4, v0, v3
	v_fmac_f32_e32 v25, v2, v5
	v_lshrrev_b32_e32 v0, 16, v1
	v_and_b32_e32 v1, 0xffff, v1
	v_accvgpr_read_b32 v2, a34
	v_accvgpr_read_b32 v3, a35
	;;#ASMSTART
	v_cvt_f32_f16 v1, v1;
	;;#ASMEND
	;;#ASMSTART
	v_cvt_f32_f16 v0, v0;
	;;#ASMEND
	v_and_b32_e32 v2, 0xffff, v2
	v_and_b32_e32 v3, 0xffff, v3
	;;#ASMSTART
	v_cvt_f32_f16 v2, v2;
	;;#ASMEND
	;;#ASMSTART
	v_cvt_f32_f16 v3, v3;
	;;#ASMEND
	v_accvgpr_read_b32 v5, a20
	v_fmac_f32_e32 v14, v1, v2
	v_fmac_f32_e32 v15, v0, v3
	ds_read_b64 v[0:1], v6 offset:192
	v_accvgpr_read_b32 v3, a19
	v_and_b32_e32 v3, 0xffff, v3
	;; [unrolled: 43-line block ×6, first 2 shown]
	v_and_b32_e32 v5, 0xffff, v5
	s_waitcnt lgkmcnt(0)
	v_lshrrev_b32_e32 v2, 16, v0
	v_and_b32_e32 v0, 0xffff, v0
	;;#ASMSTART
	v_cvt_f32_f16 v0, v0;
	;;#ASMEND
	;;#ASMSTART
	v_cvt_f32_f16 v2, v2;
	;;#ASMEND
	;;#ASMSTART
	v_cvt_f32_f16 v3, v3;
	;;#ASMEND
	;;#ASMSTART
	v_cvt_f32_f16 v5, v5;
	;;#ASMEND
	s_nop 0
	v_fmac_f32_e32 v25, v2, v5
	v_accvgpr_read_b32 v2, a63
	v_fmac_f32_e32 v4, v0, v3
	v_lshrrev_b32_e32 v0, 16, v1
	v_and_b32_e32 v1, 0xffff, v1
	v_and_b32_e32 v2, 0xffff, v2
	;;#ASMSTART
	v_cvt_f32_f16 v1, v1;
	;;#ASMEND
	;;#ASMSTART
	v_cvt_f32_f16 v0, v0;
	;;#ASMEND
	;; [unrolled: 3-line block ×3, first 2 shown]
	scratch_load_dword v3, off, s32 offset:548 ; 4-byte Folded Reload
	v_fmac_f32_e32 v14, v1, v2
	s_waitcnt vmcnt(0)
	v_and_b32_e32 v3, 0xffff, v3
	;;#ASMSTART
	v_cvt_f32_f16 v3, v3;
	;;#ASMEND
	s_nop 0
	v_fmac_f32_e32 v15, v0, v3
	ds_read_b64 v[0:1], v6 offset:232
	s_waitcnt lgkmcnt(0)
	v_lshrrev_b32_e32 v2, 16, v0
	v_and_b32_e32 v0, 0xffff, v0
	;;#ASMSTART
	v_cvt_f32_f16 v0, v0;
	;;#ASMEND
	;;#ASMSTART
	v_cvt_f32_f16 v2, v2;
	;;#ASMEND
	scratch_load_dword v3, off, s32 offset:544 ; 4-byte Folded Reload
	s_waitcnt vmcnt(0)
	v_and_b32_e32 v3, 0xffff, v3
	;;#ASMSTART
	v_cvt_f32_f16 v3, v3;
	;;#ASMEND
	scratch_load_dword v5, off, s32 offset:540 ; 4-byte Folded Reload
	v_fmac_f32_e32 v4, v0, v3
	v_lshrrev_b32_e32 v0, 16, v1
	v_and_b32_e32 v1, 0xffff, v1
	s_waitcnt vmcnt(0)
	v_and_b32_e32 v5, 0xffff, v5
	;;#ASMSTART
	v_cvt_f32_f16 v5, v5;
	;;#ASMEND
	;;#ASMSTART
	v_cvt_f32_f16 v1, v1;
	;;#ASMEND
	;; [unrolled: 3-line block ×3, first 2 shown]
	s_nop 0
	v_fmac_f32_e32 v25, v2, v5
	scratch_load_dword v2, off, s32 offset:536 ; 4-byte Folded Reload
	s_waitcnt vmcnt(0)
	v_and_b32_e32 v2, 0xffff, v2
	;;#ASMSTART
	v_cvt_f32_f16 v2, v2;
	;;#ASMEND
	scratch_load_dword v3, off, s32 offset:532 ; 4-byte Folded Reload
	v_fmac_f32_e32 v14, v1, v2
	s_waitcnt vmcnt(0)
	v_and_b32_e32 v3, 0xffff, v3
	;;#ASMSTART
	v_cvt_f32_f16 v3, v3;
	;;#ASMEND
	s_nop 0
	v_fmac_f32_e32 v15, v0, v3
	ds_read_b64 v[0:1], v6 offset:240
	s_waitcnt lgkmcnt(0)
	v_lshrrev_b32_e32 v2, 16, v0
	v_and_b32_e32 v0, 0xffff, v0
	;;#ASMSTART
	v_cvt_f32_f16 v0, v0;
	;;#ASMEND
	;;#ASMSTART
	v_cvt_f32_f16 v2, v2;
	;;#ASMEND
	scratch_load_dword v3, off, s32 offset:528 ; 4-byte Folded Reload
	s_waitcnt vmcnt(0)
	v_and_b32_e32 v3, 0xffff, v3
	;;#ASMSTART
	v_cvt_f32_f16 v3, v3;
	;;#ASMEND
	scratch_load_dword v5, off, s32 offset:524 ; 4-byte Folded Reload
	v_fmac_f32_e32 v4, v0, v3
	v_lshrrev_b32_e32 v0, 16, v1
	v_and_b32_e32 v1, 0xffff, v1
	s_waitcnt vmcnt(0)
	v_and_b32_e32 v5, 0xffff, v5
	;;#ASMSTART
	v_cvt_f32_f16 v5, v5;
	;;#ASMEND
	;;#ASMSTART
	v_cvt_f32_f16 v1, v1;
	;;#ASMEND
	;;#ASMSTART
	v_cvt_f32_f16 v0, v0;
	;;#ASMEND
	s_nop 0
	v_fmac_f32_e32 v25, v2, v5
	scratch_load_dword v2, off, s32 offset:516 ; 4-byte Folded Reload
	s_waitcnt vmcnt(0)
	v_and_b32_e32 v2, 0xffff, v2
	;;#ASMSTART
	v_cvt_f32_f16 v2, v2;
	;;#ASMEND
	scratch_load_dword v3, off, s32 offset:512 ; 4-byte Folded Reload
	v_fmac_f32_e32 v14, v1, v2
	s_waitcnt vmcnt(0)
	v_and_b32_e32 v3, 0xffff, v3
	;;#ASMSTART
	v_cvt_f32_f16 v3, v3;
	;;#ASMEND
	s_nop 0
	v_fmac_f32_e32 v15, v0, v3
	ds_read_b64 v[0:1], v6 offset:248
	v_accvgpr_read_b32 v3, a42
	v_and_b32_e32 v3, 0xffff, v3
	s_waitcnt lgkmcnt(0)
	v_lshrrev_b32_e32 v2, 16, v0
	v_and_b32_e32 v0, 0xffff, v0
	;;#ASMSTART
	v_cvt_f32_f16 v0, v0;
	;;#ASMEND
	;;#ASMSTART
	v_cvt_f32_f16 v2, v2;
	;;#ASMEND
	;; [unrolled: 3-line block ×3, first 2 shown]
	scratch_load_dword v5, off, s32 offset:228 ; 4-byte Folded Reload
	v_fmac_f32_e32 v4, v0, v3
	v_lshrrev_b32_e32 v0, 16, v1
	v_and_b32_e32 v1, 0xffff, v1
	s_waitcnt vmcnt(0)
	v_and_b32_e32 v5, 0xffff, v5
	;;#ASMSTART
	v_cvt_f32_f16 v5, v5;
	;;#ASMEND
	;;#ASMSTART
	v_cvt_f32_f16 v1, v1;
	;;#ASMEND
	;; [unrolled: 3-line block ×3, first 2 shown]
	s_nop 0
	v_fmac_f32_e32 v25, v2, v5
	scratch_load_dword v2, off, s32 offset:224 ; 4-byte Folded Reload
	s_waitcnt vmcnt(0)
	v_and_b32_e32 v2, 0xffff, v2
	;;#ASMSTART
	v_cvt_f32_f16 v2, v2;
	;;#ASMEND
	scratch_load_dword v3, off, s32 offset:220 ; 4-byte Folded Reload
	v_fmac_f32_e32 v14, v1, v2
	s_waitcnt vmcnt(0)
	v_and_b32_e32 v3, 0xffff, v3
	;;#ASMSTART
	v_cvt_f32_f16 v3, v3;
	;;#ASMEND
	s_nop 0
	v_fmac_f32_e32 v15, v0, v3
	scratch_load_dword v3, off, s32 offset:552 ; 4-byte Folded Reload
	v_add_f32_e32 v0, v4, v25
	v_add_f32_e32 v0, v0, v14
	;; [unrolled: 1-line block ×3, first 2 shown]
	s_waitcnt vmcnt(0)
	v_and_b32_e32 v0, 64, v3
	v_xor_b32_e32 v2, 1, v3
	v_add_u32_e32 v0, 64, v0
	v_cmp_lt_i32_e32 vcc, v2, v0
	s_nop 1
	v_cndmask_b32_e32 v2, v3, v2, vcc
	v_lshlrev_b32_e32 v2, 2, v2
	ds_bpermute_b32 v2, v2, v1
	s_mov_b64 s[44:45], exec
	scratch_load_dword v6, off, s32 offset:476 ; 4-byte Folded Reload
	s_and_b64 vcc, s[44:45], s[4:5]
	s_mov_b64 exec, vcc
	s_cbranch_execz .LBB313_9
; %bb.759:                              ;   in Loop: Header=BB313_10 Depth=1
	scratch_load_dword v5, off, s32 offset:456 ; 4-byte Folded Reload
	scratch_load_dword v3, off, s32 offset:596 ; 4-byte Folded Reload
	s_waitcnt lgkmcnt(0)
	v_add_f32_e32 v1, v1, v2
	scratch_load_dword v2, off, s32 offset:588 ; 4-byte Folded Reload
	s_load_dword vcc_lo, s[8:9], 0x0
	scratch_load_dword v4, off, s32 offset:592 ; 4-byte Folded Reload
	scratch_load_dwordx2 v[10:11], off, s32 offset:196 ; 8-byte Folded Reload
	s_waitcnt vmcnt(3)
	v_add_u32_e32 v3, v3, v5
	v_cvt_f32_i32_e32 v3, v3
	s_waitcnt vmcnt(2)
	v_mul_f32_e32 v2, v2, v3
	scratch_load_dword v3, off, s32 offset:460 ; 4-byte Folded Reload
	v_cndmask_b32_e64 v2, 0, v2, s[6:7]
	s_waitcnt vmcnt(2)
	v_fmac_f32_e32 v2, v1, v4
	s_waitcnt vmcnt(0) lgkmcnt(0)
	v_add_u32_e32 v3, vcc_lo, v3
	v_cmp_lt_i32_e32 vcc, v5, v10
	s_nop 1
	v_cndmask_b32_e32 v1, 0, v2, vcc
	ds_write_b32 v3, v1
	scratch_load_dword v3, off, s32 offset:564 ; 4-byte Folded Reload
	s_waitcnt vmcnt(0)
	v_max_f32_e32 v1, v3, v3
	v_max_f32_e32 v1, v1, v2
	v_cndmask_b32_e32 v3, v3, v1, vcc
	scratch_store_dword off, v3, s32 offset:564 ; 4-byte Folded Spill
	s_branch .LBB313_9
.LBB313_760:                            ;   in Loop: Header=BB313_10 Depth=1
	v_cmp_eq_u16_sdwa s[54:55], v12, s51 src0_sel:BYTE_0 src1_sel:DWORD
	s_mov_b64 vcc, -1
                                        ; implicit-def: $sgpr48
	s_and_saveexec_b64 s[46:47], s[54:55]
; %bb.761:                              ;   in Loop: Header=BB313_10 Depth=1
	s_mov_b32 s48, 0x7fc02000
	s_xor_b64 vcc, exec, -1
; %bb.762:                              ;   in Loop: Header=BB313_10 Depth=1
	s_or_b64 exec, exec, s[46:47]
	s_and_b64 vcc, vcc, exec
	s_or_saveexec_b64 s[44:45], s[44:45]
	v_mov_b32_e32 v0, s48
	s_xor_b64 exec, exec, s[44:45]
	s_cbranch_execz .LBB313_12
.LBB313_763:                            ;   in Loop: Header=BB313_10 Depth=1
	v_cmp_ne_u16_sdwa s[46:47], v12, v9 src0_sel:BYTE_0 src1_sel:DWORD
	s_andn2_b64 vcc, vcc, exec
	s_and_b64 s[46:47], s[46:47], exec
	v_mov_b32_e32 v0, 0
	s_or_b64 vcc, vcc, s[46:47]
	s_or_b64 exec, exec, s[44:45]
	s_and_saveexec_b64 s[44:45], vcc
	s_cbranch_execnz .LBB313_13
	s_branch .LBB313_14
.LBB313_764:                            ;   in Loop: Header=BB313_10 Depth=1
	v_cmp_eq_u16_e32 vcc, s51, v8
	s_mov_b64 s[44:45], -1
                                        ; implicit-def: $sgpr53
	s_and_saveexec_b64 s[48:49], vcc
; %bb.765:                              ;   in Loop: Header=BB313_10 Depth=1
	s_mov_b32 s53, 0x7fc02000
	s_xor_b64 s[44:45], exec, -1
; %bb.766:                              ;   in Loop: Header=BB313_10 Depth=1
	s_or_b64 exec, exec, s[48:49]
	s_and_b64 s[44:45], s[44:45], exec
	s_or_saveexec_b64 s[46:47], s[46:47]
	v_mov_b32_e32 v59, s53
	s_xor_b64 exec, exec, s[46:47]
	s_cbranch_execz .LBB313_16
.LBB313_767:                            ;   in Loop: Header=BB313_10 Depth=1
	v_cmp_ne_u16_e32 vcc, 0, v8
	s_andn2_b64 s[44:45], s[44:45], exec
	s_and_b64 vcc, vcc, exec
	v_mov_b32_e32 v59, 0
	s_or_b64 s[44:45], s[44:45], vcc
	s_or_b64 exec, exec, s[46:47]
	s_and_saveexec_b64 s[46:47], s[44:45]
	s_cbranch_execnz .LBB313_17
	s_branch .LBB313_18
.LBB313_768:                            ;   in Loop: Header=BB313_10 Depth=1
	v_cmp_eq_u16_sdwa s[54:55], v12, s51 src0_sel:BYTE_0 src1_sel:DWORD
	s_mov_b64 vcc, -1
                                        ; implicit-def: $sgpr48
	s_and_saveexec_b64 s[46:47], s[54:55]
; %bb.769:                              ;   in Loop: Header=BB313_10 Depth=1
	s_mov_b32 s48, 0x7fc02000
	s_xor_b64 vcc, exec, -1
; %bb.770:                              ;   in Loop: Header=BB313_10 Depth=1
	s_or_b64 exec, exec, s[46:47]
	s_and_b64 vcc, vcc, exec
	s_or_saveexec_b64 s[44:45], s[44:45]
	v_mov_b32_e32 v0, s48
	s_xor_b64 exec, exec, s[44:45]
	s_cbranch_execz .LBB313_36
.LBB313_771:                            ;   in Loop: Header=BB313_10 Depth=1
	v_cmp_ne_u16_sdwa s[46:47], v12, v9 src0_sel:BYTE_0 src1_sel:DWORD
	s_andn2_b64 vcc, vcc, exec
	s_and_b64 s[46:47], s[46:47], exec
	v_mov_b32_e32 v0, 0
	s_or_b64 vcc, vcc, s[46:47]
	s_or_b64 exec, exec, s[44:45]
	s_and_saveexec_b64 s[44:45], vcc
	s_cbranch_execnz .LBB313_37
	s_branch .LBB313_38
.LBB313_772:                            ;   in Loop: Header=BB313_10 Depth=1
	v_cmp_eq_u16_sdwa s[54:55], v12, s51 src0_sel:BYTE_0 src1_sel:DWORD
	s_mov_b64 vcc, -1
                                        ; implicit-def: $sgpr48
	s_and_saveexec_b64 s[46:47], s[54:55]
; %bb.773:                              ;   in Loop: Header=BB313_10 Depth=1
	s_mov_b32 s48, 0x7fc02000
	s_xor_b64 vcc, exec, -1
; %bb.774:                              ;   in Loop: Header=BB313_10 Depth=1
	s_or_b64 exec, exec, s[46:47]
	s_and_b64 vcc, vcc, exec
	s_or_saveexec_b64 s[44:45], s[44:45]
	v_mov_b32_e32 v0, s48
	s_xor_b64 exec, exec, s[44:45]
	s_cbranch_execz .LBB313_64
.LBB313_775:                            ;   in Loop: Header=BB313_10 Depth=1
	v_cmp_ne_u16_sdwa s[46:47], v12, v9 src0_sel:BYTE_0 src1_sel:DWORD
	s_andn2_b64 vcc, vcc, exec
	s_and_b64 s[46:47], s[46:47], exec
	v_mov_b32_e32 v0, 0
	s_or_b64 vcc, vcc, s[46:47]
	s_or_b64 exec, exec, s[44:45]
	s_and_saveexec_b64 s[44:45], vcc
	s_cbranch_execnz .LBB313_65
	s_branch .LBB313_66
.LBB313_776:                            ;   in Loop: Header=BB313_10 Depth=1
	v_cmp_eq_u16_sdwa s[54:55], v12, s51 src0_sel:BYTE_0 src1_sel:DWORD
	s_mov_b64 vcc, -1
                                        ; implicit-def: $sgpr48
	s_and_saveexec_b64 s[46:47], s[54:55]
; %bb.777:                              ;   in Loop: Header=BB313_10 Depth=1
	s_mov_b32 s48, 0x7fc02000
	s_xor_b64 vcc, exec, -1
; %bb.778:                              ;   in Loop: Header=BB313_10 Depth=1
	s_or_b64 exec, exec, s[46:47]
	s_and_b64 vcc, vcc, exec
	s_or_saveexec_b64 s[44:45], s[44:45]
	v_mov_b32_e32 v0, s48
	s_xor_b64 exec, exec, s[44:45]
	s_cbranch_execz .LBB313_92
.LBB313_779:                            ;   in Loop: Header=BB313_10 Depth=1
	v_cmp_ne_u16_sdwa s[46:47], v12, v9 src0_sel:BYTE_0 src1_sel:DWORD
	s_andn2_b64 vcc, vcc, exec
	s_and_b64 s[46:47], s[46:47], exec
	v_mov_b32_e32 v0, 0
	s_or_b64 vcc, vcc, s[46:47]
	s_or_b64 exec, exec, s[44:45]
	s_and_saveexec_b64 s[44:45], vcc
	s_cbranch_execnz .LBB313_93
	s_branch .LBB313_94
.LBB313_780:                            ;   in Loop: Header=BB313_10 Depth=1
	v_cmp_eq_u16_sdwa s[54:55], v12, s51 src0_sel:BYTE_0 src1_sel:DWORD
	s_mov_b64 vcc, -1
                                        ; implicit-def: $sgpr48
	s_and_saveexec_b64 s[46:47], s[54:55]
; %bb.781:                              ;   in Loop: Header=BB313_10 Depth=1
	s_mov_b32 s48, 0x7fc02000
	s_xor_b64 vcc, exec, -1
; %bb.782:                              ;   in Loop: Header=BB313_10 Depth=1
	s_or_b64 exec, exec, s[46:47]
	s_and_b64 vcc, vcc, exec
	s_or_saveexec_b64 s[44:45], s[44:45]
	v_mov_b32_e32 v0, s48
	s_xor_b64 exec, exec, s[44:45]
	s_cbranch_execz .LBB313_120
.LBB313_783:                            ;   in Loop: Header=BB313_10 Depth=1
	v_cmp_ne_u16_sdwa s[46:47], v12, v9 src0_sel:BYTE_0 src1_sel:DWORD
	s_andn2_b64 vcc, vcc, exec
	s_and_b64 s[46:47], s[46:47], exec
	v_mov_b32_e32 v0, 0
	s_or_b64 vcc, vcc, s[46:47]
	s_or_b64 exec, exec, s[44:45]
	s_and_saveexec_b64 s[44:45], vcc
	s_cbranch_execnz .LBB313_121
	s_branch .LBB313_122
.LBB313_784:                            ;   in Loop: Header=BB313_10 Depth=1
	v_cmp_eq_u16_sdwa s[54:55], v12, s51 src0_sel:BYTE_0 src1_sel:DWORD
	s_mov_b64 vcc, -1
                                        ; implicit-def: $sgpr48
	s_and_saveexec_b64 s[46:47], s[54:55]
; %bb.785:                              ;   in Loop: Header=BB313_10 Depth=1
	s_mov_b32 s48, 0x7fc02000
	s_xor_b64 vcc, exec, -1
; %bb.786:                              ;   in Loop: Header=BB313_10 Depth=1
	s_or_b64 exec, exec, s[46:47]
	s_and_b64 vcc, vcc, exec
	s_or_saveexec_b64 s[44:45], s[44:45]
	v_mov_b32_e32 v0, s48
	s_xor_b64 exec, exec, s[44:45]
	s_cbranch_execz .LBB313_148
.LBB313_787:                            ;   in Loop: Header=BB313_10 Depth=1
	v_cmp_ne_u16_sdwa s[46:47], v12, v9 src0_sel:BYTE_0 src1_sel:DWORD
	s_andn2_b64 vcc, vcc, exec
	s_and_b64 s[46:47], s[46:47], exec
	v_mov_b32_e32 v0, 0
	s_or_b64 vcc, vcc, s[46:47]
	s_or_b64 exec, exec, s[44:45]
	s_and_saveexec_b64 s[44:45], vcc
	s_cbranch_execnz .LBB313_149
	s_branch .LBB313_150
.LBB313_788:                            ;   in Loop: Header=BB313_10 Depth=1
	v_cmp_eq_u16_sdwa s[54:55], v12, s51 src0_sel:BYTE_0 src1_sel:DWORD
	s_mov_b64 vcc, -1
                                        ; implicit-def: $sgpr48
	s_and_saveexec_b64 s[46:47], s[54:55]
; %bb.789:                              ;   in Loop: Header=BB313_10 Depth=1
	s_mov_b32 s48, 0x7fc02000
	s_xor_b64 vcc, exec, -1
; %bb.790:                              ;   in Loop: Header=BB313_10 Depth=1
	s_or_b64 exec, exec, s[46:47]
	s_and_b64 vcc, vcc, exec
	s_or_saveexec_b64 s[44:45], s[44:45]
	v_mov_b32_e32 v0, s48
	s_xor_b64 exec, exec, s[44:45]
	s_cbranch_execz .LBB313_176
.LBB313_791:                            ;   in Loop: Header=BB313_10 Depth=1
	v_cmp_ne_u16_sdwa s[46:47], v12, v9 src0_sel:BYTE_0 src1_sel:DWORD
	s_andn2_b64 vcc, vcc, exec
	s_and_b64 s[46:47], s[46:47], exec
	v_mov_b32_e32 v0, 0
	s_or_b64 vcc, vcc, s[46:47]
	s_or_b64 exec, exec, s[44:45]
	s_and_saveexec_b64 s[44:45], vcc
	s_cbranch_execnz .LBB313_177
	s_branch .LBB313_178
.LBB313_792:                            ;   in Loop: Header=BB313_10 Depth=1
	v_cmp_eq_u16_sdwa s[54:55], v12, s51 src0_sel:BYTE_0 src1_sel:DWORD
	s_mov_b64 vcc, -1
                                        ; implicit-def: $sgpr48
	s_and_saveexec_b64 s[46:47], s[54:55]
; %bb.793:                              ;   in Loop: Header=BB313_10 Depth=1
	s_mov_b32 s48, 0x7fc02000
	s_xor_b64 vcc, exec, -1
; %bb.794:                              ;   in Loop: Header=BB313_10 Depth=1
	s_or_b64 exec, exec, s[46:47]
	s_and_b64 vcc, vcc, exec
	s_or_saveexec_b64 s[44:45], s[44:45]
	v_mov_b32_e32 v0, s48
	s_xor_b64 exec, exec, s[44:45]
	s_cbranch_execz .LBB313_204
.LBB313_795:                            ;   in Loop: Header=BB313_10 Depth=1
	v_cmp_ne_u16_sdwa s[46:47], v12, v9 src0_sel:BYTE_0 src1_sel:DWORD
	s_andn2_b64 vcc, vcc, exec
	s_and_b64 s[46:47], s[46:47], exec
	v_mov_b32_e32 v0, 0
	s_or_b64 vcc, vcc, s[46:47]
	s_or_b64 exec, exec, s[44:45]
	s_and_saveexec_b64 s[44:45], vcc
	s_cbranch_execnz .LBB313_205
	s_branch .LBB313_206
.LBB313_796:                            ;   in Loop: Header=BB313_10 Depth=1
	v_cmp_eq_u16_sdwa s[54:55], v12, s51 src0_sel:BYTE_0 src1_sel:DWORD
	s_mov_b64 vcc, -1
                                        ; implicit-def: $sgpr48
	s_and_saveexec_b64 s[46:47], s[54:55]
; %bb.797:                              ;   in Loop: Header=BB313_10 Depth=1
	s_mov_b32 s48, 0x7fc02000
	s_xor_b64 vcc, exec, -1
; %bb.798:                              ;   in Loop: Header=BB313_10 Depth=1
	s_or_b64 exec, exec, s[46:47]
	s_and_b64 vcc, vcc, exec
	s_or_saveexec_b64 s[44:45], s[44:45]
	v_mov_b32_e32 v0, s48
	s_xor_b64 exec, exec, s[44:45]
	s_cbranch_execz .LBB313_232
.LBB313_799:                            ;   in Loop: Header=BB313_10 Depth=1
	v_cmp_ne_u16_sdwa s[46:47], v12, v9 src0_sel:BYTE_0 src1_sel:DWORD
	s_andn2_b64 vcc, vcc, exec
	s_and_b64 s[46:47], s[46:47], exec
	v_mov_b32_e32 v0, 0
	s_or_b64 vcc, vcc, s[46:47]
	s_or_b64 exec, exec, s[44:45]
	s_and_saveexec_b64 s[44:45], vcc
	s_cbranch_execnz .LBB313_233
	s_branch .LBB313_234
.LBB313_800:                            ;   in Loop: Header=BB313_10 Depth=1
	v_cmp_eq_u16_sdwa s[54:55], v8, s51 src0_sel:BYTE_0 src1_sel:DWORD
	s_mov_b64 vcc, -1
                                        ; implicit-def: $sgpr48
	s_and_saveexec_b64 s[46:47], s[54:55]
; %bb.801:                              ;   in Loop: Header=BB313_10 Depth=1
	s_mov_b32 s48, 0x7fc02000
	s_xor_b64 vcc, exec, -1
; %bb.802:                              ;   in Loop: Header=BB313_10 Depth=1
	s_or_b64 exec, exec, s[46:47]
	s_and_b64 vcc, vcc, exec
	s_or_saveexec_b64 s[44:45], s[44:45]
	v_mov_b32_e32 v0, s48
	s_xor_b64 exec, exec, s[44:45]
	s_cbranch_execz .LBB313_468
.LBB313_803:                            ;   in Loop: Header=BB313_10 Depth=1
	v_cmp_ne_u16_sdwa s[46:47], v8, v9 src0_sel:BYTE_0 src1_sel:DWORD
	s_andn2_b64 vcc, vcc, exec
	s_and_b64 s[46:47], s[46:47], exec
	v_mov_b32_e32 v0, 0
	s_or_b64 vcc, vcc, s[46:47]
	s_or_b64 exec, exec, s[44:45]
	s_and_saveexec_b64 s[44:45], vcc
	s_cbranch_execnz .LBB313_469
	s_branch .LBB313_470
.LBB313_804:                            ;   in Loop: Header=BB313_10 Depth=1
	v_cmp_eq_u16_e32 vcc, s51, v8
	s_mov_b64 s[44:45], -1
                                        ; implicit-def: $sgpr53
	s_and_saveexec_b64 s[48:49], vcc
; %bb.805:                              ;   in Loop: Header=BB313_10 Depth=1
	s_mov_b32 s53, 0x7fc02000
	s_xor_b64 s[44:45], exec, -1
; %bb.806:                              ;   in Loop: Header=BB313_10 Depth=1
	s_or_b64 exec, exec, s[48:49]
	s_and_b64 s[44:45], s[44:45], exec
	s_or_saveexec_b64 s[46:47], s[46:47]
	v_mov_b32_e32 v1, s53
	s_xor_b64 exec, exec, s[46:47]
	s_cbranch_execz .LBB313_472
.LBB313_807:                            ;   in Loop: Header=BB313_10 Depth=1
	v_cmp_ne_u16_e32 vcc, 0, v8
	s_andn2_b64 s[44:45], s[44:45], exec
	s_and_b64 vcc, vcc, exec
	v_mov_b32_e32 v1, 0
	s_or_b64 s[44:45], s[44:45], vcc
	s_or_b64 exec, exec, s[46:47]
	v_accvgpr_write_b32 a0, v0
	s_and_saveexec_b64 s[46:47], s[44:45]
	s_cbranch_execnz .LBB313_473
	s_branch .LBB313_474
.LBB313_808:                            ;   in Loop: Header=BB313_10 Depth=1
	v_cmp_eq_u16_sdwa s[54:55], v8, s51 src0_sel:BYTE_0 src1_sel:DWORD
	s_mov_b64 vcc, -1
                                        ; implicit-def: $sgpr48
	s_and_saveexec_b64 s[46:47], s[54:55]
; %bb.809:                              ;   in Loop: Header=BB313_10 Depth=1
	s_mov_b32 s48, 0x7fc02000
	s_xor_b64 vcc, exec, -1
; %bb.810:                              ;   in Loop: Header=BB313_10 Depth=1
	s_or_b64 exec, exec, s[46:47]
	s_and_b64 vcc, vcc, exec
	s_or_saveexec_b64 s[44:45], s[44:45]
	v_mov_b32_e32 v0, s48
	s_xor_b64 exec, exec, s[44:45]
	s_cbranch_execz .LBB313_524
.LBB313_811:                            ;   in Loop: Header=BB313_10 Depth=1
	v_cmp_ne_u16_sdwa s[46:47], v8, v9 src0_sel:BYTE_0 src1_sel:DWORD
	s_andn2_b64 vcc, vcc, exec
	s_and_b64 s[46:47], s[46:47], exec
	v_mov_b32_e32 v0, 0
	s_or_b64 vcc, vcc, s[46:47]
	s_or_b64 exec, exec, s[44:45]
	s_and_saveexec_b64 s[44:45], vcc
	s_cbranch_execnz .LBB313_525
	s_branch .LBB313_526
.LBB313_812:                            ;   in Loop: Header=BB313_10 Depth=1
	v_cmp_eq_u16_e32 vcc, s51, v8
	s_mov_b64 s[44:45], -1
                                        ; implicit-def: $sgpr53
	s_and_saveexec_b64 s[48:49], vcc
; %bb.813:                              ;   in Loop: Header=BB313_10 Depth=1
	s_mov_b32 s53, 0x7fc02000
	s_xor_b64 s[44:45], exec, -1
; %bb.814:                              ;   in Loop: Header=BB313_10 Depth=1
	s_or_b64 exec, exec, s[48:49]
	s_and_b64 s[44:45], s[44:45], exec
	s_or_saveexec_b64 s[46:47], s[46:47]
	v_mov_b32_e32 v1, s53
	s_xor_b64 exec, exec, s[46:47]
	s_cbranch_execz .LBB313_528
.LBB313_815:                            ;   in Loop: Header=BB313_10 Depth=1
	v_cmp_ne_u16_e32 vcc, 0, v8
	s_andn2_b64 s[44:45], s[44:45], exec
	s_and_b64 vcc, vcc, exec
	v_mov_b32_e32 v1, 0
	s_or_b64 s[44:45], s[44:45], vcc
	s_or_b64 exec, exec, s[46:47]
	v_accvgpr_write_b32 a53, v0
	s_and_saveexec_b64 s[46:47], s[44:45]
	s_cbranch_execnz .LBB313_529
	s_branch .LBB313_530
.LBB313_816:                            ;   in Loop: Header=BB313_10 Depth=1
	v_cmp_eq_u16_e32 vcc, s51, v8
	s_mov_b64 s[44:45], -1
                                        ; implicit-def: $sgpr53
	s_and_saveexec_b64 s[48:49], vcc
; %bb.817:                              ;   in Loop: Header=BB313_10 Depth=1
	s_mov_b32 s53, 0x7fc02000
	s_xor_b64 s[44:45], exec, -1
; %bb.818:                              ;   in Loop: Header=BB313_10 Depth=1
	s_or_b64 exec, exec, s[48:49]
	s_and_b64 s[44:45], s[44:45], exec
	s_or_saveexec_b64 s[46:47], s[46:47]
	v_mov_b32_e32 v13, s53
	s_xor_b64 exec, exec, s[46:47]
	s_cbranch_execz .LBB313_540
.LBB313_819:                            ;   in Loop: Header=BB313_10 Depth=1
	v_cmp_ne_u16_e32 vcc, 0, v8
	s_andn2_b64 s[44:45], s[44:45], exec
	s_and_b64 vcc, vcc, exec
	v_mov_b32_e32 v13, 0
	s_or_b64 s[44:45], s[44:45], vcc
	s_or_b64 exec, exec, s[46:47]
	s_and_saveexec_b64 s[46:47], s[44:45]
	s_cbranch_execnz .LBB313_541
	s_branch .LBB313_542
.LBB313_820:                            ;   in Loop: Header=BB313_10 Depth=1
	v_cmp_eq_u16_sdwa s[54:55], v8, s51 src0_sel:BYTE_0 src1_sel:DWORD
	s_mov_b64 vcc, -1
                                        ; implicit-def: $sgpr48
	s_and_saveexec_b64 s[46:47], s[54:55]
; %bb.821:                              ;   in Loop: Header=BB313_10 Depth=1
	s_mov_b32 s48, 0x7fc02000
	s_xor_b64 vcc, exec, -1
; %bb.822:                              ;   in Loop: Header=BB313_10 Depth=1
	s_or_b64 exec, exec, s[46:47]
	s_and_b64 vcc, vcc, exec
	s_or_saveexec_b64 s[44:45], s[44:45]
	v_mov_b32_e32 v44, s48
	s_xor_b64 exec, exec, s[44:45]
	s_cbranch_execz .LBB313_544
.LBB313_823:                            ;   in Loop: Header=BB313_10 Depth=1
	v_cmp_ne_u16_sdwa s[46:47], v8, v9 src0_sel:BYTE_0 src1_sel:DWORD
	s_andn2_b64 vcc, vcc, exec
	s_and_b64 s[46:47], s[46:47], exec
	v_mov_b32_e32 v44, 0
	s_or_b64 vcc, vcc, s[46:47]
	s_or_b64 exec, exec, s[44:45]
	s_and_saveexec_b64 s[44:45], vcc
	s_cbranch_execnz .LBB313_545
	s_branch .LBB313_546
.LBB313_824:                            ;   in Loop: Header=BB313_10 Depth=1
	v_cmp_eq_u16_e32 vcc, s51, v8
	s_mov_b64 s[44:45], -1
                                        ; implicit-def: $sgpr53
	s_and_saveexec_b64 s[48:49], vcc
; %bb.825:                              ;   in Loop: Header=BB313_10 Depth=1
	s_mov_b32 s53, 0x7fc02000
	s_xor_b64 s[44:45], exec, -1
; %bb.826:                              ;   in Loop: Header=BB313_10 Depth=1
	s_or_b64 exec, exec, s[48:49]
	s_and_b64 s[44:45], s[44:45], exec
	s_or_saveexec_b64 s[46:47], s[46:47]
	v_mov_b32_e32 v17, s53
	s_xor_b64 exec, exec, s[46:47]
	s_cbranch_execz .LBB313_548
.LBB313_827:                            ;   in Loop: Header=BB313_10 Depth=1
	v_cmp_ne_u16_e32 vcc, 0, v8
	s_andn2_b64 s[44:45], s[44:45], exec
	s_and_b64 vcc, vcc, exec
	v_mov_b32_e32 v17, 0
	s_or_b64 s[44:45], s[44:45], vcc
	s_or_b64 exec, exec, s[46:47]
	s_and_saveexec_b64 s[46:47], s[44:45]
	s_cbranch_execnz .LBB313_549
	s_branch .LBB313_550
.LBB313_828:                            ;   in Loop: Header=BB313_10 Depth=1
	v_cmp_eq_u16_sdwa s[54:55], v12, s51 src0_sel:BYTE_0 src1_sel:DWORD
	s_mov_b64 vcc, -1
                                        ; implicit-def: $sgpr48
	s_and_saveexec_b64 s[46:47], s[54:55]
; %bb.829:                              ;   in Loop: Header=BB313_10 Depth=1
	s_mov_b32 s48, 0x7fc02000
	s_xor_b64 vcc, exec, -1
; %bb.830:                              ;   in Loop: Header=BB313_10 Depth=1
	s_or_b64 exec, exec, s[46:47]
	s_and_b64 vcc, vcc, exec
	s_or_saveexec_b64 s[44:45], s[44:45]
	v_mov_b32_e32 v15, s48
	s_xor_b64 exec, exec, s[44:45]
	s_cbranch_execz .LBB313_552
.LBB313_831:                            ;   in Loop: Header=BB313_10 Depth=1
	v_cmp_ne_u16_sdwa s[46:47], v12, v9 src0_sel:BYTE_0 src1_sel:DWORD
	s_andn2_b64 vcc, vcc, exec
	s_and_b64 s[46:47], s[46:47], exec
	v_mov_b32_e32 v15, 0
	s_or_b64 vcc, vcc, s[46:47]
	s_or_b64 exec, exec, s[44:45]
	s_and_saveexec_b64 s[44:45], vcc
	s_cbranch_execnz .LBB313_553
	s_branch .LBB313_554
.LBB313_832:                            ;   in Loop: Header=BB313_10 Depth=1
	v_cmp_eq_u16_e32 vcc, s51, v8
	s_mov_b64 s[44:45], -1
                                        ; implicit-def: $sgpr53
	s_and_saveexec_b64 s[48:49], vcc
; %bb.833:                              ;   in Loop: Header=BB313_10 Depth=1
	s_mov_b32 s53, 0x7fc02000
	s_xor_b64 s[44:45], exec, -1
; %bb.834:                              ;   in Loop: Header=BB313_10 Depth=1
	s_or_b64 exec, exec, s[48:49]
	s_and_b64 s[44:45], s[44:45], exec
	s_or_saveexec_b64 s[46:47], s[46:47]
	v_mov_b32_e32 v14, s53
	s_xor_b64 exec, exec, s[46:47]
	s_cbranch_execz .LBB313_556
.LBB313_835:                            ;   in Loop: Header=BB313_10 Depth=1
	v_cmp_ne_u16_e32 vcc, 0, v8
	s_andn2_b64 s[44:45], s[44:45], exec
	s_and_b64 vcc, vcc, exec
	v_mov_b32_e32 v14, 0
	s_or_b64 s[44:45], s[44:45], vcc
	s_or_b64 exec, exec, s[46:47]
	s_and_saveexec_b64 s[46:47], s[44:45]
	s_cbranch_execnz .LBB313_557
	s_branch .LBB313_558
.LBB313_836:                            ;   in Loop: Header=BB313_10 Depth=1
	v_cmp_eq_u16_sdwa s[54:55], v8, s51 src0_sel:BYTE_0 src1_sel:DWORD
	s_mov_b64 vcc, -1
                                        ; implicit-def: $sgpr48
	s_and_saveexec_b64 s[46:47], s[54:55]
; %bb.837:                              ;   in Loop: Header=BB313_10 Depth=1
	s_mov_b32 s48, 0x7fc02000
	s_xor_b64 vcc, exec, -1
; %bb.838:                              ;   in Loop: Header=BB313_10 Depth=1
	s_or_b64 exec, exec, s[46:47]
	s_and_b64 vcc, vcc, exec
	s_or_saveexec_b64 s[44:45], s[44:45]
	v_mov_b32_e32 v23, s48
	s_xor_b64 exec, exec, s[44:45]
	s_cbranch_execz .LBB313_560
.LBB313_839:                            ;   in Loop: Header=BB313_10 Depth=1
	v_cmp_ne_u16_sdwa s[46:47], v8, v9 src0_sel:BYTE_0 src1_sel:DWORD
	s_andn2_b64 vcc, vcc, exec
	s_and_b64 s[46:47], s[46:47], exec
	v_mov_b32_e32 v23, 0
	s_or_b64 vcc, vcc, s[46:47]
	s_or_b64 exec, exec, s[44:45]
	s_and_saveexec_b64 s[44:45], vcc
	s_cbranch_execnz .LBB313_561
	s_branch .LBB313_562
.LBB313_840:                            ;   in Loop: Header=BB313_10 Depth=1
	v_cmp_eq_u16_e32 vcc, s51, v8
	s_mov_b64 s[44:45], -1
                                        ; implicit-def: $sgpr53
	s_and_saveexec_b64 s[48:49], vcc
; %bb.841:                              ;   in Loop: Header=BB313_10 Depth=1
	s_mov_b32 s53, 0x7fc02000
	s_xor_b64 s[44:45], exec, -1
; %bb.842:                              ;   in Loop: Header=BB313_10 Depth=1
	s_or_b64 exec, exec, s[48:49]
	s_and_b64 s[44:45], s[44:45], exec
	s_or_saveexec_b64 s[46:47], s[46:47]
	v_mov_b32_e32 v2, s53
	s_xor_b64 exec, exec, s[46:47]
	s_cbranch_execz .LBB313_564
.LBB313_843:                            ;   in Loop: Header=BB313_10 Depth=1
	v_cmp_ne_u16_e32 vcc, 0, v8
	s_andn2_b64 s[44:45], s[44:45], exec
	s_and_b64 vcc, vcc, exec
	v_mov_b32_e32 v2, 0
	s_or_b64 s[44:45], s[44:45], vcc
	s_or_b64 exec, exec, s[46:47]
	s_and_saveexec_b64 s[46:47], s[44:45]
	s_cbranch_execnz .LBB313_565
	s_branch .LBB313_566
.LBB313_844:                            ;   in Loop: Header=BB313_10 Depth=1
	v_cmp_eq_u16_sdwa s[54:55], v12, s51 src0_sel:BYTE_0 src1_sel:DWORD
	s_mov_b64 vcc, -1
                                        ; implicit-def: $sgpr48
	s_and_saveexec_b64 s[46:47], s[54:55]
; %bb.845:                              ;   in Loop: Header=BB313_10 Depth=1
	s_mov_b32 s48, 0x7fc02000
	s_xor_b64 vcc, exec, -1
; %bb.846:                              ;   in Loop: Header=BB313_10 Depth=1
	s_or_b64 exec, exec, s[46:47]
	s_and_b64 vcc, vcc, exec
	s_or_saveexec_b64 s[44:45], s[44:45]
	v_mov_b32_e32 v57, s48
	s_xor_b64 exec, exec, s[44:45]
	s_cbranch_execz .LBB313_568
.LBB313_847:                            ;   in Loop: Header=BB313_10 Depth=1
	v_cmp_ne_u16_sdwa s[46:47], v12, v9 src0_sel:BYTE_0 src1_sel:DWORD
	s_andn2_b64 vcc, vcc, exec
	s_and_b64 s[46:47], s[46:47], exec
	v_mov_b32_e32 v57, 0
	s_or_b64 vcc, vcc, s[46:47]
	s_or_b64 exec, exec, s[44:45]
	s_and_saveexec_b64 s[44:45], vcc
	s_cbranch_execnz .LBB313_569
	s_branch .LBB313_570
.LBB313_848:                            ;   in Loop: Header=BB313_10 Depth=1
	v_cmp_eq_u16_e32 vcc, s51, v8
	s_mov_b64 s[44:45], -1
                                        ; implicit-def: $sgpr53
	s_and_saveexec_b64 s[48:49], vcc
; %bb.849:                              ;   in Loop: Header=BB313_10 Depth=1
	s_mov_b32 s53, 0x7fc02000
	s_xor_b64 s[44:45], exec, -1
; %bb.850:                              ;   in Loop: Header=BB313_10 Depth=1
	s_or_b64 exec, exec, s[48:49]
	s_and_b64 s[44:45], s[44:45], exec
	s_or_saveexec_b64 s[46:47], s[46:47]
	v_mov_b32_e32 v24, s53
	s_xor_b64 exec, exec, s[46:47]
	s_cbranch_execz .LBB313_572
.LBB313_851:                            ;   in Loop: Header=BB313_10 Depth=1
	v_cmp_ne_u16_e32 vcc, 0, v8
	s_andn2_b64 s[44:45], s[44:45], exec
	s_and_b64 vcc, vcc, exec
	v_mov_b32_e32 v24, 0
	s_or_b64 s[44:45], s[44:45], vcc
	s_or_b64 exec, exec, s[46:47]
	s_and_saveexec_b64 s[46:47], s[44:45]
	s_cbranch_execnz .LBB313_573
	s_branch .LBB313_574
.LBB313_852:                            ;   in Loop: Header=BB313_10 Depth=1
	v_cmp_eq_u16_sdwa s[54:55], v8, s51 src0_sel:BYTE_0 src1_sel:DWORD
	s_mov_b64 vcc, -1
                                        ; implicit-def: $sgpr48
	s_and_saveexec_b64 s[46:47], s[54:55]
; %bb.853:                              ;   in Loop: Header=BB313_10 Depth=1
	s_mov_b32 s48, 0x7fc02000
	s_xor_b64 vcc, exec, -1
; %bb.854:                              ;   in Loop: Header=BB313_10 Depth=1
	s_or_b64 exec, exec, s[46:47]
	s_and_b64 vcc, vcc, exec
	s_or_saveexec_b64 s[44:45], s[44:45]
	v_mov_b32_e32 v30, s48
	s_xor_b64 exec, exec, s[44:45]
	s_cbranch_execz .LBB313_576
.LBB313_855:                            ;   in Loop: Header=BB313_10 Depth=1
	v_cmp_ne_u16_sdwa s[46:47], v8, v9 src0_sel:BYTE_0 src1_sel:DWORD
	s_andn2_b64 vcc, vcc, exec
	s_and_b64 s[46:47], s[46:47], exec
	v_mov_b32_e32 v30, 0
	s_or_b64 vcc, vcc, s[46:47]
	s_or_b64 exec, exec, s[44:45]
	s_and_saveexec_b64 s[44:45], vcc
	s_cbranch_execnz .LBB313_577
	s_branch .LBB313_578
.LBB313_856:                            ;   in Loop: Header=BB313_10 Depth=1
	v_cmp_eq_u16_e32 vcc, s51, v8
	s_mov_b64 s[44:45], -1
                                        ; implicit-def: $sgpr53
	s_and_saveexec_b64 s[48:49], vcc
; %bb.857:                              ;   in Loop: Header=BB313_10 Depth=1
	s_mov_b32 s53, 0x7fc02000
	s_xor_b64 s[44:45], exec, -1
; %bb.858:                              ;   in Loop: Header=BB313_10 Depth=1
	s_or_b64 exec, exec, s[48:49]
	s_and_b64 s[44:45], s[44:45], exec
	s_or_saveexec_b64 s[46:47], s[46:47]
	v_mov_b32_e32 v62, s53
	s_xor_b64 exec, exec, s[46:47]
	s_cbranch_execz .LBB313_580
.LBB313_859:                            ;   in Loop: Header=BB313_10 Depth=1
	v_cmp_ne_u16_e32 vcc, 0, v8
	s_andn2_b64 s[44:45], s[44:45], exec
	s_and_b64 vcc, vcc, exec
	v_mov_b32_e32 v62, 0
	s_or_b64 s[44:45], s[44:45], vcc
	s_or_b64 exec, exec, s[46:47]
	s_and_saveexec_b64 s[46:47], s[44:45]
	s_cbranch_execnz .LBB313_581
	s_branch .LBB313_582
.LBB313_860:                            ;   in Loop: Header=BB313_10 Depth=1
	v_cmp_eq_u16_sdwa s[54:55], v12, s51 src0_sel:BYTE_0 src1_sel:DWORD
	s_mov_b64 vcc, -1
                                        ; implicit-def: $sgpr48
	s_and_saveexec_b64 s[46:47], s[54:55]
; %bb.861:                              ;   in Loop: Header=BB313_10 Depth=1
	s_mov_b32 s48, 0x7fc02000
	s_xor_b64 vcc, exec, -1
; %bb.862:                              ;   in Loop: Header=BB313_10 Depth=1
	s_or_b64 exec, exec, s[46:47]
	s_and_b64 vcc, vcc, exec
	s_or_saveexec_b64 s[44:45], s[44:45]
	v_mov_b32_e32 v5, s48
	s_xor_b64 exec, exec, s[44:45]
	s_cbranch_execz .LBB313_584
.LBB313_863:                            ;   in Loop: Header=BB313_10 Depth=1
	v_cmp_ne_u16_sdwa s[46:47], v12, v9 src0_sel:BYTE_0 src1_sel:DWORD
	s_andn2_b64 vcc, vcc, exec
	s_and_b64 s[46:47], s[46:47], exec
	v_mov_b32_e32 v5, 0
	s_or_b64 vcc, vcc, s[46:47]
	s_or_b64 exec, exec, s[44:45]
	s_and_saveexec_b64 s[44:45], vcc
	s_cbranch_execnz .LBB313_585
	s_branch .LBB313_586
.LBB313_864:                            ;   in Loop: Header=BB313_10 Depth=1
	v_cmp_eq_u16_e32 vcc, s51, v8
	s_mov_b64 s[44:45], -1
                                        ; implicit-def: $sgpr53
	s_and_saveexec_b64 s[48:49], vcc
; %bb.865:                              ;   in Loop: Header=BB313_10 Depth=1
	s_mov_b32 s53, 0x7fc02000
	s_xor_b64 s[44:45], exec, -1
; %bb.866:                              ;   in Loop: Header=BB313_10 Depth=1
	s_or_b64 exec, exec, s[48:49]
	s_and_b64 s[44:45], s[44:45], exec
	s_or_saveexec_b64 s[46:47], s[46:47]
	v_mov_b32_e32 v41, s53
	s_xor_b64 exec, exec, s[46:47]
	s_cbranch_execz .LBB313_588
.LBB313_867:                            ;   in Loop: Header=BB313_10 Depth=1
	v_cmp_ne_u16_e32 vcc, 0, v8
	s_andn2_b64 s[44:45], s[44:45], exec
	s_and_b64 vcc, vcc, exec
	v_mov_b32_e32 v41, 0
	s_or_b64 s[44:45], s[44:45], vcc
	s_or_b64 exec, exec, s[46:47]
	s_and_saveexec_b64 s[46:47], s[44:45]
	s_cbranch_execnz .LBB313_589
	s_branch .LBB313_590
.LBB313_868:                            ;   in Loop: Header=BB313_10 Depth=1
	v_cmp_eq_u16_sdwa s[54:55], v8, s51 src0_sel:BYTE_0 src1_sel:DWORD
	s_mov_b64 vcc, -1
                                        ; implicit-def: $sgpr48
	s_and_saveexec_b64 s[46:47], s[54:55]
; %bb.869:                              ;   in Loop: Header=BB313_10 Depth=1
	s_mov_b32 s48, 0x7fc02000
	s_xor_b64 vcc, exec, -1
; %bb.870:                              ;   in Loop: Header=BB313_10 Depth=1
	s_or_b64 exec, exec, s[46:47]
	s_and_b64 vcc, vcc, exec
	s_or_saveexec_b64 s[44:45], s[44:45]
	v_mov_b32_e32 v53, s48
	s_xor_b64 exec, exec, s[44:45]
	s_cbranch_execz .LBB313_592
.LBB313_871:                            ;   in Loop: Header=BB313_10 Depth=1
	v_cmp_ne_u16_sdwa s[46:47], v8, v9 src0_sel:BYTE_0 src1_sel:DWORD
	s_andn2_b64 vcc, vcc, exec
	s_and_b64 s[46:47], s[46:47], exec
	v_mov_b32_e32 v53, 0
	s_or_b64 vcc, vcc, s[46:47]
	s_or_b64 exec, exec, s[44:45]
	s_and_saveexec_b64 s[44:45], vcc
	s_cbranch_execnz .LBB313_593
	s_branch .LBB313_594
.LBB313_872:                            ;   in Loop: Header=BB313_10 Depth=1
	v_cmp_eq_u16_e32 vcc, s51, v8
	s_mov_b64 s[44:45], -1
                                        ; implicit-def: $sgpr53
	s_and_saveexec_b64 s[48:49], vcc
; %bb.873:                              ;   in Loop: Header=BB313_10 Depth=1
	s_mov_b32 s53, 0x7fc02000
	s_xor_b64 s[44:45], exec, -1
; %bb.874:                              ;   in Loop: Header=BB313_10 Depth=1
	s_or_b64 exec, exec, s[48:49]
	s_and_b64 s[44:45], s[44:45], exec
	s_or_saveexec_b64 s[46:47], s[46:47]
	v_mov_b32_e32 v48, s53
	s_xor_b64 exec, exec, s[46:47]
	s_cbranch_execz .LBB313_596
.LBB313_875:                            ;   in Loop: Header=BB313_10 Depth=1
	v_cmp_ne_u16_e32 vcc, 0, v8
	s_andn2_b64 s[44:45], s[44:45], exec
	s_and_b64 vcc, vcc, exec
	v_mov_b32_e32 v48, 0
	s_or_b64 s[44:45], s[44:45], vcc
	s_or_b64 exec, exec, s[46:47]
	s_and_saveexec_b64 s[46:47], s[44:45]
	s_cbranch_execnz .LBB313_597
	s_branch .LBB313_598
.LBB313_876:                            ;   in Loop: Header=BB313_10 Depth=1
	v_cmp_eq_u16_sdwa s[54:55], v12, s51 src0_sel:BYTE_0 src1_sel:DWORD
	s_mov_b64 vcc, -1
                                        ; implicit-def: $sgpr48
	s_and_saveexec_b64 s[46:47], s[54:55]
; %bb.877:                              ;   in Loop: Header=BB313_10 Depth=1
	s_mov_b32 s48, 0x7fc02000
	s_xor_b64 vcc, exec, -1
; %bb.878:                              ;   in Loop: Header=BB313_10 Depth=1
	s_or_b64 exec, exec, s[46:47]
	s_and_b64 vcc, vcc, exec
	s_or_saveexec_b64 s[44:45], s[44:45]
	v_mov_b32_e32 v43, s48
	s_xor_b64 exec, exec, s[44:45]
	s_cbranch_execz .LBB313_600
.LBB313_879:                            ;   in Loop: Header=BB313_10 Depth=1
	v_cmp_ne_u16_sdwa s[46:47], v12, v9 src0_sel:BYTE_0 src1_sel:DWORD
	s_andn2_b64 vcc, vcc, exec
	s_and_b64 s[46:47], s[46:47], exec
	v_mov_b32_e32 v43, 0
	s_or_b64 vcc, vcc, s[46:47]
	s_or_b64 exec, exec, s[44:45]
	s_and_saveexec_b64 s[44:45], vcc
	s_cbranch_execnz .LBB313_601
	s_branch .LBB313_602
.LBB313_880:                            ;   in Loop: Header=BB313_10 Depth=1
	v_cmp_eq_u16_e32 vcc, s51, v8
	s_mov_b64 s[44:45], -1
                                        ; implicit-def: $sgpr53
	s_and_saveexec_b64 s[48:49], vcc
; %bb.881:                              ;   in Loop: Header=BB313_10 Depth=1
	s_mov_b32 s53, 0x7fc02000
	s_xor_b64 s[44:45], exec, -1
; %bb.882:                              ;   in Loop: Header=BB313_10 Depth=1
	s_or_b64 exec, exec, s[48:49]
	s_and_b64 s[44:45], s[44:45], exec
	s_or_saveexec_b64 s[46:47], s[46:47]
	v_mov_b32_e32 v21, s53
	s_xor_b64 exec, exec, s[46:47]
	s_cbranch_execz .LBB313_604
.LBB313_883:                            ;   in Loop: Header=BB313_10 Depth=1
	v_cmp_ne_u16_e32 vcc, 0, v8
	s_andn2_b64 s[44:45], s[44:45], exec
	s_and_b64 vcc, vcc, exec
	v_mov_b32_e32 v21, 0
	s_or_b64 s[44:45], s[44:45], vcc
	s_or_b64 exec, exec, s[46:47]
	s_and_saveexec_b64 s[46:47], s[44:45]
	s_cbranch_execnz .LBB313_605
	s_branch .LBB313_606
.LBB313_884:                            ;   in Loop: Header=BB313_10 Depth=1
	v_cmp_eq_u16_sdwa s[54:55], v8, s51 src0_sel:BYTE_0 src1_sel:DWORD
	s_mov_b64 vcc, -1
                                        ; implicit-def: $sgpr48
	s_and_saveexec_b64 s[46:47], s[54:55]
; %bb.885:                              ;   in Loop: Header=BB313_10 Depth=1
	s_mov_b32 s48, 0x7fc02000
	s_xor_b64 vcc, exec, -1
; %bb.886:                              ;   in Loop: Header=BB313_10 Depth=1
	s_or_b64 exec, exec, s[46:47]
	s_and_b64 vcc, vcc, exec
	s_or_saveexec_b64 s[44:45], s[44:45]
	v_mov_b32_e32 v58, s48
	s_xor_b64 exec, exec, s[44:45]
	s_cbranch_execz .LBB313_608
.LBB313_887:                            ;   in Loop: Header=BB313_10 Depth=1
	v_cmp_ne_u16_sdwa s[46:47], v8, v9 src0_sel:BYTE_0 src1_sel:DWORD
	s_andn2_b64 vcc, vcc, exec
	s_and_b64 s[46:47], s[46:47], exec
	v_mov_b32_e32 v58, 0
	s_or_b64 vcc, vcc, s[46:47]
	s_or_b64 exec, exec, s[44:45]
	s_and_saveexec_b64 s[44:45], vcc
	s_cbranch_execnz .LBB313_609
	s_branch .LBB313_610
.LBB313_888:                            ;   in Loop: Header=BB313_10 Depth=1
	v_cmp_eq_u16_e32 vcc, s51, v8
	s_mov_b64 s[44:45], -1
                                        ; implicit-def: $sgpr53
	s_and_saveexec_b64 s[48:49], vcc
; %bb.889:                              ;   in Loop: Header=BB313_10 Depth=1
	s_mov_b32 s53, 0x7fc02000
	s_xor_b64 s[44:45], exec, -1
; %bb.890:                              ;   in Loop: Header=BB313_10 Depth=1
	s_or_b64 exec, exec, s[48:49]
	s_and_b64 s[44:45], s[44:45], exec
	s_or_saveexec_b64 s[46:47], s[46:47]
	v_mov_b32_e32 v33, s53
	s_xor_b64 exec, exec, s[46:47]
	s_cbranch_execz .LBB313_612
.LBB313_891:                            ;   in Loop: Header=BB313_10 Depth=1
	v_cmp_ne_u16_e32 vcc, 0, v8
	s_andn2_b64 s[44:45], s[44:45], exec
	s_and_b64 vcc, vcc, exec
	v_mov_b32_e32 v33, 0
	s_or_b64 s[44:45], s[44:45], vcc
	s_or_b64 exec, exec, s[46:47]
	s_and_saveexec_b64 s[46:47], s[44:45]
	s_cbranch_execnz .LBB313_613
	s_branch .LBB313_614
.LBB313_892:                            ;   in Loop: Header=BB313_10 Depth=1
	v_cmp_eq_u16_sdwa s[54:55], v12, s51 src0_sel:BYTE_0 src1_sel:DWORD
	s_mov_b64 vcc, -1
                                        ; implicit-def: $sgpr48
	s_and_saveexec_b64 s[46:47], s[54:55]
; %bb.893:                              ;   in Loop: Header=BB313_10 Depth=1
	s_mov_b32 s48, 0x7fc02000
	s_xor_b64 vcc, exec, -1
; %bb.894:                              ;   in Loop: Header=BB313_10 Depth=1
	s_or_b64 exec, exec, s[46:47]
	s_and_b64 vcc, vcc, exec
	s_or_saveexec_b64 s[44:45], s[44:45]
	v_mov_b32_e32 v26, s48
	s_xor_b64 exec, exec, s[44:45]
	s_cbranch_execz .LBB313_616
.LBB313_895:                            ;   in Loop: Header=BB313_10 Depth=1
	v_cmp_ne_u16_sdwa s[46:47], v12, v9 src0_sel:BYTE_0 src1_sel:DWORD
	s_andn2_b64 vcc, vcc, exec
	s_and_b64 s[46:47], s[46:47], exec
	v_mov_b32_e32 v26, 0
	s_or_b64 vcc, vcc, s[46:47]
	s_or_b64 exec, exec, s[44:45]
	s_and_saveexec_b64 s[44:45], vcc
	s_cbranch_execnz .LBB313_617
	s_branch .LBB313_618
.LBB313_896:                            ;   in Loop: Header=BB313_10 Depth=1
	v_cmp_eq_u16_e32 vcc, s51, v8
	s_mov_b64 s[44:45], -1
                                        ; implicit-def: $sgpr53
	s_and_saveexec_b64 s[48:49], vcc
; %bb.897:                              ;   in Loop: Header=BB313_10 Depth=1
	s_mov_b32 s53, 0x7fc02000
	s_xor_b64 s[44:45], exec, -1
; %bb.898:                              ;   in Loop: Header=BB313_10 Depth=1
	s_or_b64 exec, exec, s[48:49]
	s_and_b64 s[44:45], s[44:45], exec
	s_or_saveexec_b64 s[46:47], s[46:47]
	v_mov_b32_e32 v55, s53
	s_xor_b64 exec, exec, s[46:47]
	s_cbranch_execz .LBB313_620
.LBB313_899:                            ;   in Loop: Header=BB313_10 Depth=1
	v_cmp_ne_u16_e32 vcc, 0, v8
	s_andn2_b64 s[44:45], s[44:45], exec
	s_and_b64 vcc, vcc, exec
	v_mov_b32_e32 v55, 0
	s_or_b64 s[44:45], s[44:45], vcc
	s_or_b64 exec, exec, s[46:47]
	s_and_saveexec_b64 s[46:47], s[44:45]
	s_cbranch_execnz .LBB313_621
	s_branch .LBB313_622
.LBB313_900:                            ;   in Loop: Header=BB313_10 Depth=1
	v_cmp_eq_u16_sdwa s[54:55], v8, s51 src0_sel:BYTE_0 src1_sel:DWORD
	s_mov_b64 vcc, -1
                                        ; implicit-def: $sgpr48
	s_and_saveexec_b64 s[46:47], s[54:55]
; %bb.901:                              ;   in Loop: Header=BB313_10 Depth=1
	s_mov_b32 s48, 0x7fc02000
	s_xor_b64 vcc, exec, -1
; %bb.902:                              ;   in Loop: Header=BB313_10 Depth=1
	s_or_b64 exec, exec, s[46:47]
	s_and_b64 vcc, vcc, exec
	s_or_saveexec_b64 s[44:45], s[44:45]
	v_mov_b32_e32 v28, s48
	s_xor_b64 exec, exec, s[44:45]
	s_cbranch_execz .LBB313_624
.LBB313_903:                            ;   in Loop: Header=BB313_10 Depth=1
	v_cmp_ne_u16_sdwa s[46:47], v8, v9 src0_sel:BYTE_0 src1_sel:DWORD
	s_andn2_b64 vcc, vcc, exec
	s_and_b64 s[46:47], s[46:47], exec
	v_mov_b32_e32 v28, 0
	s_or_b64 vcc, vcc, s[46:47]
	s_or_b64 exec, exec, s[44:45]
	s_and_saveexec_b64 s[44:45], vcc
	s_cbranch_execnz .LBB313_625
	s_branch .LBB313_626
.LBB313_904:                            ;   in Loop: Header=BB313_10 Depth=1
	v_cmp_eq_u16_e32 vcc, s51, v8
	s_mov_b64 s[44:45], -1
                                        ; implicit-def: $sgpr53
	s_and_saveexec_b64 s[48:49], vcc
; %bb.905:                              ;   in Loop: Header=BB313_10 Depth=1
	s_mov_b32 s53, 0x7fc02000
	s_xor_b64 s[44:45], exec, -1
; %bb.906:                              ;   in Loop: Header=BB313_10 Depth=1
	s_or_b64 exec, exec, s[48:49]
	s_and_b64 s[44:45], s[44:45], exec
	s_or_saveexec_b64 s[46:47], s[46:47]
	v_mov_b32_e32 v20, s53
	s_xor_b64 exec, exec, s[46:47]
	s_cbranch_execz .LBB313_628
.LBB313_907:                            ;   in Loop: Header=BB313_10 Depth=1
	v_cmp_ne_u16_e32 vcc, 0, v8
	s_andn2_b64 s[44:45], s[44:45], exec
	s_and_b64 vcc, vcc, exec
	v_mov_b32_e32 v20, 0
	s_or_b64 s[44:45], s[44:45], vcc
	s_or_b64 exec, exec, s[46:47]
	s_and_saveexec_b64 s[46:47], s[44:45]
	s_cbranch_execnz .LBB313_629
	s_branch .LBB313_630
.LBB313_908:                            ;   in Loop: Header=BB313_10 Depth=1
	v_cmp_eq_u16_sdwa s[54:55], v12, s51 src0_sel:BYTE_0 src1_sel:DWORD
	s_mov_b64 vcc, -1
                                        ; implicit-def: $sgpr48
	s_and_saveexec_b64 s[46:47], s[54:55]
; %bb.909:                              ;   in Loop: Header=BB313_10 Depth=1
	s_mov_b32 s48, 0x7fc02000
	s_xor_b64 vcc, exec, -1
; %bb.910:                              ;   in Loop: Header=BB313_10 Depth=1
	s_or_b64 exec, exec, s[46:47]
	s_and_b64 vcc, vcc, exec
	s_or_saveexec_b64 s[44:45], s[44:45]
	v_mov_b32_e32 v29, s48
	s_xor_b64 exec, exec, s[44:45]
	s_cbranch_execz .LBB313_632
.LBB313_911:                            ;   in Loop: Header=BB313_10 Depth=1
	v_cmp_ne_u16_sdwa s[46:47], v12, v9 src0_sel:BYTE_0 src1_sel:DWORD
	s_andn2_b64 vcc, vcc, exec
	s_and_b64 s[46:47], s[46:47], exec
	v_mov_b32_e32 v29, 0
	s_or_b64 vcc, vcc, s[46:47]
	s_or_b64 exec, exec, s[44:45]
	s_and_saveexec_b64 s[44:45], vcc
	s_cbranch_execnz .LBB313_633
	s_branch .LBB313_634
.LBB313_912:                            ;   in Loop: Header=BB313_10 Depth=1
	v_cmp_eq_u16_e32 vcc, s51, v8
	s_mov_b64 s[44:45], -1
                                        ; implicit-def: $sgpr53
	s_and_saveexec_b64 s[48:49], vcc
; %bb.913:                              ;   in Loop: Header=BB313_10 Depth=1
	s_mov_b32 s53, 0x7fc02000
	s_xor_b64 s[44:45], exec, -1
; %bb.914:                              ;   in Loop: Header=BB313_10 Depth=1
	s_or_b64 exec, exec, s[48:49]
	s_and_b64 s[44:45], s[44:45], exec
	s_or_saveexec_b64 s[46:47], s[46:47]
	v_mov_b32_e32 v35, s53
	s_xor_b64 exec, exec, s[46:47]
	s_cbranch_execz .LBB313_636
.LBB313_915:                            ;   in Loop: Header=BB313_10 Depth=1
	v_cmp_ne_u16_e32 vcc, 0, v8
	s_andn2_b64 s[44:45], s[44:45], exec
	s_and_b64 vcc, vcc, exec
	v_mov_b32_e32 v35, 0
	s_or_b64 s[44:45], s[44:45], vcc
	s_or_b64 exec, exec, s[46:47]
	s_and_saveexec_b64 s[46:47], s[44:45]
	s_cbranch_execnz .LBB313_637
	s_branch .LBB313_638
.LBB313_916:                            ;   in Loop: Header=BB313_10 Depth=1
	v_cmp_eq_u16_sdwa s[54:55], v8, s51 src0_sel:BYTE_0 src1_sel:DWORD
	s_mov_b64 vcc, -1
                                        ; implicit-def: $sgpr48
	s_and_saveexec_b64 s[46:47], s[54:55]
; %bb.917:                              ;   in Loop: Header=BB313_10 Depth=1
	s_mov_b32 s48, 0x7fc02000
	s_xor_b64 vcc, exec, -1
; %bb.918:                              ;   in Loop: Header=BB313_10 Depth=1
	s_or_b64 exec, exec, s[46:47]
	s_and_b64 vcc, vcc, exec
	s_or_saveexec_b64 s[44:45], s[44:45]
	v_mov_b32_e32 v11, s48
	s_xor_b64 exec, exec, s[44:45]
	s_cbranch_execz .LBB313_640
.LBB313_919:                            ;   in Loop: Header=BB313_10 Depth=1
	v_cmp_ne_u16_sdwa s[46:47], v8, v9 src0_sel:BYTE_0 src1_sel:DWORD
	s_andn2_b64 vcc, vcc, exec
	s_and_b64 s[46:47], s[46:47], exec
	v_mov_b32_e32 v11, 0
	s_or_b64 vcc, vcc, s[46:47]
	s_or_b64 exec, exec, s[44:45]
	s_and_saveexec_b64 s[44:45], vcc
	s_cbranch_execnz .LBB313_641
	s_branch .LBB313_642
.LBB313_920:                            ;   in Loop: Header=BB313_10 Depth=1
	v_cmp_eq_u16_e32 vcc, s51, v8
	s_mov_b64 s[44:45], -1
                                        ; implicit-def: $sgpr53
	s_and_saveexec_b64 s[48:49], vcc
; %bb.921:                              ;   in Loop: Header=BB313_10 Depth=1
	s_mov_b32 s53, 0x7fc02000
	s_xor_b64 s[44:45], exec, -1
; %bb.922:                              ;   in Loop: Header=BB313_10 Depth=1
	s_or_b64 exec, exec, s[48:49]
	s_and_b64 s[44:45], s[44:45], exec
	s_or_saveexec_b64 s[46:47], s[46:47]
	v_mov_b32_e32 v49, s53
	s_xor_b64 exec, exec, s[46:47]
	s_cbranch_execz .LBB313_644
.LBB313_923:                            ;   in Loop: Header=BB313_10 Depth=1
	v_cmp_ne_u16_e32 vcc, 0, v8
	s_andn2_b64 s[44:45], s[44:45], exec
	s_and_b64 vcc, vcc, exec
	v_mov_b32_e32 v49, 0
	s_or_b64 s[44:45], s[44:45], vcc
	s_or_b64 exec, exec, s[46:47]
	s_and_saveexec_b64 s[46:47], s[44:45]
	s_cbranch_execnz .LBB313_645
	s_branch .LBB313_646
.LBB313_924:                            ;   in Loop: Header=BB313_10 Depth=1
	v_cmp_eq_u16_sdwa s[54:55], v12, s51 src0_sel:BYTE_0 src1_sel:DWORD
	s_mov_b64 vcc, -1
                                        ; implicit-def: $sgpr48
	s_and_saveexec_b64 s[46:47], s[54:55]
; %bb.925:                              ;   in Loop: Header=BB313_10 Depth=1
	s_mov_b32 s48, 0x7fc02000
	s_xor_b64 vcc, exec, -1
; %bb.926:                              ;   in Loop: Header=BB313_10 Depth=1
	s_or_b64 exec, exec, s[46:47]
	s_and_b64 vcc, vcc, exec
	s_or_saveexec_b64 s[44:45], s[44:45]
	v_mov_b32_e32 v54, s48
	s_xor_b64 exec, exec, s[44:45]
	s_cbranch_execz .LBB313_648
.LBB313_927:                            ;   in Loop: Header=BB313_10 Depth=1
	v_cmp_ne_u16_sdwa s[46:47], v12, v9 src0_sel:BYTE_0 src1_sel:DWORD
	s_andn2_b64 vcc, vcc, exec
	s_and_b64 s[46:47], s[46:47], exec
	v_mov_b32_e32 v54, 0
	s_or_b64 vcc, vcc, s[46:47]
	s_or_b64 exec, exec, s[44:45]
	s_and_saveexec_b64 s[44:45], vcc
	s_cbranch_execnz .LBB313_649
	s_branch .LBB313_650
.LBB313_928:                            ;   in Loop: Header=BB313_10 Depth=1
	v_cmp_eq_u16_e32 vcc, s51, v8
	s_mov_b64 s[44:45], -1
                                        ; implicit-def: $sgpr53
	s_and_saveexec_b64 s[48:49], vcc
; %bb.929:                              ;   in Loop: Header=BB313_10 Depth=1
	s_mov_b32 s53, 0x7fc02000
	s_xor_b64 s[44:45], exec, -1
; %bb.930:                              ;   in Loop: Header=BB313_10 Depth=1
	s_or_b64 exec, exec, s[48:49]
	s_and_b64 s[44:45], s[44:45], exec
	s_or_saveexec_b64 s[46:47], s[46:47]
	v_mov_b32_e32 v31, s53
	s_xor_b64 exec, exec, s[46:47]
	s_cbranch_execz .LBB313_652
.LBB313_931:                            ;   in Loop: Header=BB313_10 Depth=1
	v_cmp_ne_u16_e32 vcc, 0, v8
	s_andn2_b64 s[44:45], s[44:45], exec
	s_and_b64 vcc, vcc, exec
	v_mov_b32_e32 v31, 0
	s_or_b64 s[44:45], s[44:45], vcc
	s_or_b64 exec, exec, s[46:47]
	s_and_saveexec_b64 s[46:47], s[44:45]
	s_cbranch_execnz .LBB313_653
	s_branch .LBB313_654
.LBB313_932:                            ;   in Loop: Header=BB313_10 Depth=1
	v_cmp_eq_u16_sdwa s[54:55], v8, s51 src0_sel:BYTE_0 src1_sel:DWORD
	s_mov_b64 vcc, -1
                                        ; implicit-def: $sgpr48
	s_and_saveexec_b64 s[46:47], s[54:55]
; %bb.933:                              ;   in Loop: Header=BB313_10 Depth=1
	s_mov_b32 s48, 0x7fc02000
	s_xor_b64 vcc, exec, -1
; %bb.934:                              ;   in Loop: Header=BB313_10 Depth=1
	s_or_b64 exec, exec, s[46:47]
	s_and_b64 vcc, vcc, exec
	s_or_saveexec_b64 s[44:45], s[44:45]
	v_mov_b32_e32 v50, s48
	s_xor_b64 exec, exec, s[44:45]
	s_cbranch_execz .LBB313_656
.LBB313_935:                            ;   in Loop: Header=BB313_10 Depth=1
	v_cmp_ne_u16_sdwa s[46:47], v8, v9 src0_sel:BYTE_0 src1_sel:DWORD
	s_andn2_b64 vcc, vcc, exec
	s_and_b64 s[46:47], s[46:47], exec
	v_mov_b32_e32 v50, 0
	s_or_b64 vcc, vcc, s[46:47]
	s_or_b64 exec, exec, s[44:45]
	s_and_saveexec_b64 s[44:45], vcc
	s_cbranch_execnz .LBB313_657
	s_branch .LBB313_658
.LBB313_936:                            ;   in Loop: Header=BB313_10 Depth=1
	v_cmp_eq_u16_e32 vcc, s51, v8
	s_mov_b64 s[44:45], -1
                                        ; implicit-def: $sgpr53
	s_and_saveexec_b64 s[48:49], vcc
; %bb.937:                              ;   in Loop: Header=BB313_10 Depth=1
	s_mov_b32 s53, 0x7fc02000
	s_xor_b64 s[44:45], exec, -1
; %bb.938:                              ;   in Loop: Header=BB313_10 Depth=1
	s_or_b64 exec, exec, s[48:49]
	s_and_b64 s[44:45], s[44:45], exec
	s_or_saveexec_b64 s[46:47], s[46:47]
	v_mov_b32_e32 v6, s53
	s_xor_b64 exec, exec, s[46:47]
	s_cbranch_execz .LBB313_660
.LBB313_939:                            ;   in Loop: Header=BB313_10 Depth=1
	v_cmp_ne_u16_e32 vcc, 0, v8
	s_andn2_b64 s[44:45], s[44:45], exec
	s_and_b64 vcc, vcc, exec
	v_mov_b32_e32 v6, 0
	s_or_b64 s[44:45], s[44:45], vcc
	s_or_b64 exec, exec, s[46:47]
	s_and_saveexec_b64 s[46:47], s[44:45]
	s_cbranch_execnz .LBB313_661
	s_branch .LBB313_662
.LBB313_940:                            ;   in Loop: Header=BB313_10 Depth=1
	v_cmp_eq_u16_sdwa s[54:55], v12, s51 src0_sel:BYTE_0 src1_sel:DWORD
	s_mov_b64 vcc, -1
                                        ; implicit-def: $sgpr48
	s_and_saveexec_b64 s[46:47], s[54:55]
; %bb.941:                              ;   in Loop: Header=BB313_10 Depth=1
	s_mov_b32 s48, 0x7fc02000
	s_xor_b64 vcc, exec, -1
; %bb.942:                              ;   in Loop: Header=BB313_10 Depth=1
	s_or_b64 exec, exec, s[46:47]
	s_and_b64 vcc, vcc, exec
	s_or_saveexec_b64 s[44:45], s[44:45]
	v_mov_b32_e32 v19, s48
	s_xor_b64 exec, exec, s[44:45]
	s_cbranch_execz .LBB313_664
.LBB313_943:                            ;   in Loop: Header=BB313_10 Depth=1
	v_cmp_ne_u16_sdwa s[46:47], v12, v9 src0_sel:BYTE_0 src1_sel:DWORD
	s_andn2_b64 vcc, vcc, exec
	s_and_b64 s[46:47], s[46:47], exec
	v_mov_b32_e32 v19, 0
	s_or_b64 vcc, vcc, s[46:47]
	s_or_b64 exec, exec, s[44:45]
	s_and_saveexec_b64 s[44:45], vcc
	s_cbranch_execnz .LBB313_665
	s_branch .LBB313_666
.LBB313_944:                            ;   in Loop: Header=BB313_10 Depth=1
	v_cmp_eq_u16_e32 vcc, s51, v8
	s_mov_b64 s[44:45], -1
                                        ; implicit-def: $sgpr53
	s_and_saveexec_b64 s[48:49], vcc
; %bb.945:                              ;   in Loop: Header=BB313_10 Depth=1
	s_mov_b32 s53, 0x7fc02000
	s_xor_b64 s[44:45], exec, -1
; %bb.946:                              ;   in Loop: Header=BB313_10 Depth=1
	s_or_b64 exec, exec, s[48:49]
	s_and_b64 s[44:45], s[44:45], exec
	s_or_saveexec_b64 s[46:47], s[46:47]
	v_mov_b32_e32 v52, s53
	s_xor_b64 exec, exec, s[46:47]
	s_cbranch_execz .LBB313_668
.LBB313_947:                            ;   in Loop: Header=BB313_10 Depth=1
	v_cmp_ne_u16_e32 vcc, 0, v8
	s_andn2_b64 s[44:45], s[44:45], exec
	s_and_b64 vcc, vcc, exec
	v_mov_b32_e32 v52, 0
	s_or_b64 s[44:45], s[44:45], vcc
	s_or_b64 exec, exec, s[46:47]
	s_and_saveexec_b64 s[46:47], s[44:45]
	s_cbranch_execnz .LBB313_669
	s_branch .LBB313_670
.LBB313_948:                            ;   in Loop: Header=BB313_10 Depth=1
	v_cmp_eq_u16_sdwa s[54:55], v8, s51 src0_sel:BYTE_0 src1_sel:DWORD
	s_mov_b64 vcc, -1
                                        ; implicit-def: $sgpr48
	s_and_saveexec_b64 s[46:47], s[54:55]
; %bb.949:                              ;   in Loop: Header=BB313_10 Depth=1
	s_mov_b32 s48, 0x7fc02000
	s_xor_b64 vcc, exec, -1
; %bb.950:                              ;   in Loop: Header=BB313_10 Depth=1
	s_or_b64 exec, exec, s[46:47]
	s_and_b64 vcc, vcc, exec
	s_or_saveexec_b64 s[44:45], s[44:45]
	v_mov_b32_e32 v56, s48
	s_xor_b64 exec, exec, s[44:45]
	s_cbranch_execz .LBB313_672
.LBB313_951:                            ;   in Loop: Header=BB313_10 Depth=1
	v_cmp_ne_u16_sdwa s[46:47], v8, v9 src0_sel:BYTE_0 src1_sel:DWORD
	s_andn2_b64 vcc, vcc, exec
	s_and_b64 s[46:47], s[46:47], exec
	v_mov_b32_e32 v56, 0
	s_or_b64 vcc, vcc, s[46:47]
	s_or_b64 exec, exec, s[44:45]
	s_and_saveexec_b64 s[44:45], vcc
	s_cbranch_execnz .LBB313_673
	s_branch .LBB313_674
.LBB313_952:                            ;   in Loop: Header=BB313_10 Depth=1
	v_cmp_eq_u16_e32 vcc, s51, v8
	s_mov_b64 s[44:45], -1
                                        ; implicit-def: $sgpr53
	s_and_saveexec_b64 s[48:49], vcc
; %bb.953:                              ;   in Loop: Header=BB313_10 Depth=1
	s_mov_b32 s53, 0x7fc02000
	s_xor_b64 s[44:45], exec, -1
; %bb.954:                              ;   in Loop: Header=BB313_10 Depth=1
	s_or_b64 exec, exec, s[48:49]
	s_and_b64 s[44:45], s[44:45], exec
	s_or_saveexec_b64 s[46:47], s[46:47]
	v_mov_b32_e32 v1, s53
	s_xor_b64 exec, exec, s[46:47]
	s_cbranch_execz .LBB313_676
.LBB313_955:                            ;   in Loop: Header=BB313_10 Depth=1
	v_cmp_ne_u16_e32 vcc, 0, v8
	s_andn2_b64 s[44:45], s[44:45], exec
	s_and_b64 vcc, vcc, exec
	v_mov_b32_e32 v1, 0
	s_or_b64 s[44:45], s[44:45], vcc
	s_or_b64 exec, exec, s[46:47]
	s_and_saveexec_b64 s[46:47], s[44:45]
	s_cbranch_execnz .LBB313_677
	s_branch .LBB313_678
.LBB313_956:                            ;   in Loop: Header=BB313_10 Depth=1
	v_cmp_eq_u16_sdwa s[54:55], v12, s51 src0_sel:BYTE_0 src1_sel:DWORD
	s_mov_b64 vcc, -1
                                        ; implicit-def: $sgpr48
	s_and_saveexec_b64 s[46:47], s[54:55]
; %bb.957:                              ;   in Loop: Header=BB313_10 Depth=1
	s_mov_b32 s48, 0x7fc02000
	s_xor_b64 vcc, exec, -1
; %bb.958:                              ;   in Loop: Header=BB313_10 Depth=1
	s_or_b64 exec, exec, s[46:47]
	s_and_b64 vcc, vcc, exec
	s_or_saveexec_b64 s[44:45], s[44:45]
	v_mov_b32_e32 v10, s48
	s_xor_b64 exec, exec, s[44:45]
	s_cbranch_execz .LBB313_680
.LBB313_959:                            ;   in Loop: Header=BB313_10 Depth=1
	v_cmp_ne_u16_sdwa s[46:47], v12, v9 src0_sel:BYTE_0 src1_sel:DWORD
	s_andn2_b64 vcc, vcc, exec
	s_and_b64 s[46:47], s[46:47], exec
	v_mov_b32_e32 v10, 0
	s_or_b64 vcc, vcc, s[46:47]
	s_or_b64 exec, exec, s[44:45]
	s_and_saveexec_b64 s[44:45], vcc
	s_cbranch_execnz .LBB313_681
	s_branch .LBB313_682
.LBB313_960:                            ;   in Loop: Header=BB313_10 Depth=1
	v_cmp_eq_u16_e32 vcc, s51, v8
	s_mov_b64 s[44:45], -1
                                        ; implicit-def: $sgpr53
	s_and_saveexec_b64 s[48:49], vcc
; %bb.961:                              ;   in Loop: Header=BB313_10 Depth=1
	s_mov_b32 s53, 0x7fc02000
	s_xor_b64 s[44:45], exec, -1
; %bb.962:                              ;   in Loop: Header=BB313_10 Depth=1
	s_or_b64 exec, exec, s[48:49]
	s_and_b64 s[44:45], s[44:45], exec
	s_or_saveexec_b64 s[46:47], s[46:47]
	v_mov_b32_e32 v7, s53
	s_xor_b64 exec, exec, s[46:47]
	s_cbranch_execz .LBB313_684
.LBB313_963:                            ;   in Loop: Header=BB313_10 Depth=1
	v_cmp_ne_u16_e32 vcc, 0, v8
	s_andn2_b64 s[44:45], s[44:45], exec
	s_and_b64 vcc, vcc, exec
	v_mov_b32_e32 v7, 0
	s_or_b64 s[44:45], s[44:45], vcc
	s_or_b64 exec, exec, s[46:47]
	s_and_saveexec_b64 s[46:47], s[44:45]
	s_cbranch_execnz .LBB313_685
	s_branch .LBB313_686
.LBB313_964:                            ;   in Loop: Header=BB313_10 Depth=1
	v_cmp_eq_u16_sdwa s[54:55], v8, s51 src0_sel:BYTE_0 src1_sel:DWORD
	s_mov_b64 vcc, -1
                                        ; implicit-def: $sgpr48
	s_and_saveexec_b64 s[46:47], s[54:55]
; %bb.965:                              ;   in Loop: Header=BB313_10 Depth=1
	s_mov_b32 s48, 0x7fc02000
	s_xor_b64 vcc, exec, -1
; %bb.966:                              ;   in Loop: Header=BB313_10 Depth=1
	s_or_b64 exec, exec, s[46:47]
	s_and_b64 vcc, vcc, exec
	s_or_saveexec_b64 s[44:45], s[44:45]
	v_mov_b32_e32 v0, s48
	s_xor_b64 exec, exec, s[44:45]
	s_cbranch_execz .LBB313_688
.LBB313_967:                            ;   in Loop: Header=BB313_10 Depth=1
	v_cmp_ne_u16_sdwa s[46:47], v8, v9 src0_sel:BYTE_0 src1_sel:DWORD
	s_andn2_b64 vcc, vcc, exec
	s_and_b64 s[46:47], s[46:47], exec
	v_mov_b32_e32 v0, 0
	s_or_b64 vcc, vcc, s[46:47]
	s_or_b64 exec, exec, s[44:45]
	s_and_saveexec_b64 s[44:45], vcc
	s_cbranch_execnz .LBB313_689
	s_branch .LBB313_690
.LBB313_968:                            ;   in Loop: Header=BB313_10 Depth=1
	v_cmp_eq_u16_e32 vcc, s51, v8
	s_mov_b64 s[44:45], -1
                                        ; implicit-def: $sgpr53
	s_and_saveexec_b64 s[48:49], vcc
; %bb.969:                              ;   in Loop: Header=BB313_10 Depth=1
	s_mov_b32 s53, 0x7fc02000
	s_xor_b64 s[44:45], exec, -1
; %bb.970:                              ;   in Loop: Header=BB313_10 Depth=1
	s_or_b64 exec, exec, s[48:49]
	s_and_b64 s[44:45], s[44:45], exec
	s_or_saveexec_b64 s[46:47], s[46:47]
	v_mov_b32_e32 v18, s53
	s_xor_b64 exec, exec, s[46:47]
	s_cbranch_execz .LBB313_692
.LBB313_971:                            ;   in Loop: Header=BB313_10 Depth=1
	v_cmp_ne_u16_e32 vcc, 0, v8
	s_andn2_b64 s[44:45], s[44:45], exec
	s_and_b64 vcc, vcc, exec
	v_mov_b32_e32 v18, 0
	s_or_b64 s[44:45], s[44:45], vcc
	s_or_b64 exec, exec, s[46:47]
	s_and_saveexec_b64 s[46:47], s[44:45]
	s_cbranch_execnz .LBB313_693
	s_branch .LBB313_694
.LBB313_972:                            ;   in Loop: Header=BB313_10 Depth=1
	v_cmp_eq_u16_sdwa s[54:55], v12, s51 src0_sel:BYTE_0 src1_sel:DWORD
	s_mov_b64 vcc, -1
                                        ; implicit-def: $sgpr48
	s_and_saveexec_b64 s[46:47], s[54:55]
; %bb.973:                              ;   in Loop: Header=BB313_10 Depth=1
	s_mov_b32 s48, 0x7fc02000
	s_xor_b64 vcc, exec, -1
; %bb.974:                              ;   in Loop: Header=BB313_10 Depth=1
	s_or_b64 exec, exec, s[46:47]
	s_and_b64 vcc, vcc, exec
	s_or_saveexec_b64 s[44:45], s[44:45]
	v_mov_b32_e32 v3, s48
	s_xor_b64 exec, exec, s[44:45]
	s_cbranch_execz .LBB313_696
.LBB313_975:                            ;   in Loop: Header=BB313_10 Depth=1
	v_cmp_ne_u16_sdwa s[46:47], v12, v9 src0_sel:BYTE_0 src1_sel:DWORD
	s_andn2_b64 vcc, vcc, exec
	s_and_b64 s[46:47], s[46:47], exec
	v_mov_b32_e32 v3, 0
	s_or_b64 vcc, vcc, s[46:47]
	s_or_b64 exec, exec, s[44:45]
	s_and_saveexec_b64 s[44:45], vcc
	s_cbranch_execnz .LBB313_697
	s_branch .LBB313_698
.LBB313_976:                            ;   in Loop: Header=BB313_10 Depth=1
	v_cmp_eq_u16_e32 vcc, s51, v8
	s_mov_b64 s[44:45], -1
                                        ; implicit-def: $sgpr53
	s_and_saveexec_b64 s[48:49], vcc
; %bb.977:                              ;   in Loop: Header=BB313_10 Depth=1
	s_mov_b32 s53, 0x7fc02000
	s_xor_b64 s[44:45], exec, -1
; %bb.978:                              ;   in Loop: Header=BB313_10 Depth=1
	s_or_b64 exec, exec, s[48:49]
	s_and_b64 s[44:45], s[44:45], exec
	s_or_saveexec_b64 s[46:47], s[46:47]
	v_mov_b32_e32 v27, s53
	s_xor_b64 exec, exec, s[46:47]
	s_cbranch_execz .LBB313_700
.LBB313_979:                            ;   in Loop: Header=BB313_10 Depth=1
	v_cmp_ne_u16_e32 vcc, 0, v8
	s_andn2_b64 s[44:45], s[44:45], exec
	s_and_b64 vcc, vcc, exec
	v_mov_b32_e32 v27, 0
	s_or_b64 s[44:45], s[44:45], vcc
	s_or_b64 exec, exec, s[46:47]
	s_and_saveexec_b64 s[46:47], s[44:45]
	s_cbranch_execnz .LBB313_701
	s_branch .LBB313_702
.LBB313_980:                            ;   in Loop: Header=BB313_10 Depth=1
	v_cmp_eq_u16_sdwa s[54:55], v8, s51 src0_sel:BYTE_0 src1_sel:DWORD
	s_mov_b64 vcc, -1
                                        ; implicit-def: $sgpr48
	s_and_saveexec_b64 s[46:47], s[54:55]
; %bb.981:                              ;   in Loop: Header=BB313_10 Depth=1
	s_mov_b32 s48, 0x7fc02000
	s_xor_b64 vcc, exec, -1
; %bb.982:                              ;   in Loop: Header=BB313_10 Depth=1
	s_or_b64 exec, exec, s[46:47]
	s_and_b64 vcc, vcc, exec
	s_or_saveexec_b64 s[44:45], s[44:45]
	v_mov_b32_e32 v34, s48
	s_xor_b64 exec, exec, s[44:45]
	s_cbranch_execz .LBB313_704
.LBB313_983:                            ;   in Loop: Header=BB313_10 Depth=1
	v_cmp_ne_u16_sdwa s[46:47], v8, v9 src0_sel:BYTE_0 src1_sel:DWORD
	s_andn2_b64 vcc, vcc, exec
	s_and_b64 s[46:47], s[46:47], exec
	v_mov_b32_e32 v34, 0
	s_or_b64 vcc, vcc, s[46:47]
	s_or_b64 exec, exec, s[44:45]
	s_and_saveexec_b64 s[44:45], vcc
	s_cbranch_execnz .LBB313_705
	s_branch .LBB313_706
.LBB313_984:                            ;   in Loop: Header=BB313_10 Depth=1
	v_cmp_eq_u16_e32 vcc, s51, v8
	s_mov_b64 s[44:45], -1
                                        ; implicit-def: $sgpr53
	s_and_saveexec_b64 s[48:49], vcc
; %bb.985:                              ;   in Loop: Header=BB313_10 Depth=1
	s_mov_b32 s53, 0x7fc02000
	s_xor_b64 s[44:45], exec, -1
; %bb.986:                              ;   in Loop: Header=BB313_10 Depth=1
	s_or_b64 exec, exec, s[48:49]
	s_and_b64 s[44:45], s[44:45], exec
	s_or_saveexec_b64 s[46:47], s[46:47]
	v_mov_b32_e32 v51, s53
	s_xor_b64 exec, exec, s[46:47]
	s_cbranch_execz .LBB313_708
.LBB313_987:                            ;   in Loop: Header=BB313_10 Depth=1
	v_cmp_ne_u16_e32 vcc, 0, v8
	s_andn2_b64 s[44:45], s[44:45], exec
	s_and_b64 vcc, vcc, exec
	v_mov_b32_e32 v51, 0
	s_or_b64 s[44:45], s[44:45], vcc
	s_or_b64 exec, exec, s[46:47]
	s_and_saveexec_b64 s[46:47], s[44:45]
	s_cbranch_execnz .LBB313_709
	s_branch .LBB313_710
.LBB313_988:                            ;   in Loop: Header=BB313_10 Depth=1
	v_cmp_eq_u16_sdwa s[54:55], v12, s51 src0_sel:BYTE_0 src1_sel:DWORD
	s_mov_b64 vcc, -1
                                        ; implicit-def: $sgpr48
	s_and_saveexec_b64 s[46:47], s[54:55]
; %bb.989:                              ;   in Loop: Header=BB313_10 Depth=1
	s_mov_b32 s48, 0x7fc02000
	s_xor_b64 vcc, exec, -1
; %bb.990:                              ;   in Loop: Header=BB313_10 Depth=1
	s_or_b64 exec, exec, s[46:47]
	s_and_b64 vcc, vcc, exec
	s_or_saveexec_b64 s[44:45], s[44:45]
	v_mov_b32_e32 v38, s48
	s_xor_b64 exec, exec, s[44:45]
	s_cbranch_execz .LBB313_712
.LBB313_991:                            ;   in Loop: Header=BB313_10 Depth=1
	v_cmp_ne_u16_sdwa s[46:47], v12, v9 src0_sel:BYTE_0 src1_sel:DWORD
	s_andn2_b64 vcc, vcc, exec
	s_and_b64 s[46:47], s[46:47], exec
	v_mov_b32_e32 v38, 0
	s_or_b64 vcc, vcc, s[46:47]
	s_or_b64 exec, exec, s[44:45]
	s_and_saveexec_b64 s[44:45], vcc
	s_cbranch_execnz .LBB313_713
	s_branch .LBB313_714
.LBB313_992:                            ;   in Loop: Header=BB313_10 Depth=1
	v_cmp_eq_u16_e32 vcc, s51, v8
	s_mov_b64 s[44:45], -1
                                        ; implicit-def: $sgpr53
	s_and_saveexec_b64 s[48:49], vcc
; %bb.993:                              ;   in Loop: Header=BB313_10 Depth=1
	s_mov_b32 s53, 0x7fc02000
	s_xor_b64 s[44:45], exec, -1
; %bb.994:                              ;   in Loop: Header=BB313_10 Depth=1
	s_or_b64 exec, exec, s[48:49]
	s_and_b64 s[44:45], s[44:45], exec
	s_or_saveexec_b64 s[46:47], s[46:47]
	v_mov_b32_e32 v39, s53
	s_xor_b64 exec, exec, s[46:47]
	s_cbranch_execz .LBB313_716
.LBB313_995:                            ;   in Loop: Header=BB313_10 Depth=1
	v_cmp_ne_u16_e32 vcc, 0, v8
	s_andn2_b64 s[44:45], s[44:45], exec
	s_and_b64 vcc, vcc, exec
	v_mov_b32_e32 v39, 0
	s_or_b64 s[44:45], s[44:45], vcc
	s_or_b64 exec, exec, s[46:47]
	s_and_saveexec_b64 s[46:47], s[44:45]
	s_cbranch_execnz .LBB313_717
	s_branch .LBB313_718
.LBB313_996:                            ;   in Loop: Header=BB313_10 Depth=1
	v_cmp_eq_u16_sdwa s[54:55], v8, s51 src0_sel:BYTE_0 src1_sel:DWORD
	s_mov_b64 vcc, -1
                                        ; implicit-def: $sgpr48
	s_and_saveexec_b64 s[46:47], s[54:55]
; %bb.997:                              ;   in Loop: Header=BB313_10 Depth=1
	s_mov_b32 s48, 0x7fc02000
	s_xor_b64 vcc, exec, -1
; %bb.998:                              ;   in Loop: Header=BB313_10 Depth=1
	s_or_b64 exec, exec, s[46:47]
	s_and_b64 vcc, vcc, exec
	s_or_saveexec_b64 s[44:45], s[44:45]
	v_mov_b32_e32 v16, s48
	s_xor_b64 exec, exec, s[44:45]
	s_cbranch_execz .LBB313_720
.LBB313_999:                            ;   in Loop: Header=BB313_10 Depth=1
	v_cmp_ne_u16_sdwa s[46:47], v8, v9 src0_sel:BYTE_0 src1_sel:DWORD
	s_andn2_b64 vcc, vcc, exec
	s_and_b64 s[46:47], s[46:47], exec
	v_mov_b32_e32 v16, 0
	s_or_b64 vcc, vcc, s[46:47]
	s_or_b64 exec, exec, s[44:45]
	s_and_saveexec_b64 s[44:45], vcc
	s_cbranch_execnz .LBB313_721
	s_branch .LBB313_722
.LBB313_1000:                           ;   in Loop: Header=BB313_10 Depth=1
	v_cmp_eq_u16_e32 vcc, s51, v8
	s_mov_b64 s[44:45], -1
                                        ; implicit-def: $sgpr53
	s_and_saveexec_b64 s[48:49], vcc
; %bb.1001:                             ;   in Loop: Header=BB313_10 Depth=1
	s_mov_b32 s53, 0x7fc02000
	s_xor_b64 s[44:45], exec, -1
; %bb.1002:                             ;   in Loop: Header=BB313_10 Depth=1
	s_or_b64 exec, exec, s[48:49]
	s_and_b64 s[44:45], s[44:45], exec
	s_or_saveexec_b64 s[46:47], s[46:47]
	v_mov_b32_e32 v42, s53
	s_xor_b64 exec, exec, s[46:47]
	s_cbranch_execz .LBB313_724
.LBB313_1003:                           ;   in Loop: Header=BB313_10 Depth=1
	v_cmp_ne_u16_e32 vcc, 0, v8
	s_andn2_b64 s[44:45], s[44:45], exec
	s_and_b64 vcc, vcc, exec
	v_mov_b32_e32 v42, 0
	s_or_b64 s[44:45], s[44:45], vcc
	s_or_b64 exec, exec, s[46:47]
	s_and_saveexec_b64 s[46:47], s[44:45]
	s_cbranch_execnz .LBB313_725
	s_branch .LBB313_726
.LBB313_1004:                           ;   in Loop: Header=BB313_10 Depth=1
	v_cmp_eq_u16_sdwa s[54:55], v12, s51 src0_sel:BYTE_0 src1_sel:DWORD
	s_mov_b64 vcc, -1
                                        ; implicit-def: $sgpr48
	s_and_saveexec_b64 s[46:47], s[54:55]
; %bb.1005:                             ;   in Loop: Header=BB313_10 Depth=1
	s_mov_b32 s48, 0x7fc02000
	s_xor_b64 vcc, exec, -1
; %bb.1006:                             ;   in Loop: Header=BB313_10 Depth=1
	s_or_b64 exec, exec, s[46:47]
	s_and_b64 vcc, vcc, exec
	s_or_saveexec_b64 s[44:45], s[44:45]
	v_mov_b32_e32 v45, s48
	s_xor_b64 exec, exec, s[44:45]
	s_cbranch_execz .LBB313_728
.LBB313_1007:                           ;   in Loop: Header=BB313_10 Depth=1
	v_cmp_ne_u16_sdwa s[46:47], v12, v9 src0_sel:BYTE_0 src1_sel:DWORD
	s_andn2_b64 vcc, vcc, exec
	s_and_b64 s[46:47], s[46:47], exec
	v_mov_b32_e32 v45, 0
	s_or_b64 vcc, vcc, s[46:47]
	s_or_b64 exec, exec, s[44:45]
	s_and_saveexec_b64 s[44:45], vcc
	s_cbranch_execnz .LBB313_729
	s_branch .LBB313_730
.LBB313_1008:                           ;   in Loop: Header=BB313_10 Depth=1
	v_cmp_eq_u16_e32 vcc, s51, v8
	s_mov_b64 s[44:45], -1
                                        ; implicit-def: $sgpr53
	s_and_saveexec_b64 s[48:49], vcc
; %bb.1009:                             ;   in Loop: Header=BB313_10 Depth=1
	s_mov_b32 s53, 0x7fc02000
	s_xor_b64 s[44:45], exec, -1
; %bb.1010:                             ;   in Loop: Header=BB313_10 Depth=1
	s_or_b64 exec, exec, s[48:49]
	s_and_b64 s[44:45], s[44:45], exec
	s_or_saveexec_b64 s[46:47], s[46:47]
	v_mov_b32_e32 v46, s53
	s_xor_b64 exec, exec, s[46:47]
	s_cbranch_execz .LBB313_732
.LBB313_1011:                           ;   in Loop: Header=BB313_10 Depth=1
	v_cmp_ne_u16_e32 vcc, 0, v8
	s_andn2_b64 s[44:45], s[44:45], exec
	s_and_b64 vcc, vcc, exec
	v_mov_b32_e32 v46, 0
	s_or_b64 s[44:45], s[44:45], vcc
	s_or_b64 exec, exec, s[46:47]
	s_and_saveexec_b64 s[46:47], s[44:45]
	s_cbranch_execnz .LBB313_733
	s_branch .LBB313_734
.LBB313_1012:                           ;   in Loop: Header=BB313_10 Depth=1
	v_cmp_eq_u16_sdwa s[54:55], v8, s51 src0_sel:BYTE_0 src1_sel:DWORD
	s_mov_b64 vcc, -1
                                        ; implicit-def: $sgpr48
	s_and_saveexec_b64 s[46:47], s[54:55]
; %bb.1013:                             ;   in Loop: Header=BB313_10 Depth=1
	s_mov_b32 s48, 0x7fc02000
	s_xor_b64 vcc, exec, -1
; %bb.1014:                             ;   in Loop: Header=BB313_10 Depth=1
	s_or_b64 exec, exec, s[46:47]
	s_and_b64 vcc, vcc, exec
	s_or_saveexec_b64 s[44:45], s[44:45]
	v_mov_b32_e32 v47, s48
	s_xor_b64 exec, exec, s[44:45]
	s_cbranch_execz .LBB313_736
.LBB313_1015:                           ;   in Loop: Header=BB313_10 Depth=1
	v_cmp_ne_u16_sdwa s[46:47], v8, v9 src0_sel:BYTE_0 src1_sel:DWORD
	s_andn2_b64 vcc, vcc, exec
	s_and_b64 s[46:47], s[46:47], exec
	v_mov_b32_e32 v47, 0
	s_or_b64 vcc, vcc, s[46:47]
	s_or_b64 exec, exec, s[44:45]
	s_and_saveexec_b64 s[44:45], vcc
	s_cbranch_execnz .LBB313_737
	s_branch .LBB313_738
.LBB313_1016:                           ;   in Loop: Header=BB313_10 Depth=1
	v_cmp_eq_u16_e32 vcc, s51, v8
	s_mov_b64 s[44:45], -1
                                        ; implicit-def: $sgpr53
	s_and_saveexec_b64 s[48:49], vcc
; %bb.1017:                             ;   in Loop: Header=BB313_10 Depth=1
	s_mov_b32 s53, 0x7fc02000
	s_xor_b64 s[44:45], exec, -1
; %bb.1018:                             ;   in Loop: Header=BB313_10 Depth=1
	s_or_b64 exec, exec, s[48:49]
	s_and_b64 s[44:45], s[44:45], exec
	s_or_saveexec_b64 s[46:47], s[46:47]
	v_mov_b32_e32 v40, s53
	s_xor_b64 exec, exec, s[46:47]
	s_cbranch_execz .LBB313_740
.LBB313_1019:                           ;   in Loop: Header=BB313_10 Depth=1
	v_cmp_ne_u16_e32 vcc, 0, v8
	s_andn2_b64 s[44:45], s[44:45], exec
	s_and_b64 vcc, vcc, exec
	v_mov_b32_e32 v40, 0
	s_or_b64 s[44:45], s[44:45], vcc
	s_or_b64 exec, exec, s[46:47]
	s_and_saveexec_b64 s[46:47], s[44:45]
	s_cbranch_execnz .LBB313_741
	s_branch .LBB313_742
.LBB313_1020:                           ;   in Loop: Header=BB313_10 Depth=1
	v_cmp_eq_u16_sdwa s[54:55], v12, s51 src0_sel:BYTE_0 src1_sel:DWORD
	s_mov_b64 vcc, -1
                                        ; implicit-def: $sgpr48
	s_and_saveexec_b64 s[46:47], s[54:55]
; %bb.1021:                             ;   in Loop: Header=BB313_10 Depth=1
	s_mov_b32 s48, 0x7fc02000
	s_xor_b64 vcc, exec, -1
; %bb.1022:                             ;   in Loop: Header=BB313_10 Depth=1
	s_or_b64 exec, exec, s[46:47]
	s_and_b64 vcc, vcc, exec
	s_or_saveexec_b64 s[44:45], s[44:45]
	v_mov_b32_e32 v37, s48
	s_xor_b64 exec, exec, s[44:45]
	s_cbranch_execz .LBB313_744
.LBB313_1023:                           ;   in Loop: Header=BB313_10 Depth=1
	v_cmp_ne_u16_sdwa s[46:47], v12, v9 src0_sel:BYTE_0 src1_sel:DWORD
	s_andn2_b64 vcc, vcc, exec
	s_and_b64 s[46:47], s[46:47], exec
	v_mov_b32_e32 v37, 0
	s_or_b64 vcc, vcc, s[46:47]
	s_or_b64 exec, exec, s[44:45]
	s_and_saveexec_b64 s[44:45], vcc
	s_cbranch_execnz .LBB313_745
	s_branch .LBB313_746
.LBB313_1024:                           ;   in Loop: Header=BB313_10 Depth=1
	v_cmp_eq_u16_e32 vcc, s51, v8
	s_mov_b64 s[44:45], -1
                                        ; implicit-def: $sgpr53
	s_and_saveexec_b64 s[48:49], vcc
; %bb.1025:                             ;   in Loop: Header=BB313_10 Depth=1
	s_mov_b32 s53, 0x7fc02000
	s_xor_b64 s[44:45], exec, -1
; %bb.1026:                             ;   in Loop: Header=BB313_10 Depth=1
	s_or_b64 exec, exec, s[48:49]
	s_and_b64 s[44:45], s[44:45], exec
	s_or_saveexec_b64 s[46:47], s[46:47]
	v_mov_b32_e32 v36, s53
	s_xor_b64 exec, exec, s[46:47]
	s_cbranch_execz .LBB313_748
.LBB313_1027:                           ;   in Loop: Header=BB313_10 Depth=1
	v_cmp_ne_u16_e32 vcc, 0, v8
	s_andn2_b64 s[44:45], s[44:45], exec
	s_and_b64 vcc, vcc, exec
	v_mov_b32_e32 v36, 0
	s_or_b64 s[44:45], s[44:45], vcc
	s_or_b64 exec, exec, s[46:47]
	s_and_saveexec_b64 s[46:47], s[44:45]
	s_cbranch_execnz .LBB313_749
	s_branch .LBB313_750
.LBB313_1028:                           ;   in Loop: Header=BB313_10 Depth=1
	v_cmp_eq_u16_sdwa s[54:55], v8, s51 src0_sel:BYTE_0 src1_sel:DWORD
	s_mov_b64 vcc, -1
                                        ; implicit-def: $sgpr48
	s_and_saveexec_b64 s[46:47], s[54:55]
; %bb.1029:                             ;   in Loop: Header=BB313_10 Depth=1
	s_mov_b32 s48, 0x7fc02000
	s_xor_b64 vcc, exec, -1
; %bb.1030:                             ;   in Loop: Header=BB313_10 Depth=1
	s_or_b64 exec, exec, s[46:47]
	s_and_b64 vcc, vcc, exec
	s_or_saveexec_b64 s[44:45], s[44:45]
	v_mov_b32_e32 v22, s48
	s_xor_b64 exec, exec, s[44:45]
	s_cbranch_execz .LBB313_752
.LBB313_1031:                           ;   in Loop: Header=BB313_10 Depth=1
	v_cmp_ne_u16_sdwa s[46:47], v8, v9 src0_sel:BYTE_0 src1_sel:DWORD
	s_andn2_b64 vcc, vcc, exec
	s_and_b64 s[46:47], s[46:47], exec
	v_mov_b32_e32 v22, 0
	s_or_b64 vcc, vcc, s[46:47]
	s_or_b64 exec, exec, s[44:45]
	s_and_saveexec_b64 s[44:45], vcc
	s_cbranch_execnz .LBB313_753
	s_branch .LBB313_754
.LBB313_1032:                           ;   in Loop: Header=BB313_10 Depth=1
	v_cmp_eq_u16_e32 vcc, s51, v8
	s_mov_b64 s[44:45], -1
                                        ; implicit-def: $sgpr53
	s_and_saveexec_b64 s[48:49], vcc
; %bb.1033:                             ;   in Loop: Header=BB313_10 Depth=1
	s_mov_b32 s53, 0x7fc02000
	s_xor_b64 s[44:45], exec, -1
; %bb.1034:                             ;   in Loop: Header=BB313_10 Depth=1
	s_or_b64 exec, exec, s[48:49]
	s_and_b64 s[44:45], s[44:45], exec
	s_or_saveexec_b64 s[46:47], s[46:47]
	v_mov_b32_e32 v25, s53
	s_xor_b64 exec, exec, s[46:47]
	s_cbranch_execz .LBB313_756
.LBB313_1035:                           ;   in Loop: Header=BB313_10 Depth=1
	v_cmp_ne_u16_e32 vcc, 0, v8
	s_andn2_b64 s[44:45], s[44:45], exec
	s_and_b64 vcc, vcc, exec
	v_mov_b32_e32 v25, 0
	s_or_b64 s[44:45], s[44:45], vcc
	s_or_b64 exec, exec, s[46:47]
	v_accvgpr_write_b32 a42, v59
	s_and_saveexec_b64 s[46:47], s[44:45]
	s_cbranch_execnz .LBB313_757
	s_branch .LBB313_758
.LBB313_1036:
	s_or_b64 exec, exec, s[24:25]
	scratch_load_dword v19, off, s32 offset:612 ; 4-byte Folded Reload
	scratch_load_dwordx2 v[24:25], off, s32 offset:672 ; 8-byte Folded Reload
	scratch_load_dword v13, off, s32 offset:564 ; 4-byte Folded Reload
.LBB313_1037:
	s_or_b64 exec, exec, s[22:23]
	scratch_load_dword v8, off, s32 offset:552 ; 4-byte Folded Reload
	s_waitcnt vmcnt(1)
	v_max_f32_e32 v3, v13, v13
	v_and_b32_e32 v18, 63, v19
	s_waitcnt lgkmcnt(0)
	s_lshr_b32 s26, s50, 16
	s_waitcnt vmcnt(0)
	v_xor_b32_e32 v1, 32, v8
	v_cmp_lt_i32_e32 vcc, v1, v0
	v_xor_b32_e32 v4, 16, v8
	v_xor_b32_e32 v5, 8, v8
	v_cndmask_b32_e32 v1, v8, v1, vcc
	v_lshlrev_b32_e32 v2, 2, v1
	ds_bpermute_b32 v1, v2, v13
	v_cmp_lt_i32_e32 vcc, v4, v0
	v_xor_b32_e32 v6, 4, v8
	v_xor_b32_e32 v7, 2, v8
	s_waitcnt lgkmcnt(0)
	v_max_f32_e32 v1, v1, v1
	v_max_f32_e32 v1, v3, v1
	v_cndmask_b32_e32 v3, v8, v4, vcc
	v_lshlrev_b32_e32 v3, 2, v3
	ds_bpermute_b32 v4, v3, v1
	v_cmp_lt_i32_e32 vcc, v5, v0
	s_waitcnt lgkmcnt(0)
	v_max_f32_e32 v4, v4, v4
	v_max_f32_e32 v1, v1, v4
	v_cndmask_b32_e32 v4, v8, v5, vcc
	v_lshlrev_b32_e32 v4, 2, v4
	ds_bpermute_b32 v5, v4, v1
	v_cmp_lt_i32_e32 vcc, v6, v0
	;; [unrolled: 7-line block ×3, first 2 shown]
	s_waitcnt lgkmcnt(0)
	v_max_f32_e32 v6, v6, v6
	v_max_f32_e32 v1, v1, v6
	v_cndmask_b32_e32 v6, v8, v7, vcc
	v_lshlrev_b32_e32 v27, 2, v6
	scratch_load_dword v6, off, s32 offset:600 ; 4-byte Folded Reload
	ds_bpermute_b32 v7, v27, v1
	v_cmp_eq_u32_e32 vcc, 0, v18
	s_waitcnt vmcnt(0)
	v_lshlrev_b32_e32 v6, 2, v6
	s_and_saveexec_b64 s[4:5], vcc
	s_cbranch_execz .LBB313_1039
; %bb.1038:
	s_waitcnt lgkmcnt(0)
	v_max_f32_e32 v7, v7, v7
	v_max_f32_e32 v1, v1, v1
	;; [unrolled: 1-line block ×3, first 2 shown]
	ds_write_b32 v6, v1 offset:512
.LBB313_1039:
	s_or_b64 exec, exec, s[4:5]
	v_cmp_gt_u32_e64 s[4:5], 2, v18
	v_mov_b32_e32 v1, 0xff7fffff
	s_waitcnt lgkmcnt(0)
	v_lshlrev_b32_e32 v7, 2, v18
	s_barrier
	s_and_saveexec_b64 s[6:7], s[4:5]
	s_cbranch_execz .LBB313_1041
; %bb.1040:
	ds_read_b32 v1, v7 offset:512
.LBB313_1041:
	s_or_b64 exec, exec, s[6:7]
	scratch_load_dword v10, off, s32 offset:552 ; 4-byte Folded Reload
	s_waitcnt vmcnt(0)
	v_xor_b32_e32 v8, 1, v10
	v_cmp_lt_i32_e64 s[6:7], v8, v0
	s_nop 1
	v_cndmask_b32_e64 v0, v10, v8, s[6:7]
	v_lshlrev_b32_e32 v28, 2, v0
	s_waitcnt lgkmcnt(0)
	ds_bpermute_b32 v0, v28, v1
	scratch_load_dword v8, off, s32 offset:464 ; 4-byte Folded Reload
	v_max_f32_e32 v1, v1, v1
	s_waitcnt lgkmcnt(0)
	v_max_f32_e32 v0, v0, v0
	v_max_f32_e32 v0, v1, v0
	v_lshlrev_b32_e32 v1, 2, v10
	scratch_load_dwordx2 v[10:11], off, s32 offset:196 ; 8-byte Folded Reload
	s_waitcnt vmcnt(1)
	v_subrev_u32_e32 v8, s19, v8
	v_lshl_add_u32 v9, v8, 5, s21
	v_and_b32_e32 v8, 0xffffff00, v1
	ds_bpermute_b32 v0, v8, v0
	s_waitcnt vmcnt(0)
	v_min_i32_e32 v9, v9, v10
	v_subrev_u32_e32 v1, s21, v9
	v_cmp_lt_i32_e64 s[6:7], v19, v1
	v_mov_b32_e32 v10, 0
	s_and_saveexec_b64 s[22:23], s[6:7]
	s_cbranch_execz .LBB313_1045
; %bb.1042:
	s_ashr_i32 s17, s16, 31
	s_lshl_b64 s[8:9], s[16:17], 2
	s_getpc_b64 s[24:25]
	s_add_u32 s24, s24, llvm.amdgcn.dynlds.offset.table@rel32@lo+4
	s_addc_u32 s25, s25, llvm.amdgcn.dynlds.offset.table@rel32@hi+12
	s_add_u32 s8, s8, s24
	s_addc_u32 s9, s9, s25
	s_load_dword s8, s[8:9], 0x0
	s_mov_b64 s[24:25], 0
	v_mov_b32_e32 v10, 0
	v_mov_b32_e32 v12, v19
	s_waitcnt lgkmcnt(0)
	v_lshl_add_u32 v11, v19, 2, s8
.LBB313_1043:                           ; =>This Inner Loop Header: Depth=1
	ds_read_b32 v13, v11
	v_add_u32_e32 v12, 0x80, v12
	v_cmp_ge_i32_e64 s[8:9], v12, v1
	s_or_b64 s[24:25], s[8:9], s[24:25]
	s_waitcnt lgkmcnt(0)
	v_sub_f32_e32 v13, v13, v0
	v_mul_f32_e32 v13, 0x3fb8aa3b, v13
	v_exp_f32_e32 v13, v13
	ds_write_b32 v11, v13
	v_add_f32_e32 v10, v10, v13
	v_add_u32_e32 v11, 0x200, v11
	s_andn2_b64 exec, exec, s[24:25]
	s_cbranch_execnz .LBB313_1043
; %bb.1044:
	s_or_b64 exec, exec, s[24:25]
.LBB313_1045:
	s_or_b64 exec, exec, s[22:23]
	ds_bpermute_b32 v2, v2, v10
	s_waitcnt lgkmcnt(0)
	v_add_f32_e32 v2, v10, v2
	ds_bpermute_b32 v3, v3, v2
	s_waitcnt lgkmcnt(0)
	v_add_f32_e32 v2, v2, v3
	;; [unrolled: 3-line block ×6, first 2 shown]
	s_and_saveexec_b64 s[8:9], vcc
	s_cbranch_execz .LBB313_1047
; %bb.1046:
	ds_write_b32 v6, v2 offset:520
.LBB313_1047:
	s_or_b64 exec, exec, s[8:9]
	s_waitcnt lgkmcnt(0)
	s_barrier
	s_and_saveexec_b64 s[8:9], s[4:5]
	s_cbranch_execz .LBB313_1049
; %bb.1048:
	ds_read_b32 v2, v7 offset:520
.LBB313_1049:
	s_or_b64 exec, exec, s[8:9]
	s_waitcnt lgkmcnt(0)
	ds_bpermute_b32 v3, v28, v2
	s_waitcnt lgkmcnt(0)
	v_add_f32_e32 v2, v2, v3
	ds_bpermute_b32 v2, v8, v2
	s_and_saveexec_b64 s[4:5], s[6:7]
	s_cbranch_execz .LBB313_1062
; %bb.1050:
	s_waitcnt lgkmcnt(0)
	v_add_f32_e32 v3, 0x358637bd, v2
	v_div_scale_f32 v4, s[6:7], v3, v3, 1.0
	v_rcp_f32_e32 v5, v4
	v_div_scale_f32 v6, vcc, 1.0, v3, 1.0
	s_movk_i32 s6, 0x7f
	v_fma_f32 v7, -v4, v5, 1.0
	v_fmac_f32_e32 v5, v7, v5
	v_mul_f32_e32 v7, v6, v5
	v_fma_f32 v8, -v4, v7, v6
	v_fmac_f32_e32 v7, v8, v5
	v_fma_f32 v4, -v4, v7, v6
	v_div_fmas_f32 v4, v4, v5, v7
	v_div_fixup_f32 v8, v4, v3, 1.0
	v_xad_u32 v3, v19, -1, v9
	v_subrev_u32_e32 v4, s21, v3
	v_cmp_lt_u32_e32 vcc, s6, v4
	s_mov_b64 s[8:9], -1
	v_mov_b32_e32 v3, v19
	s_and_saveexec_b64 s[6:7], vcc
	s_cbranch_execz .LBB313_1059
; %bb.1051:
	v_lshrrev_b32_e32 v3, 7, v4
	v_add_u32_e32 v5, -1, v3
	v_lshrrev_b32_e32 v4, 1, v5
	v_mov_b32_e32 v9, v8
	v_add_u32_e32 v4, 1, v4
	v_cmp_lt_u32_e32 vcc, 13, v5
	v_mov_b32_e32 v7, 0
	s_and_saveexec_b64 s[8:9], vcc
	s_cbranch_execz .LBB313_1055
; %bb.1052:
	s_ashr_i32 s17, s16, 31
	s_lshl_b64 s[22:23], s[16:17], 2
	s_getpc_b64 s[24:25]
	s_add_u32 s24, s24, llvm.amdgcn.dynlds.offset.table@rel32@lo+4
	s_addc_u32 s25, s25, llvm.amdgcn.dynlds.offset.table@rel32@hi+12
	s_add_u32 s22, s22, s24
	s_addc_u32 s23, s23, s25
	s_load_dword s19, s[22:23], 0x0
	v_and_b32_e32 v5, -8, v4
	s_mov_b32 s17, 0
	s_mov_b64 s[22:23], 0
	s_waitcnt lgkmcnt(0)
	v_lshl_add_u32 v6, v19, 2, s19
.LBB313_1053:                           ; =>This Inner Loop Header: Depth=1
	ds_read2st64_b32 v[10:11], v6 offset1:2
	ds_read2st64_b32 v[12:13], v6 offset0:4 offset1:6
	ds_read2st64_b32 v[14:15], v6 offset0:8 offset1:10
	;; [unrolled: 1-line block ×3, first 2 shown]
	v_add_u32_e32 v5, -8, v5
	s_waitcnt lgkmcnt(3)
	v_pk_mul_f32 v[10:11], v[8:9], v[10:11]
	s_waitcnt lgkmcnt(2)
	v_pk_mul_f32 v[12:13], v[8:9], v[12:13]
	ds_write2st64_b32 v6, v10, v11 offset1:2
	ds_write2st64_b32 v6, v12, v13 offset0:4 offset1:6
	ds_read2st64_b32 v[12:13], v6 offset0:16 offset1:18
	s_waitcnt lgkmcnt(4)
	v_pk_mul_f32 v[10:11], v[8:9], v[14:15]
	ds_write2st64_b32 v6, v10, v11 offset0:8 offset1:10
	s_waitcnt lgkmcnt(4)
	v_pk_mul_f32 v[10:11], v[8:9], v[16:17]
	ds_write2st64_b32 v6, v10, v11 offset0:12 offset1:14
	ds_read2st64_b32 v[10:11], v6 offset0:20 offset1:22
	s_waitcnt lgkmcnt(3)
	v_pk_mul_f32 v[12:13], v[8:9], v[12:13]
	ds_read2st64_b32 v[14:15], v6 offset0:24 offset1:26
	ds_write2st64_b32 v6, v12, v13 offset0:16 offset1:18
	ds_read2st64_b32 v[12:13], v6 offset0:28 offset1:30
	s_waitcnt lgkmcnt(3)
	v_pk_mul_f32 v[10:11], v[8:9], v[10:11]
	ds_write2st64_b32 v6, v10, v11 offset0:20 offset1:22
	s_waitcnt lgkmcnt(3)
	v_pk_mul_f32 v[10:11], v[8:9], v[14:15]
	ds_write2st64_b32 v6, v10, v11 offset0:24 offset1:26
	s_waitcnt lgkmcnt(2)
	v_pk_mul_f32 v[10:11], v[8:9], v[12:13]
	s_add_i32 s17, s17, 16
	v_cmp_eq_u32_e32 vcc, 0, v5
	ds_write2st64_b32 v6, v10, v11 offset0:28 offset1:30
	v_add_u32_e32 v6, 0x2000, v6
	s_or_b64 s[22:23], vcc, s[22:23]
	v_mov_b32_e32 v7, s17
	s_andn2_b64 exec, exec, s[22:23]
	s_cbranch_execnz .LBB313_1053
; %bb.1054:
	s_or_b64 exec, exec, s[22:23]
.LBB313_1055:
	s_or_b64 exec, exec, s[8:9]
	v_and_b32_e32 v4, 7, v4
	v_cmp_ne_u32_e32 vcc, 0, v4
	s_and_saveexec_b64 s[8:9], vcc
	s_cbranch_execz .LBB313_1058
; %bb.1056:
	s_ashr_i32 s17, s16, 31
	s_lshl_b64 s[22:23], s[16:17], 2
	s_getpc_b64 s[24:25]
	s_add_u32 s24, s24, llvm.amdgcn.dynlds.offset.table@rel32@lo+4
	s_addc_u32 s25, s25, llvm.amdgcn.dynlds.offset.table@rel32@hi+12
	s_add_u32 s22, s22, s24
	s_addc_u32 s23, s23, s25
	s_load_dword s17, s[22:23], 0x0
	v_lshlrev_b32_e32 v5, 9, v7
	v_lshlrev_b32_e32 v6, 2, v19
	s_mov_b64 s[22:23], 0
	s_waitcnt lgkmcnt(0)
	v_add3_u32 v5, v5, v6, s17
.LBB313_1057:                           ; =>This Inner Loop Header: Depth=1
	ds_read2st64_b32 v[6:7], v5 offset1:2
	v_add_u32_e32 v4, -1, v4
	v_cmp_eq_u32_e32 vcc, 0, v4
	s_or_b64 s[22:23], vcc, s[22:23]
	s_waitcnt lgkmcnt(0)
	v_pk_mul_f32 v[6:7], v[8:9], v[6:7]
	ds_write2st64_b32 v5, v6, v7 offset1:2
	v_add_u32_e32 v5, 0x400, v5
	s_andn2_b64 exec, exec, s[22:23]
	s_cbranch_execnz .LBB313_1057
.LBB313_1058:
	s_or_b64 exec, exec, s[8:9]
	v_add_u32_e32 v4, 1, v3
	v_and_b32_e32 v5, 0x3fffffe, v4
	v_cmp_ne_u32_e32 vcc, v4, v5
	v_lshl_add_u32 v3, v5, 7, v19
	s_orn2_b64 s[8:9], vcc, exec
.LBB313_1059:
	s_or_b64 exec, exec, s[6:7]
	s_and_b64 exec, exec, s[8:9]
	s_cbranch_execz .LBB313_1062
; %bb.1060:
	s_ashr_i32 s17, s16, 31
	s_lshl_b64 s[6:7], s[16:17], 2
	s_getpc_b64 s[8:9]
	s_add_u32 s8, s8, llvm.amdgcn.dynlds.offset.table@rel32@lo+4
	s_addc_u32 s9, s9, llvm.amdgcn.dynlds.offset.table@rel32@hi+12
	s_add_u32 s6, s6, s8
	s_addc_u32 s7, s7, s9
	s_load_dword s6, s[6:7], 0x0
	s_waitcnt lgkmcnt(0)
	v_lshl_add_u32 v4, v3, 2, s6
	s_mov_b64 s[6:7], 0
.LBB313_1061:                           ; =>This Inner Loop Header: Depth=1
	ds_read_b32 v5, v4
	v_add_u32_e32 v3, 0x80, v3
	v_cmp_ge_i32_e32 vcc, v3, v1
	s_or_b64 s[6:7], vcc, s[6:7]
	s_waitcnt lgkmcnt(0)
	v_mul_f32_e32 v5, v8, v5
	ds_write_b32 v4, v5
	v_add_u32_e32 v4, 0x200, v4
	s_andn2_b64 exec, exec, s[6:7]
	s_cbranch_execnz .LBB313_1061
.LBB313_1062:
	s_or_b64 exec, exec, s[4:5]
	v_cmp_ne_u16_e64 s[4:5], s26, 0
	s_cmp_lg_u64 s[4:5], 0
	s_addc_u32 s19, s13, 0
	s_mul_i32 s4, s19, s20
	v_cmp_eq_u32_e32 vcc, 0, v19
	s_mul_i32 s4, s4, s15
	s_waitcnt lgkmcnt(0)
	s_barrier
	s_and_saveexec_b64 s[6:7], vcc
	s_cbranch_execz .LBB313_1064
; %bb.1063:
	scratch_load_dwordx2 v[4:5], off, s32 offset:624 ; 8-byte Folded Reload
	s_mul_i32 s12, s19, s12
	s_ashr_i32 s5, s4, 31
	s_ashr_i32 s13, s12, 31
	;; [unrolled: 1-line block ×3, first 2 shown]
	s_lshl_b64 s[8:9], s[4:5], 2
	s_lshl_b64 s[12:13], s[12:13], 2
	;; [unrolled: 1-line block ×3, first 2 shown]
	s_add_u32 s5, s22, s12
	s_addc_u32 s12, s23, s13
	s_add_u32 s8, s5, s8
	s_addc_u32 s9, s12, s9
	s_waitcnt vmcnt(0)
	v_lshl_add_u64 v[4:5], s[8:9], 0, v[4:5]
	flat_store_dword v[4:5], v0
	v_lshl_add_u64 v[0:1], s[8:9], 0, v[24:25]
	flat_store_dword v[0:1], v2
.LBB313_1064:
	s_or_b64 exec, exec, s[6:7]
	v_accvgpr_write_b32 a16, v18
	v_mov_b32_e32 v34, 0
	v_and_b32_e32 v29, 3, v19
	v_mov_b32_e32 v35, 0
	v_mov_b32_e32 v32, 0
	;; [unrolled: 1-line block ×15, first 2 shown]
	s_and_saveexec_b64 s[6:7], s[2:3]
	s_cbranch_execz .LBB313_2124
; %bb.1065:
	s_ashr_i32 s17, s16, 31
	s_lshl_b64 s[2:3], s[16:17], 2
	s_getpc_b64 s[8:9]
	s_add_u32 s8, s8, llvm.amdgcn.dynlds.offset.table@rel32@lo+4
	s_addc_u32 s9, s9, llvm.amdgcn.dynlds.offset.table@rel32@hi+12
	s_add_u32 s2, s2, s8
	s_addc_u32 s3, s3, s9
	scratch_load_dwordx2 v[4:5], off, s32 offset:660 ; 8-byte Folded Reload
	s_load_dword s2, s[2:3], 0x0
	scratch_load_dwordx2 v[6:7], off, s32 offset:644 ; 8-byte Folded Reload
	scratch_load_dwordx2 v[0:1], off, s32 offset:616 ; 8-byte Folded Reload
	v_mov_b32_e32 v21, 0
	v_accvgpr_write_b32 a18, v28
	v_accvgpr_write_b32 a17, v27
	;; [unrolled: 1-line block ×3, first 2 shown]
	s_mov_b64 s[8:9], 0
	s_movk_i32 s5, 0x7f
	s_movk_i32 s15, 0x80
	s_mov_b32 s17, 0x8000
	s_movk_i32 s24, 0x380
	s_mov_b32 s25, 0x3020706
	s_mov_b32 s26, 0x1000504
	;; [unrolled: 1-line block ×3, first 2 shown]
	v_mov_b32_e32 v62, 0x1c00
	v_mov_b32_e32 v3, 0
	;; [unrolled: 1-line block ×14, first 2 shown]
	s_waitcnt vmcnt(0)
	v_and_b32_e32 v2, 24, v4
	v_lshl_add_u64 v[0:1], v[0:1], 0, v[6:7]
	v_accvgpr_write_b32 a15, v1
	v_accvgpr_write_b32 a14, v0
	scratch_load_dword v0, off, s32 offset:668 ; 4-byte Folded Reload
	v_mov_b32_e32 v7, v21
	v_mov_b32_e32 v1, v21
	s_waitcnt vmcnt(0)
	v_add_u32_e32 v0, -1, v0
	v_accvgpr_write_b32 a19, v0
	v_and_b32_e32 v0, 0x1f8, v4
	v_or_b32_e32 v6, 0x1000, v0
	v_accvgpr_write_b32 a27, v7
	v_accvgpr_write_b32 a26, v6
	v_or_b32_e32 v6, 0x1200, v0
	v_accvgpr_write_b32 a29, v7
	v_accvgpr_write_b32 a28, v6
	;; [unrolled: 3-line block ×5, first 2 shown]
	v_accvgpr_write_b32 a34, v6
	v_or_b32_e32 v6, 0x1a00, v0
	v_accvgpr_write_b32 a24, v0
	v_or_b32_e32 v0, 0x1c00, v0
	v_accvgpr_write_b32 a39, v1
	v_accvgpr_write_b32 a38, v0
	v_or_b32_e32 v0, 0x1e00, v4
	v_accvgpr_write_b32 a41, v1
	v_accvgpr_write_b32 a40, v0
	scratch_load_dwordx2 v[0:1], off, s32 offset:196 ; 8-byte Folded Reload
	scratch_load_dwordx2 v[4:5], off, s32 offset:632 ; 8-byte Folded Reload
	v_accvgpr_write_b32 a37, v7
	v_accvgpr_write_b32 a36, v6
	s_waitcnt vmcnt(0)
	v_mov_b32_e32 v17, v0
	scratch_load_dwordx2 v[0:1], off, s32 offset:204 ; 8-byte Folded Reload
	s_waitcnt vmcnt(0)
	v_lshlrev_b64 v[0:1], 2, v[0:1]
	v_lshl_add_u64 v[0:1], v[4:5], 2, v[0:1]
	scratch_load_dwordx2 v[4:5], off, s32 offset:604 ; 8-byte Folded Reload
	s_waitcnt vmcnt(0)
	v_lshl_add_u64 v[14:15], v[4:5], 0, v[0:1]
	scratch_load_dword v0, off, s32 offset:640 ; 4-byte Folded Reload
	scratch_load_dword v1, off, s32 offset:600 ; 4-byte Folded Reload
	s_waitcnt vmcnt(0)
	v_add3_u32 v7, s21, v0, v2
	v_lshlrev_b32_e32 v0, 5, v29
	v_lshl_or_b32 v0, v1, 7, v0
	s_waitcnt lgkmcnt(0)
	v_add_u32_e32 v23, s2, v0
	v_mov_b32_e32 v1, 0
	v_mov_b32_e32 v0, 0
	;; [unrolled: 1-line block ×3, first 2 shown]
	s_branch .LBB313_1067
.LBB313_1066:                           ;   in Loop: Header=BB313_1067 Depth=1
	s_or_b64 exec, exec, s[2:3]
	v_add_f32_e32 v4, v16, v58
	v_add_f32_e32 v0, v0, v4
	;; [unrolled: 1-line block ×14, first 2 shown]
	v_accvgpr_read_b32 v4, a48
	v_add_f32_e32 v4, v4, v52
	v_add_f32_e32 v25, v25, v4
	v_accvgpr_read_b32 v4, a46
	v_accvgpr_read_b32 v5, a47
	v_add_f32_e32 v4, v4, v5
	v_add_f32_e32 v24, v24, v4
	v_accvgpr_read_b32 v4, a44
	;; [unrolled: 4-line block ×7, first 2 shown]
	v_accvgpr_read_b32 v5, a11
	v_add_f32_e32 v4, v4, v5
	v_add_f32_e32 v34, v34, v4
	;;#ASMSTART
	v_pk_mul_f16 v4, v36, v45;

	;;#ASMEND
	;;#ASMSTART
	v_pk_mul_f16 v5, v37, v20;

	;;#ASMEND
	;; [unrolled: 4-line block ×4, first 2 shown]
	v_lshl_add_u64 v[14:15], v[14:15], 0, 8
	;;#ASMSTART
	v_pk_add_f16 v4, v4, v5;

	;;#ASMEND
	v_add_u32_e32 v7, 64, v7
	;;#ASMSTART
	v_pk_add_f16 v4, v4, v6;

	;;#ASMEND
	v_add_u32_e32 v23, 0x100, v23
	;;#ASMSTART
	v_pk_add_f16 v4, v4, v10;

	;;#ASMEND
	s_nop 0
	v_lshrrev_b32_e32 v5, 16, v4
	v_and_b32_e32 v4, 0xffff, v4
	;;#ASMSTART
	v_cvt_f32_f16 v4, v4;
	;;#ASMEND
	;;#ASMSTART
	v_cvt_f32_f16 v5, v5;
	;;#ASMEND
	s_nop 0
	v_add_f32_e32 v4, v4, v5
	v_add_f32_e32 v1, v1, v4
	scratch_load_dwordx2 v[4:5], off, s32 offset:204 ; 8-byte Folded Reload
	s_waitcnt vmcnt(0)
	v_mov_b32_e32 v6, v4
	v_add_u32_e32 v6, 2, v6
	v_mov_b32_e32 v4, v6
	scratch_store_dwordx2 off, v[4:5], s32 offset:204 ; 8-byte Folded Spill
	scratch_load_dword v4, off, s32 offset:464 ; 4-byte Folded Reload
	s_waitcnt vmcnt(0)
	v_cmp_ge_i32_e32 vcc, v6, v4
	s_or_b64 s[8:9], vcc, s[8:9]
	s_andn2_b64 exec, exec, s[8:9]
	s_cbranch_execz .LBB313_2123
.LBB313_1067:                           ; =>This Inner Loop Header: Depth=1
	ds_read2_b64 v[26:29], v23 offset1:1
	ds_read2_b64 v[36:39], v23 offset0:2 offset1:3
	v_accvgpr_read_b32 v19, a15
	v_accvgpr_read_b32 v18, a14
                                        ; implicit-def: $sgpr22
	s_waitcnt lgkmcnt(1)
	;;#ASMSTART
	v_cvt_f16_f32 v6, v26;

	;;#ASMEND
	;;#ASMSTART
	v_cvt_f16_f32 v16, v27;

	;;#ASMEND
	;; [unrolled: 4-line block ×4, first 2 shown]
	s_waitcnt lgkmcnt(0)
	;;#ASMSTART
	v_cvt_f16_f32 v27, v36;

	;;#ASMEND
	;;#ASMSTART
	v_cvt_f16_f32 v28, v37;

	;;#ASMEND
	;; [unrolled: 4-line block ×4, first 2 shown]
	flat_load_dword v4, v[14:15]
	scratch_load_dwordx2 v[10:11], off, s32 offset:468 ; 8-byte Folded Reload
	s_waitcnt vmcnt(0) lgkmcnt(0)
	v_mad_i64_i32 v[18:19], s[2:3], v4, v10, v[18:19]
	v_accvgpr_read_b32 v4, a24
	v_accvgpr_read_b32 v5, a25
	v_lshl_add_u64 v[44:45], v[18:19], 0, v[4:5]
	flat_load_dwordx2 v[56:57], v[44:45]
	scratch_load_dwordx2 v[4:5], off, s32 offset:188 ; 8-byte Folded Reload
	s_mov_b64 s[2:3], 0
	s_waitcnt vmcnt(0) lgkmcnt(0)
	v_cmp_gt_i16_sdwa s[12:13], v56, s5 src0_sel:BYTE_0 src1_sel:DWORD
	flat_load_dword v46, v[4:5]
	s_and_saveexec_b64 s[20:21], s[12:13]
	s_xor_b64 s[12:13], exec, s[20:21]
	s_cbranch_execnz .LBB313_1611
; %bb.1068:                             ;   in Loop: Header=BB313_1067 Depth=1
	s_or_saveexec_b64 s[12:13], s[12:13]
	v_mov_b32_e32 v58, s22
	s_xor_b64 exec, exec, s[12:13]
	s_cbranch_execnz .LBB313_1614
.LBB313_1069:                           ;   in Loop: Header=BB313_1067 Depth=1
	s_or_b64 exec, exec, s[12:13]
	s_and_saveexec_b64 s[12:13], s[2:3]
	s_cbranch_execz .LBB313_1071
.LBB313_1070:                           ;   in Loop: Header=BB313_1067 Depth=1
	v_and_b32_e32 v4, 7, v56
	v_ffbh_u32_e32 v4, v4
	v_bfe_u32 v5, v56, 3, 4
	v_min_u32_e32 v4, 32, v4
	v_subrev_u32_e32 v10, 28, v4
	v_sub_u32_e32 v4, 29, v4
	v_cmp_eq_u32_e32 vcc, 0, v5
	s_nop 1
	v_cndmask_b32_e32 v11, v5, v4, vcc
	v_cndmask_b32_e32 v4, 0, v10, vcc
	v_lshlrev_b64 v[4:5], v4, v[56:57]
	v_lshlrev_b32_e32 v5, 8, v56
	v_lshl_add_u32 v10, v11, 10, v62
	v_lshlrev_b32_e32 v4, 7, v4
	v_and_or_b32 v5, v5, s17, v10
	v_and_or_b32 v4, v4, s24, v5
	v_cvt_f32_f16_e32 v58, v4
.LBB313_1071:                           ;   in Loop: Header=BB313_1067 Depth=1
	s_or_b64 exec, exec, s[12:13]
	v_lshrrev_b16_e32 v20, 8, v56
	v_cmp_lt_i16_e32 vcc, s5, v20
	s_mov_b64 s[2:3], 0
                                        ; implicit-def: $sgpr22
	s_and_saveexec_b64 s[12:13], vcc
	s_xor_b64 s[12:13], exec, s[12:13]
	s_cbranch_execnz .LBB313_1615
; %bb.1072:                             ;   in Loop: Header=BB313_1067 Depth=1
	s_or_saveexec_b64 s[12:13], s[12:13]
	v_mov_b32_e32 v60, s22
	s_xor_b64 exec, exec, s[12:13]
	s_cbranch_execnz .LBB313_1618
.LBB313_1073:                           ;   in Loop: Header=BB313_1067 Depth=1
	s_or_b64 exec, exec, s[12:13]
	s_and_saveexec_b64 s[12:13], s[2:3]
	s_cbranch_execz .LBB313_1075
.LBB313_1074:                           ;   in Loop: Header=BB313_1067 Depth=1
	v_and_b32_e32 v10, 7, v20
	v_ffbh_u32_e32 v4, v10
	v_min_u32_e32 v36, 32, v4
	v_subrev_u32_e32 v4, 28, v36
	v_bfe_u32 v11, v20, 3, 4
	v_lshlrev_b64 v[4:5], v4, v[20:21]
	v_sub_u32_e32 v5, 29, v36
	v_cmp_eq_u32_e32 vcc, 0, v11
	v_and_b32_e32 v4, 7, v4
	s_nop 0
	v_cndmask_b32_e32 v5, v11, v5, vcc
	v_cndmask_b32_e32 v4, v10, v4, vcc
	v_lshlrev_b32_e32 v10, 8, v20
	v_lshl_add_u32 v5, v5, 10, v62
	v_and_or_b32 v5, v10, s17, v5
	v_lshl_or_b32 v4, v4, 7, v5
	v_cvt_f32_f16_e32 v60, v4
.LBB313_1075:                           ;   in Loop: Header=BB313_1067 Depth=1
	s_or_b64 exec, exec, s[12:13]
	v_lshrrev_b32_e32 v20, 16, v56
	v_cmp_gt_i16_sdwa s[12:13], v20, s5 src0_sel:BYTE_0 src1_sel:DWORD
	s_mov_b64 s[2:3], 0
                                        ; implicit-def: $sgpr22
	s_and_saveexec_b64 s[20:21], s[12:13]
	s_xor_b64 s[12:13], exec, s[20:21]
	s_cbranch_execnz .LBB313_1619
; %bb.1076:                             ;   in Loop: Header=BB313_1067 Depth=1
	s_or_saveexec_b64 s[12:13], s[12:13]
	v_mov_b32_e32 v59, s22
	s_xor_b64 exec, exec, s[12:13]
	s_cbranch_execnz .LBB313_1622
.LBB313_1077:                           ;   in Loop: Header=BB313_1067 Depth=1
	s_or_b64 exec, exec, s[12:13]
	s_and_saveexec_b64 s[12:13], s[2:3]
	s_cbranch_execz .LBB313_1079
.LBB313_1078:                           ;   in Loop: Header=BB313_1067 Depth=1
	v_bfe_u32 v10, v56, 16, 3
	v_ffbh_u32_e32 v4, v10
	v_min_u32_e32 v36, 32, v4
	v_subrev_u32_e32 v4, 28, v36
	v_bfe_u32 v11, v56, 19, 4
	v_lshlrev_b64 v[4:5], v4, v[20:21]
	v_sub_u32_e32 v5, 29, v36
	v_cmp_eq_u32_e32 vcc, 0, v11
	v_and_b32_e32 v4, 7, v4
	s_nop 0
	v_cndmask_b32_e32 v5, v11, v5, vcc
	v_cndmask_b32_e32 v4, v10, v4, vcc
	v_lshlrev_b32_e32 v10, 8, v20
	v_lshl_add_u32 v5, v5, 10, v62
	v_and_or_b32 v5, v10, s17, v5
	v_lshl_or_b32 v4, v4, 7, v5
	v_cvt_f32_f16_e32 v59, v4
.LBB313_1079:                           ;   in Loop: Header=BB313_1067 Depth=1
	s_or_b64 exec, exec, s[12:13]
	v_lshrrev_b32_e32 v20, 24, v56
	v_cmp_lt_i16_e32 vcc, s5, v20
	s_mov_b64 s[2:3], 0
                                        ; implicit-def: $sgpr22
	s_and_saveexec_b64 s[12:13], vcc
	s_xor_b64 s[12:13], exec, s[12:13]
	s_cbranch_execnz .LBB313_1623
; %bb.1080:                             ;   in Loop: Header=BB313_1067 Depth=1
	s_or_saveexec_b64 s[12:13], s[12:13]
	v_mov_b32_e32 v61, s22
	s_xor_b64 exec, exec, s[12:13]
	s_cbranch_execnz .LBB313_1626
.LBB313_1081:                           ;   in Loop: Header=BB313_1067 Depth=1
	s_or_b64 exec, exec, s[12:13]
	s_and_saveexec_b64 s[12:13], s[2:3]
	s_cbranch_execz .LBB313_1083
.LBB313_1082:                           ;   in Loop: Header=BB313_1067 Depth=1
	v_bfe_u32 v10, v56, 24, 3
	v_ffbh_u32_e32 v4, v10
	v_min_u32_e32 v36, 32, v4
	v_subrev_u32_e32 v4, 28, v36
	v_bfe_u32 v11, v56, 27, 4
	v_lshlrev_b64 v[4:5], v4, v[20:21]
	v_sub_u32_e32 v5, 29, v36
	v_cmp_eq_u32_e32 vcc, 0, v11
	v_and_b32_e32 v4, 7, v4
	s_nop 0
	v_cndmask_b32_e32 v5, v11, v5, vcc
	v_cndmask_b32_e32 v4, v10, v4, vcc
	v_lshlrev_b32_e32 v10, 8, v20
	v_lshl_add_u32 v5, v5, 10, v62
	v_and_or_b32 v5, v10, s17, v5
	v_lshl_or_b32 v4, v4, 7, v5
	v_cvt_f32_f16_e32 v61, v4
.LBB313_1083:                           ;   in Loop: Header=BB313_1067 Depth=1
	s_or_b64 exec, exec, s[12:13]
	v_cmp_gt_i16_sdwa s[12:13], v57, s5 src0_sel:BYTE_0 src1_sel:DWORD
	s_mov_b64 s[2:3], 0
                                        ; implicit-def: $sgpr22
	s_and_saveexec_b64 s[20:21], s[12:13]
	s_xor_b64 s[12:13], exec, s[20:21]
	s_cbranch_execnz .LBB313_1627
; %bb.1084:                             ;   in Loop: Header=BB313_1067 Depth=1
	s_or_saveexec_b64 s[12:13], s[12:13]
	v_mov_b32_e32 v4, s22
	s_xor_b64 exec, exec, s[12:13]
	s_cbranch_execnz .LBB313_1630
.LBB313_1085:                           ;   in Loop: Header=BB313_1067 Depth=1
	s_or_b64 exec, exec, s[12:13]
	v_mov_b32_e32 v20, v57
	s_and_saveexec_b64 s[12:13], s[2:3]
	s_cbranch_execz .LBB313_1087
.LBB313_1086:                           ;   in Loop: Header=BB313_1067 Depth=1
	v_and_b32_e32 v4, 7, v57
	v_ffbh_u32_e32 v4, v4
	v_bfe_u32 v5, v57, 3, 4
	v_min_u32_e32 v4, 32, v4
	v_subrev_u32_e32 v10, 28, v4
	v_sub_u32_e32 v4, 29, v4
	v_cmp_eq_u32_e32 vcc, 0, v5
	s_nop 1
	v_cndmask_b32_e32 v11, v5, v4, vcc
	v_cndmask_b32_e32 v4, 0, v10, vcc
	v_lshlrev_b64 v[4:5], v4, v[20:21]
	v_lshlrev_b32_e32 v5, 8, v57
	v_lshl_add_u32 v10, v11, 10, v62
	v_lshlrev_b32_e32 v4, 7, v4
	v_and_or_b32 v5, v5, s17, v10
	v_and_or_b32 v4, v4, s24, v5
	v_cvt_f32_f16_e32 v4, v4
.LBB313_1087:                           ;   in Loop: Header=BB313_1067 Depth=1
	s_or_b64 exec, exec, s[12:13]
	v_lshrrev_b16_e32 v20, 8, v20
	v_cmp_lt_i16_e32 vcc, s5, v20
	s_mov_b64 s[2:3], 0
                                        ; implicit-def: $sgpr22
	s_and_saveexec_b64 s[12:13], vcc
	s_xor_b64 s[12:13], exec, s[12:13]
	s_cbranch_execnz .LBB313_1631
; %bb.1088:                             ;   in Loop: Header=BB313_1067 Depth=1
	s_or_saveexec_b64 s[12:13], s[12:13]
	v_mov_b32_e32 v5, s22
	s_xor_b64 exec, exec, s[12:13]
	s_cbranch_execnz .LBB313_1634
.LBB313_1089:                           ;   in Loop: Header=BB313_1067 Depth=1
	s_or_b64 exec, exec, s[12:13]
	s_and_saveexec_b64 s[12:13], s[2:3]
	s_cbranch_execz .LBB313_1091
.LBB313_1090:                           ;   in Loop: Header=BB313_1067 Depth=1
	v_and_b32_e32 v5, 7, v20
	v_ffbh_u32_e32 v10, v5
	v_min_u32_e32 v37, 32, v10
	v_subrev_u32_e32 v10, 28, v37
	v_bfe_u32 v36, v20, 3, 4
	v_lshlrev_b64 v[10:11], v10, v[20:21]
	v_sub_u32_e32 v11, 29, v37
	v_cmp_eq_u32_e32 vcc, 0, v36
	v_and_b32_e32 v10, 7, v10
	s_nop 0
	v_cndmask_b32_e32 v11, v36, v11, vcc
	v_cndmask_b32_e32 v5, v5, v10, vcc
	v_lshlrev_b32_e32 v10, 8, v20
	v_lshl_add_u32 v11, v11, 10, v62
	v_and_or_b32 v10, v10, s17, v11
	v_lshl_or_b32 v5, v5, 7, v10
	v_cvt_f32_f16_e32 v5, v5
.LBB313_1091:                           ;   in Loop: Header=BB313_1067 Depth=1
	s_or_b64 exec, exec, s[12:13]
	v_lshrrev_b32_e32 v20, 16, v57
	v_cmp_gt_i16_sdwa s[12:13], v20, s5 src0_sel:BYTE_0 src1_sel:DWORD
	s_mov_b64 s[2:3], 0
                                        ; implicit-def: $sgpr22
	s_and_saveexec_b64 s[20:21], s[12:13]
	s_xor_b64 s[12:13], exec, s[20:21]
	s_cbranch_execnz .LBB313_1635
; %bb.1092:                             ;   in Loop: Header=BB313_1067 Depth=1
	s_or_saveexec_b64 s[12:13], s[12:13]
	v_mov_b32_e32 v10, s22
	s_xor_b64 exec, exec, s[12:13]
	s_cbranch_execnz .LBB313_1638
.LBB313_1093:                           ;   in Loop: Header=BB313_1067 Depth=1
	s_or_b64 exec, exec, s[12:13]
	s_and_saveexec_b64 s[12:13], s[2:3]
	s_cbranch_execz .LBB313_1095
.LBB313_1094:                           ;   in Loop: Header=BB313_1067 Depth=1
	v_bfe_u32 v36, v57, 16, 3
	v_ffbh_u32_e32 v10, v36
	v_min_u32_e32 v38, 32, v10
	v_subrev_u32_e32 v10, 28, v38
	v_bfe_u32 v37, v57, 19, 4
	v_lshlrev_b64 v[10:11], v10, v[20:21]
	v_sub_u32_e32 v11, 29, v38
	v_cmp_eq_u32_e32 vcc, 0, v37
	v_and_b32_e32 v10, 7, v10
	v_lshlrev_b32_e32 v20, 8, v20
	v_cndmask_b32_e32 v11, v37, v11, vcc
	v_lshl_add_u32 v11, v11, 10, v62
	v_cndmask_b32_e32 v10, v36, v10, vcc
	v_and_or_b32 v11, v20, s17, v11
	v_lshl_or_b32 v10, v10, 7, v11
	v_cvt_f32_f16_e32 v10, v10
.LBB313_1095:                           ;   in Loop: Header=BB313_1067 Depth=1
	s_or_b64 exec, exec, s[12:13]
	v_lshrrev_b32_e32 v20, 24, v57
	v_cmp_lt_i16_e32 vcc, s5, v20
	s_mov_b64 s[2:3], 0
                                        ; implicit-def: $sgpr22
	s_and_saveexec_b64 s[12:13], vcc
	s_xor_b64 s[12:13], exec, s[12:13]
	s_cbranch_execnz .LBB313_1639
; %bb.1096:                             ;   in Loop: Header=BB313_1067 Depth=1
	s_or_saveexec_b64 s[12:13], s[12:13]
	v_mov_b32_e32 v11, s22
	s_xor_b64 exec, exec, s[12:13]
	s_cbranch_execnz .LBB313_1642
.LBB313_1097:                           ;   in Loop: Header=BB313_1067 Depth=1
	s_or_b64 exec, exec, s[12:13]
	s_and_saveexec_b64 s[12:13], s[2:3]
	s_cbranch_execz .LBB313_1099
.LBB313_1098:                           ;   in Loop: Header=BB313_1067 Depth=1
	v_bfe_u32 v11, v57, 24, 3
	v_ffbh_u32_e32 v36, v11
	v_min_u32_e32 v48, 32, v36
	v_subrev_u32_e32 v36, 28, v48
	v_bfe_u32 v38, v57, 27, 4
	v_lshlrev_b64 v[36:37], v36, v[20:21]
	v_sub_u32_e32 v37, 29, v48
	v_cmp_eq_u32_e32 vcc, 0, v38
	v_and_b32_e32 v36, 7, v36
	v_lshlrev_b32_e32 v20, 8, v20
	v_cndmask_b32_e32 v37, v38, v37, vcc
	v_cndmask_b32_e32 v11, v11, v36, vcc
	v_lshl_add_u32 v36, v37, 10, v62
	v_and_or_b32 v20, v20, s17, v36
	v_lshl_or_b32 v11, v11, 7, v20
	v_cvt_f32_f16_e32 v11, v11
.LBB313_1099:                           ;   in Loop: Header=BB313_1067 Depth=1
	s_or_b64 exec, exec, s[12:13]
	scratch_load_dwordx2 v[50:51], off, s32 offset:204 ; 8-byte Folded Reload
	s_waitcnt vmcnt(0) lgkmcnt(0)
	v_pk_mul_f32 v[36:37], v[46:47], v[60:61] op_sel_hi:[0,1]
	v_pk_mul_f32 v[48:49], v[46:47], v[58:59] op_sel_hi:[0,1]
	v_cvt_f16_f32_e32 v20, v37
	v_cvt_f16_f32_e32 v36, v36
	;; [unrolled: 1-line block ×4, first 2 shown]
	v_fma_mixlo_f16 v5, v46, v5, 0
	v_lshlrev_b32_e32 v5, 16, v5
	v_fma_mixlo_f16 v4, v46, v4, 0
	v_pack_b32_f16 v36, v36, v20
	v_pack_b32_f16 v37, v38, v37
	v_or_b32_sdwa v52, v5, v4 dst_sel:DWORD dst_unused:UNUSED_PAD src0_sel:DWORD src1_sel:WORD_0
	v_fma_mixlo_f16 v4, v46, v11, 0
	v_accvgpr_read_b32 v49, a19
	v_perm_b32 v20, v37, v36, s25
	v_perm_b32 v51, v37, v36, s26
	v_fma_mixlo_f16 v36, v46, v10, 0
	v_lshlrev_b32_e32 v4, 16, v4
	v_or_b32_sdwa v53, v4, v36 dst_sel:DWORD dst_unused:UNUSED_PAD src0_sel:DWORD src1_sel:WORD_0
	v_or_b32_e32 v48, 2, v7
	v_or_b32_e32 v11, 5, v7
	;; [unrolled: 1-line block ×5, first 2 shown]
	v_cmp_eq_u32_e32 vcc, v49, v50
	v_add_u32_e32 v50, 1, v7
	v_or_b32_e32 v49, 3, v7
	s_and_saveexec_b64 s[12:13], vcc
	s_cbranch_execz .LBB313_1101
; %bb.1100:                             ;   in Loop: Header=BB313_1067 Depth=1
	scratch_load_dwordx2 v[54:55], off, s32 offset:196 ; 8-byte Folded Reload
	v_lshrrev_b32_e32 v37, 16, v51
	v_cmp_lt_i32_e64 s[2:3], v50, v17
	s_nop 1
	v_cndmask_b32_e64 v37, 0, v37, s[2:3]
	s_waitcnt vmcnt(0)
	v_cmp_lt_i32_e64 s[2:3], v7, v54
	s_nop 1
	v_cndmask_b32_e64 v38, 0, v51, s[2:3]
	v_perm_b32 v51, v37, v38, s27
	v_lshrrev_b32_e32 v37, 16, v20
	v_cmp_lt_i32_e64 s[2:3], v49, v17
	s_nop 1
	v_cndmask_b32_e64 v37, 0, v37, s[2:3]
	v_cmp_lt_i32_e64 s[2:3], v48, v54
	s_nop 1
	v_cndmask_b32_e64 v20, 0, v20, s[2:3]
	v_perm_b32 v20, v37, v20, s27
	v_lshrrev_b32_e32 v37, 16, v52
	v_cmp_lt_i32_e64 s[2:3], v11, v17
	s_nop 1
	v_cndmask_b32_e64 v37, 0, v37, s[2:3]
	;; [unrolled: 8-line block ×3, first 2 shown]
	v_cmp_lt_i32_e64 s[2:3], v5, v54
	s_nop 1
	v_cndmask_b32_e64 v36, 0, v36, s[2:3]
	v_perm_b32 v53, v37, v36, s27
.LBB313_1101:                           ;   in Loop: Header=BB313_1067 Depth=1
	s_or_b64 exec, exec, s[12:13]
	v_and_b32_e32 v6, 0xffff, v6
	v_lshl_or_b32 v36, v16, 16, v6
	v_and_b32_e32 v6, 0xffff, v22
	v_lshl_or_b32 v37, v26, 16, v6
	;; [unrolled: 2-line block ×4, first 2 shown]
	;;#ASMSTART
	v_pk_mul_f16 v6, v36, v51;

	;;#ASMEND
	;;#ASMSTART
	v_pk_mul_f16 v16, v37, v20;

	;;#ASMEND
	;; [unrolled: 4-line block ×4, first 2 shown]
	s_mov_b64 s[2:3], 0
	;;#ASMSTART
	v_pk_add_f16 v6, v6, v16;

	;;#ASMEND
                                        ; implicit-def: $sgpr22
	s_nop 0
	;;#ASMSTART
	v_pk_add_f16 v6, v6, v20;

	;;#ASMEND
	s_nop 0
	;;#ASMSTART
	v_pk_add_f16 v6, v6, v22;

	;;#ASMEND
	s_nop 0
	v_lshrrev_b32_e32 v16, 16, v6
	v_and_b32_e32 v6, 0xffff, v6
	;;#ASMSTART
	v_cvt_f32_f16 v6, v6;
	;;#ASMEND
	s_nop 0
	v_accvgpr_write_b32 a7, v6
	;;#ASMSTART
	v_cvt_f32_f16 v6, v16;
	;;#ASMEND
	flat_load_dwordx2 v[56:57], v[44:45] offset:512
	scratch_load_dwordx2 v[26:27], off, s32 offset:188 ; 8-byte Folded Reload
	v_accvgpr_write_b32 a11, v6
	s_waitcnt vmcnt(0) lgkmcnt(0)
	v_cmp_gt_i16_sdwa s[12:13], v56, s5 src0_sel:BYTE_0 src1_sel:DWORD
	flat_load_dword v46, v[26:27]
	s_and_saveexec_b64 s[20:21], s[12:13]
	s_xor_b64 s[12:13], exec, s[20:21]
	s_cbranch_execnz .LBB313_1643
; %bb.1102:                             ;   in Loop: Header=BB313_1067 Depth=1
	s_or_saveexec_b64 s[12:13], s[12:13]
	v_mov_b32_e32 v58, s22
	s_xor_b64 exec, exec, s[12:13]
	s_cbranch_execnz .LBB313_1646
.LBB313_1103:                           ;   in Loop: Header=BB313_1067 Depth=1
	s_or_b64 exec, exec, s[12:13]
	s_and_saveexec_b64 s[12:13], s[2:3]
	s_cbranch_execz .LBB313_1105
.LBB313_1104:                           ;   in Loop: Header=BB313_1067 Depth=1
	v_and_b32_e32 v6, 7, v56
	v_ffbh_u32_e32 v6, v6
	v_bfe_u32 v16, v56, 3, 4
	v_min_u32_e32 v6, 32, v6
	v_subrev_u32_e32 v20, 28, v6
	v_sub_u32_e32 v6, 29, v6
	v_cmp_eq_u32_e64 s[2:3], 0, v16
	s_nop 1
	v_cndmask_b32_e64 v6, v16, v6, s[2:3]
	v_cndmask_b32_e64 v16, 0, v20, s[2:3]
	v_lshlrev_b64 v[26:27], v16, v[56:57]
	v_lshlrev_b32_e32 v20, 8, v56
	v_lshl_add_u32 v6, v6, 10, v62
	v_lshlrev_b32_e32 v16, 7, v26
	v_and_or_b32 v6, v20, s17, v6
	v_and_or_b32 v6, v16, s24, v6
	v_cvt_f32_f16_e32 v58, v6
.LBB313_1105:                           ;   in Loop: Header=BB313_1067 Depth=1
	s_or_b64 exec, exec, s[12:13]
	v_lshrrev_b16_e32 v20, 8, v56
	v_cmp_lt_i16_e64 s[2:3], s5, v20
	s_mov_b64 s[12:13], 0
                                        ; implicit-def: $sgpr28
	s_and_saveexec_b64 s[20:21], s[2:3]
	s_xor_b64 s[20:21], exec, s[20:21]
	s_cbranch_execnz .LBB313_1647
; %bb.1106:                             ;   in Loop: Header=BB313_1067 Depth=1
	s_or_saveexec_b64 s[20:21], s[20:21]
	v_mov_b32_e32 v60, s28
	s_xor_b64 exec, exec, s[20:21]
	s_cbranch_execnz .LBB313_1650
.LBB313_1107:                           ;   in Loop: Header=BB313_1067 Depth=1
	s_or_b64 exec, exec, s[20:21]
	s_and_saveexec_b64 s[20:21], s[12:13]
	s_cbranch_execz .LBB313_1109
.LBB313_1108:                           ;   in Loop: Header=BB313_1067 Depth=1
	v_and_b32_e32 v6, 7, v20
	v_ffbh_u32_e32 v22, v6
	v_bfe_u32 v16, v20, 3, 4
	v_min_u32_e32 v22, 32, v22
	v_subrev_u32_e32 v26, 28, v22
	v_sub_u32_e32 v22, 29, v22
	v_cmp_eq_u32_e64 s[2:3], 0, v16
	v_lshlrev_b64 v[26:27], v26, v[20:21]
	v_and_b32_e32 v26, 7, v26
	v_cndmask_b32_e64 v16, v16, v22, s[2:3]
	v_lshlrev_b32_e32 v20, 8, v20
	v_lshl_add_u32 v16, v16, 10, v62
	v_cndmask_b32_e64 v6, v6, v26, s[2:3]
	v_and_or_b32 v16, v20, s17, v16
	v_lshl_or_b32 v6, v6, 7, v16
	v_cvt_f32_f16_e32 v60, v6
.LBB313_1109:                           ;   in Loop: Header=BB313_1067 Depth=1
	s_or_b64 exec, exec, s[20:21]
	v_lshrrev_b32_e32 v20, 16, v56
	v_cmp_gt_i16_sdwa s[12:13], v20, s5 src0_sel:BYTE_0 src1_sel:DWORD
	s_mov_b64 s[2:3], 0
                                        ; implicit-def: $sgpr22
	s_and_saveexec_b64 s[20:21], s[12:13]
	s_xor_b64 s[12:13], exec, s[20:21]
	s_cbranch_execnz .LBB313_1651
; %bb.1110:                             ;   in Loop: Header=BB313_1067 Depth=1
	s_or_saveexec_b64 s[12:13], s[12:13]
	v_mov_b32_e32 v59, s22
	s_xor_b64 exec, exec, s[12:13]
	s_cbranch_execnz .LBB313_1654
.LBB313_1111:                           ;   in Loop: Header=BB313_1067 Depth=1
	s_or_b64 exec, exec, s[12:13]
	s_and_saveexec_b64 s[12:13], s[2:3]
	s_cbranch_execz .LBB313_1113
.LBB313_1112:                           ;   in Loop: Header=BB313_1067 Depth=1
	v_bfe_u32 v6, v56, 16, 3
	v_ffbh_u32_e32 v22, v6
	v_bfe_u32 v16, v56, 19, 4
	v_min_u32_e32 v22, 32, v22
	v_subrev_u32_e32 v26, 28, v22
	v_sub_u32_e32 v22, 29, v22
	v_cmp_eq_u32_e64 s[2:3], 0, v16
	v_lshlrev_b64 v[26:27], v26, v[20:21]
	v_and_b32_e32 v26, 7, v26
	v_cndmask_b32_e64 v16, v16, v22, s[2:3]
	v_lshlrev_b32_e32 v20, 8, v20
	v_lshl_add_u32 v16, v16, 10, v62
	v_cndmask_b32_e64 v6, v6, v26, s[2:3]
	v_and_or_b32 v16, v20, s17, v16
	v_lshl_or_b32 v6, v6, 7, v16
	v_cvt_f32_f16_e32 v59, v6
.LBB313_1113:                           ;   in Loop: Header=BB313_1067 Depth=1
	s_or_b64 exec, exec, s[12:13]
	v_lshrrev_b32_e32 v20, 24, v56
	v_cmp_lt_i16_e64 s[2:3], s5, v20
	s_mov_b64 s[12:13], 0
                                        ; implicit-def: $sgpr28
	s_and_saveexec_b64 s[20:21], s[2:3]
	s_xor_b64 s[20:21], exec, s[20:21]
	s_cbranch_execnz .LBB313_1655
; %bb.1114:                             ;   in Loop: Header=BB313_1067 Depth=1
	s_or_saveexec_b64 s[20:21], s[20:21]
	v_mov_b32_e32 v61, s28
	s_xor_b64 exec, exec, s[20:21]
	s_cbranch_execnz .LBB313_1658
.LBB313_1115:                           ;   in Loop: Header=BB313_1067 Depth=1
	s_or_b64 exec, exec, s[20:21]
	s_and_saveexec_b64 s[20:21], s[12:13]
	s_cbranch_execz .LBB313_1117
.LBB313_1116:                           ;   in Loop: Header=BB313_1067 Depth=1
	v_bfe_u32 v6, v56, 24, 3
	v_ffbh_u32_e32 v22, v6
	v_bfe_u32 v16, v56, 27, 4
	v_min_u32_e32 v22, 32, v22
	v_subrev_u32_e32 v26, 28, v22
	v_sub_u32_e32 v22, 29, v22
	v_cmp_eq_u32_e64 s[2:3], 0, v16
	v_lshlrev_b64 v[26:27], v26, v[20:21]
	v_and_b32_e32 v26, 7, v26
	v_cndmask_b32_e64 v16, v16, v22, s[2:3]
	v_lshlrev_b32_e32 v20, 8, v20
	v_lshl_add_u32 v16, v16, 10, v62
	v_cndmask_b32_e64 v6, v6, v26, s[2:3]
	v_and_or_b32 v16, v20, s17, v16
	v_lshl_or_b32 v6, v6, 7, v16
	v_cvt_f32_f16_e32 v61, v6
.LBB313_1117:                           ;   in Loop: Header=BB313_1067 Depth=1
	s_or_b64 exec, exec, s[20:21]
	v_cmp_gt_i16_sdwa s[12:13], v57, s5 src0_sel:BYTE_0 src1_sel:DWORD
	s_mov_b64 s[2:3], 0
                                        ; implicit-def: $sgpr22
	s_and_saveexec_b64 s[20:21], s[12:13]
	s_xor_b64 s[12:13], exec, s[20:21]
	s_cbranch_execnz .LBB313_1659
; %bb.1118:                             ;   in Loop: Header=BB313_1067 Depth=1
	s_or_saveexec_b64 s[12:13], s[12:13]
	v_mov_b32_e32 v6, s22
	s_xor_b64 exec, exec, s[12:13]
	s_cbranch_execnz .LBB313_1662
.LBB313_1119:                           ;   in Loop: Header=BB313_1067 Depth=1
	s_or_b64 exec, exec, s[12:13]
	v_mov_b32_e32 v20, v57
	s_and_saveexec_b64 s[12:13], s[2:3]
	s_cbranch_execz .LBB313_1121
.LBB313_1120:                           ;   in Loop: Header=BB313_1067 Depth=1
	v_and_b32_e32 v6, 7, v57
	v_ffbh_u32_e32 v6, v6
	v_bfe_u32 v16, v57, 3, 4
	v_min_u32_e32 v6, 32, v6
	v_subrev_u32_e32 v22, 28, v6
	v_sub_u32_e32 v6, 29, v6
	v_cmp_eq_u32_e64 s[2:3], 0, v16
	s_nop 1
	v_cndmask_b32_e64 v6, v16, v6, s[2:3]
	v_cndmask_b32_e64 v16, 0, v22, s[2:3]
	v_lshlrev_b64 v[26:27], v16, v[20:21]
	v_lshlrev_b32_e32 v22, 8, v57
	v_lshl_add_u32 v6, v6, 10, v62
	v_lshlrev_b32_e32 v16, 7, v26
	v_and_or_b32 v6, v22, s17, v6
	v_and_or_b32 v6, v16, s24, v6
	v_cvt_f32_f16_e32 v6, v6
.LBB313_1121:                           ;   in Loop: Header=BB313_1067 Depth=1
	s_or_b64 exec, exec, s[12:13]
	v_lshrrev_b16_e32 v20, 8, v20
	v_cmp_lt_i16_e64 s[2:3], s5, v20
	s_mov_b64 s[12:13], 0
                                        ; implicit-def: $sgpr28
	s_and_saveexec_b64 s[20:21], s[2:3]
	s_xor_b64 s[20:21], exec, s[20:21]
	s_cbranch_execnz .LBB313_1663
; %bb.1122:                             ;   in Loop: Header=BB313_1067 Depth=1
	s_or_saveexec_b64 s[20:21], s[20:21]
	v_mov_b32_e32 v16, s28
	s_xor_b64 exec, exec, s[20:21]
	s_cbranch_execnz .LBB313_1666
.LBB313_1123:                           ;   in Loop: Header=BB313_1067 Depth=1
	s_or_b64 exec, exec, s[20:21]
	s_and_saveexec_b64 s[20:21], s[12:13]
	s_cbranch_execz .LBB313_1125
.LBB313_1124:                           ;   in Loop: Header=BB313_1067 Depth=1
	v_and_b32_e32 v16, 7, v20
	v_ffbh_u32_e32 v26, v16
	v_min_u32_e32 v28, 32, v26
	v_subrev_u32_e32 v26, 28, v28
	v_bfe_u32 v22, v20, 3, 4
	v_lshlrev_b64 v[26:27], v26, v[20:21]
	v_sub_u32_e32 v27, 29, v28
	v_cmp_eq_u32_e64 s[2:3], 0, v22
	v_and_b32_e32 v26, 7, v26
	v_lshlrev_b32_e32 v20, 8, v20
	v_cndmask_b32_e64 v22, v22, v27, s[2:3]
	v_lshl_add_u32 v22, v22, 10, v62
	v_cndmask_b32_e64 v16, v16, v26, s[2:3]
	v_and_or_b32 v20, v20, s17, v22
	v_lshl_or_b32 v16, v16, 7, v20
	v_cvt_f32_f16_e32 v16, v16
.LBB313_1125:                           ;   in Loop: Header=BB313_1067 Depth=1
	s_or_b64 exec, exec, s[20:21]
	v_lshrrev_b32_e32 v20, 16, v57
	v_cmp_gt_i16_sdwa s[12:13], v20, s5 src0_sel:BYTE_0 src1_sel:DWORD
	s_mov_b64 s[2:3], 0
                                        ; implicit-def: $sgpr22
	s_and_saveexec_b64 s[20:21], s[12:13]
	s_xor_b64 s[12:13], exec, s[20:21]
	s_cbranch_execnz .LBB313_1667
; %bb.1126:                             ;   in Loop: Header=BB313_1067 Depth=1
	s_or_saveexec_b64 s[12:13], s[12:13]
	v_mov_b32_e32 v22, s22
	s_xor_b64 exec, exec, s[12:13]
	s_cbranch_execnz .LBB313_1670
.LBB313_1127:                           ;   in Loop: Header=BB313_1067 Depth=1
	s_or_b64 exec, exec, s[12:13]
	s_and_saveexec_b64 s[12:13], s[2:3]
	s_cbranch_execz .LBB313_1129
.LBB313_1128:                           ;   in Loop: Header=BB313_1067 Depth=1
	v_bfe_u32 v22, v57, 16, 3
	v_ffbh_u32_e32 v26, v22
	v_min_u32_e32 v29, 32, v26
	v_subrev_u32_e32 v26, 28, v29
	v_bfe_u32 v28, v57, 19, 4
	v_lshlrev_b64 v[26:27], v26, v[20:21]
	v_sub_u32_e32 v27, 29, v29
	v_cmp_eq_u32_e64 s[2:3], 0, v28
	v_and_b32_e32 v26, 7, v26
	v_lshlrev_b32_e32 v20, 8, v20
	v_cndmask_b32_e64 v27, v28, v27, s[2:3]
	v_cndmask_b32_e64 v22, v22, v26, s[2:3]
	v_lshl_add_u32 v26, v27, 10, v62
	v_and_or_b32 v20, v20, s17, v26
	v_lshl_or_b32 v20, v22, 7, v20
	v_cvt_f32_f16_e32 v22, v20
.LBB313_1129:                           ;   in Loop: Header=BB313_1067 Depth=1
	s_or_b64 exec, exec, s[12:13]
	v_lshrrev_b32_e32 v20, 24, v57
	v_cmp_lt_i16_e64 s[2:3], s5, v20
	s_mov_b64 s[12:13], 0
                                        ; implicit-def: $sgpr28
	s_and_saveexec_b64 s[20:21], s[2:3]
	s_xor_b64 s[20:21], exec, s[20:21]
	s_cbranch_execnz .LBB313_1671
; %bb.1130:                             ;   in Loop: Header=BB313_1067 Depth=1
	s_or_saveexec_b64 s[20:21], s[20:21]
	v_mov_b32_e32 v27, s28
	s_xor_b64 exec, exec, s[20:21]
	s_cbranch_execnz .LBB313_1674
.LBB313_1131:                           ;   in Loop: Header=BB313_1067 Depth=1
	s_or_b64 exec, exec, s[20:21]
	s_and_saveexec_b64 s[20:21], s[12:13]
	s_cbranch_execz .LBB313_1133
.LBB313_1132:                           ;   in Loop: Header=BB313_1067 Depth=1
	v_bfe_u32 v28, v57, 24, 3
	v_ffbh_u32_e32 v26, v28
	v_min_u32_e32 v51, 32, v26
	v_subrev_u32_e32 v26, 28, v51
	v_bfe_u32 v29, v57, 27, 4
	v_lshlrev_b64 v[26:27], v26, v[20:21]
	v_sub_u32_e32 v27, 29, v51
	v_cmp_eq_u32_e64 s[2:3], 0, v29
	v_and_b32_e32 v26, 7, v26
	v_lshlrev_b32_e32 v20, 8, v20
	v_cndmask_b32_e64 v27, v29, v27, s[2:3]
	v_lshl_add_u32 v27, v27, 10, v62
	v_cndmask_b32_e64 v26, v28, v26, s[2:3]
	v_and_or_b32 v20, v20, s17, v27
	v_lshl_or_b32 v20, v26, 7, v20
	v_cvt_f32_f16_e32 v27, v20
.LBB313_1133:                           ;   in Loop: Header=BB313_1067 Depth=1
	s_or_b64 exec, exec, s[20:21]
	s_waitcnt vmcnt(0) lgkmcnt(0)
	v_pk_mul_f32 v[28:29], v[46:47], v[60:61] op_sel_hi:[0,1]
	v_pk_mul_f32 v[52:53], v[46:47], v[58:59] op_sel_hi:[0,1]
	v_cvt_f16_f32_e32 v20, v29
	v_cvt_f16_f32_e32 v26, v28
	;; [unrolled: 1-line block ×4, first 2 shown]
	v_fma_mixlo_f16 v16, v46, v16, 0
	v_lshlrev_b32_e32 v16, 16, v16
	v_fma_mixlo_f16 v6, v46, v6, 0
	v_or_b32_sdwa v6, v16, v6 dst_sel:DWORD dst_unused:UNUSED_PAD src0_sel:DWORD src1_sel:WORD_0
	v_fma_mixlo_f16 v16, v46, v27, 0
	v_pack_b32_f16 v26, v26, v20
	v_pack_b32_f16 v28, v29, v28
	v_fma_mixlo_f16 v22, v46, v22, 0
	v_lshlrev_b32_e32 v16, 16, v16
	v_perm_b32 v20, v28, v26, s25
	v_perm_b32 v26, v28, v26, s26
	v_or_b32_sdwa v16, v16, v22 dst_sel:DWORD dst_unused:UNUSED_PAD src0_sel:DWORD src1_sel:WORD_0
	s_and_saveexec_b64 s[12:13], vcc
	s_cbranch_execz .LBB313_1135
; %bb.1134:                             ;   in Loop: Header=BB313_1067 Depth=1
	scratch_load_dwordx2 v[28:29], off, s32 offset:196 ; 8-byte Folded Reload
	v_lshrrev_b32_e32 v27, 16, v26
	v_cmp_lt_i32_e64 s[2:3], v50, v17
	v_lshrrev_b32_e32 v16, 16, v16
	s_nop 0
	v_cndmask_b32_e64 v27, 0, v27, s[2:3]
	s_waitcnt vmcnt(0)
	v_cmp_lt_i32_e64 s[2:3], v7, v28
	s_nop 1
	v_cndmask_b32_e64 v26, 0, v26, s[2:3]
	v_perm_b32 v26, v27, v26, s27
	v_lshrrev_b32_e32 v27, 16, v20
	v_cmp_lt_i32_e64 s[2:3], v49, v17
	s_nop 1
	v_cndmask_b32_e64 v27, 0, v27, s[2:3]
	v_cmp_lt_i32_e64 s[2:3], v48, v28
	s_nop 1
	v_cndmask_b32_e64 v20, 0, v20, s[2:3]
	v_perm_b32 v20, v27, v20, s27
	v_lshrrev_b32_e32 v27, 16, v6
	v_cmp_lt_i32_e64 s[2:3], v11, v17
	s_nop 1
	v_cndmask_b32_e64 v27, 0, v27, s[2:3]
	v_cmp_lt_i32_e64 s[2:3], v10, v28
	s_nop 1
	v_cndmask_b32_e64 v6, 0, v6, s[2:3]
	v_cmp_lt_i32_e64 s[2:3], v4, v17
	v_perm_b32 v6, v27, v6, s27
	s_nop 0
	v_cndmask_b32_e64 v16, 0, v16, s[2:3]
	v_cmp_lt_i32_e64 s[2:3], v5, v28
	s_nop 1
	v_cndmask_b32_e64 v22, 0, v22, s[2:3]
	v_perm_b32 v16, v16, v22, s27
.LBB313_1135:                           ;   in Loop: Header=BB313_1067 Depth=1
	s_or_b64 exec, exec, s[12:13]
	;;#ASMSTART
	v_pk_mul_f16 v22, v36, v26;

	;;#ASMEND
	;;#ASMSTART
	v_pk_mul_f16 v20, v37, v20;

	;;#ASMEND
	;; [unrolled: 4-line block ×4, first 2 shown]
	s_mov_b64 s[2:3], 0
	;;#ASMSTART
	v_pk_add_f16 v20, v22, v20;

	;;#ASMEND
                                        ; implicit-def: $sgpr22
	s_nop 0
	;;#ASMSTART
	v_pk_add_f16 v6, v20, v6;

	;;#ASMEND
	s_nop 0
	;;#ASMSTART
	v_pk_add_f16 v6, v6, v16;

	;;#ASMEND
	s_nop 0
	v_lshrrev_b32_e32 v16, 16, v6
	v_and_b32_e32 v6, 0xffff, v6
	;;#ASMSTART
	v_cvt_f32_f16 v6, v6;
	;;#ASMEND
	s_nop 0
	v_accvgpr_write_b32 a12, v6
	;;#ASMSTART
	v_cvt_f32_f16 v6, v16;
	;;#ASMEND
	flat_load_dwordx2 v[56:57], v[44:45] offset:1024
	scratch_load_dwordx2 v[26:27], off, s32 offset:188 ; 8-byte Folded Reload
	v_accvgpr_write_b32 a13, v6
	s_waitcnt vmcnt(0) lgkmcnt(0)
	v_cmp_gt_i16_sdwa s[12:13], v56, s5 src0_sel:BYTE_0 src1_sel:DWORD
	flat_load_dword v46, v[26:27]
	s_and_saveexec_b64 s[20:21], s[12:13]
	s_xor_b64 s[12:13], exec, s[20:21]
	s_cbranch_execnz .LBB313_1675
; %bb.1136:                             ;   in Loop: Header=BB313_1067 Depth=1
	s_or_saveexec_b64 s[12:13], s[12:13]
	v_mov_b32_e32 v58, s22
	s_xor_b64 exec, exec, s[12:13]
	s_cbranch_execnz .LBB313_1678
.LBB313_1137:                           ;   in Loop: Header=BB313_1067 Depth=1
	s_or_b64 exec, exec, s[12:13]
	s_and_saveexec_b64 s[12:13], s[2:3]
	s_cbranch_execz .LBB313_1139
.LBB313_1138:                           ;   in Loop: Header=BB313_1067 Depth=1
	v_and_b32_e32 v6, 7, v56
	v_ffbh_u32_e32 v6, v6
	v_bfe_u32 v16, v56, 3, 4
	v_min_u32_e32 v6, 32, v6
	v_subrev_u32_e32 v20, 28, v6
	v_sub_u32_e32 v6, 29, v6
	v_cmp_eq_u32_e64 s[2:3], 0, v16
	s_nop 1
	v_cndmask_b32_e64 v6, v16, v6, s[2:3]
	v_cndmask_b32_e64 v16, 0, v20, s[2:3]
	v_lshlrev_b64 v[26:27], v16, v[56:57]
	v_lshlrev_b32_e32 v20, 8, v56
	v_lshl_add_u32 v6, v6, 10, v62
	v_lshlrev_b32_e32 v16, 7, v26
	v_and_or_b32 v6, v20, s17, v6
	v_and_or_b32 v6, v16, s24, v6
	v_cvt_f32_f16_e32 v58, v6
.LBB313_1139:                           ;   in Loop: Header=BB313_1067 Depth=1
	s_or_b64 exec, exec, s[12:13]
	v_lshrrev_b16_e32 v20, 8, v56
	v_cmp_lt_i16_e64 s[2:3], s5, v20
	s_mov_b64 s[12:13], 0
                                        ; implicit-def: $sgpr28
	s_and_saveexec_b64 s[20:21], s[2:3]
	s_xor_b64 s[20:21], exec, s[20:21]
	s_cbranch_execnz .LBB313_1679
; %bb.1140:                             ;   in Loop: Header=BB313_1067 Depth=1
	s_or_saveexec_b64 s[20:21], s[20:21]
	v_mov_b32_e32 v60, s28
	s_xor_b64 exec, exec, s[20:21]
	s_cbranch_execnz .LBB313_1682
.LBB313_1141:                           ;   in Loop: Header=BB313_1067 Depth=1
	s_or_b64 exec, exec, s[20:21]
	s_and_saveexec_b64 s[20:21], s[12:13]
	s_cbranch_execz .LBB313_1143
.LBB313_1142:                           ;   in Loop: Header=BB313_1067 Depth=1
	v_and_b32_e32 v6, 7, v20
	v_ffbh_u32_e32 v22, v6
	v_bfe_u32 v16, v20, 3, 4
	v_min_u32_e32 v22, 32, v22
	v_subrev_u32_e32 v26, 28, v22
	v_sub_u32_e32 v22, 29, v22
	v_cmp_eq_u32_e64 s[2:3], 0, v16
	v_lshlrev_b64 v[26:27], v26, v[20:21]
	v_and_b32_e32 v26, 7, v26
	v_cndmask_b32_e64 v16, v16, v22, s[2:3]
	v_lshlrev_b32_e32 v20, 8, v20
	v_lshl_add_u32 v16, v16, 10, v62
	v_cndmask_b32_e64 v6, v6, v26, s[2:3]
	v_and_or_b32 v16, v20, s17, v16
	v_lshl_or_b32 v6, v6, 7, v16
	v_cvt_f32_f16_e32 v60, v6
.LBB313_1143:                           ;   in Loop: Header=BB313_1067 Depth=1
	s_or_b64 exec, exec, s[20:21]
	v_lshrrev_b32_e32 v20, 16, v56
	v_cmp_gt_i16_sdwa s[12:13], v20, s5 src0_sel:BYTE_0 src1_sel:DWORD
	s_mov_b64 s[2:3], 0
                                        ; implicit-def: $sgpr22
	s_and_saveexec_b64 s[20:21], s[12:13]
	s_xor_b64 s[12:13], exec, s[20:21]
	s_cbranch_execnz .LBB313_1683
; %bb.1144:                             ;   in Loop: Header=BB313_1067 Depth=1
	s_or_saveexec_b64 s[12:13], s[12:13]
	v_mov_b32_e32 v59, s22
	s_xor_b64 exec, exec, s[12:13]
	s_cbranch_execnz .LBB313_1686
.LBB313_1145:                           ;   in Loop: Header=BB313_1067 Depth=1
	s_or_b64 exec, exec, s[12:13]
	s_and_saveexec_b64 s[12:13], s[2:3]
	s_cbranch_execz .LBB313_1147
.LBB313_1146:                           ;   in Loop: Header=BB313_1067 Depth=1
	v_bfe_u32 v6, v56, 16, 3
	v_ffbh_u32_e32 v22, v6
	v_bfe_u32 v16, v56, 19, 4
	v_min_u32_e32 v22, 32, v22
	v_subrev_u32_e32 v26, 28, v22
	v_sub_u32_e32 v22, 29, v22
	v_cmp_eq_u32_e64 s[2:3], 0, v16
	v_lshlrev_b64 v[26:27], v26, v[20:21]
	v_and_b32_e32 v26, 7, v26
	v_cndmask_b32_e64 v16, v16, v22, s[2:3]
	v_lshlrev_b32_e32 v20, 8, v20
	v_lshl_add_u32 v16, v16, 10, v62
	v_cndmask_b32_e64 v6, v6, v26, s[2:3]
	v_and_or_b32 v16, v20, s17, v16
	v_lshl_or_b32 v6, v6, 7, v16
	v_cvt_f32_f16_e32 v59, v6
.LBB313_1147:                           ;   in Loop: Header=BB313_1067 Depth=1
	s_or_b64 exec, exec, s[12:13]
	v_lshrrev_b32_e32 v20, 24, v56
	v_cmp_lt_i16_e64 s[2:3], s5, v20
	s_mov_b64 s[12:13], 0
                                        ; implicit-def: $sgpr28
	s_and_saveexec_b64 s[20:21], s[2:3]
	s_xor_b64 s[20:21], exec, s[20:21]
	s_cbranch_execnz .LBB313_1687
; %bb.1148:                             ;   in Loop: Header=BB313_1067 Depth=1
	s_or_saveexec_b64 s[20:21], s[20:21]
	v_mov_b32_e32 v61, s28
	s_xor_b64 exec, exec, s[20:21]
	s_cbranch_execnz .LBB313_1690
.LBB313_1149:                           ;   in Loop: Header=BB313_1067 Depth=1
	s_or_b64 exec, exec, s[20:21]
	s_and_saveexec_b64 s[20:21], s[12:13]
	s_cbranch_execz .LBB313_1151
.LBB313_1150:                           ;   in Loop: Header=BB313_1067 Depth=1
	v_bfe_u32 v6, v56, 24, 3
	v_ffbh_u32_e32 v22, v6
	v_bfe_u32 v16, v56, 27, 4
	v_min_u32_e32 v22, 32, v22
	v_subrev_u32_e32 v26, 28, v22
	v_sub_u32_e32 v22, 29, v22
	v_cmp_eq_u32_e64 s[2:3], 0, v16
	v_lshlrev_b64 v[26:27], v26, v[20:21]
	v_and_b32_e32 v26, 7, v26
	v_cndmask_b32_e64 v16, v16, v22, s[2:3]
	v_lshlrev_b32_e32 v20, 8, v20
	v_lshl_add_u32 v16, v16, 10, v62
	v_cndmask_b32_e64 v6, v6, v26, s[2:3]
	v_and_or_b32 v16, v20, s17, v16
	v_lshl_or_b32 v6, v6, 7, v16
	v_cvt_f32_f16_e32 v61, v6
.LBB313_1151:                           ;   in Loop: Header=BB313_1067 Depth=1
	s_or_b64 exec, exec, s[20:21]
	v_cmp_gt_i16_sdwa s[12:13], v57, s5 src0_sel:BYTE_0 src1_sel:DWORD
	s_mov_b64 s[2:3], 0
                                        ; implicit-def: $sgpr22
	s_and_saveexec_b64 s[20:21], s[12:13]
	s_xor_b64 s[12:13], exec, s[20:21]
	s_cbranch_execnz .LBB313_1691
; %bb.1152:                             ;   in Loop: Header=BB313_1067 Depth=1
	s_or_saveexec_b64 s[12:13], s[12:13]
	v_mov_b32_e32 v6, s22
	s_xor_b64 exec, exec, s[12:13]
	s_cbranch_execnz .LBB313_1694
.LBB313_1153:                           ;   in Loop: Header=BB313_1067 Depth=1
	s_or_b64 exec, exec, s[12:13]
	v_mov_b32_e32 v20, v57
	s_and_saveexec_b64 s[12:13], s[2:3]
	s_cbranch_execz .LBB313_1155
.LBB313_1154:                           ;   in Loop: Header=BB313_1067 Depth=1
	v_and_b32_e32 v6, 7, v57
	v_ffbh_u32_e32 v6, v6
	v_bfe_u32 v16, v57, 3, 4
	v_min_u32_e32 v6, 32, v6
	v_subrev_u32_e32 v22, 28, v6
	v_sub_u32_e32 v6, 29, v6
	v_cmp_eq_u32_e64 s[2:3], 0, v16
	s_nop 1
	v_cndmask_b32_e64 v6, v16, v6, s[2:3]
	v_cndmask_b32_e64 v16, 0, v22, s[2:3]
	v_lshlrev_b64 v[26:27], v16, v[20:21]
	v_lshlrev_b32_e32 v22, 8, v57
	v_lshl_add_u32 v6, v6, 10, v62
	v_lshlrev_b32_e32 v16, 7, v26
	v_and_or_b32 v6, v22, s17, v6
	v_and_or_b32 v6, v16, s24, v6
	v_cvt_f32_f16_e32 v6, v6
.LBB313_1155:                           ;   in Loop: Header=BB313_1067 Depth=1
	s_or_b64 exec, exec, s[12:13]
	v_lshrrev_b16_e32 v20, 8, v20
	v_cmp_lt_i16_e64 s[2:3], s5, v20
	s_mov_b64 s[12:13], 0
                                        ; implicit-def: $sgpr28
	s_and_saveexec_b64 s[20:21], s[2:3]
	s_xor_b64 s[20:21], exec, s[20:21]
	s_cbranch_execnz .LBB313_1695
; %bb.1156:                             ;   in Loop: Header=BB313_1067 Depth=1
	s_or_saveexec_b64 s[20:21], s[20:21]
	v_mov_b32_e32 v16, s28
	s_xor_b64 exec, exec, s[20:21]
	s_cbranch_execnz .LBB313_1698
.LBB313_1157:                           ;   in Loop: Header=BB313_1067 Depth=1
	s_or_b64 exec, exec, s[20:21]
	s_and_saveexec_b64 s[20:21], s[12:13]
	s_cbranch_execz .LBB313_1159
.LBB313_1158:                           ;   in Loop: Header=BB313_1067 Depth=1
	v_and_b32_e32 v16, 7, v20
	v_ffbh_u32_e32 v26, v16
	v_min_u32_e32 v28, 32, v26
	v_subrev_u32_e32 v26, 28, v28
	v_bfe_u32 v22, v20, 3, 4
	v_lshlrev_b64 v[26:27], v26, v[20:21]
	v_sub_u32_e32 v27, 29, v28
	v_cmp_eq_u32_e64 s[2:3], 0, v22
	v_and_b32_e32 v26, 7, v26
	v_lshlrev_b32_e32 v20, 8, v20
	v_cndmask_b32_e64 v22, v22, v27, s[2:3]
	v_lshl_add_u32 v22, v22, 10, v62
	v_cndmask_b32_e64 v16, v16, v26, s[2:3]
	v_and_or_b32 v20, v20, s17, v22
	v_lshl_or_b32 v16, v16, 7, v20
	v_cvt_f32_f16_e32 v16, v16
.LBB313_1159:                           ;   in Loop: Header=BB313_1067 Depth=1
	s_or_b64 exec, exec, s[20:21]
	v_lshrrev_b32_e32 v20, 16, v57
	v_cmp_gt_i16_sdwa s[12:13], v20, s5 src0_sel:BYTE_0 src1_sel:DWORD
	s_mov_b64 s[2:3], 0
                                        ; implicit-def: $sgpr22
	s_and_saveexec_b64 s[20:21], s[12:13]
	s_xor_b64 s[12:13], exec, s[20:21]
	s_cbranch_execnz .LBB313_1699
; %bb.1160:                             ;   in Loop: Header=BB313_1067 Depth=1
	s_or_saveexec_b64 s[12:13], s[12:13]
	v_mov_b32_e32 v22, s22
	s_xor_b64 exec, exec, s[12:13]
	s_cbranch_execnz .LBB313_1702
.LBB313_1161:                           ;   in Loop: Header=BB313_1067 Depth=1
	s_or_b64 exec, exec, s[12:13]
	s_and_saveexec_b64 s[12:13], s[2:3]
	s_cbranch_execz .LBB313_1163
.LBB313_1162:                           ;   in Loop: Header=BB313_1067 Depth=1
	v_bfe_u32 v22, v57, 16, 3
	v_ffbh_u32_e32 v26, v22
	v_min_u32_e32 v29, 32, v26
	v_subrev_u32_e32 v26, 28, v29
	v_bfe_u32 v28, v57, 19, 4
	v_lshlrev_b64 v[26:27], v26, v[20:21]
	v_sub_u32_e32 v27, 29, v29
	v_cmp_eq_u32_e64 s[2:3], 0, v28
	v_and_b32_e32 v26, 7, v26
	v_lshlrev_b32_e32 v20, 8, v20
	v_cndmask_b32_e64 v27, v28, v27, s[2:3]
	v_cndmask_b32_e64 v22, v22, v26, s[2:3]
	v_lshl_add_u32 v26, v27, 10, v62
	v_and_or_b32 v20, v20, s17, v26
	v_lshl_or_b32 v20, v22, 7, v20
	v_cvt_f32_f16_e32 v22, v20
.LBB313_1163:                           ;   in Loop: Header=BB313_1067 Depth=1
	s_or_b64 exec, exec, s[12:13]
	v_lshrrev_b32_e32 v20, 24, v57
	v_cmp_lt_i16_e64 s[2:3], s5, v20
	s_mov_b64 s[12:13], 0
                                        ; implicit-def: $sgpr28
	s_and_saveexec_b64 s[20:21], s[2:3]
	s_xor_b64 s[20:21], exec, s[20:21]
	s_cbranch_execnz .LBB313_1703
; %bb.1164:                             ;   in Loop: Header=BB313_1067 Depth=1
	s_or_saveexec_b64 s[20:21], s[20:21]
	v_mov_b32_e32 v27, s28
	s_xor_b64 exec, exec, s[20:21]
	s_cbranch_execnz .LBB313_1706
.LBB313_1165:                           ;   in Loop: Header=BB313_1067 Depth=1
	s_or_b64 exec, exec, s[20:21]
	s_and_saveexec_b64 s[20:21], s[12:13]
	s_cbranch_execz .LBB313_1167
.LBB313_1166:                           ;   in Loop: Header=BB313_1067 Depth=1
	v_bfe_u32 v28, v57, 24, 3
	v_ffbh_u32_e32 v26, v28
	v_min_u32_e32 v51, 32, v26
	v_subrev_u32_e32 v26, 28, v51
	v_bfe_u32 v29, v57, 27, 4
	v_lshlrev_b64 v[26:27], v26, v[20:21]
	v_sub_u32_e32 v27, 29, v51
	v_cmp_eq_u32_e64 s[2:3], 0, v29
	v_and_b32_e32 v26, 7, v26
	v_lshlrev_b32_e32 v20, 8, v20
	v_cndmask_b32_e64 v27, v29, v27, s[2:3]
	v_lshl_add_u32 v27, v27, 10, v62
	v_cndmask_b32_e64 v26, v28, v26, s[2:3]
	v_and_or_b32 v20, v20, s17, v27
	v_lshl_or_b32 v20, v26, 7, v20
	v_cvt_f32_f16_e32 v27, v20
.LBB313_1167:                           ;   in Loop: Header=BB313_1067 Depth=1
	s_or_b64 exec, exec, s[20:21]
	s_waitcnt vmcnt(0) lgkmcnt(0)
	v_pk_mul_f32 v[28:29], v[46:47], v[60:61] op_sel_hi:[0,1]
	v_pk_mul_f32 v[52:53], v[46:47], v[58:59] op_sel_hi:[0,1]
	v_cvt_f16_f32_e32 v20, v29
	v_cvt_f16_f32_e32 v26, v28
	;; [unrolled: 1-line block ×4, first 2 shown]
	v_fma_mixlo_f16 v16, v46, v16, 0
	v_lshlrev_b32_e32 v16, 16, v16
	v_fma_mixlo_f16 v6, v46, v6, 0
	v_or_b32_sdwa v6, v16, v6 dst_sel:DWORD dst_unused:UNUSED_PAD src0_sel:DWORD src1_sel:WORD_0
	v_fma_mixlo_f16 v16, v46, v27, 0
	v_pack_b32_f16 v26, v26, v20
	v_pack_b32_f16 v28, v29, v28
	v_fma_mixlo_f16 v22, v46, v22, 0
	v_lshlrev_b32_e32 v16, 16, v16
	v_perm_b32 v20, v28, v26, s25
	v_perm_b32 v26, v28, v26, s26
	v_or_b32_sdwa v16, v16, v22 dst_sel:DWORD dst_unused:UNUSED_PAD src0_sel:DWORD src1_sel:WORD_0
	s_and_saveexec_b64 s[12:13], vcc
	s_cbranch_execz .LBB313_1169
; %bb.1168:                             ;   in Loop: Header=BB313_1067 Depth=1
	scratch_load_dwordx2 v[28:29], off, s32 offset:196 ; 8-byte Folded Reload
	v_lshrrev_b32_e32 v27, 16, v26
	v_cmp_lt_i32_e64 s[2:3], v50, v17
	v_lshrrev_b32_e32 v16, 16, v16
	s_nop 0
	v_cndmask_b32_e64 v27, 0, v27, s[2:3]
	s_waitcnt vmcnt(0)
	v_cmp_lt_i32_e64 s[2:3], v7, v28
	s_nop 1
	v_cndmask_b32_e64 v26, 0, v26, s[2:3]
	v_perm_b32 v26, v27, v26, s27
	v_lshrrev_b32_e32 v27, 16, v20
	v_cmp_lt_i32_e64 s[2:3], v49, v17
	s_nop 1
	v_cndmask_b32_e64 v27, 0, v27, s[2:3]
	v_cmp_lt_i32_e64 s[2:3], v48, v28
	s_nop 1
	v_cndmask_b32_e64 v20, 0, v20, s[2:3]
	v_perm_b32 v20, v27, v20, s27
	v_lshrrev_b32_e32 v27, 16, v6
	v_cmp_lt_i32_e64 s[2:3], v11, v17
	s_nop 1
	v_cndmask_b32_e64 v27, 0, v27, s[2:3]
	v_cmp_lt_i32_e64 s[2:3], v10, v28
	s_nop 1
	v_cndmask_b32_e64 v6, 0, v6, s[2:3]
	v_cmp_lt_i32_e64 s[2:3], v4, v17
	v_perm_b32 v6, v27, v6, s27
	s_nop 0
	v_cndmask_b32_e64 v16, 0, v16, s[2:3]
	v_cmp_lt_i32_e64 s[2:3], v5, v28
	s_nop 1
	v_cndmask_b32_e64 v22, 0, v22, s[2:3]
	v_perm_b32 v16, v16, v22, s27
.LBB313_1169:                           ;   in Loop: Header=BB313_1067 Depth=1
	s_or_b64 exec, exec, s[12:13]
	;;#ASMSTART
	v_pk_mul_f16 v22, v36, v26;

	;;#ASMEND
	;;#ASMSTART
	v_pk_mul_f16 v20, v37, v20;

	;;#ASMEND
	;; [unrolled: 4-line block ×4, first 2 shown]
	s_mov_b64 s[2:3], 0
	;;#ASMSTART
	v_pk_add_f16 v20, v22, v20;

	;;#ASMEND
                                        ; implicit-def: $sgpr22
	s_nop 0
	;;#ASMSTART
	v_pk_add_f16 v6, v20, v6;

	;;#ASMEND
	s_nop 0
	;;#ASMSTART
	v_pk_add_f16 v6, v6, v16;

	;;#ASMEND
	s_nop 0
	v_lshrrev_b32_e32 v16, 16, v6
	v_and_b32_e32 v6, 0xffff, v6
	;;#ASMSTART
	v_cvt_f32_f16 v6, v6;
	;;#ASMEND
	s_nop 0
	v_accvgpr_write_b32 a20, v6
	;;#ASMSTART
	v_cvt_f32_f16 v6, v16;
	;;#ASMEND
	flat_load_dwordx2 v[56:57], v[44:45] offset:1536
	scratch_load_dwordx2 v[26:27], off, s32 offset:188 ; 8-byte Folded Reload
	v_accvgpr_write_b32 a21, v6
	s_waitcnt vmcnt(0) lgkmcnt(0)
	v_cmp_gt_i16_sdwa s[12:13], v56, s5 src0_sel:BYTE_0 src1_sel:DWORD
	flat_load_dword v46, v[26:27]
	s_and_saveexec_b64 s[20:21], s[12:13]
	s_xor_b64 s[12:13], exec, s[20:21]
	s_cbranch_execnz .LBB313_1707
; %bb.1170:                             ;   in Loop: Header=BB313_1067 Depth=1
	s_or_saveexec_b64 s[12:13], s[12:13]
	v_mov_b32_e32 v58, s22
	s_xor_b64 exec, exec, s[12:13]
	s_cbranch_execnz .LBB313_1710
.LBB313_1171:                           ;   in Loop: Header=BB313_1067 Depth=1
	s_or_b64 exec, exec, s[12:13]
	s_and_saveexec_b64 s[12:13], s[2:3]
	s_cbranch_execz .LBB313_1173
.LBB313_1172:                           ;   in Loop: Header=BB313_1067 Depth=1
	v_and_b32_e32 v6, 7, v56
	v_ffbh_u32_e32 v6, v6
	v_bfe_u32 v16, v56, 3, 4
	v_min_u32_e32 v6, 32, v6
	v_subrev_u32_e32 v20, 28, v6
	v_sub_u32_e32 v6, 29, v6
	v_cmp_eq_u32_e64 s[2:3], 0, v16
	s_nop 1
	v_cndmask_b32_e64 v6, v16, v6, s[2:3]
	v_cndmask_b32_e64 v16, 0, v20, s[2:3]
	v_lshlrev_b64 v[26:27], v16, v[56:57]
	v_lshlrev_b32_e32 v20, 8, v56
	v_lshl_add_u32 v6, v6, 10, v62
	v_lshlrev_b32_e32 v16, 7, v26
	v_and_or_b32 v6, v20, s17, v6
	v_and_or_b32 v6, v16, s24, v6
	v_cvt_f32_f16_e32 v58, v6
.LBB313_1173:                           ;   in Loop: Header=BB313_1067 Depth=1
	s_or_b64 exec, exec, s[12:13]
	v_lshrrev_b16_e32 v20, 8, v56
	v_cmp_lt_i16_e64 s[2:3], s5, v20
	s_mov_b64 s[12:13], 0
                                        ; implicit-def: $sgpr28
	s_and_saveexec_b64 s[20:21], s[2:3]
	s_xor_b64 s[20:21], exec, s[20:21]
	s_cbranch_execnz .LBB313_1711
; %bb.1174:                             ;   in Loop: Header=BB313_1067 Depth=1
	s_or_saveexec_b64 s[20:21], s[20:21]
	v_mov_b32_e32 v60, s28
	s_xor_b64 exec, exec, s[20:21]
	s_cbranch_execnz .LBB313_1714
.LBB313_1175:                           ;   in Loop: Header=BB313_1067 Depth=1
	s_or_b64 exec, exec, s[20:21]
	s_and_saveexec_b64 s[20:21], s[12:13]
	s_cbranch_execz .LBB313_1177
.LBB313_1176:                           ;   in Loop: Header=BB313_1067 Depth=1
	v_and_b32_e32 v6, 7, v20
	v_ffbh_u32_e32 v22, v6
	v_bfe_u32 v16, v20, 3, 4
	v_min_u32_e32 v22, 32, v22
	v_subrev_u32_e32 v26, 28, v22
	v_sub_u32_e32 v22, 29, v22
	v_cmp_eq_u32_e64 s[2:3], 0, v16
	v_lshlrev_b64 v[26:27], v26, v[20:21]
	v_and_b32_e32 v26, 7, v26
	v_cndmask_b32_e64 v16, v16, v22, s[2:3]
	v_lshlrev_b32_e32 v20, 8, v20
	v_lshl_add_u32 v16, v16, 10, v62
	v_cndmask_b32_e64 v6, v6, v26, s[2:3]
	v_and_or_b32 v16, v20, s17, v16
	v_lshl_or_b32 v6, v6, 7, v16
	v_cvt_f32_f16_e32 v60, v6
.LBB313_1177:                           ;   in Loop: Header=BB313_1067 Depth=1
	s_or_b64 exec, exec, s[20:21]
	v_lshrrev_b32_e32 v20, 16, v56
	v_cmp_gt_i16_sdwa s[12:13], v20, s5 src0_sel:BYTE_0 src1_sel:DWORD
	s_mov_b64 s[2:3], 0
                                        ; implicit-def: $sgpr22
	s_and_saveexec_b64 s[20:21], s[12:13]
	s_xor_b64 s[12:13], exec, s[20:21]
	s_cbranch_execnz .LBB313_1715
; %bb.1178:                             ;   in Loop: Header=BB313_1067 Depth=1
	s_or_saveexec_b64 s[12:13], s[12:13]
	v_mov_b32_e32 v59, s22
	s_xor_b64 exec, exec, s[12:13]
	s_cbranch_execnz .LBB313_1718
.LBB313_1179:                           ;   in Loop: Header=BB313_1067 Depth=1
	s_or_b64 exec, exec, s[12:13]
	s_and_saveexec_b64 s[12:13], s[2:3]
	s_cbranch_execz .LBB313_1181
.LBB313_1180:                           ;   in Loop: Header=BB313_1067 Depth=1
	v_bfe_u32 v6, v56, 16, 3
	v_ffbh_u32_e32 v22, v6
	v_bfe_u32 v16, v56, 19, 4
	v_min_u32_e32 v22, 32, v22
	v_subrev_u32_e32 v26, 28, v22
	v_sub_u32_e32 v22, 29, v22
	v_cmp_eq_u32_e64 s[2:3], 0, v16
	v_lshlrev_b64 v[26:27], v26, v[20:21]
	v_and_b32_e32 v26, 7, v26
	v_cndmask_b32_e64 v16, v16, v22, s[2:3]
	v_lshlrev_b32_e32 v20, 8, v20
	v_lshl_add_u32 v16, v16, 10, v62
	v_cndmask_b32_e64 v6, v6, v26, s[2:3]
	v_and_or_b32 v16, v20, s17, v16
	v_lshl_or_b32 v6, v6, 7, v16
	v_cvt_f32_f16_e32 v59, v6
.LBB313_1181:                           ;   in Loop: Header=BB313_1067 Depth=1
	s_or_b64 exec, exec, s[12:13]
	v_lshrrev_b32_e32 v20, 24, v56
	v_cmp_lt_i16_e64 s[2:3], s5, v20
	s_mov_b64 s[12:13], 0
                                        ; implicit-def: $sgpr28
	s_and_saveexec_b64 s[20:21], s[2:3]
	s_xor_b64 s[20:21], exec, s[20:21]
	s_cbranch_execnz .LBB313_1719
; %bb.1182:                             ;   in Loop: Header=BB313_1067 Depth=1
	s_or_saveexec_b64 s[20:21], s[20:21]
	v_mov_b32_e32 v61, s28
	s_xor_b64 exec, exec, s[20:21]
	s_cbranch_execnz .LBB313_1722
.LBB313_1183:                           ;   in Loop: Header=BB313_1067 Depth=1
	s_or_b64 exec, exec, s[20:21]
	s_and_saveexec_b64 s[20:21], s[12:13]
	s_cbranch_execz .LBB313_1185
.LBB313_1184:                           ;   in Loop: Header=BB313_1067 Depth=1
	v_bfe_u32 v6, v56, 24, 3
	v_ffbh_u32_e32 v22, v6
	v_bfe_u32 v16, v56, 27, 4
	v_min_u32_e32 v22, 32, v22
	v_subrev_u32_e32 v26, 28, v22
	v_sub_u32_e32 v22, 29, v22
	v_cmp_eq_u32_e64 s[2:3], 0, v16
	v_lshlrev_b64 v[26:27], v26, v[20:21]
	v_and_b32_e32 v26, 7, v26
	v_cndmask_b32_e64 v16, v16, v22, s[2:3]
	v_lshlrev_b32_e32 v20, 8, v20
	v_lshl_add_u32 v16, v16, 10, v62
	v_cndmask_b32_e64 v6, v6, v26, s[2:3]
	v_and_or_b32 v16, v20, s17, v16
	v_lshl_or_b32 v6, v6, 7, v16
	v_cvt_f32_f16_e32 v61, v6
.LBB313_1185:                           ;   in Loop: Header=BB313_1067 Depth=1
	s_or_b64 exec, exec, s[20:21]
	v_cmp_gt_i16_sdwa s[12:13], v57, s5 src0_sel:BYTE_0 src1_sel:DWORD
	s_mov_b64 s[2:3], 0
                                        ; implicit-def: $sgpr22
	s_and_saveexec_b64 s[20:21], s[12:13]
	s_xor_b64 s[12:13], exec, s[20:21]
	s_cbranch_execnz .LBB313_1723
; %bb.1186:                             ;   in Loop: Header=BB313_1067 Depth=1
	s_or_saveexec_b64 s[12:13], s[12:13]
	v_mov_b32_e32 v6, s22
	s_xor_b64 exec, exec, s[12:13]
	s_cbranch_execnz .LBB313_1726
.LBB313_1187:                           ;   in Loop: Header=BB313_1067 Depth=1
	s_or_b64 exec, exec, s[12:13]
	v_mov_b32_e32 v20, v57
	s_and_saveexec_b64 s[12:13], s[2:3]
	s_cbranch_execz .LBB313_1189
.LBB313_1188:                           ;   in Loop: Header=BB313_1067 Depth=1
	v_and_b32_e32 v6, 7, v57
	v_ffbh_u32_e32 v6, v6
	v_bfe_u32 v16, v57, 3, 4
	v_min_u32_e32 v6, 32, v6
	v_subrev_u32_e32 v22, 28, v6
	v_sub_u32_e32 v6, 29, v6
	v_cmp_eq_u32_e64 s[2:3], 0, v16
	s_nop 1
	v_cndmask_b32_e64 v6, v16, v6, s[2:3]
	v_cndmask_b32_e64 v16, 0, v22, s[2:3]
	v_lshlrev_b64 v[26:27], v16, v[20:21]
	v_lshlrev_b32_e32 v22, 8, v57
	v_lshl_add_u32 v6, v6, 10, v62
	v_lshlrev_b32_e32 v16, 7, v26
	v_and_or_b32 v6, v22, s17, v6
	v_and_or_b32 v6, v16, s24, v6
	v_cvt_f32_f16_e32 v6, v6
.LBB313_1189:                           ;   in Loop: Header=BB313_1067 Depth=1
	s_or_b64 exec, exec, s[12:13]
	v_lshrrev_b16_e32 v20, 8, v20
	v_cmp_lt_i16_e64 s[2:3], s5, v20
	s_mov_b64 s[12:13], 0
                                        ; implicit-def: $sgpr28
	s_and_saveexec_b64 s[20:21], s[2:3]
	s_xor_b64 s[20:21], exec, s[20:21]
	s_cbranch_execnz .LBB313_1727
; %bb.1190:                             ;   in Loop: Header=BB313_1067 Depth=1
	s_or_saveexec_b64 s[20:21], s[20:21]
	v_mov_b32_e32 v16, s28
	s_xor_b64 exec, exec, s[20:21]
	s_cbranch_execnz .LBB313_1730
.LBB313_1191:                           ;   in Loop: Header=BB313_1067 Depth=1
	s_or_b64 exec, exec, s[20:21]
	s_and_saveexec_b64 s[20:21], s[12:13]
	s_cbranch_execz .LBB313_1193
.LBB313_1192:                           ;   in Loop: Header=BB313_1067 Depth=1
	v_and_b32_e32 v16, 7, v20
	v_ffbh_u32_e32 v26, v16
	v_min_u32_e32 v28, 32, v26
	v_subrev_u32_e32 v26, 28, v28
	v_bfe_u32 v22, v20, 3, 4
	v_lshlrev_b64 v[26:27], v26, v[20:21]
	v_sub_u32_e32 v27, 29, v28
	v_cmp_eq_u32_e64 s[2:3], 0, v22
	v_and_b32_e32 v26, 7, v26
	v_lshlrev_b32_e32 v20, 8, v20
	v_cndmask_b32_e64 v22, v22, v27, s[2:3]
	v_lshl_add_u32 v22, v22, 10, v62
	v_cndmask_b32_e64 v16, v16, v26, s[2:3]
	v_and_or_b32 v20, v20, s17, v22
	v_lshl_or_b32 v16, v16, 7, v20
	v_cvt_f32_f16_e32 v16, v16
.LBB313_1193:                           ;   in Loop: Header=BB313_1067 Depth=1
	s_or_b64 exec, exec, s[20:21]
	v_lshrrev_b32_e32 v20, 16, v57
	v_cmp_gt_i16_sdwa s[12:13], v20, s5 src0_sel:BYTE_0 src1_sel:DWORD
	s_mov_b64 s[2:3], 0
                                        ; implicit-def: $sgpr22
	s_and_saveexec_b64 s[20:21], s[12:13]
	s_xor_b64 s[12:13], exec, s[20:21]
	s_cbranch_execnz .LBB313_1731
; %bb.1194:                             ;   in Loop: Header=BB313_1067 Depth=1
	s_or_saveexec_b64 s[12:13], s[12:13]
	v_mov_b32_e32 v22, s22
	s_xor_b64 exec, exec, s[12:13]
	s_cbranch_execnz .LBB313_1734
.LBB313_1195:                           ;   in Loop: Header=BB313_1067 Depth=1
	s_or_b64 exec, exec, s[12:13]
	s_and_saveexec_b64 s[12:13], s[2:3]
	s_cbranch_execz .LBB313_1197
.LBB313_1196:                           ;   in Loop: Header=BB313_1067 Depth=1
	v_bfe_u32 v22, v57, 16, 3
	v_ffbh_u32_e32 v26, v22
	v_min_u32_e32 v29, 32, v26
	v_subrev_u32_e32 v26, 28, v29
	v_bfe_u32 v28, v57, 19, 4
	v_lshlrev_b64 v[26:27], v26, v[20:21]
	v_sub_u32_e32 v27, 29, v29
	v_cmp_eq_u32_e64 s[2:3], 0, v28
	v_and_b32_e32 v26, 7, v26
	v_lshlrev_b32_e32 v20, 8, v20
	v_cndmask_b32_e64 v27, v28, v27, s[2:3]
	v_cndmask_b32_e64 v22, v22, v26, s[2:3]
	v_lshl_add_u32 v26, v27, 10, v62
	v_and_or_b32 v20, v20, s17, v26
	v_lshl_or_b32 v20, v22, 7, v20
	v_cvt_f32_f16_e32 v22, v20
.LBB313_1197:                           ;   in Loop: Header=BB313_1067 Depth=1
	s_or_b64 exec, exec, s[12:13]
	v_lshrrev_b32_e32 v20, 24, v57
	v_cmp_lt_i16_e64 s[2:3], s5, v20
	s_mov_b64 s[12:13], 0
                                        ; implicit-def: $sgpr28
	s_and_saveexec_b64 s[20:21], s[2:3]
	s_xor_b64 s[20:21], exec, s[20:21]
	s_cbranch_execnz .LBB313_1735
; %bb.1198:                             ;   in Loop: Header=BB313_1067 Depth=1
	s_or_saveexec_b64 s[20:21], s[20:21]
	v_mov_b32_e32 v27, s28
	s_xor_b64 exec, exec, s[20:21]
	s_cbranch_execnz .LBB313_1738
.LBB313_1199:                           ;   in Loop: Header=BB313_1067 Depth=1
	s_or_b64 exec, exec, s[20:21]
	s_and_saveexec_b64 s[20:21], s[12:13]
	s_cbranch_execz .LBB313_1201
.LBB313_1200:                           ;   in Loop: Header=BB313_1067 Depth=1
	v_bfe_u32 v28, v57, 24, 3
	v_ffbh_u32_e32 v26, v28
	v_min_u32_e32 v51, 32, v26
	v_subrev_u32_e32 v26, 28, v51
	v_bfe_u32 v29, v57, 27, 4
	v_lshlrev_b64 v[26:27], v26, v[20:21]
	v_sub_u32_e32 v27, 29, v51
	v_cmp_eq_u32_e64 s[2:3], 0, v29
	v_and_b32_e32 v26, 7, v26
	v_lshlrev_b32_e32 v20, 8, v20
	v_cndmask_b32_e64 v27, v29, v27, s[2:3]
	v_lshl_add_u32 v27, v27, 10, v62
	v_cndmask_b32_e64 v26, v28, v26, s[2:3]
	v_and_or_b32 v20, v20, s17, v27
	v_lshl_or_b32 v20, v26, 7, v20
	v_cvt_f32_f16_e32 v27, v20
.LBB313_1201:                           ;   in Loop: Header=BB313_1067 Depth=1
	s_or_b64 exec, exec, s[20:21]
	s_waitcnt vmcnt(0) lgkmcnt(0)
	v_pk_mul_f32 v[28:29], v[46:47], v[60:61] op_sel_hi:[0,1]
	v_pk_mul_f32 v[52:53], v[46:47], v[58:59] op_sel_hi:[0,1]
	v_cvt_f16_f32_e32 v20, v29
	v_cvt_f16_f32_e32 v26, v28
	;; [unrolled: 1-line block ×4, first 2 shown]
	v_fma_mixlo_f16 v16, v46, v16, 0
	v_lshlrev_b32_e32 v16, 16, v16
	v_fma_mixlo_f16 v6, v46, v6, 0
	v_or_b32_sdwa v6, v16, v6 dst_sel:DWORD dst_unused:UNUSED_PAD src0_sel:DWORD src1_sel:WORD_0
	v_fma_mixlo_f16 v16, v46, v27, 0
	v_pack_b32_f16 v26, v26, v20
	v_pack_b32_f16 v28, v29, v28
	v_fma_mixlo_f16 v22, v46, v22, 0
	v_lshlrev_b32_e32 v16, 16, v16
	v_perm_b32 v20, v28, v26, s25
	v_perm_b32 v26, v28, v26, s26
	v_or_b32_sdwa v16, v16, v22 dst_sel:DWORD dst_unused:UNUSED_PAD src0_sel:DWORD src1_sel:WORD_0
	s_and_saveexec_b64 s[12:13], vcc
	s_cbranch_execz .LBB313_1203
; %bb.1202:                             ;   in Loop: Header=BB313_1067 Depth=1
	scratch_load_dwordx2 v[28:29], off, s32 offset:196 ; 8-byte Folded Reload
	v_lshrrev_b32_e32 v27, 16, v26
	v_cmp_lt_i32_e64 s[2:3], v50, v17
	v_lshrrev_b32_e32 v16, 16, v16
	s_nop 0
	v_cndmask_b32_e64 v27, 0, v27, s[2:3]
	s_waitcnt vmcnt(0)
	v_cmp_lt_i32_e64 s[2:3], v7, v28
	s_nop 1
	v_cndmask_b32_e64 v26, 0, v26, s[2:3]
	v_perm_b32 v26, v27, v26, s27
	v_lshrrev_b32_e32 v27, 16, v20
	v_cmp_lt_i32_e64 s[2:3], v49, v17
	s_nop 1
	v_cndmask_b32_e64 v27, 0, v27, s[2:3]
	v_cmp_lt_i32_e64 s[2:3], v48, v28
	s_nop 1
	v_cndmask_b32_e64 v20, 0, v20, s[2:3]
	v_perm_b32 v20, v27, v20, s27
	v_lshrrev_b32_e32 v27, 16, v6
	v_cmp_lt_i32_e64 s[2:3], v11, v17
	s_nop 1
	v_cndmask_b32_e64 v27, 0, v27, s[2:3]
	v_cmp_lt_i32_e64 s[2:3], v10, v28
	s_nop 1
	v_cndmask_b32_e64 v6, 0, v6, s[2:3]
	v_cmp_lt_i32_e64 s[2:3], v4, v17
	v_perm_b32 v6, v27, v6, s27
	s_nop 0
	v_cndmask_b32_e64 v16, 0, v16, s[2:3]
	v_cmp_lt_i32_e64 s[2:3], v5, v28
	s_nop 1
	v_cndmask_b32_e64 v22, 0, v22, s[2:3]
	v_perm_b32 v16, v16, v22, s27
.LBB313_1203:                           ;   in Loop: Header=BB313_1067 Depth=1
	s_or_b64 exec, exec, s[12:13]
	;;#ASMSTART
	v_pk_mul_f16 v22, v36, v26;

	;;#ASMEND
	;;#ASMSTART
	v_pk_mul_f16 v20, v37, v20;

	;;#ASMEND
	;; [unrolled: 4-line block ×4, first 2 shown]
	s_mov_b64 s[2:3], 0
	;;#ASMSTART
	v_pk_add_f16 v20, v22, v20;

	;;#ASMEND
                                        ; implicit-def: $sgpr22
	s_nop 0
	;;#ASMSTART
	v_pk_add_f16 v6, v20, v6;

	;;#ASMEND
	s_nop 0
	;;#ASMSTART
	v_pk_add_f16 v6, v6, v16;

	;;#ASMEND
	s_nop 0
	v_lshrrev_b32_e32 v16, 16, v6
	v_and_b32_e32 v6, 0xffff, v6
	;;#ASMSTART
	v_cvt_f32_f16 v6, v6;
	;;#ASMEND
	s_nop 0
	v_accvgpr_write_b32 a22, v6
	;;#ASMSTART
	v_cvt_f32_f16 v6, v16;
	;;#ASMEND
	flat_load_dwordx2 v[56:57], v[44:45] offset:2048
	scratch_load_dwordx2 v[26:27], off, s32 offset:188 ; 8-byte Folded Reload
	v_accvgpr_write_b32 a23, v6
	s_waitcnt vmcnt(0) lgkmcnt(0)
	v_cmp_gt_i16_sdwa s[12:13], v56, s5 src0_sel:BYTE_0 src1_sel:DWORD
	flat_load_dword v46, v[26:27]
	s_and_saveexec_b64 s[20:21], s[12:13]
	s_xor_b64 s[12:13], exec, s[20:21]
	s_cbranch_execnz .LBB313_1739
; %bb.1204:                             ;   in Loop: Header=BB313_1067 Depth=1
	s_or_saveexec_b64 s[12:13], s[12:13]
	v_mov_b32_e32 v58, s22
	s_xor_b64 exec, exec, s[12:13]
	s_cbranch_execnz .LBB313_1742
.LBB313_1205:                           ;   in Loop: Header=BB313_1067 Depth=1
	s_or_b64 exec, exec, s[12:13]
	s_and_saveexec_b64 s[12:13], s[2:3]
	s_cbranch_execz .LBB313_1207
.LBB313_1206:                           ;   in Loop: Header=BB313_1067 Depth=1
	v_and_b32_e32 v6, 7, v56
	v_ffbh_u32_e32 v6, v6
	v_bfe_u32 v16, v56, 3, 4
	v_min_u32_e32 v6, 32, v6
	v_subrev_u32_e32 v20, 28, v6
	v_sub_u32_e32 v6, 29, v6
	v_cmp_eq_u32_e64 s[2:3], 0, v16
	s_nop 1
	v_cndmask_b32_e64 v6, v16, v6, s[2:3]
	v_cndmask_b32_e64 v16, 0, v20, s[2:3]
	v_lshlrev_b64 v[26:27], v16, v[56:57]
	v_lshlrev_b32_e32 v20, 8, v56
	v_lshl_add_u32 v6, v6, 10, v62
	v_lshlrev_b32_e32 v16, 7, v26
	v_and_or_b32 v6, v20, s17, v6
	v_and_or_b32 v6, v16, s24, v6
	v_cvt_f32_f16_e32 v58, v6
.LBB313_1207:                           ;   in Loop: Header=BB313_1067 Depth=1
	s_or_b64 exec, exec, s[12:13]
	v_lshrrev_b16_e32 v20, 8, v56
	v_cmp_lt_i16_e64 s[2:3], s5, v20
	s_mov_b64 s[12:13], 0
                                        ; implicit-def: $sgpr28
	s_and_saveexec_b64 s[20:21], s[2:3]
	s_xor_b64 s[20:21], exec, s[20:21]
	s_cbranch_execnz .LBB313_1743
; %bb.1208:                             ;   in Loop: Header=BB313_1067 Depth=1
	s_or_saveexec_b64 s[20:21], s[20:21]
	v_mov_b32_e32 v60, s28
	s_xor_b64 exec, exec, s[20:21]
	s_cbranch_execnz .LBB313_1746
.LBB313_1209:                           ;   in Loop: Header=BB313_1067 Depth=1
	s_or_b64 exec, exec, s[20:21]
	s_and_saveexec_b64 s[20:21], s[12:13]
	s_cbranch_execz .LBB313_1211
.LBB313_1210:                           ;   in Loop: Header=BB313_1067 Depth=1
	v_and_b32_e32 v6, 7, v20
	v_ffbh_u32_e32 v22, v6
	v_bfe_u32 v16, v20, 3, 4
	v_min_u32_e32 v22, 32, v22
	v_subrev_u32_e32 v26, 28, v22
	v_sub_u32_e32 v22, 29, v22
	v_cmp_eq_u32_e64 s[2:3], 0, v16
	v_lshlrev_b64 v[26:27], v26, v[20:21]
	v_and_b32_e32 v26, 7, v26
	v_cndmask_b32_e64 v16, v16, v22, s[2:3]
	v_lshlrev_b32_e32 v20, 8, v20
	v_lshl_add_u32 v16, v16, 10, v62
	v_cndmask_b32_e64 v6, v6, v26, s[2:3]
	v_and_or_b32 v16, v20, s17, v16
	v_lshl_or_b32 v6, v6, 7, v16
	v_cvt_f32_f16_e32 v60, v6
.LBB313_1211:                           ;   in Loop: Header=BB313_1067 Depth=1
	s_or_b64 exec, exec, s[20:21]
	v_lshrrev_b32_e32 v20, 16, v56
	v_cmp_gt_i16_sdwa s[12:13], v20, s5 src0_sel:BYTE_0 src1_sel:DWORD
	s_mov_b64 s[2:3], 0
                                        ; implicit-def: $sgpr22
	s_and_saveexec_b64 s[20:21], s[12:13]
	s_xor_b64 s[12:13], exec, s[20:21]
	s_cbranch_execnz .LBB313_1747
; %bb.1212:                             ;   in Loop: Header=BB313_1067 Depth=1
	s_or_saveexec_b64 s[12:13], s[12:13]
	v_mov_b32_e32 v59, s22
	s_xor_b64 exec, exec, s[12:13]
	s_cbranch_execnz .LBB313_1750
.LBB313_1213:                           ;   in Loop: Header=BB313_1067 Depth=1
	s_or_b64 exec, exec, s[12:13]
	s_and_saveexec_b64 s[12:13], s[2:3]
	s_cbranch_execz .LBB313_1215
.LBB313_1214:                           ;   in Loop: Header=BB313_1067 Depth=1
	v_bfe_u32 v6, v56, 16, 3
	v_ffbh_u32_e32 v22, v6
	v_bfe_u32 v16, v56, 19, 4
	v_min_u32_e32 v22, 32, v22
	v_subrev_u32_e32 v26, 28, v22
	v_sub_u32_e32 v22, 29, v22
	v_cmp_eq_u32_e64 s[2:3], 0, v16
	v_lshlrev_b64 v[26:27], v26, v[20:21]
	v_and_b32_e32 v26, 7, v26
	v_cndmask_b32_e64 v16, v16, v22, s[2:3]
	v_lshlrev_b32_e32 v20, 8, v20
	v_lshl_add_u32 v16, v16, 10, v62
	v_cndmask_b32_e64 v6, v6, v26, s[2:3]
	v_and_or_b32 v16, v20, s17, v16
	v_lshl_or_b32 v6, v6, 7, v16
	v_cvt_f32_f16_e32 v59, v6
.LBB313_1215:                           ;   in Loop: Header=BB313_1067 Depth=1
	s_or_b64 exec, exec, s[12:13]
	v_lshrrev_b32_e32 v20, 24, v56
	v_cmp_lt_i16_e64 s[2:3], s5, v20
	s_mov_b64 s[12:13], 0
                                        ; implicit-def: $sgpr28
	s_and_saveexec_b64 s[20:21], s[2:3]
	s_xor_b64 s[20:21], exec, s[20:21]
	s_cbranch_execnz .LBB313_1751
; %bb.1216:                             ;   in Loop: Header=BB313_1067 Depth=1
	s_or_saveexec_b64 s[20:21], s[20:21]
	v_mov_b32_e32 v61, s28
	s_xor_b64 exec, exec, s[20:21]
	s_cbranch_execnz .LBB313_1754
.LBB313_1217:                           ;   in Loop: Header=BB313_1067 Depth=1
	s_or_b64 exec, exec, s[20:21]
	s_and_saveexec_b64 s[20:21], s[12:13]
	s_cbranch_execz .LBB313_1219
.LBB313_1218:                           ;   in Loop: Header=BB313_1067 Depth=1
	v_bfe_u32 v6, v56, 24, 3
	v_ffbh_u32_e32 v22, v6
	v_bfe_u32 v16, v56, 27, 4
	v_min_u32_e32 v22, 32, v22
	v_subrev_u32_e32 v26, 28, v22
	v_sub_u32_e32 v22, 29, v22
	v_cmp_eq_u32_e64 s[2:3], 0, v16
	v_lshlrev_b64 v[26:27], v26, v[20:21]
	v_and_b32_e32 v26, 7, v26
	v_cndmask_b32_e64 v16, v16, v22, s[2:3]
	v_lshlrev_b32_e32 v20, 8, v20
	v_lshl_add_u32 v16, v16, 10, v62
	v_cndmask_b32_e64 v6, v6, v26, s[2:3]
	v_and_or_b32 v16, v20, s17, v16
	v_lshl_or_b32 v6, v6, 7, v16
	v_cvt_f32_f16_e32 v61, v6
.LBB313_1219:                           ;   in Loop: Header=BB313_1067 Depth=1
	s_or_b64 exec, exec, s[20:21]
	v_cmp_gt_i16_sdwa s[12:13], v57, s5 src0_sel:BYTE_0 src1_sel:DWORD
	s_mov_b64 s[2:3], 0
                                        ; implicit-def: $sgpr22
	s_and_saveexec_b64 s[20:21], s[12:13]
	s_xor_b64 s[12:13], exec, s[20:21]
	s_cbranch_execnz .LBB313_1755
; %bb.1220:                             ;   in Loop: Header=BB313_1067 Depth=1
	s_or_saveexec_b64 s[12:13], s[12:13]
	v_mov_b32_e32 v6, s22
	s_xor_b64 exec, exec, s[12:13]
	s_cbranch_execnz .LBB313_1758
.LBB313_1221:                           ;   in Loop: Header=BB313_1067 Depth=1
	s_or_b64 exec, exec, s[12:13]
	v_mov_b32_e32 v20, v57
	s_and_saveexec_b64 s[12:13], s[2:3]
	s_cbranch_execz .LBB313_1223
.LBB313_1222:                           ;   in Loop: Header=BB313_1067 Depth=1
	v_and_b32_e32 v6, 7, v57
	v_ffbh_u32_e32 v6, v6
	v_bfe_u32 v16, v57, 3, 4
	v_min_u32_e32 v6, 32, v6
	v_subrev_u32_e32 v22, 28, v6
	v_sub_u32_e32 v6, 29, v6
	v_cmp_eq_u32_e64 s[2:3], 0, v16
	s_nop 1
	v_cndmask_b32_e64 v6, v16, v6, s[2:3]
	v_cndmask_b32_e64 v16, 0, v22, s[2:3]
	v_lshlrev_b64 v[26:27], v16, v[20:21]
	v_lshlrev_b32_e32 v22, 8, v57
	v_lshl_add_u32 v6, v6, 10, v62
	v_lshlrev_b32_e32 v16, 7, v26
	v_and_or_b32 v6, v22, s17, v6
	v_and_or_b32 v6, v16, s24, v6
	v_cvt_f32_f16_e32 v6, v6
.LBB313_1223:                           ;   in Loop: Header=BB313_1067 Depth=1
	s_or_b64 exec, exec, s[12:13]
	v_lshrrev_b16_e32 v20, 8, v20
	v_cmp_lt_i16_e64 s[2:3], s5, v20
	s_mov_b64 s[12:13], 0
                                        ; implicit-def: $sgpr28
	s_and_saveexec_b64 s[20:21], s[2:3]
	s_xor_b64 s[20:21], exec, s[20:21]
	s_cbranch_execnz .LBB313_1759
; %bb.1224:                             ;   in Loop: Header=BB313_1067 Depth=1
	s_or_saveexec_b64 s[20:21], s[20:21]
	v_mov_b32_e32 v16, s28
	s_xor_b64 exec, exec, s[20:21]
	s_cbranch_execnz .LBB313_1762
.LBB313_1225:                           ;   in Loop: Header=BB313_1067 Depth=1
	s_or_b64 exec, exec, s[20:21]
	s_and_saveexec_b64 s[20:21], s[12:13]
	s_cbranch_execz .LBB313_1227
.LBB313_1226:                           ;   in Loop: Header=BB313_1067 Depth=1
	v_and_b32_e32 v16, 7, v20
	v_ffbh_u32_e32 v26, v16
	v_min_u32_e32 v28, 32, v26
	v_subrev_u32_e32 v26, 28, v28
	v_bfe_u32 v22, v20, 3, 4
	v_lshlrev_b64 v[26:27], v26, v[20:21]
	v_sub_u32_e32 v27, 29, v28
	v_cmp_eq_u32_e64 s[2:3], 0, v22
	v_and_b32_e32 v26, 7, v26
	v_lshlrev_b32_e32 v20, 8, v20
	v_cndmask_b32_e64 v22, v22, v27, s[2:3]
	v_lshl_add_u32 v22, v22, 10, v62
	v_cndmask_b32_e64 v16, v16, v26, s[2:3]
	v_and_or_b32 v20, v20, s17, v22
	v_lshl_or_b32 v16, v16, 7, v20
	v_cvt_f32_f16_e32 v16, v16
.LBB313_1227:                           ;   in Loop: Header=BB313_1067 Depth=1
	s_or_b64 exec, exec, s[20:21]
	v_lshrrev_b32_e32 v20, 16, v57
	v_cmp_gt_i16_sdwa s[12:13], v20, s5 src0_sel:BYTE_0 src1_sel:DWORD
	s_mov_b64 s[2:3], 0
                                        ; implicit-def: $sgpr22
	s_and_saveexec_b64 s[20:21], s[12:13]
	s_xor_b64 s[12:13], exec, s[20:21]
	s_cbranch_execnz .LBB313_1763
; %bb.1228:                             ;   in Loop: Header=BB313_1067 Depth=1
	s_or_saveexec_b64 s[12:13], s[12:13]
	v_mov_b32_e32 v22, s22
	s_xor_b64 exec, exec, s[12:13]
	s_cbranch_execnz .LBB313_1766
.LBB313_1229:                           ;   in Loop: Header=BB313_1067 Depth=1
	s_or_b64 exec, exec, s[12:13]
	s_and_saveexec_b64 s[12:13], s[2:3]
	s_cbranch_execz .LBB313_1231
.LBB313_1230:                           ;   in Loop: Header=BB313_1067 Depth=1
	v_bfe_u32 v22, v57, 16, 3
	v_ffbh_u32_e32 v26, v22
	v_min_u32_e32 v29, 32, v26
	v_subrev_u32_e32 v26, 28, v29
	v_bfe_u32 v28, v57, 19, 4
	v_lshlrev_b64 v[26:27], v26, v[20:21]
	v_sub_u32_e32 v27, 29, v29
	v_cmp_eq_u32_e64 s[2:3], 0, v28
	v_and_b32_e32 v26, 7, v26
	v_lshlrev_b32_e32 v20, 8, v20
	v_cndmask_b32_e64 v27, v28, v27, s[2:3]
	v_cndmask_b32_e64 v22, v22, v26, s[2:3]
	v_lshl_add_u32 v26, v27, 10, v62
	v_and_or_b32 v20, v20, s17, v26
	v_lshl_or_b32 v20, v22, 7, v20
	v_cvt_f32_f16_e32 v22, v20
.LBB313_1231:                           ;   in Loop: Header=BB313_1067 Depth=1
	s_or_b64 exec, exec, s[12:13]
	v_lshrrev_b32_e32 v20, 24, v57
	v_cmp_lt_i16_e64 s[2:3], s5, v20
	s_mov_b64 s[12:13], 0
                                        ; implicit-def: $sgpr28
	s_and_saveexec_b64 s[20:21], s[2:3]
	s_xor_b64 s[20:21], exec, s[20:21]
	s_cbranch_execnz .LBB313_1767
; %bb.1232:                             ;   in Loop: Header=BB313_1067 Depth=1
	s_or_saveexec_b64 s[20:21], s[20:21]
	v_mov_b32_e32 v27, s28
	s_xor_b64 exec, exec, s[20:21]
	s_cbranch_execnz .LBB313_1770
.LBB313_1233:                           ;   in Loop: Header=BB313_1067 Depth=1
	s_or_b64 exec, exec, s[20:21]
	s_and_saveexec_b64 s[20:21], s[12:13]
	s_cbranch_execz .LBB313_1235
.LBB313_1234:                           ;   in Loop: Header=BB313_1067 Depth=1
	v_bfe_u32 v28, v57, 24, 3
	v_ffbh_u32_e32 v26, v28
	v_min_u32_e32 v51, 32, v26
	v_subrev_u32_e32 v26, 28, v51
	v_bfe_u32 v29, v57, 27, 4
	v_lshlrev_b64 v[26:27], v26, v[20:21]
	v_sub_u32_e32 v27, 29, v51
	v_cmp_eq_u32_e64 s[2:3], 0, v29
	v_and_b32_e32 v26, 7, v26
	v_lshlrev_b32_e32 v20, 8, v20
	v_cndmask_b32_e64 v27, v29, v27, s[2:3]
	v_lshl_add_u32 v27, v27, 10, v62
	v_cndmask_b32_e64 v26, v28, v26, s[2:3]
	v_and_or_b32 v20, v20, s17, v27
	v_lshl_or_b32 v20, v26, 7, v20
	v_cvt_f32_f16_e32 v27, v20
.LBB313_1235:                           ;   in Loop: Header=BB313_1067 Depth=1
	s_or_b64 exec, exec, s[20:21]
	s_waitcnt vmcnt(0) lgkmcnt(0)
	v_pk_mul_f32 v[28:29], v[46:47], v[60:61] op_sel_hi:[0,1]
	v_pk_mul_f32 v[52:53], v[46:47], v[58:59] op_sel_hi:[0,1]
	v_cvt_f16_f32_e32 v20, v29
	v_cvt_f16_f32_e32 v26, v28
	;; [unrolled: 1-line block ×4, first 2 shown]
	v_fma_mixlo_f16 v16, v46, v16, 0
	v_lshlrev_b32_e32 v16, 16, v16
	v_fma_mixlo_f16 v6, v46, v6, 0
	v_or_b32_sdwa v6, v16, v6 dst_sel:DWORD dst_unused:UNUSED_PAD src0_sel:DWORD src1_sel:WORD_0
	v_fma_mixlo_f16 v16, v46, v27, 0
	v_pack_b32_f16 v26, v26, v20
	v_pack_b32_f16 v28, v29, v28
	v_fma_mixlo_f16 v22, v46, v22, 0
	v_lshlrev_b32_e32 v16, 16, v16
	v_perm_b32 v20, v28, v26, s25
	v_perm_b32 v26, v28, v26, s26
	v_or_b32_sdwa v16, v16, v22 dst_sel:DWORD dst_unused:UNUSED_PAD src0_sel:DWORD src1_sel:WORD_0
	s_and_saveexec_b64 s[12:13], vcc
	s_cbranch_execz .LBB313_1237
; %bb.1236:                             ;   in Loop: Header=BB313_1067 Depth=1
	scratch_load_dwordx2 v[28:29], off, s32 offset:196 ; 8-byte Folded Reload
	v_lshrrev_b32_e32 v27, 16, v26
	v_cmp_lt_i32_e64 s[2:3], v50, v17
	v_lshrrev_b32_e32 v16, 16, v16
	s_nop 0
	v_cndmask_b32_e64 v27, 0, v27, s[2:3]
	s_waitcnt vmcnt(0)
	v_cmp_lt_i32_e64 s[2:3], v7, v28
	s_nop 1
	v_cndmask_b32_e64 v26, 0, v26, s[2:3]
	v_perm_b32 v26, v27, v26, s27
	v_lshrrev_b32_e32 v27, 16, v20
	v_cmp_lt_i32_e64 s[2:3], v49, v17
	s_nop 1
	v_cndmask_b32_e64 v27, 0, v27, s[2:3]
	v_cmp_lt_i32_e64 s[2:3], v48, v28
	s_nop 1
	v_cndmask_b32_e64 v20, 0, v20, s[2:3]
	v_perm_b32 v20, v27, v20, s27
	v_lshrrev_b32_e32 v27, 16, v6
	v_cmp_lt_i32_e64 s[2:3], v11, v17
	s_nop 1
	v_cndmask_b32_e64 v27, 0, v27, s[2:3]
	v_cmp_lt_i32_e64 s[2:3], v10, v28
	s_nop 1
	v_cndmask_b32_e64 v6, 0, v6, s[2:3]
	v_cmp_lt_i32_e64 s[2:3], v4, v17
	v_perm_b32 v6, v27, v6, s27
	s_nop 0
	v_cndmask_b32_e64 v16, 0, v16, s[2:3]
	v_cmp_lt_i32_e64 s[2:3], v5, v28
	s_nop 1
	v_cndmask_b32_e64 v22, 0, v22, s[2:3]
	v_perm_b32 v16, v16, v22, s27
.LBB313_1237:                           ;   in Loop: Header=BB313_1067 Depth=1
	s_or_b64 exec, exec, s[12:13]
	;;#ASMSTART
	v_pk_mul_f16 v22, v36, v26;

	;;#ASMEND
	;;#ASMSTART
	v_pk_mul_f16 v20, v37, v20;

	;;#ASMEND
	;; [unrolled: 4-line block ×4, first 2 shown]
	s_mov_b64 s[2:3], 0
	;;#ASMSTART
	v_pk_add_f16 v20, v22, v20;

	;;#ASMEND
                                        ; implicit-def: $sgpr22
	s_nop 0
	;;#ASMSTART
	v_pk_add_f16 v6, v20, v6;

	;;#ASMEND
	s_nop 0
	;;#ASMSTART
	v_pk_add_f16 v6, v6, v16;

	;;#ASMEND
	s_nop 0
	v_lshrrev_b32_e32 v16, 16, v6
	v_and_b32_e32 v6, 0xffff, v6
	;;#ASMSTART
	v_cvt_f32_f16 v6, v6;
	;;#ASMEND
	s_nop 0
	v_accvgpr_write_b32 a42, v6
	;;#ASMSTART
	v_cvt_f32_f16 v6, v16;
	;;#ASMEND
	flat_load_dwordx2 v[56:57], v[44:45] offset:2560
	scratch_load_dwordx2 v[26:27], off, s32 offset:188 ; 8-byte Folded Reload
	v_accvgpr_write_b32 a43, v6
	s_waitcnt vmcnt(0) lgkmcnt(0)
	v_cmp_gt_i16_sdwa s[12:13], v56, s5 src0_sel:BYTE_0 src1_sel:DWORD
	flat_load_dword v46, v[26:27]
	s_and_saveexec_b64 s[20:21], s[12:13]
	s_xor_b64 s[12:13], exec, s[20:21]
	s_cbranch_execnz .LBB313_1771
; %bb.1238:                             ;   in Loop: Header=BB313_1067 Depth=1
	s_or_saveexec_b64 s[12:13], s[12:13]
	v_mov_b32_e32 v58, s22
	s_xor_b64 exec, exec, s[12:13]
	s_cbranch_execnz .LBB313_1774
.LBB313_1239:                           ;   in Loop: Header=BB313_1067 Depth=1
	s_or_b64 exec, exec, s[12:13]
	s_and_saveexec_b64 s[12:13], s[2:3]
	s_cbranch_execz .LBB313_1241
.LBB313_1240:                           ;   in Loop: Header=BB313_1067 Depth=1
	v_and_b32_e32 v6, 7, v56
	v_ffbh_u32_e32 v6, v6
	v_bfe_u32 v16, v56, 3, 4
	v_min_u32_e32 v6, 32, v6
	v_subrev_u32_e32 v20, 28, v6
	v_sub_u32_e32 v6, 29, v6
	v_cmp_eq_u32_e64 s[2:3], 0, v16
	s_nop 1
	v_cndmask_b32_e64 v6, v16, v6, s[2:3]
	v_cndmask_b32_e64 v16, 0, v20, s[2:3]
	v_lshlrev_b64 v[26:27], v16, v[56:57]
	v_lshlrev_b32_e32 v20, 8, v56
	v_lshl_add_u32 v6, v6, 10, v62
	v_lshlrev_b32_e32 v16, 7, v26
	v_and_or_b32 v6, v20, s17, v6
	v_and_or_b32 v6, v16, s24, v6
	v_cvt_f32_f16_e32 v58, v6
.LBB313_1241:                           ;   in Loop: Header=BB313_1067 Depth=1
	s_or_b64 exec, exec, s[12:13]
	v_lshrrev_b16_e32 v20, 8, v56
	v_cmp_lt_i16_e64 s[2:3], s5, v20
	s_mov_b64 s[12:13], 0
                                        ; implicit-def: $sgpr28
	s_and_saveexec_b64 s[20:21], s[2:3]
	s_xor_b64 s[20:21], exec, s[20:21]
	s_cbranch_execnz .LBB313_1775
; %bb.1242:                             ;   in Loop: Header=BB313_1067 Depth=1
	s_or_saveexec_b64 s[20:21], s[20:21]
	v_mov_b32_e32 v60, s28
	s_xor_b64 exec, exec, s[20:21]
	s_cbranch_execnz .LBB313_1778
.LBB313_1243:                           ;   in Loop: Header=BB313_1067 Depth=1
	s_or_b64 exec, exec, s[20:21]
	s_and_saveexec_b64 s[20:21], s[12:13]
	s_cbranch_execz .LBB313_1245
.LBB313_1244:                           ;   in Loop: Header=BB313_1067 Depth=1
	v_and_b32_e32 v6, 7, v20
	v_ffbh_u32_e32 v22, v6
	v_bfe_u32 v16, v20, 3, 4
	v_min_u32_e32 v22, 32, v22
	v_subrev_u32_e32 v26, 28, v22
	v_sub_u32_e32 v22, 29, v22
	v_cmp_eq_u32_e64 s[2:3], 0, v16
	v_lshlrev_b64 v[26:27], v26, v[20:21]
	v_and_b32_e32 v26, 7, v26
	v_cndmask_b32_e64 v16, v16, v22, s[2:3]
	v_lshlrev_b32_e32 v20, 8, v20
	v_lshl_add_u32 v16, v16, 10, v62
	v_cndmask_b32_e64 v6, v6, v26, s[2:3]
	v_and_or_b32 v16, v20, s17, v16
	v_lshl_or_b32 v6, v6, 7, v16
	v_cvt_f32_f16_e32 v60, v6
.LBB313_1245:                           ;   in Loop: Header=BB313_1067 Depth=1
	s_or_b64 exec, exec, s[20:21]
	v_lshrrev_b32_e32 v20, 16, v56
	v_cmp_gt_i16_sdwa s[12:13], v20, s5 src0_sel:BYTE_0 src1_sel:DWORD
	s_mov_b64 s[2:3], 0
                                        ; implicit-def: $sgpr22
	s_and_saveexec_b64 s[20:21], s[12:13]
	s_xor_b64 s[12:13], exec, s[20:21]
	s_cbranch_execnz .LBB313_1779
; %bb.1246:                             ;   in Loop: Header=BB313_1067 Depth=1
	s_or_saveexec_b64 s[12:13], s[12:13]
	v_mov_b32_e32 v59, s22
	s_xor_b64 exec, exec, s[12:13]
	s_cbranch_execnz .LBB313_1782
.LBB313_1247:                           ;   in Loop: Header=BB313_1067 Depth=1
	s_or_b64 exec, exec, s[12:13]
	s_and_saveexec_b64 s[12:13], s[2:3]
	s_cbranch_execz .LBB313_1249
.LBB313_1248:                           ;   in Loop: Header=BB313_1067 Depth=1
	v_bfe_u32 v6, v56, 16, 3
	v_ffbh_u32_e32 v22, v6
	v_bfe_u32 v16, v56, 19, 4
	v_min_u32_e32 v22, 32, v22
	v_subrev_u32_e32 v26, 28, v22
	v_sub_u32_e32 v22, 29, v22
	v_cmp_eq_u32_e64 s[2:3], 0, v16
	v_lshlrev_b64 v[26:27], v26, v[20:21]
	v_and_b32_e32 v26, 7, v26
	v_cndmask_b32_e64 v16, v16, v22, s[2:3]
	v_lshlrev_b32_e32 v20, 8, v20
	v_lshl_add_u32 v16, v16, 10, v62
	v_cndmask_b32_e64 v6, v6, v26, s[2:3]
	v_and_or_b32 v16, v20, s17, v16
	v_lshl_or_b32 v6, v6, 7, v16
	v_cvt_f32_f16_e32 v59, v6
.LBB313_1249:                           ;   in Loop: Header=BB313_1067 Depth=1
	s_or_b64 exec, exec, s[12:13]
	v_lshrrev_b32_e32 v20, 24, v56
	v_cmp_lt_i16_e64 s[2:3], s5, v20
	s_mov_b64 s[12:13], 0
                                        ; implicit-def: $sgpr28
	s_and_saveexec_b64 s[20:21], s[2:3]
	s_xor_b64 s[20:21], exec, s[20:21]
	s_cbranch_execnz .LBB313_1783
; %bb.1250:                             ;   in Loop: Header=BB313_1067 Depth=1
	s_or_saveexec_b64 s[20:21], s[20:21]
	v_mov_b32_e32 v61, s28
	s_xor_b64 exec, exec, s[20:21]
	s_cbranch_execnz .LBB313_1786
.LBB313_1251:                           ;   in Loop: Header=BB313_1067 Depth=1
	s_or_b64 exec, exec, s[20:21]
	s_and_saveexec_b64 s[20:21], s[12:13]
	s_cbranch_execz .LBB313_1253
.LBB313_1252:                           ;   in Loop: Header=BB313_1067 Depth=1
	v_bfe_u32 v6, v56, 24, 3
	v_ffbh_u32_e32 v22, v6
	v_bfe_u32 v16, v56, 27, 4
	v_min_u32_e32 v22, 32, v22
	v_subrev_u32_e32 v26, 28, v22
	v_sub_u32_e32 v22, 29, v22
	v_cmp_eq_u32_e64 s[2:3], 0, v16
	v_lshlrev_b64 v[26:27], v26, v[20:21]
	v_and_b32_e32 v26, 7, v26
	v_cndmask_b32_e64 v16, v16, v22, s[2:3]
	v_lshlrev_b32_e32 v20, 8, v20
	v_lshl_add_u32 v16, v16, 10, v62
	v_cndmask_b32_e64 v6, v6, v26, s[2:3]
	v_and_or_b32 v16, v20, s17, v16
	v_lshl_or_b32 v6, v6, 7, v16
	v_cvt_f32_f16_e32 v61, v6
.LBB313_1253:                           ;   in Loop: Header=BB313_1067 Depth=1
	s_or_b64 exec, exec, s[20:21]
	v_cmp_gt_i16_sdwa s[12:13], v57, s5 src0_sel:BYTE_0 src1_sel:DWORD
	s_mov_b64 s[2:3], 0
                                        ; implicit-def: $sgpr22
	s_and_saveexec_b64 s[20:21], s[12:13]
	s_xor_b64 s[12:13], exec, s[20:21]
	s_cbranch_execnz .LBB313_1787
; %bb.1254:                             ;   in Loop: Header=BB313_1067 Depth=1
	s_or_saveexec_b64 s[12:13], s[12:13]
	v_mov_b32_e32 v6, s22
	s_xor_b64 exec, exec, s[12:13]
	s_cbranch_execnz .LBB313_1790
.LBB313_1255:                           ;   in Loop: Header=BB313_1067 Depth=1
	s_or_b64 exec, exec, s[12:13]
	v_mov_b32_e32 v20, v57
	s_and_saveexec_b64 s[12:13], s[2:3]
	s_cbranch_execz .LBB313_1257
.LBB313_1256:                           ;   in Loop: Header=BB313_1067 Depth=1
	v_and_b32_e32 v6, 7, v57
	v_ffbh_u32_e32 v6, v6
	v_bfe_u32 v16, v57, 3, 4
	v_min_u32_e32 v6, 32, v6
	v_subrev_u32_e32 v22, 28, v6
	v_sub_u32_e32 v6, 29, v6
	v_cmp_eq_u32_e64 s[2:3], 0, v16
	s_nop 1
	v_cndmask_b32_e64 v6, v16, v6, s[2:3]
	v_cndmask_b32_e64 v16, 0, v22, s[2:3]
	v_lshlrev_b64 v[26:27], v16, v[20:21]
	v_lshlrev_b32_e32 v22, 8, v57
	v_lshl_add_u32 v6, v6, 10, v62
	v_lshlrev_b32_e32 v16, 7, v26
	v_and_or_b32 v6, v22, s17, v6
	v_and_or_b32 v6, v16, s24, v6
	v_cvt_f32_f16_e32 v6, v6
.LBB313_1257:                           ;   in Loop: Header=BB313_1067 Depth=1
	s_or_b64 exec, exec, s[12:13]
	v_lshrrev_b16_e32 v20, 8, v20
	v_cmp_lt_i16_e64 s[2:3], s5, v20
	s_mov_b64 s[12:13], 0
                                        ; implicit-def: $sgpr28
	s_and_saveexec_b64 s[20:21], s[2:3]
	s_xor_b64 s[20:21], exec, s[20:21]
	s_cbranch_execnz .LBB313_1791
; %bb.1258:                             ;   in Loop: Header=BB313_1067 Depth=1
	s_or_saveexec_b64 s[20:21], s[20:21]
	v_mov_b32_e32 v16, s28
	s_xor_b64 exec, exec, s[20:21]
	s_cbranch_execnz .LBB313_1794
.LBB313_1259:                           ;   in Loop: Header=BB313_1067 Depth=1
	s_or_b64 exec, exec, s[20:21]
	s_and_saveexec_b64 s[20:21], s[12:13]
	s_cbranch_execz .LBB313_1261
.LBB313_1260:                           ;   in Loop: Header=BB313_1067 Depth=1
	v_and_b32_e32 v16, 7, v20
	v_ffbh_u32_e32 v26, v16
	v_min_u32_e32 v28, 32, v26
	v_subrev_u32_e32 v26, 28, v28
	v_bfe_u32 v22, v20, 3, 4
	v_lshlrev_b64 v[26:27], v26, v[20:21]
	v_sub_u32_e32 v27, 29, v28
	v_cmp_eq_u32_e64 s[2:3], 0, v22
	v_and_b32_e32 v26, 7, v26
	v_lshlrev_b32_e32 v20, 8, v20
	v_cndmask_b32_e64 v22, v22, v27, s[2:3]
	v_lshl_add_u32 v22, v22, 10, v62
	v_cndmask_b32_e64 v16, v16, v26, s[2:3]
	v_and_or_b32 v20, v20, s17, v22
	v_lshl_or_b32 v16, v16, 7, v20
	v_cvt_f32_f16_e32 v16, v16
.LBB313_1261:                           ;   in Loop: Header=BB313_1067 Depth=1
	s_or_b64 exec, exec, s[20:21]
	v_lshrrev_b32_e32 v20, 16, v57
	v_cmp_gt_i16_sdwa s[12:13], v20, s5 src0_sel:BYTE_0 src1_sel:DWORD
	s_mov_b64 s[2:3], 0
                                        ; implicit-def: $sgpr22
	s_and_saveexec_b64 s[20:21], s[12:13]
	s_xor_b64 s[12:13], exec, s[20:21]
	s_cbranch_execnz .LBB313_1795
; %bb.1262:                             ;   in Loop: Header=BB313_1067 Depth=1
	s_or_saveexec_b64 s[12:13], s[12:13]
	v_mov_b32_e32 v22, s22
	s_xor_b64 exec, exec, s[12:13]
	s_cbranch_execnz .LBB313_1798
.LBB313_1263:                           ;   in Loop: Header=BB313_1067 Depth=1
	s_or_b64 exec, exec, s[12:13]
	s_and_saveexec_b64 s[12:13], s[2:3]
	s_cbranch_execz .LBB313_1265
.LBB313_1264:                           ;   in Loop: Header=BB313_1067 Depth=1
	v_bfe_u32 v22, v57, 16, 3
	v_ffbh_u32_e32 v26, v22
	v_min_u32_e32 v29, 32, v26
	v_subrev_u32_e32 v26, 28, v29
	v_bfe_u32 v28, v57, 19, 4
	v_lshlrev_b64 v[26:27], v26, v[20:21]
	v_sub_u32_e32 v27, 29, v29
	v_cmp_eq_u32_e64 s[2:3], 0, v28
	v_and_b32_e32 v26, 7, v26
	v_lshlrev_b32_e32 v20, 8, v20
	v_cndmask_b32_e64 v27, v28, v27, s[2:3]
	v_cndmask_b32_e64 v22, v22, v26, s[2:3]
	v_lshl_add_u32 v26, v27, 10, v62
	v_and_or_b32 v20, v20, s17, v26
	v_lshl_or_b32 v20, v22, 7, v20
	v_cvt_f32_f16_e32 v22, v20
.LBB313_1265:                           ;   in Loop: Header=BB313_1067 Depth=1
	s_or_b64 exec, exec, s[12:13]
	v_lshrrev_b32_e32 v20, 24, v57
	v_cmp_lt_i16_e64 s[2:3], s5, v20
	s_mov_b64 s[12:13], 0
                                        ; implicit-def: $sgpr28
	s_and_saveexec_b64 s[20:21], s[2:3]
	s_xor_b64 s[20:21], exec, s[20:21]
	s_cbranch_execnz .LBB313_1799
; %bb.1266:                             ;   in Loop: Header=BB313_1067 Depth=1
	s_or_saveexec_b64 s[20:21], s[20:21]
	v_mov_b32_e32 v27, s28
	s_xor_b64 exec, exec, s[20:21]
	s_cbranch_execnz .LBB313_1802
.LBB313_1267:                           ;   in Loop: Header=BB313_1067 Depth=1
	s_or_b64 exec, exec, s[20:21]
	s_and_saveexec_b64 s[20:21], s[12:13]
	s_cbranch_execz .LBB313_1269
.LBB313_1268:                           ;   in Loop: Header=BB313_1067 Depth=1
	v_bfe_u32 v28, v57, 24, 3
	v_ffbh_u32_e32 v26, v28
	v_min_u32_e32 v51, 32, v26
	v_subrev_u32_e32 v26, 28, v51
	v_bfe_u32 v29, v57, 27, 4
	v_lshlrev_b64 v[26:27], v26, v[20:21]
	v_sub_u32_e32 v27, 29, v51
	v_cmp_eq_u32_e64 s[2:3], 0, v29
	v_and_b32_e32 v26, 7, v26
	v_lshlrev_b32_e32 v20, 8, v20
	v_cndmask_b32_e64 v27, v29, v27, s[2:3]
	v_lshl_add_u32 v27, v27, 10, v62
	v_cndmask_b32_e64 v26, v28, v26, s[2:3]
	v_and_or_b32 v20, v20, s17, v27
	v_lshl_or_b32 v20, v26, 7, v20
	v_cvt_f32_f16_e32 v27, v20
.LBB313_1269:                           ;   in Loop: Header=BB313_1067 Depth=1
	s_or_b64 exec, exec, s[20:21]
	s_waitcnt vmcnt(0) lgkmcnt(0)
	v_pk_mul_f32 v[28:29], v[46:47], v[60:61] op_sel_hi:[0,1]
	v_pk_mul_f32 v[52:53], v[46:47], v[58:59] op_sel_hi:[0,1]
	v_cvt_f16_f32_e32 v20, v29
	v_cvt_f16_f32_e32 v26, v28
	;; [unrolled: 1-line block ×4, first 2 shown]
	v_fma_mixlo_f16 v16, v46, v16, 0
	v_lshlrev_b32_e32 v16, 16, v16
	v_fma_mixlo_f16 v6, v46, v6, 0
	v_or_b32_sdwa v6, v16, v6 dst_sel:DWORD dst_unused:UNUSED_PAD src0_sel:DWORD src1_sel:WORD_0
	v_fma_mixlo_f16 v16, v46, v27, 0
	v_pack_b32_f16 v26, v26, v20
	v_pack_b32_f16 v28, v29, v28
	v_fma_mixlo_f16 v22, v46, v22, 0
	v_lshlrev_b32_e32 v16, 16, v16
	v_perm_b32 v20, v28, v26, s25
	v_perm_b32 v26, v28, v26, s26
	v_or_b32_sdwa v16, v16, v22 dst_sel:DWORD dst_unused:UNUSED_PAD src0_sel:DWORD src1_sel:WORD_0
	s_and_saveexec_b64 s[12:13], vcc
	s_cbranch_execz .LBB313_1271
; %bb.1270:                             ;   in Loop: Header=BB313_1067 Depth=1
	scratch_load_dwordx2 v[28:29], off, s32 offset:196 ; 8-byte Folded Reload
	v_lshrrev_b32_e32 v27, 16, v26
	v_cmp_lt_i32_e64 s[2:3], v50, v17
	v_lshrrev_b32_e32 v16, 16, v16
	s_nop 0
	v_cndmask_b32_e64 v27, 0, v27, s[2:3]
	s_waitcnt vmcnt(0)
	v_cmp_lt_i32_e64 s[2:3], v7, v28
	s_nop 1
	v_cndmask_b32_e64 v26, 0, v26, s[2:3]
	v_perm_b32 v26, v27, v26, s27
	v_lshrrev_b32_e32 v27, 16, v20
	v_cmp_lt_i32_e64 s[2:3], v49, v17
	s_nop 1
	v_cndmask_b32_e64 v27, 0, v27, s[2:3]
	v_cmp_lt_i32_e64 s[2:3], v48, v28
	s_nop 1
	v_cndmask_b32_e64 v20, 0, v20, s[2:3]
	v_perm_b32 v20, v27, v20, s27
	v_lshrrev_b32_e32 v27, 16, v6
	v_cmp_lt_i32_e64 s[2:3], v11, v17
	s_nop 1
	v_cndmask_b32_e64 v27, 0, v27, s[2:3]
	v_cmp_lt_i32_e64 s[2:3], v10, v28
	s_nop 1
	v_cndmask_b32_e64 v6, 0, v6, s[2:3]
	v_cmp_lt_i32_e64 s[2:3], v4, v17
	v_perm_b32 v6, v27, v6, s27
	s_nop 0
	v_cndmask_b32_e64 v16, 0, v16, s[2:3]
	v_cmp_lt_i32_e64 s[2:3], v5, v28
	s_nop 1
	v_cndmask_b32_e64 v22, 0, v22, s[2:3]
	v_perm_b32 v16, v16, v22, s27
.LBB313_1271:                           ;   in Loop: Header=BB313_1067 Depth=1
	s_or_b64 exec, exec, s[12:13]
	;;#ASMSTART
	v_pk_mul_f16 v22, v36, v26;

	;;#ASMEND
	;;#ASMSTART
	v_pk_mul_f16 v20, v37, v20;

	;;#ASMEND
	;; [unrolled: 4-line block ×4, first 2 shown]
	s_mov_b64 s[2:3], 0
	;;#ASMSTART
	v_pk_add_f16 v20, v22, v20;

	;;#ASMEND
                                        ; implicit-def: $sgpr22
	s_nop 0
	;;#ASMSTART
	v_pk_add_f16 v6, v20, v6;

	;;#ASMEND
	s_nop 0
	;;#ASMSTART
	v_pk_add_f16 v6, v6, v16;

	;;#ASMEND
	s_nop 0
	v_lshrrev_b32_e32 v16, 16, v6
	v_and_b32_e32 v6, 0xffff, v6
	;;#ASMSTART
	v_cvt_f32_f16 v6, v6;
	;;#ASMEND
	s_nop 0
	v_accvgpr_write_b32 a44, v6
	;;#ASMSTART
	v_cvt_f32_f16 v6, v16;
	;;#ASMEND
	flat_load_dwordx2 v[56:57], v[44:45] offset:3072
	scratch_load_dwordx2 v[26:27], off, s32 offset:188 ; 8-byte Folded Reload
	v_accvgpr_write_b32 a45, v6
	s_waitcnt vmcnt(0) lgkmcnt(0)
	v_cmp_gt_i16_sdwa s[12:13], v56, s5 src0_sel:BYTE_0 src1_sel:DWORD
	flat_load_dword v46, v[26:27]
	s_and_saveexec_b64 s[20:21], s[12:13]
	s_xor_b64 s[12:13], exec, s[20:21]
	s_cbranch_execnz .LBB313_1803
; %bb.1272:                             ;   in Loop: Header=BB313_1067 Depth=1
	s_or_saveexec_b64 s[12:13], s[12:13]
	v_mov_b32_e32 v58, s22
	s_xor_b64 exec, exec, s[12:13]
	s_cbranch_execnz .LBB313_1806
.LBB313_1273:                           ;   in Loop: Header=BB313_1067 Depth=1
	s_or_b64 exec, exec, s[12:13]
	s_and_saveexec_b64 s[12:13], s[2:3]
	s_cbranch_execz .LBB313_1275
.LBB313_1274:                           ;   in Loop: Header=BB313_1067 Depth=1
	v_and_b32_e32 v6, 7, v56
	v_ffbh_u32_e32 v6, v6
	v_bfe_u32 v16, v56, 3, 4
	v_min_u32_e32 v6, 32, v6
	v_subrev_u32_e32 v20, 28, v6
	v_sub_u32_e32 v6, 29, v6
	v_cmp_eq_u32_e64 s[2:3], 0, v16
	s_nop 1
	v_cndmask_b32_e64 v6, v16, v6, s[2:3]
	v_cndmask_b32_e64 v16, 0, v20, s[2:3]
	v_lshlrev_b64 v[26:27], v16, v[56:57]
	v_lshlrev_b32_e32 v20, 8, v56
	v_lshl_add_u32 v6, v6, 10, v62
	v_lshlrev_b32_e32 v16, 7, v26
	v_and_or_b32 v6, v20, s17, v6
	v_and_or_b32 v6, v16, s24, v6
	v_cvt_f32_f16_e32 v58, v6
.LBB313_1275:                           ;   in Loop: Header=BB313_1067 Depth=1
	s_or_b64 exec, exec, s[12:13]
	v_lshrrev_b16_e32 v20, 8, v56
	v_cmp_lt_i16_e64 s[2:3], s5, v20
	s_mov_b64 s[12:13], 0
                                        ; implicit-def: $sgpr28
	s_and_saveexec_b64 s[20:21], s[2:3]
	s_xor_b64 s[20:21], exec, s[20:21]
	s_cbranch_execnz .LBB313_1807
; %bb.1276:                             ;   in Loop: Header=BB313_1067 Depth=1
	s_or_saveexec_b64 s[20:21], s[20:21]
	v_mov_b32_e32 v60, s28
	s_xor_b64 exec, exec, s[20:21]
	s_cbranch_execnz .LBB313_1810
.LBB313_1277:                           ;   in Loop: Header=BB313_1067 Depth=1
	s_or_b64 exec, exec, s[20:21]
	s_and_saveexec_b64 s[20:21], s[12:13]
	s_cbranch_execz .LBB313_1279
.LBB313_1278:                           ;   in Loop: Header=BB313_1067 Depth=1
	v_and_b32_e32 v6, 7, v20
	v_ffbh_u32_e32 v22, v6
	v_bfe_u32 v16, v20, 3, 4
	v_min_u32_e32 v22, 32, v22
	v_subrev_u32_e32 v26, 28, v22
	v_sub_u32_e32 v22, 29, v22
	v_cmp_eq_u32_e64 s[2:3], 0, v16
	v_lshlrev_b64 v[26:27], v26, v[20:21]
	v_and_b32_e32 v26, 7, v26
	v_cndmask_b32_e64 v16, v16, v22, s[2:3]
	v_lshlrev_b32_e32 v20, 8, v20
	v_lshl_add_u32 v16, v16, 10, v62
	v_cndmask_b32_e64 v6, v6, v26, s[2:3]
	v_and_or_b32 v16, v20, s17, v16
	v_lshl_or_b32 v6, v6, 7, v16
	v_cvt_f32_f16_e32 v60, v6
.LBB313_1279:                           ;   in Loop: Header=BB313_1067 Depth=1
	s_or_b64 exec, exec, s[20:21]
	v_lshrrev_b32_e32 v20, 16, v56
	v_cmp_gt_i16_sdwa s[12:13], v20, s5 src0_sel:BYTE_0 src1_sel:DWORD
	s_mov_b64 s[2:3], 0
                                        ; implicit-def: $sgpr22
	s_and_saveexec_b64 s[20:21], s[12:13]
	s_xor_b64 s[12:13], exec, s[20:21]
	s_cbranch_execnz .LBB313_1811
; %bb.1280:                             ;   in Loop: Header=BB313_1067 Depth=1
	s_or_saveexec_b64 s[12:13], s[12:13]
	v_mov_b32_e32 v59, s22
	s_xor_b64 exec, exec, s[12:13]
	s_cbranch_execnz .LBB313_1814
.LBB313_1281:                           ;   in Loop: Header=BB313_1067 Depth=1
	s_or_b64 exec, exec, s[12:13]
	s_and_saveexec_b64 s[12:13], s[2:3]
	s_cbranch_execz .LBB313_1283
.LBB313_1282:                           ;   in Loop: Header=BB313_1067 Depth=1
	v_bfe_u32 v6, v56, 16, 3
	v_ffbh_u32_e32 v22, v6
	v_bfe_u32 v16, v56, 19, 4
	v_min_u32_e32 v22, 32, v22
	v_subrev_u32_e32 v26, 28, v22
	v_sub_u32_e32 v22, 29, v22
	v_cmp_eq_u32_e64 s[2:3], 0, v16
	v_lshlrev_b64 v[26:27], v26, v[20:21]
	v_and_b32_e32 v26, 7, v26
	v_cndmask_b32_e64 v16, v16, v22, s[2:3]
	v_lshlrev_b32_e32 v20, 8, v20
	v_lshl_add_u32 v16, v16, 10, v62
	v_cndmask_b32_e64 v6, v6, v26, s[2:3]
	v_and_or_b32 v16, v20, s17, v16
	v_lshl_or_b32 v6, v6, 7, v16
	v_cvt_f32_f16_e32 v59, v6
.LBB313_1283:                           ;   in Loop: Header=BB313_1067 Depth=1
	s_or_b64 exec, exec, s[12:13]
	v_lshrrev_b32_e32 v20, 24, v56
	v_cmp_lt_i16_e64 s[2:3], s5, v20
	s_mov_b64 s[12:13], 0
                                        ; implicit-def: $sgpr28
	s_and_saveexec_b64 s[20:21], s[2:3]
	s_xor_b64 s[20:21], exec, s[20:21]
	s_cbranch_execnz .LBB313_1815
; %bb.1284:                             ;   in Loop: Header=BB313_1067 Depth=1
	s_or_saveexec_b64 s[20:21], s[20:21]
	v_mov_b32_e32 v61, s28
	s_xor_b64 exec, exec, s[20:21]
	s_cbranch_execnz .LBB313_1818
.LBB313_1285:                           ;   in Loop: Header=BB313_1067 Depth=1
	s_or_b64 exec, exec, s[20:21]
	s_and_saveexec_b64 s[20:21], s[12:13]
	s_cbranch_execz .LBB313_1287
.LBB313_1286:                           ;   in Loop: Header=BB313_1067 Depth=1
	v_bfe_u32 v6, v56, 24, 3
	v_ffbh_u32_e32 v22, v6
	v_bfe_u32 v16, v56, 27, 4
	v_min_u32_e32 v22, 32, v22
	v_subrev_u32_e32 v26, 28, v22
	v_sub_u32_e32 v22, 29, v22
	v_cmp_eq_u32_e64 s[2:3], 0, v16
	v_lshlrev_b64 v[26:27], v26, v[20:21]
	v_and_b32_e32 v26, 7, v26
	v_cndmask_b32_e64 v16, v16, v22, s[2:3]
	v_lshlrev_b32_e32 v20, 8, v20
	v_lshl_add_u32 v16, v16, 10, v62
	v_cndmask_b32_e64 v6, v6, v26, s[2:3]
	v_and_or_b32 v16, v20, s17, v16
	v_lshl_or_b32 v6, v6, 7, v16
	v_cvt_f32_f16_e32 v61, v6
.LBB313_1287:                           ;   in Loop: Header=BB313_1067 Depth=1
	s_or_b64 exec, exec, s[20:21]
	v_cmp_gt_i16_sdwa s[12:13], v57, s5 src0_sel:BYTE_0 src1_sel:DWORD
	s_mov_b64 s[2:3], 0
                                        ; implicit-def: $sgpr22
	s_and_saveexec_b64 s[20:21], s[12:13]
	s_xor_b64 s[12:13], exec, s[20:21]
	s_cbranch_execnz .LBB313_1819
; %bb.1288:                             ;   in Loop: Header=BB313_1067 Depth=1
	s_or_saveexec_b64 s[12:13], s[12:13]
	v_mov_b32_e32 v6, s22
	s_xor_b64 exec, exec, s[12:13]
	s_cbranch_execnz .LBB313_1822
.LBB313_1289:                           ;   in Loop: Header=BB313_1067 Depth=1
	s_or_b64 exec, exec, s[12:13]
	v_mov_b32_e32 v20, v57
	s_and_saveexec_b64 s[12:13], s[2:3]
	s_cbranch_execz .LBB313_1291
.LBB313_1290:                           ;   in Loop: Header=BB313_1067 Depth=1
	v_and_b32_e32 v6, 7, v57
	v_ffbh_u32_e32 v6, v6
	v_bfe_u32 v16, v57, 3, 4
	v_min_u32_e32 v6, 32, v6
	v_subrev_u32_e32 v22, 28, v6
	v_sub_u32_e32 v6, 29, v6
	v_cmp_eq_u32_e64 s[2:3], 0, v16
	s_nop 1
	v_cndmask_b32_e64 v6, v16, v6, s[2:3]
	v_cndmask_b32_e64 v16, 0, v22, s[2:3]
	v_lshlrev_b64 v[26:27], v16, v[20:21]
	v_lshlrev_b32_e32 v22, 8, v57
	v_lshl_add_u32 v6, v6, 10, v62
	v_lshlrev_b32_e32 v16, 7, v26
	v_and_or_b32 v6, v22, s17, v6
	v_and_or_b32 v6, v16, s24, v6
	v_cvt_f32_f16_e32 v6, v6
.LBB313_1291:                           ;   in Loop: Header=BB313_1067 Depth=1
	s_or_b64 exec, exec, s[12:13]
	v_lshrrev_b16_e32 v20, 8, v20
	v_cmp_lt_i16_e64 s[2:3], s5, v20
	s_mov_b64 s[12:13], 0
                                        ; implicit-def: $sgpr28
	s_and_saveexec_b64 s[20:21], s[2:3]
	s_xor_b64 s[20:21], exec, s[20:21]
	s_cbranch_execnz .LBB313_1823
; %bb.1292:                             ;   in Loop: Header=BB313_1067 Depth=1
	s_or_saveexec_b64 s[20:21], s[20:21]
	v_mov_b32_e32 v16, s28
	s_xor_b64 exec, exec, s[20:21]
	s_cbranch_execnz .LBB313_1826
.LBB313_1293:                           ;   in Loop: Header=BB313_1067 Depth=1
	s_or_b64 exec, exec, s[20:21]
	s_and_saveexec_b64 s[20:21], s[12:13]
	s_cbranch_execz .LBB313_1295
.LBB313_1294:                           ;   in Loop: Header=BB313_1067 Depth=1
	v_and_b32_e32 v16, 7, v20
	v_ffbh_u32_e32 v26, v16
	v_min_u32_e32 v28, 32, v26
	v_subrev_u32_e32 v26, 28, v28
	v_bfe_u32 v22, v20, 3, 4
	v_lshlrev_b64 v[26:27], v26, v[20:21]
	v_sub_u32_e32 v27, 29, v28
	v_cmp_eq_u32_e64 s[2:3], 0, v22
	v_and_b32_e32 v26, 7, v26
	v_lshlrev_b32_e32 v20, 8, v20
	v_cndmask_b32_e64 v22, v22, v27, s[2:3]
	v_lshl_add_u32 v22, v22, 10, v62
	v_cndmask_b32_e64 v16, v16, v26, s[2:3]
	v_and_or_b32 v20, v20, s17, v22
	v_lshl_or_b32 v16, v16, 7, v20
	v_cvt_f32_f16_e32 v16, v16
.LBB313_1295:                           ;   in Loop: Header=BB313_1067 Depth=1
	s_or_b64 exec, exec, s[20:21]
	v_lshrrev_b32_e32 v20, 16, v57
	v_cmp_gt_i16_sdwa s[12:13], v20, s5 src0_sel:BYTE_0 src1_sel:DWORD
	s_mov_b64 s[2:3], 0
                                        ; implicit-def: $sgpr22
	s_and_saveexec_b64 s[20:21], s[12:13]
	s_xor_b64 s[12:13], exec, s[20:21]
	s_cbranch_execnz .LBB313_1827
; %bb.1296:                             ;   in Loop: Header=BB313_1067 Depth=1
	s_or_saveexec_b64 s[12:13], s[12:13]
	v_mov_b32_e32 v22, s22
	s_xor_b64 exec, exec, s[12:13]
	s_cbranch_execnz .LBB313_1830
.LBB313_1297:                           ;   in Loop: Header=BB313_1067 Depth=1
	s_or_b64 exec, exec, s[12:13]
	s_and_saveexec_b64 s[12:13], s[2:3]
	s_cbranch_execz .LBB313_1299
.LBB313_1298:                           ;   in Loop: Header=BB313_1067 Depth=1
	v_bfe_u32 v22, v57, 16, 3
	v_ffbh_u32_e32 v26, v22
	v_min_u32_e32 v29, 32, v26
	v_subrev_u32_e32 v26, 28, v29
	v_bfe_u32 v28, v57, 19, 4
	v_lshlrev_b64 v[26:27], v26, v[20:21]
	v_sub_u32_e32 v27, 29, v29
	v_cmp_eq_u32_e64 s[2:3], 0, v28
	v_and_b32_e32 v26, 7, v26
	v_lshlrev_b32_e32 v20, 8, v20
	v_cndmask_b32_e64 v27, v28, v27, s[2:3]
	v_cndmask_b32_e64 v22, v22, v26, s[2:3]
	v_lshl_add_u32 v26, v27, 10, v62
	v_and_or_b32 v20, v20, s17, v26
	v_lshl_or_b32 v20, v22, 7, v20
	v_cvt_f32_f16_e32 v22, v20
.LBB313_1299:                           ;   in Loop: Header=BB313_1067 Depth=1
	s_or_b64 exec, exec, s[12:13]
	v_lshrrev_b32_e32 v20, 24, v57
	v_cmp_lt_i16_e64 s[2:3], s5, v20
	s_mov_b64 s[12:13], 0
                                        ; implicit-def: $sgpr28
	s_and_saveexec_b64 s[20:21], s[2:3]
	s_xor_b64 s[20:21], exec, s[20:21]
	s_cbranch_execnz .LBB313_1831
; %bb.1300:                             ;   in Loop: Header=BB313_1067 Depth=1
	s_or_saveexec_b64 s[20:21], s[20:21]
	v_mov_b32_e32 v27, s28
	s_xor_b64 exec, exec, s[20:21]
	s_cbranch_execnz .LBB313_1834
.LBB313_1301:                           ;   in Loop: Header=BB313_1067 Depth=1
	s_or_b64 exec, exec, s[20:21]
	s_and_saveexec_b64 s[20:21], s[12:13]
	s_cbranch_execz .LBB313_1303
.LBB313_1302:                           ;   in Loop: Header=BB313_1067 Depth=1
	v_bfe_u32 v28, v57, 24, 3
	v_ffbh_u32_e32 v26, v28
	v_min_u32_e32 v51, 32, v26
	v_subrev_u32_e32 v26, 28, v51
	v_bfe_u32 v29, v57, 27, 4
	v_lshlrev_b64 v[26:27], v26, v[20:21]
	v_sub_u32_e32 v27, 29, v51
	v_cmp_eq_u32_e64 s[2:3], 0, v29
	v_and_b32_e32 v26, 7, v26
	v_lshlrev_b32_e32 v20, 8, v20
	v_cndmask_b32_e64 v27, v29, v27, s[2:3]
	v_lshl_add_u32 v27, v27, 10, v62
	v_cndmask_b32_e64 v26, v28, v26, s[2:3]
	v_and_or_b32 v20, v20, s17, v27
	v_lshl_or_b32 v20, v26, 7, v20
	v_cvt_f32_f16_e32 v27, v20
.LBB313_1303:                           ;   in Loop: Header=BB313_1067 Depth=1
	s_or_b64 exec, exec, s[20:21]
	s_waitcnt vmcnt(0) lgkmcnt(0)
	v_pk_mul_f32 v[28:29], v[46:47], v[60:61] op_sel_hi:[0,1]
	v_pk_mul_f32 v[52:53], v[46:47], v[58:59] op_sel_hi:[0,1]
	v_cvt_f16_f32_e32 v20, v29
	v_cvt_f16_f32_e32 v26, v28
	;; [unrolled: 1-line block ×4, first 2 shown]
	v_fma_mixlo_f16 v16, v46, v16, 0
	v_lshlrev_b32_e32 v16, 16, v16
	v_fma_mixlo_f16 v6, v46, v6, 0
	v_or_b32_sdwa v6, v16, v6 dst_sel:DWORD dst_unused:UNUSED_PAD src0_sel:DWORD src1_sel:WORD_0
	v_fma_mixlo_f16 v16, v46, v27, 0
	v_pack_b32_f16 v26, v26, v20
	v_pack_b32_f16 v28, v29, v28
	v_fma_mixlo_f16 v22, v46, v22, 0
	v_lshlrev_b32_e32 v16, 16, v16
	v_perm_b32 v20, v28, v26, s25
	v_perm_b32 v26, v28, v26, s26
	v_or_b32_sdwa v16, v16, v22 dst_sel:DWORD dst_unused:UNUSED_PAD src0_sel:DWORD src1_sel:WORD_0
	s_and_saveexec_b64 s[12:13], vcc
	s_cbranch_execz .LBB313_1305
; %bb.1304:                             ;   in Loop: Header=BB313_1067 Depth=1
	scratch_load_dwordx2 v[28:29], off, s32 offset:196 ; 8-byte Folded Reload
	v_lshrrev_b32_e32 v27, 16, v26
	v_cmp_lt_i32_e64 s[2:3], v50, v17
	v_lshrrev_b32_e32 v16, 16, v16
	s_nop 0
	v_cndmask_b32_e64 v27, 0, v27, s[2:3]
	s_waitcnt vmcnt(0)
	v_cmp_lt_i32_e64 s[2:3], v7, v28
	s_nop 1
	v_cndmask_b32_e64 v26, 0, v26, s[2:3]
	v_perm_b32 v26, v27, v26, s27
	v_lshrrev_b32_e32 v27, 16, v20
	v_cmp_lt_i32_e64 s[2:3], v49, v17
	s_nop 1
	v_cndmask_b32_e64 v27, 0, v27, s[2:3]
	v_cmp_lt_i32_e64 s[2:3], v48, v28
	s_nop 1
	v_cndmask_b32_e64 v20, 0, v20, s[2:3]
	v_perm_b32 v20, v27, v20, s27
	v_lshrrev_b32_e32 v27, 16, v6
	v_cmp_lt_i32_e64 s[2:3], v11, v17
	s_nop 1
	v_cndmask_b32_e64 v27, 0, v27, s[2:3]
	v_cmp_lt_i32_e64 s[2:3], v10, v28
	s_nop 1
	v_cndmask_b32_e64 v6, 0, v6, s[2:3]
	v_cmp_lt_i32_e64 s[2:3], v4, v17
	v_perm_b32 v6, v27, v6, s27
	s_nop 0
	v_cndmask_b32_e64 v16, 0, v16, s[2:3]
	v_cmp_lt_i32_e64 s[2:3], v5, v28
	s_nop 1
	v_cndmask_b32_e64 v22, 0, v22, s[2:3]
	v_perm_b32 v16, v16, v22, s27
.LBB313_1305:                           ;   in Loop: Header=BB313_1067 Depth=1
	s_or_b64 exec, exec, s[12:13]
	;;#ASMSTART
	v_pk_mul_f16 v22, v36, v26;

	;;#ASMEND
	;;#ASMSTART
	v_pk_mul_f16 v20, v37, v20;

	;;#ASMEND
	;; [unrolled: 4-line block ×4, first 2 shown]
	s_mov_b64 s[2:3], 0
	;;#ASMSTART
	v_pk_add_f16 v20, v22, v20;

	;;#ASMEND
                                        ; implicit-def: $sgpr22
	s_nop 0
	;;#ASMSTART
	v_pk_add_f16 v6, v20, v6;

	;;#ASMEND
	s_nop 0
	;;#ASMSTART
	v_pk_add_f16 v6, v6, v16;

	;;#ASMEND
	s_nop 0
	v_lshrrev_b32_e32 v16, 16, v6
	v_and_b32_e32 v6, 0xffff, v6
	;;#ASMSTART
	v_cvt_f32_f16 v6, v6;
	;;#ASMEND
	s_nop 0
	v_accvgpr_write_b32 a46, v6
	;;#ASMSTART
	v_cvt_f32_f16 v6, v16;
	;;#ASMEND
	flat_load_dwordx2 v[46:47], v[44:45] offset:3584
	scratch_load_dwordx2 v[26:27], off, s32 offset:188 ; 8-byte Folded Reload
	v_accvgpr_write_b32 a47, v6
	s_waitcnt vmcnt(0) lgkmcnt(0)
	v_cmp_gt_i16_sdwa s[12:13], v46, s5 src0_sel:BYTE_0 src1_sel:DWORD
	flat_load_dword v44, v[26:27]
	s_and_saveexec_b64 s[20:21], s[12:13]
	s_xor_b64 s[12:13], exec, s[20:21]
	s_cbranch_execnz .LBB313_1835
; %bb.1306:                             ;   in Loop: Header=BB313_1067 Depth=1
	s_or_saveexec_b64 s[12:13], s[12:13]
	v_mov_b32_e32 v56, s22
	s_xor_b64 exec, exec, s[12:13]
	s_cbranch_execnz .LBB313_1838
.LBB313_1307:                           ;   in Loop: Header=BB313_1067 Depth=1
	s_or_b64 exec, exec, s[12:13]
	s_and_saveexec_b64 s[12:13], s[2:3]
	s_cbranch_execz .LBB313_1309
.LBB313_1308:                           ;   in Loop: Header=BB313_1067 Depth=1
	v_and_b32_e32 v6, 7, v46
	v_ffbh_u32_e32 v6, v6
	v_bfe_u32 v16, v46, 3, 4
	v_min_u32_e32 v6, 32, v6
	v_subrev_u32_e32 v20, 28, v6
	v_sub_u32_e32 v6, 29, v6
	v_cmp_eq_u32_e64 s[2:3], 0, v16
	s_nop 1
	v_cndmask_b32_e64 v6, v16, v6, s[2:3]
	v_cndmask_b32_e64 v16, 0, v20, s[2:3]
	v_lshlrev_b64 v[26:27], v16, v[46:47]
	v_lshlrev_b32_e32 v20, 8, v46
	v_lshl_add_u32 v6, v6, 10, v62
	v_lshlrev_b32_e32 v16, 7, v26
	v_and_or_b32 v6, v20, s17, v6
	v_and_or_b32 v6, v16, s24, v6
	v_cvt_f32_f16_e32 v56, v6
.LBB313_1309:                           ;   in Loop: Header=BB313_1067 Depth=1
	s_or_b64 exec, exec, s[12:13]
	v_lshrrev_b16_e32 v20, 8, v46
	v_cmp_lt_i16_e64 s[2:3], s5, v20
	s_mov_b64 s[12:13], 0
                                        ; implicit-def: $sgpr28
	s_and_saveexec_b64 s[20:21], s[2:3]
	s_xor_b64 s[20:21], exec, s[20:21]
	s_cbranch_execnz .LBB313_1839
; %bb.1310:                             ;   in Loop: Header=BB313_1067 Depth=1
	s_or_saveexec_b64 s[20:21], s[20:21]
	v_mov_b32_e32 v58, s28
	s_xor_b64 exec, exec, s[20:21]
	s_cbranch_execnz .LBB313_1842
.LBB313_1311:                           ;   in Loop: Header=BB313_1067 Depth=1
	s_or_b64 exec, exec, s[20:21]
	s_and_saveexec_b64 s[20:21], s[12:13]
	s_cbranch_execz .LBB313_1313
.LBB313_1312:                           ;   in Loop: Header=BB313_1067 Depth=1
	v_and_b32_e32 v6, 7, v20
	v_ffbh_u32_e32 v22, v6
	v_bfe_u32 v16, v20, 3, 4
	v_min_u32_e32 v22, 32, v22
	v_subrev_u32_e32 v26, 28, v22
	v_sub_u32_e32 v22, 29, v22
	v_cmp_eq_u32_e64 s[2:3], 0, v16
	v_lshlrev_b64 v[26:27], v26, v[20:21]
	v_and_b32_e32 v26, 7, v26
	v_cndmask_b32_e64 v16, v16, v22, s[2:3]
	v_lshlrev_b32_e32 v20, 8, v20
	v_lshl_add_u32 v16, v16, 10, v62
	v_cndmask_b32_e64 v6, v6, v26, s[2:3]
	v_and_or_b32 v16, v20, s17, v16
	v_lshl_or_b32 v6, v6, 7, v16
	v_cvt_f32_f16_e32 v58, v6
.LBB313_1313:                           ;   in Loop: Header=BB313_1067 Depth=1
	s_or_b64 exec, exec, s[20:21]
	v_lshrrev_b32_e32 v20, 16, v46
	v_cmp_gt_i16_sdwa s[12:13], v20, s5 src0_sel:BYTE_0 src1_sel:DWORD
	s_mov_b64 s[2:3], 0
                                        ; implicit-def: $sgpr22
	s_and_saveexec_b64 s[20:21], s[12:13]
	s_xor_b64 s[12:13], exec, s[20:21]
	s_cbranch_execnz .LBB313_1843
; %bb.1314:                             ;   in Loop: Header=BB313_1067 Depth=1
	s_or_saveexec_b64 s[12:13], s[12:13]
	v_mov_b32_e32 v57, s22
	s_xor_b64 exec, exec, s[12:13]
	s_cbranch_execnz .LBB313_1846
.LBB313_1315:                           ;   in Loop: Header=BB313_1067 Depth=1
	s_or_b64 exec, exec, s[12:13]
	s_and_saveexec_b64 s[12:13], s[2:3]
	s_cbranch_execz .LBB313_1317
.LBB313_1316:                           ;   in Loop: Header=BB313_1067 Depth=1
	v_bfe_u32 v6, v46, 16, 3
	v_ffbh_u32_e32 v22, v6
	v_bfe_u32 v16, v46, 19, 4
	v_min_u32_e32 v22, 32, v22
	v_subrev_u32_e32 v26, 28, v22
	v_sub_u32_e32 v22, 29, v22
	v_cmp_eq_u32_e64 s[2:3], 0, v16
	v_lshlrev_b64 v[26:27], v26, v[20:21]
	v_and_b32_e32 v26, 7, v26
	v_cndmask_b32_e64 v16, v16, v22, s[2:3]
	v_lshlrev_b32_e32 v20, 8, v20
	v_lshl_add_u32 v16, v16, 10, v62
	v_cndmask_b32_e64 v6, v6, v26, s[2:3]
	v_and_or_b32 v16, v20, s17, v16
	v_lshl_or_b32 v6, v6, 7, v16
	v_cvt_f32_f16_e32 v57, v6
.LBB313_1317:                           ;   in Loop: Header=BB313_1067 Depth=1
	s_or_b64 exec, exec, s[12:13]
	v_lshrrev_b32_e32 v20, 24, v46
	v_cmp_lt_i16_e64 s[2:3], s5, v20
	s_mov_b64 s[12:13], 0
                                        ; implicit-def: $sgpr28
	s_and_saveexec_b64 s[20:21], s[2:3]
	s_xor_b64 s[20:21], exec, s[20:21]
	s_cbranch_execnz .LBB313_1847
; %bb.1318:                             ;   in Loop: Header=BB313_1067 Depth=1
	s_or_saveexec_b64 s[20:21], s[20:21]
	v_mov_b32_e32 v59, s28
	s_xor_b64 exec, exec, s[20:21]
	s_cbranch_execnz .LBB313_1850
.LBB313_1319:                           ;   in Loop: Header=BB313_1067 Depth=1
	s_or_b64 exec, exec, s[20:21]
	s_and_saveexec_b64 s[20:21], s[12:13]
	s_cbranch_execz .LBB313_1321
.LBB313_1320:                           ;   in Loop: Header=BB313_1067 Depth=1
	v_bfe_u32 v6, v46, 24, 3
	v_ffbh_u32_e32 v22, v6
	v_bfe_u32 v16, v46, 27, 4
	v_min_u32_e32 v22, 32, v22
	v_subrev_u32_e32 v26, 28, v22
	v_sub_u32_e32 v22, 29, v22
	v_cmp_eq_u32_e64 s[2:3], 0, v16
	v_lshlrev_b64 v[26:27], v26, v[20:21]
	v_and_b32_e32 v26, 7, v26
	v_cndmask_b32_e64 v16, v16, v22, s[2:3]
	v_lshlrev_b32_e32 v20, 8, v20
	v_lshl_add_u32 v16, v16, 10, v62
	v_cndmask_b32_e64 v6, v6, v26, s[2:3]
	v_and_or_b32 v16, v20, s17, v16
	v_lshl_or_b32 v6, v6, 7, v16
	v_cvt_f32_f16_e32 v59, v6
.LBB313_1321:                           ;   in Loop: Header=BB313_1067 Depth=1
	s_or_b64 exec, exec, s[20:21]
	v_cmp_gt_i16_sdwa s[12:13], v47, s5 src0_sel:BYTE_0 src1_sel:DWORD
	s_mov_b64 s[2:3], 0
                                        ; implicit-def: $sgpr22
	s_and_saveexec_b64 s[20:21], s[12:13]
	s_xor_b64 s[12:13], exec, s[20:21]
	s_cbranch_execnz .LBB313_1851
; %bb.1322:                             ;   in Loop: Header=BB313_1067 Depth=1
	s_or_saveexec_b64 s[12:13], s[12:13]
	v_mov_b32_e32 v6, s22
	s_xor_b64 exec, exec, s[12:13]
	s_cbranch_execnz .LBB313_1854
.LBB313_1323:                           ;   in Loop: Header=BB313_1067 Depth=1
	s_or_b64 exec, exec, s[12:13]
	v_mov_b32_e32 v20, v47
	s_and_saveexec_b64 s[12:13], s[2:3]
	s_cbranch_execz .LBB313_1325
.LBB313_1324:                           ;   in Loop: Header=BB313_1067 Depth=1
	v_and_b32_e32 v6, 7, v47
	v_ffbh_u32_e32 v6, v6
	v_bfe_u32 v16, v47, 3, 4
	v_min_u32_e32 v6, 32, v6
	v_subrev_u32_e32 v22, 28, v6
	v_sub_u32_e32 v6, 29, v6
	v_cmp_eq_u32_e64 s[2:3], 0, v16
	s_nop 1
	v_cndmask_b32_e64 v6, v16, v6, s[2:3]
	v_cndmask_b32_e64 v16, 0, v22, s[2:3]
	v_lshlrev_b64 v[26:27], v16, v[20:21]
	v_lshlrev_b32_e32 v22, 8, v47
	v_lshl_add_u32 v6, v6, 10, v62
	v_lshlrev_b32_e32 v16, 7, v26
	v_and_or_b32 v6, v22, s17, v6
	v_and_or_b32 v6, v16, s24, v6
	v_cvt_f32_f16_e32 v6, v6
.LBB313_1325:                           ;   in Loop: Header=BB313_1067 Depth=1
	s_or_b64 exec, exec, s[12:13]
	v_lshrrev_b16_e32 v20, 8, v20
	v_cmp_lt_i16_e64 s[2:3], s5, v20
	s_mov_b64 s[12:13], 0
                                        ; implicit-def: $sgpr28
	s_and_saveexec_b64 s[20:21], s[2:3]
	s_xor_b64 s[20:21], exec, s[20:21]
	s_cbranch_execnz .LBB313_1855
; %bb.1326:                             ;   in Loop: Header=BB313_1067 Depth=1
	s_or_saveexec_b64 s[20:21], s[20:21]
	v_mov_b32_e32 v16, s28
	s_xor_b64 exec, exec, s[20:21]
	s_cbranch_execnz .LBB313_1858
.LBB313_1327:                           ;   in Loop: Header=BB313_1067 Depth=1
	s_or_b64 exec, exec, s[20:21]
	s_and_saveexec_b64 s[20:21], s[12:13]
	s_cbranch_execz .LBB313_1329
.LBB313_1328:                           ;   in Loop: Header=BB313_1067 Depth=1
	v_and_b32_e32 v16, 7, v20
	v_ffbh_u32_e32 v26, v16
	v_min_u32_e32 v28, 32, v26
	v_subrev_u32_e32 v26, 28, v28
	v_bfe_u32 v22, v20, 3, 4
	v_lshlrev_b64 v[26:27], v26, v[20:21]
	v_sub_u32_e32 v27, 29, v28
	v_cmp_eq_u32_e64 s[2:3], 0, v22
	v_and_b32_e32 v26, 7, v26
	v_lshlrev_b32_e32 v20, 8, v20
	v_cndmask_b32_e64 v22, v22, v27, s[2:3]
	v_lshl_add_u32 v22, v22, 10, v62
	v_cndmask_b32_e64 v16, v16, v26, s[2:3]
	v_and_or_b32 v20, v20, s17, v22
	v_lshl_or_b32 v16, v16, 7, v20
	v_cvt_f32_f16_e32 v16, v16
.LBB313_1329:                           ;   in Loop: Header=BB313_1067 Depth=1
	s_or_b64 exec, exec, s[20:21]
	v_lshrrev_b32_e32 v20, 16, v47
	v_cmp_gt_i16_sdwa s[12:13], v20, s5 src0_sel:BYTE_0 src1_sel:DWORD
	s_mov_b64 s[2:3], 0
                                        ; implicit-def: $sgpr22
	s_and_saveexec_b64 s[20:21], s[12:13]
	s_xor_b64 s[12:13], exec, s[20:21]
	s_cbranch_execnz .LBB313_1859
; %bb.1330:                             ;   in Loop: Header=BB313_1067 Depth=1
	s_or_saveexec_b64 s[12:13], s[12:13]
	v_mov_b32_e32 v22, s22
	s_xor_b64 exec, exec, s[12:13]
	s_cbranch_execnz .LBB313_1862
.LBB313_1331:                           ;   in Loop: Header=BB313_1067 Depth=1
	s_or_b64 exec, exec, s[12:13]
	s_and_saveexec_b64 s[12:13], s[2:3]
	s_cbranch_execz .LBB313_1333
.LBB313_1332:                           ;   in Loop: Header=BB313_1067 Depth=1
	v_bfe_u32 v22, v47, 16, 3
	v_ffbh_u32_e32 v26, v22
	v_min_u32_e32 v29, 32, v26
	v_subrev_u32_e32 v26, 28, v29
	v_bfe_u32 v28, v47, 19, 4
	v_lshlrev_b64 v[26:27], v26, v[20:21]
	v_sub_u32_e32 v27, 29, v29
	v_cmp_eq_u32_e64 s[2:3], 0, v28
	v_and_b32_e32 v26, 7, v26
	v_lshlrev_b32_e32 v20, 8, v20
	v_cndmask_b32_e64 v27, v28, v27, s[2:3]
	v_cndmask_b32_e64 v22, v22, v26, s[2:3]
	v_lshl_add_u32 v26, v27, 10, v62
	v_and_or_b32 v20, v20, s17, v26
	v_lshl_or_b32 v20, v22, 7, v20
	v_cvt_f32_f16_e32 v22, v20
.LBB313_1333:                           ;   in Loop: Header=BB313_1067 Depth=1
	s_or_b64 exec, exec, s[12:13]
	v_lshrrev_b32_e32 v20, 24, v47
	v_cmp_lt_i16_e64 s[2:3], s5, v20
	s_mov_b64 s[12:13], 0
                                        ; implicit-def: $sgpr28
	s_and_saveexec_b64 s[20:21], s[2:3]
	s_xor_b64 s[20:21], exec, s[20:21]
	s_cbranch_execnz .LBB313_1863
; %bb.1334:                             ;   in Loop: Header=BB313_1067 Depth=1
	s_or_saveexec_b64 s[20:21], s[20:21]
	v_mov_b32_e32 v27, s28
	s_xor_b64 exec, exec, s[20:21]
	s_cbranch_execnz .LBB313_1866
.LBB313_1335:                           ;   in Loop: Header=BB313_1067 Depth=1
	s_or_b64 exec, exec, s[20:21]
	s_and_saveexec_b64 s[20:21], s[12:13]
	s_cbranch_execz .LBB313_1337
.LBB313_1336:                           ;   in Loop: Header=BB313_1067 Depth=1
	v_bfe_u32 v28, v47, 24, 3
	v_ffbh_u32_e32 v26, v28
	v_min_u32_e32 v51, 32, v26
	v_subrev_u32_e32 v26, 28, v51
	v_bfe_u32 v29, v47, 27, 4
	v_lshlrev_b64 v[26:27], v26, v[20:21]
	v_sub_u32_e32 v27, 29, v51
	v_cmp_eq_u32_e64 s[2:3], 0, v29
	v_and_b32_e32 v26, 7, v26
	v_lshlrev_b32_e32 v20, 8, v20
	v_cndmask_b32_e64 v27, v29, v27, s[2:3]
	v_lshl_add_u32 v27, v27, 10, v62
	v_cndmask_b32_e64 v26, v28, v26, s[2:3]
	v_and_or_b32 v20, v20, s17, v27
	v_lshl_or_b32 v20, v26, 7, v20
	v_cvt_f32_f16_e32 v27, v20
.LBB313_1337:                           ;   in Loop: Header=BB313_1067 Depth=1
	s_or_b64 exec, exec, s[20:21]
	s_waitcnt vmcnt(0) lgkmcnt(0)
	v_pk_mul_f32 v[28:29], v[44:45], v[58:59] op_sel_hi:[0,1]
	v_pk_mul_f32 v[52:53], v[44:45], v[56:57] op_sel_hi:[0,1]
	v_cvt_f16_f32_e32 v20, v29
	v_cvt_f16_f32_e32 v26, v28
	;; [unrolled: 1-line block ×4, first 2 shown]
	v_fma_mixlo_f16 v16, v44, v16, 0
	v_lshlrev_b32_e32 v16, 16, v16
	v_fma_mixlo_f16 v6, v44, v6, 0
	v_or_b32_sdwa v6, v16, v6 dst_sel:DWORD dst_unused:UNUSED_PAD src0_sel:DWORD src1_sel:WORD_0
	v_fma_mixlo_f16 v16, v44, v27, 0
	v_pack_b32_f16 v26, v26, v20
	v_pack_b32_f16 v28, v29, v28
	v_fma_mixlo_f16 v22, v44, v22, 0
	v_lshlrev_b32_e32 v16, 16, v16
	v_perm_b32 v20, v28, v26, s25
	v_perm_b32 v26, v28, v26, s26
	v_or_b32_sdwa v16, v16, v22 dst_sel:DWORD dst_unused:UNUSED_PAD src0_sel:DWORD src1_sel:WORD_0
	s_and_saveexec_b64 s[12:13], vcc
	s_cbranch_execz .LBB313_1339
; %bb.1338:                             ;   in Loop: Header=BB313_1067 Depth=1
	scratch_load_dwordx2 v[28:29], off, s32 offset:196 ; 8-byte Folded Reload
	v_lshrrev_b32_e32 v27, 16, v26
	v_cmp_lt_i32_e64 s[2:3], v50, v17
	v_lshrrev_b32_e32 v16, 16, v16
	s_nop 0
	v_cndmask_b32_e64 v27, 0, v27, s[2:3]
	s_waitcnt vmcnt(0)
	v_cmp_lt_i32_e64 s[2:3], v7, v28
	s_nop 1
	v_cndmask_b32_e64 v26, 0, v26, s[2:3]
	v_perm_b32 v26, v27, v26, s27
	v_lshrrev_b32_e32 v27, 16, v20
	v_cmp_lt_i32_e64 s[2:3], v49, v17
	s_nop 1
	v_cndmask_b32_e64 v27, 0, v27, s[2:3]
	v_cmp_lt_i32_e64 s[2:3], v48, v28
	s_nop 1
	v_cndmask_b32_e64 v20, 0, v20, s[2:3]
	v_perm_b32 v20, v27, v20, s27
	v_lshrrev_b32_e32 v27, 16, v6
	v_cmp_lt_i32_e64 s[2:3], v11, v17
	s_nop 1
	v_cndmask_b32_e64 v27, 0, v27, s[2:3]
	v_cmp_lt_i32_e64 s[2:3], v10, v28
	s_nop 1
	v_cndmask_b32_e64 v6, 0, v6, s[2:3]
	v_cmp_lt_i32_e64 s[2:3], v4, v17
	v_perm_b32 v6, v27, v6, s27
	s_nop 0
	v_cndmask_b32_e64 v16, 0, v16, s[2:3]
	v_cmp_lt_i32_e64 s[2:3], v5, v28
	s_nop 1
	v_cndmask_b32_e64 v22, 0, v22, s[2:3]
	v_perm_b32 v16, v16, v22, s27
.LBB313_1339:                           ;   in Loop: Header=BB313_1067 Depth=1
	s_or_b64 exec, exec, s[12:13]
	;;#ASMSTART
	v_pk_mul_f16 v22, v36, v26;

	;;#ASMEND
	;;#ASMSTART
	v_pk_mul_f16 v20, v37, v20;

	;;#ASMEND
	;; [unrolled: 4-line block ×4, first 2 shown]
	v_accvgpr_read_b32 v26, a26
	;;#ASMSTART
	v_pk_add_f16 v20, v22, v20;

	;;#ASMEND
	v_accvgpr_read_b32 v27, a27
	;;#ASMSTART
	v_pk_add_f16 v6, v20, v6;

	;;#ASMEND
	v_lshl_add_u64 v[26:27], v[18:19], 0, v[26:27]
	;;#ASMSTART
	v_pk_add_f16 v6, v6, v16;

	;;#ASMEND
	s_mov_b64 s[2:3], 0
	v_lshrrev_b32_e32 v16, 16, v6
	v_and_b32_e32 v6, 0xffff, v6
	;;#ASMSTART
	v_cvt_f32_f16 v6, v6;
	;;#ASMEND
	;;#ASMSTART
	v_cvt_f32_f16 v52, v16;
	;;#ASMEND
	flat_load_dwordx2 v[46:47], v[26:27]
	s_nop 0
	scratch_load_dwordx2 v[26:27], off, s32 offset:188 ; 8-byte Folded Reload
	v_accvgpr_write_b32 a48, v6
                                        ; implicit-def: $sgpr22
	s_waitcnt vmcnt(0) lgkmcnt(0)
	v_cmp_gt_i16_sdwa s[12:13], v46, s5 src0_sel:BYTE_0 src1_sel:DWORD
	flat_load_dword v44, v[26:27]
	s_and_saveexec_b64 s[20:21], s[12:13]
	s_xor_b64 s[12:13], exec, s[20:21]
	s_cbranch_execnz .LBB313_1867
; %bb.1340:                             ;   in Loop: Header=BB313_1067 Depth=1
	s_or_saveexec_b64 s[12:13], s[12:13]
	v_mov_b32_e32 v56, s22
	s_xor_b64 exec, exec, s[12:13]
	s_cbranch_execnz .LBB313_1870
.LBB313_1341:                           ;   in Loop: Header=BB313_1067 Depth=1
	s_or_b64 exec, exec, s[12:13]
	s_and_saveexec_b64 s[12:13], s[2:3]
	s_cbranch_execz .LBB313_1343
.LBB313_1342:                           ;   in Loop: Header=BB313_1067 Depth=1
	v_and_b32_e32 v6, 7, v46
	v_ffbh_u32_e32 v6, v6
	v_bfe_u32 v16, v46, 3, 4
	v_min_u32_e32 v6, 32, v6
	v_subrev_u32_e32 v20, 28, v6
	v_sub_u32_e32 v6, 29, v6
	v_cmp_eq_u32_e64 s[2:3], 0, v16
	s_nop 1
	v_cndmask_b32_e64 v6, v16, v6, s[2:3]
	v_cndmask_b32_e64 v16, 0, v20, s[2:3]
	v_lshlrev_b64 v[26:27], v16, v[46:47]
	v_lshlrev_b32_e32 v20, 8, v46
	v_lshl_add_u32 v6, v6, 10, v62
	v_lshlrev_b32_e32 v16, 7, v26
	v_and_or_b32 v6, v20, s17, v6
	v_and_or_b32 v6, v16, s24, v6
	v_cvt_f32_f16_e32 v56, v6
.LBB313_1343:                           ;   in Loop: Header=BB313_1067 Depth=1
	s_or_b64 exec, exec, s[12:13]
	v_lshrrev_b16_e32 v20, 8, v46
	v_cmp_lt_i16_e64 s[2:3], s5, v20
	s_mov_b64 s[12:13], 0
                                        ; implicit-def: $sgpr28
	s_and_saveexec_b64 s[20:21], s[2:3]
	s_xor_b64 s[20:21], exec, s[20:21]
	s_cbranch_execnz .LBB313_1871
; %bb.1344:                             ;   in Loop: Header=BB313_1067 Depth=1
	s_or_saveexec_b64 s[20:21], s[20:21]
	v_mov_b32_e32 v58, s28
	s_xor_b64 exec, exec, s[20:21]
	s_cbranch_execnz .LBB313_1874
.LBB313_1345:                           ;   in Loop: Header=BB313_1067 Depth=1
	s_or_b64 exec, exec, s[20:21]
	s_and_saveexec_b64 s[20:21], s[12:13]
	s_cbranch_execz .LBB313_1347
.LBB313_1346:                           ;   in Loop: Header=BB313_1067 Depth=1
	v_and_b32_e32 v6, 7, v20
	v_ffbh_u32_e32 v22, v6
	v_bfe_u32 v16, v20, 3, 4
	v_min_u32_e32 v22, 32, v22
	v_subrev_u32_e32 v26, 28, v22
	v_sub_u32_e32 v22, 29, v22
	v_cmp_eq_u32_e64 s[2:3], 0, v16
	v_lshlrev_b64 v[26:27], v26, v[20:21]
	v_and_b32_e32 v26, 7, v26
	v_cndmask_b32_e64 v16, v16, v22, s[2:3]
	v_lshlrev_b32_e32 v20, 8, v20
	v_lshl_add_u32 v16, v16, 10, v62
	v_cndmask_b32_e64 v6, v6, v26, s[2:3]
	v_and_or_b32 v16, v20, s17, v16
	v_lshl_or_b32 v6, v6, 7, v16
	v_cvt_f32_f16_e32 v58, v6
.LBB313_1347:                           ;   in Loop: Header=BB313_1067 Depth=1
	s_or_b64 exec, exec, s[20:21]
	v_lshrrev_b32_e32 v20, 16, v46
	v_cmp_gt_i16_sdwa s[12:13], v20, s5 src0_sel:BYTE_0 src1_sel:DWORD
	s_mov_b64 s[2:3], 0
                                        ; implicit-def: $sgpr22
	s_and_saveexec_b64 s[20:21], s[12:13]
	s_xor_b64 s[12:13], exec, s[20:21]
	s_cbranch_execnz .LBB313_1875
; %bb.1348:                             ;   in Loop: Header=BB313_1067 Depth=1
	s_or_saveexec_b64 s[12:13], s[12:13]
	v_mov_b32_e32 v57, s22
	s_xor_b64 exec, exec, s[12:13]
	s_cbranch_execnz .LBB313_1878
.LBB313_1349:                           ;   in Loop: Header=BB313_1067 Depth=1
	s_or_b64 exec, exec, s[12:13]
	s_and_saveexec_b64 s[12:13], s[2:3]
	s_cbranch_execz .LBB313_1351
.LBB313_1350:                           ;   in Loop: Header=BB313_1067 Depth=1
	v_bfe_u32 v6, v46, 16, 3
	v_ffbh_u32_e32 v22, v6
	v_bfe_u32 v16, v46, 19, 4
	v_min_u32_e32 v22, 32, v22
	v_subrev_u32_e32 v26, 28, v22
	v_sub_u32_e32 v22, 29, v22
	v_cmp_eq_u32_e64 s[2:3], 0, v16
	v_lshlrev_b64 v[26:27], v26, v[20:21]
	v_and_b32_e32 v26, 7, v26
	v_cndmask_b32_e64 v16, v16, v22, s[2:3]
	v_lshlrev_b32_e32 v20, 8, v20
	v_lshl_add_u32 v16, v16, 10, v62
	v_cndmask_b32_e64 v6, v6, v26, s[2:3]
	v_and_or_b32 v16, v20, s17, v16
	v_lshl_or_b32 v6, v6, 7, v16
	v_cvt_f32_f16_e32 v57, v6
.LBB313_1351:                           ;   in Loop: Header=BB313_1067 Depth=1
	s_or_b64 exec, exec, s[12:13]
	v_lshrrev_b32_e32 v20, 24, v46
	v_cmp_lt_i16_e64 s[2:3], s5, v20
	s_mov_b64 s[12:13], 0
                                        ; implicit-def: $sgpr28
	s_and_saveexec_b64 s[20:21], s[2:3]
	s_xor_b64 s[20:21], exec, s[20:21]
	s_cbranch_execnz .LBB313_1879
; %bb.1352:                             ;   in Loop: Header=BB313_1067 Depth=1
	s_or_saveexec_b64 s[20:21], s[20:21]
	v_mov_b32_e32 v59, s28
	s_xor_b64 exec, exec, s[20:21]
	s_cbranch_execnz .LBB313_1882
.LBB313_1353:                           ;   in Loop: Header=BB313_1067 Depth=1
	s_or_b64 exec, exec, s[20:21]
	s_and_saveexec_b64 s[20:21], s[12:13]
	s_cbranch_execz .LBB313_1355
.LBB313_1354:                           ;   in Loop: Header=BB313_1067 Depth=1
	v_bfe_u32 v6, v46, 24, 3
	v_ffbh_u32_e32 v22, v6
	v_bfe_u32 v16, v46, 27, 4
	v_min_u32_e32 v22, 32, v22
	v_subrev_u32_e32 v26, 28, v22
	v_sub_u32_e32 v22, 29, v22
	v_cmp_eq_u32_e64 s[2:3], 0, v16
	v_lshlrev_b64 v[26:27], v26, v[20:21]
	v_and_b32_e32 v26, 7, v26
	v_cndmask_b32_e64 v16, v16, v22, s[2:3]
	v_lshlrev_b32_e32 v20, 8, v20
	v_lshl_add_u32 v16, v16, 10, v62
	v_cndmask_b32_e64 v6, v6, v26, s[2:3]
	v_and_or_b32 v16, v20, s17, v16
	v_lshl_or_b32 v6, v6, 7, v16
	v_cvt_f32_f16_e32 v59, v6
.LBB313_1355:                           ;   in Loop: Header=BB313_1067 Depth=1
	s_or_b64 exec, exec, s[20:21]
	v_cmp_gt_i16_sdwa s[12:13], v47, s5 src0_sel:BYTE_0 src1_sel:DWORD
	s_mov_b64 s[2:3], 0
                                        ; implicit-def: $sgpr22
	s_and_saveexec_b64 s[20:21], s[12:13]
	s_xor_b64 s[12:13], exec, s[20:21]
	s_cbranch_execnz .LBB313_1883
; %bb.1356:                             ;   in Loop: Header=BB313_1067 Depth=1
	s_or_saveexec_b64 s[12:13], s[12:13]
	v_mov_b32_e32 v6, s22
	s_xor_b64 exec, exec, s[12:13]
	s_cbranch_execnz .LBB313_1886
.LBB313_1357:                           ;   in Loop: Header=BB313_1067 Depth=1
	s_or_b64 exec, exec, s[12:13]
	v_mov_b32_e32 v20, v47
	s_and_saveexec_b64 s[12:13], s[2:3]
	s_cbranch_execz .LBB313_1359
.LBB313_1358:                           ;   in Loop: Header=BB313_1067 Depth=1
	v_and_b32_e32 v6, 7, v47
	v_ffbh_u32_e32 v6, v6
	v_bfe_u32 v16, v47, 3, 4
	v_min_u32_e32 v6, 32, v6
	v_subrev_u32_e32 v22, 28, v6
	v_sub_u32_e32 v6, 29, v6
	v_cmp_eq_u32_e64 s[2:3], 0, v16
	s_nop 1
	v_cndmask_b32_e64 v6, v16, v6, s[2:3]
	v_cndmask_b32_e64 v16, 0, v22, s[2:3]
	v_lshlrev_b64 v[26:27], v16, v[20:21]
	v_lshlrev_b32_e32 v22, 8, v47
	v_lshl_add_u32 v6, v6, 10, v62
	v_lshlrev_b32_e32 v16, 7, v26
	v_and_or_b32 v6, v22, s17, v6
	v_and_or_b32 v6, v16, s24, v6
	v_cvt_f32_f16_e32 v6, v6
.LBB313_1359:                           ;   in Loop: Header=BB313_1067 Depth=1
	s_or_b64 exec, exec, s[12:13]
	v_lshrrev_b16_e32 v20, 8, v20
	v_cmp_lt_i16_e64 s[2:3], s5, v20
	s_mov_b64 s[12:13], 0
                                        ; implicit-def: $sgpr28
	s_and_saveexec_b64 s[20:21], s[2:3]
	s_xor_b64 s[20:21], exec, s[20:21]
	s_cbranch_execnz .LBB313_1887
; %bb.1360:                             ;   in Loop: Header=BB313_1067 Depth=1
	s_or_saveexec_b64 s[20:21], s[20:21]
	v_mov_b32_e32 v16, s28
	s_xor_b64 exec, exec, s[20:21]
	s_cbranch_execnz .LBB313_1890
.LBB313_1361:                           ;   in Loop: Header=BB313_1067 Depth=1
	s_or_b64 exec, exec, s[20:21]
	s_and_saveexec_b64 s[20:21], s[12:13]
	s_cbranch_execz .LBB313_1363
.LBB313_1362:                           ;   in Loop: Header=BB313_1067 Depth=1
	v_and_b32_e32 v16, 7, v20
	v_ffbh_u32_e32 v26, v16
	v_min_u32_e32 v28, 32, v26
	v_subrev_u32_e32 v26, 28, v28
	v_bfe_u32 v22, v20, 3, 4
	v_lshlrev_b64 v[26:27], v26, v[20:21]
	v_sub_u32_e32 v27, 29, v28
	v_cmp_eq_u32_e64 s[2:3], 0, v22
	v_and_b32_e32 v26, 7, v26
	v_lshlrev_b32_e32 v20, 8, v20
	v_cndmask_b32_e64 v22, v22, v27, s[2:3]
	v_lshl_add_u32 v22, v22, 10, v62
	v_cndmask_b32_e64 v16, v16, v26, s[2:3]
	v_and_or_b32 v20, v20, s17, v22
	v_lshl_or_b32 v16, v16, 7, v20
	v_cvt_f32_f16_e32 v16, v16
.LBB313_1363:                           ;   in Loop: Header=BB313_1067 Depth=1
	s_or_b64 exec, exec, s[20:21]
	v_lshrrev_b32_e32 v20, 16, v47
	v_cmp_gt_i16_sdwa s[12:13], v20, s5 src0_sel:BYTE_0 src1_sel:DWORD
	s_mov_b64 s[2:3], 0
                                        ; implicit-def: $sgpr22
	s_and_saveexec_b64 s[20:21], s[12:13]
	s_xor_b64 s[12:13], exec, s[20:21]
	s_cbranch_execnz .LBB313_1891
; %bb.1364:                             ;   in Loop: Header=BB313_1067 Depth=1
	s_or_saveexec_b64 s[12:13], s[12:13]
	v_mov_b32_e32 v22, s22
	s_xor_b64 exec, exec, s[12:13]
	s_cbranch_execnz .LBB313_1894
.LBB313_1365:                           ;   in Loop: Header=BB313_1067 Depth=1
	s_or_b64 exec, exec, s[12:13]
	s_and_saveexec_b64 s[12:13], s[2:3]
	s_cbranch_execz .LBB313_1367
.LBB313_1366:                           ;   in Loop: Header=BB313_1067 Depth=1
	v_bfe_u32 v22, v47, 16, 3
	v_ffbh_u32_e32 v26, v22
	v_min_u32_e32 v29, 32, v26
	v_subrev_u32_e32 v26, 28, v29
	v_bfe_u32 v28, v47, 19, 4
	v_lshlrev_b64 v[26:27], v26, v[20:21]
	v_sub_u32_e32 v27, 29, v29
	v_cmp_eq_u32_e64 s[2:3], 0, v28
	v_and_b32_e32 v26, 7, v26
	v_lshlrev_b32_e32 v20, 8, v20
	v_cndmask_b32_e64 v27, v28, v27, s[2:3]
	v_cndmask_b32_e64 v22, v22, v26, s[2:3]
	v_lshl_add_u32 v26, v27, 10, v62
	v_and_or_b32 v20, v20, s17, v26
	v_lshl_or_b32 v20, v22, 7, v20
	v_cvt_f32_f16_e32 v22, v20
.LBB313_1367:                           ;   in Loop: Header=BB313_1067 Depth=1
	s_or_b64 exec, exec, s[12:13]
	v_lshrrev_b32_e32 v20, 24, v47
	v_cmp_lt_i16_e64 s[2:3], s5, v20
	s_mov_b64 s[12:13], 0
                                        ; implicit-def: $sgpr28
	s_and_saveexec_b64 s[20:21], s[2:3]
	s_xor_b64 s[20:21], exec, s[20:21]
	s_cbranch_execnz .LBB313_1895
; %bb.1368:                             ;   in Loop: Header=BB313_1067 Depth=1
	s_or_saveexec_b64 s[20:21], s[20:21]
	v_mov_b32_e32 v27, s28
	s_xor_b64 exec, exec, s[20:21]
	s_cbranch_execnz .LBB313_1898
.LBB313_1369:                           ;   in Loop: Header=BB313_1067 Depth=1
	s_or_b64 exec, exec, s[20:21]
	s_and_saveexec_b64 s[20:21], s[12:13]
	s_cbranch_execz .LBB313_1371
.LBB313_1370:                           ;   in Loop: Header=BB313_1067 Depth=1
	v_bfe_u32 v28, v47, 24, 3
	v_ffbh_u32_e32 v26, v28
	v_min_u32_e32 v53, 32, v26
	v_subrev_u32_e32 v26, 28, v53
	v_bfe_u32 v29, v47, 27, 4
	v_lshlrev_b64 v[26:27], v26, v[20:21]
	v_sub_u32_e32 v27, 29, v53
	v_cmp_eq_u32_e64 s[2:3], 0, v29
	v_and_b32_e32 v26, 7, v26
	v_lshlrev_b32_e32 v20, 8, v20
	v_cndmask_b32_e64 v27, v29, v27, s[2:3]
	v_lshl_add_u32 v27, v27, 10, v62
	v_cndmask_b32_e64 v26, v28, v26, s[2:3]
	v_and_or_b32 v20, v20, s17, v27
	v_lshl_or_b32 v20, v26, 7, v20
	v_cvt_f32_f16_e32 v27, v20
.LBB313_1371:                           ;   in Loop: Header=BB313_1067 Depth=1
	s_or_b64 exec, exec, s[20:21]
	s_waitcnt vmcnt(0) lgkmcnt(0)
	v_pk_mul_f32 v[28:29], v[44:45], v[58:59] op_sel_hi:[0,1]
	v_pk_mul_f32 v[54:55], v[44:45], v[56:57] op_sel_hi:[0,1]
	v_cvt_f16_f32_e32 v20, v29
	v_cvt_f16_f32_e32 v26, v28
	;; [unrolled: 1-line block ×4, first 2 shown]
	v_fma_mixlo_f16 v16, v44, v16, 0
	v_lshlrev_b32_e32 v16, 16, v16
	v_fma_mixlo_f16 v6, v44, v6, 0
	v_or_b32_sdwa v6, v16, v6 dst_sel:DWORD dst_unused:UNUSED_PAD src0_sel:DWORD src1_sel:WORD_0
	v_fma_mixlo_f16 v16, v44, v27, 0
	v_pack_b32_f16 v26, v26, v20
	v_pack_b32_f16 v28, v29, v28
	v_fma_mixlo_f16 v22, v44, v22, 0
	v_lshlrev_b32_e32 v16, 16, v16
	v_perm_b32 v20, v28, v26, s25
	v_perm_b32 v26, v28, v26, s26
	v_or_b32_sdwa v16, v16, v22 dst_sel:DWORD dst_unused:UNUSED_PAD src0_sel:DWORD src1_sel:WORD_0
	s_and_saveexec_b64 s[12:13], vcc
	s_cbranch_execz .LBB313_1373
; %bb.1372:                             ;   in Loop: Header=BB313_1067 Depth=1
	scratch_load_dwordx2 v[28:29], off, s32 offset:196 ; 8-byte Folded Reload
	v_lshrrev_b32_e32 v27, 16, v26
	v_cmp_lt_i32_e64 s[2:3], v50, v17
	v_lshrrev_b32_e32 v16, 16, v16
	s_nop 0
	v_cndmask_b32_e64 v27, 0, v27, s[2:3]
	s_waitcnt vmcnt(0)
	v_cmp_lt_i32_e64 s[2:3], v7, v28
	s_nop 1
	v_cndmask_b32_e64 v26, 0, v26, s[2:3]
	v_perm_b32 v26, v27, v26, s27
	v_lshrrev_b32_e32 v27, 16, v20
	v_cmp_lt_i32_e64 s[2:3], v49, v17
	s_nop 1
	v_cndmask_b32_e64 v27, 0, v27, s[2:3]
	v_cmp_lt_i32_e64 s[2:3], v48, v28
	s_nop 1
	v_cndmask_b32_e64 v20, 0, v20, s[2:3]
	v_perm_b32 v20, v27, v20, s27
	v_lshrrev_b32_e32 v27, 16, v6
	v_cmp_lt_i32_e64 s[2:3], v11, v17
	s_nop 1
	v_cndmask_b32_e64 v27, 0, v27, s[2:3]
	v_cmp_lt_i32_e64 s[2:3], v10, v28
	s_nop 1
	v_cndmask_b32_e64 v6, 0, v6, s[2:3]
	v_cmp_lt_i32_e64 s[2:3], v4, v17
	v_perm_b32 v6, v27, v6, s27
	s_nop 0
	v_cndmask_b32_e64 v16, 0, v16, s[2:3]
	v_cmp_lt_i32_e64 s[2:3], v5, v28
	s_nop 1
	v_cndmask_b32_e64 v22, 0, v22, s[2:3]
	v_perm_b32 v16, v16, v22, s27
.LBB313_1373:                           ;   in Loop: Header=BB313_1067 Depth=1
	s_or_b64 exec, exec, s[12:13]
	;;#ASMSTART
	v_pk_mul_f16 v22, v36, v26;

	;;#ASMEND
	;;#ASMSTART
	v_pk_mul_f16 v20, v37, v20;

	;;#ASMEND
	;; [unrolled: 4-line block ×4, first 2 shown]
	v_accvgpr_read_b32 v26, a28
	;;#ASMSTART
	v_pk_add_f16 v20, v22, v20;

	;;#ASMEND
	v_accvgpr_read_b32 v27, a29
	;;#ASMSTART
	v_pk_add_f16 v6, v20, v6;

	;;#ASMEND
	v_lshl_add_u64 v[26:27], v[18:19], 0, v[26:27]
	;;#ASMSTART
	v_pk_add_f16 v6, v6, v16;

	;;#ASMEND
	s_mov_b64 s[2:3], 0
	v_lshrrev_b32_e32 v16, 16, v6
	v_and_b32_e32 v6, 0xffff, v6
	;;#ASMSTART
	v_cvt_f32_f16 v6, v6;
	;;#ASMEND
	;;#ASMSTART
	v_cvt_f32_f16 v53, v16;
	;;#ASMEND
	flat_load_dwordx2 v[46:47], v[26:27]
	s_nop 0
	scratch_load_dwordx2 v[26:27], off, s32 offset:188 ; 8-byte Folded Reload
                                        ; implicit-def: $sgpr22
	s_waitcnt vmcnt(0) lgkmcnt(0)
	v_cmp_gt_i16_sdwa s[12:13], v46, s5 src0_sel:BYTE_0 src1_sel:DWORD
	flat_load_dword v44, v[26:27]
	s_and_saveexec_b64 s[20:21], s[12:13]
	s_xor_b64 s[12:13], exec, s[20:21]
	s_cbranch_execnz .LBB313_1899
; %bb.1374:                             ;   in Loop: Header=BB313_1067 Depth=1
	s_or_saveexec_b64 s[12:13], s[12:13]
	v_mov_b32_e32 v56, s22
	s_xor_b64 exec, exec, s[12:13]
	s_cbranch_execnz .LBB313_1902
.LBB313_1375:                           ;   in Loop: Header=BB313_1067 Depth=1
	s_or_b64 exec, exec, s[12:13]
	s_and_saveexec_b64 s[12:13], s[2:3]
	s_cbranch_execz .LBB313_1377
.LBB313_1376:                           ;   in Loop: Header=BB313_1067 Depth=1
	v_and_b32_e32 v16, 7, v46
	v_ffbh_u32_e32 v16, v16
	v_bfe_u32 v20, v46, 3, 4
	v_min_u32_e32 v16, 32, v16
	v_subrev_u32_e32 v22, 28, v16
	v_sub_u32_e32 v16, 29, v16
	v_cmp_eq_u32_e64 s[2:3], 0, v20
	s_nop 1
	v_cndmask_b32_e64 v16, v20, v16, s[2:3]
	v_cndmask_b32_e64 v20, 0, v22, s[2:3]
	v_lshlrev_b64 v[26:27], v20, v[46:47]
	v_lshlrev_b32_e32 v22, 8, v46
	v_lshl_add_u32 v16, v16, 10, v62
	v_lshlrev_b32_e32 v20, 7, v26
	v_and_or_b32 v16, v22, s17, v16
	v_and_or_b32 v16, v20, s24, v16
	v_cvt_f32_f16_e32 v56, v16
.LBB313_1377:                           ;   in Loop: Header=BB313_1067 Depth=1
	s_or_b64 exec, exec, s[12:13]
	v_lshrrev_b16_e32 v20, 8, v46
	v_cmp_lt_i16_e64 s[2:3], s5, v20
	s_mov_b64 s[12:13], 0
                                        ; implicit-def: $sgpr28
	s_and_saveexec_b64 s[20:21], s[2:3]
	s_xor_b64 s[20:21], exec, s[20:21]
	s_cbranch_execnz .LBB313_1903
; %bb.1378:                             ;   in Loop: Header=BB313_1067 Depth=1
	s_or_saveexec_b64 s[20:21], s[20:21]
	v_mov_b32_e32 v58, s28
	s_xor_b64 exec, exec, s[20:21]
	s_cbranch_execnz .LBB313_1906
.LBB313_1379:                           ;   in Loop: Header=BB313_1067 Depth=1
	s_or_b64 exec, exec, s[20:21]
	s_and_saveexec_b64 s[20:21], s[12:13]
	s_cbranch_execz .LBB313_1381
.LBB313_1380:                           ;   in Loop: Header=BB313_1067 Depth=1
	v_and_b32_e32 v16, 7, v20
	v_ffbh_u32_e32 v26, v16
	v_min_u32_e32 v28, 32, v26
	v_subrev_u32_e32 v26, 28, v28
	v_bfe_u32 v22, v20, 3, 4
	v_lshlrev_b64 v[26:27], v26, v[20:21]
	v_sub_u32_e32 v27, 29, v28
	v_cmp_eq_u32_e64 s[2:3], 0, v22
	v_and_b32_e32 v26, 7, v26
	v_lshlrev_b32_e32 v20, 8, v20
	v_cndmask_b32_e64 v22, v22, v27, s[2:3]
	v_lshl_add_u32 v22, v22, 10, v62
	v_cndmask_b32_e64 v16, v16, v26, s[2:3]
	v_and_or_b32 v20, v20, s17, v22
	v_lshl_or_b32 v16, v16, 7, v20
	v_cvt_f32_f16_e32 v58, v16
.LBB313_1381:                           ;   in Loop: Header=BB313_1067 Depth=1
	s_or_b64 exec, exec, s[20:21]
	v_lshrrev_b32_e32 v20, 16, v46
	v_cmp_gt_i16_sdwa s[12:13], v20, s5 src0_sel:BYTE_0 src1_sel:DWORD
	s_mov_b64 s[2:3], 0
                                        ; implicit-def: $sgpr22
	s_and_saveexec_b64 s[20:21], s[12:13]
	s_xor_b64 s[12:13], exec, s[20:21]
	s_cbranch_execnz .LBB313_1907
; %bb.1382:                             ;   in Loop: Header=BB313_1067 Depth=1
	s_or_saveexec_b64 s[12:13], s[12:13]
	v_mov_b32_e32 v57, s22
	s_xor_b64 exec, exec, s[12:13]
	s_cbranch_execnz .LBB313_1910
.LBB313_1383:                           ;   in Loop: Header=BB313_1067 Depth=1
	s_or_b64 exec, exec, s[12:13]
	s_and_saveexec_b64 s[12:13], s[2:3]
	s_cbranch_execz .LBB313_1385
.LBB313_1384:                           ;   in Loop: Header=BB313_1067 Depth=1
	v_bfe_u32 v16, v46, 16, 3
	v_ffbh_u32_e32 v26, v16
	v_min_u32_e32 v28, 32, v26
	v_subrev_u32_e32 v26, 28, v28
	v_bfe_u32 v22, v46, 19, 4
	v_lshlrev_b64 v[26:27], v26, v[20:21]
	v_sub_u32_e32 v27, 29, v28
	v_cmp_eq_u32_e64 s[2:3], 0, v22
	v_and_b32_e32 v26, 7, v26
	v_lshlrev_b32_e32 v20, 8, v20
	v_cndmask_b32_e64 v22, v22, v27, s[2:3]
	v_lshl_add_u32 v22, v22, 10, v62
	v_cndmask_b32_e64 v16, v16, v26, s[2:3]
	v_and_or_b32 v20, v20, s17, v22
	v_lshl_or_b32 v16, v16, 7, v20
	v_cvt_f32_f16_e32 v57, v16
.LBB313_1385:                           ;   in Loop: Header=BB313_1067 Depth=1
	s_or_b64 exec, exec, s[12:13]
	v_lshrrev_b32_e32 v20, 24, v46
	v_cmp_lt_i16_e64 s[2:3], s5, v20
	s_mov_b64 s[12:13], 0
                                        ; implicit-def: $sgpr28
	s_and_saveexec_b64 s[20:21], s[2:3]
	s_xor_b64 s[20:21], exec, s[20:21]
	s_cbranch_execnz .LBB313_1911
; %bb.1386:                             ;   in Loop: Header=BB313_1067 Depth=1
	s_or_saveexec_b64 s[20:21], s[20:21]
	v_mov_b32_e32 v59, s28
	s_xor_b64 exec, exec, s[20:21]
	s_cbranch_execnz .LBB313_1914
.LBB313_1387:                           ;   in Loop: Header=BB313_1067 Depth=1
	s_or_b64 exec, exec, s[20:21]
	s_and_saveexec_b64 s[20:21], s[12:13]
	s_cbranch_execz .LBB313_1389
.LBB313_1388:                           ;   in Loop: Header=BB313_1067 Depth=1
	v_bfe_u32 v16, v46, 24, 3
	v_ffbh_u32_e32 v26, v16
	v_min_u32_e32 v28, 32, v26
	v_subrev_u32_e32 v26, 28, v28
	v_bfe_u32 v22, v46, 27, 4
	v_lshlrev_b64 v[26:27], v26, v[20:21]
	v_sub_u32_e32 v27, 29, v28
	v_cmp_eq_u32_e64 s[2:3], 0, v22
	v_and_b32_e32 v26, 7, v26
	v_lshlrev_b32_e32 v20, 8, v20
	v_cndmask_b32_e64 v22, v22, v27, s[2:3]
	v_lshl_add_u32 v22, v22, 10, v62
	v_cndmask_b32_e64 v16, v16, v26, s[2:3]
	v_and_or_b32 v20, v20, s17, v22
	v_lshl_or_b32 v16, v16, 7, v20
	v_cvt_f32_f16_e32 v59, v16
.LBB313_1389:                           ;   in Loop: Header=BB313_1067 Depth=1
	s_or_b64 exec, exec, s[20:21]
	v_cmp_gt_i16_sdwa s[12:13], v47, s5 src0_sel:BYTE_0 src1_sel:DWORD
	s_mov_b64 s[2:3], 0
                                        ; implicit-def: $sgpr22
	s_and_saveexec_b64 s[20:21], s[12:13]
	s_xor_b64 s[12:13], exec, s[20:21]
	s_cbranch_execnz .LBB313_1915
; %bb.1390:                             ;   in Loop: Header=BB313_1067 Depth=1
	s_or_saveexec_b64 s[12:13], s[12:13]
	v_mov_b32_e32 v16, s22
	s_xor_b64 exec, exec, s[12:13]
	s_cbranch_execnz .LBB313_1918
.LBB313_1391:                           ;   in Loop: Header=BB313_1067 Depth=1
	s_or_b64 exec, exec, s[12:13]
	v_mov_b32_e32 v20, v47
	s_and_saveexec_b64 s[12:13], s[2:3]
	s_cbranch_execz .LBB313_1393
.LBB313_1392:                           ;   in Loop: Header=BB313_1067 Depth=1
	v_and_b32_e32 v16, 7, v47
	v_ffbh_u32_e32 v16, v16
	v_bfe_u32 v22, v47, 3, 4
	v_min_u32_e32 v16, 32, v16
	v_subrev_u32_e32 v26, 28, v16
	v_sub_u32_e32 v16, 29, v16
	v_cmp_eq_u32_e64 s[2:3], 0, v22
	s_nop 1
	v_cndmask_b32_e64 v16, v22, v16, s[2:3]
	v_cndmask_b32_e64 v22, 0, v26, s[2:3]
	v_lshlrev_b64 v[26:27], v22, v[20:21]
	v_lshlrev_b32_e32 v22, 7, v26
	v_lshlrev_b32_e32 v26, 8, v47
	v_lshl_add_u32 v16, v16, 10, v62
	v_and_or_b32 v16, v26, s17, v16
	v_and_or_b32 v16, v22, s24, v16
	v_cvt_f32_f16_e32 v16, v16
.LBB313_1393:                           ;   in Loop: Header=BB313_1067 Depth=1
	s_or_b64 exec, exec, s[12:13]
	v_lshrrev_b16_e32 v20, 8, v20
	v_cmp_lt_i16_e64 s[2:3], s5, v20
	s_mov_b64 s[12:13], 0
                                        ; implicit-def: $sgpr28
	s_and_saveexec_b64 s[20:21], s[2:3]
	s_xor_b64 s[20:21], exec, s[20:21]
	s_cbranch_execnz .LBB313_1919
; %bb.1394:                             ;   in Loop: Header=BB313_1067 Depth=1
	s_or_saveexec_b64 s[20:21], s[20:21]
	v_mov_b32_e32 v22, s28
	s_xor_b64 exec, exec, s[20:21]
	s_cbranch_execnz .LBB313_1922
.LBB313_1395:                           ;   in Loop: Header=BB313_1067 Depth=1
	s_or_b64 exec, exec, s[20:21]
	s_and_saveexec_b64 s[20:21], s[12:13]
	s_cbranch_execz .LBB313_1397
.LBB313_1396:                           ;   in Loop: Header=BB313_1067 Depth=1
	v_and_b32_e32 v22, 7, v20
	v_ffbh_u32_e32 v26, v22
	v_min_u32_e32 v29, 32, v26
	v_subrev_u32_e32 v26, 28, v29
	v_bfe_u32 v28, v20, 3, 4
	v_lshlrev_b64 v[26:27], v26, v[20:21]
	v_sub_u32_e32 v27, 29, v29
	v_cmp_eq_u32_e64 s[2:3], 0, v28
	v_and_b32_e32 v26, 7, v26
	v_lshlrev_b32_e32 v20, 8, v20
	v_cndmask_b32_e64 v27, v28, v27, s[2:3]
	v_cndmask_b32_e64 v22, v22, v26, s[2:3]
	v_lshl_add_u32 v26, v27, 10, v62
	v_and_or_b32 v20, v20, s17, v26
	v_lshl_or_b32 v20, v22, 7, v20
	v_cvt_f32_f16_e32 v22, v20
.LBB313_1397:                           ;   in Loop: Header=BB313_1067 Depth=1
	s_or_b64 exec, exec, s[20:21]
	v_lshrrev_b32_e32 v20, 16, v47
	v_cmp_gt_i16_sdwa s[12:13], v20, s5 src0_sel:BYTE_0 src1_sel:DWORD
	s_mov_b64 s[2:3], 0
                                        ; implicit-def: $sgpr22
	s_and_saveexec_b64 s[20:21], s[12:13]
	s_xor_b64 s[12:13], exec, s[20:21]
	s_cbranch_execnz .LBB313_1923
; %bb.1398:                             ;   in Loop: Header=BB313_1067 Depth=1
	s_or_saveexec_b64 s[12:13], s[12:13]
	v_mov_b32_e32 v26, s22
	s_xor_b64 exec, exec, s[12:13]
	s_cbranch_execnz .LBB313_1926
.LBB313_1399:                           ;   in Loop: Header=BB313_1067 Depth=1
	s_or_b64 exec, exec, s[12:13]
	s_and_saveexec_b64 s[12:13], s[2:3]
	s_cbranch_execz .LBB313_1401
.LBB313_1400:                           ;   in Loop: Header=BB313_1067 Depth=1
	v_bfe_u32 v28, v47, 16, 3
	v_ffbh_u32_e32 v26, v28
	v_min_u32_e32 v54, 32, v26
	v_subrev_u32_e32 v26, 28, v54
	v_bfe_u32 v29, v47, 19, 4
	v_lshlrev_b64 v[26:27], v26, v[20:21]
	v_sub_u32_e32 v27, 29, v54
	v_cmp_eq_u32_e64 s[2:3], 0, v29
	v_and_b32_e32 v26, 7, v26
	v_lshlrev_b32_e32 v20, 8, v20
	v_cndmask_b32_e64 v27, v29, v27, s[2:3]
	v_lshl_add_u32 v27, v27, 10, v62
	v_cndmask_b32_e64 v26, v28, v26, s[2:3]
	v_and_or_b32 v20, v20, s17, v27
	v_lshl_or_b32 v20, v26, 7, v20
	v_cvt_f32_f16_e32 v26, v20
.LBB313_1401:                           ;   in Loop: Header=BB313_1067 Depth=1
	s_or_b64 exec, exec, s[12:13]
	v_lshrrev_b32_e32 v20, 24, v47
	v_cmp_lt_i16_e64 s[2:3], s5, v20
	s_mov_b64 s[12:13], 0
                                        ; implicit-def: $sgpr28
	s_and_saveexec_b64 s[20:21], s[2:3]
	s_xor_b64 s[20:21], exec, s[20:21]
	s_cbranch_execnz .LBB313_1927
; %bb.1402:                             ;   in Loop: Header=BB313_1067 Depth=1
	s_or_saveexec_b64 s[20:21], s[20:21]
	v_mov_b32_e32 v28, s28
	s_xor_b64 exec, exec, s[20:21]
	s_cbranch_execnz .LBB313_1930
.LBB313_1403:                           ;   in Loop: Header=BB313_1067 Depth=1
	s_or_b64 exec, exec, s[20:21]
	s_and_saveexec_b64 s[20:21], s[12:13]
	s_cbranch_execz .LBB313_1405
.LBB313_1404:                           ;   in Loop: Header=BB313_1067 Depth=1
	v_bfe_u32 v27, v47, 24, 3
	v_ffbh_u32_e32 v28, v27
	v_min_u32_e32 v55, 32, v28
	v_subrev_u32_e32 v28, 28, v55
	v_bfe_u32 v54, v47, 27, 4
	v_lshlrev_b64 v[28:29], v28, v[20:21]
	v_sub_u32_e32 v29, 29, v55
	v_cmp_eq_u32_e64 s[2:3], 0, v54
	v_and_b32_e32 v28, 7, v28
	v_lshlrev_b32_e32 v20, 8, v20
	v_cndmask_b32_e64 v29, v54, v29, s[2:3]
	v_cndmask_b32_e64 v27, v27, v28, s[2:3]
	v_lshl_add_u32 v28, v29, 10, v62
	v_and_or_b32 v20, v20, s17, v28
	v_lshl_or_b32 v20, v27, 7, v20
	v_cvt_f32_f16_e32 v28, v20
.LBB313_1405:                           ;   in Loop: Header=BB313_1067 Depth=1
	s_or_b64 exec, exec, s[20:21]
	s_waitcnt vmcnt(0) lgkmcnt(0)
	v_pk_mul_f32 v[54:55], v[44:45], v[58:59] op_sel_hi:[0,1]
	v_pk_mul_f32 v[40:41], v[44:45], v[56:57] op_sel_hi:[0,1]
	v_cvt_f16_f32_e32 v20, v55
	v_cvt_f16_f32_e32 v27, v54
	;; [unrolled: 1-line block ×4, first 2 shown]
	v_fma_mixlo_f16 v22, v44, v22, 0
	v_lshlrev_b32_e32 v22, 16, v22
	v_fma_mixlo_f16 v16, v44, v16, 0
	v_or_b32_sdwa v16, v22, v16 dst_sel:DWORD dst_unused:UNUSED_PAD src0_sel:DWORD src1_sel:WORD_0
	v_fma_mixlo_f16 v22, v44, v28, 0
	v_pack_b32_f16 v27, v27, v20
	v_pack_b32_f16 v29, v54, v29
	v_fma_mixlo_f16 v26, v44, v26, 0
	v_lshlrev_b32_e32 v22, 16, v22
	v_perm_b32 v20, v29, v27, s25
	v_perm_b32 v27, v29, v27, s26
	v_or_b32_sdwa v22, v22, v26 dst_sel:DWORD dst_unused:UNUSED_PAD src0_sel:DWORD src1_sel:WORD_0
	s_and_saveexec_b64 s[12:13], vcc
	s_cbranch_execz .LBB313_1407
; %bb.1406:                             ;   in Loop: Header=BB313_1067 Depth=1
	scratch_load_dwordx2 v[54:55], off, s32 offset:196 ; 8-byte Folded Reload
	v_lshrrev_b32_e32 v28, 16, v27
	v_cmp_lt_i32_e64 s[2:3], v50, v17
	v_lshrrev_b32_e32 v22, 16, v22
	s_nop 0
	v_cndmask_b32_e64 v28, 0, v28, s[2:3]
	s_waitcnt vmcnt(0)
	v_cmp_lt_i32_e64 s[2:3], v7, v54
	s_nop 1
	v_cndmask_b32_e64 v27, 0, v27, s[2:3]
	v_perm_b32 v27, v28, v27, s27
	v_lshrrev_b32_e32 v28, 16, v20
	v_cmp_lt_i32_e64 s[2:3], v49, v17
	s_nop 1
	v_cndmask_b32_e64 v28, 0, v28, s[2:3]
	v_cmp_lt_i32_e64 s[2:3], v48, v54
	s_nop 1
	v_cndmask_b32_e64 v20, 0, v20, s[2:3]
	v_perm_b32 v20, v28, v20, s27
	v_lshrrev_b32_e32 v28, 16, v16
	v_cmp_lt_i32_e64 s[2:3], v11, v17
	s_nop 1
	v_cndmask_b32_e64 v28, 0, v28, s[2:3]
	v_cmp_lt_i32_e64 s[2:3], v10, v54
	s_nop 1
	v_cndmask_b32_e64 v16, 0, v16, s[2:3]
	v_cmp_lt_i32_e64 s[2:3], v4, v17
	v_perm_b32 v16, v28, v16, s27
	s_nop 0
	v_cndmask_b32_e64 v22, 0, v22, s[2:3]
	v_cmp_lt_i32_e64 s[2:3], v5, v54
	s_nop 1
	v_cndmask_b32_e64 v26, 0, v26, s[2:3]
	v_perm_b32 v22, v22, v26, s27
.LBB313_1407:                           ;   in Loop: Header=BB313_1067 Depth=1
	s_or_b64 exec, exec, s[12:13]
	;;#ASMSTART
	v_pk_mul_f16 v26, v36, v27;

	;;#ASMEND
	;;#ASMSTART
	v_pk_mul_f16 v20, v37, v20;

	;;#ASMEND
	;; [unrolled: 4-line block ×4, first 2 shown]
	s_mov_b64 s[2:3], 0
	;;#ASMSTART
	v_pk_add_f16 v20, v26, v20;

	;;#ASMEND
	v_accvgpr_read_b32 v26, a30
	;;#ASMSTART
	v_pk_add_f16 v16, v20, v16;

	;;#ASMEND
	v_accvgpr_read_b32 v27, a31
	;;#ASMSTART
	v_pk_add_f16 v16, v16, v22;

	;;#ASMEND
	v_lshl_add_u64 v[26:27], v[18:19], 0, v[26:27]
	v_lshrrev_b32_e32 v20, 16, v16
	v_and_b32_e32 v16, 0xffff, v16
	;;#ASMSTART
	v_cvt_f32_f16 v54, v16;
	;;#ASMEND
	;;#ASMSTART
	v_cvt_f32_f16 v55, v20;
	;;#ASMEND
	flat_load_dwordx2 v[46:47], v[26:27]
	s_nop 0
	scratch_load_dwordx2 v[26:27], off, s32 offset:188 ; 8-byte Folded Reload
                                        ; implicit-def: $sgpr22
	s_waitcnt vmcnt(0) lgkmcnt(0)
	v_cmp_gt_i16_sdwa s[12:13], v46, s5 src0_sel:BYTE_0 src1_sel:DWORD
	flat_load_dword v44, v[26:27]
	s_and_saveexec_b64 s[20:21], s[12:13]
	s_xor_b64 s[12:13], exec, s[20:21]
	s_cbranch_execnz .LBB313_1931
; %bb.1408:                             ;   in Loop: Header=BB313_1067 Depth=1
	s_or_saveexec_b64 s[12:13], s[12:13]
	v_mov_b32_e32 v56, s22
	s_xor_b64 exec, exec, s[12:13]
	s_cbranch_execnz .LBB313_1934
.LBB313_1409:                           ;   in Loop: Header=BB313_1067 Depth=1
	s_or_b64 exec, exec, s[12:13]
	s_and_saveexec_b64 s[12:13], s[2:3]
	s_cbranch_execz .LBB313_1411
.LBB313_1410:                           ;   in Loop: Header=BB313_1067 Depth=1
	v_and_b32_e32 v16, 7, v46
	v_ffbh_u32_e32 v16, v16
	v_bfe_u32 v20, v46, 3, 4
	v_min_u32_e32 v16, 32, v16
	v_subrev_u32_e32 v22, 28, v16
	v_sub_u32_e32 v16, 29, v16
	v_cmp_eq_u32_e64 s[2:3], 0, v20
	s_nop 1
	v_cndmask_b32_e64 v16, v20, v16, s[2:3]
	v_cndmask_b32_e64 v20, 0, v22, s[2:3]
	v_lshlrev_b64 v[26:27], v20, v[46:47]
	v_lshlrev_b32_e32 v22, 8, v46
	v_lshl_add_u32 v16, v16, 10, v62
	v_lshlrev_b32_e32 v20, 7, v26
	v_and_or_b32 v16, v22, s17, v16
	v_and_or_b32 v16, v20, s24, v16
	v_cvt_f32_f16_e32 v56, v16
.LBB313_1411:                           ;   in Loop: Header=BB313_1067 Depth=1
	s_or_b64 exec, exec, s[12:13]
	v_lshrrev_b16_e32 v20, 8, v46
	v_cmp_lt_i16_e64 s[2:3], s5, v20
	s_mov_b64 s[12:13], 0
                                        ; implicit-def: $sgpr28
	s_and_saveexec_b64 s[20:21], s[2:3]
	s_xor_b64 s[20:21], exec, s[20:21]
	s_cbranch_execnz .LBB313_1935
; %bb.1412:                             ;   in Loop: Header=BB313_1067 Depth=1
	s_or_saveexec_b64 s[20:21], s[20:21]
	v_mov_b32_e32 v58, s28
	s_xor_b64 exec, exec, s[20:21]
	s_cbranch_execnz .LBB313_1938
.LBB313_1413:                           ;   in Loop: Header=BB313_1067 Depth=1
	s_or_b64 exec, exec, s[20:21]
	s_and_saveexec_b64 s[20:21], s[12:13]
	s_cbranch_execz .LBB313_1415
.LBB313_1414:                           ;   in Loop: Header=BB313_1067 Depth=1
	v_and_b32_e32 v16, 7, v20
	v_ffbh_u32_e32 v26, v16
	v_min_u32_e32 v28, 32, v26
	v_subrev_u32_e32 v26, 28, v28
	v_bfe_u32 v22, v20, 3, 4
	v_lshlrev_b64 v[26:27], v26, v[20:21]
	v_sub_u32_e32 v27, 29, v28
	v_cmp_eq_u32_e64 s[2:3], 0, v22
	v_and_b32_e32 v26, 7, v26
	v_lshlrev_b32_e32 v20, 8, v20
	v_cndmask_b32_e64 v22, v22, v27, s[2:3]
	v_lshl_add_u32 v22, v22, 10, v62
	v_cndmask_b32_e64 v16, v16, v26, s[2:3]
	v_and_or_b32 v20, v20, s17, v22
	v_lshl_or_b32 v16, v16, 7, v20
	v_cvt_f32_f16_e32 v58, v16
.LBB313_1415:                           ;   in Loop: Header=BB313_1067 Depth=1
	s_or_b64 exec, exec, s[20:21]
	v_lshrrev_b32_e32 v20, 16, v46
	v_cmp_gt_i16_sdwa s[12:13], v20, s5 src0_sel:BYTE_0 src1_sel:DWORD
	s_mov_b64 s[2:3], 0
                                        ; implicit-def: $sgpr22
	s_and_saveexec_b64 s[20:21], s[12:13]
	s_xor_b64 s[12:13], exec, s[20:21]
	s_cbranch_execnz .LBB313_1939
; %bb.1416:                             ;   in Loop: Header=BB313_1067 Depth=1
	s_or_saveexec_b64 s[12:13], s[12:13]
	v_mov_b32_e32 v57, s22
	s_xor_b64 exec, exec, s[12:13]
	s_cbranch_execnz .LBB313_1942
.LBB313_1417:                           ;   in Loop: Header=BB313_1067 Depth=1
	s_or_b64 exec, exec, s[12:13]
	s_and_saveexec_b64 s[12:13], s[2:3]
	s_cbranch_execz .LBB313_1419
.LBB313_1418:                           ;   in Loop: Header=BB313_1067 Depth=1
	v_bfe_u32 v16, v46, 16, 3
	v_ffbh_u32_e32 v26, v16
	v_min_u32_e32 v28, 32, v26
	v_subrev_u32_e32 v26, 28, v28
	v_bfe_u32 v22, v46, 19, 4
	v_lshlrev_b64 v[26:27], v26, v[20:21]
	v_sub_u32_e32 v27, 29, v28
	v_cmp_eq_u32_e64 s[2:3], 0, v22
	v_and_b32_e32 v26, 7, v26
	v_lshlrev_b32_e32 v20, 8, v20
	v_cndmask_b32_e64 v22, v22, v27, s[2:3]
	v_lshl_add_u32 v22, v22, 10, v62
	v_cndmask_b32_e64 v16, v16, v26, s[2:3]
	v_and_or_b32 v20, v20, s17, v22
	v_lshl_or_b32 v16, v16, 7, v20
	v_cvt_f32_f16_e32 v57, v16
.LBB313_1419:                           ;   in Loop: Header=BB313_1067 Depth=1
	s_or_b64 exec, exec, s[12:13]
	v_lshrrev_b32_e32 v20, 24, v46
	v_cmp_lt_i16_e64 s[2:3], s5, v20
	s_mov_b64 s[12:13], 0
                                        ; implicit-def: $sgpr28
	s_and_saveexec_b64 s[20:21], s[2:3]
	s_xor_b64 s[20:21], exec, s[20:21]
	s_cbranch_execnz .LBB313_1943
; %bb.1420:                             ;   in Loop: Header=BB313_1067 Depth=1
	s_or_saveexec_b64 s[20:21], s[20:21]
	v_mov_b32_e32 v59, s28
	s_xor_b64 exec, exec, s[20:21]
	s_cbranch_execnz .LBB313_1946
.LBB313_1421:                           ;   in Loop: Header=BB313_1067 Depth=1
	s_or_b64 exec, exec, s[20:21]
	s_and_saveexec_b64 s[20:21], s[12:13]
	s_cbranch_execz .LBB313_1423
.LBB313_1422:                           ;   in Loop: Header=BB313_1067 Depth=1
	v_bfe_u32 v16, v46, 24, 3
	v_ffbh_u32_e32 v26, v16
	v_min_u32_e32 v28, 32, v26
	v_subrev_u32_e32 v26, 28, v28
	v_bfe_u32 v22, v46, 27, 4
	v_lshlrev_b64 v[26:27], v26, v[20:21]
	v_sub_u32_e32 v27, 29, v28
	v_cmp_eq_u32_e64 s[2:3], 0, v22
	v_and_b32_e32 v26, 7, v26
	v_lshlrev_b32_e32 v20, 8, v20
	v_cndmask_b32_e64 v22, v22, v27, s[2:3]
	v_lshl_add_u32 v22, v22, 10, v62
	v_cndmask_b32_e64 v16, v16, v26, s[2:3]
	v_and_or_b32 v20, v20, s17, v22
	v_lshl_or_b32 v16, v16, 7, v20
	v_cvt_f32_f16_e32 v59, v16
.LBB313_1423:                           ;   in Loop: Header=BB313_1067 Depth=1
	s_or_b64 exec, exec, s[20:21]
	v_cmp_gt_i16_sdwa s[12:13], v47, s5 src0_sel:BYTE_0 src1_sel:DWORD
	s_mov_b64 s[2:3], 0
                                        ; implicit-def: $sgpr22
	s_and_saveexec_b64 s[20:21], s[12:13]
	s_xor_b64 s[12:13], exec, s[20:21]
	s_cbranch_execnz .LBB313_1947
; %bb.1424:                             ;   in Loop: Header=BB313_1067 Depth=1
	s_or_saveexec_b64 s[12:13], s[12:13]
	v_mov_b32_e32 v16, s22
	s_xor_b64 exec, exec, s[12:13]
	s_cbranch_execnz .LBB313_1950
.LBB313_1425:                           ;   in Loop: Header=BB313_1067 Depth=1
	s_or_b64 exec, exec, s[12:13]
	v_mov_b32_e32 v20, v47
	s_and_saveexec_b64 s[12:13], s[2:3]
	s_cbranch_execz .LBB313_1427
.LBB313_1426:                           ;   in Loop: Header=BB313_1067 Depth=1
	v_and_b32_e32 v16, 7, v47
	v_ffbh_u32_e32 v16, v16
	v_bfe_u32 v22, v47, 3, 4
	v_min_u32_e32 v16, 32, v16
	v_subrev_u32_e32 v26, 28, v16
	v_sub_u32_e32 v16, 29, v16
	v_cmp_eq_u32_e64 s[2:3], 0, v22
	s_nop 1
	v_cndmask_b32_e64 v16, v22, v16, s[2:3]
	v_cndmask_b32_e64 v22, 0, v26, s[2:3]
	v_lshlrev_b64 v[26:27], v22, v[20:21]
	v_lshlrev_b32_e32 v22, 7, v26
	v_lshlrev_b32_e32 v26, 8, v47
	v_lshl_add_u32 v16, v16, 10, v62
	v_and_or_b32 v16, v26, s17, v16
	v_and_or_b32 v16, v22, s24, v16
	v_cvt_f32_f16_e32 v16, v16
.LBB313_1427:                           ;   in Loop: Header=BB313_1067 Depth=1
	s_or_b64 exec, exec, s[12:13]
	v_lshrrev_b16_e32 v20, 8, v20
	v_cmp_lt_i16_e64 s[2:3], s5, v20
	s_mov_b64 s[12:13], 0
                                        ; implicit-def: $sgpr28
	s_and_saveexec_b64 s[20:21], s[2:3]
	s_xor_b64 s[20:21], exec, s[20:21]
	s_cbranch_execnz .LBB313_1951
; %bb.1428:                             ;   in Loop: Header=BB313_1067 Depth=1
	s_or_saveexec_b64 s[20:21], s[20:21]
	v_mov_b32_e32 v22, s28
	s_xor_b64 exec, exec, s[20:21]
	s_cbranch_execnz .LBB313_1954
.LBB313_1429:                           ;   in Loop: Header=BB313_1067 Depth=1
	s_or_b64 exec, exec, s[20:21]
	s_and_saveexec_b64 s[20:21], s[12:13]
	s_cbranch_execz .LBB313_1431
.LBB313_1430:                           ;   in Loop: Header=BB313_1067 Depth=1
	v_and_b32_e32 v22, 7, v20
	v_ffbh_u32_e32 v26, v22
	v_min_u32_e32 v29, 32, v26
	v_subrev_u32_e32 v26, 28, v29
	v_bfe_u32 v28, v20, 3, 4
	v_lshlrev_b64 v[26:27], v26, v[20:21]
	v_sub_u32_e32 v27, 29, v29
	v_cmp_eq_u32_e64 s[2:3], 0, v28
	v_and_b32_e32 v26, 7, v26
	v_lshlrev_b32_e32 v20, 8, v20
	v_cndmask_b32_e64 v27, v28, v27, s[2:3]
	v_cndmask_b32_e64 v22, v22, v26, s[2:3]
	v_lshl_add_u32 v26, v27, 10, v62
	v_and_or_b32 v20, v20, s17, v26
	v_lshl_or_b32 v20, v22, 7, v20
	v_cvt_f32_f16_e32 v22, v20
.LBB313_1431:                           ;   in Loop: Header=BB313_1067 Depth=1
	s_or_b64 exec, exec, s[20:21]
	v_lshrrev_b32_e32 v20, 16, v47
	v_cmp_gt_i16_sdwa s[12:13], v20, s5 src0_sel:BYTE_0 src1_sel:DWORD
	s_mov_b64 s[2:3], 0
                                        ; implicit-def: $sgpr22
	s_and_saveexec_b64 s[20:21], s[12:13]
	s_xor_b64 s[12:13], exec, s[20:21]
	s_cbranch_execnz .LBB313_1955
; %bb.1432:                             ;   in Loop: Header=BB313_1067 Depth=1
	s_or_saveexec_b64 s[12:13], s[12:13]
	v_mov_b32_e32 v26, s22
	s_xor_b64 exec, exec, s[12:13]
	s_cbranch_execnz .LBB313_1958
.LBB313_1433:                           ;   in Loop: Header=BB313_1067 Depth=1
	s_or_b64 exec, exec, s[12:13]
	s_and_saveexec_b64 s[12:13], s[2:3]
	s_cbranch_execz .LBB313_1435
.LBB313_1434:                           ;   in Loop: Header=BB313_1067 Depth=1
	v_bfe_u32 v28, v47, 16, 3
	v_ffbh_u32_e32 v26, v28
	v_min_u32_e32 v40, 32, v26
	v_subrev_u32_e32 v26, 28, v40
	v_bfe_u32 v29, v47, 19, 4
	v_lshlrev_b64 v[26:27], v26, v[20:21]
	v_sub_u32_e32 v27, 29, v40
	v_cmp_eq_u32_e64 s[2:3], 0, v29
	v_and_b32_e32 v26, 7, v26
	v_lshlrev_b32_e32 v20, 8, v20
	v_cndmask_b32_e64 v27, v29, v27, s[2:3]
	v_lshl_add_u32 v27, v27, 10, v62
	v_cndmask_b32_e64 v26, v28, v26, s[2:3]
	v_and_or_b32 v20, v20, s17, v27
	v_lshl_or_b32 v20, v26, 7, v20
	v_cvt_f32_f16_e32 v26, v20
.LBB313_1435:                           ;   in Loop: Header=BB313_1067 Depth=1
	s_or_b64 exec, exec, s[12:13]
	v_lshrrev_b32_e32 v20, 24, v47
	v_cmp_lt_i16_e64 s[2:3], s5, v20
	s_mov_b64 s[12:13], 0
                                        ; implicit-def: $sgpr28
	s_and_saveexec_b64 s[20:21], s[2:3]
	s_xor_b64 s[20:21], exec, s[20:21]
	s_cbranch_execnz .LBB313_1959
; %bb.1436:                             ;   in Loop: Header=BB313_1067 Depth=1
	s_or_saveexec_b64 s[20:21], s[20:21]
	v_mov_b32_e32 v28, s28
	s_xor_b64 exec, exec, s[20:21]
	s_cbranch_execnz .LBB313_1962
.LBB313_1437:                           ;   in Loop: Header=BB313_1067 Depth=1
	s_or_b64 exec, exec, s[20:21]
	s_and_saveexec_b64 s[20:21], s[12:13]
	s_cbranch_execz .LBB313_1439
.LBB313_1438:                           ;   in Loop: Header=BB313_1067 Depth=1
	v_bfe_u32 v27, v47, 24, 3
	v_ffbh_u32_e32 v28, v27
	v_min_u32_e32 v41, 32, v28
	v_subrev_u32_e32 v28, 28, v41
	v_bfe_u32 v40, v47, 27, 4
	v_lshlrev_b64 v[28:29], v28, v[20:21]
	v_sub_u32_e32 v29, 29, v41
	v_cmp_eq_u32_e64 s[2:3], 0, v40
	v_and_b32_e32 v28, 7, v28
	v_lshlrev_b32_e32 v20, 8, v20
	v_cndmask_b32_e64 v29, v40, v29, s[2:3]
	v_cndmask_b32_e64 v27, v27, v28, s[2:3]
	v_lshl_add_u32 v28, v29, 10, v62
	v_and_or_b32 v20, v20, s17, v28
	v_lshl_or_b32 v20, v27, 7, v20
	v_cvt_f32_f16_e32 v28, v20
.LBB313_1439:                           ;   in Loop: Header=BB313_1067 Depth=1
	s_or_b64 exec, exec, s[20:21]
	s_waitcnt vmcnt(0) lgkmcnt(0)
	v_pk_mul_f32 v[40:41], v[44:45], v[58:59] op_sel_hi:[0,1]
	v_pk_mul_f32 v[42:43], v[44:45], v[56:57] op_sel_hi:[0,1]
	v_cvt_f16_f32_e32 v20, v41
	v_cvt_f16_f32_e32 v27, v40
	;; [unrolled: 1-line block ×4, first 2 shown]
	v_fma_mixlo_f16 v22, v44, v22, 0
	v_lshlrev_b32_e32 v22, 16, v22
	v_fma_mixlo_f16 v16, v44, v16, 0
	v_or_b32_sdwa v16, v22, v16 dst_sel:DWORD dst_unused:UNUSED_PAD src0_sel:DWORD src1_sel:WORD_0
	v_fma_mixlo_f16 v22, v44, v28, 0
	v_pack_b32_f16 v27, v27, v20
	v_pack_b32_f16 v29, v40, v29
	v_fma_mixlo_f16 v26, v44, v26, 0
	v_lshlrev_b32_e32 v22, 16, v22
	v_perm_b32 v20, v29, v27, s25
	v_perm_b32 v27, v29, v27, s26
	v_or_b32_sdwa v22, v22, v26 dst_sel:DWORD dst_unused:UNUSED_PAD src0_sel:DWORD src1_sel:WORD_0
	s_and_saveexec_b64 s[12:13], vcc
	s_cbranch_execz .LBB313_1441
; %bb.1440:                             ;   in Loop: Header=BB313_1067 Depth=1
	scratch_load_dwordx2 v[40:41], off, s32 offset:196 ; 8-byte Folded Reload
	v_lshrrev_b32_e32 v28, 16, v27
	v_cmp_lt_i32_e64 s[2:3], v50, v17
	v_lshrrev_b32_e32 v22, 16, v22
	s_nop 0
	v_cndmask_b32_e64 v28, 0, v28, s[2:3]
	s_waitcnt vmcnt(0)
	v_cmp_lt_i32_e64 s[2:3], v7, v40
	s_nop 1
	v_cndmask_b32_e64 v27, 0, v27, s[2:3]
	v_perm_b32 v27, v28, v27, s27
	v_lshrrev_b32_e32 v28, 16, v20
	v_cmp_lt_i32_e64 s[2:3], v49, v17
	s_nop 1
	v_cndmask_b32_e64 v28, 0, v28, s[2:3]
	v_cmp_lt_i32_e64 s[2:3], v48, v40
	s_nop 1
	v_cndmask_b32_e64 v20, 0, v20, s[2:3]
	v_perm_b32 v20, v28, v20, s27
	v_lshrrev_b32_e32 v28, 16, v16
	v_cmp_lt_i32_e64 s[2:3], v11, v17
	s_nop 1
	v_cndmask_b32_e64 v28, 0, v28, s[2:3]
	v_cmp_lt_i32_e64 s[2:3], v10, v40
	s_nop 1
	v_cndmask_b32_e64 v16, 0, v16, s[2:3]
	v_cmp_lt_i32_e64 s[2:3], v4, v17
	v_perm_b32 v16, v28, v16, s27
	s_nop 0
	v_cndmask_b32_e64 v22, 0, v22, s[2:3]
	v_cmp_lt_i32_e64 s[2:3], v5, v40
	s_nop 1
	v_cndmask_b32_e64 v26, 0, v26, s[2:3]
	v_perm_b32 v22, v22, v26, s27
.LBB313_1441:                           ;   in Loop: Header=BB313_1067 Depth=1
	s_or_b64 exec, exec, s[12:13]
	;;#ASMSTART
	v_pk_mul_f16 v26, v36, v27;

	;;#ASMEND
	;;#ASMSTART
	v_pk_mul_f16 v20, v37, v20;

	;;#ASMEND
	;; [unrolled: 4-line block ×4, first 2 shown]
	s_mov_b64 s[2:3], 0
	;;#ASMSTART
	v_pk_add_f16 v20, v26, v20;

	;;#ASMEND
	v_accvgpr_read_b32 v26, a32
	;;#ASMSTART
	v_pk_add_f16 v16, v20, v16;

	;;#ASMEND
	v_accvgpr_read_b32 v27, a33
	;;#ASMSTART
	v_pk_add_f16 v16, v16, v22;

	;;#ASMEND
	v_lshl_add_u64 v[26:27], v[18:19], 0, v[26:27]
	v_lshrrev_b32_e32 v20, 16, v16
	v_and_b32_e32 v16, 0xffff, v16
	;;#ASMSTART
	v_cvt_f32_f16 v40, v16;
	;;#ASMEND
	;;#ASMSTART
	v_cvt_f32_f16 v41, v20;
	;;#ASMEND
	flat_load_dwordx2 v[46:47], v[26:27]
	s_nop 0
	scratch_load_dwordx2 v[26:27], off, s32 offset:188 ; 8-byte Folded Reload
                                        ; implicit-def: $sgpr22
	s_waitcnt vmcnt(0) lgkmcnt(0)
	v_cmp_gt_i16_sdwa s[12:13], v46, s5 src0_sel:BYTE_0 src1_sel:DWORD
	flat_load_dword v44, v[26:27]
	s_and_saveexec_b64 s[20:21], s[12:13]
	s_xor_b64 s[12:13], exec, s[20:21]
	s_cbranch_execnz .LBB313_1963
; %bb.1442:                             ;   in Loop: Header=BB313_1067 Depth=1
	s_or_saveexec_b64 s[12:13], s[12:13]
	v_mov_b32_e32 v56, s22
	s_xor_b64 exec, exec, s[12:13]
	s_cbranch_execnz .LBB313_1966
.LBB313_1443:                           ;   in Loop: Header=BB313_1067 Depth=1
	s_or_b64 exec, exec, s[12:13]
	s_and_saveexec_b64 s[12:13], s[2:3]
	s_cbranch_execz .LBB313_1445
.LBB313_1444:                           ;   in Loop: Header=BB313_1067 Depth=1
	v_and_b32_e32 v16, 7, v46
	v_ffbh_u32_e32 v16, v16
	v_bfe_u32 v20, v46, 3, 4
	v_min_u32_e32 v16, 32, v16
	v_subrev_u32_e32 v22, 28, v16
	v_sub_u32_e32 v16, 29, v16
	v_cmp_eq_u32_e64 s[2:3], 0, v20
	s_nop 1
	v_cndmask_b32_e64 v16, v20, v16, s[2:3]
	v_cndmask_b32_e64 v20, 0, v22, s[2:3]
	v_lshlrev_b64 v[26:27], v20, v[46:47]
	v_lshlrev_b32_e32 v22, 8, v46
	v_lshl_add_u32 v16, v16, 10, v62
	v_lshlrev_b32_e32 v20, 7, v26
	v_and_or_b32 v16, v22, s17, v16
	v_and_or_b32 v16, v20, s24, v16
	v_cvt_f32_f16_e32 v56, v16
.LBB313_1445:                           ;   in Loop: Header=BB313_1067 Depth=1
	s_or_b64 exec, exec, s[12:13]
	v_lshrrev_b16_e32 v20, 8, v46
	v_cmp_lt_i16_e64 s[2:3], s5, v20
	s_mov_b64 s[12:13], 0
                                        ; implicit-def: $sgpr28
	s_and_saveexec_b64 s[20:21], s[2:3]
	s_xor_b64 s[20:21], exec, s[20:21]
	s_cbranch_execnz .LBB313_1967
; %bb.1446:                             ;   in Loop: Header=BB313_1067 Depth=1
	s_or_saveexec_b64 s[20:21], s[20:21]
	v_mov_b32_e32 v58, s28
	s_xor_b64 exec, exec, s[20:21]
	s_cbranch_execnz .LBB313_1970
.LBB313_1447:                           ;   in Loop: Header=BB313_1067 Depth=1
	s_or_b64 exec, exec, s[20:21]
	s_and_saveexec_b64 s[20:21], s[12:13]
	s_cbranch_execz .LBB313_1449
.LBB313_1448:                           ;   in Loop: Header=BB313_1067 Depth=1
	v_and_b32_e32 v16, 7, v20
	v_ffbh_u32_e32 v26, v16
	v_min_u32_e32 v28, 32, v26
	v_subrev_u32_e32 v26, 28, v28
	v_bfe_u32 v22, v20, 3, 4
	v_lshlrev_b64 v[26:27], v26, v[20:21]
	v_sub_u32_e32 v27, 29, v28
	v_cmp_eq_u32_e64 s[2:3], 0, v22
	v_and_b32_e32 v26, 7, v26
	v_lshlrev_b32_e32 v20, 8, v20
	v_cndmask_b32_e64 v22, v22, v27, s[2:3]
	v_lshl_add_u32 v22, v22, 10, v62
	v_cndmask_b32_e64 v16, v16, v26, s[2:3]
	v_and_or_b32 v20, v20, s17, v22
	v_lshl_or_b32 v16, v16, 7, v20
	v_cvt_f32_f16_e32 v58, v16
.LBB313_1449:                           ;   in Loop: Header=BB313_1067 Depth=1
	s_or_b64 exec, exec, s[20:21]
	v_lshrrev_b32_e32 v20, 16, v46
	v_cmp_gt_i16_sdwa s[12:13], v20, s5 src0_sel:BYTE_0 src1_sel:DWORD
	s_mov_b64 s[2:3], 0
                                        ; implicit-def: $sgpr22
	s_and_saveexec_b64 s[20:21], s[12:13]
	s_xor_b64 s[12:13], exec, s[20:21]
	s_cbranch_execnz .LBB313_1971
; %bb.1450:                             ;   in Loop: Header=BB313_1067 Depth=1
	s_or_saveexec_b64 s[12:13], s[12:13]
	v_mov_b32_e32 v57, s22
	s_xor_b64 exec, exec, s[12:13]
	s_cbranch_execnz .LBB313_1974
.LBB313_1451:                           ;   in Loop: Header=BB313_1067 Depth=1
	s_or_b64 exec, exec, s[12:13]
	s_and_saveexec_b64 s[12:13], s[2:3]
	s_cbranch_execz .LBB313_1453
.LBB313_1452:                           ;   in Loop: Header=BB313_1067 Depth=1
	v_bfe_u32 v16, v46, 16, 3
	v_ffbh_u32_e32 v26, v16
	v_min_u32_e32 v28, 32, v26
	v_subrev_u32_e32 v26, 28, v28
	v_bfe_u32 v22, v46, 19, 4
	v_lshlrev_b64 v[26:27], v26, v[20:21]
	v_sub_u32_e32 v27, 29, v28
	v_cmp_eq_u32_e64 s[2:3], 0, v22
	v_and_b32_e32 v26, 7, v26
	v_lshlrev_b32_e32 v20, 8, v20
	v_cndmask_b32_e64 v22, v22, v27, s[2:3]
	v_lshl_add_u32 v22, v22, 10, v62
	v_cndmask_b32_e64 v16, v16, v26, s[2:3]
	v_and_or_b32 v20, v20, s17, v22
	v_lshl_or_b32 v16, v16, 7, v20
	v_cvt_f32_f16_e32 v57, v16
.LBB313_1453:                           ;   in Loop: Header=BB313_1067 Depth=1
	s_or_b64 exec, exec, s[12:13]
	v_lshrrev_b32_e32 v20, 24, v46
	v_cmp_lt_i16_e64 s[2:3], s5, v20
	s_mov_b64 s[12:13], 0
                                        ; implicit-def: $sgpr28
	s_and_saveexec_b64 s[20:21], s[2:3]
	s_xor_b64 s[20:21], exec, s[20:21]
	s_cbranch_execnz .LBB313_1975
; %bb.1454:                             ;   in Loop: Header=BB313_1067 Depth=1
	s_or_saveexec_b64 s[20:21], s[20:21]
	v_mov_b32_e32 v59, s28
	s_xor_b64 exec, exec, s[20:21]
	s_cbranch_execnz .LBB313_1978
.LBB313_1455:                           ;   in Loop: Header=BB313_1067 Depth=1
	s_or_b64 exec, exec, s[20:21]
	s_and_saveexec_b64 s[20:21], s[12:13]
	s_cbranch_execz .LBB313_1457
.LBB313_1456:                           ;   in Loop: Header=BB313_1067 Depth=1
	v_bfe_u32 v16, v46, 24, 3
	v_ffbh_u32_e32 v26, v16
	v_min_u32_e32 v28, 32, v26
	v_subrev_u32_e32 v26, 28, v28
	v_bfe_u32 v22, v46, 27, 4
	v_lshlrev_b64 v[26:27], v26, v[20:21]
	v_sub_u32_e32 v27, 29, v28
	v_cmp_eq_u32_e64 s[2:3], 0, v22
	v_and_b32_e32 v26, 7, v26
	v_lshlrev_b32_e32 v20, 8, v20
	v_cndmask_b32_e64 v22, v22, v27, s[2:3]
	v_lshl_add_u32 v22, v22, 10, v62
	v_cndmask_b32_e64 v16, v16, v26, s[2:3]
	v_and_or_b32 v20, v20, s17, v22
	v_lshl_or_b32 v16, v16, 7, v20
	v_cvt_f32_f16_e32 v59, v16
.LBB313_1457:                           ;   in Loop: Header=BB313_1067 Depth=1
	s_or_b64 exec, exec, s[20:21]
	v_cmp_gt_i16_sdwa s[12:13], v47, s5 src0_sel:BYTE_0 src1_sel:DWORD
	s_mov_b64 s[2:3], 0
                                        ; implicit-def: $sgpr22
	s_and_saveexec_b64 s[20:21], s[12:13]
	s_xor_b64 s[12:13], exec, s[20:21]
	s_cbranch_execnz .LBB313_1979
; %bb.1458:                             ;   in Loop: Header=BB313_1067 Depth=1
	s_or_saveexec_b64 s[12:13], s[12:13]
	v_mov_b32_e32 v16, s22
	s_xor_b64 exec, exec, s[12:13]
	s_cbranch_execnz .LBB313_1982
.LBB313_1459:                           ;   in Loop: Header=BB313_1067 Depth=1
	s_or_b64 exec, exec, s[12:13]
	v_mov_b32_e32 v20, v47
	s_and_saveexec_b64 s[12:13], s[2:3]
	s_cbranch_execz .LBB313_1461
.LBB313_1460:                           ;   in Loop: Header=BB313_1067 Depth=1
	v_and_b32_e32 v16, 7, v47
	v_ffbh_u32_e32 v16, v16
	v_bfe_u32 v22, v47, 3, 4
	v_min_u32_e32 v16, 32, v16
	v_subrev_u32_e32 v26, 28, v16
	v_sub_u32_e32 v16, 29, v16
	v_cmp_eq_u32_e64 s[2:3], 0, v22
	s_nop 1
	v_cndmask_b32_e64 v16, v22, v16, s[2:3]
	v_cndmask_b32_e64 v22, 0, v26, s[2:3]
	v_lshlrev_b64 v[26:27], v22, v[20:21]
	v_lshlrev_b32_e32 v22, 7, v26
	v_lshlrev_b32_e32 v26, 8, v47
	v_lshl_add_u32 v16, v16, 10, v62
	v_and_or_b32 v16, v26, s17, v16
	v_and_or_b32 v16, v22, s24, v16
	v_cvt_f32_f16_e32 v16, v16
.LBB313_1461:                           ;   in Loop: Header=BB313_1067 Depth=1
	s_or_b64 exec, exec, s[12:13]
	v_lshrrev_b16_e32 v20, 8, v20
	v_cmp_lt_i16_e64 s[2:3], s5, v20
	s_mov_b64 s[12:13], 0
                                        ; implicit-def: $sgpr28
	s_and_saveexec_b64 s[20:21], s[2:3]
	s_xor_b64 s[20:21], exec, s[20:21]
	s_cbranch_execnz .LBB313_1983
; %bb.1462:                             ;   in Loop: Header=BB313_1067 Depth=1
	s_or_saveexec_b64 s[20:21], s[20:21]
	v_mov_b32_e32 v22, s28
	s_xor_b64 exec, exec, s[20:21]
	s_cbranch_execnz .LBB313_1986
.LBB313_1463:                           ;   in Loop: Header=BB313_1067 Depth=1
	s_or_b64 exec, exec, s[20:21]
	s_and_saveexec_b64 s[20:21], s[12:13]
	s_cbranch_execz .LBB313_1465
.LBB313_1464:                           ;   in Loop: Header=BB313_1067 Depth=1
	v_and_b32_e32 v22, 7, v20
	v_ffbh_u32_e32 v26, v22
	v_min_u32_e32 v29, 32, v26
	v_subrev_u32_e32 v26, 28, v29
	v_bfe_u32 v28, v20, 3, 4
	v_lshlrev_b64 v[26:27], v26, v[20:21]
	v_sub_u32_e32 v27, 29, v29
	v_cmp_eq_u32_e64 s[2:3], 0, v28
	v_and_b32_e32 v26, 7, v26
	v_lshlrev_b32_e32 v20, 8, v20
	v_cndmask_b32_e64 v27, v28, v27, s[2:3]
	v_cndmask_b32_e64 v22, v22, v26, s[2:3]
	v_lshl_add_u32 v26, v27, 10, v62
	v_and_or_b32 v20, v20, s17, v26
	v_lshl_or_b32 v20, v22, 7, v20
	v_cvt_f32_f16_e32 v22, v20
.LBB313_1465:                           ;   in Loop: Header=BB313_1067 Depth=1
	s_or_b64 exec, exec, s[20:21]
	v_lshrrev_b32_e32 v20, 16, v47
	v_cmp_gt_i16_sdwa s[12:13], v20, s5 src0_sel:BYTE_0 src1_sel:DWORD
	s_mov_b64 s[2:3], 0
                                        ; implicit-def: $sgpr22
	s_and_saveexec_b64 s[20:21], s[12:13]
	s_xor_b64 s[12:13], exec, s[20:21]
	s_cbranch_execnz .LBB313_1987
; %bb.1466:                             ;   in Loop: Header=BB313_1067 Depth=1
	s_or_saveexec_b64 s[12:13], s[12:13]
	v_mov_b32_e32 v26, s22
	s_xor_b64 exec, exec, s[12:13]
	s_cbranch_execnz .LBB313_1990
.LBB313_1467:                           ;   in Loop: Header=BB313_1067 Depth=1
	s_or_b64 exec, exec, s[12:13]
	s_and_saveexec_b64 s[12:13], s[2:3]
	s_cbranch_execz .LBB313_1469
.LBB313_1468:                           ;   in Loop: Header=BB313_1067 Depth=1
	v_bfe_u32 v28, v47, 16, 3
	v_ffbh_u32_e32 v26, v28
	v_min_u32_e32 v42, 32, v26
	v_subrev_u32_e32 v26, 28, v42
	v_bfe_u32 v29, v47, 19, 4
	v_lshlrev_b64 v[26:27], v26, v[20:21]
	v_sub_u32_e32 v27, 29, v42
	v_cmp_eq_u32_e64 s[2:3], 0, v29
	v_and_b32_e32 v26, 7, v26
	v_lshlrev_b32_e32 v20, 8, v20
	v_cndmask_b32_e64 v27, v29, v27, s[2:3]
	v_lshl_add_u32 v27, v27, 10, v62
	v_cndmask_b32_e64 v26, v28, v26, s[2:3]
	v_and_or_b32 v20, v20, s17, v27
	v_lshl_or_b32 v20, v26, 7, v20
	v_cvt_f32_f16_e32 v26, v20
.LBB313_1469:                           ;   in Loop: Header=BB313_1067 Depth=1
	s_or_b64 exec, exec, s[12:13]
	v_lshrrev_b32_e32 v20, 24, v47
	v_cmp_lt_i16_e64 s[2:3], s5, v20
	s_mov_b64 s[12:13], 0
                                        ; implicit-def: $sgpr28
	s_and_saveexec_b64 s[20:21], s[2:3]
	s_xor_b64 s[20:21], exec, s[20:21]
	s_cbranch_execnz .LBB313_1991
; %bb.1470:                             ;   in Loop: Header=BB313_1067 Depth=1
	s_or_saveexec_b64 s[20:21], s[20:21]
	v_mov_b32_e32 v28, s28
	s_xor_b64 exec, exec, s[20:21]
	s_cbranch_execnz .LBB313_1994
.LBB313_1471:                           ;   in Loop: Header=BB313_1067 Depth=1
	s_or_b64 exec, exec, s[20:21]
	s_and_saveexec_b64 s[20:21], s[12:13]
	s_cbranch_execz .LBB313_1473
.LBB313_1472:                           ;   in Loop: Header=BB313_1067 Depth=1
	v_bfe_u32 v27, v47, 24, 3
	v_ffbh_u32_e32 v28, v27
	v_min_u32_e32 v43, 32, v28
	v_subrev_u32_e32 v28, 28, v43
	v_bfe_u32 v42, v47, 27, 4
	v_lshlrev_b64 v[28:29], v28, v[20:21]
	v_sub_u32_e32 v29, 29, v43
	v_cmp_eq_u32_e64 s[2:3], 0, v42
	v_and_b32_e32 v28, 7, v28
	v_lshlrev_b32_e32 v20, 8, v20
	v_cndmask_b32_e64 v29, v42, v29, s[2:3]
	v_cndmask_b32_e64 v27, v27, v28, s[2:3]
	v_lshl_add_u32 v28, v29, 10, v62
	v_and_or_b32 v20, v20, s17, v28
	v_lshl_or_b32 v20, v27, 7, v20
	v_cvt_f32_f16_e32 v28, v20
.LBB313_1473:                           ;   in Loop: Header=BB313_1067 Depth=1
	s_or_b64 exec, exec, s[20:21]
	s_waitcnt vmcnt(0) lgkmcnt(0)
	v_pk_mul_f32 v[42:43], v[44:45], v[58:59] op_sel_hi:[0,1]
	v_pk_mul_f32 v[46:47], v[44:45], v[56:57] op_sel_hi:[0,1]
	v_cvt_f16_f32_e32 v20, v43
	v_cvt_f16_f32_e32 v27, v42
	v_cvt_f16_f32_e32 v29, v47
	v_cvt_f16_f32_e32 v42, v46
	v_fma_mixlo_f16 v22, v44, v22, 0
	v_lshlrev_b32_e32 v22, 16, v22
	v_fma_mixlo_f16 v16, v44, v16, 0
	v_or_b32_sdwa v16, v22, v16 dst_sel:DWORD dst_unused:UNUSED_PAD src0_sel:DWORD src1_sel:WORD_0
	v_fma_mixlo_f16 v22, v44, v28, 0
	v_pack_b32_f16 v27, v27, v20
	v_pack_b32_f16 v29, v42, v29
	v_fma_mixlo_f16 v26, v44, v26, 0
	v_lshlrev_b32_e32 v22, 16, v22
	v_perm_b32 v20, v29, v27, s25
	v_perm_b32 v27, v29, v27, s26
	v_or_b32_sdwa v22, v22, v26 dst_sel:DWORD dst_unused:UNUSED_PAD src0_sel:DWORD src1_sel:WORD_0
	s_and_saveexec_b64 s[12:13], vcc
	s_cbranch_execz .LBB313_1475
; %bb.1474:                             ;   in Loop: Header=BB313_1067 Depth=1
	scratch_load_dwordx2 v[42:43], off, s32 offset:196 ; 8-byte Folded Reload
	v_lshrrev_b32_e32 v28, 16, v27
	v_cmp_lt_i32_e64 s[2:3], v50, v17
	v_lshrrev_b32_e32 v22, 16, v22
	s_nop 0
	v_cndmask_b32_e64 v28, 0, v28, s[2:3]
	s_waitcnt vmcnt(0)
	v_cmp_lt_i32_e64 s[2:3], v7, v42
	s_nop 1
	v_cndmask_b32_e64 v27, 0, v27, s[2:3]
	v_perm_b32 v27, v28, v27, s27
	v_lshrrev_b32_e32 v28, 16, v20
	v_cmp_lt_i32_e64 s[2:3], v49, v17
	s_nop 1
	v_cndmask_b32_e64 v28, 0, v28, s[2:3]
	v_cmp_lt_i32_e64 s[2:3], v48, v42
	s_nop 1
	v_cndmask_b32_e64 v20, 0, v20, s[2:3]
	v_perm_b32 v20, v28, v20, s27
	v_lshrrev_b32_e32 v28, 16, v16
	v_cmp_lt_i32_e64 s[2:3], v11, v17
	s_nop 1
	v_cndmask_b32_e64 v28, 0, v28, s[2:3]
	v_cmp_lt_i32_e64 s[2:3], v10, v42
	s_nop 1
	v_cndmask_b32_e64 v16, 0, v16, s[2:3]
	v_cmp_lt_i32_e64 s[2:3], v4, v17
	v_perm_b32 v16, v28, v16, s27
	s_nop 0
	v_cndmask_b32_e64 v22, 0, v22, s[2:3]
	v_cmp_lt_i32_e64 s[2:3], v5, v42
	s_nop 1
	v_cndmask_b32_e64 v26, 0, v26, s[2:3]
	v_perm_b32 v22, v22, v26, s27
.LBB313_1475:                           ;   in Loop: Header=BB313_1067 Depth=1
	s_or_b64 exec, exec, s[12:13]
	;;#ASMSTART
	v_pk_mul_f16 v26, v36, v27;

	;;#ASMEND
	;;#ASMSTART
	v_pk_mul_f16 v20, v37, v20;

	;;#ASMEND
	;; [unrolled: 4-line block ×4, first 2 shown]
	s_mov_b64 s[2:3], 0
	;;#ASMSTART
	v_pk_add_f16 v20, v26, v20;

	;;#ASMEND
	v_accvgpr_read_b32 v26, a34
	;;#ASMSTART
	v_pk_add_f16 v16, v20, v16;

	;;#ASMEND
	v_accvgpr_read_b32 v27, a35
	;;#ASMSTART
	v_pk_add_f16 v16, v16, v22;

	;;#ASMEND
	v_lshl_add_u64 v[26:27], v[18:19], 0, v[26:27]
	v_lshrrev_b32_e32 v20, 16, v16
	v_and_b32_e32 v16, 0xffff, v16
	;;#ASMSTART
	v_cvt_f32_f16 v42, v16;
	;;#ASMEND
	;;#ASMSTART
	v_cvt_f32_f16 v43, v20;
	;;#ASMEND
	flat_load_dwordx2 v[46:47], v[26:27]
	s_nop 0
	scratch_load_dwordx2 v[26:27], off, s32 offset:188 ; 8-byte Folded Reload
                                        ; implicit-def: $sgpr22
	s_waitcnt vmcnt(0) lgkmcnt(0)
	v_cmp_gt_i16_sdwa s[12:13], v46, s5 src0_sel:BYTE_0 src1_sel:DWORD
	flat_load_dword v44, v[26:27]
	s_and_saveexec_b64 s[20:21], s[12:13]
	s_xor_b64 s[12:13], exec, s[20:21]
	s_cbranch_execnz .LBB313_1995
; %bb.1476:                             ;   in Loop: Header=BB313_1067 Depth=1
	s_or_saveexec_b64 s[12:13], s[12:13]
	v_mov_b32_e32 v56, s22
	s_xor_b64 exec, exec, s[12:13]
	s_cbranch_execnz .LBB313_1998
.LBB313_1477:                           ;   in Loop: Header=BB313_1067 Depth=1
	s_or_b64 exec, exec, s[12:13]
	s_and_saveexec_b64 s[12:13], s[2:3]
	s_cbranch_execz .LBB313_1479
.LBB313_1478:                           ;   in Loop: Header=BB313_1067 Depth=1
	v_and_b32_e32 v16, 7, v46
	v_ffbh_u32_e32 v16, v16
	v_bfe_u32 v20, v46, 3, 4
	v_min_u32_e32 v16, 32, v16
	v_subrev_u32_e32 v22, 28, v16
	v_sub_u32_e32 v16, 29, v16
	v_cmp_eq_u32_e64 s[2:3], 0, v20
	s_nop 1
	v_cndmask_b32_e64 v16, v20, v16, s[2:3]
	v_cndmask_b32_e64 v20, 0, v22, s[2:3]
	v_lshlrev_b64 v[26:27], v20, v[46:47]
	v_lshlrev_b32_e32 v22, 8, v46
	v_lshl_add_u32 v16, v16, 10, v62
	v_lshlrev_b32_e32 v20, 7, v26
	v_and_or_b32 v16, v22, s17, v16
	v_and_or_b32 v16, v20, s24, v16
	v_cvt_f32_f16_e32 v56, v16
.LBB313_1479:                           ;   in Loop: Header=BB313_1067 Depth=1
	s_or_b64 exec, exec, s[12:13]
	v_lshrrev_b16_e32 v20, 8, v46
	v_cmp_lt_i16_e64 s[2:3], s5, v20
	s_mov_b64 s[12:13], 0
                                        ; implicit-def: $sgpr28
	s_and_saveexec_b64 s[20:21], s[2:3]
	s_xor_b64 s[20:21], exec, s[20:21]
	s_cbranch_execnz .LBB313_1999
; %bb.1480:                             ;   in Loop: Header=BB313_1067 Depth=1
	s_or_saveexec_b64 s[20:21], s[20:21]
	v_mov_b32_e32 v58, s28
	s_xor_b64 exec, exec, s[20:21]
	s_cbranch_execnz .LBB313_2002
.LBB313_1481:                           ;   in Loop: Header=BB313_1067 Depth=1
	s_or_b64 exec, exec, s[20:21]
	s_and_saveexec_b64 s[20:21], s[12:13]
	s_cbranch_execz .LBB313_1483
.LBB313_1482:                           ;   in Loop: Header=BB313_1067 Depth=1
	v_and_b32_e32 v16, 7, v20
	v_ffbh_u32_e32 v26, v16
	v_min_u32_e32 v28, 32, v26
	v_subrev_u32_e32 v26, 28, v28
	v_bfe_u32 v22, v20, 3, 4
	v_lshlrev_b64 v[26:27], v26, v[20:21]
	v_sub_u32_e32 v27, 29, v28
	v_cmp_eq_u32_e64 s[2:3], 0, v22
	v_and_b32_e32 v26, 7, v26
	v_lshlrev_b32_e32 v20, 8, v20
	v_cndmask_b32_e64 v22, v22, v27, s[2:3]
	v_lshl_add_u32 v22, v22, 10, v62
	v_cndmask_b32_e64 v16, v16, v26, s[2:3]
	v_and_or_b32 v20, v20, s17, v22
	v_lshl_or_b32 v16, v16, 7, v20
	v_cvt_f32_f16_e32 v58, v16
.LBB313_1483:                           ;   in Loop: Header=BB313_1067 Depth=1
	s_or_b64 exec, exec, s[20:21]
	v_lshrrev_b32_e32 v20, 16, v46
	v_cmp_gt_i16_sdwa s[12:13], v20, s5 src0_sel:BYTE_0 src1_sel:DWORD
	s_mov_b64 s[2:3], 0
                                        ; implicit-def: $sgpr22
	s_and_saveexec_b64 s[20:21], s[12:13]
	s_xor_b64 s[12:13], exec, s[20:21]
	s_cbranch_execnz .LBB313_2003
; %bb.1484:                             ;   in Loop: Header=BB313_1067 Depth=1
	s_or_saveexec_b64 s[12:13], s[12:13]
	v_mov_b32_e32 v57, s22
	s_xor_b64 exec, exec, s[12:13]
	s_cbranch_execnz .LBB313_2006
.LBB313_1485:                           ;   in Loop: Header=BB313_1067 Depth=1
	s_or_b64 exec, exec, s[12:13]
	s_and_saveexec_b64 s[12:13], s[2:3]
	s_cbranch_execz .LBB313_1487
.LBB313_1486:                           ;   in Loop: Header=BB313_1067 Depth=1
	v_bfe_u32 v16, v46, 16, 3
	v_ffbh_u32_e32 v26, v16
	v_min_u32_e32 v28, 32, v26
	v_subrev_u32_e32 v26, 28, v28
	v_bfe_u32 v22, v46, 19, 4
	v_lshlrev_b64 v[26:27], v26, v[20:21]
	v_sub_u32_e32 v27, 29, v28
	v_cmp_eq_u32_e64 s[2:3], 0, v22
	v_and_b32_e32 v26, 7, v26
	v_lshlrev_b32_e32 v20, 8, v20
	v_cndmask_b32_e64 v22, v22, v27, s[2:3]
	v_lshl_add_u32 v22, v22, 10, v62
	v_cndmask_b32_e64 v16, v16, v26, s[2:3]
	v_and_or_b32 v20, v20, s17, v22
	v_lshl_or_b32 v16, v16, 7, v20
	v_cvt_f32_f16_e32 v57, v16
.LBB313_1487:                           ;   in Loop: Header=BB313_1067 Depth=1
	s_or_b64 exec, exec, s[12:13]
	v_lshrrev_b32_e32 v20, 24, v46
	v_cmp_lt_i16_e64 s[2:3], s5, v20
	s_mov_b64 s[12:13], 0
                                        ; implicit-def: $sgpr28
	s_and_saveexec_b64 s[20:21], s[2:3]
	s_xor_b64 s[20:21], exec, s[20:21]
	s_cbranch_execnz .LBB313_2007
; %bb.1488:                             ;   in Loop: Header=BB313_1067 Depth=1
	s_or_saveexec_b64 s[20:21], s[20:21]
	v_mov_b32_e32 v59, s28
	s_xor_b64 exec, exec, s[20:21]
	s_cbranch_execnz .LBB313_2010
.LBB313_1489:                           ;   in Loop: Header=BB313_1067 Depth=1
	s_or_b64 exec, exec, s[20:21]
	s_and_saveexec_b64 s[20:21], s[12:13]
	s_cbranch_execz .LBB313_1491
.LBB313_1490:                           ;   in Loop: Header=BB313_1067 Depth=1
	v_bfe_u32 v16, v46, 24, 3
	v_ffbh_u32_e32 v26, v16
	v_min_u32_e32 v28, 32, v26
	v_subrev_u32_e32 v26, 28, v28
	v_bfe_u32 v22, v46, 27, 4
	v_lshlrev_b64 v[26:27], v26, v[20:21]
	v_sub_u32_e32 v27, 29, v28
	v_cmp_eq_u32_e64 s[2:3], 0, v22
	v_and_b32_e32 v26, 7, v26
	v_lshlrev_b32_e32 v20, 8, v20
	v_cndmask_b32_e64 v22, v22, v27, s[2:3]
	v_lshl_add_u32 v22, v22, 10, v62
	v_cndmask_b32_e64 v16, v16, v26, s[2:3]
	v_and_or_b32 v20, v20, s17, v22
	v_lshl_or_b32 v16, v16, 7, v20
	v_cvt_f32_f16_e32 v59, v16
.LBB313_1491:                           ;   in Loop: Header=BB313_1067 Depth=1
	s_or_b64 exec, exec, s[20:21]
	v_cmp_gt_i16_sdwa s[12:13], v47, s5 src0_sel:BYTE_0 src1_sel:DWORD
	s_mov_b64 s[2:3], 0
                                        ; implicit-def: $sgpr22
	s_and_saveexec_b64 s[20:21], s[12:13]
	s_xor_b64 s[12:13], exec, s[20:21]
	s_cbranch_execnz .LBB313_2011
; %bb.1492:                             ;   in Loop: Header=BB313_1067 Depth=1
	s_or_saveexec_b64 s[12:13], s[12:13]
	v_mov_b32_e32 v16, s22
	s_xor_b64 exec, exec, s[12:13]
	s_cbranch_execnz .LBB313_2014
.LBB313_1493:                           ;   in Loop: Header=BB313_1067 Depth=1
	s_or_b64 exec, exec, s[12:13]
	v_mov_b32_e32 v20, v47
	s_and_saveexec_b64 s[12:13], s[2:3]
	s_cbranch_execz .LBB313_1495
.LBB313_1494:                           ;   in Loop: Header=BB313_1067 Depth=1
	v_and_b32_e32 v16, 7, v47
	v_ffbh_u32_e32 v16, v16
	v_bfe_u32 v22, v47, 3, 4
	v_min_u32_e32 v16, 32, v16
	v_subrev_u32_e32 v26, 28, v16
	v_sub_u32_e32 v16, 29, v16
	v_cmp_eq_u32_e64 s[2:3], 0, v22
	s_nop 1
	v_cndmask_b32_e64 v16, v22, v16, s[2:3]
	v_cndmask_b32_e64 v22, 0, v26, s[2:3]
	v_lshlrev_b64 v[26:27], v22, v[20:21]
	v_lshlrev_b32_e32 v22, 7, v26
	v_lshlrev_b32_e32 v26, 8, v47
	v_lshl_add_u32 v16, v16, 10, v62
	v_and_or_b32 v16, v26, s17, v16
	v_and_or_b32 v16, v22, s24, v16
	v_cvt_f32_f16_e32 v16, v16
.LBB313_1495:                           ;   in Loop: Header=BB313_1067 Depth=1
	s_or_b64 exec, exec, s[12:13]
	v_lshrrev_b16_e32 v20, 8, v20
	v_cmp_lt_i16_e64 s[2:3], s5, v20
	s_mov_b64 s[12:13], 0
                                        ; implicit-def: $sgpr28
	s_and_saveexec_b64 s[20:21], s[2:3]
	s_xor_b64 s[20:21], exec, s[20:21]
	s_cbranch_execnz .LBB313_2015
; %bb.1496:                             ;   in Loop: Header=BB313_1067 Depth=1
	s_or_saveexec_b64 s[20:21], s[20:21]
	v_mov_b32_e32 v22, s28
	s_xor_b64 exec, exec, s[20:21]
	s_cbranch_execnz .LBB313_2018
.LBB313_1497:                           ;   in Loop: Header=BB313_1067 Depth=1
	s_or_b64 exec, exec, s[20:21]
	s_and_saveexec_b64 s[20:21], s[12:13]
	s_cbranch_execz .LBB313_1499
.LBB313_1498:                           ;   in Loop: Header=BB313_1067 Depth=1
	v_and_b32_e32 v22, 7, v20
	v_ffbh_u32_e32 v26, v22
	v_min_u32_e32 v29, 32, v26
	v_subrev_u32_e32 v26, 28, v29
	v_bfe_u32 v28, v20, 3, 4
	v_lshlrev_b64 v[26:27], v26, v[20:21]
	v_sub_u32_e32 v27, 29, v29
	v_cmp_eq_u32_e64 s[2:3], 0, v28
	v_and_b32_e32 v26, 7, v26
	v_lshlrev_b32_e32 v20, 8, v20
	v_cndmask_b32_e64 v27, v28, v27, s[2:3]
	v_cndmask_b32_e64 v22, v22, v26, s[2:3]
	v_lshl_add_u32 v26, v27, 10, v62
	v_and_or_b32 v20, v20, s17, v26
	v_lshl_or_b32 v20, v22, 7, v20
	v_cvt_f32_f16_e32 v22, v20
.LBB313_1499:                           ;   in Loop: Header=BB313_1067 Depth=1
	s_or_b64 exec, exec, s[20:21]
	v_lshrrev_b32_e32 v20, 16, v47
	v_cmp_gt_i16_sdwa s[12:13], v20, s5 src0_sel:BYTE_0 src1_sel:DWORD
	s_mov_b64 s[2:3], 0
                                        ; implicit-def: $sgpr22
	s_and_saveexec_b64 s[20:21], s[12:13]
	s_xor_b64 s[12:13], exec, s[20:21]
	s_cbranch_execnz .LBB313_2019
; %bb.1500:                             ;   in Loop: Header=BB313_1067 Depth=1
	s_or_saveexec_b64 s[12:13], s[12:13]
	v_mov_b32_e32 v26, s22
	s_xor_b64 exec, exec, s[12:13]
	s_cbranch_execnz .LBB313_2022
.LBB313_1501:                           ;   in Loop: Header=BB313_1067 Depth=1
	s_or_b64 exec, exec, s[12:13]
	s_and_saveexec_b64 s[12:13], s[2:3]
	s_cbranch_execz .LBB313_1503
.LBB313_1502:                           ;   in Loop: Header=BB313_1067 Depth=1
	v_bfe_u32 v28, v47, 16, 3
	v_ffbh_u32_e32 v26, v28
	v_min_u32_e32 v45, 32, v26
	v_subrev_u32_e32 v26, 28, v45
	v_bfe_u32 v29, v47, 19, 4
	v_lshlrev_b64 v[26:27], v26, v[20:21]
	v_sub_u32_e32 v27, 29, v45
	v_cmp_eq_u32_e64 s[2:3], 0, v29
	v_and_b32_e32 v26, 7, v26
	v_lshlrev_b32_e32 v20, 8, v20
	v_cndmask_b32_e64 v27, v29, v27, s[2:3]
	v_lshl_add_u32 v27, v27, 10, v62
	v_cndmask_b32_e64 v26, v28, v26, s[2:3]
	v_and_or_b32 v20, v20, s17, v27
	v_lshl_or_b32 v20, v26, 7, v20
	v_cvt_f32_f16_e32 v26, v20
.LBB313_1503:                           ;   in Loop: Header=BB313_1067 Depth=1
	s_or_b64 exec, exec, s[12:13]
	v_lshrrev_b32_e32 v20, 24, v47
	v_cmp_lt_i16_e64 s[2:3], s5, v20
	s_mov_b64 s[12:13], 0
                                        ; implicit-def: $sgpr28
	s_and_saveexec_b64 s[20:21], s[2:3]
	s_xor_b64 s[20:21], exec, s[20:21]
	s_cbranch_execnz .LBB313_2023
; %bb.1504:                             ;   in Loop: Header=BB313_1067 Depth=1
	s_or_saveexec_b64 s[20:21], s[20:21]
	v_mov_b32_e32 v28, s28
	s_xor_b64 exec, exec, s[20:21]
	s_cbranch_execnz .LBB313_2026
.LBB313_1505:                           ;   in Loop: Header=BB313_1067 Depth=1
	s_or_b64 exec, exec, s[20:21]
	s_and_saveexec_b64 s[20:21], s[12:13]
	s_cbranch_execz .LBB313_1507
.LBB313_1506:                           ;   in Loop: Header=BB313_1067 Depth=1
	v_bfe_u32 v27, v47, 24, 3
	v_ffbh_u32_e32 v28, v27
	v_min_u32_e32 v46, 32, v28
	v_subrev_u32_e32 v28, 28, v46
	v_bfe_u32 v45, v47, 27, 4
	v_lshlrev_b64 v[28:29], v28, v[20:21]
	v_sub_u32_e32 v29, 29, v46
	v_cmp_eq_u32_e64 s[2:3], 0, v45
	v_and_b32_e32 v28, 7, v28
	v_lshlrev_b32_e32 v20, 8, v20
	v_cndmask_b32_e64 v29, v45, v29, s[2:3]
	v_cndmask_b32_e64 v27, v27, v28, s[2:3]
	v_lshl_add_u32 v28, v29, 10, v62
	v_and_or_b32 v20, v20, s17, v28
	v_lshl_or_b32 v20, v27, 7, v20
	v_cvt_f32_f16_e32 v28, v20
.LBB313_1507:                           ;   in Loop: Header=BB313_1067 Depth=1
	s_or_b64 exec, exec, s[20:21]
	s_waitcnt vmcnt(0) lgkmcnt(0)
	v_pk_mul_f32 v[46:47], v[44:45], v[58:59] op_sel_hi:[0,1]
	v_pk_mul_f32 v[56:57], v[44:45], v[56:57] op_sel_hi:[0,1]
	v_cvt_f16_f32_e32 v20, v47
	v_cvt_f16_f32_e32 v27, v46
	;; [unrolled: 1-line block ×4, first 2 shown]
	v_fma_mixlo_f16 v22, v44, v22, 0
	v_lshlrev_b32_e32 v22, 16, v22
	v_fma_mixlo_f16 v16, v44, v16, 0
	v_or_b32_sdwa v16, v22, v16 dst_sel:DWORD dst_unused:UNUSED_PAD src0_sel:DWORD src1_sel:WORD_0
	v_fma_mixlo_f16 v22, v44, v28, 0
	v_pack_b32_f16 v27, v27, v20
	v_pack_b32_f16 v29, v45, v29
	v_fma_mixlo_f16 v26, v44, v26, 0
	v_lshlrev_b32_e32 v22, 16, v22
	v_perm_b32 v20, v29, v27, s25
	v_perm_b32 v27, v29, v27, s26
	v_or_b32_sdwa v22, v22, v26 dst_sel:DWORD dst_unused:UNUSED_PAD src0_sel:DWORD src1_sel:WORD_0
	s_and_saveexec_b64 s[12:13], vcc
	s_cbranch_execz .LBB313_1509
; %bb.1508:                             ;   in Loop: Header=BB313_1067 Depth=1
	scratch_load_dwordx2 v[44:45], off, s32 offset:196 ; 8-byte Folded Reload
	v_lshrrev_b32_e32 v28, 16, v27
	v_cmp_lt_i32_e64 s[2:3], v50, v17
	v_lshrrev_b32_e32 v22, 16, v22
	s_nop 0
	v_cndmask_b32_e64 v28, 0, v28, s[2:3]
	s_waitcnt vmcnt(0)
	v_cmp_lt_i32_e64 s[2:3], v7, v44
	s_nop 1
	v_cndmask_b32_e64 v27, 0, v27, s[2:3]
	v_perm_b32 v27, v28, v27, s27
	v_lshrrev_b32_e32 v28, 16, v20
	v_cmp_lt_i32_e64 s[2:3], v49, v17
	s_nop 1
	v_cndmask_b32_e64 v28, 0, v28, s[2:3]
	v_cmp_lt_i32_e64 s[2:3], v48, v44
	s_nop 1
	v_cndmask_b32_e64 v20, 0, v20, s[2:3]
	v_perm_b32 v20, v28, v20, s27
	v_lshrrev_b32_e32 v28, 16, v16
	v_cmp_lt_i32_e64 s[2:3], v11, v17
	s_nop 1
	v_cndmask_b32_e64 v28, 0, v28, s[2:3]
	v_cmp_lt_i32_e64 s[2:3], v10, v44
	s_nop 1
	v_cndmask_b32_e64 v16, 0, v16, s[2:3]
	v_cmp_lt_i32_e64 s[2:3], v4, v17
	v_perm_b32 v16, v28, v16, s27
	s_nop 0
	v_cndmask_b32_e64 v22, 0, v22, s[2:3]
	v_cmp_lt_i32_e64 s[2:3], v5, v44
	s_nop 1
	v_cndmask_b32_e64 v26, 0, v26, s[2:3]
	v_perm_b32 v22, v22, v26, s27
.LBB313_1509:                           ;   in Loop: Header=BB313_1067 Depth=1
	s_or_b64 exec, exec, s[12:13]
	;;#ASMSTART
	v_pk_mul_f16 v26, v36, v27;

	;;#ASMEND
	;;#ASMSTART
	v_pk_mul_f16 v20, v37, v20;

	;;#ASMEND
	;; [unrolled: 4-line block ×4, first 2 shown]
	s_mov_b64 s[2:3], 0
	;;#ASMSTART
	v_pk_add_f16 v20, v26, v20;

	;;#ASMEND
	v_accvgpr_read_b32 v26, a36
	;;#ASMSTART
	v_pk_add_f16 v16, v20, v16;

	;;#ASMEND
	v_accvgpr_read_b32 v27, a37
	;;#ASMSTART
	v_pk_add_f16 v16, v16, v22;

	;;#ASMEND
	v_lshl_add_u64 v[26:27], v[18:19], 0, v[26:27]
	v_lshrrev_b32_e32 v20, 16, v16
	v_and_b32_e32 v16, 0xffff, v16
	;;#ASMSTART
	v_cvt_f32_f16 v28, v16;
	;;#ASMEND
	;;#ASMSTART
	v_cvt_f32_f16 v22, v20;
	;;#ASMEND
	flat_load_dwordx2 v[46:47], v[26:27]
	s_nop 0
	scratch_load_dwordx2 v[26:27], off, s32 offset:188 ; 8-byte Folded Reload
                                        ; implicit-def: $sgpr22
	s_waitcnt vmcnt(0) lgkmcnt(0)
	v_cmp_gt_i16_sdwa s[12:13], v46, s5 src0_sel:BYTE_0 src1_sel:DWORD
	flat_load_dword v44, v[26:27]
	s_and_saveexec_b64 s[20:21], s[12:13]
	s_xor_b64 s[12:13], exec, s[20:21]
	s_cbranch_execnz .LBB313_2027
; %bb.1510:                             ;   in Loop: Header=BB313_1067 Depth=1
	s_or_saveexec_b64 s[12:13], s[12:13]
	v_mov_b32_e32 v56, s22
	s_xor_b64 exec, exec, s[12:13]
	s_cbranch_execnz .LBB313_2030
.LBB313_1511:                           ;   in Loop: Header=BB313_1067 Depth=1
	s_or_b64 exec, exec, s[12:13]
	s_and_saveexec_b64 s[12:13], s[2:3]
	s_cbranch_execz .LBB313_1513
.LBB313_1512:                           ;   in Loop: Header=BB313_1067 Depth=1
	v_and_b32_e32 v16, 7, v46
	v_ffbh_u32_e32 v16, v16
	v_bfe_u32 v20, v46, 3, 4
	v_min_u32_e32 v16, 32, v16
	v_subrev_u32_e32 v26, 28, v16
	v_sub_u32_e32 v16, 29, v16
	v_cmp_eq_u32_e64 s[2:3], 0, v20
	s_nop 1
	v_cndmask_b32_e64 v16, v20, v16, s[2:3]
	v_cndmask_b32_e64 v20, 0, v26, s[2:3]
	v_lshlrev_b64 v[26:27], v20, v[46:47]
	v_lshlrev_b32_e32 v20, 7, v26
	v_lshlrev_b32_e32 v26, 8, v46
	v_lshl_add_u32 v16, v16, 10, v62
	v_and_or_b32 v16, v26, s17, v16
	v_and_or_b32 v16, v20, s24, v16
	v_cvt_f32_f16_e32 v56, v16
.LBB313_1513:                           ;   in Loop: Header=BB313_1067 Depth=1
	s_or_b64 exec, exec, s[12:13]
	v_lshrrev_b16_e32 v20, 8, v46
	v_cmp_lt_i16_e64 s[2:3], s5, v20
	s_mov_b64 s[12:13], 0
                                        ; implicit-def: $sgpr28
	s_and_saveexec_b64 s[20:21], s[2:3]
	s_xor_b64 s[20:21], exec, s[20:21]
	s_cbranch_execnz .LBB313_2031
; %bb.1514:                             ;   in Loop: Header=BB313_1067 Depth=1
	s_or_saveexec_b64 s[20:21], s[20:21]
	v_mov_b32_e32 v58, s28
	s_xor_b64 exec, exec, s[20:21]
	s_cbranch_execnz .LBB313_2034
.LBB313_1515:                           ;   in Loop: Header=BB313_1067 Depth=1
	s_or_b64 exec, exec, s[20:21]
	s_and_saveexec_b64 s[20:21], s[12:13]
	s_cbranch_execz .LBB313_1517
.LBB313_1516:                           ;   in Loop: Header=BB313_1067 Depth=1
	v_and_b32_e32 v16, 7, v20
	v_ffbh_u32_e32 v26, v16
	v_min_u32_e32 v45, 32, v26
	v_subrev_u32_e32 v26, 28, v45
	v_bfe_u32 v29, v20, 3, 4
	v_lshlrev_b64 v[26:27], v26, v[20:21]
	v_sub_u32_e32 v27, 29, v45
	v_cmp_eq_u32_e64 s[2:3], 0, v29
	v_and_b32_e32 v26, 7, v26
	v_lshlrev_b32_e32 v20, 8, v20
	v_cndmask_b32_e64 v27, v29, v27, s[2:3]
	v_cndmask_b32_e64 v16, v16, v26, s[2:3]
	v_lshl_add_u32 v26, v27, 10, v62
	v_and_or_b32 v20, v20, s17, v26
	v_lshl_or_b32 v16, v16, 7, v20
	v_cvt_f32_f16_e32 v58, v16
.LBB313_1517:                           ;   in Loop: Header=BB313_1067 Depth=1
	s_or_b64 exec, exec, s[20:21]
	v_lshrrev_b32_e32 v20, 16, v46
	v_cmp_gt_i16_sdwa s[12:13], v20, s5 src0_sel:BYTE_0 src1_sel:DWORD
	s_mov_b64 s[2:3], 0
                                        ; implicit-def: $sgpr22
	s_and_saveexec_b64 s[20:21], s[12:13]
	s_xor_b64 s[12:13], exec, s[20:21]
	s_cbranch_execnz .LBB313_2035
; %bb.1518:                             ;   in Loop: Header=BB313_1067 Depth=1
	s_or_saveexec_b64 s[12:13], s[12:13]
	v_mov_b32_e32 v57, s22
	s_xor_b64 exec, exec, s[12:13]
	s_cbranch_execnz .LBB313_2038
.LBB313_1519:                           ;   in Loop: Header=BB313_1067 Depth=1
	s_or_b64 exec, exec, s[12:13]
	s_and_saveexec_b64 s[12:13], s[2:3]
	s_cbranch_execz .LBB313_1521
.LBB313_1520:                           ;   in Loop: Header=BB313_1067 Depth=1
	v_bfe_u32 v16, v46, 16, 3
	v_ffbh_u32_e32 v26, v16
	v_min_u32_e32 v45, 32, v26
	v_subrev_u32_e32 v26, 28, v45
	v_bfe_u32 v29, v46, 19, 4
	v_lshlrev_b64 v[26:27], v26, v[20:21]
	v_sub_u32_e32 v27, 29, v45
	v_cmp_eq_u32_e64 s[2:3], 0, v29
	v_and_b32_e32 v26, 7, v26
	v_lshlrev_b32_e32 v20, 8, v20
	v_cndmask_b32_e64 v27, v29, v27, s[2:3]
	v_cndmask_b32_e64 v16, v16, v26, s[2:3]
	v_lshl_add_u32 v26, v27, 10, v62
	v_and_or_b32 v20, v20, s17, v26
	v_lshl_or_b32 v16, v16, 7, v20
	v_cvt_f32_f16_e32 v57, v16
.LBB313_1521:                           ;   in Loop: Header=BB313_1067 Depth=1
	s_or_b64 exec, exec, s[12:13]
	v_lshrrev_b32_e32 v20, 24, v46
	v_cmp_lt_i16_e64 s[2:3], s5, v20
	s_mov_b64 s[12:13], 0
                                        ; implicit-def: $sgpr28
	s_and_saveexec_b64 s[20:21], s[2:3]
	s_xor_b64 s[20:21], exec, s[20:21]
	s_cbranch_execnz .LBB313_2039
; %bb.1522:                             ;   in Loop: Header=BB313_1067 Depth=1
	s_or_saveexec_b64 s[20:21], s[20:21]
	v_mov_b32_e32 v59, s28
	s_xor_b64 exec, exec, s[20:21]
	s_cbranch_execnz .LBB313_2042
.LBB313_1523:                           ;   in Loop: Header=BB313_1067 Depth=1
	s_or_b64 exec, exec, s[20:21]
	s_and_saveexec_b64 s[20:21], s[12:13]
	s_cbranch_execz .LBB313_1525
.LBB313_1524:                           ;   in Loop: Header=BB313_1067 Depth=1
	v_bfe_u32 v16, v46, 24, 3
	v_ffbh_u32_e32 v26, v16
	v_min_u32_e32 v45, 32, v26
	v_subrev_u32_e32 v26, 28, v45
	v_bfe_u32 v29, v46, 27, 4
	v_lshlrev_b64 v[26:27], v26, v[20:21]
	v_sub_u32_e32 v27, 29, v45
	v_cmp_eq_u32_e64 s[2:3], 0, v29
	v_and_b32_e32 v26, 7, v26
	v_lshlrev_b32_e32 v20, 8, v20
	v_cndmask_b32_e64 v27, v29, v27, s[2:3]
	v_cndmask_b32_e64 v16, v16, v26, s[2:3]
	v_lshl_add_u32 v26, v27, 10, v62
	v_and_or_b32 v20, v20, s17, v26
	v_lshl_or_b32 v16, v16, 7, v20
	v_cvt_f32_f16_e32 v59, v16
.LBB313_1525:                           ;   in Loop: Header=BB313_1067 Depth=1
	s_or_b64 exec, exec, s[20:21]
	v_cmp_gt_i16_sdwa s[12:13], v47, s5 src0_sel:BYTE_0 src1_sel:DWORD
	s_mov_b64 s[2:3], 0
                                        ; implicit-def: $sgpr22
	s_and_saveexec_b64 s[20:21], s[12:13]
	s_xor_b64 s[12:13], exec, s[20:21]
	s_cbranch_execnz .LBB313_2043
; %bb.1526:                             ;   in Loop: Header=BB313_1067 Depth=1
	s_or_saveexec_b64 s[12:13], s[12:13]
	v_mov_b32_e32 v16, s22
	s_xor_b64 exec, exec, s[12:13]
	s_cbranch_execnz .LBB313_2046
.LBB313_1527:                           ;   in Loop: Header=BB313_1067 Depth=1
	s_or_b64 exec, exec, s[12:13]
	v_mov_b32_e32 v20, v47
	s_and_saveexec_b64 s[12:13], s[2:3]
	s_cbranch_execz .LBB313_1529
.LBB313_1528:                           ;   in Loop: Header=BB313_1067 Depth=1
	v_and_b32_e32 v16, 7, v47
	v_ffbh_u32_e32 v16, v16
	v_bfe_u32 v26, v47, 3, 4
	v_min_u32_e32 v16, 32, v16
	v_subrev_u32_e32 v27, 28, v16
	v_sub_u32_e32 v16, 29, v16
	v_cmp_eq_u32_e64 s[2:3], 0, v26
	s_nop 1
	v_cndmask_b32_e64 v16, v26, v16, s[2:3]
	v_cndmask_b32_e64 v26, 0, v27, s[2:3]
	v_lshlrev_b64 v[26:27], v26, v[20:21]
	v_lshlrev_b32_e32 v27, 8, v47
	v_lshl_add_u32 v16, v16, 10, v62
	v_lshlrev_b32_e32 v26, 7, v26
	v_and_or_b32 v16, v27, s17, v16
	v_and_or_b32 v16, v26, s24, v16
	v_cvt_f32_f16_e32 v16, v16
.LBB313_1529:                           ;   in Loop: Header=BB313_1067 Depth=1
	s_or_b64 exec, exec, s[12:13]
	v_lshrrev_b16_e32 v20, 8, v20
	v_cmp_lt_i16_e64 s[2:3], s5, v20
	s_mov_b64 s[12:13], 0
                                        ; implicit-def: $sgpr28
	s_and_saveexec_b64 s[20:21], s[2:3]
	s_xor_b64 s[20:21], exec, s[20:21]
	s_cbranch_execnz .LBB313_2047
; %bb.1530:                             ;   in Loop: Header=BB313_1067 Depth=1
	s_or_saveexec_b64 s[20:21], s[20:21]
	v_mov_b32_e32 v26, s28
	s_xor_b64 exec, exec, s[20:21]
	s_cbranch_execnz .LBB313_2050
.LBB313_1531:                           ;   in Loop: Header=BB313_1067 Depth=1
	s_or_b64 exec, exec, s[20:21]
	s_and_saveexec_b64 s[20:21], s[12:13]
	s_cbranch_execz .LBB313_1533
.LBB313_1532:                           ;   in Loop: Header=BB313_1067 Depth=1
	v_and_b32_e32 v29, 7, v20
	v_ffbh_u32_e32 v26, v29
	v_min_u32_e32 v46, 32, v26
	v_subrev_u32_e32 v26, 28, v46
	v_bfe_u32 v45, v20, 3, 4
	v_lshlrev_b64 v[26:27], v26, v[20:21]
	v_sub_u32_e32 v27, 29, v46
	v_cmp_eq_u32_e64 s[2:3], 0, v45
	v_and_b32_e32 v26, 7, v26
	v_lshlrev_b32_e32 v20, 8, v20
	v_cndmask_b32_e64 v27, v45, v27, s[2:3]
	v_lshl_add_u32 v27, v27, 10, v62
	v_cndmask_b32_e64 v26, v29, v26, s[2:3]
	v_and_or_b32 v20, v20, s17, v27
	v_lshl_or_b32 v20, v26, 7, v20
	v_cvt_f32_f16_e32 v26, v20
.LBB313_1533:                           ;   in Loop: Header=BB313_1067 Depth=1
	s_or_b64 exec, exec, s[20:21]
	v_lshrrev_b32_e32 v20, 16, v47
	v_cmp_gt_i16_sdwa s[12:13], v20, s5 src0_sel:BYTE_0 src1_sel:DWORD
	s_mov_b64 s[2:3], 0
                                        ; implicit-def: $sgpr22
	s_and_saveexec_b64 s[20:21], s[12:13]
	s_xor_b64 s[12:13], exec, s[20:21]
	s_cbranch_execnz .LBB313_2051
; %bb.1534:                             ;   in Loop: Header=BB313_1067 Depth=1
	s_or_saveexec_b64 s[12:13], s[12:13]
	v_mov_b32_e32 v27, s22
	s_xor_b64 exec, exec, s[12:13]
	s_cbranch_execnz .LBB313_2054
.LBB313_1535:                           ;   in Loop: Header=BB313_1067 Depth=1
	s_or_b64 exec, exec, s[12:13]
	s_and_saveexec_b64 s[12:13], s[2:3]
	s_cbranch_execz .LBB313_1537
.LBB313_1536:                           ;   in Loop: Header=BB313_1067 Depth=1
	v_bfe_u32 v27, v47, 16, 3
	v_ffbh_u32_e32 v45, v27
	v_bfe_u32 v29, v47, 19, 4
	v_min_u32_e32 v45, 32, v45
	v_subrev_u32_e32 v46, 28, v45
	v_sub_u32_e32 v45, 29, v45
	v_cmp_eq_u32_e64 s[2:3], 0, v29
	v_lshlrev_b64 v[60:61], v46, v[20:21]
	v_and_b32_e32 v46, 7, v60
	v_cndmask_b32_e64 v29, v29, v45, s[2:3]
	v_lshlrev_b32_e32 v20, 8, v20
	v_lshl_add_u32 v29, v29, 10, v62
	v_cndmask_b32_e64 v27, v27, v46, s[2:3]
	v_and_or_b32 v20, v20, s17, v29
	v_lshl_or_b32 v20, v27, 7, v20
	v_cvt_f32_f16_e32 v27, v20
.LBB313_1537:                           ;   in Loop: Header=BB313_1067 Depth=1
	s_or_b64 exec, exec, s[12:13]
	v_lshrrev_b32_e32 v20, 24, v47
	v_cmp_lt_i16_e64 s[2:3], s5, v20
	s_mov_b64 s[12:13], 0
                                        ; implicit-def: $sgpr28
	s_and_saveexec_b64 s[20:21], s[2:3]
	s_xor_b64 s[20:21], exec, s[20:21]
	s_cbranch_execnz .LBB313_2055
; %bb.1538:                             ;   in Loop: Header=BB313_1067 Depth=1
	s_or_saveexec_b64 s[20:21], s[20:21]
	v_mov_b32_e32 v46, s28
	s_xor_b64 exec, exec, s[20:21]
	s_cbranch_execnz .LBB313_2058
.LBB313_1539:                           ;   in Loop: Header=BB313_1067 Depth=1
	s_or_b64 exec, exec, s[20:21]
	s_and_saveexec_b64 s[20:21], s[12:13]
	s_cbranch_execz .LBB313_1541
.LBB313_1540:                           ;   in Loop: Header=BB313_1067 Depth=1
	v_bfe_u32 v29, v47, 24, 3
	v_ffbh_u32_e32 v46, v29
	v_min_u32_e32 v60, 32, v46
	v_subrev_u32_e32 v46, 28, v60
	v_bfe_u32 v45, v47, 27, 4
	v_lshlrev_b64 v[46:47], v46, v[20:21]
	v_sub_u32_e32 v47, 29, v60
	v_cmp_eq_u32_e64 s[2:3], 0, v45
	v_and_b32_e32 v46, 7, v46
	v_lshlrev_b32_e32 v20, 8, v20
	v_cndmask_b32_e64 v45, v45, v47, s[2:3]
	v_lshl_add_u32 v45, v45, 10, v62
	v_cndmask_b32_e64 v29, v29, v46, s[2:3]
	v_and_or_b32 v20, v20, s17, v45
	v_lshl_or_b32 v20, v29, 7, v20
	v_cvt_f32_f16_e32 v46, v20
.LBB313_1541:                           ;   in Loop: Header=BB313_1067 Depth=1
	s_or_b64 exec, exec, s[20:21]
	s_waitcnt vmcnt(0) lgkmcnt(0)
	v_pk_mul_f32 v[58:59], v[44:45], v[58:59] op_sel_hi:[0,1]
	v_pk_mul_f32 v[56:57], v[44:45], v[56:57] op_sel_hi:[0,1]
	v_cvt_f16_f32_e32 v20, v59
	v_cvt_f16_f32_e32 v29, v58
	;; [unrolled: 1-line block ×4, first 2 shown]
	v_fma_mixlo_f16 v26, v44, v26, 0
	v_lshlrev_b32_e32 v26, 16, v26
	v_fma_mixlo_f16 v16, v44, v16, 0
	v_or_b32_sdwa v16, v26, v16 dst_sel:DWORD dst_unused:UNUSED_PAD src0_sel:DWORD src1_sel:WORD_0
	v_fma_mixlo_f16 v26, v44, v46, 0
	v_pack_b32_f16 v29, v29, v20
	v_pack_b32_f16 v45, v47, v45
	v_fma_mixlo_f16 v27, v44, v27, 0
	v_lshlrev_b32_e32 v26, 16, v26
	v_perm_b32 v20, v45, v29, s25
	v_perm_b32 v45, v45, v29, s26
	v_or_b32_sdwa v26, v26, v27 dst_sel:DWORD dst_unused:UNUSED_PAD src0_sel:DWORD src1_sel:WORD_0
	s_and_saveexec_b64 s[12:13], vcc
	s_cbranch_execz .LBB313_1543
; %bb.1542:                             ;   in Loop: Header=BB313_1067 Depth=1
	scratch_load_dwordx2 v[46:47], off, s32 offset:196 ; 8-byte Folded Reload
	v_lshrrev_b32_e32 v29, 16, v45
	v_cmp_lt_i32_e64 s[2:3], v50, v17
	v_lshrrev_b32_e32 v26, 16, v26
	s_nop 0
	v_cndmask_b32_e64 v29, 0, v29, s[2:3]
	s_waitcnt vmcnt(0)
	v_cmp_lt_i32_e64 s[2:3], v7, v46
	s_nop 1
	v_cndmask_b32_e64 v44, 0, v45, s[2:3]
	v_perm_b32 v45, v29, v44, s27
	v_lshrrev_b32_e32 v29, 16, v20
	v_cmp_lt_i32_e64 s[2:3], v49, v17
	s_nop 1
	v_cndmask_b32_e64 v29, 0, v29, s[2:3]
	v_cmp_lt_i32_e64 s[2:3], v48, v46
	s_nop 1
	v_cndmask_b32_e64 v20, 0, v20, s[2:3]
	v_perm_b32 v20, v29, v20, s27
	v_lshrrev_b32_e32 v29, 16, v16
	v_cmp_lt_i32_e64 s[2:3], v11, v17
	s_nop 1
	v_cndmask_b32_e64 v29, 0, v29, s[2:3]
	v_cmp_lt_i32_e64 s[2:3], v10, v46
	s_nop 1
	v_cndmask_b32_e64 v16, 0, v16, s[2:3]
	v_cmp_lt_i32_e64 s[2:3], v4, v17
	v_perm_b32 v16, v29, v16, s27
	s_nop 0
	v_cndmask_b32_e64 v26, 0, v26, s[2:3]
	v_cmp_lt_i32_e64 s[2:3], v5, v46
	s_nop 1
	v_cndmask_b32_e64 v27, 0, v27, s[2:3]
	v_perm_b32 v26, v26, v27, s27
.LBB313_1543:                           ;   in Loop: Header=BB313_1067 Depth=1
	s_or_b64 exec, exec, s[12:13]
	;;#ASMSTART
	v_pk_mul_f16 v27, v36, v45;

	;;#ASMEND
	;;#ASMSTART
	v_pk_mul_f16 v20, v37, v20;

	;;#ASMEND
	;; [unrolled: 4-line block ×3, first 2 shown]
	v_accvgpr_read_b32 v45, a39
	;;#ASMSTART
	v_pk_mul_f16 v26, v39, v26;

	;;#ASMEND
	;;#ASMSTART
	v_pk_add_f16 v20, v27, v20;

	;;#ASMEND
	v_accvgpr_read_b32 v44, a38
	;;#ASMSTART
	v_pk_add_f16 v16, v20, v16;

	;;#ASMEND
	v_lshl_add_u64 v[44:45], v[18:19], 0, v[44:45]
	;;#ASMSTART
	v_pk_add_f16 v16, v16, v26;

	;;#ASMEND
	s_mov_b64 s[2:3], 0
	v_lshrrev_b32_e32 v20, 16, v16
	v_and_b32_e32 v16, 0xffff, v16
	;;#ASMSTART
	v_cvt_f32_f16 v26, v16;
	;;#ASMEND
	;;#ASMSTART
	v_cvt_f32_f16 v27, v20;
	;;#ASMEND
	flat_load_dwordx2 v[46:47], v[44:45]
	s_nop 0
	scratch_load_dwordx2 v[44:45], off, s32 offset:188 ; 8-byte Folded Reload
                                        ; implicit-def: $sgpr22
	s_waitcnt vmcnt(0) lgkmcnt(0)
	v_cmp_gt_i16_sdwa s[12:13], v46, s5 src0_sel:BYTE_0 src1_sel:DWORD
	flat_load_dword v44, v[44:45]
	s_and_saveexec_b64 s[20:21], s[12:13]
	s_xor_b64 s[12:13], exec, s[20:21]
	s_cbranch_execnz .LBB313_2059
; %bb.1544:                             ;   in Loop: Header=BB313_1067 Depth=1
	s_or_saveexec_b64 s[12:13], s[12:13]
	v_mov_b32_e32 v56, s22
	s_xor_b64 exec, exec, s[12:13]
	s_cbranch_execnz .LBB313_2062
.LBB313_1545:                           ;   in Loop: Header=BB313_1067 Depth=1
	s_or_b64 exec, exec, s[12:13]
	s_and_saveexec_b64 s[12:13], s[2:3]
	s_cbranch_execz .LBB313_1547
.LBB313_1546:                           ;   in Loop: Header=BB313_1067 Depth=1
	v_and_b32_e32 v16, 7, v46
	v_ffbh_u32_e32 v16, v16
	v_bfe_u32 v20, v46, 3, 4
	v_min_u32_e32 v16, 32, v16
	v_subrev_u32_e32 v29, 28, v16
	v_sub_u32_e32 v16, 29, v16
	v_cmp_eq_u32_e64 s[2:3], 0, v20
	s_nop 1
	v_cndmask_b32_e64 v16, v20, v16, s[2:3]
	v_cndmask_b32_e64 v20, 0, v29, s[2:3]
	v_lshlrev_b64 v[56:57], v20, v[46:47]
	v_lshlrev_b32_e32 v29, 8, v46
	v_lshl_add_u32 v16, v16, 10, v62
	v_lshlrev_b32_e32 v20, 7, v56
	v_and_or_b32 v16, v29, s17, v16
	v_and_or_b32 v16, v20, s24, v16
	v_cvt_f32_f16_e32 v56, v16
.LBB313_1547:                           ;   in Loop: Header=BB313_1067 Depth=1
	s_or_b64 exec, exec, s[12:13]
	v_lshrrev_b16_e32 v20, 8, v46
	v_cmp_lt_i16_e64 s[2:3], s5, v20
	s_mov_b64 s[12:13], 0
                                        ; implicit-def: $sgpr28
	s_and_saveexec_b64 s[20:21], s[2:3]
	s_xor_b64 s[20:21], exec, s[20:21]
	s_cbranch_execnz .LBB313_2063
; %bb.1548:                             ;   in Loop: Header=BB313_1067 Depth=1
	s_or_saveexec_b64 s[20:21], s[20:21]
	v_mov_b32_e32 v58, s28
	s_xor_b64 exec, exec, s[20:21]
	s_cbranch_execnz .LBB313_2066
.LBB313_1549:                           ;   in Loop: Header=BB313_1067 Depth=1
	s_or_b64 exec, exec, s[20:21]
	s_and_saveexec_b64 s[20:21], s[12:13]
	s_cbranch_execz .LBB313_1551
.LBB313_1550:                           ;   in Loop: Header=BB313_1067 Depth=1
	v_and_b32_e32 v16, 7, v20
	v_ffbh_u32_e32 v45, v16
	v_bfe_u32 v29, v20, 3, 4
	v_min_u32_e32 v45, 32, v45
	v_subrev_u32_e32 v57, 28, v45
	v_sub_u32_e32 v45, 29, v45
	v_cmp_eq_u32_e64 s[2:3], 0, v29
	v_lshlrev_b64 v[58:59], v57, v[20:21]
	v_and_b32_e32 v57, 7, v58
	v_cndmask_b32_e64 v29, v29, v45, s[2:3]
	v_lshlrev_b32_e32 v20, 8, v20
	v_lshl_add_u32 v29, v29, 10, v62
	v_cndmask_b32_e64 v16, v16, v57, s[2:3]
	v_and_or_b32 v20, v20, s17, v29
	v_lshl_or_b32 v16, v16, 7, v20
	v_cvt_f32_f16_e32 v58, v16
.LBB313_1551:                           ;   in Loop: Header=BB313_1067 Depth=1
	s_or_b64 exec, exec, s[20:21]
	v_lshrrev_b32_e32 v20, 16, v46
	v_cmp_gt_i16_sdwa s[12:13], v20, s5 src0_sel:BYTE_0 src1_sel:DWORD
	s_mov_b64 s[2:3], 0
                                        ; implicit-def: $sgpr22
	s_and_saveexec_b64 s[20:21], s[12:13]
	s_xor_b64 s[12:13], exec, s[20:21]
	s_cbranch_execnz .LBB313_2067
; %bb.1552:                             ;   in Loop: Header=BB313_1067 Depth=1
	s_or_saveexec_b64 s[12:13], s[12:13]
	v_mov_b32_e32 v57, s22
	s_xor_b64 exec, exec, s[12:13]
	s_cbranch_execnz .LBB313_2070
.LBB313_1553:                           ;   in Loop: Header=BB313_1067 Depth=1
	s_or_b64 exec, exec, s[12:13]
	s_and_saveexec_b64 s[12:13], s[2:3]
	s_cbranch_execz .LBB313_1555
.LBB313_1554:                           ;   in Loop: Header=BB313_1067 Depth=1
	v_bfe_u32 v16, v46, 16, 3
	v_ffbh_u32_e32 v45, v16
	v_bfe_u32 v29, v46, 19, 4
	v_min_u32_e32 v45, 32, v45
	v_subrev_u32_e32 v57, 28, v45
	v_sub_u32_e32 v45, 29, v45
	v_cmp_eq_u32_e64 s[2:3], 0, v29
	v_lshlrev_b64 v[60:61], v57, v[20:21]
	v_and_b32_e32 v57, 7, v60
	v_cndmask_b32_e64 v29, v29, v45, s[2:3]
	v_lshlrev_b32_e32 v20, 8, v20
	v_lshl_add_u32 v29, v29, 10, v62
	v_cndmask_b32_e64 v16, v16, v57, s[2:3]
	v_and_or_b32 v20, v20, s17, v29
	v_lshl_or_b32 v16, v16, 7, v20
	v_cvt_f32_f16_e32 v57, v16
.LBB313_1555:                           ;   in Loop: Header=BB313_1067 Depth=1
	s_or_b64 exec, exec, s[12:13]
	v_lshrrev_b32_e32 v20, 24, v46
	v_cmp_lt_i16_e64 s[2:3], s5, v20
	s_mov_b64 s[12:13], 0
                                        ; implicit-def: $sgpr28
	s_and_saveexec_b64 s[20:21], s[2:3]
	s_xor_b64 s[20:21], exec, s[20:21]
	s_cbranch_execnz .LBB313_2071
; %bb.1556:                             ;   in Loop: Header=BB313_1067 Depth=1
	s_or_saveexec_b64 s[20:21], s[20:21]
	v_mov_b32_e32 v59, s28
	s_xor_b64 exec, exec, s[20:21]
	s_cbranch_execnz .LBB313_2074
.LBB313_1557:                           ;   in Loop: Header=BB313_1067 Depth=1
	s_or_b64 exec, exec, s[20:21]
	s_and_saveexec_b64 s[20:21], s[12:13]
	s_cbranch_execz .LBB313_1559
.LBB313_1558:                           ;   in Loop: Header=BB313_1067 Depth=1
	v_bfe_u32 v16, v46, 24, 3
	v_ffbh_u32_e32 v45, v16
	v_bfe_u32 v29, v46, 27, 4
	v_min_u32_e32 v45, 32, v45
	v_subrev_u32_e32 v46, 28, v45
	v_sub_u32_e32 v45, 29, v45
	v_cmp_eq_u32_e64 s[2:3], 0, v29
	v_lshlrev_b64 v[60:61], v46, v[20:21]
	v_and_b32_e32 v46, 7, v60
	v_cndmask_b32_e64 v29, v29, v45, s[2:3]
	v_lshlrev_b32_e32 v20, 8, v20
	v_lshl_add_u32 v29, v29, 10, v62
	v_cndmask_b32_e64 v16, v16, v46, s[2:3]
	v_and_or_b32 v20, v20, s17, v29
	v_lshl_or_b32 v16, v16, 7, v20
	v_cvt_f32_f16_e32 v59, v16
.LBB313_1559:                           ;   in Loop: Header=BB313_1067 Depth=1
	s_or_b64 exec, exec, s[20:21]
	v_cmp_gt_i16_sdwa s[12:13], v47, s5 src0_sel:BYTE_0 src1_sel:DWORD
	s_mov_b64 s[2:3], 0
                                        ; implicit-def: $sgpr22
	s_and_saveexec_b64 s[20:21], s[12:13]
	s_xor_b64 s[12:13], exec, s[20:21]
	s_cbranch_execnz .LBB313_2075
; %bb.1560:                             ;   in Loop: Header=BB313_1067 Depth=1
	s_or_saveexec_b64 s[12:13], s[12:13]
	v_mov_b32_e32 v16, s22
	s_xor_b64 exec, exec, s[12:13]
	s_cbranch_execnz .LBB313_2078
.LBB313_1561:                           ;   in Loop: Header=BB313_1067 Depth=1
	s_or_b64 exec, exec, s[12:13]
	v_mov_b32_e32 v20, v47
	s_and_saveexec_b64 s[12:13], s[2:3]
	s_cbranch_execz .LBB313_1563
.LBB313_1562:                           ;   in Loop: Header=BB313_1067 Depth=1
	v_and_b32_e32 v16, 7, v47
	v_ffbh_u32_e32 v16, v16
	v_bfe_u32 v29, v47, 3, 4
	v_min_u32_e32 v16, 32, v16
	v_subrev_u32_e32 v45, 28, v16
	v_sub_u32_e32 v16, 29, v16
	v_cmp_eq_u32_e64 s[2:3], 0, v29
	s_nop 1
	v_cndmask_b32_e64 v16, v29, v16, s[2:3]
	v_cndmask_b32_e64 v29, 0, v45, s[2:3]
	v_lshlrev_b64 v[60:61], v29, v[20:21]
	v_lshlrev_b32_e32 v45, 8, v47
	v_lshl_add_u32 v16, v16, 10, v62
	v_lshlrev_b32_e32 v29, 7, v60
	v_and_or_b32 v16, v45, s17, v16
	v_and_or_b32 v16, v29, s24, v16
	v_cvt_f32_f16_e32 v16, v16
.LBB313_1563:                           ;   in Loop: Header=BB313_1067 Depth=1
	s_or_b64 exec, exec, s[12:13]
	v_lshrrev_b16_e32 v20, 8, v20
	v_cmp_lt_i16_e64 s[2:3], s5, v20
	s_mov_b64 s[12:13], 0
                                        ; implicit-def: $sgpr28
	s_and_saveexec_b64 s[20:21], s[2:3]
	s_xor_b64 s[20:21], exec, s[20:21]
	s_cbranch_execnz .LBB313_2079
; %bb.1564:                             ;   in Loop: Header=BB313_1067 Depth=1
	s_or_saveexec_b64 s[20:21], s[20:21]
	v_mov_b32_e32 v45, s28
	s_xor_b64 exec, exec, s[20:21]
	s_cbranch_execnz .LBB313_2082
.LBB313_1565:                           ;   in Loop: Header=BB313_1067 Depth=1
	s_or_b64 exec, exec, s[20:21]
	s_and_saveexec_b64 s[20:21], s[12:13]
	s_cbranch_execz .LBB313_1567
.LBB313_1566:                           ;   in Loop: Header=BB313_1067 Depth=1
	v_and_b32_e32 v29, 7, v20
	v_ffbh_u32_e32 v46, v29
	v_bfe_u32 v45, v20, 3, 4
	v_min_u32_e32 v46, 32, v46
	v_subrev_u32_e32 v60, 28, v46
	v_sub_u32_e32 v46, 29, v46
	v_cmp_eq_u32_e64 s[2:3], 0, v45
	v_lshlrev_b64 v[60:61], v60, v[20:21]
	v_and_b32_e32 v60, 7, v60
	v_cndmask_b32_e64 v45, v45, v46, s[2:3]
	v_lshlrev_b32_e32 v20, 8, v20
	v_lshl_add_u32 v45, v45, 10, v62
	v_cndmask_b32_e64 v29, v29, v60, s[2:3]
	v_and_or_b32 v20, v20, s17, v45
	v_lshl_or_b32 v20, v29, 7, v20
	v_cvt_f32_f16_e32 v45, v20
.LBB313_1567:                           ;   in Loop: Header=BB313_1067 Depth=1
	s_or_b64 exec, exec, s[20:21]
	v_lshrrev_b32_e32 v20, 16, v47
	v_cmp_gt_i16_sdwa s[12:13], v20, s5 src0_sel:BYTE_0 src1_sel:DWORD
	s_mov_b64 s[2:3], 0
                                        ; implicit-def: $sgpr22
	s_and_saveexec_b64 s[20:21], s[12:13]
	s_xor_b64 s[12:13], exec, s[20:21]
	s_cbranch_execnz .LBB313_2083
; %bb.1568:                             ;   in Loop: Header=BB313_1067 Depth=1
	s_or_saveexec_b64 s[12:13], s[12:13]
	v_mov_b32_e32 v46, s22
	s_xor_b64 exec, exec, s[12:13]
	s_cbranch_execnz .LBB313_2086
.LBB313_1569:                           ;   in Loop: Header=BB313_1067 Depth=1
	s_or_b64 exec, exec, s[12:13]
	s_and_saveexec_b64 s[12:13], s[2:3]
	s_cbranch_execz .LBB313_1571
.LBB313_1570:                           ;   in Loop: Header=BB313_1067 Depth=1
	v_bfe_u32 v29, v47, 16, 3
	v_ffbh_u32_e32 v60, v29
	v_bfe_u32 v46, v47, 19, 4
	v_min_u32_e32 v51, 32, v60
	v_subrev_u32_e32 v60, 28, v51
	v_sub_u32_e32 v51, 29, v51
	v_cmp_eq_u32_e64 s[2:3], 0, v46
	v_lshlrev_b64 v[60:61], v60, v[20:21]
	v_and_b32_e32 v60, 7, v60
	v_cndmask_b32_e64 v51, v46, v51, s[2:3]
	v_lshlrev_b32_e32 v20, 8, v20
	v_lshl_add_u32 v51, v51, 10, v62
	v_cndmask_b32_e64 v29, v29, v60, s[2:3]
	v_and_or_b32 v20, v20, s17, v51
	v_lshl_or_b32 v20, v29, 7, v20
	v_cvt_f32_f16_e32 v46, v20
.LBB313_1571:                           ;   in Loop: Header=BB313_1067 Depth=1
	s_or_b64 exec, exec, s[12:13]
	v_lshrrev_b32_e32 v20, 24, v47
	v_cmp_lt_i16_e64 s[2:3], s5, v20
	s_mov_b64 s[12:13], 0
                                        ; implicit-def: $sgpr28
	s_and_saveexec_b64 s[20:21], s[2:3]
	s_xor_b64 s[20:21], exec, s[20:21]
	s_cbranch_execnz .LBB313_2087
; %bb.1572:                             ;   in Loop: Header=BB313_1067 Depth=1
	s_or_saveexec_b64 s[20:21], s[20:21]
	v_mov_b32_e32 v29, s28
	s_xor_b64 exec, exec, s[20:21]
	s_cbranch_execnz .LBB313_2090
.LBB313_1573:                           ;   in Loop: Header=BB313_1067 Depth=1
	s_or_b64 exec, exec, s[20:21]
	s_and_saveexec_b64 s[20:21], s[12:13]
	s_cbranch_execz .LBB313_1575
.LBB313_1574:                           ;   in Loop: Header=BB313_1067 Depth=1
	v_bfe_u32 v29, v47, 24, 3
	v_bfe_u32 v51, v47, 27, 4
	v_ffbh_u32_e32 v47, v29
	v_min_u32_e32 v47, 32, v47
	v_subrev_u32_e32 v60, 28, v47
	v_sub_u32_e32 v47, 29, v47
	v_cmp_eq_u32_e64 s[2:3], 0, v51
	v_lshlrev_b64 v[60:61], v60, v[20:21]
	v_and_b32_e32 v60, 7, v60
	v_cndmask_b32_e64 v51, v51, v47, s[2:3]
	v_lshlrev_b32_e32 v20, 8, v20
	v_lshl_add_u32 v51, v51, 10, v62
	v_cndmask_b32_e64 v29, v29, v60, s[2:3]
	v_and_or_b32 v20, v20, s17, v51
	v_lshl_or_b32 v20, v29, 7, v20
	v_cvt_f32_f16_e32 v29, v20
.LBB313_1575:                           ;   in Loop: Header=BB313_1067 Depth=1
	s_or_b64 exec, exec, s[20:21]
	s_waitcnt vmcnt(0) lgkmcnt(0)
	v_pk_mul_f32 v[58:59], v[44:45], v[58:59] op_sel_hi:[0,1]
	v_pk_mul_f32 v[56:57], v[44:45], v[56:57] op_sel_hi:[0,1]
	v_cvt_f16_f32_e32 v20, v59
	v_cvt_f16_f32_e32 v51, v58
	v_cvt_f16_f32_e32 v47, v57
	v_cvt_f16_f32_e32 v56, v56
	v_fma_mixlo_f16 v29, v44, v29, 0
	v_pack_b32_f16 v51, v51, v20
	v_fma_mixlo_f16 v16, v44, v16, 0
	v_pack_b32_f16 v47, v56, v47
	v_perm_b32 v20, v47, v51, s25
	v_perm_b32 v47, v47, v51, s26
	v_fma_mixlo_f16 v51, v44, v45, 0
	v_lshlrev_b32_e32 v51, 16, v51
	v_fma_mixlo_f16 v45, v44, v46, 0
	v_lshlrev_b32_e32 v29, 16, v29
	v_or_b32_sdwa v16, v51, v16 dst_sel:DWORD dst_unused:UNUSED_PAD src0_sel:DWORD src1_sel:WORD_0
	v_or_b32_sdwa v44, v29, v45 dst_sel:DWORD dst_unused:UNUSED_PAD src0_sel:DWORD src1_sel:WORD_0
	s_and_saveexec_b64 s[12:13], vcc
	s_cbranch_execz .LBB313_1577
; %bb.1576:                             ;   in Loop: Header=BB313_1067 Depth=1
	scratch_load_dwordx2 a[0:1], off, s32 offset:196 ; 8-byte Folded Reload
	v_lshrrev_b32_e32 v29, 16, v47
	v_cmp_lt_i32_e64 s[2:3], v50, v17
	s_waitcnt vmcnt(0)
	v_accvgpr_read_b32 v46, a0
	v_cndmask_b32_e64 v29, 0, v29, s[2:3]
	v_cmp_lt_i32_e64 s[2:3], v7, v46
	s_nop 1
	v_cndmask_b32_e64 v51, 0, v47, s[2:3]
	v_perm_b32 v47, v29, v51, s27
	v_lshrrev_b32_e32 v29, 16, v20
	v_cmp_lt_i32_e64 s[2:3], v49, v17
	s_nop 1
	v_cndmask_b32_e64 v29, 0, v29, s[2:3]
	v_cmp_lt_i32_e64 s[2:3], v48, v46
	s_nop 1
	v_cndmask_b32_e64 v20, 0, v20, s[2:3]
	v_perm_b32 v20, v29, v20, s27
	v_lshrrev_b32_e32 v29, 16, v16
	v_cmp_lt_i32_e64 s[2:3], v11, v17
	s_nop 1
	;; [unrolled: 8-line block ×3, first 2 shown]
	v_cndmask_b32_e64 v29, 0, v29, s[2:3]
	v_cmp_lt_i32_e64 s[2:3], v5, v46
	s_nop 1
	v_cndmask_b32_e64 v51, 0, v45, s[2:3]
	v_perm_b32 v44, v29, v51, s27
.LBB313_1577:                           ;   in Loop: Header=BB313_1067 Depth=1
	s_or_b64 exec, exec, s[12:13]
	;;#ASMSTART
	v_pk_mul_f16 v29, v36, v47;

	;;#ASMEND
	;;#ASMSTART
	v_pk_mul_f16 v20, v37, v20;

	;;#ASMEND
	;; [unrolled: 4-line block ×4, first 2 shown]
	v_accvgpr_read_b32 v45, a41
	;;#ASMSTART
	v_pk_add_f16 v20, v29, v20;

	;;#ASMEND
	v_accvgpr_read_b32 v44, a40
	;;#ASMSTART
	v_pk_add_f16 v16, v20, v16;

	;;#ASMEND
	v_lshl_add_u64 v[18:19], v[18:19], 0, v[44:45]
	;;#ASMSTART
	v_pk_add_f16 v16, v16, v51;

	;;#ASMEND
	s_mov_b64 s[2:3], 0
	v_lshrrev_b32_e32 v20, 16, v16
	v_and_b32_e32 v16, 0xffff, v16
	;;#ASMSTART
	v_cvt_f32_f16 v16, v16;
	;;#ASMEND
	;;#ASMSTART
	v_cvt_f32_f16 v58, v20;
	;;#ASMEND
	flat_load_dwordx2 v[44:45], v[18:19]
	s_nop 0
	scratch_load_dwordx2 v[18:19], off, s32 offset:188 ; 8-byte Folded Reload
                                        ; implicit-def: $sgpr22
	s_waitcnt vmcnt(0) lgkmcnt(0)
	v_cmp_gt_i16_sdwa s[12:13], v44, s5 src0_sel:BYTE_0 src1_sel:DWORD
	flat_load_dword v18, v[18:19]
	s_and_saveexec_b64 s[20:21], s[12:13]
	s_xor_b64 s[12:13], exec, s[20:21]
	s_cbranch_execnz .LBB313_2091
; %bb.1578:                             ;   in Loop: Header=BB313_1067 Depth=1
	s_or_saveexec_b64 s[12:13], s[12:13]
	v_mov_b32_e32 v46, s22
	s_xor_b64 exec, exec, s[12:13]
	s_cbranch_execnz .LBB313_2094
.LBB313_1579:                           ;   in Loop: Header=BB313_1067 Depth=1
	s_or_b64 exec, exec, s[12:13]
	s_and_saveexec_b64 s[12:13], s[2:3]
	s_cbranch_execz .LBB313_1581
.LBB313_1580:                           ;   in Loop: Header=BB313_1067 Depth=1
	v_and_b32_e32 v19, 7, v44
	v_ffbh_u32_e32 v19, v19
	v_bfe_u32 v20, v44, 3, 4
	v_min_u32_e32 v19, 32, v19
	v_subrev_u32_e32 v29, 28, v19
	v_sub_u32_e32 v19, 29, v19
	v_cmp_eq_u32_e64 s[2:3], 0, v20
	s_nop 1
	v_cndmask_b32_e64 v19, v20, v19, s[2:3]
	v_cndmask_b32_e64 v20, 0, v29, s[2:3]
	v_lshlrev_b64 v[46:47], v20, v[44:45]
	v_lshlrev_b32_e32 v29, 8, v44
	v_lshl_add_u32 v19, v19, 10, v62
	v_lshlrev_b32_e32 v20, 7, v46
	v_and_or_b32 v19, v29, s17, v19
	v_and_or_b32 v19, v20, s24, v19
	v_cvt_f32_f16_e32 v46, v19
.LBB313_1581:                           ;   in Loop: Header=BB313_1067 Depth=1
	s_or_b64 exec, exec, s[12:13]
	v_lshrrev_b16_e32 v20, 8, v44
	v_cmp_lt_i16_e64 s[2:3], s5, v20
	s_mov_b64 s[12:13], 0
                                        ; implicit-def: $sgpr28
	s_and_saveexec_b64 s[20:21], s[2:3]
	s_xor_b64 s[20:21], exec, s[20:21]
	s_cbranch_execnz .LBB313_2095
; %bb.1582:                             ;   in Loop: Header=BB313_1067 Depth=1
	s_or_saveexec_b64 s[20:21], s[20:21]
	v_mov_b32_e32 v56, s28
	s_xor_b64 exec, exec, s[20:21]
	s_cbranch_execnz .LBB313_2098
.LBB313_1583:                           ;   in Loop: Header=BB313_1067 Depth=1
	s_or_b64 exec, exec, s[20:21]
	s_and_saveexec_b64 s[20:21], s[12:13]
	s_cbranch_execz .LBB313_1585
.LBB313_1584:                           ;   in Loop: Header=BB313_1067 Depth=1
	v_and_b32_e32 v19, 7, v20
	v_ffbh_u32_e32 v51, v19
	v_bfe_u32 v29, v20, 3, 4
	v_min_u32_e32 v51, 32, v51
	v_subrev_u32_e32 v47, 28, v51
	v_sub_u32_e32 v51, 29, v51
	v_cmp_eq_u32_e64 s[2:3], 0, v29
	v_lshlrev_b64 v[56:57], v47, v[20:21]
	v_and_b32_e32 v47, 7, v56
	v_cndmask_b32_e64 v29, v29, v51, s[2:3]
	v_lshlrev_b32_e32 v20, 8, v20
	v_lshl_add_u32 v29, v29, 10, v62
	v_cndmask_b32_e64 v19, v19, v47, s[2:3]
	v_and_or_b32 v20, v20, s17, v29
	v_lshl_or_b32 v19, v19, 7, v20
	v_cvt_f32_f16_e32 v56, v19
.LBB313_1585:                           ;   in Loop: Header=BB313_1067 Depth=1
	s_or_b64 exec, exec, s[20:21]
	v_lshrrev_b32_e32 v20, 16, v44
	v_cmp_gt_i16_sdwa s[12:13], v20, s5 src0_sel:BYTE_0 src1_sel:DWORD
	s_mov_b64 s[2:3], 0
                                        ; implicit-def: $sgpr22
	s_and_saveexec_b64 s[20:21], s[12:13]
	s_xor_b64 s[12:13], exec, s[20:21]
	s_cbranch_execnz .LBB313_2099
; %bb.1586:                             ;   in Loop: Header=BB313_1067 Depth=1
	s_or_saveexec_b64 s[12:13], s[12:13]
	v_mov_b32_e32 v47, s22
	s_xor_b64 exec, exec, s[12:13]
	s_cbranch_execnz .LBB313_2102
.LBB313_1587:                           ;   in Loop: Header=BB313_1067 Depth=1
	s_or_b64 exec, exec, s[12:13]
	s_and_saveexec_b64 s[12:13], s[2:3]
	s_cbranch_execz .LBB313_1589
.LBB313_1588:                           ;   in Loop: Header=BB313_1067 Depth=1
	v_bfe_u32 v19, v44, 16, 3
	v_ffbh_u32_e32 v51, v19
	v_bfe_u32 v29, v44, 19, 4
	v_min_u32_e32 v51, 32, v51
	v_subrev_u32_e32 v47, 28, v51
	v_sub_u32_e32 v51, 29, v51
	v_cmp_eq_u32_e64 s[2:3], 0, v29
	v_lshlrev_b64 v[60:61], v47, v[20:21]
	v_and_b32_e32 v47, 7, v60
	v_cndmask_b32_e64 v29, v29, v51, s[2:3]
	v_lshlrev_b32_e32 v20, 8, v20
	v_lshl_add_u32 v29, v29, 10, v62
	v_cndmask_b32_e64 v19, v19, v47, s[2:3]
	v_and_or_b32 v20, v20, s17, v29
	v_lshl_or_b32 v19, v19, 7, v20
	v_cvt_f32_f16_e32 v47, v19
.LBB313_1589:                           ;   in Loop: Header=BB313_1067 Depth=1
	s_or_b64 exec, exec, s[12:13]
	v_lshrrev_b32_e32 v20, 24, v44
	v_cmp_lt_i16_e64 s[2:3], s5, v20
	s_mov_b64 s[12:13], 0
                                        ; implicit-def: $sgpr28
	s_and_saveexec_b64 s[20:21], s[2:3]
	s_xor_b64 s[20:21], exec, s[20:21]
	s_cbranch_execnz .LBB313_2103
; %bb.1590:                             ;   in Loop: Header=BB313_1067 Depth=1
	s_or_saveexec_b64 s[20:21], s[20:21]
	v_mov_b32_e32 v57, s28
	s_xor_b64 exec, exec, s[20:21]
	s_cbranch_execnz .LBB313_2106
.LBB313_1591:                           ;   in Loop: Header=BB313_1067 Depth=1
	s_or_b64 exec, exec, s[20:21]
	s_and_saveexec_b64 s[20:21], s[12:13]
	s_cbranch_execz .LBB313_1593
.LBB313_1592:                           ;   in Loop: Header=BB313_1067 Depth=1
	v_bfe_u32 v19, v44, 24, 3
	v_ffbh_u32_e32 v51, v19
	v_bfe_u32 v29, v44, 27, 4
	v_min_u32_e32 v51, 32, v51
	v_subrev_u32_e32 v44, 28, v51
	v_sub_u32_e32 v51, 29, v51
	v_cmp_eq_u32_e64 s[2:3], 0, v29
	v_lshlrev_b64 v[60:61], v44, v[20:21]
	v_and_b32_e32 v44, 7, v60
	v_cndmask_b32_e64 v29, v29, v51, s[2:3]
	v_lshlrev_b32_e32 v20, 8, v20
	v_lshl_add_u32 v29, v29, 10, v62
	v_cndmask_b32_e64 v19, v19, v44, s[2:3]
	v_and_or_b32 v20, v20, s17, v29
	v_lshl_or_b32 v19, v19, 7, v20
	v_cvt_f32_f16_e32 v57, v19
.LBB313_1593:                           ;   in Loop: Header=BB313_1067 Depth=1
	s_or_b64 exec, exec, s[20:21]
	v_cmp_gt_i16_sdwa s[12:13], v45, s5 src0_sel:BYTE_0 src1_sel:DWORD
	s_mov_b64 s[2:3], 0
                                        ; implicit-def: $sgpr22
	s_and_saveexec_b64 s[20:21], s[12:13]
	s_xor_b64 s[12:13], exec, s[20:21]
	s_cbranch_execnz .LBB313_2107
; %bb.1594:                             ;   in Loop: Header=BB313_1067 Depth=1
	s_or_saveexec_b64 s[12:13], s[12:13]
	v_mov_b32_e32 v19, s22
	s_xor_b64 exec, exec, s[12:13]
	s_cbranch_execnz .LBB313_2110
.LBB313_1595:                           ;   in Loop: Header=BB313_1067 Depth=1
	s_or_b64 exec, exec, s[12:13]
	v_mov_b32_e32 v20, v45
	s_and_saveexec_b64 s[12:13], s[2:3]
	s_cbranch_execz .LBB313_1597
.LBB313_1596:                           ;   in Loop: Header=BB313_1067 Depth=1
	v_and_b32_e32 v19, 7, v45
	v_ffbh_u32_e32 v19, v19
	v_bfe_u32 v29, v45, 3, 4
	v_min_u32_e32 v19, 32, v19
	v_subrev_u32_e32 v51, 28, v19
	v_sub_u32_e32 v19, 29, v19
	v_cmp_eq_u32_e64 s[2:3], 0, v29
	s_nop 1
	v_cndmask_b32_e64 v19, v29, v19, s[2:3]
	v_cndmask_b32_e64 v29, 0, v51, s[2:3]
	v_lshlrev_b64 v[60:61], v29, v[20:21]
	v_lshlrev_b32_e32 v51, 8, v45
	v_lshl_add_u32 v19, v19, 10, v62
	v_lshlrev_b32_e32 v29, 7, v60
	v_and_or_b32 v19, v51, s17, v19
	v_and_or_b32 v19, v29, s24, v19
	v_cvt_f32_f16_e32 v19, v19
.LBB313_1597:                           ;   in Loop: Header=BB313_1067 Depth=1
	s_or_b64 exec, exec, s[12:13]
	v_lshrrev_b16_e32 v20, 8, v20
	v_cmp_lt_i16_e64 s[2:3], s5, v20
	s_mov_b64 s[12:13], 0
                                        ; implicit-def: $sgpr28
	s_and_saveexec_b64 s[20:21], s[2:3]
	s_xor_b64 s[20:21], exec, s[20:21]
	s_cbranch_execnz .LBB313_2111
; %bb.1598:                             ;   in Loop: Header=BB313_1067 Depth=1
	s_or_saveexec_b64 s[20:21], s[20:21]
	v_mov_b32_e32 v44, s28
	s_xor_b64 exec, exec, s[20:21]
	s_cbranch_execnz .LBB313_2114
.LBB313_1599:                           ;   in Loop: Header=BB313_1067 Depth=1
	s_or_b64 exec, exec, s[20:21]
	s_and_saveexec_b64 s[20:21], s[12:13]
	s_cbranch_execz .LBB313_1601
.LBB313_1600:                           ;   in Loop: Header=BB313_1067 Depth=1
	v_and_b32_e32 v29, 7, v20
	v_ffbh_u32_e32 v44, v29
	v_bfe_u32 v51, v20, 3, 4
	v_min_u32_e32 v44, 32, v44
	v_subrev_u32_e32 v59, 28, v44
	v_sub_u32_e32 v44, 29, v44
	v_cmp_eq_u32_e64 s[2:3], 0, v51
	v_lshlrev_b64 v[60:61], v59, v[20:21]
	v_and_b32_e32 v59, 7, v60
	v_cndmask_b32_e64 v51, v51, v44, s[2:3]
	v_lshlrev_b32_e32 v20, 8, v20
	v_lshl_add_u32 v51, v51, 10, v62
	v_cndmask_b32_e64 v29, v29, v59, s[2:3]
	v_and_or_b32 v20, v20, s17, v51
	v_lshl_or_b32 v20, v29, 7, v20
	v_cvt_f32_f16_e32 v44, v20
.LBB313_1601:                           ;   in Loop: Header=BB313_1067 Depth=1
	s_or_b64 exec, exec, s[20:21]
	v_lshrrev_b32_e32 v20, 16, v45
	v_cmp_gt_i16_sdwa s[12:13], v20, s5 src0_sel:BYTE_0 src1_sel:DWORD
	s_mov_b64 s[2:3], 0
                                        ; implicit-def: $sgpr22
	s_and_saveexec_b64 s[20:21], s[12:13]
	s_xor_b64 s[12:13], exec, s[20:21]
	s_cbranch_execnz .LBB313_2115
; %bb.1602:                             ;   in Loop: Header=BB313_1067 Depth=1
	s_or_saveexec_b64 s[12:13], s[12:13]
	v_mov_b32_e32 v59, s22
	s_xor_b64 exec, exec, s[12:13]
	s_cbranch_execnz .LBB313_2118
.LBB313_1603:                           ;   in Loop: Header=BB313_1067 Depth=1
	s_or_b64 exec, exec, s[12:13]
	s_and_saveexec_b64 s[12:13], s[2:3]
	s_cbranch_execz .LBB313_1605
.LBB313_1604:                           ;   in Loop: Header=BB313_1067 Depth=1
	v_bfe_u32 v29, v45, 16, 3
	v_ffbh_u32_e32 v59, v29
	v_bfe_u32 v51, v45, 19, 4
	v_min_u32_e32 v59, 32, v59
	v_subrev_u32_e32 v60, 28, v59
	v_sub_u32_e32 v59, 29, v59
	v_cmp_eq_u32_e64 s[2:3], 0, v51
	v_lshlrev_b64 v[60:61], v60, v[20:21]
	v_and_b32_e32 v60, 7, v60
	v_cndmask_b32_e64 v51, v51, v59, s[2:3]
	v_lshlrev_b32_e32 v20, 8, v20
	v_lshl_add_u32 v51, v51, 10, v62
	v_cndmask_b32_e64 v29, v29, v60, s[2:3]
	v_and_or_b32 v20, v20, s17, v51
	v_lshl_or_b32 v20, v29, 7, v20
	v_cvt_f32_f16_e32 v59, v20
.LBB313_1605:                           ;   in Loop: Header=BB313_1067 Depth=1
	s_or_b64 exec, exec, s[12:13]
	v_lshrrev_b32_e32 v20, 24, v45
	v_cmp_lt_i16_e64 s[2:3], s5, v20
	s_mov_b64 s[12:13], 0
                                        ; implicit-def: $sgpr28
	s_and_saveexec_b64 s[20:21], s[2:3]
	s_xor_b64 s[20:21], exec, s[20:21]
	s_cbranch_execnz .LBB313_2119
; %bb.1606:                             ;   in Loop: Header=BB313_1067 Depth=1
	s_or_saveexec_b64 s[20:21], s[20:21]
	v_mov_b32_e32 v29, s28
	s_xor_b64 exec, exec, s[20:21]
	s_cbranch_execnz .LBB313_2122
.LBB313_1607:                           ;   in Loop: Header=BB313_1067 Depth=1
	s_or_b64 exec, exec, s[20:21]
	s_and_saveexec_b64 s[20:21], s[12:13]
	s_cbranch_execz .LBB313_1609
.LBB313_1608:                           ;   in Loop: Header=BB313_1067 Depth=1
	v_bfe_u32 v29, v45, 24, 3
	v_bfe_u32 v51, v45, 27, 4
	v_ffbh_u32_e32 v45, v29
	v_min_u32_e32 v45, 32, v45
	v_subrev_u32_e32 v60, 28, v45
	v_sub_u32_e32 v45, 29, v45
	v_cmp_eq_u32_e64 s[2:3], 0, v51
	v_lshlrev_b64 v[60:61], v60, v[20:21]
	v_and_b32_e32 v60, 7, v60
	v_cndmask_b32_e64 v51, v51, v45, s[2:3]
	v_lshlrev_b32_e32 v20, 8, v20
	v_lshl_add_u32 v51, v51, 10, v62
	v_cndmask_b32_e64 v29, v29, v60, s[2:3]
	v_and_or_b32 v20, v20, s17, v51
	v_lshl_or_b32 v20, v29, 7, v20
	v_cvt_f32_f16_e32 v29, v20
.LBB313_1609:                           ;   in Loop: Header=BB313_1067 Depth=1
	s_or_b64 exec, exec, s[20:21]
	s_waitcnt vmcnt(0) lgkmcnt(0)
	v_pk_mul_f32 v[56:57], v[18:19], v[56:57] op_sel_hi:[0,1]
	v_pk_mul_f32 v[46:47], v[18:19], v[46:47] op_sel_hi:[0,1]
	v_cvt_f16_f32_e32 v20, v57
	v_cvt_f16_f32_e32 v51, v56
	v_cvt_f16_f32_e32 v45, v47
	v_cvt_f16_f32_e32 v46, v46
	v_fma_mixlo_f16 v19, v18, v19, 0
	v_pack_b32_f16 v51, v51, v20
	v_pack_b32_f16 v45, v46, v45
	v_perm_b32 v20, v45, v51, s25
	v_perm_b32 v45, v45, v51, s26
	v_fma_mixlo_f16 v51, v18, v44, 0
	v_fma_mixlo_f16 v44, v18, v59, 0
	;; [unrolled: 1-line block ×3, first 2 shown]
	v_lshlrev_b32_e32 v51, 16, v51
	v_lshlrev_b32_e32 v18, 16, v18
	v_or_b32_sdwa v19, v51, v19 dst_sel:DWORD dst_unused:UNUSED_PAD src0_sel:DWORD src1_sel:WORD_0
	v_or_b32_sdwa v18, v18, v44 dst_sel:DWORD dst_unused:UNUSED_PAD src0_sel:DWORD src1_sel:WORD_0
	s_and_saveexec_b64 s[2:3], vcc
	s_cbranch_execz .LBB313_1066
; %bb.1610:                             ;   in Loop: Header=BB313_1067 Depth=1
	scratch_load_dwordx2 v[46:47], off, s32 offset:196 ; 8-byte Folded Reload
	v_lshrrev_b32_e32 v29, 16, v45
	v_cmp_lt_i32_e32 vcc, v50, v17
	s_nop 1
	v_cndmask_b32_e32 v29, 0, v29, vcc
	s_waitcnt vmcnt(0)
	v_cmp_lt_i32_e32 vcc, v7, v46
	s_nop 1
	v_cndmask_b32_e32 v50, 0, v45, vcc
	v_perm_b32 v45, v29, v50, s27
	v_lshrrev_b32_e32 v29, 16, v20
	v_cmp_lt_i32_e32 vcc, v49, v17
	s_nop 1
	v_cndmask_b32_e32 v29, 0, v29, vcc
	v_cmp_lt_i32_e32 vcc, v48, v46
	s_nop 1
	v_cndmask_b32_e32 v20, 0, v20, vcc
	v_perm_b32 v20, v29, v20, s27
	v_lshrrev_b32_e32 v29, 16, v19
	v_cmp_lt_i32_e32 vcc, v11, v17
	s_nop 1
	v_cndmask_b32_e32 v11, 0, v29, vcc
	;; [unrolled: 8-line block ×3, first 2 shown]
	v_cmp_lt_i32_e32 vcc, v5, v46
	s_nop 1
	v_cndmask_b32_e32 v5, 0, v44, vcc
	v_perm_b32 v18, v4, v5, s27
	s_branch .LBB313_1066
.LBB313_1611:                           ;   in Loop: Header=BB313_1067 Depth=1
	v_cmp_eq_u16_sdwa s[28:29], v56, s15 src0_sel:BYTE_0 src1_sel:DWORD
	s_mov_b64 s[2:3], -1
                                        ; implicit-def: $sgpr22
	s_and_saveexec_b64 s[20:21], s[28:29]
; %bb.1612:                             ;   in Loop: Header=BB313_1067 Depth=1
	s_mov_b32 s22, 0x7fc02000
	s_xor_b64 s[2:3], exec, -1
; %bb.1613:                             ;   in Loop: Header=BB313_1067 Depth=1
	s_or_b64 exec, exec, s[20:21]
	s_and_b64 s[2:3], s[2:3], exec
	s_or_saveexec_b64 s[12:13], s[12:13]
	v_mov_b32_e32 v58, s22
	s_xor_b64 exec, exec, s[12:13]
	s_cbranch_execz .LBB313_1069
.LBB313_1614:                           ;   in Loop: Header=BB313_1067 Depth=1
	v_cmp_ne_u16_sdwa s[20:21], v56, v21 src0_sel:BYTE_0 src1_sel:DWORD
	s_andn2_b64 s[2:3], s[2:3], exec
	s_and_b64 s[20:21], s[20:21], exec
	v_mov_b32_e32 v58, 0
	s_or_b64 s[2:3], s[2:3], s[20:21]
	s_or_b64 exec, exec, s[12:13]
	s_and_saveexec_b64 s[12:13], s[2:3]
	s_cbranch_execnz .LBB313_1070
	s_branch .LBB313_1071
.LBB313_1615:                           ;   in Loop: Header=BB313_1067 Depth=1
	v_cmp_eq_u16_e32 vcc, s15, v20
	s_mov_b64 s[2:3], -1
                                        ; implicit-def: $sgpr22
	s_and_saveexec_b64 s[20:21], vcc
; %bb.1616:                             ;   in Loop: Header=BB313_1067 Depth=1
	s_mov_b32 s22, 0x7fc02000
	s_xor_b64 s[2:3], exec, -1
; %bb.1617:                             ;   in Loop: Header=BB313_1067 Depth=1
	s_or_b64 exec, exec, s[20:21]
	s_and_b64 s[2:3], s[2:3], exec
	s_or_saveexec_b64 s[12:13], s[12:13]
	v_mov_b32_e32 v60, s22
	s_xor_b64 exec, exec, s[12:13]
	s_cbranch_execz .LBB313_1073
.LBB313_1618:                           ;   in Loop: Header=BB313_1067 Depth=1
	v_cmp_ne_u16_e32 vcc, 0, v20
	s_andn2_b64 s[2:3], s[2:3], exec
	s_and_b64 s[20:21], vcc, exec
	v_mov_b32_e32 v60, 0
	s_or_b64 s[2:3], s[2:3], s[20:21]
	s_or_b64 exec, exec, s[12:13]
	s_and_saveexec_b64 s[12:13], s[2:3]
	s_cbranch_execnz .LBB313_1074
	s_branch .LBB313_1075
.LBB313_1619:                           ;   in Loop: Header=BB313_1067 Depth=1
	v_cmp_eq_u16_sdwa s[28:29], v20, s15 src0_sel:BYTE_0 src1_sel:DWORD
	s_mov_b64 s[2:3], -1
                                        ; implicit-def: $sgpr22
	s_and_saveexec_b64 s[20:21], s[28:29]
; %bb.1620:                             ;   in Loop: Header=BB313_1067 Depth=1
	s_mov_b32 s22, 0x7fc02000
	s_xor_b64 s[2:3], exec, -1
; %bb.1621:                             ;   in Loop: Header=BB313_1067 Depth=1
	s_or_b64 exec, exec, s[20:21]
	s_and_b64 s[2:3], s[2:3], exec
	s_or_saveexec_b64 s[12:13], s[12:13]
	v_mov_b32_e32 v59, s22
	s_xor_b64 exec, exec, s[12:13]
	s_cbranch_execz .LBB313_1077
.LBB313_1622:                           ;   in Loop: Header=BB313_1067 Depth=1
	v_cmp_ne_u16_sdwa s[20:21], v20, v21 src0_sel:BYTE_0 src1_sel:DWORD
	s_andn2_b64 s[2:3], s[2:3], exec
	s_and_b64 s[20:21], s[20:21], exec
	v_mov_b32_e32 v59, 0
	s_or_b64 s[2:3], s[2:3], s[20:21]
	s_or_b64 exec, exec, s[12:13]
	s_and_saveexec_b64 s[12:13], s[2:3]
	s_cbranch_execnz .LBB313_1078
	s_branch .LBB313_1079
.LBB313_1623:                           ;   in Loop: Header=BB313_1067 Depth=1
	v_cmp_eq_u16_e32 vcc, s15, v20
	s_mov_b64 s[2:3], -1
                                        ; implicit-def: $sgpr22
	s_and_saveexec_b64 s[20:21], vcc
; %bb.1624:                             ;   in Loop: Header=BB313_1067 Depth=1
	s_mov_b32 s22, 0x7fc02000
	s_xor_b64 s[2:3], exec, -1
; %bb.1625:                             ;   in Loop: Header=BB313_1067 Depth=1
	s_or_b64 exec, exec, s[20:21]
	s_and_b64 s[2:3], s[2:3], exec
	s_or_saveexec_b64 s[12:13], s[12:13]
	v_mov_b32_e32 v61, s22
	s_xor_b64 exec, exec, s[12:13]
	s_cbranch_execz .LBB313_1081
.LBB313_1626:                           ;   in Loop: Header=BB313_1067 Depth=1
	v_cmp_ne_u16_e32 vcc, 0, v20
	s_andn2_b64 s[2:3], s[2:3], exec
	s_and_b64 s[20:21], vcc, exec
	v_mov_b32_e32 v61, 0
	s_or_b64 s[2:3], s[2:3], s[20:21]
	s_or_b64 exec, exec, s[12:13]
	s_and_saveexec_b64 s[12:13], s[2:3]
	s_cbranch_execnz .LBB313_1082
	s_branch .LBB313_1083
.LBB313_1627:                           ;   in Loop: Header=BB313_1067 Depth=1
	v_cmp_eq_u16_sdwa s[28:29], v57, s15 src0_sel:BYTE_0 src1_sel:DWORD
	s_mov_b64 s[2:3], -1
                                        ; implicit-def: $sgpr22
	s_and_saveexec_b64 s[20:21], s[28:29]
; %bb.1628:                             ;   in Loop: Header=BB313_1067 Depth=1
	s_mov_b32 s22, 0x7fc02000
	s_xor_b64 s[2:3], exec, -1
; %bb.1629:                             ;   in Loop: Header=BB313_1067 Depth=1
	s_or_b64 exec, exec, s[20:21]
	s_and_b64 s[2:3], s[2:3], exec
	s_or_saveexec_b64 s[12:13], s[12:13]
	v_mov_b32_e32 v4, s22
	s_xor_b64 exec, exec, s[12:13]
	s_cbranch_execz .LBB313_1085
.LBB313_1630:                           ;   in Loop: Header=BB313_1067 Depth=1
	v_cmp_ne_u16_sdwa s[20:21], v57, v21 src0_sel:BYTE_0 src1_sel:DWORD
	s_andn2_b64 s[2:3], s[2:3], exec
	s_and_b64 s[20:21], s[20:21], exec
	v_mov_b32_e32 v4, 0
	s_or_b64 s[2:3], s[2:3], s[20:21]
	s_or_b64 exec, exec, s[12:13]
	v_mov_b32_e32 v20, v57
	s_and_saveexec_b64 s[12:13], s[2:3]
	s_cbranch_execnz .LBB313_1086
	s_branch .LBB313_1087
.LBB313_1631:                           ;   in Loop: Header=BB313_1067 Depth=1
	v_cmp_eq_u16_e32 vcc, s15, v20
	s_mov_b64 s[2:3], -1
                                        ; implicit-def: $sgpr22
	s_and_saveexec_b64 s[20:21], vcc
; %bb.1632:                             ;   in Loop: Header=BB313_1067 Depth=1
	s_mov_b32 s22, 0x7fc02000
	s_xor_b64 s[2:3], exec, -1
; %bb.1633:                             ;   in Loop: Header=BB313_1067 Depth=1
	s_or_b64 exec, exec, s[20:21]
	s_and_b64 s[2:3], s[2:3], exec
	s_or_saveexec_b64 s[12:13], s[12:13]
	v_mov_b32_e32 v5, s22
	s_xor_b64 exec, exec, s[12:13]
	s_cbranch_execz .LBB313_1089
.LBB313_1634:                           ;   in Loop: Header=BB313_1067 Depth=1
	v_cmp_ne_u16_e32 vcc, 0, v20
	s_andn2_b64 s[2:3], s[2:3], exec
	s_and_b64 s[20:21], vcc, exec
	v_mov_b32_e32 v5, 0
	s_or_b64 s[2:3], s[2:3], s[20:21]
	s_or_b64 exec, exec, s[12:13]
	s_and_saveexec_b64 s[12:13], s[2:3]
	s_cbranch_execnz .LBB313_1090
	s_branch .LBB313_1091
.LBB313_1635:                           ;   in Loop: Header=BB313_1067 Depth=1
	v_cmp_eq_u16_sdwa s[28:29], v20, s15 src0_sel:BYTE_0 src1_sel:DWORD
	s_mov_b64 s[2:3], -1
                                        ; implicit-def: $sgpr22
	s_and_saveexec_b64 s[20:21], s[28:29]
; %bb.1636:                             ;   in Loop: Header=BB313_1067 Depth=1
	s_mov_b32 s22, 0x7fc02000
	s_xor_b64 s[2:3], exec, -1
; %bb.1637:                             ;   in Loop: Header=BB313_1067 Depth=1
	s_or_b64 exec, exec, s[20:21]
	s_and_b64 s[2:3], s[2:3], exec
	s_or_saveexec_b64 s[12:13], s[12:13]
	v_mov_b32_e32 v10, s22
	s_xor_b64 exec, exec, s[12:13]
	s_cbranch_execz .LBB313_1093
.LBB313_1638:                           ;   in Loop: Header=BB313_1067 Depth=1
	v_cmp_ne_u16_sdwa s[20:21], v20, v21 src0_sel:BYTE_0 src1_sel:DWORD
	s_andn2_b64 s[2:3], s[2:3], exec
	s_and_b64 s[20:21], s[20:21], exec
	v_mov_b32_e32 v10, 0
	s_or_b64 s[2:3], s[2:3], s[20:21]
	s_or_b64 exec, exec, s[12:13]
	s_and_saveexec_b64 s[12:13], s[2:3]
	s_cbranch_execnz .LBB313_1094
	s_branch .LBB313_1095
.LBB313_1639:                           ;   in Loop: Header=BB313_1067 Depth=1
	v_cmp_eq_u16_e32 vcc, s15, v20
	s_mov_b64 s[2:3], -1
                                        ; implicit-def: $sgpr22
	s_and_saveexec_b64 s[20:21], vcc
; %bb.1640:                             ;   in Loop: Header=BB313_1067 Depth=1
	s_mov_b32 s22, 0x7fc02000
	s_xor_b64 s[2:3], exec, -1
; %bb.1641:                             ;   in Loop: Header=BB313_1067 Depth=1
	s_or_b64 exec, exec, s[20:21]
	s_and_b64 s[2:3], s[2:3], exec
	s_or_saveexec_b64 s[12:13], s[12:13]
	v_mov_b32_e32 v11, s22
	s_xor_b64 exec, exec, s[12:13]
	s_cbranch_execz .LBB313_1097
.LBB313_1642:                           ;   in Loop: Header=BB313_1067 Depth=1
	v_cmp_ne_u16_e32 vcc, 0, v20
	s_andn2_b64 s[2:3], s[2:3], exec
	s_and_b64 s[20:21], vcc, exec
	v_mov_b32_e32 v11, 0
	s_or_b64 s[2:3], s[2:3], s[20:21]
	s_or_b64 exec, exec, s[12:13]
	s_and_saveexec_b64 s[12:13], s[2:3]
	s_cbranch_execnz .LBB313_1098
	s_branch .LBB313_1099
.LBB313_1643:                           ;   in Loop: Header=BB313_1067 Depth=1
	v_cmp_eq_u16_sdwa s[28:29], v56, s15 src0_sel:BYTE_0 src1_sel:DWORD
	s_mov_b64 s[2:3], -1
                                        ; implicit-def: $sgpr22
	s_and_saveexec_b64 s[20:21], s[28:29]
; %bb.1644:                             ;   in Loop: Header=BB313_1067 Depth=1
	s_mov_b32 s22, 0x7fc02000
	s_xor_b64 s[2:3], exec, -1
; %bb.1645:                             ;   in Loop: Header=BB313_1067 Depth=1
	s_or_b64 exec, exec, s[20:21]
	s_and_b64 s[2:3], s[2:3], exec
	s_or_saveexec_b64 s[12:13], s[12:13]
	v_mov_b32_e32 v58, s22
	s_xor_b64 exec, exec, s[12:13]
	s_cbranch_execz .LBB313_1103
.LBB313_1646:                           ;   in Loop: Header=BB313_1067 Depth=1
	v_cmp_ne_u16_sdwa s[20:21], v56, v21 src0_sel:BYTE_0 src1_sel:DWORD
	s_andn2_b64 s[2:3], s[2:3], exec
	s_and_b64 s[20:21], s[20:21], exec
	v_mov_b32_e32 v58, 0
	s_or_b64 s[2:3], s[2:3], s[20:21]
	s_or_b64 exec, exec, s[12:13]
	s_and_saveexec_b64 s[12:13], s[2:3]
	s_cbranch_execnz .LBB313_1104
	s_branch .LBB313_1105
.LBB313_1647:                           ;   in Loop: Header=BB313_1067 Depth=1
	v_cmp_eq_u16_e64 s[2:3], s15, v20
	s_mov_b64 s[12:13], -1
                                        ; implicit-def: $sgpr28
	s_and_saveexec_b64 s[22:23], s[2:3]
; %bb.1648:                             ;   in Loop: Header=BB313_1067 Depth=1
	s_mov_b32 s28, 0x7fc02000
	s_xor_b64 s[12:13], exec, -1
; %bb.1649:                             ;   in Loop: Header=BB313_1067 Depth=1
	s_or_b64 exec, exec, s[22:23]
	s_and_b64 s[12:13], s[12:13], exec
	s_or_saveexec_b64 s[20:21], s[20:21]
	v_mov_b32_e32 v60, s28
	s_xor_b64 exec, exec, s[20:21]
	s_cbranch_execz .LBB313_1107
.LBB313_1650:                           ;   in Loop: Header=BB313_1067 Depth=1
	v_cmp_ne_u16_e64 s[2:3], 0, v20
	s_andn2_b64 s[12:13], s[12:13], exec
	s_and_b64 s[2:3], s[2:3], exec
	v_mov_b32_e32 v60, 0
	s_or_b64 s[12:13], s[12:13], s[2:3]
	s_or_b64 exec, exec, s[20:21]
	s_and_saveexec_b64 s[20:21], s[12:13]
	s_cbranch_execnz .LBB313_1108
	s_branch .LBB313_1109
.LBB313_1651:                           ;   in Loop: Header=BB313_1067 Depth=1
	v_cmp_eq_u16_sdwa s[28:29], v20, s15 src0_sel:BYTE_0 src1_sel:DWORD
	s_mov_b64 s[2:3], -1
                                        ; implicit-def: $sgpr22
	s_and_saveexec_b64 s[20:21], s[28:29]
; %bb.1652:                             ;   in Loop: Header=BB313_1067 Depth=1
	s_mov_b32 s22, 0x7fc02000
	s_xor_b64 s[2:3], exec, -1
; %bb.1653:                             ;   in Loop: Header=BB313_1067 Depth=1
	s_or_b64 exec, exec, s[20:21]
	s_and_b64 s[2:3], s[2:3], exec
	s_or_saveexec_b64 s[12:13], s[12:13]
	v_mov_b32_e32 v59, s22
	s_xor_b64 exec, exec, s[12:13]
	s_cbranch_execz .LBB313_1111
.LBB313_1654:                           ;   in Loop: Header=BB313_1067 Depth=1
	v_cmp_ne_u16_sdwa s[20:21], v20, v21 src0_sel:BYTE_0 src1_sel:DWORD
	s_andn2_b64 s[2:3], s[2:3], exec
	s_and_b64 s[20:21], s[20:21], exec
	v_mov_b32_e32 v59, 0
	s_or_b64 s[2:3], s[2:3], s[20:21]
	s_or_b64 exec, exec, s[12:13]
	s_and_saveexec_b64 s[12:13], s[2:3]
	s_cbranch_execnz .LBB313_1112
	s_branch .LBB313_1113
.LBB313_1655:                           ;   in Loop: Header=BB313_1067 Depth=1
	v_cmp_eq_u16_e64 s[2:3], s15, v20
	s_mov_b64 s[12:13], -1
                                        ; implicit-def: $sgpr28
	s_and_saveexec_b64 s[22:23], s[2:3]
; %bb.1656:                             ;   in Loop: Header=BB313_1067 Depth=1
	s_mov_b32 s28, 0x7fc02000
	s_xor_b64 s[12:13], exec, -1
; %bb.1657:                             ;   in Loop: Header=BB313_1067 Depth=1
	s_or_b64 exec, exec, s[22:23]
	s_and_b64 s[12:13], s[12:13], exec
	s_or_saveexec_b64 s[20:21], s[20:21]
	v_mov_b32_e32 v61, s28
	s_xor_b64 exec, exec, s[20:21]
	s_cbranch_execz .LBB313_1115
.LBB313_1658:                           ;   in Loop: Header=BB313_1067 Depth=1
	v_cmp_ne_u16_e64 s[2:3], 0, v20
	s_andn2_b64 s[12:13], s[12:13], exec
	s_and_b64 s[2:3], s[2:3], exec
	v_mov_b32_e32 v61, 0
	s_or_b64 s[12:13], s[12:13], s[2:3]
	s_or_b64 exec, exec, s[20:21]
	s_and_saveexec_b64 s[20:21], s[12:13]
	s_cbranch_execnz .LBB313_1116
	s_branch .LBB313_1117
.LBB313_1659:                           ;   in Loop: Header=BB313_1067 Depth=1
	v_cmp_eq_u16_sdwa s[28:29], v57, s15 src0_sel:BYTE_0 src1_sel:DWORD
	s_mov_b64 s[2:3], -1
                                        ; implicit-def: $sgpr22
	s_and_saveexec_b64 s[20:21], s[28:29]
; %bb.1660:                             ;   in Loop: Header=BB313_1067 Depth=1
	s_mov_b32 s22, 0x7fc02000
	s_xor_b64 s[2:3], exec, -1
; %bb.1661:                             ;   in Loop: Header=BB313_1067 Depth=1
	s_or_b64 exec, exec, s[20:21]
	s_and_b64 s[2:3], s[2:3], exec
	s_or_saveexec_b64 s[12:13], s[12:13]
	v_mov_b32_e32 v6, s22
	s_xor_b64 exec, exec, s[12:13]
	s_cbranch_execz .LBB313_1119
.LBB313_1662:                           ;   in Loop: Header=BB313_1067 Depth=1
	v_cmp_ne_u16_sdwa s[20:21], v57, v21 src0_sel:BYTE_0 src1_sel:DWORD
	s_andn2_b64 s[2:3], s[2:3], exec
	s_and_b64 s[20:21], s[20:21], exec
	v_mov_b32_e32 v6, 0
	s_or_b64 s[2:3], s[2:3], s[20:21]
	s_or_b64 exec, exec, s[12:13]
	v_mov_b32_e32 v20, v57
	s_and_saveexec_b64 s[12:13], s[2:3]
	s_cbranch_execnz .LBB313_1120
	s_branch .LBB313_1121
.LBB313_1663:                           ;   in Loop: Header=BB313_1067 Depth=1
	v_cmp_eq_u16_e64 s[2:3], s15, v20
	s_mov_b64 s[12:13], -1
                                        ; implicit-def: $sgpr28
	s_and_saveexec_b64 s[22:23], s[2:3]
; %bb.1664:                             ;   in Loop: Header=BB313_1067 Depth=1
	s_mov_b32 s28, 0x7fc02000
	s_xor_b64 s[12:13], exec, -1
; %bb.1665:                             ;   in Loop: Header=BB313_1067 Depth=1
	s_or_b64 exec, exec, s[22:23]
	s_and_b64 s[12:13], s[12:13], exec
	s_or_saveexec_b64 s[20:21], s[20:21]
	v_mov_b32_e32 v16, s28
	s_xor_b64 exec, exec, s[20:21]
	s_cbranch_execz .LBB313_1123
.LBB313_1666:                           ;   in Loop: Header=BB313_1067 Depth=1
	v_cmp_ne_u16_e64 s[2:3], 0, v20
	s_andn2_b64 s[12:13], s[12:13], exec
	s_and_b64 s[2:3], s[2:3], exec
	v_mov_b32_e32 v16, 0
	s_or_b64 s[12:13], s[12:13], s[2:3]
	s_or_b64 exec, exec, s[20:21]
	s_and_saveexec_b64 s[20:21], s[12:13]
	s_cbranch_execnz .LBB313_1124
	s_branch .LBB313_1125
.LBB313_1667:                           ;   in Loop: Header=BB313_1067 Depth=1
	v_cmp_eq_u16_sdwa s[28:29], v20, s15 src0_sel:BYTE_0 src1_sel:DWORD
	s_mov_b64 s[2:3], -1
                                        ; implicit-def: $sgpr22
	s_and_saveexec_b64 s[20:21], s[28:29]
; %bb.1668:                             ;   in Loop: Header=BB313_1067 Depth=1
	s_mov_b32 s22, 0x7fc02000
	s_xor_b64 s[2:3], exec, -1
; %bb.1669:                             ;   in Loop: Header=BB313_1067 Depth=1
	s_or_b64 exec, exec, s[20:21]
	s_and_b64 s[2:3], s[2:3], exec
	s_or_saveexec_b64 s[12:13], s[12:13]
	v_mov_b32_e32 v22, s22
	s_xor_b64 exec, exec, s[12:13]
	s_cbranch_execz .LBB313_1127
.LBB313_1670:                           ;   in Loop: Header=BB313_1067 Depth=1
	v_cmp_ne_u16_sdwa s[20:21], v20, v21 src0_sel:BYTE_0 src1_sel:DWORD
	s_andn2_b64 s[2:3], s[2:3], exec
	s_and_b64 s[20:21], s[20:21], exec
	v_mov_b32_e32 v22, 0
	s_or_b64 s[2:3], s[2:3], s[20:21]
	s_or_b64 exec, exec, s[12:13]
	s_and_saveexec_b64 s[12:13], s[2:3]
	s_cbranch_execnz .LBB313_1128
	s_branch .LBB313_1129
.LBB313_1671:                           ;   in Loop: Header=BB313_1067 Depth=1
	v_cmp_eq_u16_e64 s[2:3], s15, v20
	s_mov_b64 s[12:13], -1
                                        ; implicit-def: $sgpr28
	s_and_saveexec_b64 s[22:23], s[2:3]
; %bb.1672:                             ;   in Loop: Header=BB313_1067 Depth=1
	s_mov_b32 s28, 0x7fc02000
	s_xor_b64 s[12:13], exec, -1
; %bb.1673:                             ;   in Loop: Header=BB313_1067 Depth=1
	s_or_b64 exec, exec, s[22:23]
	s_and_b64 s[12:13], s[12:13], exec
	s_or_saveexec_b64 s[20:21], s[20:21]
	v_mov_b32_e32 v27, s28
	s_xor_b64 exec, exec, s[20:21]
	s_cbranch_execz .LBB313_1131
.LBB313_1674:                           ;   in Loop: Header=BB313_1067 Depth=1
	v_cmp_ne_u16_e64 s[2:3], 0, v20
	s_andn2_b64 s[12:13], s[12:13], exec
	s_and_b64 s[2:3], s[2:3], exec
	v_mov_b32_e32 v27, 0
	s_or_b64 s[12:13], s[12:13], s[2:3]
	s_or_b64 exec, exec, s[20:21]
	s_and_saveexec_b64 s[20:21], s[12:13]
	s_cbranch_execnz .LBB313_1132
	s_branch .LBB313_1133
.LBB313_1675:                           ;   in Loop: Header=BB313_1067 Depth=1
	v_cmp_eq_u16_sdwa s[28:29], v56, s15 src0_sel:BYTE_0 src1_sel:DWORD
	s_mov_b64 s[2:3], -1
                                        ; implicit-def: $sgpr22
	s_and_saveexec_b64 s[20:21], s[28:29]
; %bb.1676:                             ;   in Loop: Header=BB313_1067 Depth=1
	s_mov_b32 s22, 0x7fc02000
	s_xor_b64 s[2:3], exec, -1
; %bb.1677:                             ;   in Loop: Header=BB313_1067 Depth=1
	s_or_b64 exec, exec, s[20:21]
	s_and_b64 s[2:3], s[2:3], exec
	s_or_saveexec_b64 s[12:13], s[12:13]
	v_mov_b32_e32 v58, s22
	s_xor_b64 exec, exec, s[12:13]
	s_cbranch_execz .LBB313_1137
.LBB313_1678:                           ;   in Loop: Header=BB313_1067 Depth=1
	v_cmp_ne_u16_sdwa s[20:21], v56, v21 src0_sel:BYTE_0 src1_sel:DWORD
	s_andn2_b64 s[2:3], s[2:3], exec
	s_and_b64 s[20:21], s[20:21], exec
	v_mov_b32_e32 v58, 0
	s_or_b64 s[2:3], s[2:3], s[20:21]
	s_or_b64 exec, exec, s[12:13]
	s_and_saveexec_b64 s[12:13], s[2:3]
	s_cbranch_execnz .LBB313_1138
	s_branch .LBB313_1139
.LBB313_1679:                           ;   in Loop: Header=BB313_1067 Depth=1
	v_cmp_eq_u16_e64 s[2:3], s15, v20
	s_mov_b64 s[12:13], -1
                                        ; implicit-def: $sgpr28
	s_and_saveexec_b64 s[22:23], s[2:3]
; %bb.1680:                             ;   in Loop: Header=BB313_1067 Depth=1
	s_mov_b32 s28, 0x7fc02000
	s_xor_b64 s[12:13], exec, -1
; %bb.1681:                             ;   in Loop: Header=BB313_1067 Depth=1
	s_or_b64 exec, exec, s[22:23]
	s_and_b64 s[12:13], s[12:13], exec
	s_or_saveexec_b64 s[20:21], s[20:21]
	v_mov_b32_e32 v60, s28
	s_xor_b64 exec, exec, s[20:21]
	s_cbranch_execz .LBB313_1141
.LBB313_1682:                           ;   in Loop: Header=BB313_1067 Depth=1
	v_cmp_ne_u16_e64 s[2:3], 0, v20
	s_andn2_b64 s[12:13], s[12:13], exec
	s_and_b64 s[2:3], s[2:3], exec
	v_mov_b32_e32 v60, 0
	s_or_b64 s[12:13], s[12:13], s[2:3]
	s_or_b64 exec, exec, s[20:21]
	s_and_saveexec_b64 s[20:21], s[12:13]
	s_cbranch_execnz .LBB313_1142
	s_branch .LBB313_1143
.LBB313_1683:                           ;   in Loop: Header=BB313_1067 Depth=1
	v_cmp_eq_u16_sdwa s[28:29], v20, s15 src0_sel:BYTE_0 src1_sel:DWORD
	s_mov_b64 s[2:3], -1
                                        ; implicit-def: $sgpr22
	s_and_saveexec_b64 s[20:21], s[28:29]
; %bb.1684:                             ;   in Loop: Header=BB313_1067 Depth=1
	s_mov_b32 s22, 0x7fc02000
	s_xor_b64 s[2:3], exec, -1
; %bb.1685:                             ;   in Loop: Header=BB313_1067 Depth=1
	s_or_b64 exec, exec, s[20:21]
	s_and_b64 s[2:3], s[2:3], exec
	s_or_saveexec_b64 s[12:13], s[12:13]
	v_mov_b32_e32 v59, s22
	s_xor_b64 exec, exec, s[12:13]
	s_cbranch_execz .LBB313_1145
.LBB313_1686:                           ;   in Loop: Header=BB313_1067 Depth=1
	v_cmp_ne_u16_sdwa s[20:21], v20, v21 src0_sel:BYTE_0 src1_sel:DWORD
	s_andn2_b64 s[2:3], s[2:3], exec
	s_and_b64 s[20:21], s[20:21], exec
	v_mov_b32_e32 v59, 0
	s_or_b64 s[2:3], s[2:3], s[20:21]
	s_or_b64 exec, exec, s[12:13]
	s_and_saveexec_b64 s[12:13], s[2:3]
	s_cbranch_execnz .LBB313_1146
	s_branch .LBB313_1147
.LBB313_1687:                           ;   in Loop: Header=BB313_1067 Depth=1
	v_cmp_eq_u16_e64 s[2:3], s15, v20
	s_mov_b64 s[12:13], -1
                                        ; implicit-def: $sgpr28
	s_and_saveexec_b64 s[22:23], s[2:3]
; %bb.1688:                             ;   in Loop: Header=BB313_1067 Depth=1
	s_mov_b32 s28, 0x7fc02000
	s_xor_b64 s[12:13], exec, -1
; %bb.1689:                             ;   in Loop: Header=BB313_1067 Depth=1
	s_or_b64 exec, exec, s[22:23]
	s_and_b64 s[12:13], s[12:13], exec
	s_or_saveexec_b64 s[20:21], s[20:21]
	v_mov_b32_e32 v61, s28
	s_xor_b64 exec, exec, s[20:21]
	s_cbranch_execz .LBB313_1149
.LBB313_1690:                           ;   in Loop: Header=BB313_1067 Depth=1
	v_cmp_ne_u16_e64 s[2:3], 0, v20
	s_andn2_b64 s[12:13], s[12:13], exec
	s_and_b64 s[2:3], s[2:3], exec
	v_mov_b32_e32 v61, 0
	s_or_b64 s[12:13], s[12:13], s[2:3]
	s_or_b64 exec, exec, s[20:21]
	s_and_saveexec_b64 s[20:21], s[12:13]
	s_cbranch_execnz .LBB313_1150
	s_branch .LBB313_1151
.LBB313_1691:                           ;   in Loop: Header=BB313_1067 Depth=1
	v_cmp_eq_u16_sdwa s[28:29], v57, s15 src0_sel:BYTE_0 src1_sel:DWORD
	s_mov_b64 s[2:3], -1
                                        ; implicit-def: $sgpr22
	s_and_saveexec_b64 s[20:21], s[28:29]
; %bb.1692:                             ;   in Loop: Header=BB313_1067 Depth=1
	s_mov_b32 s22, 0x7fc02000
	s_xor_b64 s[2:3], exec, -1
; %bb.1693:                             ;   in Loop: Header=BB313_1067 Depth=1
	s_or_b64 exec, exec, s[20:21]
	s_and_b64 s[2:3], s[2:3], exec
	s_or_saveexec_b64 s[12:13], s[12:13]
	v_mov_b32_e32 v6, s22
	s_xor_b64 exec, exec, s[12:13]
	s_cbranch_execz .LBB313_1153
.LBB313_1694:                           ;   in Loop: Header=BB313_1067 Depth=1
	v_cmp_ne_u16_sdwa s[20:21], v57, v21 src0_sel:BYTE_0 src1_sel:DWORD
	s_andn2_b64 s[2:3], s[2:3], exec
	s_and_b64 s[20:21], s[20:21], exec
	v_mov_b32_e32 v6, 0
	s_or_b64 s[2:3], s[2:3], s[20:21]
	s_or_b64 exec, exec, s[12:13]
	v_mov_b32_e32 v20, v57
	s_and_saveexec_b64 s[12:13], s[2:3]
	s_cbranch_execnz .LBB313_1154
	s_branch .LBB313_1155
.LBB313_1695:                           ;   in Loop: Header=BB313_1067 Depth=1
	v_cmp_eq_u16_e64 s[2:3], s15, v20
	s_mov_b64 s[12:13], -1
                                        ; implicit-def: $sgpr28
	s_and_saveexec_b64 s[22:23], s[2:3]
; %bb.1696:                             ;   in Loop: Header=BB313_1067 Depth=1
	s_mov_b32 s28, 0x7fc02000
	s_xor_b64 s[12:13], exec, -1
; %bb.1697:                             ;   in Loop: Header=BB313_1067 Depth=1
	s_or_b64 exec, exec, s[22:23]
	s_and_b64 s[12:13], s[12:13], exec
	s_or_saveexec_b64 s[20:21], s[20:21]
	v_mov_b32_e32 v16, s28
	s_xor_b64 exec, exec, s[20:21]
	s_cbranch_execz .LBB313_1157
.LBB313_1698:                           ;   in Loop: Header=BB313_1067 Depth=1
	v_cmp_ne_u16_e64 s[2:3], 0, v20
	s_andn2_b64 s[12:13], s[12:13], exec
	s_and_b64 s[2:3], s[2:3], exec
	v_mov_b32_e32 v16, 0
	s_or_b64 s[12:13], s[12:13], s[2:3]
	s_or_b64 exec, exec, s[20:21]
	s_and_saveexec_b64 s[20:21], s[12:13]
	s_cbranch_execnz .LBB313_1158
	s_branch .LBB313_1159
.LBB313_1699:                           ;   in Loop: Header=BB313_1067 Depth=1
	v_cmp_eq_u16_sdwa s[28:29], v20, s15 src0_sel:BYTE_0 src1_sel:DWORD
	s_mov_b64 s[2:3], -1
                                        ; implicit-def: $sgpr22
	s_and_saveexec_b64 s[20:21], s[28:29]
; %bb.1700:                             ;   in Loop: Header=BB313_1067 Depth=1
	s_mov_b32 s22, 0x7fc02000
	s_xor_b64 s[2:3], exec, -1
; %bb.1701:                             ;   in Loop: Header=BB313_1067 Depth=1
	s_or_b64 exec, exec, s[20:21]
	s_and_b64 s[2:3], s[2:3], exec
	s_or_saveexec_b64 s[12:13], s[12:13]
	v_mov_b32_e32 v22, s22
	s_xor_b64 exec, exec, s[12:13]
	s_cbranch_execz .LBB313_1161
.LBB313_1702:                           ;   in Loop: Header=BB313_1067 Depth=1
	v_cmp_ne_u16_sdwa s[20:21], v20, v21 src0_sel:BYTE_0 src1_sel:DWORD
	s_andn2_b64 s[2:3], s[2:3], exec
	s_and_b64 s[20:21], s[20:21], exec
	v_mov_b32_e32 v22, 0
	s_or_b64 s[2:3], s[2:3], s[20:21]
	s_or_b64 exec, exec, s[12:13]
	s_and_saveexec_b64 s[12:13], s[2:3]
	s_cbranch_execnz .LBB313_1162
	s_branch .LBB313_1163
.LBB313_1703:                           ;   in Loop: Header=BB313_1067 Depth=1
	v_cmp_eq_u16_e64 s[2:3], s15, v20
	s_mov_b64 s[12:13], -1
                                        ; implicit-def: $sgpr28
	s_and_saveexec_b64 s[22:23], s[2:3]
; %bb.1704:                             ;   in Loop: Header=BB313_1067 Depth=1
	s_mov_b32 s28, 0x7fc02000
	s_xor_b64 s[12:13], exec, -1
; %bb.1705:                             ;   in Loop: Header=BB313_1067 Depth=1
	s_or_b64 exec, exec, s[22:23]
	s_and_b64 s[12:13], s[12:13], exec
	s_or_saveexec_b64 s[20:21], s[20:21]
	v_mov_b32_e32 v27, s28
	s_xor_b64 exec, exec, s[20:21]
	s_cbranch_execz .LBB313_1165
.LBB313_1706:                           ;   in Loop: Header=BB313_1067 Depth=1
	v_cmp_ne_u16_e64 s[2:3], 0, v20
	s_andn2_b64 s[12:13], s[12:13], exec
	s_and_b64 s[2:3], s[2:3], exec
	v_mov_b32_e32 v27, 0
	s_or_b64 s[12:13], s[12:13], s[2:3]
	s_or_b64 exec, exec, s[20:21]
	s_and_saveexec_b64 s[20:21], s[12:13]
	s_cbranch_execnz .LBB313_1166
	s_branch .LBB313_1167
.LBB313_1707:                           ;   in Loop: Header=BB313_1067 Depth=1
	v_cmp_eq_u16_sdwa s[28:29], v56, s15 src0_sel:BYTE_0 src1_sel:DWORD
	s_mov_b64 s[2:3], -1
                                        ; implicit-def: $sgpr22
	s_and_saveexec_b64 s[20:21], s[28:29]
; %bb.1708:                             ;   in Loop: Header=BB313_1067 Depth=1
	s_mov_b32 s22, 0x7fc02000
	s_xor_b64 s[2:3], exec, -1
; %bb.1709:                             ;   in Loop: Header=BB313_1067 Depth=1
	s_or_b64 exec, exec, s[20:21]
	s_and_b64 s[2:3], s[2:3], exec
	s_or_saveexec_b64 s[12:13], s[12:13]
	v_mov_b32_e32 v58, s22
	s_xor_b64 exec, exec, s[12:13]
	s_cbranch_execz .LBB313_1171
.LBB313_1710:                           ;   in Loop: Header=BB313_1067 Depth=1
	v_cmp_ne_u16_sdwa s[20:21], v56, v21 src0_sel:BYTE_0 src1_sel:DWORD
	s_andn2_b64 s[2:3], s[2:3], exec
	s_and_b64 s[20:21], s[20:21], exec
	v_mov_b32_e32 v58, 0
	s_or_b64 s[2:3], s[2:3], s[20:21]
	s_or_b64 exec, exec, s[12:13]
	s_and_saveexec_b64 s[12:13], s[2:3]
	s_cbranch_execnz .LBB313_1172
	s_branch .LBB313_1173
.LBB313_1711:                           ;   in Loop: Header=BB313_1067 Depth=1
	v_cmp_eq_u16_e64 s[2:3], s15, v20
	s_mov_b64 s[12:13], -1
                                        ; implicit-def: $sgpr28
	s_and_saveexec_b64 s[22:23], s[2:3]
; %bb.1712:                             ;   in Loop: Header=BB313_1067 Depth=1
	s_mov_b32 s28, 0x7fc02000
	s_xor_b64 s[12:13], exec, -1
; %bb.1713:                             ;   in Loop: Header=BB313_1067 Depth=1
	s_or_b64 exec, exec, s[22:23]
	s_and_b64 s[12:13], s[12:13], exec
	s_or_saveexec_b64 s[20:21], s[20:21]
	v_mov_b32_e32 v60, s28
	s_xor_b64 exec, exec, s[20:21]
	s_cbranch_execz .LBB313_1175
.LBB313_1714:                           ;   in Loop: Header=BB313_1067 Depth=1
	v_cmp_ne_u16_e64 s[2:3], 0, v20
	s_andn2_b64 s[12:13], s[12:13], exec
	s_and_b64 s[2:3], s[2:3], exec
	v_mov_b32_e32 v60, 0
	s_or_b64 s[12:13], s[12:13], s[2:3]
	s_or_b64 exec, exec, s[20:21]
	s_and_saveexec_b64 s[20:21], s[12:13]
	s_cbranch_execnz .LBB313_1176
	s_branch .LBB313_1177
.LBB313_1715:                           ;   in Loop: Header=BB313_1067 Depth=1
	v_cmp_eq_u16_sdwa s[28:29], v20, s15 src0_sel:BYTE_0 src1_sel:DWORD
	s_mov_b64 s[2:3], -1
                                        ; implicit-def: $sgpr22
	s_and_saveexec_b64 s[20:21], s[28:29]
; %bb.1716:                             ;   in Loop: Header=BB313_1067 Depth=1
	s_mov_b32 s22, 0x7fc02000
	s_xor_b64 s[2:3], exec, -1
; %bb.1717:                             ;   in Loop: Header=BB313_1067 Depth=1
	s_or_b64 exec, exec, s[20:21]
	s_and_b64 s[2:3], s[2:3], exec
	s_or_saveexec_b64 s[12:13], s[12:13]
	v_mov_b32_e32 v59, s22
	s_xor_b64 exec, exec, s[12:13]
	s_cbranch_execz .LBB313_1179
.LBB313_1718:                           ;   in Loop: Header=BB313_1067 Depth=1
	v_cmp_ne_u16_sdwa s[20:21], v20, v21 src0_sel:BYTE_0 src1_sel:DWORD
	s_andn2_b64 s[2:3], s[2:3], exec
	s_and_b64 s[20:21], s[20:21], exec
	v_mov_b32_e32 v59, 0
	s_or_b64 s[2:3], s[2:3], s[20:21]
	s_or_b64 exec, exec, s[12:13]
	s_and_saveexec_b64 s[12:13], s[2:3]
	s_cbranch_execnz .LBB313_1180
	s_branch .LBB313_1181
.LBB313_1719:                           ;   in Loop: Header=BB313_1067 Depth=1
	v_cmp_eq_u16_e64 s[2:3], s15, v20
	s_mov_b64 s[12:13], -1
                                        ; implicit-def: $sgpr28
	s_and_saveexec_b64 s[22:23], s[2:3]
; %bb.1720:                             ;   in Loop: Header=BB313_1067 Depth=1
	s_mov_b32 s28, 0x7fc02000
	s_xor_b64 s[12:13], exec, -1
; %bb.1721:                             ;   in Loop: Header=BB313_1067 Depth=1
	s_or_b64 exec, exec, s[22:23]
	s_and_b64 s[12:13], s[12:13], exec
	s_or_saveexec_b64 s[20:21], s[20:21]
	v_mov_b32_e32 v61, s28
	s_xor_b64 exec, exec, s[20:21]
	s_cbranch_execz .LBB313_1183
.LBB313_1722:                           ;   in Loop: Header=BB313_1067 Depth=1
	v_cmp_ne_u16_e64 s[2:3], 0, v20
	s_andn2_b64 s[12:13], s[12:13], exec
	s_and_b64 s[2:3], s[2:3], exec
	v_mov_b32_e32 v61, 0
	s_or_b64 s[12:13], s[12:13], s[2:3]
	s_or_b64 exec, exec, s[20:21]
	s_and_saveexec_b64 s[20:21], s[12:13]
	s_cbranch_execnz .LBB313_1184
	s_branch .LBB313_1185
.LBB313_1723:                           ;   in Loop: Header=BB313_1067 Depth=1
	v_cmp_eq_u16_sdwa s[28:29], v57, s15 src0_sel:BYTE_0 src1_sel:DWORD
	s_mov_b64 s[2:3], -1
                                        ; implicit-def: $sgpr22
	s_and_saveexec_b64 s[20:21], s[28:29]
; %bb.1724:                             ;   in Loop: Header=BB313_1067 Depth=1
	s_mov_b32 s22, 0x7fc02000
	s_xor_b64 s[2:3], exec, -1
; %bb.1725:                             ;   in Loop: Header=BB313_1067 Depth=1
	s_or_b64 exec, exec, s[20:21]
	s_and_b64 s[2:3], s[2:3], exec
	s_or_saveexec_b64 s[12:13], s[12:13]
	v_mov_b32_e32 v6, s22
	s_xor_b64 exec, exec, s[12:13]
	s_cbranch_execz .LBB313_1187
.LBB313_1726:                           ;   in Loop: Header=BB313_1067 Depth=1
	v_cmp_ne_u16_sdwa s[20:21], v57, v21 src0_sel:BYTE_0 src1_sel:DWORD
	s_andn2_b64 s[2:3], s[2:3], exec
	s_and_b64 s[20:21], s[20:21], exec
	v_mov_b32_e32 v6, 0
	s_or_b64 s[2:3], s[2:3], s[20:21]
	s_or_b64 exec, exec, s[12:13]
	v_mov_b32_e32 v20, v57
	s_and_saveexec_b64 s[12:13], s[2:3]
	s_cbranch_execnz .LBB313_1188
	s_branch .LBB313_1189
.LBB313_1727:                           ;   in Loop: Header=BB313_1067 Depth=1
	v_cmp_eq_u16_e64 s[2:3], s15, v20
	s_mov_b64 s[12:13], -1
                                        ; implicit-def: $sgpr28
	s_and_saveexec_b64 s[22:23], s[2:3]
; %bb.1728:                             ;   in Loop: Header=BB313_1067 Depth=1
	s_mov_b32 s28, 0x7fc02000
	s_xor_b64 s[12:13], exec, -1
; %bb.1729:                             ;   in Loop: Header=BB313_1067 Depth=1
	s_or_b64 exec, exec, s[22:23]
	s_and_b64 s[12:13], s[12:13], exec
	s_or_saveexec_b64 s[20:21], s[20:21]
	v_mov_b32_e32 v16, s28
	s_xor_b64 exec, exec, s[20:21]
	s_cbranch_execz .LBB313_1191
.LBB313_1730:                           ;   in Loop: Header=BB313_1067 Depth=1
	v_cmp_ne_u16_e64 s[2:3], 0, v20
	s_andn2_b64 s[12:13], s[12:13], exec
	s_and_b64 s[2:3], s[2:3], exec
	v_mov_b32_e32 v16, 0
	s_or_b64 s[12:13], s[12:13], s[2:3]
	s_or_b64 exec, exec, s[20:21]
	s_and_saveexec_b64 s[20:21], s[12:13]
	s_cbranch_execnz .LBB313_1192
	s_branch .LBB313_1193
.LBB313_1731:                           ;   in Loop: Header=BB313_1067 Depth=1
	v_cmp_eq_u16_sdwa s[28:29], v20, s15 src0_sel:BYTE_0 src1_sel:DWORD
	s_mov_b64 s[2:3], -1
                                        ; implicit-def: $sgpr22
	s_and_saveexec_b64 s[20:21], s[28:29]
; %bb.1732:                             ;   in Loop: Header=BB313_1067 Depth=1
	s_mov_b32 s22, 0x7fc02000
	s_xor_b64 s[2:3], exec, -1
; %bb.1733:                             ;   in Loop: Header=BB313_1067 Depth=1
	s_or_b64 exec, exec, s[20:21]
	s_and_b64 s[2:3], s[2:3], exec
	s_or_saveexec_b64 s[12:13], s[12:13]
	v_mov_b32_e32 v22, s22
	s_xor_b64 exec, exec, s[12:13]
	s_cbranch_execz .LBB313_1195
.LBB313_1734:                           ;   in Loop: Header=BB313_1067 Depth=1
	v_cmp_ne_u16_sdwa s[20:21], v20, v21 src0_sel:BYTE_0 src1_sel:DWORD
	s_andn2_b64 s[2:3], s[2:3], exec
	s_and_b64 s[20:21], s[20:21], exec
	v_mov_b32_e32 v22, 0
	s_or_b64 s[2:3], s[2:3], s[20:21]
	s_or_b64 exec, exec, s[12:13]
	s_and_saveexec_b64 s[12:13], s[2:3]
	s_cbranch_execnz .LBB313_1196
	s_branch .LBB313_1197
.LBB313_1735:                           ;   in Loop: Header=BB313_1067 Depth=1
	v_cmp_eq_u16_e64 s[2:3], s15, v20
	s_mov_b64 s[12:13], -1
                                        ; implicit-def: $sgpr28
	s_and_saveexec_b64 s[22:23], s[2:3]
; %bb.1736:                             ;   in Loop: Header=BB313_1067 Depth=1
	s_mov_b32 s28, 0x7fc02000
	s_xor_b64 s[12:13], exec, -1
; %bb.1737:                             ;   in Loop: Header=BB313_1067 Depth=1
	s_or_b64 exec, exec, s[22:23]
	s_and_b64 s[12:13], s[12:13], exec
	s_or_saveexec_b64 s[20:21], s[20:21]
	v_mov_b32_e32 v27, s28
	s_xor_b64 exec, exec, s[20:21]
	s_cbranch_execz .LBB313_1199
.LBB313_1738:                           ;   in Loop: Header=BB313_1067 Depth=1
	v_cmp_ne_u16_e64 s[2:3], 0, v20
	s_andn2_b64 s[12:13], s[12:13], exec
	s_and_b64 s[2:3], s[2:3], exec
	v_mov_b32_e32 v27, 0
	s_or_b64 s[12:13], s[12:13], s[2:3]
	s_or_b64 exec, exec, s[20:21]
	s_and_saveexec_b64 s[20:21], s[12:13]
	s_cbranch_execnz .LBB313_1200
	s_branch .LBB313_1201
.LBB313_1739:                           ;   in Loop: Header=BB313_1067 Depth=1
	v_cmp_eq_u16_sdwa s[28:29], v56, s15 src0_sel:BYTE_0 src1_sel:DWORD
	s_mov_b64 s[2:3], -1
                                        ; implicit-def: $sgpr22
	s_and_saveexec_b64 s[20:21], s[28:29]
; %bb.1740:                             ;   in Loop: Header=BB313_1067 Depth=1
	s_mov_b32 s22, 0x7fc02000
	s_xor_b64 s[2:3], exec, -1
; %bb.1741:                             ;   in Loop: Header=BB313_1067 Depth=1
	s_or_b64 exec, exec, s[20:21]
	s_and_b64 s[2:3], s[2:3], exec
	s_or_saveexec_b64 s[12:13], s[12:13]
	v_mov_b32_e32 v58, s22
	s_xor_b64 exec, exec, s[12:13]
	s_cbranch_execz .LBB313_1205
.LBB313_1742:                           ;   in Loop: Header=BB313_1067 Depth=1
	v_cmp_ne_u16_sdwa s[20:21], v56, v21 src0_sel:BYTE_0 src1_sel:DWORD
	s_andn2_b64 s[2:3], s[2:3], exec
	s_and_b64 s[20:21], s[20:21], exec
	v_mov_b32_e32 v58, 0
	s_or_b64 s[2:3], s[2:3], s[20:21]
	s_or_b64 exec, exec, s[12:13]
	s_and_saveexec_b64 s[12:13], s[2:3]
	s_cbranch_execnz .LBB313_1206
	s_branch .LBB313_1207
.LBB313_1743:                           ;   in Loop: Header=BB313_1067 Depth=1
	v_cmp_eq_u16_e64 s[2:3], s15, v20
	s_mov_b64 s[12:13], -1
                                        ; implicit-def: $sgpr28
	s_and_saveexec_b64 s[22:23], s[2:3]
; %bb.1744:                             ;   in Loop: Header=BB313_1067 Depth=1
	s_mov_b32 s28, 0x7fc02000
	s_xor_b64 s[12:13], exec, -1
; %bb.1745:                             ;   in Loop: Header=BB313_1067 Depth=1
	s_or_b64 exec, exec, s[22:23]
	s_and_b64 s[12:13], s[12:13], exec
	s_or_saveexec_b64 s[20:21], s[20:21]
	v_mov_b32_e32 v60, s28
	s_xor_b64 exec, exec, s[20:21]
	s_cbranch_execz .LBB313_1209
.LBB313_1746:                           ;   in Loop: Header=BB313_1067 Depth=1
	v_cmp_ne_u16_e64 s[2:3], 0, v20
	s_andn2_b64 s[12:13], s[12:13], exec
	s_and_b64 s[2:3], s[2:3], exec
	v_mov_b32_e32 v60, 0
	s_or_b64 s[12:13], s[12:13], s[2:3]
	s_or_b64 exec, exec, s[20:21]
	s_and_saveexec_b64 s[20:21], s[12:13]
	s_cbranch_execnz .LBB313_1210
	s_branch .LBB313_1211
.LBB313_1747:                           ;   in Loop: Header=BB313_1067 Depth=1
	v_cmp_eq_u16_sdwa s[28:29], v20, s15 src0_sel:BYTE_0 src1_sel:DWORD
	s_mov_b64 s[2:3], -1
                                        ; implicit-def: $sgpr22
	s_and_saveexec_b64 s[20:21], s[28:29]
; %bb.1748:                             ;   in Loop: Header=BB313_1067 Depth=1
	s_mov_b32 s22, 0x7fc02000
	s_xor_b64 s[2:3], exec, -1
; %bb.1749:                             ;   in Loop: Header=BB313_1067 Depth=1
	s_or_b64 exec, exec, s[20:21]
	s_and_b64 s[2:3], s[2:3], exec
	s_or_saveexec_b64 s[12:13], s[12:13]
	v_mov_b32_e32 v59, s22
	s_xor_b64 exec, exec, s[12:13]
	s_cbranch_execz .LBB313_1213
.LBB313_1750:                           ;   in Loop: Header=BB313_1067 Depth=1
	v_cmp_ne_u16_sdwa s[20:21], v20, v21 src0_sel:BYTE_0 src1_sel:DWORD
	s_andn2_b64 s[2:3], s[2:3], exec
	s_and_b64 s[20:21], s[20:21], exec
	v_mov_b32_e32 v59, 0
	s_or_b64 s[2:3], s[2:3], s[20:21]
	s_or_b64 exec, exec, s[12:13]
	s_and_saveexec_b64 s[12:13], s[2:3]
	s_cbranch_execnz .LBB313_1214
	s_branch .LBB313_1215
.LBB313_1751:                           ;   in Loop: Header=BB313_1067 Depth=1
	v_cmp_eq_u16_e64 s[2:3], s15, v20
	s_mov_b64 s[12:13], -1
                                        ; implicit-def: $sgpr28
	s_and_saveexec_b64 s[22:23], s[2:3]
; %bb.1752:                             ;   in Loop: Header=BB313_1067 Depth=1
	s_mov_b32 s28, 0x7fc02000
	s_xor_b64 s[12:13], exec, -1
; %bb.1753:                             ;   in Loop: Header=BB313_1067 Depth=1
	s_or_b64 exec, exec, s[22:23]
	s_and_b64 s[12:13], s[12:13], exec
	s_or_saveexec_b64 s[20:21], s[20:21]
	v_mov_b32_e32 v61, s28
	s_xor_b64 exec, exec, s[20:21]
	s_cbranch_execz .LBB313_1217
.LBB313_1754:                           ;   in Loop: Header=BB313_1067 Depth=1
	v_cmp_ne_u16_e64 s[2:3], 0, v20
	s_andn2_b64 s[12:13], s[12:13], exec
	s_and_b64 s[2:3], s[2:3], exec
	v_mov_b32_e32 v61, 0
	s_or_b64 s[12:13], s[12:13], s[2:3]
	s_or_b64 exec, exec, s[20:21]
	s_and_saveexec_b64 s[20:21], s[12:13]
	s_cbranch_execnz .LBB313_1218
	s_branch .LBB313_1219
.LBB313_1755:                           ;   in Loop: Header=BB313_1067 Depth=1
	v_cmp_eq_u16_sdwa s[28:29], v57, s15 src0_sel:BYTE_0 src1_sel:DWORD
	s_mov_b64 s[2:3], -1
                                        ; implicit-def: $sgpr22
	s_and_saveexec_b64 s[20:21], s[28:29]
; %bb.1756:                             ;   in Loop: Header=BB313_1067 Depth=1
	s_mov_b32 s22, 0x7fc02000
	s_xor_b64 s[2:3], exec, -1
; %bb.1757:                             ;   in Loop: Header=BB313_1067 Depth=1
	s_or_b64 exec, exec, s[20:21]
	s_and_b64 s[2:3], s[2:3], exec
	s_or_saveexec_b64 s[12:13], s[12:13]
	v_mov_b32_e32 v6, s22
	s_xor_b64 exec, exec, s[12:13]
	s_cbranch_execz .LBB313_1221
.LBB313_1758:                           ;   in Loop: Header=BB313_1067 Depth=1
	v_cmp_ne_u16_sdwa s[20:21], v57, v21 src0_sel:BYTE_0 src1_sel:DWORD
	s_andn2_b64 s[2:3], s[2:3], exec
	s_and_b64 s[20:21], s[20:21], exec
	v_mov_b32_e32 v6, 0
	s_or_b64 s[2:3], s[2:3], s[20:21]
	s_or_b64 exec, exec, s[12:13]
	v_mov_b32_e32 v20, v57
	s_and_saveexec_b64 s[12:13], s[2:3]
	s_cbranch_execnz .LBB313_1222
	s_branch .LBB313_1223
.LBB313_1759:                           ;   in Loop: Header=BB313_1067 Depth=1
	v_cmp_eq_u16_e64 s[2:3], s15, v20
	s_mov_b64 s[12:13], -1
                                        ; implicit-def: $sgpr28
	s_and_saveexec_b64 s[22:23], s[2:3]
; %bb.1760:                             ;   in Loop: Header=BB313_1067 Depth=1
	s_mov_b32 s28, 0x7fc02000
	s_xor_b64 s[12:13], exec, -1
; %bb.1761:                             ;   in Loop: Header=BB313_1067 Depth=1
	s_or_b64 exec, exec, s[22:23]
	s_and_b64 s[12:13], s[12:13], exec
	s_or_saveexec_b64 s[20:21], s[20:21]
	v_mov_b32_e32 v16, s28
	s_xor_b64 exec, exec, s[20:21]
	s_cbranch_execz .LBB313_1225
.LBB313_1762:                           ;   in Loop: Header=BB313_1067 Depth=1
	v_cmp_ne_u16_e64 s[2:3], 0, v20
	s_andn2_b64 s[12:13], s[12:13], exec
	s_and_b64 s[2:3], s[2:3], exec
	v_mov_b32_e32 v16, 0
	s_or_b64 s[12:13], s[12:13], s[2:3]
	s_or_b64 exec, exec, s[20:21]
	s_and_saveexec_b64 s[20:21], s[12:13]
	s_cbranch_execnz .LBB313_1226
	s_branch .LBB313_1227
.LBB313_1763:                           ;   in Loop: Header=BB313_1067 Depth=1
	v_cmp_eq_u16_sdwa s[28:29], v20, s15 src0_sel:BYTE_0 src1_sel:DWORD
	s_mov_b64 s[2:3], -1
                                        ; implicit-def: $sgpr22
	s_and_saveexec_b64 s[20:21], s[28:29]
; %bb.1764:                             ;   in Loop: Header=BB313_1067 Depth=1
	s_mov_b32 s22, 0x7fc02000
	s_xor_b64 s[2:3], exec, -1
; %bb.1765:                             ;   in Loop: Header=BB313_1067 Depth=1
	s_or_b64 exec, exec, s[20:21]
	s_and_b64 s[2:3], s[2:3], exec
	s_or_saveexec_b64 s[12:13], s[12:13]
	v_mov_b32_e32 v22, s22
	s_xor_b64 exec, exec, s[12:13]
	s_cbranch_execz .LBB313_1229
.LBB313_1766:                           ;   in Loop: Header=BB313_1067 Depth=1
	v_cmp_ne_u16_sdwa s[20:21], v20, v21 src0_sel:BYTE_0 src1_sel:DWORD
	s_andn2_b64 s[2:3], s[2:3], exec
	s_and_b64 s[20:21], s[20:21], exec
	v_mov_b32_e32 v22, 0
	s_or_b64 s[2:3], s[2:3], s[20:21]
	s_or_b64 exec, exec, s[12:13]
	s_and_saveexec_b64 s[12:13], s[2:3]
	s_cbranch_execnz .LBB313_1230
	s_branch .LBB313_1231
.LBB313_1767:                           ;   in Loop: Header=BB313_1067 Depth=1
	v_cmp_eq_u16_e64 s[2:3], s15, v20
	s_mov_b64 s[12:13], -1
                                        ; implicit-def: $sgpr28
	s_and_saveexec_b64 s[22:23], s[2:3]
; %bb.1768:                             ;   in Loop: Header=BB313_1067 Depth=1
	s_mov_b32 s28, 0x7fc02000
	s_xor_b64 s[12:13], exec, -1
; %bb.1769:                             ;   in Loop: Header=BB313_1067 Depth=1
	s_or_b64 exec, exec, s[22:23]
	s_and_b64 s[12:13], s[12:13], exec
	s_or_saveexec_b64 s[20:21], s[20:21]
	v_mov_b32_e32 v27, s28
	s_xor_b64 exec, exec, s[20:21]
	s_cbranch_execz .LBB313_1233
.LBB313_1770:                           ;   in Loop: Header=BB313_1067 Depth=1
	v_cmp_ne_u16_e64 s[2:3], 0, v20
	s_andn2_b64 s[12:13], s[12:13], exec
	s_and_b64 s[2:3], s[2:3], exec
	v_mov_b32_e32 v27, 0
	s_or_b64 s[12:13], s[12:13], s[2:3]
	s_or_b64 exec, exec, s[20:21]
	s_and_saveexec_b64 s[20:21], s[12:13]
	s_cbranch_execnz .LBB313_1234
	s_branch .LBB313_1235
.LBB313_1771:                           ;   in Loop: Header=BB313_1067 Depth=1
	v_cmp_eq_u16_sdwa s[28:29], v56, s15 src0_sel:BYTE_0 src1_sel:DWORD
	s_mov_b64 s[2:3], -1
                                        ; implicit-def: $sgpr22
	s_and_saveexec_b64 s[20:21], s[28:29]
; %bb.1772:                             ;   in Loop: Header=BB313_1067 Depth=1
	s_mov_b32 s22, 0x7fc02000
	s_xor_b64 s[2:3], exec, -1
; %bb.1773:                             ;   in Loop: Header=BB313_1067 Depth=1
	s_or_b64 exec, exec, s[20:21]
	s_and_b64 s[2:3], s[2:3], exec
	s_or_saveexec_b64 s[12:13], s[12:13]
	v_mov_b32_e32 v58, s22
	s_xor_b64 exec, exec, s[12:13]
	s_cbranch_execz .LBB313_1239
.LBB313_1774:                           ;   in Loop: Header=BB313_1067 Depth=1
	v_cmp_ne_u16_sdwa s[20:21], v56, v21 src0_sel:BYTE_0 src1_sel:DWORD
	s_andn2_b64 s[2:3], s[2:3], exec
	s_and_b64 s[20:21], s[20:21], exec
	v_mov_b32_e32 v58, 0
	s_or_b64 s[2:3], s[2:3], s[20:21]
	s_or_b64 exec, exec, s[12:13]
	s_and_saveexec_b64 s[12:13], s[2:3]
	s_cbranch_execnz .LBB313_1240
	s_branch .LBB313_1241
.LBB313_1775:                           ;   in Loop: Header=BB313_1067 Depth=1
	v_cmp_eq_u16_e64 s[2:3], s15, v20
	s_mov_b64 s[12:13], -1
                                        ; implicit-def: $sgpr28
	s_and_saveexec_b64 s[22:23], s[2:3]
; %bb.1776:                             ;   in Loop: Header=BB313_1067 Depth=1
	s_mov_b32 s28, 0x7fc02000
	s_xor_b64 s[12:13], exec, -1
; %bb.1777:                             ;   in Loop: Header=BB313_1067 Depth=1
	s_or_b64 exec, exec, s[22:23]
	s_and_b64 s[12:13], s[12:13], exec
	s_or_saveexec_b64 s[20:21], s[20:21]
	v_mov_b32_e32 v60, s28
	s_xor_b64 exec, exec, s[20:21]
	s_cbranch_execz .LBB313_1243
.LBB313_1778:                           ;   in Loop: Header=BB313_1067 Depth=1
	v_cmp_ne_u16_e64 s[2:3], 0, v20
	s_andn2_b64 s[12:13], s[12:13], exec
	s_and_b64 s[2:3], s[2:3], exec
	v_mov_b32_e32 v60, 0
	s_or_b64 s[12:13], s[12:13], s[2:3]
	s_or_b64 exec, exec, s[20:21]
	s_and_saveexec_b64 s[20:21], s[12:13]
	s_cbranch_execnz .LBB313_1244
	s_branch .LBB313_1245
.LBB313_1779:                           ;   in Loop: Header=BB313_1067 Depth=1
	v_cmp_eq_u16_sdwa s[28:29], v20, s15 src0_sel:BYTE_0 src1_sel:DWORD
	s_mov_b64 s[2:3], -1
                                        ; implicit-def: $sgpr22
	s_and_saveexec_b64 s[20:21], s[28:29]
; %bb.1780:                             ;   in Loop: Header=BB313_1067 Depth=1
	s_mov_b32 s22, 0x7fc02000
	s_xor_b64 s[2:3], exec, -1
; %bb.1781:                             ;   in Loop: Header=BB313_1067 Depth=1
	s_or_b64 exec, exec, s[20:21]
	s_and_b64 s[2:3], s[2:3], exec
	s_or_saveexec_b64 s[12:13], s[12:13]
	v_mov_b32_e32 v59, s22
	s_xor_b64 exec, exec, s[12:13]
	s_cbranch_execz .LBB313_1247
.LBB313_1782:                           ;   in Loop: Header=BB313_1067 Depth=1
	v_cmp_ne_u16_sdwa s[20:21], v20, v21 src0_sel:BYTE_0 src1_sel:DWORD
	s_andn2_b64 s[2:3], s[2:3], exec
	s_and_b64 s[20:21], s[20:21], exec
	v_mov_b32_e32 v59, 0
	s_or_b64 s[2:3], s[2:3], s[20:21]
	s_or_b64 exec, exec, s[12:13]
	s_and_saveexec_b64 s[12:13], s[2:3]
	s_cbranch_execnz .LBB313_1248
	s_branch .LBB313_1249
.LBB313_1783:                           ;   in Loop: Header=BB313_1067 Depth=1
	v_cmp_eq_u16_e64 s[2:3], s15, v20
	s_mov_b64 s[12:13], -1
                                        ; implicit-def: $sgpr28
	s_and_saveexec_b64 s[22:23], s[2:3]
; %bb.1784:                             ;   in Loop: Header=BB313_1067 Depth=1
	s_mov_b32 s28, 0x7fc02000
	s_xor_b64 s[12:13], exec, -1
; %bb.1785:                             ;   in Loop: Header=BB313_1067 Depth=1
	s_or_b64 exec, exec, s[22:23]
	s_and_b64 s[12:13], s[12:13], exec
	s_or_saveexec_b64 s[20:21], s[20:21]
	v_mov_b32_e32 v61, s28
	s_xor_b64 exec, exec, s[20:21]
	s_cbranch_execz .LBB313_1251
.LBB313_1786:                           ;   in Loop: Header=BB313_1067 Depth=1
	v_cmp_ne_u16_e64 s[2:3], 0, v20
	s_andn2_b64 s[12:13], s[12:13], exec
	s_and_b64 s[2:3], s[2:3], exec
	v_mov_b32_e32 v61, 0
	s_or_b64 s[12:13], s[12:13], s[2:3]
	s_or_b64 exec, exec, s[20:21]
	s_and_saveexec_b64 s[20:21], s[12:13]
	s_cbranch_execnz .LBB313_1252
	s_branch .LBB313_1253
.LBB313_1787:                           ;   in Loop: Header=BB313_1067 Depth=1
	v_cmp_eq_u16_sdwa s[28:29], v57, s15 src0_sel:BYTE_0 src1_sel:DWORD
	s_mov_b64 s[2:3], -1
                                        ; implicit-def: $sgpr22
	s_and_saveexec_b64 s[20:21], s[28:29]
; %bb.1788:                             ;   in Loop: Header=BB313_1067 Depth=1
	s_mov_b32 s22, 0x7fc02000
	s_xor_b64 s[2:3], exec, -1
; %bb.1789:                             ;   in Loop: Header=BB313_1067 Depth=1
	s_or_b64 exec, exec, s[20:21]
	s_and_b64 s[2:3], s[2:3], exec
	s_or_saveexec_b64 s[12:13], s[12:13]
	v_mov_b32_e32 v6, s22
	s_xor_b64 exec, exec, s[12:13]
	s_cbranch_execz .LBB313_1255
.LBB313_1790:                           ;   in Loop: Header=BB313_1067 Depth=1
	v_cmp_ne_u16_sdwa s[20:21], v57, v21 src0_sel:BYTE_0 src1_sel:DWORD
	s_andn2_b64 s[2:3], s[2:3], exec
	s_and_b64 s[20:21], s[20:21], exec
	v_mov_b32_e32 v6, 0
	s_or_b64 s[2:3], s[2:3], s[20:21]
	s_or_b64 exec, exec, s[12:13]
	v_mov_b32_e32 v20, v57
	s_and_saveexec_b64 s[12:13], s[2:3]
	s_cbranch_execnz .LBB313_1256
	s_branch .LBB313_1257
.LBB313_1791:                           ;   in Loop: Header=BB313_1067 Depth=1
	v_cmp_eq_u16_e64 s[2:3], s15, v20
	s_mov_b64 s[12:13], -1
                                        ; implicit-def: $sgpr28
	s_and_saveexec_b64 s[22:23], s[2:3]
; %bb.1792:                             ;   in Loop: Header=BB313_1067 Depth=1
	s_mov_b32 s28, 0x7fc02000
	s_xor_b64 s[12:13], exec, -1
; %bb.1793:                             ;   in Loop: Header=BB313_1067 Depth=1
	s_or_b64 exec, exec, s[22:23]
	s_and_b64 s[12:13], s[12:13], exec
	s_or_saveexec_b64 s[20:21], s[20:21]
	v_mov_b32_e32 v16, s28
	s_xor_b64 exec, exec, s[20:21]
	s_cbranch_execz .LBB313_1259
.LBB313_1794:                           ;   in Loop: Header=BB313_1067 Depth=1
	v_cmp_ne_u16_e64 s[2:3], 0, v20
	s_andn2_b64 s[12:13], s[12:13], exec
	s_and_b64 s[2:3], s[2:3], exec
	v_mov_b32_e32 v16, 0
	s_or_b64 s[12:13], s[12:13], s[2:3]
	s_or_b64 exec, exec, s[20:21]
	s_and_saveexec_b64 s[20:21], s[12:13]
	s_cbranch_execnz .LBB313_1260
	s_branch .LBB313_1261
.LBB313_1795:                           ;   in Loop: Header=BB313_1067 Depth=1
	v_cmp_eq_u16_sdwa s[28:29], v20, s15 src0_sel:BYTE_0 src1_sel:DWORD
	s_mov_b64 s[2:3], -1
                                        ; implicit-def: $sgpr22
	s_and_saveexec_b64 s[20:21], s[28:29]
; %bb.1796:                             ;   in Loop: Header=BB313_1067 Depth=1
	s_mov_b32 s22, 0x7fc02000
	s_xor_b64 s[2:3], exec, -1
; %bb.1797:                             ;   in Loop: Header=BB313_1067 Depth=1
	s_or_b64 exec, exec, s[20:21]
	s_and_b64 s[2:3], s[2:3], exec
	s_or_saveexec_b64 s[12:13], s[12:13]
	v_mov_b32_e32 v22, s22
	s_xor_b64 exec, exec, s[12:13]
	s_cbranch_execz .LBB313_1263
.LBB313_1798:                           ;   in Loop: Header=BB313_1067 Depth=1
	v_cmp_ne_u16_sdwa s[20:21], v20, v21 src0_sel:BYTE_0 src1_sel:DWORD
	s_andn2_b64 s[2:3], s[2:3], exec
	s_and_b64 s[20:21], s[20:21], exec
	v_mov_b32_e32 v22, 0
	s_or_b64 s[2:3], s[2:3], s[20:21]
	s_or_b64 exec, exec, s[12:13]
	s_and_saveexec_b64 s[12:13], s[2:3]
	s_cbranch_execnz .LBB313_1264
	s_branch .LBB313_1265
.LBB313_1799:                           ;   in Loop: Header=BB313_1067 Depth=1
	v_cmp_eq_u16_e64 s[2:3], s15, v20
	s_mov_b64 s[12:13], -1
                                        ; implicit-def: $sgpr28
	s_and_saveexec_b64 s[22:23], s[2:3]
; %bb.1800:                             ;   in Loop: Header=BB313_1067 Depth=1
	s_mov_b32 s28, 0x7fc02000
	s_xor_b64 s[12:13], exec, -1
; %bb.1801:                             ;   in Loop: Header=BB313_1067 Depth=1
	s_or_b64 exec, exec, s[22:23]
	s_and_b64 s[12:13], s[12:13], exec
	s_or_saveexec_b64 s[20:21], s[20:21]
	v_mov_b32_e32 v27, s28
	s_xor_b64 exec, exec, s[20:21]
	s_cbranch_execz .LBB313_1267
.LBB313_1802:                           ;   in Loop: Header=BB313_1067 Depth=1
	v_cmp_ne_u16_e64 s[2:3], 0, v20
	s_andn2_b64 s[12:13], s[12:13], exec
	s_and_b64 s[2:3], s[2:3], exec
	v_mov_b32_e32 v27, 0
	s_or_b64 s[12:13], s[12:13], s[2:3]
	s_or_b64 exec, exec, s[20:21]
	s_and_saveexec_b64 s[20:21], s[12:13]
	s_cbranch_execnz .LBB313_1268
	s_branch .LBB313_1269
.LBB313_1803:                           ;   in Loop: Header=BB313_1067 Depth=1
	v_cmp_eq_u16_sdwa s[28:29], v56, s15 src0_sel:BYTE_0 src1_sel:DWORD
	s_mov_b64 s[2:3], -1
                                        ; implicit-def: $sgpr22
	s_and_saveexec_b64 s[20:21], s[28:29]
; %bb.1804:                             ;   in Loop: Header=BB313_1067 Depth=1
	s_mov_b32 s22, 0x7fc02000
	s_xor_b64 s[2:3], exec, -1
; %bb.1805:                             ;   in Loop: Header=BB313_1067 Depth=1
	s_or_b64 exec, exec, s[20:21]
	s_and_b64 s[2:3], s[2:3], exec
	s_or_saveexec_b64 s[12:13], s[12:13]
	v_mov_b32_e32 v58, s22
	s_xor_b64 exec, exec, s[12:13]
	s_cbranch_execz .LBB313_1273
.LBB313_1806:                           ;   in Loop: Header=BB313_1067 Depth=1
	v_cmp_ne_u16_sdwa s[20:21], v56, v21 src0_sel:BYTE_0 src1_sel:DWORD
	s_andn2_b64 s[2:3], s[2:3], exec
	s_and_b64 s[20:21], s[20:21], exec
	v_mov_b32_e32 v58, 0
	s_or_b64 s[2:3], s[2:3], s[20:21]
	s_or_b64 exec, exec, s[12:13]
	s_and_saveexec_b64 s[12:13], s[2:3]
	s_cbranch_execnz .LBB313_1274
	s_branch .LBB313_1275
.LBB313_1807:                           ;   in Loop: Header=BB313_1067 Depth=1
	v_cmp_eq_u16_e64 s[2:3], s15, v20
	s_mov_b64 s[12:13], -1
                                        ; implicit-def: $sgpr28
	s_and_saveexec_b64 s[22:23], s[2:3]
; %bb.1808:                             ;   in Loop: Header=BB313_1067 Depth=1
	s_mov_b32 s28, 0x7fc02000
	s_xor_b64 s[12:13], exec, -1
; %bb.1809:                             ;   in Loop: Header=BB313_1067 Depth=1
	s_or_b64 exec, exec, s[22:23]
	s_and_b64 s[12:13], s[12:13], exec
	s_or_saveexec_b64 s[20:21], s[20:21]
	v_mov_b32_e32 v60, s28
	s_xor_b64 exec, exec, s[20:21]
	s_cbranch_execz .LBB313_1277
.LBB313_1810:                           ;   in Loop: Header=BB313_1067 Depth=1
	v_cmp_ne_u16_e64 s[2:3], 0, v20
	s_andn2_b64 s[12:13], s[12:13], exec
	s_and_b64 s[2:3], s[2:3], exec
	v_mov_b32_e32 v60, 0
	s_or_b64 s[12:13], s[12:13], s[2:3]
	s_or_b64 exec, exec, s[20:21]
	s_and_saveexec_b64 s[20:21], s[12:13]
	s_cbranch_execnz .LBB313_1278
	s_branch .LBB313_1279
.LBB313_1811:                           ;   in Loop: Header=BB313_1067 Depth=1
	v_cmp_eq_u16_sdwa s[28:29], v20, s15 src0_sel:BYTE_0 src1_sel:DWORD
	s_mov_b64 s[2:3], -1
                                        ; implicit-def: $sgpr22
	s_and_saveexec_b64 s[20:21], s[28:29]
; %bb.1812:                             ;   in Loop: Header=BB313_1067 Depth=1
	s_mov_b32 s22, 0x7fc02000
	s_xor_b64 s[2:3], exec, -1
; %bb.1813:                             ;   in Loop: Header=BB313_1067 Depth=1
	s_or_b64 exec, exec, s[20:21]
	s_and_b64 s[2:3], s[2:3], exec
	s_or_saveexec_b64 s[12:13], s[12:13]
	v_mov_b32_e32 v59, s22
	s_xor_b64 exec, exec, s[12:13]
	s_cbranch_execz .LBB313_1281
.LBB313_1814:                           ;   in Loop: Header=BB313_1067 Depth=1
	v_cmp_ne_u16_sdwa s[20:21], v20, v21 src0_sel:BYTE_0 src1_sel:DWORD
	s_andn2_b64 s[2:3], s[2:3], exec
	s_and_b64 s[20:21], s[20:21], exec
	v_mov_b32_e32 v59, 0
	s_or_b64 s[2:3], s[2:3], s[20:21]
	s_or_b64 exec, exec, s[12:13]
	s_and_saveexec_b64 s[12:13], s[2:3]
	s_cbranch_execnz .LBB313_1282
	s_branch .LBB313_1283
.LBB313_1815:                           ;   in Loop: Header=BB313_1067 Depth=1
	v_cmp_eq_u16_e64 s[2:3], s15, v20
	s_mov_b64 s[12:13], -1
                                        ; implicit-def: $sgpr28
	s_and_saveexec_b64 s[22:23], s[2:3]
; %bb.1816:                             ;   in Loop: Header=BB313_1067 Depth=1
	s_mov_b32 s28, 0x7fc02000
	s_xor_b64 s[12:13], exec, -1
; %bb.1817:                             ;   in Loop: Header=BB313_1067 Depth=1
	s_or_b64 exec, exec, s[22:23]
	s_and_b64 s[12:13], s[12:13], exec
	s_or_saveexec_b64 s[20:21], s[20:21]
	v_mov_b32_e32 v61, s28
	s_xor_b64 exec, exec, s[20:21]
	s_cbranch_execz .LBB313_1285
.LBB313_1818:                           ;   in Loop: Header=BB313_1067 Depth=1
	v_cmp_ne_u16_e64 s[2:3], 0, v20
	s_andn2_b64 s[12:13], s[12:13], exec
	s_and_b64 s[2:3], s[2:3], exec
	v_mov_b32_e32 v61, 0
	s_or_b64 s[12:13], s[12:13], s[2:3]
	s_or_b64 exec, exec, s[20:21]
	s_and_saveexec_b64 s[20:21], s[12:13]
	s_cbranch_execnz .LBB313_1286
	s_branch .LBB313_1287
.LBB313_1819:                           ;   in Loop: Header=BB313_1067 Depth=1
	v_cmp_eq_u16_sdwa s[28:29], v57, s15 src0_sel:BYTE_0 src1_sel:DWORD
	s_mov_b64 s[2:3], -1
                                        ; implicit-def: $sgpr22
	s_and_saveexec_b64 s[20:21], s[28:29]
; %bb.1820:                             ;   in Loop: Header=BB313_1067 Depth=1
	s_mov_b32 s22, 0x7fc02000
	s_xor_b64 s[2:3], exec, -1
; %bb.1821:                             ;   in Loop: Header=BB313_1067 Depth=1
	s_or_b64 exec, exec, s[20:21]
	s_and_b64 s[2:3], s[2:3], exec
	s_or_saveexec_b64 s[12:13], s[12:13]
	v_mov_b32_e32 v6, s22
	s_xor_b64 exec, exec, s[12:13]
	s_cbranch_execz .LBB313_1289
.LBB313_1822:                           ;   in Loop: Header=BB313_1067 Depth=1
	v_cmp_ne_u16_sdwa s[20:21], v57, v21 src0_sel:BYTE_0 src1_sel:DWORD
	s_andn2_b64 s[2:3], s[2:3], exec
	s_and_b64 s[20:21], s[20:21], exec
	v_mov_b32_e32 v6, 0
	s_or_b64 s[2:3], s[2:3], s[20:21]
	s_or_b64 exec, exec, s[12:13]
	v_mov_b32_e32 v20, v57
	s_and_saveexec_b64 s[12:13], s[2:3]
	s_cbranch_execnz .LBB313_1290
	s_branch .LBB313_1291
.LBB313_1823:                           ;   in Loop: Header=BB313_1067 Depth=1
	v_cmp_eq_u16_e64 s[2:3], s15, v20
	s_mov_b64 s[12:13], -1
                                        ; implicit-def: $sgpr28
	s_and_saveexec_b64 s[22:23], s[2:3]
; %bb.1824:                             ;   in Loop: Header=BB313_1067 Depth=1
	s_mov_b32 s28, 0x7fc02000
	s_xor_b64 s[12:13], exec, -1
; %bb.1825:                             ;   in Loop: Header=BB313_1067 Depth=1
	s_or_b64 exec, exec, s[22:23]
	s_and_b64 s[12:13], s[12:13], exec
	s_or_saveexec_b64 s[20:21], s[20:21]
	v_mov_b32_e32 v16, s28
	s_xor_b64 exec, exec, s[20:21]
	s_cbranch_execz .LBB313_1293
.LBB313_1826:                           ;   in Loop: Header=BB313_1067 Depth=1
	v_cmp_ne_u16_e64 s[2:3], 0, v20
	s_andn2_b64 s[12:13], s[12:13], exec
	s_and_b64 s[2:3], s[2:3], exec
	v_mov_b32_e32 v16, 0
	s_or_b64 s[12:13], s[12:13], s[2:3]
	s_or_b64 exec, exec, s[20:21]
	s_and_saveexec_b64 s[20:21], s[12:13]
	s_cbranch_execnz .LBB313_1294
	s_branch .LBB313_1295
.LBB313_1827:                           ;   in Loop: Header=BB313_1067 Depth=1
	v_cmp_eq_u16_sdwa s[28:29], v20, s15 src0_sel:BYTE_0 src1_sel:DWORD
	s_mov_b64 s[2:3], -1
                                        ; implicit-def: $sgpr22
	s_and_saveexec_b64 s[20:21], s[28:29]
; %bb.1828:                             ;   in Loop: Header=BB313_1067 Depth=1
	s_mov_b32 s22, 0x7fc02000
	s_xor_b64 s[2:3], exec, -1
; %bb.1829:                             ;   in Loop: Header=BB313_1067 Depth=1
	s_or_b64 exec, exec, s[20:21]
	s_and_b64 s[2:3], s[2:3], exec
	s_or_saveexec_b64 s[12:13], s[12:13]
	v_mov_b32_e32 v22, s22
	s_xor_b64 exec, exec, s[12:13]
	s_cbranch_execz .LBB313_1297
.LBB313_1830:                           ;   in Loop: Header=BB313_1067 Depth=1
	v_cmp_ne_u16_sdwa s[20:21], v20, v21 src0_sel:BYTE_0 src1_sel:DWORD
	s_andn2_b64 s[2:3], s[2:3], exec
	s_and_b64 s[20:21], s[20:21], exec
	v_mov_b32_e32 v22, 0
	s_or_b64 s[2:3], s[2:3], s[20:21]
	s_or_b64 exec, exec, s[12:13]
	s_and_saveexec_b64 s[12:13], s[2:3]
	s_cbranch_execnz .LBB313_1298
	s_branch .LBB313_1299
.LBB313_1831:                           ;   in Loop: Header=BB313_1067 Depth=1
	v_cmp_eq_u16_e64 s[2:3], s15, v20
	s_mov_b64 s[12:13], -1
                                        ; implicit-def: $sgpr28
	s_and_saveexec_b64 s[22:23], s[2:3]
; %bb.1832:                             ;   in Loop: Header=BB313_1067 Depth=1
	s_mov_b32 s28, 0x7fc02000
	s_xor_b64 s[12:13], exec, -1
; %bb.1833:                             ;   in Loop: Header=BB313_1067 Depth=1
	s_or_b64 exec, exec, s[22:23]
	s_and_b64 s[12:13], s[12:13], exec
	s_or_saveexec_b64 s[20:21], s[20:21]
	v_mov_b32_e32 v27, s28
	s_xor_b64 exec, exec, s[20:21]
	s_cbranch_execz .LBB313_1301
.LBB313_1834:                           ;   in Loop: Header=BB313_1067 Depth=1
	v_cmp_ne_u16_e64 s[2:3], 0, v20
	s_andn2_b64 s[12:13], s[12:13], exec
	s_and_b64 s[2:3], s[2:3], exec
	v_mov_b32_e32 v27, 0
	s_or_b64 s[12:13], s[12:13], s[2:3]
	s_or_b64 exec, exec, s[20:21]
	s_and_saveexec_b64 s[20:21], s[12:13]
	s_cbranch_execnz .LBB313_1302
	s_branch .LBB313_1303
.LBB313_1835:                           ;   in Loop: Header=BB313_1067 Depth=1
	v_cmp_eq_u16_sdwa s[28:29], v46, s15 src0_sel:BYTE_0 src1_sel:DWORD
	s_mov_b64 s[2:3], -1
                                        ; implicit-def: $sgpr22
	s_and_saveexec_b64 s[20:21], s[28:29]
; %bb.1836:                             ;   in Loop: Header=BB313_1067 Depth=1
	s_mov_b32 s22, 0x7fc02000
	s_xor_b64 s[2:3], exec, -1
; %bb.1837:                             ;   in Loop: Header=BB313_1067 Depth=1
	s_or_b64 exec, exec, s[20:21]
	s_and_b64 s[2:3], s[2:3], exec
	s_or_saveexec_b64 s[12:13], s[12:13]
	v_mov_b32_e32 v56, s22
	s_xor_b64 exec, exec, s[12:13]
	s_cbranch_execz .LBB313_1307
.LBB313_1838:                           ;   in Loop: Header=BB313_1067 Depth=1
	v_cmp_ne_u16_sdwa s[20:21], v46, v21 src0_sel:BYTE_0 src1_sel:DWORD
	s_andn2_b64 s[2:3], s[2:3], exec
	s_and_b64 s[20:21], s[20:21], exec
	v_mov_b32_e32 v56, 0
	s_or_b64 s[2:3], s[2:3], s[20:21]
	s_or_b64 exec, exec, s[12:13]
	s_and_saveexec_b64 s[12:13], s[2:3]
	s_cbranch_execnz .LBB313_1308
	s_branch .LBB313_1309
.LBB313_1839:                           ;   in Loop: Header=BB313_1067 Depth=1
	v_cmp_eq_u16_e64 s[2:3], s15, v20
	s_mov_b64 s[12:13], -1
                                        ; implicit-def: $sgpr28
	s_and_saveexec_b64 s[22:23], s[2:3]
; %bb.1840:                             ;   in Loop: Header=BB313_1067 Depth=1
	s_mov_b32 s28, 0x7fc02000
	s_xor_b64 s[12:13], exec, -1
; %bb.1841:                             ;   in Loop: Header=BB313_1067 Depth=1
	s_or_b64 exec, exec, s[22:23]
	s_and_b64 s[12:13], s[12:13], exec
	s_or_saveexec_b64 s[20:21], s[20:21]
	v_mov_b32_e32 v58, s28
	s_xor_b64 exec, exec, s[20:21]
	s_cbranch_execz .LBB313_1311
.LBB313_1842:                           ;   in Loop: Header=BB313_1067 Depth=1
	v_cmp_ne_u16_e64 s[2:3], 0, v20
	s_andn2_b64 s[12:13], s[12:13], exec
	s_and_b64 s[2:3], s[2:3], exec
	v_mov_b32_e32 v58, 0
	s_or_b64 s[12:13], s[12:13], s[2:3]
	s_or_b64 exec, exec, s[20:21]
	s_and_saveexec_b64 s[20:21], s[12:13]
	s_cbranch_execnz .LBB313_1312
	s_branch .LBB313_1313
.LBB313_1843:                           ;   in Loop: Header=BB313_1067 Depth=1
	v_cmp_eq_u16_sdwa s[28:29], v20, s15 src0_sel:BYTE_0 src1_sel:DWORD
	s_mov_b64 s[2:3], -1
                                        ; implicit-def: $sgpr22
	s_and_saveexec_b64 s[20:21], s[28:29]
; %bb.1844:                             ;   in Loop: Header=BB313_1067 Depth=1
	s_mov_b32 s22, 0x7fc02000
	s_xor_b64 s[2:3], exec, -1
; %bb.1845:                             ;   in Loop: Header=BB313_1067 Depth=1
	s_or_b64 exec, exec, s[20:21]
	s_and_b64 s[2:3], s[2:3], exec
	s_or_saveexec_b64 s[12:13], s[12:13]
	v_mov_b32_e32 v57, s22
	s_xor_b64 exec, exec, s[12:13]
	s_cbranch_execz .LBB313_1315
.LBB313_1846:                           ;   in Loop: Header=BB313_1067 Depth=1
	v_cmp_ne_u16_sdwa s[20:21], v20, v21 src0_sel:BYTE_0 src1_sel:DWORD
	s_andn2_b64 s[2:3], s[2:3], exec
	s_and_b64 s[20:21], s[20:21], exec
	v_mov_b32_e32 v57, 0
	s_or_b64 s[2:3], s[2:3], s[20:21]
	s_or_b64 exec, exec, s[12:13]
	s_and_saveexec_b64 s[12:13], s[2:3]
	s_cbranch_execnz .LBB313_1316
	s_branch .LBB313_1317
.LBB313_1847:                           ;   in Loop: Header=BB313_1067 Depth=1
	v_cmp_eq_u16_e64 s[2:3], s15, v20
	s_mov_b64 s[12:13], -1
                                        ; implicit-def: $sgpr28
	s_and_saveexec_b64 s[22:23], s[2:3]
; %bb.1848:                             ;   in Loop: Header=BB313_1067 Depth=1
	s_mov_b32 s28, 0x7fc02000
	s_xor_b64 s[12:13], exec, -1
; %bb.1849:                             ;   in Loop: Header=BB313_1067 Depth=1
	s_or_b64 exec, exec, s[22:23]
	s_and_b64 s[12:13], s[12:13], exec
	s_or_saveexec_b64 s[20:21], s[20:21]
	v_mov_b32_e32 v59, s28
	s_xor_b64 exec, exec, s[20:21]
	s_cbranch_execz .LBB313_1319
.LBB313_1850:                           ;   in Loop: Header=BB313_1067 Depth=1
	v_cmp_ne_u16_e64 s[2:3], 0, v20
	s_andn2_b64 s[12:13], s[12:13], exec
	s_and_b64 s[2:3], s[2:3], exec
	v_mov_b32_e32 v59, 0
	s_or_b64 s[12:13], s[12:13], s[2:3]
	s_or_b64 exec, exec, s[20:21]
	s_and_saveexec_b64 s[20:21], s[12:13]
	s_cbranch_execnz .LBB313_1320
	s_branch .LBB313_1321
.LBB313_1851:                           ;   in Loop: Header=BB313_1067 Depth=1
	v_cmp_eq_u16_sdwa s[28:29], v47, s15 src0_sel:BYTE_0 src1_sel:DWORD
	s_mov_b64 s[2:3], -1
                                        ; implicit-def: $sgpr22
	s_and_saveexec_b64 s[20:21], s[28:29]
; %bb.1852:                             ;   in Loop: Header=BB313_1067 Depth=1
	s_mov_b32 s22, 0x7fc02000
	s_xor_b64 s[2:3], exec, -1
; %bb.1853:                             ;   in Loop: Header=BB313_1067 Depth=1
	s_or_b64 exec, exec, s[20:21]
	s_and_b64 s[2:3], s[2:3], exec
	s_or_saveexec_b64 s[12:13], s[12:13]
	v_mov_b32_e32 v6, s22
	s_xor_b64 exec, exec, s[12:13]
	s_cbranch_execz .LBB313_1323
.LBB313_1854:                           ;   in Loop: Header=BB313_1067 Depth=1
	v_cmp_ne_u16_sdwa s[20:21], v47, v21 src0_sel:BYTE_0 src1_sel:DWORD
	s_andn2_b64 s[2:3], s[2:3], exec
	s_and_b64 s[20:21], s[20:21], exec
	v_mov_b32_e32 v6, 0
	s_or_b64 s[2:3], s[2:3], s[20:21]
	s_or_b64 exec, exec, s[12:13]
	v_mov_b32_e32 v20, v47
	s_and_saveexec_b64 s[12:13], s[2:3]
	s_cbranch_execnz .LBB313_1324
	s_branch .LBB313_1325
.LBB313_1855:                           ;   in Loop: Header=BB313_1067 Depth=1
	v_cmp_eq_u16_e64 s[2:3], s15, v20
	s_mov_b64 s[12:13], -1
                                        ; implicit-def: $sgpr28
	s_and_saveexec_b64 s[22:23], s[2:3]
; %bb.1856:                             ;   in Loop: Header=BB313_1067 Depth=1
	s_mov_b32 s28, 0x7fc02000
	s_xor_b64 s[12:13], exec, -1
; %bb.1857:                             ;   in Loop: Header=BB313_1067 Depth=1
	s_or_b64 exec, exec, s[22:23]
	s_and_b64 s[12:13], s[12:13], exec
	s_or_saveexec_b64 s[20:21], s[20:21]
	v_mov_b32_e32 v16, s28
	s_xor_b64 exec, exec, s[20:21]
	s_cbranch_execz .LBB313_1327
.LBB313_1858:                           ;   in Loop: Header=BB313_1067 Depth=1
	v_cmp_ne_u16_e64 s[2:3], 0, v20
	s_andn2_b64 s[12:13], s[12:13], exec
	s_and_b64 s[2:3], s[2:3], exec
	v_mov_b32_e32 v16, 0
	s_or_b64 s[12:13], s[12:13], s[2:3]
	s_or_b64 exec, exec, s[20:21]
	s_and_saveexec_b64 s[20:21], s[12:13]
	s_cbranch_execnz .LBB313_1328
	s_branch .LBB313_1329
.LBB313_1859:                           ;   in Loop: Header=BB313_1067 Depth=1
	v_cmp_eq_u16_sdwa s[28:29], v20, s15 src0_sel:BYTE_0 src1_sel:DWORD
	s_mov_b64 s[2:3], -1
                                        ; implicit-def: $sgpr22
	s_and_saveexec_b64 s[20:21], s[28:29]
; %bb.1860:                             ;   in Loop: Header=BB313_1067 Depth=1
	s_mov_b32 s22, 0x7fc02000
	s_xor_b64 s[2:3], exec, -1
; %bb.1861:                             ;   in Loop: Header=BB313_1067 Depth=1
	s_or_b64 exec, exec, s[20:21]
	s_and_b64 s[2:3], s[2:3], exec
	s_or_saveexec_b64 s[12:13], s[12:13]
	v_mov_b32_e32 v22, s22
	s_xor_b64 exec, exec, s[12:13]
	s_cbranch_execz .LBB313_1331
.LBB313_1862:                           ;   in Loop: Header=BB313_1067 Depth=1
	v_cmp_ne_u16_sdwa s[20:21], v20, v21 src0_sel:BYTE_0 src1_sel:DWORD
	s_andn2_b64 s[2:3], s[2:3], exec
	s_and_b64 s[20:21], s[20:21], exec
	v_mov_b32_e32 v22, 0
	s_or_b64 s[2:3], s[2:3], s[20:21]
	s_or_b64 exec, exec, s[12:13]
	s_and_saveexec_b64 s[12:13], s[2:3]
	s_cbranch_execnz .LBB313_1332
	s_branch .LBB313_1333
.LBB313_1863:                           ;   in Loop: Header=BB313_1067 Depth=1
	v_cmp_eq_u16_e64 s[2:3], s15, v20
	s_mov_b64 s[12:13], -1
                                        ; implicit-def: $sgpr28
	s_and_saveexec_b64 s[22:23], s[2:3]
; %bb.1864:                             ;   in Loop: Header=BB313_1067 Depth=1
	s_mov_b32 s28, 0x7fc02000
	s_xor_b64 s[12:13], exec, -1
; %bb.1865:                             ;   in Loop: Header=BB313_1067 Depth=1
	s_or_b64 exec, exec, s[22:23]
	s_and_b64 s[12:13], s[12:13], exec
	s_or_saveexec_b64 s[20:21], s[20:21]
	v_mov_b32_e32 v27, s28
	s_xor_b64 exec, exec, s[20:21]
	s_cbranch_execz .LBB313_1335
.LBB313_1866:                           ;   in Loop: Header=BB313_1067 Depth=1
	v_cmp_ne_u16_e64 s[2:3], 0, v20
	s_andn2_b64 s[12:13], s[12:13], exec
	s_and_b64 s[2:3], s[2:3], exec
	v_mov_b32_e32 v27, 0
	s_or_b64 s[12:13], s[12:13], s[2:3]
	s_or_b64 exec, exec, s[20:21]
	s_and_saveexec_b64 s[20:21], s[12:13]
	s_cbranch_execnz .LBB313_1336
	s_branch .LBB313_1337
.LBB313_1867:                           ;   in Loop: Header=BB313_1067 Depth=1
	v_cmp_eq_u16_sdwa s[28:29], v46, s15 src0_sel:BYTE_0 src1_sel:DWORD
	s_mov_b64 s[2:3], -1
                                        ; implicit-def: $sgpr22
	s_and_saveexec_b64 s[20:21], s[28:29]
; %bb.1868:                             ;   in Loop: Header=BB313_1067 Depth=1
	s_mov_b32 s22, 0x7fc02000
	s_xor_b64 s[2:3], exec, -1
; %bb.1869:                             ;   in Loop: Header=BB313_1067 Depth=1
	s_or_b64 exec, exec, s[20:21]
	s_and_b64 s[2:3], s[2:3], exec
	s_or_saveexec_b64 s[12:13], s[12:13]
	v_mov_b32_e32 v56, s22
	s_xor_b64 exec, exec, s[12:13]
	s_cbranch_execz .LBB313_1341
.LBB313_1870:                           ;   in Loop: Header=BB313_1067 Depth=1
	v_cmp_ne_u16_sdwa s[20:21], v46, v21 src0_sel:BYTE_0 src1_sel:DWORD
	s_andn2_b64 s[2:3], s[2:3], exec
	s_and_b64 s[20:21], s[20:21], exec
	v_mov_b32_e32 v56, 0
	s_or_b64 s[2:3], s[2:3], s[20:21]
	s_or_b64 exec, exec, s[12:13]
	s_and_saveexec_b64 s[12:13], s[2:3]
	s_cbranch_execnz .LBB313_1342
	s_branch .LBB313_1343
.LBB313_1871:                           ;   in Loop: Header=BB313_1067 Depth=1
	v_cmp_eq_u16_e64 s[2:3], s15, v20
	s_mov_b64 s[12:13], -1
                                        ; implicit-def: $sgpr28
	s_and_saveexec_b64 s[22:23], s[2:3]
; %bb.1872:                             ;   in Loop: Header=BB313_1067 Depth=1
	s_mov_b32 s28, 0x7fc02000
	s_xor_b64 s[12:13], exec, -1
; %bb.1873:                             ;   in Loop: Header=BB313_1067 Depth=1
	s_or_b64 exec, exec, s[22:23]
	s_and_b64 s[12:13], s[12:13], exec
	s_or_saveexec_b64 s[20:21], s[20:21]
	v_mov_b32_e32 v58, s28
	s_xor_b64 exec, exec, s[20:21]
	s_cbranch_execz .LBB313_1345
.LBB313_1874:                           ;   in Loop: Header=BB313_1067 Depth=1
	v_cmp_ne_u16_e64 s[2:3], 0, v20
	s_andn2_b64 s[12:13], s[12:13], exec
	s_and_b64 s[2:3], s[2:3], exec
	v_mov_b32_e32 v58, 0
	s_or_b64 s[12:13], s[12:13], s[2:3]
	s_or_b64 exec, exec, s[20:21]
	s_and_saveexec_b64 s[20:21], s[12:13]
	s_cbranch_execnz .LBB313_1346
	s_branch .LBB313_1347
.LBB313_1875:                           ;   in Loop: Header=BB313_1067 Depth=1
	v_cmp_eq_u16_sdwa s[28:29], v20, s15 src0_sel:BYTE_0 src1_sel:DWORD
	s_mov_b64 s[2:3], -1
                                        ; implicit-def: $sgpr22
	s_and_saveexec_b64 s[20:21], s[28:29]
; %bb.1876:                             ;   in Loop: Header=BB313_1067 Depth=1
	s_mov_b32 s22, 0x7fc02000
	s_xor_b64 s[2:3], exec, -1
; %bb.1877:                             ;   in Loop: Header=BB313_1067 Depth=1
	s_or_b64 exec, exec, s[20:21]
	s_and_b64 s[2:3], s[2:3], exec
	s_or_saveexec_b64 s[12:13], s[12:13]
	v_mov_b32_e32 v57, s22
	s_xor_b64 exec, exec, s[12:13]
	s_cbranch_execz .LBB313_1349
.LBB313_1878:                           ;   in Loop: Header=BB313_1067 Depth=1
	v_cmp_ne_u16_sdwa s[20:21], v20, v21 src0_sel:BYTE_0 src1_sel:DWORD
	s_andn2_b64 s[2:3], s[2:3], exec
	s_and_b64 s[20:21], s[20:21], exec
	v_mov_b32_e32 v57, 0
	s_or_b64 s[2:3], s[2:3], s[20:21]
	s_or_b64 exec, exec, s[12:13]
	s_and_saveexec_b64 s[12:13], s[2:3]
	s_cbranch_execnz .LBB313_1350
	s_branch .LBB313_1351
.LBB313_1879:                           ;   in Loop: Header=BB313_1067 Depth=1
	v_cmp_eq_u16_e64 s[2:3], s15, v20
	s_mov_b64 s[12:13], -1
                                        ; implicit-def: $sgpr28
	s_and_saveexec_b64 s[22:23], s[2:3]
; %bb.1880:                             ;   in Loop: Header=BB313_1067 Depth=1
	s_mov_b32 s28, 0x7fc02000
	s_xor_b64 s[12:13], exec, -1
; %bb.1881:                             ;   in Loop: Header=BB313_1067 Depth=1
	s_or_b64 exec, exec, s[22:23]
	s_and_b64 s[12:13], s[12:13], exec
	s_or_saveexec_b64 s[20:21], s[20:21]
	v_mov_b32_e32 v59, s28
	s_xor_b64 exec, exec, s[20:21]
	s_cbranch_execz .LBB313_1353
.LBB313_1882:                           ;   in Loop: Header=BB313_1067 Depth=1
	v_cmp_ne_u16_e64 s[2:3], 0, v20
	s_andn2_b64 s[12:13], s[12:13], exec
	s_and_b64 s[2:3], s[2:3], exec
	v_mov_b32_e32 v59, 0
	s_or_b64 s[12:13], s[12:13], s[2:3]
	s_or_b64 exec, exec, s[20:21]
	s_and_saveexec_b64 s[20:21], s[12:13]
	s_cbranch_execnz .LBB313_1354
	s_branch .LBB313_1355
.LBB313_1883:                           ;   in Loop: Header=BB313_1067 Depth=1
	v_cmp_eq_u16_sdwa s[28:29], v47, s15 src0_sel:BYTE_0 src1_sel:DWORD
	s_mov_b64 s[2:3], -1
                                        ; implicit-def: $sgpr22
	s_and_saveexec_b64 s[20:21], s[28:29]
; %bb.1884:                             ;   in Loop: Header=BB313_1067 Depth=1
	s_mov_b32 s22, 0x7fc02000
	s_xor_b64 s[2:3], exec, -1
; %bb.1885:                             ;   in Loop: Header=BB313_1067 Depth=1
	s_or_b64 exec, exec, s[20:21]
	s_and_b64 s[2:3], s[2:3], exec
	s_or_saveexec_b64 s[12:13], s[12:13]
	v_mov_b32_e32 v6, s22
	s_xor_b64 exec, exec, s[12:13]
	s_cbranch_execz .LBB313_1357
.LBB313_1886:                           ;   in Loop: Header=BB313_1067 Depth=1
	v_cmp_ne_u16_sdwa s[20:21], v47, v21 src0_sel:BYTE_0 src1_sel:DWORD
	s_andn2_b64 s[2:3], s[2:3], exec
	s_and_b64 s[20:21], s[20:21], exec
	v_mov_b32_e32 v6, 0
	s_or_b64 s[2:3], s[2:3], s[20:21]
	s_or_b64 exec, exec, s[12:13]
	v_mov_b32_e32 v20, v47
	s_and_saveexec_b64 s[12:13], s[2:3]
	s_cbranch_execnz .LBB313_1358
	s_branch .LBB313_1359
.LBB313_1887:                           ;   in Loop: Header=BB313_1067 Depth=1
	v_cmp_eq_u16_e64 s[2:3], s15, v20
	s_mov_b64 s[12:13], -1
                                        ; implicit-def: $sgpr28
	s_and_saveexec_b64 s[22:23], s[2:3]
; %bb.1888:                             ;   in Loop: Header=BB313_1067 Depth=1
	s_mov_b32 s28, 0x7fc02000
	s_xor_b64 s[12:13], exec, -1
; %bb.1889:                             ;   in Loop: Header=BB313_1067 Depth=1
	s_or_b64 exec, exec, s[22:23]
	s_and_b64 s[12:13], s[12:13], exec
	s_or_saveexec_b64 s[20:21], s[20:21]
	v_mov_b32_e32 v16, s28
	s_xor_b64 exec, exec, s[20:21]
	s_cbranch_execz .LBB313_1361
.LBB313_1890:                           ;   in Loop: Header=BB313_1067 Depth=1
	v_cmp_ne_u16_e64 s[2:3], 0, v20
	s_andn2_b64 s[12:13], s[12:13], exec
	s_and_b64 s[2:3], s[2:3], exec
	v_mov_b32_e32 v16, 0
	s_or_b64 s[12:13], s[12:13], s[2:3]
	s_or_b64 exec, exec, s[20:21]
	s_and_saveexec_b64 s[20:21], s[12:13]
	s_cbranch_execnz .LBB313_1362
	s_branch .LBB313_1363
.LBB313_1891:                           ;   in Loop: Header=BB313_1067 Depth=1
	v_cmp_eq_u16_sdwa s[28:29], v20, s15 src0_sel:BYTE_0 src1_sel:DWORD
	s_mov_b64 s[2:3], -1
                                        ; implicit-def: $sgpr22
	s_and_saveexec_b64 s[20:21], s[28:29]
; %bb.1892:                             ;   in Loop: Header=BB313_1067 Depth=1
	s_mov_b32 s22, 0x7fc02000
	s_xor_b64 s[2:3], exec, -1
; %bb.1893:                             ;   in Loop: Header=BB313_1067 Depth=1
	s_or_b64 exec, exec, s[20:21]
	s_and_b64 s[2:3], s[2:3], exec
	s_or_saveexec_b64 s[12:13], s[12:13]
	v_mov_b32_e32 v22, s22
	s_xor_b64 exec, exec, s[12:13]
	s_cbranch_execz .LBB313_1365
.LBB313_1894:                           ;   in Loop: Header=BB313_1067 Depth=1
	v_cmp_ne_u16_sdwa s[20:21], v20, v21 src0_sel:BYTE_0 src1_sel:DWORD
	s_andn2_b64 s[2:3], s[2:3], exec
	s_and_b64 s[20:21], s[20:21], exec
	v_mov_b32_e32 v22, 0
	s_or_b64 s[2:3], s[2:3], s[20:21]
	s_or_b64 exec, exec, s[12:13]
	s_and_saveexec_b64 s[12:13], s[2:3]
	s_cbranch_execnz .LBB313_1366
	s_branch .LBB313_1367
.LBB313_1895:                           ;   in Loop: Header=BB313_1067 Depth=1
	v_cmp_eq_u16_e64 s[2:3], s15, v20
	s_mov_b64 s[12:13], -1
                                        ; implicit-def: $sgpr28
	s_and_saveexec_b64 s[22:23], s[2:3]
; %bb.1896:                             ;   in Loop: Header=BB313_1067 Depth=1
	s_mov_b32 s28, 0x7fc02000
	s_xor_b64 s[12:13], exec, -1
; %bb.1897:                             ;   in Loop: Header=BB313_1067 Depth=1
	s_or_b64 exec, exec, s[22:23]
	s_and_b64 s[12:13], s[12:13], exec
	s_or_saveexec_b64 s[20:21], s[20:21]
	v_mov_b32_e32 v27, s28
	s_xor_b64 exec, exec, s[20:21]
	s_cbranch_execz .LBB313_1369
.LBB313_1898:                           ;   in Loop: Header=BB313_1067 Depth=1
	v_cmp_ne_u16_e64 s[2:3], 0, v20
	s_andn2_b64 s[12:13], s[12:13], exec
	s_and_b64 s[2:3], s[2:3], exec
	v_mov_b32_e32 v27, 0
	s_or_b64 s[12:13], s[12:13], s[2:3]
	s_or_b64 exec, exec, s[20:21]
	s_and_saveexec_b64 s[20:21], s[12:13]
	s_cbranch_execnz .LBB313_1370
	s_branch .LBB313_1371
.LBB313_1899:                           ;   in Loop: Header=BB313_1067 Depth=1
	v_cmp_eq_u16_sdwa s[28:29], v46, s15 src0_sel:BYTE_0 src1_sel:DWORD
	s_mov_b64 s[2:3], -1
                                        ; implicit-def: $sgpr22
	s_and_saveexec_b64 s[20:21], s[28:29]
; %bb.1900:                             ;   in Loop: Header=BB313_1067 Depth=1
	s_mov_b32 s22, 0x7fc02000
	s_xor_b64 s[2:3], exec, -1
; %bb.1901:                             ;   in Loop: Header=BB313_1067 Depth=1
	s_or_b64 exec, exec, s[20:21]
	s_and_b64 s[2:3], s[2:3], exec
	s_or_saveexec_b64 s[12:13], s[12:13]
	v_mov_b32_e32 v56, s22
	s_xor_b64 exec, exec, s[12:13]
	s_cbranch_execz .LBB313_1375
.LBB313_1902:                           ;   in Loop: Header=BB313_1067 Depth=1
	v_cmp_ne_u16_sdwa s[20:21], v46, v21 src0_sel:BYTE_0 src1_sel:DWORD
	s_andn2_b64 s[2:3], s[2:3], exec
	s_and_b64 s[20:21], s[20:21], exec
	v_mov_b32_e32 v56, 0
	s_or_b64 s[2:3], s[2:3], s[20:21]
	s_or_b64 exec, exec, s[12:13]
	s_and_saveexec_b64 s[12:13], s[2:3]
	s_cbranch_execnz .LBB313_1376
	s_branch .LBB313_1377
.LBB313_1903:                           ;   in Loop: Header=BB313_1067 Depth=1
	v_cmp_eq_u16_e64 s[2:3], s15, v20
	s_mov_b64 s[12:13], -1
                                        ; implicit-def: $sgpr28
	s_and_saveexec_b64 s[22:23], s[2:3]
; %bb.1904:                             ;   in Loop: Header=BB313_1067 Depth=1
	s_mov_b32 s28, 0x7fc02000
	s_xor_b64 s[12:13], exec, -1
; %bb.1905:                             ;   in Loop: Header=BB313_1067 Depth=1
	s_or_b64 exec, exec, s[22:23]
	s_and_b64 s[12:13], s[12:13], exec
	s_or_saveexec_b64 s[20:21], s[20:21]
	v_mov_b32_e32 v58, s28
	s_xor_b64 exec, exec, s[20:21]
	s_cbranch_execz .LBB313_1379
.LBB313_1906:                           ;   in Loop: Header=BB313_1067 Depth=1
	v_cmp_ne_u16_e64 s[2:3], 0, v20
	s_andn2_b64 s[12:13], s[12:13], exec
	s_and_b64 s[2:3], s[2:3], exec
	v_mov_b32_e32 v58, 0
	s_or_b64 s[12:13], s[12:13], s[2:3]
	s_or_b64 exec, exec, s[20:21]
	s_and_saveexec_b64 s[20:21], s[12:13]
	s_cbranch_execnz .LBB313_1380
	s_branch .LBB313_1381
.LBB313_1907:                           ;   in Loop: Header=BB313_1067 Depth=1
	v_cmp_eq_u16_sdwa s[28:29], v20, s15 src0_sel:BYTE_0 src1_sel:DWORD
	s_mov_b64 s[2:3], -1
                                        ; implicit-def: $sgpr22
	s_and_saveexec_b64 s[20:21], s[28:29]
; %bb.1908:                             ;   in Loop: Header=BB313_1067 Depth=1
	s_mov_b32 s22, 0x7fc02000
	s_xor_b64 s[2:3], exec, -1
; %bb.1909:                             ;   in Loop: Header=BB313_1067 Depth=1
	s_or_b64 exec, exec, s[20:21]
	s_and_b64 s[2:3], s[2:3], exec
	s_or_saveexec_b64 s[12:13], s[12:13]
	v_mov_b32_e32 v57, s22
	s_xor_b64 exec, exec, s[12:13]
	s_cbranch_execz .LBB313_1383
.LBB313_1910:                           ;   in Loop: Header=BB313_1067 Depth=1
	v_cmp_ne_u16_sdwa s[20:21], v20, v21 src0_sel:BYTE_0 src1_sel:DWORD
	s_andn2_b64 s[2:3], s[2:3], exec
	s_and_b64 s[20:21], s[20:21], exec
	v_mov_b32_e32 v57, 0
	s_or_b64 s[2:3], s[2:3], s[20:21]
	s_or_b64 exec, exec, s[12:13]
	s_and_saveexec_b64 s[12:13], s[2:3]
	s_cbranch_execnz .LBB313_1384
	s_branch .LBB313_1385
.LBB313_1911:                           ;   in Loop: Header=BB313_1067 Depth=1
	v_cmp_eq_u16_e64 s[2:3], s15, v20
	s_mov_b64 s[12:13], -1
                                        ; implicit-def: $sgpr28
	s_and_saveexec_b64 s[22:23], s[2:3]
; %bb.1912:                             ;   in Loop: Header=BB313_1067 Depth=1
	s_mov_b32 s28, 0x7fc02000
	s_xor_b64 s[12:13], exec, -1
; %bb.1913:                             ;   in Loop: Header=BB313_1067 Depth=1
	s_or_b64 exec, exec, s[22:23]
	s_and_b64 s[12:13], s[12:13], exec
	s_or_saveexec_b64 s[20:21], s[20:21]
	v_mov_b32_e32 v59, s28
	s_xor_b64 exec, exec, s[20:21]
	s_cbranch_execz .LBB313_1387
.LBB313_1914:                           ;   in Loop: Header=BB313_1067 Depth=1
	v_cmp_ne_u16_e64 s[2:3], 0, v20
	s_andn2_b64 s[12:13], s[12:13], exec
	s_and_b64 s[2:3], s[2:3], exec
	v_mov_b32_e32 v59, 0
	s_or_b64 s[12:13], s[12:13], s[2:3]
	s_or_b64 exec, exec, s[20:21]
	s_and_saveexec_b64 s[20:21], s[12:13]
	s_cbranch_execnz .LBB313_1388
	s_branch .LBB313_1389
.LBB313_1915:                           ;   in Loop: Header=BB313_1067 Depth=1
	v_cmp_eq_u16_sdwa s[28:29], v47, s15 src0_sel:BYTE_0 src1_sel:DWORD
	s_mov_b64 s[2:3], -1
                                        ; implicit-def: $sgpr22
	s_and_saveexec_b64 s[20:21], s[28:29]
; %bb.1916:                             ;   in Loop: Header=BB313_1067 Depth=1
	s_mov_b32 s22, 0x7fc02000
	s_xor_b64 s[2:3], exec, -1
; %bb.1917:                             ;   in Loop: Header=BB313_1067 Depth=1
	s_or_b64 exec, exec, s[20:21]
	s_and_b64 s[2:3], s[2:3], exec
	s_or_saveexec_b64 s[12:13], s[12:13]
	v_mov_b32_e32 v16, s22
	s_xor_b64 exec, exec, s[12:13]
	s_cbranch_execz .LBB313_1391
.LBB313_1918:                           ;   in Loop: Header=BB313_1067 Depth=1
	v_cmp_ne_u16_sdwa s[20:21], v47, v21 src0_sel:BYTE_0 src1_sel:DWORD
	s_andn2_b64 s[2:3], s[2:3], exec
	s_and_b64 s[20:21], s[20:21], exec
	v_mov_b32_e32 v16, 0
	s_or_b64 s[2:3], s[2:3], s[20:21]
	s_or_b64 exec, exec, s[12:13]
	v_mov_b32_e32 v20, v47
	s_and_saveexec_b64 s[12:13], s[2:3]
	s_cbranch_execnz .LBB313_1392
	s_branch .LBB313_1393
.LBB313_1919:                           ;   in Loop: Header=BB313_1067 Depth=1
	v_cmp_eq_u16_e64 s[2:3], s15, v20
	s_mov_b64 s[12:13], -1
                                        ; implicit-def: $sgpr28
	s_and_saveexec_b64 s[22:23], s[2:3]
; %bb.1920:                             ;   in Loop: Header=BB313_1067 Depth=1
	s_mov_b32 s28, 0x7fc02000
	s_xor_b64 s[12:13], exec, -1
; %bb.1921:                             ;   in Loop: Header=BB313_1067 Depth=1
	s_or_b64 exec, exec, s[22:23]
	s_and_b64 s[12:13], s[12:13], exec
	s_or_saveexec_b64 s[20:21], s[20:21]
	v_mov_b32_e32 v22, s28
	s_xor_b64 exec, exec, s[20:21]
	s_cbranch_execz .LBB313_1395
.LBB313_1922:                           ;   in Loop: Header=BB313_1067 Depth=1
	v_cmp_ne_u16_e64 s[2:3], 0, v20
	s_andn2_b64 s[12:13], s[12:13], exec
	s_and_b64 s[2:3], s[2:3], exec
	v_mov_b32_e32 v22, 0
	s_or_b64 s[12:13], s[12:13], s[2:3]
	s_or_b64 exec, exec, s[20:21]
	s_and_saveexec_b64 s[20:21], s[12:13]
	s_cbranch_execnz .LBB313_1396
	s_branch .LBB313_1397
.LBB313_1923:                           ;   in Loop: Header=BB313_1067 Depth=1
	v_cmp_eq_u16_sdwa s[28:29], v20, s15 src0_sel:BYTE_0 src1_sel:DWORD
	s_mov_b64 s[2:3], -1
                                        ; implicit-def: $sgpr22
	s_and_saveexec_b64 s[20:21], s[28:29]
; %bb.1924:                             ;   in Loop: Header=BB313_1067 Depth=1
	s_mov_b32 s22, 0x7fc02000
	s_xor_b64 s[2:3], exec, -1
; %bb.1925:                             ;   in Loop: Header=BB313_1067 Depth=1
	s_or_b64 exec, exec, s[20:21]
	s_and_b64 s[2:3], s[2:3], exec
	s_or_saveexec_b64 s[12:13], s[12:13]
	v_mov_b32_e32 v26, s22
	s_xor_b64 exec, exec, s[12:13]
	s_cbranch_execz .LBB313_1399
.LBB313_1926:                           ;   in Loop: Header=BB313_1067 Depth=1
	v_cmp_ne_u16_sdwa s[20:21], v20, v21 src0_sel:BYTE_0 src1_sel:DWORD
	s_andn2_b64 s[2:3], s[2:3], exec
	s_and_b64 s[20:21], s[20:21], exec
	v_mov_b32_e32 v26, 0
	s_or_b64 s[2:3], s[2:3], s[20:21]
	s_or_b64 exec, exec, s[12:13]
	s_and_saveexec_b64 s[12:13], s[2:3]
	s_cbranch_execnz .LBB313_1400
	s_branch .LBB313_1401
.LBB313_1927:                           ;   in Loop: Header=BB313_1067 Depth=1
	v_cmp_eq_u16_e64 s[2:3], s15, v20
	s_mov_b64 s[12:13], -1
                                        ; implicit-def: $sgpr28
	s_and_saveexec_b64 s[22:23], s[2:3]
; %bb.1928:                             ;   in Loop: Header=BB313_1067 Depth=1
	s_mov_b32 s28, 0x7fc02000
	s_xor_b64 s[12:13], exec, -1
; %bb.1929:                             ;   in Loop: Header=BB313_1067 Depth=1
	s_or_b64 exec, exec, s[22:23]
	s_and_b64 s[12:13], s[12:13], exec
	s_or_saveexec_b64 s[20:21], s[20:21]
	v_mov_b32_e32 v28, s28
	s_xor_b64 exec, exec, s[20:21]
	s_cbranch_execz .LBB313_1403
.LBB313_1930:                           ;   in Loop: Header=BB313_1067 Depth=1
	v_cmp_ne_u16_e64 s[2:3], 0, v20
	s_andn2_b64 s[12:13], s[12:13], exec
	s_and_b64 s[2:3], s[2:3], exec
	v_mov_b32_e32 v28, 0
	s_or_b64 s[12:13], s[12:13], s[2:3]
	s_or_b64 exec, exec, s[20:21]
	s_and_saveexec_b64 s[20:21], s[12:13]
	s_cbranch_execnz .LBB313_1404
	s_branch .LBB313_1405
.LBB313_1931:                           ;   in Loop: Header=BB313_1067 Depth=1
	v_cmp_eq_u16_sdwa s[28:29], v46, s15 src0_sel:BYTE_0 src1_sel:DWORD
	s_mov_b64 s[2:3], -1
                                        ; implicit-def: $sgpr22
	s_and_saveexec_b64 s[20:21], s[28:29]
; %bb.1932:                             ;   in Loop: Header=BB313_1067 Depth=1
	s_mov_b32 s22, 0x7fc02000
	s_xor_b64 s[2:3], exec, -1
; %bb.1933:                             ;   in Loop: Header=BB313_1067 Depth=1
	s_or_b64 exec, exec, s[20:21]
	s_and_b64 s[2:3], s[2:3], exec
	s_or_saveexec_b64 s[12:13], s[12:13]
	v_mov_b32_e32 v56, s22
	s_xor_b64 exec, exec, s[12:13]
	s_cbranch_execz .LBB313_1409
.LBB313_1934:                           ;   in Loop: Header=BB313_1067 Depth=1
	v_cmp_ne_u16_sdwa s[20:21], v46, v21 src0_sel:BYTE_0 src1_sel:DWORD
	s_andn2_b64 s[2:3], s[2:3], exec
	s_and_b64 s[20:21], s[20:21], exec
	v_mov_b32_e32 v56, 0
	s_or_b64 s[2:3], s[2:3], s[20:21]
	s_or_b64 exec, exec, s[12:13]
	s_and_saveexec_b64 s[12:13], s[2:3]
	s_cbranch_execnz .LBB313_1410
	s_branch .LBB313_1411
.LBB313_1935:                           ;   in Loop: Header=BB313_1067 Depth=1
	v_cmp_eq_u16_e64 s[2:3], s15, v20
	s_mov_b64 s[12:13], -1
                                        ; implicit-def: $sgpr28
	s_and_saveexec_b64 s[22:23], s[2:3]
; %bb.1936:                             ;   in Loop: Header=BB313_1067 Depth=1
	s_mov_b32 s28, 0x7fc02000
	s_xor_b64 s[12:13], exec, -1
; %bb.1937:                             ;   in Loop: Header=BB313_1067 Depth=1
	s_or_b64 exec, exec, s[22:23]
	s_and_b64 s[12:13], s[12:13], exec
	s_or_saveexec_b64 s[20:21], s[20:21]
	v_mov_b32_e32 v58, s28
	s_xor_b64 exec, exec, s[20:21]
	s_cbranch_execz .LBB313_1413
.LBB313_1938:                           ;   in Loop: Header=BB313_1067 Depth=1
	v_cmp_ne_u16_e64 s[2:3], 0, v20
	s_andn2_b64 s[12:13], s[12:13], exec
	s_and_b64 s[2:3], s[2:3], exec
	v_mov_b32_e32 v58, 0
	s_or_b64 s[12:13], s[12:13], s[2:3]
	s_or_b64 exec, exec, s[20:21]
	s_and_saveexec_b64 s[20:21], s[12:13]
	s_cbranch_execnz .LBB313_1414
	s_branch .LBB313_1415
.LBB313_1939:                           ;   in Loop: Header=BB313_1067 Depth=1
	v_cmp_eq_u16_sdwa s[28:29], v20, s15 src0_sel:BYTE_0 src1_sel:DWORD
	s_mov_b64 s[2:3], -1
                                        ; implicit-def: $sgpr22
	s_and_saveexec_b64 s[20:21], s[28:29]
; %bb.1940:                             ;   in Loop: Header=BB313_1067 Depth=1
	s_mov_b32 s22, 0x7fc02000
	s_xor_b64 s[2:3], exec, -1
; %bb.1941:                             ;   in Loop: Header=BB313_1067 Depth=1
	s_or_b64 exec, exec, s[20:21]
	s_and_b64 s[2:3], s[2:3], exec
	s_or_saveexec_b64 s[12:13], s[12:13]
	v_mov_b32_e32 v57, s22
	s_xor_b64 exec, exec, s[12:13]
	s_cbranch_execz .LBB313_1417
.LBB313_1942:                           ;   in Loop: Header=BB313_1067 Depth=1
	v_cmp_ne_u16_sdwa s[20:21], v20, v21 src0_sel:BYTE_0 src1_sel:DWORD
	s_andn2_b64 s[2:3], s[2:3], exec
	s_and_b64 s[20:21], s[20:21], exec
	v_mov_b32_e32 v57, 0
	s_or_b64 s[2:3], s[2:3], s[20:21]
	s_or_b64 exec, exec, s[12:13]
	s_and_saveexec_b64 s[12:13], s[2:3]
	s_cbranch_execnz .LBB313_1418
	s_branch .LBB313_1419
.LBB313_1943:                           ;   in Loop: Header=BB313_1067 Depth=1
	v_cmp_eq_u16_e64 s[2:3], s15, v20
	s_mov_b64 s[12:13], -1
                                        ; implicit-def: $sgpr28
	s_and_saveexec_b64 s[22:23], s[2:3]
; %bb.1944:                             ;   in Loop: Header=BB313_1067 Depth=1
	s_mov_b32 s28, 0x7fc02000
	s_xor_b64 s[12:13], exec, -1
; %bb.1945:                             ;   in Loop: Header=BB313_1067 Depth=1
	s_or_b64 exec, exec, s[22:23]
	s_and_b64 s[12:13], s[12:13], exec
	s_or_saveexec_b64 s[20:21], s[20:21]
	v_mov_b32_e32 v59, s28
	s_xor_b64 exec, exec, s[20:21]
	s_cbranch_execz .LBB313_1421
.LBB313_1946:                           ;   in Loop: Header=BB313_1067 Depth=1
	v_cmp_ne_u16_e64 s[2:3], 0, v20
	s_andn2_b64 s[12:13], s[12:13], exec
	s_and_b64 s[2:3], s[2:3], exec
	v_mov_b32_e32 v59, 0
	s_or_b64 s[12:13], s[12:13], s[2:3]
	s_or_b64 exec, exec, s[20:21]
	s_and_saveexec_b64 s[20:21], s[12:13]
	s_cbranch_execnz .LBB313_1422
	s_branch .LBB313_1423
.LBB313_1947:                           ;   in Loop: Header=BB313_1067 Depth=1
	v_cmp_eq_u16_sdwa s[28:29], v47, s15 src0_sel:BYTE_0 src1_sel:DWORD
	s_mov_b64 s[2:3], -1
                                        ; implicit-def: $sgpr22
	s_and_saveexec_b64 s[20:21], s[28:29]
; %bb.1948:                             ;   in Loop: Header=BB313_1067 Depth=1
	s_mov_b32 s22, 0x7fc02000
	s_xor_b64 s[2:3], exec, -1
; %bb.1949:                             ;   in Loop: Header=BB313_1067 Depth=1
	s_or_b64 exec, exec, s[20:21]
	s_and_b64 s[2:3], s[2:3], exec
	s_or_saveexec_b64 s[12:13], s[12:13]
	v_mov_b32_e32 v16, s22
	s_xor_b64 exec, exec, s[12:13]
	s_cbranch_execz .LBB313_1425
.LBB313_1950:                           ;   in Loop: Header=BB313_1067 Depth=1
	v_cmp_ne_u16_sdwa s[20:21], v47, v21 src0_sel:BYTE_0 src1_sel:DWORD
	s_andn2_b64 s[2:3], s[2:3], exec
	s_and_b64 s[20:21], s[20:21], exec
	v_mov_b32_e32 v16, 0
	s_or_b64 s[2:3], s[2:3], s[20:21]
	s_or_b64 exec, exec, s[12:13]
	v_mov_b32_e32 v20, v47
	s_and_saveexec_b64 s[12:13], s[2:3]
	s_cbranch_execnz .LBB313_1426
	s_branch .LBB313_1427
.LBB313_1951:                           ;   in Loop: Header=BB313_1067 Depth=1
	v_cmp_eq_u16_e64 s[2:3], s15, v20
	s_mov_b64 s[12:13], -1
                                        ; implicit-def: $sgpr28
	s_and_saveexec_b64 s[22:23], s[2:3]
; %bb.1952:                             ;   in Loop: Header=BB313_1067 Depth=1
	s_mov_b32 s28, 0x7fc02000
	s_xor_b64 s[12:13], exec, -1
; %bb.1953:                             ;   in Loop: Header=BB313_1067 Depth=1
	s_or_b64 exec, exec, s[22:23]
	s_and_b64 s[12:13], s[12:13], exec
	s_or_saveexec_b64 s[20:21], s[20:21]
	v_mov_b32_e32 v22, s28
	s_xor_b64 exec, exec, s[20:21]
	s_cbranch_execz .LBB313_1429
.LBB313_1954:                           ;   in Loop: Header=BB313_1067 Depth=1
	v_cmp_ne_u16_e64 s[2:3], 0, v20
	s_andn2_b64 s[12:13], s[12:13], exec
	s_and_b64 s[2:3], s[2:3], exec
	v_mov_b32_e32 v22, 0
	s_or_b64 s[12:13], s[12:13], s[2:3]
	s_or_b64 exec, exec, s[20:21]
	s_and_saveexec_b64 s[20:21], s[12:13]
	s_cbranch_execnz .LBB313_1430
	s_branch .LBB313_1431
.LBB313_1955:                           ;   in Loop: Header=BB313_1067 Depth=1
	v_cmp_eq_u16_sdwa s[28:29], v20, s15 src0_sel:BYTE_0 src1_sel:DWORD
	s_mov_b64 s[2:3], -1
                                        ; implicit-def: $sgpr22
	s_and_saveexec_b64 s[20:21], s[28:29]
; %bb.1956:                             ;   in Loop: Header=BB313_1067 Depth=1
	s_mov_b32 s22, 0x7fc02000
	s_xor_b64 s[2:3], exec, -1
; %bb.1957:                             ;   in Loop: Header=BB313_1067 Depth=1
	s_or_b64 exec, exec, s[20:21]
	s_and_b64 s[2:3], s[2:3], exec
	s_or_saveexec_b64 s[12:13], s[12:13]
	v_mov_b32_e32 v26, s22
	s_xor_b64 exec, exec, s[12:13]
	s_cbranch_execz .LBB313_1433
.LBB313_1958:                           ;   in Loop: Header=BB313_1067 Depth=1
	v_cmp_ne_u16_sdwa s[20:21], v20, v21 src0_sel:BYTE_0 src1_sel:DWORD
	s_andn2_b64 s[2:3], s[2:3], exec
	s_and_b64 s[20:21], s[20:21], exec
	v_mov_b32_e32 v26, 0
	s_or_b64 s[2:3], s[2:3], s[20:21]
	s_or_b64 exec, exec, s[12:13]
	s_and_saveexec_b64 s[12:13], s[2:3]
	s_cbranch_execnz .LBB313_1434
	s_branch .LBB313_1435
.LBB313_1959:                           ;   in Loop: Header=BB313_1067 Depth=1
	v_cmp_eq_u16_e64 s[2:3], s15, v20
	s_mov_b64 s[12:13], -1
                                        ; implicit-def: $sgpr28
	s_and_saveexec_b64 s[22:23], s[2:3]
; %bb.1960:                             ;   in Loop: Header=BB313_1067 Depth=1
	s_mov_b32 s28, 0x7fc02000
	s_xor_b64 s[12:13], exec, -1
; %bb.1961:                             ;   in Loop: Header=BB313_1067 Depth=1
	s_or_b64 exec, exec, s[22:23]
	s_and_b64 s[12:13], s[12:13], exec
	s_or_saveexec_b64 s[20:21], s[20:21]
	v_mov_b32_e32 v28, s28
	s_xor_b64 exec, exec, s[20:21]
	s_cbranch_execz .LBB313_1437
.LBB313_1962:                           ;   in Loop: Header=BB313_1067 Depth=1
	v_cmp_ne_u16_e64 s[2:3], 0, v20
	s_andn2_b64 s[12:13], s[12:13], exec
	s_and_b64 s[2:3], s[2:3], exec
	v_mov_b32_e32 v28, 0
	s_or_b64 s[12:13], s[12:13], s[2:3]
	s_or_b64 exec, exec, s[20:21]
	s_and_saveexec_b64 s[20:21], s[12:13]
	s_cbranch_execnz .LBB313_1438
	s_branch .LBB313_1439
.LBB313_1963:                           ;   in Loop: Header=BB313_1067 Depth=1
	v_cmp_eq_u16_sdwa s[28:29], v46, s15 src0_sel:BYTE_0 src1_sel:DWORD
	s_mov_b64 s[2:3], -1
                                        ; implicit-def: $sgpr22
	s_and_saveexec_b64 s[20:21], s[28:29]
; %bb.1964:                             ;   in Loop: Header=BB313_1067 Depth=1
	s_mov_b32 s22, 0x7fc02000
	s_xor_b64 s[2:3], exec, -1
; %bb.1965:                             ;   in Loop: Header=BB313_1067 Depth=1
	s_or_b64 exec, exec, s[20:21]
	s_and_b64 s[2:3], s[2:3], exec
	s_or_saveexec_b64 s[12:13], s[12:13]
	v_mov_b32_e32 v56, s22
	s_xor_b64 exec, exec, s[12:13]
	s_cbranch_execz .LBB313_1443
.LBB313_1966:                           ;   in Loop: Header=BB313_1067 Depth=1
	v_cmp_ne_u16_sdwa s[20:21], v46, v21 src0_sel:BYTE_0 src1_sel:DWORD
	s_andn2_b64 s[2:3], s[2:3], exec
	s_and_b64 s[20:21], s[20:21], exec
	v_mov_b32_e32 v56, 0
	s_or_b64 s[2:3], s[2:3], s[20:21]
	s_or_b64 exec, exec, s[12:13]
	s_and_saveexec_b64 s[12:13], s[2:3]
	s_cbranch_execnz .LBB313_1444
	s_branch .LBB313_1445
.LBB313_1967:                           ;   in Loop: Header=BB313_1067 Depth=1
	v_cmp_eq_u16_e64 s[2:3], s15, v20
	s_mov_b64 s[12:13], -1
                                        ; implicit-def: $sgpr28
	s_and_saveexec_b64 s[22:23], s[2:3]
; %bb.1968:                             ;   in Loop: Header=BB313_1067 Depth=1
	s_mov_b32 s28, 0x7fc02000
	s_xor_b64 s[12:13], exec, -1
; %bb.1969:                             ;   in Loop: Header=BB313_1067 Depth=1
	s_or_b64 exec, exec, s[22:23]
	s_and_b64 s[12:13], s[12:13], exec
	s_or_saveexec_b64 s[20:21], s[20:21]
	v_mov_b32_e32 v58, s28
	s_xor_b64 exec, exec, s[20:21]
	s_cbranch_execz .LBB313_1447
.LBB313_1970:                           ;   in Loop: Header=BB313_1067 Depth=1
	v_cmp_ne_u16_e64 s[2:3], 0, v20
	s_andn2_b64 s[12:13], s[12:13], exec
	s_and_b64 s[2:3], s[2:3], exec
	v_mov_b32_e32 v58, 0
	s_or_b64 s[12:13], s[12:13], s[2:3]
	s_or_b64 exec, exec, s[20:21]
	s_and_saveexec_b64 s[20:21], s[12:13]
	s_cbranch_execnz .LBB313_1448
	s_branch .LBB313_1449
.LBB313_1971:                           ;   in Loop: Header=BB313_1067 Depth=1
	v_cmp_eq_u16_sdwa s[28:29], v20, s15 src0_sel:BYTE_0 src1_sel:DWORD
	s_mov_b64 s[2:3], -1
                                        ; implicit-def: $sgpr22
	s_and_saveexec_b64 s[20:21], s[28:29]
; %bb.1972:                             ;   in Loop: Header=BB313_1067 Depth=1
	s_mov_b32 s22, 0x7fc02000
	s_xor_b64 s[2:3], exec, -1
; %bb.1973:                             ;   in Loop: Header=BB313_1067 Depth=1
	s_or_b64 exec, exec, s[20:21]
	s_and_b64 s[2:3], s[2:3], exec
	s_or_saveexec_b64 s[12:13], s[12:13]
	v_mov_b32_e32 v57, s22
	s_xor_b64 exec, exec, s[12:13]
	s_cbranch_execz .LBB313_1451
.LBB313_1974:                           ;   in Loop: Header=BB313_1067 Depth=1
	v_cmp_ne_u16_sdwa s[20:21], v20, v21 src0_sel:BYTE_0 src1_sel:DWORD
	s_andn2_b64 s[2:3], s[2:3], exec
	s_and_b64 s[20:21], s[20:21], exec
	v_mov_b32_e32 v57, 0
	s_or_b64 s[2:3], s[2:3], s[20:21]
	s_or_b64 exec, exec, s[12:13]
	s_and_saveexec_b64 s[12:13], s[2:3]
	s_cbranch_execnz .LBB313_1452
	s_branch .LBB313_1453
.LBB313_1975:                           ;   in Loop: Header=BB313_1067 Depth=1
	v_cmp_eq_u16_e64 s[2:3], s15, v20
	s_mov_b64 s[12:13], -1
                                        ; implicit-def: $sgpr28
	s_and_saveexec_b64 s[22:23], s[2:3]
; %bb.1976:                             ;   in Loop: Header=BB313_1067 Depth=1
	s_mov_b32 s28, 0x7fc02000
	s_xor_b64 s[12:13], exec, -1
; %bb.1977:                             ;   in Loop: Header=BB313_1067 Depth=1
	s_or_b64 exec, exec, s[22:23]
	s_and_b64 s[12:13], s[12:13], exec
	s_or_saveexec_b64 s[20:21], s[20:21]
	v_mov_b32_e32 v59, s28
	s_xor_b64 exec, exec, s[20:21]
	s_cbranch_execz .LBB313_1455
.LBB313_1978:                           ;   in Loop: Header=BB313_1067 Depth=1
	v_cmp_ne_u16_e64 s[2:3], 0, v20
	s_andn2_b64 s[12:13], s[12:13], exec
	s_and_b64 s[2:3], s[2:3], exec
	v_mov_b32_e32 v59, 0
	s_or_b64 s[12:13], s[12:13], s[2:3]
	s_or_b64 exec, exec, s[20:21]
	s_and_saveexec_b64 s[20:21], s[12:13]
	s_cbranch_execnz .LBB313_1456
	s_branch .LBB313_1457
.LBB313_1979:                           ;   in Loop: Header=BB313_1067 Depth=1
	v_cmp_eq_u16_sdwa s[28:29], v47, s15 src0_sel:BYTE_0 src1_sel:DWORD
	s_mov_b64 s[2:3], -1
                                        ; implicit-def: $sgpr22
	s_and_saveexec_b64 s[20:21], s[28:29]
; %bb.1980:                             ;   in Loop: Header=BB313_1067 Depth=1
	s_mov_b32 s22, 0x7fc02000
	s_xor_b64 s[2:3], exec, -1
; %bb.1981:                             ;   in Loop: Header=BB313_1067 Depth=1
	s_or_b64 exec, exec, s[20:21]
	s_and_b64 s[2:3], s[2:3], exec
	s_or_saveexec_b64 s[12:13], s[12:13]
	v_mov_b32_e32 v16, s22
	s_xor_b64 exec, exec, s[12:13]
	s_cbranch_execz .LBB313_1459
.LBB313_1982:                           ;   in Loop: Header=BB313_1067 Depth=1
	v_cmp_ne_u16_sdwa s[20:21], v47, v21 src0_sel:BYTE_0 src1_sel:DWORD
	s_andn2_b64 s[2:3], s[2:3], exec
	s_and_b64 s[20:21], s[20:21], exec
	v_mov_b32_e32 v16, 0
	s_or_b64 s[2:3], s[2:3], s[20:21]
	s_or_b64 exec, exec, s[12:13]
	v_mov_b32_e32 v20, v47
	s_and_saveexec_b64 s[12:13], s[2:3]
	s_cbranch_execnz .LBB313_1460
	s_branch .LBB313_1461
.LBB313_1983:                           ;   in Loop: Header=BB313_1067 Depth=1
	v_cmp_eq_u16_e64 s[2:3], s15, v20
	s_mov_b64 s[12:13], -1
                                        ; implicit-def: $sgpr28
	s_and_saveexec_b64 s[22:23], s[2:3]
; %bb.1984:                             ;   in Loop: Header=BB313_1067 Depth=1
	s_mov_b32 s28, 0x7fc02000
	s_xor_b64 s[12:13], exec, -1
; %bb.1985:                             ;   in Loop: Header=BB313_1067 Depth=1
	s_or_b64 exec, exec, s[22:23]
	s_and_b64 s[12:13], s[12:13], exec
	s_or_saveexec_b64 s[20:21], s[20:21]
	v_mov_b32_e32 v22, s28
	s_xor_b64 exec, exec, s[20:21]
	s_cbranch_execz .LBB313_1463
.LBB313_1986:                           ;   in Loop: Header=BB313_1067 Depth=1
	v_cmp_ne_u16_e64 s[2:3], 0, v20
	s_andn2_b64 s[12:13], s[12:13], exec
	s_and_b64 s[2:3], s[2:3], exec
	v_mov_b32_e32 v22, 0
	s_or_b64 s[12:13], s[12:13], s[2:3]
	s_or_b64 exec, exec, s[20:21]
	s_and_saveexec_b64 s[20:21], s[12:13]
	s_cbranch_execnz .LBB313_1464
	s_branch .LBB313_1465
.LBB313_1987:                           ;   in Loop: Header=BB313_1067 Depth=1
	v_cmp_eq_u16_sdwa s[28:29], v20, s15 src0_sel:BYTE_0 src1_sel:DWORD
	s_mov_b64 s[2:3], -1
                                        ; implicit-def: $sgpr22
	s_and_saveexec_b64 s[20:21], s[28:29]
; %bb.1988:                             ;   in Loop: Header=BB313_1067 Depth=1
	s_mov_b32 s22, 0x7fc02000
	s_xor_b64 s[2:3], exec, -1
; %bb.1989:                             ;   in Loop: Header=BB313_1067 Depth=1
	s_or_b64 exec, exec, s[20:21]
	s_and_b64 s[2:3], s[2:3], exec
	s_or_saveexec_b64 s[12:13], s[12:13]
	v_mov_b32_e32 v26, s22
	s_xor_b64 exec, exec, s[12:13]
	s_cbranch_execz .LBB313_1467
.LBB313_1990:                           ;   in Loop: Header=BB313_1067 Depth=1
	v_cmp_ne_u16_sdwa s[20:21], v20, v21 src0_sel:BYTE_0 src1_sel:DWORD
	s_andn2_b64 s[2:3], s[2:3], exec
	s_and_b64 s[20:21], s[20:21], exec
	v_mov_b32_e32 v26, 0
	s_or_b64 s[2:3], s[2:3], s[20:21]
	s_or_b64 exec, exec, s[12:13]
	s_and_saveexec_b64 s[12:13], s[2:3]
	s_cbranch_execnz .LBB313_1468
	s_branch .LBB313_1469
.LBB313_1991:                           ;   in Loop: Header=BB313_1067 Depth=1
	v_cmp_eq_u16_e64 s[2:3], s15, v20
	s_mov_b64 s[12:13], -1
                                        ; implicit-def: $sgpr28
	s_and_saveexec_b64 s[22:23], s[2:3]
; %bb.1992:                             ;   in Loop: Header=BB313_1067 Depth=1
	s_mov_b32 s28, 0x7fc02000
	s_xor_b64 s[12:13], exec, -1
; %bb.1993:                             ;   in Loop: Header=BB313_1067 Depth=1
	s_or_b64 exec, exec, s[22:23]
	s_and_b64 s[12:13], s[12:13], exec
	s_or_saveexec_b64 s[20:21], s[20:21]
	v_mov_b32_e32 v28, s28
	s_xor_b64 exec, exec, s[20:21]
	s_cbranch_execz .LBB313_1471
.LBB313_1994:                           ;   in Loop: Header=BB313_1067 Depth=1
	v_cmp_ne_u16_e64 s[2:3], 0, v20
	s_andn2_b64 s[12:13], s[12:13], exec
	s_and_b64 s[2:3], s[2:3], exec
	v_mov_b32_e32 v28, 0
	s_or_b64 s[12:13], s[12:13], s[2:3]
	s_or_b64 exec, exec, s[20:21]
	s_and_saveexec_b64 s[20:21], s[12:13]
	s_cbranch_execnz .LBB313_1472
	s_branch .LBB313_1473
.LBB313_1995:                           ;   in Loop: Header=BB313_1067 Depth=1
	v_cmp_eq_u16_sdwa s[28:29], v46, s15 src0_sel:BYTE_0 src1_sel:DWORD
	s_mov_b64 s[2:3], -1
                                        ; implicit-def: $sgpr22
	s_and_saveexec_b64 s[20:21], s[28:29]
; %bb.1996:                             ;   in Loop: Header=BB313_1067 Depth=1
	s_mov_b32 s22, 0x7fc02000
	s_xor_b64 s[2:3], exec, -1
; %bb.1997:                             ;   in Loop: Header=BB313_1067 Depth=1
	s_or_b64 exec, exec, s[20:21]
	s_and_b64 s[2:3], s[2:3], exec
	s_or_saveexec_b64 s[12:13], s[12:13]
	v_mov_b32_e32 v56, s22
	s_xor_b64 exec, exec, s[12:13]
	s_cbranch_execz .LBB313_1477
.LBB313_1998:                           ;   in Loop: Header=BB313_1067 Depth=1
	v_cmp_ne_u16_sdwa s[20:21], v46, v21 src0_sel:BYTE_0 src1_sel:DWORD
	s_andn2_b64 s[2:3], s[2:3], exec
	s_and_b64 s[20:21], s[20:21], exec
	v_mov_b32_e32 v56, 0
	s_or_b64 s[2:3], s[2:3], s[20:21]
	s_or_b64 exec, exec, s[12:13]
	s_and_saveexec_b64 s[12:13], s[2:3]
	s_cbranch_execnz .LBB313_1478
	s_branch .LBB313_1479
.LBB313_1999:                           ;   in Loop: Header=BB313_1067 Depth=1
	v_cmp_eq_u16_e64 s[2:3], s15, v20
	s_mov_b64 s[12:13], -1
                                        ; implicit-def: $sgpr28
	s_and_saveexec_b64 s[22:23], s[2:3]
; %bb.2000:                             ;   in Loop: Header=BB313_1067 Depth=1
	s_mov_b32 s28, 0x7fc02000
	s_xor_b64 s[12:13], exec, -1
; %bb.2001:                             ;   in Loop: Header=BB313_1067 Depth=1
	s_or_b64 exec, exec, s[22:23]
	s_and_b64 s[12:13], s[12:13], exec
	s_or_saveexec_b64 s[20:21], s[20:21]
	v_mov_b32_e32 v58, s28
	s_xor_b64 exec, exec, s[20:21]
	s_cbranch_execz .LBB313_1481
.LBB313_2002:                           ;   in Loop: Header=BB313_1067 Depth=1
	v_cmp_ne_u16_e64 s[2:3], 0, v20
	s_andn2_b64 s[12:13], s[12:13], exec
	s_and_b64 s[2:3], s[2:3], exec
	v_mov_b32_e32 v58, 0
	s_or_b64 s[12:13], s[12:13], s[2:3]
	s_or_b64 exec, exec, s[20:21]
	s_and_saveexec_b64 s[20:21], s[12:13]
	s_cbranch_execnz .LBB313_1482
	s_branch .LBB313_1483
.LBB313_2003:                           ;   in Loop: Header=BB313_1067 Depth=1
	v_cmp_eq_u16_sdwa s[28:29], v20, s15 src0_sel:BYTE_0 src1_sel:DWORD
	s_mov_b64 s[2:3], -1
                                        ; implicit-def: $sgpr22
	s_and_saveexec_b64 s[20:21], s[28:29]
; %bb.2004:                             ;   in Loop: Header=BB313_1067 Depth=1
	s_mov_b32 s22, 0x7fc02000
	s_xor_b64 s[2:3], exec, -1
; %bb.2005:                             ;   in Loop: Header=BB313_1067 Depth=1
	s_or_b64 exec, exec, s[20:21]
	s_and_b64 s[2:3], s[2:3], exec
	s_or_saveexec_b64 s[12:13], s[12:13]
	v_mov_b32_e32 v57, s22
	s_xor_b64 exec, exec, s[12:13]
	s_cbranch_execz .LBB313_1485
.LBB313_2006:                           ;   in Loop: Header=BB313_1067 Depth=1
	v_cmp_ne_u16_sdwa s[20:21], v20, v21 src0_sel:BYTE_0 src1_sel:DWORD
	s_andn2_b64 s[2:3], s[2:3], exec
	s_and_b64 s[20:21], s[20:21], exec
	v_mov_b32_e32 v57, 0
	s_or_b64 s[2:3], s[2:3], s[20:21]
	s_or_b64 exec, exec, s[12:13]
	s_and_saveexec_b64 s[12:13], s[2:3]
	s_cbranch_execnz .LBB313_1486
	s_branch .LBB313_1487
.LBB313_2007:                           ;   in Loop: Header=BB313_1067 Depth=1
	v_cmp_eq_u16_e64 s[2:3], s15, v20
	s_mov_b64 s[12:13], -1
                                        ; implicit-def: $sgpr28
	s_and_saveexec_b64 s[22:23], s[2:3]
; %bb.2008:                             ;   in Loop: Header=BB313_1067 Depth=1
	s_mov_b32 s28, 0x7fc02000
	s_xor_b64 s[12:13], exec, -1
; %bb.2009:                             ;   in Loop: Header=BB313_1067 Depth=1
	s_or_b64 exec, exec, s[22:23]
	s_and_b64 s[12:13], s[12:13], exec
	s_or_saveexec_b64 s[20:21], s[20:21]
	v_mov_b32_e32 v59, s28
	s_xor_b64 exec, exec, s[20:21]
	s_cbranch_execz .LBB313_1489
.LBB313_2010:                           ;   in Loop: Header=BB313_1067 Depth=1
	v_cmp_ne_u16_e64 s[2:3], 0, v20
	s_andn2_b64 s[12:13], s[12:13], exec
	s_and_b64 s[2:3], s[2:3], exec
	v_mov_b32_e32 v59, 0
	s_or_b64 s[12:13], s[12:13], s[2:3]
	s_or_b64 exec, exec, s[20:21]
	s_and_saveexec_b64 s[20:21], s[12:13]
	s_cbranch_execnz .LBB313_1490
	s_branch .LBB313_1491
.LBB313_2011:                           ;   in Loop: Header=BB313_1067 Depth=1
	v_cmp_eq_u16_sdwa s[28:29], v47, s15 src0_sel:BYTE_0 src1_sel:DWORD
	s_mov_b64 s[2:3], -1
                                        ; implicit-def: $sgpr22
	s_and_saveexec_b64 s[20:21], s[28:29]
; %bb.2012:                             ;   in Loop: Header=BB313_1067 Depth=1
	s_mov_b32 s22, 0x7fc02000
	s_xor_b64 s[2:3], exec, -1
; %bb.2013:                             ;   in Loop: Header=BB313_1067 Depth=1
	s_or_b64 exec, exec, s[20:21]
	s_and_b64 s[2:3], s[2:3], exec
	s_or_saveexec_b64 s[12:13], s[12:13]
	v_mov_b32_e32 v16, s22
	s_xor_b64 exec, exec, s[12:13]
	s_cbranch_execz .LBB313_1493
.LBB313_2014:                           ;   in Loop: Header=BB313_1067 Depth=1
	v_cmp_ne_u16_sdwa s[20:21], v47, v21 src0_sel:BYTE_0 src1_sel:DWORD
	s_andn2_b64 s[2:3], s[2:3], exec
	s_and_b64 s[20:21], s[20:21], exec
	v_mov_b32_e32 v16, 0
	s_or_b64 s[2:3], s[2:3], s[20:21]
	s_or_b64 exec, exec, s[12:13]
	v_mov_b32_e32 v20, v47
	s_and_saveexec_b64 s[12:13], s[2:3]
	s_cbranch_execnz .LBB313_1494
	s_branch .LBB313_1495
.LBB313_2015:                           ;   in Loop: Header=BB313_1067 Depth=1
	v_cmp_eq_u16_e64 s[2:3], s15, v20
	s_mov_b64 s[12:13], -1
                                        ; implicit-def: $sgpr28
	s_and_saveexec_b64 s[22:23], s[2:3]
; %bb.2016:                             ;   in Loop: Header=BB313_1067 Depth=1
	s_mov_b32 s28, 0x7fc02000
	s_xor_b64 s[12:13], exec, -1
; %bb.2017:                             ;   in Loop: Header=BB313_1067 Depth=1
	s_or_b64 exec, exec, s[22:23]
	s_and_b64 s[12:13], s[12:13], exec
	s_or_saveexec_b64 s[20:21], s[20:21]
	v_mov_b32_e32 v22, s28
	s_xor_b64 exec, exec, s[20:21]
	s_cbranch_execz .LBB313_1497
.LBB313_2018:                           ;   in Loop: Header=BB313_1067 Depth=1
	v_cmp_ne_u16_e64 s[2:3], 0, v20
	s_andn2_b64 s[12:13], s[12:13], exec
	s_and_b64 s[2:3], s[2:3], exec
	v_mov_b32_e32 v22, 0
	s_or_b64 s[12:13], s[12:13], s[2:3]
	s_or_b64 exec, exec, s[20:21]
	s_and_saveexec_b64 s[20:21], s[12:13]
	s_cbranch_execnz .LBB313_1498
	s_branch .LBB313_1499
.LBB313_2019:                           ;   in Loop: Header=BB313_1067 Depth=1
	v_cmp_eq_u16_sdwa s[28:29], v20, s15 src0_sel:BYTE_0 src1_sel:DWORD
	s_mov_b64 s[2:3], -1
                                        ; implicit-def: $sgpr22
	s_and_saveexec_b64 s[20:21], s[28:29]
; %bb.2020:                             ;   in Loop: Header=BB313_1067 Depth=1
	s_mov_b32 s22, 0x7fc02000
	s_xor_b64 s[2:3], exec, -1
; %bb.2021:                             ;   in Loop: Header=BB313_1067 Depth=1
	s_or_b64 exec, exec, s[20:21]
	s_and_b64 s[2:3], s[2:3], exec
	s_or_saveexec_b64 s[12:13], s[12:13]
	v_mov_b32_e32 v26, s22
	s_xor_b64 exec, exec, s[12:13]
	s_cbranch_execz .LBB313_1501
.LBB313_2022:                           ;   in Loop: Header=BB313_1067 Depth=1
	v_cmp_ne_u16_sdwa s[20:21], v20, v21 src0_sel:BYTE_0 src1_sel:DWORD
	s_andn2_b64 s[2:3], s[2:3], exec
	s_and_b64 s[20:21], s[20:21], exec
	v_mov_b32_e32 v26, 0
	s_or_b64 s[2:3], s[2:3], s[20:21]
	s_or_b64 exec, exec, s[12:13]
	s_and_saveexec_b64 s[12:13], s[2:3]
	s_cbranch_execnz .LBB313_1502
	s_branch .LBB313_1503
.LBB313_2023:                           ;   in Loop: Header=BB313_1067 Depth=1
	v_cmp_eq_u16_e64 s[2:3], s15, v20
	s_mov_b64 s[12:13], -1
                                        ; implicit-def: $sgpr28
	s_and_saveexec_b64 s[22:23], s[2:3]
; %bb.2024:                             ;   in Loop: Header=BB313_1067 Depth=1
	s_mov_b32 s28, 0x7fc02000
	s_xor_b64 s[12:13], exec, -1
; %bb.2025:                             ;   in Loop: Header=BB313_1067 Depth=1
	s_or_b64 exec, exec, s[22:23]
	s_and_b64 s[12:13], s[12:13], exec
	s_or_saveexec_b64 s[20:21], s[20:21]
	v_mov_b32_e32 v28, s28
	s_xor_b64 exec, exec, s[20:21]
	s_cbranch_execz .LBB313_1505
.LBB313_2026:                           ;   in Loop: Header=BB313_1067 Depth=1
	v_cmp_ne_u16_e64 s[2:3], 0, v20
	s_andn2_b64 s[12:13], s[12:13], exec
	s_and_b64 s[2:3], s[2:3], exec
	v_mov_b32_e32 v28, 0
	s_or_b64 s[12:13], s[12:13], s[2:3]
	s_or_b64 exec, exec, s[20:21]
	s_and_saveexec_b64 s[20:21], s[12:13]
	s_cbranch_execnz .LBB313_1506
	s_branch .LBB313_1507
.LBB313_2027:                           ;   in Loop: Header=BB313_1067 Depth=1
	v_cmp_eq_u16_sdwa s[28:29], v46, s15 src0_sel:BYTE_0 src1_sel:DWORD
	s_mov_b64 s[2:3], -1
                                        ; implicit-def: $sgpr22
	s_and_saveexec_b64 s[20:21], s[28:29]
; %bb.2028:                             ;   in Loop: Header=BB313_1067 Depth=1
	s_mov_b32 s22, 0x7fc02000
	s_xor_b64 s[2:3], exec, -1
; %bb.2029:                             ;   in Loop: Header=BB313_1067 Depth=1
	s_or_b64 exec, exec, s[20:21]
	s_and_b64 s[2:3], s[2:3], exec
	s_or_saveexec_b64 s[12:13], s[12:13]
	v_mov_b32_e32 v56, s22
	s_xor_b64 exec, exec, s[12:13]
	s_cbranch_execz .LBB313_1511
.LBB313_2030:                           ;   in Loop: Header=BB313_1067 Depth=1
	v_cmp_ne_u16_sdwa s[20:21], v46, v21 src0_sel:BYTE_0 src1_sel:DWORD
	s_andn2_b64 s[2:3], s[2:3], exec
	s_and_b64 s[20:21], s[20:21], exec
	v_mov_b32_e32 v56, 0
	s_or_b64 s[2:3], s[2:3], s[20:21]
	s_or_b64 exec, exec, s[12:13]
	s_and_saveexec_b64 s[12:13], s[2:3]
	s_cbranch_execnz .LBB313_1512
	s_branch .LBB313_1513
.LBB313_2031:                           ;   in Loop: Header=BB313_1067 Depth=1
	v_cmp_eq_u16_e64 s[2:3], s15, v20
	s_mov_b64 s[12:13], -1
                                        ; implicit-def: $sgpr28
	s_and_saveexec_b64 s[22:23], s[2:3]
; %bb.2032:                             ;   in Loop: Header=BB313_1067 Depth=1
	s_mov_b32 s28, 0x7fc02000
	s_xor_b64 s[12:13], exec, -1
; %bb.2033:                             ;   in Loop: Header=BB313_1067 Depth=1
	s_or_b64 exec, exec, s[22:23]
	s_and_b64 s[12:13], s[12:13], exec
	s_or_saveexec_b64 s[20:21], s[20:21]
	v_mov_b32_e32 v58, s28
	s_xor_b64 exec, exec, s[20:21]
	s_cbranch_execz .LBB313_1515
.LBB313_2034:                           ;   in Loop: Header=BB313_1067 Depth=1
	v_cmp_ne_u16_e64 s[2:3], 0, v20
	s_andn2_b64 s[12:13], s[12:13], exec
	s_and_b64 s[2:3], s[2:3], exec
	v_mov_b32_e32 v58, 0
	s_or_b64 s[12:13], s[12:13], s[2:3]
	s_or_b64 exec, exec, s[20:21]
	s_and_saveexec_b64 s[20:21], s[12:13]
	s_cbranch_execnz .LBB313_1516
	s_branch .LBB313_1517
.LBB313_2035:                           ;   in Loop: Header=BB313_1067 Depth=1
	v_cmp_eq_u16_sdwa s[28:29], v20, s15 src0_sel:BYTE_0 src1_sel:DWORD
	s_mov_b64 s[2:3], -1
                                        ; implicit-def: $sgpr22
	s_and_saveexec_b64 s[20:21], s[28:29]
; %bb.2036:                             ;   in Loop: Header=BB313_1067 Depth=1
	s_mov_b32 s22, 0x7fc02000
	s_xor_b64 s[2:3], exec, -1
; %bb.2037:                             ;   in Loop: Header=BB313_1067 Depth=1
	s_or_b64 exec, exec, s[20:21]
	s_and_b64 s[2:3], s[2:3], exec
	s_or_saveexec_b64 s[12:13], s[12:13]
	v_mov_b32_e32 v57, s22
	s_xor_b64 exec, exec, s[12:13]
	s_cbranch_execz .LBB313_1519
.LBB313_2038:                           ;   in Loop: Header=BB313_1067 Depth=1
	v_cmp_ne_u16_sdwa s[20:21], v20, v21 src0_sel:BYTE_0 src1_sel:DWORD
	s_andn2_b64 s[2:3], s[2:3], exec
	s_and_b64 s[20:21], s[20:21], exec
	v_mov_b32_e32 v57, 0
	s_or_b64 s[2:3], s[2:3], s[20:21]
	s_or_b64 exec, exec, s[12:13]
	s_and_saveexec_b64 s[12:13], s[2:3]
	s_cbranch_execnz .LBB313_1520
	s_branch .LBB313_1521
.LBB313_2039:                           ;   in Loop: Header=BB313_1067 Depth=1
	v_cmp_eq_u16_e64 s[2:3], s15, v20
	s_mov_b64 s[12:13], -1
                                        ; implicit-def: $sgpr28
	s_and_saveexec_b64 s[22:23], s[2:3]
; %bb.2040:                             ;   in Loop: Header=BB313_1067 Depth=1
	s_mov_b32 s28, 0x7fc02000
	s_xor_b64 s[12:13], exec, -1
; %bb.2041:                             ;   in Loop: Header=BB313_1067 Depth=1
	s_or_b64 exec, exec, s[22:23]
	s_and_b64 s[12:13], s[12:13], exec
	s_or_saveexec_b64 s[20:21], s[20:21]
	v_mov_b32_e32 v59, s28
	s_xor_b64 exec, exec, s[20:21]
	s_cbranch_execz .LBB313_1523
.LBB313_2042:                           ;   in Loop: Header=BB313_1067 Depth=1
	v_cmp_ne_u16_e64 s[2:3], 0, v20
	s_andn2_b64 s[12:13], s[12:13], exec
	s_and_b64 s[2:3], s[2:3], exec
	v_mov_b32_e32 v59, 0
	s_or_b64 s[12:13], s[12:13], s[2:3]
	s_or_b64 exec, exec, s[20:21]
	s_and_saveexec_b64 s[20:21], s[12:13]
	s_cbranch_execnz .LBB313_1524
	s_branch .LBB313_1525
.LBB313_2043:                           ;   in Loop: Header=BB313_1067 Depth=1
	v_cmp_eq_u16_sdwa s[28:29], v47, s15 src0_sel:BYTE_0 src1_sel:DWORD
	s_mov_b64 s[2:3], -1
                                        ; implicit-def: $sgpr22
	s_and_saveexec_b64 s[20:21], s[28:29]
; %bb.2044:                             ;   in Loop: Header=BB313_1067 Depth=1
	s_mov_b32 s22, 0x7fc02000
	s_xor_b64 s[2:3], exec, -1
; %bb.2045:                             ;   in Loop: Header=BB313_1067 Depth=1
	s_or_b64 exec, exec, s[20:21]
	s_and_b64 s[2:3], s[2:3], exec
	s_or_saveexec_b64 s[12:13], s[12:13]
	v_mov_b32_e32 v16, s22
	s_xor_b64 exec, exec, s[12:13]
	s_cbranch_execz .LBB313_1527
.LBB313_2046:                           ;   in Loop: Header=BB313_1067 Depth=1
	v_cmp_ne_u16_sdwa s[20:21], v47, v21 src0_sel:BYTE_0 src1_sel:DWORD
	s_andn2_b64 s[2:3], s[2:3], exec
	s_and_b64 s[20:21], s[20:21], exec
	v_mov_b32_e32 v16, 0
	s_or_b64 s[2:3], s[2:3], s[20:21]
	s_or_b64 exec, exec, s[12:13]
	v_mov_b32_e32 v20, v47
	s_and_saveexec_b64 s[12:13], s[2:3]
	s_cbranch_execnz .LBB313_1528
	s_branch .LBB313_1529
.LBB313_2047:                           ;   in Loop: Header=BB313_1067 Depth=1
	v_cmp_eq_u16_e64 s[2:3], s15, v20
	s_mov_b64 s[12:13], -1
                                        ; implicit-def: $sgpr28
	s_and_saveexec_b64 s[22:23], s[2:3]
; %bb.2048:                             ;   in Loop: Header=BB313_1067 Depth=1
	s_mov_b32 s28, 0x7fc02000
	s_xor_b64 s[12:13], exec, -1
; %bb.2049:                             ;   in Loop: Header=BB313_1067 Depth=1
	s_or_b64 exec, exec, s[22:23]
	s_and_b64 s[12:13], s[12:13], exec
	s_or_saveexec_b64 s[20:21], s[20:21]
	v_mov_b32_e32 v26, s28
	s_xor_b64 exec, exec, s[20:21]
	s_cbranch_execz .LBB313_1531
.LBB313_2050:                           ;   in Loop: Header=BB313_1067 Depth=1
	v_cmp_ne_u16_e64 s[2:3], 0, v20
	s_andn2_b64 s[12:13], s[12:13], exec
	s_and_b64 s[2:3], s[2:3], exec
	v_mov_b32_e32 v26, 0
	s_or_b64 s[12:13], s[12:13], s[2:3]
	s_or_b64 exec, exec, s[20:21]
	s_and_saveexec_b64 s[20:21], s[12:13]
	s_cbranch_execnz .LBB313_1532
	s_branch .LBB313_1533
.LBB313_2051:                           ;   in Loop: Header=BB313_1067 Depth=1
	v_cmp_eq_u16_sdwa s[28:29], v20, s15 src0_sel:BYTE_0 src1_sel:DWORD
	s_mov_b64 s[2:3], -1
                                        ; implicit-def: $sgpr22
	s_and_saveexec_b64 s[20:21], s[28:29]
; %bb.2052:                             ;   in Loop: Header=BB313_1067 Depth=1
	s_mov_b32 s22, 0x7fc02000
	s_xor_b64 s[2:3], exec, -1
; %bb.2053:                             ;   in Loop: Header=BB313_1067 Depth=1
	s_or_b64 exec, exec, s[20:21]
	s_and_b64 s[2:3], s[2:3], exec
	s_or_saveexec_b64 s[12:13], s[12:13]
	v_mov_b32_e32 v27, s22
	s_xor_b64 exec, exec, s[12:13]
	s_cbranch_execz .LBB313_1535
.LBB313_2054:                           ;   in Loop: Header=BB313_1067 Depth=1
	v_cmp_ne_u16_sdwa s[20:21], v20, v21 src0_sel:BYTE_0 src1_sel:DWORD
	s_andn2_b64 s[2:3], s[2:3], exec
	s_and_b64 s[20:21], s[20:21], exec
	v_mov_b32_e32 v27, 0
	s_or_b64 s[2:3], s[2:3], s[20:21]
	s_or_b64 exec, exec, s[12:13]
	s_and_saveexec_b64 s[12:13], s[2:3]
	s_cbranch_execnz .LBB313_1536
	s_branch .LBB313_1537
.LBB313_2055:                           ;   in Loop: Header=BB313_1067 Depth=1
	v_cmp_eq_u16_e64 s[2:3], s15, v20
	s_mov_b64 s[12:13], -1
                                        ; implicit-def: $sgpr28
	s_and_saveexec_b64 s[22:23], s[2:3]
; %bb.2056:                             ;   in Loop: Header=BB313_1067 Depth=1
	s_mov_b32 s28, 0x7fc02000
	s_xor_b64 s[12:13], exec, -1
; %bb.2057:                             ;   in Loop: Header=BB313_1067 Depth=1
	s_or_b64 exec, exec, s[22:23]
	s_and_b64 s[12:13], s[12:13], exec
	s_or_saveexec_b64 s[20:21], s[20:21]
	v_mov_b32_e32 v46, s28
	s_xor_b64 exec, exec, s[20:21]
	s_cbranch_execz .LBB313_1539
.LBB313_2058:                           ;   in Loop: Header=BB313_1067 Depth=1
	v_cmp_ne_u16_e64 s[2:3], 0, v20
	s_andn2_b64 s[12:13], s[12:13], exec
	s_and_b64 s[2:3], s[2:3], exec
	v_mov_b32_e32 v46, 0
	s_or_b64 s[12:13], s[12:13], s[2:3]
	s_or_b64 exec, exec, s[20:21]
	s_and_saveexec_b64 s[20:21], s[12:13]
	s_cbranch_execnz .LBB313_1540
	s_branch .LBB313_1541
.LBB313_2059:                           ;   in Loop: Header=BB313_1067 Depth=1
	v_cmp_eq_u16_sdwa s[28:29], v46, s15 src0_sel:BYTE_0 src1_sel:DWORD
	s_mov_b64 s[2:3], -1
                                        ; implicit-def: $sgpr22
	s_and_saveexec_b64 s[20:21], s[28:29]
; %bb.2060:                             ;   in Loop: Header=BB313_1067 Depth=1
	s_mov_b32 s22, 0x7fc02000
	s_xor_b64 s[2:3], exec, -1
; %bb.2061:                             ;   in Loop: Header=BB313_1067 Depth=1
	s_or_b64 exec, exec, s[20:21]
	s_and_b64 s[2:3], s[2:3], exec
	s_or_saveexec_b64 s[12:13], s[12:13]
	v_mov_b32_e32 v56, s22
	s_xor_b64 exec, exec, s[12:13]
	s_cbranch_execz .LBB313_1545
.LBB313_2062:                           ;   in Loop: Header=BB313_1067 Depth=1
	v_cmp_ne_u16_sdwa s[20:21], v46, v21 src0_sel:BYTE_0 src1_sel:DWORD
	s_andn2_b64 s[2:3], s[2:3], exec
	s_and_b64 s[20:21], s[20:21], exec
	v_mov_b32_e32 v56, 0
	s_or_b64 s[2:3], s[2:3], s[20:21]
	s_or_b64 exec, exec, s[12:13]
	s_and_saveexec_b64 s[12:13], s[2:3]
	s_cbranch_execnz .LBB313_1546
	s_branch .LBB313_1547
.LBB313_2063:                           ;   in Loop: Header=BB313_1067 Depth=1
	v_cmp_eq_u16_e64 s[2:3], s15, v20
	s_mov_b64 s[12:13], -1
                                        ; implicit-def: $sgpr28
	s_and_saveexec_b64 s[22:23], s[2:3]
; %bb.2064:                             ;   in Loop: Header=BB313_1067 Depth=1
	s_mov_b32 s28, 0x7fc02000
	s_xor_b64 s[12:13], exec, -1
; %bb.2065:                             ;   in Loop: Header=BB313_1067 Depth=1
	s_or_b64 exec, exec, s[22:23]
	s_and_b64 s[12:13], s[12:13], exec
	s_or_saveexec_b64 s[20:21], s[20:21]
	v_mov_b32_e32 v58, s28
	s_xor_b64 exec, exec, s[20:21]
	s_cbranch_execz .LBB313_1549
.LBB313_2066:                           ;   in Loop: Header=BB313_1067 Depth=1
	v_cmp_ne_u16_e64 s[2:3], 0, v20
	s_andn2_b64 s[12:13], s[12:13], exec
	s_and_b64 s[2:3], s[2:3], exec
	v_mov_b32_e32 v58, 0
	s_or_b64 s[12:13], s[12:13], s[2:3]
	s_or_b64 exec, exec, s[20:21]
	s_and_saveexec_b64 s[20:21], s[12:13]
	s_cbranch_execnz .LBB313_1550
	s_branch .LBB313_1551
.LBB313_2067:                           ;   in Loop: Header=BB313_1067 Depth=1
	v_cmp_eq_u16_sdwa s[28:29], v20, s15 src0_sel:BYTE_0 src1_sel:DWORD
	s_mov_b64 s[2:3], -1
                                        ; implicit-def: $sgpr22
	s_and_saveexec_b64 s[20:21], s[28:29]
; %bb.2068:                             ;   in Loop: Header=BB313_1067 Depth=1
	s_mov_b32 s22, 0x7fc02000
	s_xor_b64 s[2:3], exec, -1
; %bb.2069:                             ;   in Loop: Header=BB313_1067 Depth=1
	s_or_b64 exec, exec, s[20:21]
	s_and_b64 s[2:3], s[2:3], exec
	s_or_saveexec_b64 s[12:13], s[12:13]
	v_mov_b32_e32 v57, s22
	s_xor_b64 exec, exec, s[12:13]
	s_cbranch_execz .LBB313_1553
.LBB313_2070:                           ;   in Loop: Header=BB313_1067 Depth=1
	v_cmp_ne_u16_sdwa s[20:21], v20, v21 src0_sel:BYTE_0 src1_sel:DWORD
	s_andn2_b64 s[2:3], s[2:3], exec
	s_and_b64 s[20:21], s[20:21], exec
	v_mov_b32_e32 v57, 0
	s_or_b64 s[2:3], s[2:3], s[20:21]
	s_or_b64 exec, exec, s[12:13]
	s_and_saveexec_b64 s[12:13], s[2:3]
	s_cbranch_execnz .LBB313_1554
	s_branch .LBB313_1555
.LBB313_2071:                           ;   in Loop: Header=BB313_1067 Depth=1
	v_cmp_eq_u16_e64 s[2:3], s15, v20
	s_mov_b64 s[12:13], -1
                                        ; implicit-def: $sgpr28
	s_and_saveexec_b64 s[22:23], s[2:3]
; %bb.2072:                             ;   in Loop: Header=BB313_1067 Depth=1
	s_mov_b32 s28, 0x7fc02000
	s_xor_b64 s[12:13], exec, -1
; %bb.2073:                             ;   in Loop: Header=BB313_1067 Depth=1
	s_or_b64 exec, exec, s[22:23]
	s_and_b64 s[12:13], s[12:13], exec
	s_or_saveexec_b64 s[20:21], s[20:21]
	v_mov_b32_e32 v59, s28
	s_xor_b64 exec, exec, s[20:21]
	s_cbranch_execz .LBB313_1557
.LBB313_2074:                           ;   in Loop: Header=BB313_1067 Depth=1
	v_cmp_ne_u16_e64 s[2:3], 0, v20
	s_andn2_b64 s[12:13], s[12:13], exec
	s_and_b64 s[2:3], s[2:3], exec
	v_mov_b32_e32 v59, 0
	s_or_b64 s[12:13], s[12:13], s[2:3]
	s_or_b64 exec, exec, s[20:21]
	s_and_saveexec_b64 s[20:21], s[12:13]
	s_cbranch_execnz .LBB313_1558
	s_branch .LBB313_1559
.LBB313_2075:                           ;   in Loop: Header=BB313_1067 Depth=1
	v_cmp_eq_u16_sdwa s[28:29], v47, s15 src0_sel:BYTE_0 src1_sel:DWORD
	s_mov_b64 s[2:3], -1
                                        ; implicit-def: $sgpr22
	s_and_saveexec_b64 s[20:21], s[28:29]
; %bb.2076:                             ;   in Loop: Header=BB313_1067 Depth=1
	s_mov_b32 s22, 0x7fc02000
	s_xor_b64 s[2:3], exec, -1
; %bb.2077:                             ;   in Loop: Header=BB313_1067 Depth=1
	s_or_b64 exec, exec, s[20:21]
	s_and_b64 s[2:3], s[2:3], exec
	s_or_saveexec_b64 s[12:13], s[12:13]
	v_mov_b32_e32 v16, s22
	s_xor_b64 exec, exec, s[12:13]
	s_cbranch_execz .LBB313_1561
.LBB313_2078:                           ;   in Loop: Header=BB313_1067 Depth=1
	v_cmp_ne_u16_sdwa s[20:21], v47, v21 src0_sel:BYTE_0 src1_sel:DWORD
	s_andn2_b64 s[2:3], s[2:3], exec
	s_and_b64 s[20:21], s[20:21], exec
	v_mov_b32_e32 v16, 0
	s_or_b64 s[2:3], s[2:3], s[20:21]
	s_or_b64 exec, exec, s[12:13]
	v_mov_b32_e32 v20, v47
	s_and_saveexec_b64 s[12:13], s[2:3]
	s_cbranch_execnz .LBB313_1562
	s_branch .LBB313_1563
.LBB313_2079:                           ;   in Loop: Header=BB313_1067 Depth=1
	v_cmp_eq_u16_e64 s[2:3], s15, v20
	s_mov_b64 s[12:13], -1
                                        ; implicit-def: $sgpr28
	s_and_saveexec_b64 s[22:23], s[2:3]
; %bb.2080:                             ;   in Loop: Header=BB313_1067 Depth=1
	s_mov_b32 s28, 0x7fc02000
	s_xor_b64 s[12:13], exec, -1
; %bb.2081:                             ;   in Loop: Header=BB313_1067 Depth=1
	s_or_b64 exec, exec, s[22:23]
	s_and_b64 s[12:13], s[12:13], exec
	s_or_saveexec_b64 s[20:21], s[20:21]
	v_mov_b32_e32 v45, s28
	s_xor_b64 exec, exec, s[20:21]
	s_cbranch_execz .LBB313_1565
.LBB313_2082:                           ;   in Loop: Header=BB313_1067 Depth=1
	v_cmp_ne_u16_e64 s[2:3], 0, v20
	s_andn2_b64 s[12:13], s[12:13], exec
	s_and_b64 s[2:3], s[2:3], exec
	v_mov_b32_e32 v45, 0
	s_or_b64 s[12:13], s[12:13], s[2:3]
	s_or_b64 exec, exec, s[20:21]
	s_and_saveexec_b64 s[20:21], s[12:13]
	s_cbranch_execnz .LBB313_1566
	s_branch .LBB313_1567
.LBB313_2083:                           ;   in Loop: Header=BB313_1067 Depth=1
	v_cmp_eq_u16_sdwa s[28:29], v20, s15 src0_sel:BYTE_0 src1_sel:DWORD
	s_mov_b64 s[2:3], -1
                                        ; implicit-def: $sgpr22
	s_and_saveexec_b64 s[20:21], s[28:29]
; %bb.2084:                             ;   in Loop: Header=BB313_1067 Depth=1
	s_mov_b32 s22, 0x7fc02000
	s_xor_b64 s[2:3], exec, -1
; %bb.2085:                             ;   in Loop: Header=BB313_1067 Depth=1
	s_or_b64 exec, exec, s[20:21]
	s_and_b64 s[2:3], s[2:3], exec
	s_or_saveexec_b64 s[12:13], s[12:13]
	v_mov_b32_e32 v46, s22
	s_xor_b64 exec, exec, s[12:13]
	s_cbranch_execz .LBB313_1569
.LBB313_2086:                           ;   in Loop: Header=BB313_1067 Depth=1
	v_cmp_ne_u16_sdwa s[20:21], v20, v21 src0_sel:BYTE_0 src1_sel:DWORD
	s_andn2_b64 s[2:3], s[2:3], exec
	s_and_b64 s[20:21], s[20:21], exec
	v_mov_b32_e32 v46, 0
	s_or_b64 s[2:3], s[2:3], s[20:21]
	s_or_b64 exec, exec, s[12:13]
	s_and_saveexec_b64 s[12:13], s[2:3]
	s_cbranch_execnz .LBB313_1570
	s_branch .LBB313_1571
.LBB313_2087:                           ;   in Loop: Header=BB313_1067 Depth=1
	v_cmp_eq_u16_e64 s[2:3], s15, v20
	s_mov_b64 s[12:13], -1
                                        ; implicit-def: $sgpr28
	s_and_saveexec_b64 s[22:23], s[2:3]
; %bb.2088:                             ;   in Loop: Header=BB313_1067 Depth=1
	s_mov_b32 s28, 0x7fc02000
	s_xor_b64 s[12:13], exec, -1
; %bb.2089:                             ;   in Loop: Header=BB313_1067 Depth=1
	s_or_b64 exec, exec, s[22:23]
	s_and_b64 s[12:13], s[12:13], exec
	s_or_saveexec_b64 s[20:21], s[20:21]
	v_mov_b32_e32 v29, s28
	s_xor_b64 exec, exec, s[20:21]
	s_cbranch_execz .LBB313_1573
.LBB313_2090:                           ;   in Loop: Header=BB313_1067 Depth=1
	v_cmp_ne_u16_e64 s[2:3], 0, v20
	s_andn2_b64 s[12:13], s[12:13], exec
	s_and_b64 s[2:3], s[2:3], exec
	v_mov_b32_e32 v29, 0
	s_or_b64 s[12:13], s[12:13], s[2:3]
	s_or_b64 exec, exec, s[20:21]
	s_and_saveexec_b64 s[20:21], s[12:13]
	s_cbranch_execnz .LBB313_1574
	s_branch .LBB313_1575
.LBB313_2091:                           ;   in Loop: Header=BB313_1067 Depth=1
	v_cmp_eq_u16_sdwa s[28:29], v44, s15 src0_sel:BYTE_0 src1_sel:DWORD
	s_mov_b64 s[2:3], -1
                                        ; implicit-def: $sgpr22
	s_and_saveexec_b64 s[20:21], s[28:29]
; %bb.2092:                             ;   in Loop: Header=BB313_1067 Depth=1
	s_mov_b32 s22, 0x7fc02000
	s_xor_b64 s[2:3], exec, -1
; %bb.2093:                             ;   in Loop: Header=BB313_1067 Depth=1
	s_or_b64 exec, exec, s[20:21]
	s_and_b64 s[2:3], s[2:3], exec
	s_or_saveexec_b64 s[12:13], s[12:13]
	v_mov_b32_e32 v46, s22
	s_xor_b64 exec, exec, s[12:13]
	s_cbranch_execz .LBB313_1579
.LBB313_2094:                           ;   in Loop: Header=BB313_1067 Depth=1
	v_cmp_ne_u16_sdwa s[20:21], v44, v21 src0_sel:BYTE_0 src1_sel:DWORD
	s_andn2_b64 s[2:3], s[2:3], exec
	s_and_b64 s[20:21], s[20:21], exec
	v_mov_b32_e32 v46, 0
	s_or_b64 s[2:3], s[2:3], s[20:21]
	s_or_b64 exec, exec, s[12:13]
	s_and_saveexec_b64 s[12:13], s[2:3]
	s_cbranch_execnz .LBB313_1580
	s_branch .LBB313_1581
.LBB313_2095:                           ;   in Loop: Header=BB313_1067 Depth=1
	v_cmp_eq_u16_e64 s[2:3], s15, v20
	s_mov_b64 s[12:13], -1
                                        ; implicit-def: $sgpr28
	s_and_saveexec_b64 s[22:23], s[2:3]
; %bb.2096:                             ;   in Loop: Header=BB313_1067 Depth=1
	s_mov_b32 s28, 0x7fc02000
	s_xor_b64 s[12:13], exec, -1
; %bb.2097:                             ;   in Loop: Header=BB313_1067 Depth=1
	s_or_b64 exec, exec, s[22:23]
	s_and_b64 s[12:13], s[12:13], exec
	s_or_saveexec_b64 s[20:21], s[20:21]
	v_mov_b32_e32 v56, s28
	s_xor_b64 exec, exec, s[20:21]
	s_cbranch_execz .LBB313_1583
.LBB313_2098:                           ;   in Loop: Header=BB313_1067 Depth=1
	v_cmp_ne_u16_e64 s[2:3], 0, v20
	s_andn2_b64 s[12:13], s[12:13], exec
	s_and_b64 s[2:3], s[2:3], exec
	v_mov_b32_e32 v56, 0
	s_or_b64 s[12:13], s[12:13], s[2:3]
	s_or_b64 exec, exec, s[20:21]
	s_and_saveexec_b64 s[20:21], s[12:13]
	s_cbranch_execnz .LBB313_1584
	s_branch .LBB313_1585
.LBB313_2099:                           ;   in Loop: Header=BB313_1067 Depth=1
	v_cmp_eq_u16_sdwa s[28:29], v20, s15 src0_sel:BYTE_0 src1_sel:DWORD
	s_mov_b64 s[2:3], -1
                                        ; implicit-def: $sgpr22
	s_and_saveexec_b64 s[20:21], s[28:29]
; %bb.2100:                             ;   in Loop: Header=BB313_1067 Depth=1
	s_mov_b32 s22, 0x7fc02000
	s_xor_b64 s[2:3], exec, -1
; %bb.2101:                             ;   in Loop: Header=BB313_1067 Depth=1
	s_or_b64 exec, exec, s[20:21]
	s_and_b64 s[2:3], s[2:3], exec
	s_or_saveexec_b64 s[12:13], s[12:13]
	v_mov_b32_e32 v47, s22
	s_xor_b64 exec, exec, s[12:13]
	s_cbranch_execz .LBB313_1587
.LBB313_2102:                           ;   in Loop: Header=BB313_1067 Depth=1
	v_cmp_ne_u16_sdwa s[20:21], v20, v21 src0_sel:BYTE_0 src1_sel:DWORD
	s_andn2_b64 s[2:3], s[2:3], exec
	s_and_b64 s[20:21], s[20:21], exec
	v_mov_b32_e32 v47, 0
	s_or_b64 s[2:3], s[2:3], s[20:21]
	s_or_b64 exec, exec, s[12:13]
	s_and_saveexec_b64 s[12:13], s[2:3]
	s_cbranch_execnz .LBB313_1588
	s_branch .LBB313_1589
.LBB313_2103:                           ;   in Loop: Header=BB313_1067 Depth=1
	v_cmp_eq_u16_e64 s[2:3], s15, v20
	s_mov_b64 s[12:13], -1
                                        ; implicit-def: $sgpr28
	s_and_saveexec_b64 s[22:23], s[2:3]
; %bb.2104:                             ;   in Loop: Header=BB313_1067 Depth=1
	s_mov_b32 s28, 0x7fc02000
	s_xor_b64 s[12:13], exec, -1
; %bb.2105:                             ;   in Loop: Header=BB313_1067 Depth=1
	s_or_b64 exec, exec, s[22:23]
	s_and_b64 s[12:13], s[12:13], exec
	s_or_saveexec_b64 s[20:21], s[20:21]
	v_mov_b32_e32 v57, s28
	s_xor_b64 exec, exec, s[20:21]
	s_cbranch_execz .LBB313_1591
.LBB313_2106:                           ;   in Loop: Header=BB313_1067 Depth=1
	v_cmp_ne_u16_e64 s[2:3], 0, v20
	s_andn2_b64 s[12:13], s[12:13], exec
	s_and_b64 s[2:3], s[2:3], exec
	v_mov_b32_e32 v57, 0
	s_or_b64 s[12:13], s[12:13], s[2:3]
	s_or_b64 exec, exec, s[20:21]
	s_and_saveexec_b64 s[20:21], s[12:13]
	s_cbranch_execnz .LBB313_1592
	s_branch .LBB313_1593
.LBB313_2107:                           ;   in Loop: Header=BB313_1067 Depth=1
	v_cmp_eq_u16_sdwa s[28:29], v45, s15 src0_sel:BYTE_0 src1_sel:DWORD
	s_mov_b64 s[2:3], -1
                                        ; implicit-def: $sgpr22
	s_and_saveexec_b64 s[20:21], s[28:29]
; %bb.2108:                             ;   in Loop: Header=BB313_1067 Depth=1
	s_mov_b32 s22, 0x7fc02000
	s_xor_b64 s[2:3], exec, -1
; %bb.2109:                             ;   in Loop: Header=BB313_1067 Depth=1
	s_or_b64 exec, exec, s[20:21]
	s_and_b64 s[2:3], s[2:3], exec
	s_or_saveexec_b64 s[12:13], s[12:13]
	v_mov_b32_e32 v19, s22
	s_xor_b64 exec, exec, s[12:13]
	s_cbranch_execz .LBB313_1595
.LBB313_2110:                           ;   in Loop: Header=BB313_1067 Depth=1
	v_cmp_ne_u16_sdwa s[20:21], v45, v21 src0_sel:BYTE_0 src1_sel:DWORD
	s_andn2_b64 s[2:3], s[2:3], exec
	s_and_b64 s[20:21], s[20:21], exec
	v_mov_b32_e32 v19, 0
	s_or_b64 s[2:3], s[2:3], s[20:21]
	s_or_b64 exec, exec, s[12:13]
	v_mov_b32_e32 v20, v45
	s_and_saveexec_b64 s[12:13], s[2:3]
	s_cbranch_execnz .LBB313_1596
	s_branch .LBB313_1597
.LBB313_2111:                           ;   in Loop: Header=BB313_1067 Depth=1
	v_cmp_eq_u16_e64 s[2:3], s15, v20
	s_mov_b64 s[12:13], -1
                                        ; implicit-def: $sgpr28
	s_and_saveexec_b64 s[22:23], s[2:3]
; %bb.2112:                             ;   in Loop: Header=BB313_1067 Depth=1
	s_mov_b32 s28, 0x7fc02000
	s_xor_b64 s[12:13], exec, -1
; %bb.2113:                             ;   in Loop: Header=BB313_1067 Depth=1
	s_or_b64 exec, exec, s[22:23]
	s_and_b64 s[12:13], s[12:13], exec
	s_or_saveexec_b64 s[20:21], s[20:21]
	v_mov_b32_e32 v44, s28
	s_xor_b64 exec, exec, s[20:21]
	s_cbranch_execz .LBB313_1599
.LBB313_2114:                           ;   in Loop: Header=BB313_1067 Depth=1
	v_cmp_ne_u16_e64 s[2:3], 0, v20
	s_andn2_b64 s[12:13], s[12:13], exec
	s_and_b64 s[2:3], s[2:3], exec
	v_mov_b32_e32 v44, 0
	s_or_b64 s[12:13], s[12:13], s[2:3]
	s_or_b64 exec, exec, s[20:21]
	s_and_saveexec_b64 s[20:21], s[12:13]
	s_cbranch_execnz .LBB313_1600
	s_branch .LBB313_1601
.LBB313_2115:                           ;   in Loop: Header=BB313_1067 Depth=1
	v_cmp_eq_u16_sdwa s[28:29], v20, s15 src0_sel:BYTE_0 src1_sel:DWORD
	s_mov_b64 s[2:3], -1
                                        ; implicit-def: $sgpr22
	s_and_saveexec_b64 s[20:21], s[28:29]
; %bb.2116:                             ;   in Loop: Header=BB313_1067 Depth=1
	s_mov_b32 s22, 0x7fc02000
	s_xor_b64 s[2:3], exec, -1
; %bb.2117:                             ;   in Loop: Header=BB313_1067 Depth=1
	s_or_b64 exec, exec, s[20:21]
	s_and_b64 s[2:3], s[2:3], exec
	s_or_saveexec_b64 s[12:13], s[12:13]
	v_mov_b32_e32 v59, s22
	s_xor_b64 exec, exec, s[12:13]
	s_cbranch_execz .LBB313_1603
.LBB313_2118:                           ;   in Loop: Header=BB313_1067 Depth=1
	v_cmp_ne_u16_sdwa s[20:21], v20, v21 src0_sel:BYTE_0 src1_sel:DWORD
	s_andn2_b64 s[2:3], s[2:3], exec
	s_and_b64 s[20:21], s[20:21], exec
	v_mov_b32_e32 v59, 0
	s_or_b64 s[2:3], s[2:3], s[20:21]
	s_or_b64 exec, exec, s[12:13]
	s_and_saveexec_b64 s[12:13], s[2:3]
	s_cbranch_execnz .LBB313_1604
	s_branch .LBB313_1605
.LBB313_2119:                           ;   in Loop: Header=BB313_1067 Depth=1
	v_cmp_eq_u16_e64 s[2:3], s15, v20
	s_mov_b64 s[12:13], -1
                                        ; implicit-def: $sgpr28
	s_and_saveexec_b64 s[22:23], s[2:3]
; %bb.2120:                             ;   in Loop: Header=BB313_1067 Depth=1
	s_mov_b32 s28, 0x7fc02000
	s_xor_b64 s[12:13], exec, -1
; %bb.2121:                             ;   in Loop: Header=BB313_1067 Depth=1
	s_or_b64 exec, exec, s[22:23]
	s_and_b64 s[12:13], s[12:13], exec
	s_or_saveexec_b64 s[20:21], s[20:21]
	v_mov_b32_e32 v29, s28
	s_xor_b64 exec, exec, s[20:21]
	s_cbranch_execz .LBB313_1607
.LBB313_2122:                           ;   in Loop: Header=BB313_1067 Depth=1
	v_cmp_ne_u16_e64 s[2:3], 0, v20
	s_andn2_b64 s[12:13], s[12:13], exec
	s_and_b64 s[2:3], s[2:3], exec
	v_mov_b32_e32 v29, 0
	s_or_b64 s[12:13], s[12:13], s[2:3]
	s_or_b64 exec, exec, s[20:21]
	s_and_saveexec_b64 s[20:21], s[12:13]
	s_cbranch_execnz .LBB313_1608
	s_branch .LBB313_1609
.LBB313_2123:
	s_or_b64 exec, exec, s[8:9]
	v_accvgpr_read_b32 v27, a17
	v_accvgpr_read_b32 v28, a18
	;; [unrolled: 1-line block ×3, first 2 shown]
.LBB313_2124:
	s_or_b64 exec, exec, s[6:7]
	ds_bpermute_b32 v22, v27, v2
	ds_bpermute_b32 v23, v27, v3
	s_waitcnt lgkmcnt(0)
	s_barrier
	ds_bpermute_b32 v4, v27, v34
	v_pk_add_f32 v[2:3], v[2:3], v[22:23]
	ds_bpermute_b32 v22, v28, v2
	ds_bpermute_b32 v23, v28, v3
	;; [unrolled: 1-line block ×6, first 2 shown]
	s_waitcnt lgkmcnt(0)
	v_pk_add_f32 v[2:3], v[2:3], v[22:23]
	scratch_load_dword v22, off, s32 offset:612 ; 4-byte Folded Reload
	v_pk_add_f32 v[4:5], v[34:35], v[4:5]
	v_pk_add_f32 v[16:17], v[32:33], v[6:7]
	ds_bpermute_b32 v10, v28, v4
	ds_bpermute_b32 v11, v28, v5
	;; [unrolled: 1-line block ×6, first 2 shown]
	s_waitcnt lgkmcnt(0)
	v_pk_add_f32 v[6:7], v[4:5], v[10:11]
	v_pk_add_f32 v[4:5], v[30:31], v[14:15]
	ds_bpermute_b32 v14, v28, v4
	v_pk_add_f32 v[10:11], v[16:17], v[18:19]
	ds_bpermute_b32 v16, v27, v12
	ds_bpermute_b32 v17, v27, v13
	ds_bpermute_b32 v15, v28, v5
	ds_bpermute_b32 v21, v27, v25
	ds_bpermute_b32 v26, v27, v0
	s_waitcnt lgkmcnt(0)
	v_pk_add_f32 v[12:13], v[12:13], v[16:17]
	ds_bpermute_b32 v16, v27, v8
	ds_bpermute_b32 v17, v27, v9
	v_pk_add_f32 v[14:15], v[4:5], v[14:15]
	v_pk_add_f32 v[4:5], v[24:25], v[20:21]
	ds_bpermute_b32 v27, v27, v1
	ds_bpermute_b32 v18, v28, v4
	;; [unrolled: 1-line block ×3, first 2 shown]
	s_waitcnt lgkmcnt(0)
	v_pk_add_f32 v[8:9], v[8:9], v[16:17]
	ds_bpermute_b32 v20, v28, v12
	ds_bpermute_b32 v21, v28, v13
	;; [unrolled: 1-line block ×4, first 2 shown]
	v_pk_add_f32 v[0:1], v[0:1], v[26:27]
	v_pk_add_f32 v[16:17], v[4:5], v[18:19]
	ds_bpermute_b32 v18, v28, v0
	ds_bpermute_b32 v19, v28, v1
	s_waitcnt lgkmcnt(0)
	v_pk_add_f32 v[12:13], v[12:13], v[20:21]
	v_pk_add_f32 v[8:9], v[8:9], v[24:25]
	s_waitcnt vmcnt(0)
	v_and_b32_e32 v4, 0x3c3, v22
	v_cmp_ne_u32_e32 vcc, 64, v4
	s_and_saveexec_b64 s[2:3], vcc
	s_xor_b64 s[2:3], exec, s[2:3]
; %bb.2125:
                                        ; implicit-def: $agpr16
; %bb.2126:
	s_or_saveexec_b64 s[2:3], s[2:3]
	scratch_load_dwordx2 v[20:21], off, s32 offset:652 ; 8-byte Folded Reload
	v_pk_add_f32 v[0:1], v[0:1], v[18:19]
	s_xor_b64 exec, exec, s[2:3]
	s_cbranch_execz .LBB313_2128
; %bb.2127:
	s_ashr_i32 s17, s16, 31
	s_lshl_b64 s[6:7], s[16:17], 2
	s_getpc_b64 s[8:9]
	s_add_u32 s8, s8, llvm.amdgcn.dynlds.offset.table@rel32@lo+4
	s_addc_u32 s9, s9, llvm.amdgcn.dynlds.offset.table@rel32@hi+12
	s_add_u32 s6, s6, s8
	s_addc_u32 s7, s7, s9
	s_load_dword s5, s[6:7], 0x0
	v_accvgpr_read_b32 v5, a16
	s_waitcnt lgkmcnt(0)
	v_add_u32_e32 v5, s5, v5
	ds_write2_b32 v5, v6, v7 offset1:16
	ds_write2_b32 v5, v10, v11 offset0:32 offset1:48
	ds_write2_b32 v5, v14, v15 offset0:64 offset1:80
	;; [unrolled: 1-line block ×7, first 2 shown]
.LBB313_2128:
	s_or_b64 exec, exec, s[2:3]
	s_waitcnt lgkmcnt(0)
	s_barrier
	s_and_saveexec_b64 s[2:3], s[0:1]
	s_cbranch_execz .LBB313_2147
; %bb.2129:
	v_cmp_eq_u32_e32 vcc, 0, v29
	v_lshrrev_b32_e32 v5, 2, v22
	s_and_saveexec_b64 s[0:1], vcc
	s_cbranch_execnz .LBB313_2150
; %bb.2130:
	s_or_b64 exec, exec, s[0:1]
	s_and_saveexec_b64 s[0:1], vcc
	s_cbranch_execnz .LBB313_2151
.LBB313_2131:
	s_or_b64 exec, exec, s[0:1]
	s_and_saveexec_b64 s[0:1], vcc
	s_cbranch_execnz .LBB313_2152
.LBB313_2132:
	s_or_b64 exec, exec, s[0:1]
	s_and_saveexec_b64 s[0:1], vcc
	s_cbranch_execnz .LBB313_2153
.LBB313_2133:
	s_or_b64 exec, exec, s[0:1]
	s_and_saveexec_b64 s[0:1], vcc
	s_cbranch_execnz .LBB313_2154
.LBB313_2134:
	s_or_b64 exec, exec, s[0:1]
	s_and_saveexec_b64 s[0:1], vcc
	s_cbranch_execnz .LBB313_2155
.LBB313_2135:
	s_or_b64 exec, exec, s[0:1]
	s_and_saveexec_b64 s[0:1], vcc
	s_cbranch_execnz .LBB313_2156
.LBB313_2136:
	s_or_b64 exec, exec, s[0:1]
	s_and_saveexec_b64 s[0:1], vcc
	s_cbranch_execnz .LBB313_2157
.LBB313_2137:
	s_or_b64 exec, exec, s[0:1]
	s_and_saveexec_b64 s[0:1], vcc
	s_cbranch_execnz .LBB313_2158
.LBB313_2138:
	s_or_b64 exec, exec, s[0:1]
	s_and_saveexec_b64 s[0:1], vcc
	s_cbranch_execnz .LBB313_2159
.LBB313_2139:
	s_or_b64 exec, exec, s[0:1]
	s_and_saveexec_b64 s[0:1], vcc
	s_cbranch_execnz .LBB313_2160
.LBB313_2140:
	s_or_b64 exec, exec, s[0:1]
	s_and_saveexec_b64 s[0:1], vcc
	s_cbranch_execnz .LBB313_2161
.LBB313_2141:
	s_or_b64 exec, exec, s[0:1]
	s_and_saveexec_b64 s[0:1], vcc
	s_cbranch_execnz .LBB313_2162
.LBB313_2142:
	s_or_b64 exec, exec, s[0:1]
	s_and_saveexec_b64 s[0:1], vcc
	s_cbranch_execnz .LBB313_2163
.LBB313_2143:
	s_or_b64 exec, exec, s[0:1]
	s_and_saveexec_b64 s[0:1], vcc
	s_cbranch_execnz .LBB313_2164
.LBB313_2144:
	s_or_b64 exec, exec, s[0:1]
	s_and_saveexec_b64 s[0:1], vcc
	s_cbranch_execz .LBB313_2146
.LBB313_2145:
	s_ashr_i32 s17, s16, 31
	s_lshl_b64 s[6:7], s[16:17], 2
	s_getpc_b64 s[8:9]
	s_add_u32 s8, s8, llvm.amdgcn.dynlds.offset.table@rel32@lo+4
	s_addc_u32 s9, s9, llvm.amdgcn.dynlds.offset.table@rel32@hi+12
	s_add_u32 s6, s6, s8
	s_addc_u32 s7, s7, s9
	s_load_dword s5, s[6:7], 0x0
	s_waitcnt lgkmcnt(0)
	v_lshl_add_u32 v5, v5, 2, s5
	ds_read_b32 v5, v5 offset:960
	s_waitcnt lgkmcnt(0)
	v_add_f32_e32 v1, v5, v1
.LBB313_2146:
	s_or_b64 exec, exec, s[0:1]
.LBB313_2147:
	s_or_b64 exec, exec, s[2:3]
	v_cmp_eq_u32_e32 vcc, 0, v4
	s_barrier
	s_and_b64 exec, exec, vcc
	s_cbranch_execz .LBB313_2149
; %bb.2148:
	s_lshl_b32 s0, s4, 8
	s_mul_i32 s2, s18, s19
	s_lshl_b32 s4, s14, 8
	s_ashr_i32 s1, s0, 31
	s_ashr_i32 s3, s2, 31
	;; [unrolled: 1-line block ×3, first 2 shown]
	s_lshl_b64 s[0:1], s[0:1], 1
	s_lshl_b64 s[2:3], s[2:3], 1
	;; [unrolled: 1-line block ×3, first 2 shown]
	s_add_u32 s2, s4, s2
	s_addc_u32 s3, s5, s3
	s_add_u32 s0, s2, s0
	s_addc_u32 s1, s3, s1
	s_waitcnt vmcnt(0)
	v_lshl_add_u64 v[4:5], s[0:1], 0, v[20:21]
	v_lshrrev_b32_e32 v18, 1, v22
	v_mov_b32_e32 v19, 0
	v_lshl_add_u64 v[4:5], v[4:5], 0, v[18:19]
	;;#ASMSTART
	v_cvt_f16_f32 v6, v6;

	;;#ASMEND
	flat_store_short v[4:5], v6
	;;#ASMSTART
	v_cvt_f16_f32 v6, v7;

	;;#ASMEND
	flat_store_short v[4:5], v6 offset:32
	;;#ASMSTART
	v_cvt_f16_f32 v6, v10;

	;;#ASMEND
	flat_store_short v[4:5], v6 offset:64
	;; [unrolled: 5-line block ×15, first 2 shown]
.LBB313_2149:
	s_or_b64 exec, exec, s[10:11]
	scratch_load_dword a63, off, s32        ; 4-byte Folded Reload
	scratch_load_dword a62, off, s32 offset:4 ; 4-byte Folded Reload
	scratch_load_dword a61, off, s32 offset:8 ; 4-byte Folded Reload
	;; [unrolled: 1-line block ×46, first 2 shown]
	v_readlane_b32 s30, v63, 22
	v_readlane_b32 s31, v63, 23
	v_readlane_b32 s55, v63, 21
	v_readlane_b32 s54, v63, 20
	v_readlane_b32 s53, v63, 19
	v_readlane_b32 s52, v63, 18
	v_readlane_b32 s51, v63, 17
	v_readlane_b32 s50, v63, 16
	v_readlane_b32 s49, v63, 15
	v_readlane_b32 s48, v63, 14
	v_readlane_b32 s47, v63, 13
	v_readlane_b32 s46, v63, 12
	v_readlane_b32 s45, v63, 11
	v_readlane_b32 s44, v63, 10
	v_readlane_b32 s43, v63, 9
	v_readlane_b32 s42, v63, 8
	v_readlane_b32 s41, v63, 7
	v_readlane_b32 s40, v63, 6
	v_readlane_b32 s39, v63, 5
	v_readlane_b32 s38, v63, 4
	v_readlane_b32 s37, v63, 3
	v_readlane_b32 s36, v63, 2
	v_readlane_b32 s35, v63, 1
	v_readlane_b32 s34, v63, 0
	s_or_saveexec_b64 s[0:1], -1
	scratch_load_dword v63, off, s32 offset:680 ; 4-byte Folded Reload
	s_mov_b64 exec, s[0:1]
	s_waitcnt vmcnt(0) lgkmcnt(0)
	s_setpc_b64 s[30:31]
.LBB313_2150:
	s_ashr_i32 s17, s16, 31
	s_lshl_b64 s[6:7], s[16:17], 2
	s_getpc_b64 s[8:9]
	s_add_u32 s8, s8, llvm.amdgcn.dynlds.offset.table@rel32@lo+4
	s_addc_u32 s9, s9, llvm.amdgcn.dynlds.offset.table@rel32@hi+12
	s_add_u32 s6, s6, s8
	s_addc_u32 s7, s7, s9
	s_load_dword s5, s[6:7], 0x0
	s_waitcnt lgkmcnt(0)
	v_lshl_add_u32 v18, v5, 2, s5
	ds_read_b32 v18, v18
	s_waitcnt lgkmcnt(0)
	v_add_f32_e32 v6, v18, v6
	s_or_b64 exec, exec, s[0:1]
	s_and_saveexec_b64 s[0:1], vcc
	s_cbranch_execz .LBB313_2131
.LBB313_2151:
	s_ashr_i32 s17, s16, 31
	s_lshl_b64 s[6:7], s[16:17], 2
	s_getpc_b64 s[8:9]
	s_add_u32 s8, s8, llvm.amdgcn.dynlds.offset.table@rel32@lo+4
	s_addc_u32 s9, s9, llvm.amdgcn.dynlds.offset.table@rel32@hi+12
	s_add_u32 s6, s6, s8
	s_addc_u32 s7, s7, s9
	s_load_dword s5, s[6:7], 0x0
	s_waitcnt lgkmcnt(0)
	v_lshl_add_u32 v18, v5, 2, s5
	ds_read_b32 v18, v18 offset:64
	s_waitcnt lgkmcnt(0)
	v_add_f32_e32 v7, v18, v7
	s_or_b64 exec, exec, s[0:1]
	s_and_saveexec_b64 s[0:1], vcc
	s_cbranch_execz .LBB313_2132
.LBB313_2152:
	s_ashr_i32 s17, s16, 31
	s_lshl_b64 s[6:7], s[16:17], 2
	s_getpc_b64 s[8:9]
	s_add_u32 s8, s8, llvm.amdgcn.dynlds.offset.table@rel32@lo+4
	s_addc_u32 s9, s9, llvm.amdgcn.dynlds.offset.table@rel32@hi+12
	s_add_u32 s6, s6, s8
	s_addc_u32 s7, s7, s9
	s_load_dword s5, s[6:7], 0x0
	s_waitcnt lgkmcnt(0)
	v_lshl_add_u32 v18, v5, 2, s5
	ds_read_b32 v18, v18 offset:128
	s_waitcnt lgkmcnt(0)
	v_add_f32_e32 v10, v18, v10
	s_or_b64 exec, exec, s[0:1]
	s_and_saveexec_b64 s[0:1], vcc
	s_cbranch_execz .LBB313_2133
.LBB313_2153:
	s_ashr_i32 s17, s16, 31
	s_lshl_b64 s[6:7], s[16:17], 2
	s_getpc_b64 s[8:9]
	s_add_u32 s8, s8, llvm.amdgcn.dynlds.offset.table@rel32@lo+4
	s_addc_u32 s9, s9, llvm.amdgcn.dynlds.offset.table@rel32@hi+12
	s_add_u32 s6, s6, s8
	s_addc_u32 s7, s7, s9
	s_load_dword s5, s[6:7], 0x0
	s_waitcnt lgkmcnt(0)
	v_lshl_add_u32 v18, v5, 2, s5
	ds_read_b32 v18, v18 offset:192
	s_waitcnt lgkmcnt(0)
	v_add_f32_e32 v11, v18, v11
	s_or_b64 exec, exec, s[0:1]
	s_and_saveexec_b64 s[0:1], vcc
	s_cbranch_execz .LBB313_2134
.LBB313_2154:
	s_ashr_i32 s17, s16, 31
	s_lshl_b64 s[6:7], s[16:17], 2
	s_getpc_b64 s[8:9]
	s_add_u32 s8, s8, llvm.amdgcn.dynlds.offset.table@rel32@lo+4
	s_addc_u32 s9, s9, llvm.amdgcn.dynlds.offset.table@rel32@hi+12
	s_add_u32 s6, s6, s8
	s_addc_u32 s7, s7, s9
	s_load_dword s5, s[6:7], 0x0
	s_waitcnt lgkmcnt(0)
	v_lshl_add_u32 v18, v5, 2, s5
	ds_read_b32 v18, v18 offset:256
	s_waitcnt lgkmcnt(0)
	v_add_f32_e32 v14, v18, v14
	s_or_b64 exec, exec, s[0:1]
	s_and_saveexec_b64 s[0:1], vcc
	s_cbranch_execz .LBB313_2135
.LBB313_2155:
	s_ashr_i32 s17, s16, 31
	s_lshl_b64 s[6:7], s[16:17], 2
	s_getpc_b64 s[8:9]
	s_add_u32 s8, s8, llvm.amdgcn.dynlds.offset.table@rel32@lo+4
	s_addc_u32 s9, s9, llvm.amdgcn.dynlds.offset.table@rel32@hi+12
	s_add_u32 s6, s6, s8
	s_addc_u32 s7, s7, s9
	s_load_dword s5, s[6:7], 0x0
	s_waitcnt lgkmcnt(0)
	v_lshl_add_u32 v18, v5, 2, s5
	ds_read_b32 v18, v18 offset:320
	s_waitcnt lgkmcnt(0)
	v_add_f32_e32 v15, v18, v15
	s_or_b64 exec, exec, s[0:1]
	s_and_saveexec_b64 s[0:1], vcc
	s_cbranch_execz .LBB313_2136
.LBB313_2156:
	s_ashr_i32 s17, s16, 31
	s_lshl_b64 s[6:7], s[16:17], 2
	s_getpc_b64 s[8:9]
	s_add_u32 s8, s8, llvm.amdgcn.dynlds.offset.table@rel32@lo+4
	s_addc_u32 s9, s9, llvm.amdgcn.dynlds.offset.table@rel32@hi+12
	s_add_u32 s6, s6, s8
	s_addc_u32 s7, s7, s9
	s_load_dword s5, s[6:7], 0x0
	s_waitcnt lgkmcnt(0)
	v_lshl_add_u32 v18, v5, 2, s5
	ds_read_b32 v18, v18 offset:384
	s_waitcnt lgkmcnt(0)
	v_add_f32_e32 v16, v18, v16
	s_or_b64 exec, exec, s[0:1]
	s_and_saveexec_b64 s[0:1], vcc
	s_cbranch_execz .LBB313_2137
.LBB313_2157:
	s_ashr_i32 s17, s16, 31
	s_lshl_b64 s[6:7], s[16:17], 2
	s_getpc_b64 s[8:9]
	s_add_u32 s8, s8, llvm.amdgcn.dynlds.offset.table@rel32@lo+4
	s_addc_u32 s9, s9, llvm.amdgcn.dynlds.offset.table@rel32@hi+12
	s_add_u32 s6, s6, s8
	s_addc_u32 s7, s7, s9
	s_load_dword s5, s[6:7], 0x0
	s_waitcnt lgkmcnt(0)
	v_lshl_add_u32 v18, v5, 2, s5
	ds_read_b32 v18, v18 offset:448
	s_waitcnt lgkmcnt(0)
	v_add_f32_e32 v17, v18, v17
	s_or_b64 exec, exec, s[0:1]
	s_and_saveexec_b64 s[0:1], vcc
	s_cbranch_execz .LBB313_2138
.LBB313_2158:
	s_ashr_i32 s17, s16, 31
	s_lshl_b64 s[6:7], s[16:17], 2
	s_getpc_b64 s[8:9]
	s_add_u32 s8, s8, llvm.amdgcn.dynlds.offset.table@rel32@lo+4
	s_addc_u32 s9, s9, llvm.amdgcn.dynlds.offset.table@rel32@hi+12
	s_add_u32 s6, s6, s8
	s_addc_u32 s7, s7, s9
	s_load_dword s5, s[6:7], 0x0
	s_waitcnt lgkmcnt(0)
	v_lshl_add_u32 v18, v5, 2, s5
	ds_read_b32 v18, v18 offset:512
	s_waitcnt lgkmcnt(0)
	v_add_f32_e32 v12, v18, v12
	s_or_b64 exec, exec, s[0:1]
	s_and_saveexec_b64 s[0:1], vcc
	s_cbranch_execz .LBB313_2139
.LBB313_2159:
	s_ashr_i32 s17, s16, 31
	s_lshl_b64 s[6:7], s[16:17], 2
	s_getpc_b64 s[8:9]
	s_add_u32 s8, s8, llvm.amdgcn.dynlds.offset.table@rel32@lo+4
	s_addc_u32 s9, s9, llvm.amdgcn.dynlds.offset.table@rel32@hi+12
	s_add_u32 s6, s6, s8
	s_addc_u32 s7, s7, s9
	s_load_dword s5, s[6:7], 0x0
	s_waitcnt lgkmcnt(0)
	v_lshl_add_u32 v18, v5, 2, s5
	ds_read_b32 v18, v18 offset:576
	s_waitcnt lgkmcnt(0)
	v_add_f32_e32 v13, v18, v13
	s_or_b64 exec, exec, s[0:1]
	s_and_saveexec_b64 s[0:1], vcc
	s_cbranch_execz .LBB313_2140
.LBB313_2160:
	s_ashr_i32 s17, s16, 31
	s_lshl_b64 s[6:7], s[16:17], 2
	s_getpc_b64 s[8:9]
	s_add_u32 s8, s8, llvm.amdgcn.dynlds.offset.table@rel32@lo+4
	s_addc_u32 s9, s9, llvm.amdgcn.dynlds.offset.table@rel32@hi+12
	s_add_u32 s6, s6, s8
	s_addc_u32 s7, s7, s9
	s_load_dword s5, s[6:7], 0x0
	s_waitcnt lgkmcnt(0)
	v_lshl_add_u32 v18, v5, 2, s5
	ds_read_b32 v18, v18 offset:640
	s_waitcnt lgkmcnt(0)
	v_add_f32_e32 v8, v18, v8
	s_or_b64 exec, exec, s[0:1]
	s_and_saveexec_b64 s[0:1], vcc
	s_cbranch_execz .LBB313_2141
.LBB313_2161:
	s_ashr_i32 s17, s16, 31
	s_lshl_b64 s[6:7], s[16:17], 2
	s_getpc_b64 s[8:9]
	s_add_u32 s8, s8, llvm.amdgcn.dynlds.offset.table@rel32@lo+4
	s_addc_u32 s9, s9, llvm.amdgcn.dynlds.offset.table@rel32@hi+12
	s_add_u32 s6, s6, s8
	s_addc_u32 s7, s7, s9
	s_load_dword s5, s[6:7], 0x0
	s_waitcnt lgkmcnt(0)
	v_lshl_add_u32 v18, v5, 2, s5
	ds_read_b32 v18, v18 offset:704
	s_waitcnt lgkmcnt(0)
	v_add_f32_e32 v9, v18, v9
	s_or_b64 exec, exec, s[0:1]
	s_and_saveexec_b64 s[0:1], vcc
	s_cbranch_execz .LBB313_2142
.LBB313_2162:
	s_ashr_i32 s17, s16, 31
	s_lshl_b64 s[6:7], s[16:17], 2
	s_getpc_b64 s[8:9]
	s_add_u32 s8, s8, llvm.amdgcn.dynlds.offset.table@rel32@lo+4
	s_addc_u32 s9, s9, llvm.amdgcn.dynlds.offset.table@rel32@hi+12
	s_add_u32 s6, s6, s8
	s_addc_u32 s7, s7, s9
	s_load_dword s5, s[6:7], 0x0
	s_waitcnt lgkmcnt(0)
	v_lshl_add_u32 v18, v5, 2, s5
	ds_read_b32 v18, v18 offset:768
	s_waitcnt lgkmcnt(0)
	v_add_f32_e32 v2, v18, v2
	s_or_b64 exec, exec, s[0:1]
	s_and_saveexec_b64 s[0:1], vcc
	s_cbranch_execz .LBB313_2143
.LBB313_2163:
	s_ashr_i32 s17, s16, 31
	s_lshl_b64 s[6:7], s[16:17], 2
	s_getpc_b64 s[8:9]
	s_add_u32 s8, s8, llvm.amdgcn.dynlds.offset.table@rel32@lo+4
	s_addc_u32 s9, s9, llvm.amdgcn.dynlds.offset.table@rel32@hi+12
	s_add_u32 s6, s6, s8
	s_addc_u32 s7, s7, s9
	s_load_dword s5, s[6:7], 0x0
	s_waitcnt lgkmcnt(0)
	v_lshl_add_u32 v18, v5, 2, s5
	ds_read_b32 v18, v18 offset:832
	s_waitcnt lgkmcnt(0)
	v_add_f32_e32 v3, v18, v3
	s_or_b64 exec, exec, s[0:1]
	s_and_saveexec_b64 s[0:1], vcc
	s_cbranch_execz .LBB313_2144
.LBB313_2164:
	s_ashr_i32 s17, s16, 31
	s_lshl_b64 s[6:7], s[16:17], 2
	s_getpc_b64 s[8:9]
	s_add_u32 s8, s8, llvm.amdgcn.dynlds.offset.table@rel32@lo+4
	s_addc_u32 s9, s9, llvm.amdgcn.dynlds.offset.table@rel32@hi+12
	s_add_u32 s6, s6, s8
	s_addc_u32 s7, s7, s9
	s_load_dword s5, s[6:7], 0x0
	s_waitcnt lgkmcnt(0)
	v_lshl_add_u32 v18, v5, 2, s5
	ds_read_b32 v18, v18 offset:896
	s_waitcnt lgkmcnt(0)
	v_add_f32_e32 v0, v18, v0
	s_or_b64 exec, exec, s[0:1]
	s_and_saveexec_b64 s[0:1], vcc
	s_cbranch_execnz .LBB313_2145
	s_branch .LBB313_2146
.Lfunc_end313:
	.size	_ZN4vllm22paged_attention_kernelIthLi256ELi32ELi128ELNS_18Fp8KVCacheDataTypeE1ELb0ELi512EEEvPfS2_PT_PKS3_PKT0_S9_ifPKiSB_iPKfiiiSD_SD_iiiii, .Lfunc_end313-_ZN4vllm22paged_attention_kernelIthLi256ELi32ELi128ELNS_18Fp8KVCacheDataTypeE1ELb0ELi512EEEvPfS2_PT_PKS3_PKT0_S9_ifPKiSB_iPKfiiiSD_SD_iiiii
                                        ; -- End function
	.section	.AMDGPU.csdata,"",@progbits
; Function info:
; codeLenInByte = 86848
; NumSgprs: 62
; NumVgprs: 64
; NumAgprs: 64
; TotalNumVgprs: 128
; ScratchSize: 688
; MemoryBound: 0
	.section	.text._ZN4vllm25paged_attention_v2_kernelIthLi256ELi32ELi128ELNS_18Fp8KVCacheDataTypeE1ELb0ELi512EEEvPfS2_PT_PKS3_PKT0_S9_ifPKiSB_iPKfiiiSD_SD_iiiii,"axG",@progbits,_ZN4vllm25paged_attention_v2_kernelIthLi256ELi32ELi128ELNS_18Fp8KVCacheDataTypeE1ELb0ELi512EEEvPfS2_PT_PKS3_PKT0_S9_ifPKiSB_iPKfiiiSD_SD_iiiii,comdat
	.protected	_ZN4vllm25paged_attention_v2_kernelIthLi256ELi32ELi128ELNS_18Fp8KVCacheDataTypeE1ELb0ELi512EEEvPfS2_PT_PKS3_PKT0_S9_ifPKiSB_iPKfiiiSD_SD_iiiii ; -- Begin function _ZN4vllm25paged_attention_v2_kernelIthLi256ELi32ELi128ELNS_18Fp8KVCacheDataTypeE1ELb0ELi512EEEvPfS2_PT_PKS3_PKT0_S9_ifPKiSB_iPKfiiiSD_SD_iiiii
	.globl	_ZN4vllm25paged_attention_v2_kernelIthLi256ELi32ELi128ELNS_18Fp8KVCacheDataTypeE1ELb0ELi512EEEvPfS2_PT_PKS3_PKT0_S9_ifPKiSB_iPKfiiiSD_SD_iiiii
	.p2align	8
	.type	_ZN4vllm25paged_attention_v2_kernelIthLi256ELi32ELi128ELNS_18Fp8KVCacheDataTypeE1ELb0ELi512EEEvPfS2_PT_PKS3_PKT0_S9_ifPKiSB_iPKfiiiSD_SD_iiiii,@function
_ZN4vllm25paged_attention_v2_kernelIthLi256ELi32ELi128ELNS_18Fp8KVCacheDataTypeE1ELb0ELi512EEEvPfS2_PT_PKS3_PKT0_S9_ifPKiSB_iPKfiiiSD_SD_iiiii: ; @_ZN4vllm25paged_attention_v2_kernelIthLi256ELi32ELi128ELNS_18Fp8KVCacheDataTypeE1ELb0ELi512EEEvPfS2_PT_PKS3_PKT0_S9_ifPKiSB_iPKfiiiSD_SD_iiiii
; %bb.0:
	s_load_dwordx8 s[24:31], s[0:1], 0x0
	s_load_dwordx8 s[16:23], s[0:1], 0x20
	s_load_dwordx2 s[6:7], s[0:1], 0x40
	s_load_dwordx2 s[10:11], s[0:1], 0x50
	s_load_dword s5, s[0:1], 0x48
	s_load_dwordx8 s[36:43], s[0:1], 0x58
	s_add_u32 s8, s0, 0x90
	s_addc_u32 s9, s1, 0
	s_mov_b32 s12, s2
	s_mov_b32 s13, s3
	;; [unrolled: 1-line block ×4, first 2 shown]
	v_mov_b32_e32 v31, v0
	s_waitcnt lgkmcnt(0)
	v_mov_b32_e32 v0, s24
	v_mov_b32_e32 v1, s25
	;; [unrolled: 1-line block ×28, first 2 shown]
	s_mov_b32 s32, 0
	s_getpc_b64 s[0:1]
	s_add_u32 s0, s0, _ZN4vllm22paged_attention_kernelIthLi256ELi32ELi128ELNS_18Fp8KVCacheDataTypeE1ELb0ELi512EEEvPfS2_PT_PKS3_PKT0_S9_ifPKiSB_iPKfiiiSD_SD_iiiii@rel32@lo+4
	s_addc_u32 s1, s1, _ZN4vllm22paged_attention_kernelIthLi256ELi32ELi128ELNS_18Fp8KVCacheDataTypeE1ELb0ELi512EEEvPfS2_PT_PKS3_PKT0_S9_ifPKiSB_iPKfiiiSD_SD_iiiii@rel32@hi+12
	s_swappc_b64 s[30:31], s[0:1]
	s_endpgm
	.section	.rodata,"a",@progbits
	.p2align	6, 0x0
	.amdhsa_kernel _ZN4vllm25paged_attention_v2_kernelIthLi256ELi32ELi128ELNS_18Fp8KVCacheDataTypeE1ELb0ELi512EEEvPfS2_PT_PKS3_PKT0_S9_ifPKiSB_iPKfiiiSD_SD_iiiii
		.amdhsa_group_segment_fixed_size 528
		.amdhsa_private_segment_fixed_size 688
		.amdhsa_kernarg_size 400
		.amdhsa_user_sgpr_count 2
		.amdhsa_user_sgpr_dispatch_ptr 0
		.amdhsa_user_sgpr_queue_ptr 0
		.amdhsa_user_sgpr_kernarg_segment_ptr 1
		.amdhsa_user_sgpr_dispatch_id 0
		.amdhsa_user_sgpr_kernarg_preload_length 0
		.amdhsa_user_sgpr_kernarg_preload_offset 0
		.amdhsa_user_sgpr_private_segment_size 0
		.amdhsa_uses_dynamic_stack 0
		.amdhsa_enable_private_segment 1
		.amdhsa_system_sgpr_workgroup_id_x 1
		.amdhsa_system_sgpr_workgroup_id_y 1
		.amdhsa_system_sgpr_workgroup_id_z 1
		.amdhsa_system_sgpr_workgroup_info 0
		.amdhsa_system_vgpr_workitem_id 0
		.amdhsa_next_free_vgpr 128
		.amdhsa_next_free_sgpr 56
		.amdhsa_accum_offset 64
		.amdhsa_reserve_vcc 1
		.amdhsa_float_round_mode_32 0
		.amdhsa_float_round_mode_16_64 0
		.amdhsa_float_denorm_mode_32 3
		.amdhsa_float_denorm_mode_16_64 3
		.amdhsa_dx10_clamp 1
		.amdhsa_ieee_mode 1
		.amdhsa_fp16_overflow 0
		.amdhsa_tg_split 0
		.amdhsa_exception_fp_ieee_invalid_op 0
		.amdhsa_exception_fp_denorm_src 0
		.amdhsa_exception_fp_ieee_div_zero 0
		.amdhsa_exception_fp_ieee_overflow 0
		.amdhsa_exception_fp_ieee_underflow 0
		.amdhsa_exception_fp_ieee_inexact 0
		.amdhsa_exception_int_div_zero 0
	.end_amdhsa_kernel
	.section	.text._ZN4vllm25paged_attention_v2_kernelIthLi256ELi32ELi128ELNS_18Fp8KVCacheDataTypeE1ELb0ELi512EEEvPfS2_PT_PKS3_PKT0_S9_ifPKiSB_iPKfiiiSD_SD_iiiii,"axG",@progbits,_ZN4vllm25paged_attention_v2_kernelIthLi256ELi32ELi128ELNS_18Fp8KVCacheDataTypeE1ELb0ELi512EEEvPfS2_PT_PKS3_PKT0_S9_ifPKiSB_iPKfiiiSD_SD_iiiii,comdat
.Lfunc_end314:
	.size	_ZN4vllm25paged_attention_v2_kernelIthLi256ELi32ELi128ELNS_18Fp8KVCacheDataTypeE1ELb0ELi512EEEvPfS2_PT_PKS3_PKT0_S9_ifPKiSB_iPKfiiiSD_SD_iiiii, .Lfunc_end314-_ZN4vllm25paged_attention_v2_kernelIthLi256ELi32ELi128ELNS_18Fp8KVCacheDataTypeE1ELb0ELi512EEEvPfS2_PT_PKS3_PKT0_S9_ifPKiSB_iPKfiiiSD_SD_iiiii
                                        ; -- End function
	.section	.AMDGPU.csdata,"",@progbits
; Kernel info:
; codeLenInByte = 228
; NumSgprs: 62
; NumVgprs: 64
; NumAgprs: 64
; TotalNumVgprs: 128
; ScratchSize: 688
; MemoryBound: 0
; FloatMode: 240
; IeeeMode: 1
; LDSByteSize: 528 bytes/workgroup (compile time only)
; SGPRBlocks: 7
; VGPRBlocks: 15
; NumSGPRsForWavesPerEU: 62
; NumVGPRsForWavesPerEU: 128
; AccumOffset: 64
; Occupancy: 4
; WaveLimiterHint : 1
; COMPUTE_PGM_RSRC2:SCRATCH_EN: 1
; COMPUTE_PGM_RSRC2:USER_SGPR: 2
; COMPUTE_PGM_RSRC2:TRAP_HANDLER: 0
; COMPUTE_PGM_RSRC2:TGID_X_EN: 1
; COMPUTE_PGM_RSRC2:TGID_Y_EN: 1
; COMPUTE_PGM_RSRC2:TGID_Z_EN: 1
; COMPUTE_PGM_RSRC2:TIDIG_COMP_CNT: 0
; COMPUTE_PGM_RSRC3_GFX90A:ACCUM_OFFSET: 15
; COMPUTE_PGM_RSRC3_GFX90A:TG_SPLIT: 0
	.section	.text._ZN4vllm25paged_attention_v2_kernelI14__hip_bfloat16hLi32ELi8ELi128ELNS_18Fp8KVCacheDataTypeE1ELb1ELi512EEEvPfS3_PT_PKS4_PKT0_SA_ifPKiSC_iPKfiiiSE_SE_iiiii,"axG",@progbits,_ZN4vllm25paged_attention_v2_kernelI14__hip_bfloat16hLi32ELi8ELi128ELNS_18Fp8KVCacheDataTypeE1ELb1ELi512EEEvPfS3_PT_PKS4_PKT0_SA_ifPKiSC_iPKfiiiSE_SE_iiiii,comdat
	.protected	_ZN4vllm25paged_attention_v2_kernelI14__hip_bfloat16hLi32ELi8ELi128ELNS_18Fp8KVCacheDataTypeE1ELb1ELi512EEEvPfS3_PT_PKS4_PKT0_SA_ifPKiSC_iPKfiiiSE_SE_iiiii ; -- Begin function _ZN4vllm25paged_attention_v2_kernelI14__hip_bfloat16hLi32ELi8ELi128ELNS_18Fp8KVCacheDataTypeE1ELb1ELi512EEEvPfS3_PT_PKS4_PKT0_SA_ifPKiSC_iPKfiiiSE_SE_iiiii
	.globl	_ZN4vllm25paged_attention_v2_kernelI14__hip_bfloat16hLi32ELi8ELi128ELNS_18Fp8KVCacheDataTypeE1ELb1ELi512EEEvPfS3_PT_PKS4_PKT0_SA_ifPKiSC_iPKfiiiSE_SE_iiiii
	.p2align	8
	.type	_ZN4vllm25paged_attention_v2_kernelI14__hip_bfloat16hLi32ELi8ELi128ELNS_18Fp8KVCacheDataTypeE1ELb1ELi512EEEvPfS3_PT_PKS4_PKT0_SA_ifPKiSC_iPKfiiiSE_SE_iiiii,@function
_ZN4vllm25paged_attention_v2_kernelI14__hip_bfloat16hLi32ELi8ELi128ELNS_18Fp8KVCacheDataTypeE1ELb1ELi512EEEvPfS3_PT_PKS4_PKT0_SA_ifPKiSC_iPKfiiiSE_SE_iiiii: ; @_ZN4vllm25paged_attention_v2_kernelI14__hip_bfloat16hLi32ELi8ELi128ELNS_18Fp8KVCacheDataTypeE1ELb1ELi512EEEvPfS3_PT_PKS4_PKT0_SA_ifPKiSC_iPKfiiiSE_SE_iiiii
; %bb.0:
	s_load_dwordx2 s[6:7], s[0:1], 0x40
	s_mov_b32 s34, s3
	s_ashr_i32 s35, s3, 31
	s_lshl_b64 s[8:9], s[34:35], 2
	s_waitcnt lgkmcnt(0)
	s_add_u32 s6, s6, s8
	s_addc_u32 s7, s7, s9
	s_load_dword s33, s[6:7], 0x0
	s_lshl_b32 s50, s4, 9
	s_waitcnt lgkmcnt(0)
	s_cmp_ge_i32 s50, s33
	s_cbranch_scc1 .LBB315_179
; %bb.1:
	s_load_dword s5, s[0:1], 0x90
	s_load_dwordx2 s[42:43], s[0:1], 0x30
	s_mov_b32 s51, 0
	s_waitcnt lgkmcnt(0)
	s_abs_i32 s7, s5
	s_abs_i32 s3, s42
	v_cvt_f32_u32_e32 v1, s3
	s_sub_i32 s8, 0, s3
	s_xor_b32 s6, s5, s42
	s_ashr_i32 s6, s6, 31
	v_rcp_iflag_f32_e32 v1, v1
	s_nop 0
	v_mul_f32_e32 v1, 0x4f7ffffe, v1
	v_cvt_u32_f32_e32 v1, v1
	s_nop 0
	v_readfirstlane_b32 s9, v1
	s_mul_i32 s8, s8, s9
	s_mul_hi_u32 s8, s9, s8
	s_add_i32 s9, s9, s8
	s_mul_hi_u32 s8, s7, s9
	s_mul_i32 s9, s8, s3
	s_sub_i32 s7, s7, s9
	s_add_i32 s10, s8, 1
	s_sub_i32 s9, s7, s3
	s_cmp_ge_u32 s7, s3
	s_cselect_b32 s8, s10, s8
	s_cselect_b32 s7, s9, s7
	s_add_i32 s9, s8, 1
	s_cmp_ge_u32 s7, s3
	s_cselect_b32 s3, s9, s8
	s_xor_b32 s3, s3, s6
	s_sub_i32 s11, s3, s6
	s_abs_i32 s8, s11
	v_cvt_f32_u32_e32 v1, s8
	s_load_dwordx2 s[6:7], s[0:1], 0x50
	s_sub_i32 s3, 0, s8
	s_abs_i32 s9, s2
	v_rcp_iflag_f32_e32 v1, v1
	s_nop 0
	v_mul_f32_e32 v1, 0x4f7ffffe, v1
	v_cvt_u32_f32_e32 v1, v1
	s_nop 0
	v_readfirstlane_b32 s10, v1
	s_mul_i32 s3, s3, s10
	s_mul_hi_u32 s3, s10, s3
	s_add_i32 s10, s10, s3
	s_waitcnt lgkmcnt(0)
	s_cmp_eq_u64 s[6:7], 0
	s_mul_hi_u32 s10, s9, s10
	s_cbranch_scc1 .LBB315_3
; %bb.2:
	s_ashr_i32 s3, s2, 31
	s_lshl_b64 s[12:13], s[2:3], 2
	s_add_u32 s6, s6, s12
	s_addc_u32 s7, s7, s13
	s_load_dword s51, s[6:7], 0x0
.LBB315_3:
	s_load_dwordx4 s[16:19], s[0:1], 0x58
	s_ashr_i32 s3, s2, 31
	s_ashr_i32 s11, s11, 31
	v_and_b32_e32 v2, 7, v0
	s_lshl_b32 s28, s2, 5
	v_cmp_gt_u32_e32 vcc, 32, v0
	s_and_saveexec_b64 s[6:7], vcc
	s_cbranch_execz .LBB315_5
; %bb.4:
	s_load_dwordx2 s[12:13], s[0:1], 0x18
	s_waitcnt lgkmcnt(0)
	s_mul_i32 s14, s34, s16
	s_ashr_i32 s15, s14, 31
	s_lshl_b64 s[14:15], s[14:15], 1
	v_lshlrev_b32_e32 v1, 1, v0
	s_add_u32 s14, s12, s14
	s_addc_u32 s15, s13, s15
	s_ashr_i32 s29, s28, 31
	s_lshl_b64 s[12:13], s[28:29], 1
	s_add_u32 s12, s14, s12
	s_addc_u32 s13, s15, s13
	global_load_ushort v1, v1, s[12:13]
	v_lshrrev_b32_e32 v3, 2, v0
	v_and_b32_e32 v3, 0xfe, v3
	v_lshl_add_u32 v3, v2, 3, v3
	s_waitcnt vmcnt(0)
	ds_write_b16 v3, v1
.LBB315_5:
	s_or_b64 exec, exec, s[6:7]
	s_mul_i32 s6, s10, s8
	s_sub_i32 s6, s9, s6
	s_xor_b32 s3, s3, s11
	s_add_i32 s7, s10, 1
	s_sub_i32 s9, s6, s8
	s_load_dwordx4 s[20:23], s[0:1], 0x78
	s_cmp_ge_u32 s6, s8
	s_cselect_b32 s7, s7, s10
	s_cselect_b32 s6, s9, s6
	s_add_i32 s9, s7, 1
	s_cmp_ge_u32 s6, s8
	s_cselect_b32 s6, s9, s7
	s_load_dword s9, s[0:1], 0x88
	s_waitcnt lgkmcnt(0)
	s_abs_i32 s29, s23
	v_cvt_f32_u32_e32 v1, s29
	s_xor_b32 s6, s6, s3
	s_sub_i32 s49, s6, s3
	s_sub_i32 s6, 0, s29
	v_rcp_iflag_f32_e32 v1, v1
	s_add_i32 s10, s33, -1
	s_abs_i32 s3, s10
	v_mul_f32_e32 v1, 0x4f7ffffe, v1
	v_cvt_u32_f32_e32 v1, v1
	s_barrier
	v_readfirstlane_b32 s35, v1
	s_mul_i32 s6, s6, s35
	s_mul_hi_u32 s6, s35, s6
	s_add_i32 s35, s35, s6
	s_cmp_lt_i32 s9, 0
	s_mul_hi_u32 s8, s3, s35
	s_cbranch_scc0 .LBB315_7
; %bb.6:
	s_mul_i32 s6, s20, s42
	s_add_i32 s6, s49, s6
	s_mul_i32 s6, s6, s9
	s_sub_i32 s42, 1, s6
	s_mov_b64 s[6:7], 0
	s_branch .LBB315_8
.LBB315_7:
	s_mov_b64 s[6:7], -1
                                        ; implicit-def: $sgpr42
.LBB315_8:
	s_load_dwordx2 s[36:37], s[0:1], 0x38
	s_ashr_i32 s10, s10, 31
	s_andn2_b64 vcc, exec, s[6:7]
	s_ashr_i32 s23, s23, 31
	s_cbranch_vccnz .LBB315_10
; %bb.9:
	s_mul_i32 s6, s5, s20
	s_add_i32 s6, s6, s2
	s_mul_i32 s6, s6, s9
	s_add_i32 s42, s6, 1
.LBB315_10:
	s_load_dwordx2 s[40:41], s[0:1], 0x28
	s_load_dword s6, s[0:1], 0x48
	s_load_dwordx4 s[24:27], s[0:1], 0x0
	s_load_dwordx2 s[30:31], s[0:1], 0x10
	s_load_dword s20, s[0:1], 0x98
	s_load_dwordx4 s[12:15], s[0:1], 0x68
	s_mul_i32 s7, s8, s29
	s_waitcnt lgkmcnt(0)
	s_mul_i32 s38, s34, s6
	s_sub_i32 s3, s3, s7
	s_ashr_i32 s39, s38, 31
	s_xor_b32 s6, s10, s23
	s_add_i32 s7, s8, 1
	s_sub_i32 s9, s3, s29
	s_cmp_ge_u32 s3, s29
	s_cselect_b32 s7, s7, s8
	s_cselect_b32 s3, s9, s3
	s_add_i32 s8, s7, 1
	s_cmp_ge_u32 s3, s29
	s_cselect_b32 s3, s8, s7
	s_xor_b32 s3, s3, s6
	s_sub_i32 s16, s3, s6
	s_add_i32 s3, s33, 7
	s_ashr_i32 s6, s3, 31
	s_lshr_b32 s6, s6, 29
	s_add_i32 s3, s3, s6
	s_lshl_b32 s52, s4, 6
	s_ashr_i32 s3, s3, 3
	s_add_i32 s6, s52, 64
	v_lshrrev_b32_e32 v20, 6, v0
	s_min_i32 s48, s6, s3
	v_or_b32_e32 v10, s52, v20
	v_cmp_gt_i32_e64 s[8:9], s48, v10
	v_mov_b32_e32 v17, 0xff7fffff
	s_mul_i32 s49, s49, s18
	v_ashrrev_i32_e32 v11, 31, v10
	v_lshl_add_u32 v1, v20, 3, s50
	v_mbcnt_lo_u32_b32 v14, -1, 0
	s_and_saveexec_b64 s[18:19], s[8:9]
	s_cbranch_execz .LBB315_36
; %bb.11:
	s_load_dwordx2 s[0:1], s[0:1], 0x20
	s_sub_i32 s53, s16, s21
	s_ashr_i32 s6, s49, 31
	v_bfe_u32 v15, v0, 3, 3
	v_mov_b32_e32 v3, 0
	s_waitcnt lgkmcnt(0)
	s_add_u32 s0, s0, s49
	s_addc_u32 s1, s1, s6
	s_abs_i32 s54, s22
	v_cvt_f32_u32_e32 v4, s54
	v_lshlrev_b32_e32 v8, 2, v15
	v_lshl_or_b32 v8, v20, 5, v8
	v_add_u32_e32 v21, 0x50, v8
	v_rcp_iflag_f32_e32 v5, v4
	v_lshlrev_b32_e32 v4, 4, v15
	v_subrev_u32_e32 v8, s33, v15
	v_cmp_eq_u32_e32 vcc, 0, v2
	v_mul_f32_e32 v5, 0x4f7ffffe, v5
	v_cvt_u32_f32_e32 v6, v5
	v_mov_b32_e32 v5, v3
	v_lshl_add_u64 v[4:5], s[0:1], 0, v[4:5]
	s_sub_i32 s0, 0, s54
	v_mul_lo_u32 v7, s0, v6
	s_lshl_b64 s[0:1], s[38:39], 2
	s_add_u32 s0, s36, s0
	v_mul_hi_u32 v7, v6, v7
	s_addc_u32 s1, s37, s1
	s_mov_b32 s55, s17
	v_lshlrev_b32_e32 v16, 3, v2
	v_cmp_neq_f32_e64 s[6:7], s51, 0
	v_add_u32_e32 v18, v6, v7
	v_lshl_add_u64 v[6:7], v[10:11], 2, s[0:1]
	v_lshl_add_u32 v19, v20, 3, s50
	v_add_u32_e32 v22, 1, v8
	s_mov_b64 s[44:45], 0
	v_mov_b32_e32 v23, 0xff7fffff
	s_mov_b32 s56, 0x7f800000
	s_movk_i32 s57, 0x7fff
	v_mbcnt_hi_u32_b32 v24, -1, v14
	v_mov_b32_e32 v17, 0xff7fffff
	v_mov_b32_e32 v25, v10
	s_branch .LBB315_14
.LBB315_12:                             ;   in Loop: Header=BB315_14 Depth=1
	s_or_b64 exec, exec, s[46:47]
.LBB315_13:                             ;   in Loop: Header=BB315_14 Depth=1
	s_or_b64 exec, exec, s[10:11]
	v_add_u32_e32 v25, 2, v25
	v_cmp_le_i32_e64 s[0:1], s48, v25
	v_lshl_add_u64 v[6:7], v[6:7], 0, 8
	v_add_u32_e32 v19, 16, v19
	s_or_b64 s[44:45], s[0:1], s[44:45]
	v_add_u32_e32 v21, 64, v21
	s_andn2_b64 exec, exec, s[44:45]
	s_cbranch_execz .LBB315_35
.LBB315_14:                             ; =>This Inner Loop Header: Depth=1
	s_waitcnt lgkmcnt(0)
	v_sub_u32_e32 v9, 0, v19
	v_max_i32_e32 v9, v19, v9
	v_mul_hi_u32 v12, v9, s35
	v_mul_lo_u32 v13, v12, s29
	v_sub_u32_e32 v9, v9, v13
	v_add_u32_e32 v13, 1, v12
	v_cmp_le_u32_e64 s[0:1], s29, v9
	v_ashrrev_i32_e32 v8, 31, v19
	v_xor_b32_e32 v8, s23, v8
	v_cndmask_b32_e64 v12, v12, v13, s[0:1]
	v_subrev_u32_e32 v13, s29, v9
	v_cndmask_b32_e64 v9, v9, v13, s[0:1]
	v_add_u32_e32 v13, 1, v12
	v_cmp_le_u32_e64 s[0:1], s29, v9
	s_nop 1
	v_cndmask_b32_e64 v9, v12, v13, s[0:1]
	v_xor_b32_e32 v9, v9, v8
	v_sub_u32_e32 v8, v9, v8
	v_add_u32_e32 v9, s42, v8
	v_sub_u32_e32 v13, 0, v9
	v_ashrrev_i32_e32 v12, 31, v9
	v_max_i32_e32 v9, v9, v13
	v_mul_hi_u32 v13, v9, v18
	v_mul_lo_u32 v13, v13, s54
	v_sub_u32_e32 v9, v9, v13
	v_subrev_u32_e32 v13, s54, v9
	v_cmp_le_u32_e64 s[0:1], s54, v9
	v_cmp_ge_i32_e64 s[10:11], s53, v8
	s_nop 0
	v_cndmask_b32_e64 v9, v9, v13, s[0:1]
	v_subrev_u32_e32 v13, s54, v9
	v_cmp_le_u32_e64 s[0:1], s54, v9
	s_nop 1
	v_cndmask_b32_e64 v9, v9, v13, s[0:1]
	v_xor_b32_e32 v9, v9, v12
	v_sub_u32_e32 v9, v9, v12
	v_cmp_ne_u32_e64 s[0:1], 0, v9
	s_and_b64 s[0:1], s[0:1], s[10:11]
	s_and_b64 s[46:47], vcc, s[0:1]
	s_and_saveexec_b64 s[10:11], s[46:47]
	s_cbranch_execz .LBB315_16
; %bb.15:                               ;   in Loop: Header=BB315_14 Depth=1
	ds_write_b32 v21, v23
.LBB315_16:                             ;   in Loop: Header=BB315_14 Depth=1
	s_or_b64 exec, exec, s[10:11]
	s_xor_b64 s[0:1], s[0:1], -1
	s_and_saveexec_b64 s[10:11], s[0:1]
	s_cbranch_execz .LBB315_13
; %bb.17:                               ;   in Loop: Header=BB315_14 Depth=1
	global_load_dword v8, v[6:7], off
	s_load_dword s58, s[12:13], 0x0
	s_waitcnt vmcnt(0)
	v_mad_i64_i32 v[8:9], s[0:1], v8, s55, v[4:5]
	v_lshl_add_u64 v[12:13], v[8:9], 0, v[2:3]
	global_load_ubyte v8, v[12:13], off
	s_waitcnt vmcnt(0)
	v_cvt_f32_fp8_sdwa v26, v8 src0_sel:BYTE_0
	ds_read_b64 v[8:9], v16
	s_waitcnt lgkmcnt(0)
	v_mul_f32_e32 v27, s58, v26
	v_and_b32_e32 v26, 0x7f800000, v27
	v_cmp_ne_u32_e64 s[0:1], s56, v26
                                        ; implicit-def: $vgpr26
	s_and_saveexec_b64 s[46:47], s[0:1]
	s_xor_b64 s[0:1], exec, s[46:47]
; %bb.18:                               ;   in Loop: Header=BB315_14 Depth=1
	v_bfe_u32 v26, v27, 16, 1
	v_add3_u32 v26, v27, v26, s57
                                        ; implicit-def: $vgpr27
; %bb.19:                               ;   in Loop: Header=BB315_14 Depth=1
	s_andn2_saveexec_b64 s[46:47], s[0:1]
; %bb.20:                               ;   in Loop: Header=BB315_14 Depth=1
	v_or_b32_e32 v26, 0x10000, v27
	v_cmp_eq_u32_sdwa s[0:1], v27, v3 src0_sel:WORD_0 src1_sel:DWORD
	s_nop 1
	v_cndmask_b32_e64 v26, v26, v27, s[0:1]
; %bb.21:                               ;   in Loop: Header=BB315_14 Depth=1
	s_or_b64 exec, exec, s[46:47]
	global_load_ubyte v27, v[12:13], off offset:8
	s_waitcnt vmcnt(0)
	v_cvt_f32_fp8_sdwa v27, v27 src0_sel:BYTE_0
	s_nop 0
	v_mul_f32_e32 v28, s58, v27
	v_and_b32_e32 v27, 0x7f800000, v28
	v_cmp_ne_u32_e64 s[0:1], s56, v27
                                        ; implicit-def: $vgpr27
	s_and_saveexec_b64 s[46:47], s[0:1]
	s_xor_b64 s[0:1], exec, s[46:47]
; %bb.22:                               ;   in Loop: Header=BB315_14 Depth=1
	v_bfe_u32 v27, v28, 16, 1
	v_add3_u32 v27, v28, v27, s57
                                        ; implicit-def: $vgpr28
; %bb.23:                               ;   in Loop: Header=BB315_14 Depth=1
	s_andn2_saveexec_b64 s[46:47], s[0:1]
; %bb.24:                               ;   in Loop: Header=BB315_14 Depth=1
	v_or_b32_e32 v27, 0x10000, v28
	v_cmp_eq_u32_sdwa s[0:1], v28, v3 src0_sel:WORD_0 src1_sel:DWORD
	s_nop 1
	v_cndmask_b32_e64 v27, v27, v28, s[0:1]
; %bb.25:                               ;   in Loop: Header=BB315_14 Depth=1
	s_or_b64 exec, exec, s[46:47]
	global_load_ubyte v28, v[12:13], off offset:128
	s_waitcnt vmcnt(0)
	v_cvt_f32_fp8_sdwa v28, v28 src0_sel:BYTE_0
	s_nop 0
	v_mul_f32_e32 v29, s58, v28
	v_and_b32_e32 v28, 0x7f800000, v29
	v_cmp_ne_u32_e64 s[0:1], s56, v28
                                        ; implicit-def: $vgpr28
	s_and_saveexec_b64 s[46:47], s[0:1]
	s_xor_b64 s[0:1], exec, s[46:47]
; %bb.26:                               ;   in Loop: Header=BB315_14 Depth=1
	v_bfe_u32 v28, v29, 16, 1
	v_add3_u32 v28, v29, v28, s57
                                        ; implicit-def: $vgpr29
; %bb.27:                               ;   in Loop: Header=BB315_14 Depth=1
	s_andn2_saveexec_b64 s[46:47], s[0:1]
; %bb.28:                               ;   in Loop: Header=BB315_14 Depth=1
	v_or_b32_e32 v28, 0x10000, v29
	v_cmp_eq_u32_sdwa s[0:1], v29, v3 src0_sel:WORD_0 src1_sel:DWORD
	s_nop 1
	v_cndmask_b32_e64 v28, v28, v29, s[0:1]
; %bb.29:                               ;   in Loop: Header=BB315_14 Depth=1
	s_or_b64 exec, exec, s[46:47]
	global_load_ubyte v12, v[12:13], off offset:136
	s_waitcnt vmcnt(0)
	v_cvt_f32_fp8_sdwa v12, v12 src0_sel:BYTE_0
	s_nop 0
	v_mul_f32_e32 v13, s58, v12
	v_and_b32_e32 v12, 0x7f800000, v13
	v_cmp_ne_u32_e64 s[0:1], s56, v12
                                        ; implicit-def: $vgpr12
	s_and_saveexec_b64 s[46:47], s[0:1]
	s_xor_b64 s[0:1], exec, s[46:47]
; %bb.30:                               ;   in Loop: Header=BB315_14 Depth=1
	v_bfe_u32 v12, v13, 16, 1
	v_add3_u32 v12, v13, v12, s57
                                        ; implicit-def: $vgpr13
; %bb.31:                               ;   in Loop: Header=BB315_14 Depth=1
	s_andn2_saveexec_b64 s[46:47], s[0:1]
; %bb.32:                               ;   in Loop: Header=BB315_14 Depth=1
	v_or_b32_e32 v12, 0x10000, v13
	v_cmp_eq_u32_sdwa s[0:1], v13, v3 src0_sel:WORD_0 src1_sel:DWORD
	s_nop 1
	v_cndmask_b32_e64 v12, v12, v13, s[0:1]
; %bb.33:                               ;   in Loop: Header=BB315_14 Depth=1
	s_or_b64 exec, exec, s[46:47]
	v_and_b32_e32 v13, 0xffff0000, v28
	v_and_b32_e32 v27, 0xffff0000, v27
	v_lshlrev_b32_e32 v28, 16, v8
	v_and_b32_e32 v8, 0xffff0000, v8
	v_and_b32_e32 v30, 64, v24
	;; [unrolled: 1-line block ×3, first 2 shown]
	v_add_u32_e32 v30, 64, v30
	v_xor_b32_e32 v31, 4, v24
	v_mul_f32_e32 v8, v8, v27
	v_lshlrev_b32_e32 v29, 16, v9
	v_cmp_lt_i32_e64 s[0:1], v31, v30
	v_fmac_f32_e32 v8, v28, v26
	v_and_b32_e32 v9, 0xffff0000, v9
	v_cndmask_b32_e64 v31, v24, v31, s[0:1]
	v_and_b32_e32 v12, 0xffff0000, v12
	v_fmac_f32_e32 v8, v29, v13
	v_lshlrev_b32_e32 v31, 2, v31
	v_fmac_f32_e32 v8, v9, v12
	ds_bpermute_b32 v9, v31, v8
	v_xor_b32_e32 v12, 2, v24
	v_cmp_lt_i32_e64 s[0:1], v12, v30
	s_waitcnt lgkmcnt(0)
	v_add_f32_e32 v8, v8, v9
	v_cndmask_b32_e64 v12, v24, v12, s[0:1]
	v_lshlrev_b32_e32 v12, 2, v12
	ds_bpermute_b32 v9, v12, v8
	v_xor_b32_e32 v12, 1, v24
	v_cmp_lt_i32_e64 s[0:1], v12, v30
	s_waitcnt lgkmcnt(0)
	v_add_f32_e32 v8, v8, v9
	v_cndmask_b32_e64 v12, v24, v12, s[0:1]
	v_lshlrev_b32_e32 v12, 2, v12
	ds_bpermute_b32 v9, v12, v8
	s_and_saveexec_b64 s[46:47], vcc
	s_cbranch_execz .LBB315_12
; %bb.34:                               ;   in Loop: Header=BB315_14 Depth=1
	v_add_u32_e32 v12, v22, v19
	v_cvt_f32_i32_e32 v12, v12
	s_waitcnt lgkmcnt(0)
	v_add_f32_e32 v8, v8, v9
	v_add_u32_e32 v13, v15, v19
	v_cmp_gt_i32_e64 s[0:1], s33, v13
	v_mul_f32_e32 v9, s51, v12
	v_cndmask_b32_e64 v9, 0, v9, s[6:7]
	v_fmac_f32_e32 v9, s43, v8
	v_cndmask_b32_e64 v8, 0, v9, s[0:1]
	ds_write_b32 v21, v8
	v_max_f32_e32 v8, v17, v17
	v_max_f32_e32 v8, v8, v9
	v_cndmask_b32_e64 v17, v17, v8, s[0:1]
	s_branch .LBB315_12
.LBB315_35:
	s_or_b64 exec, exec, s[44:45]
.LBB315_36:
	s_or_b64 exec, exec, s[18:19]
	v_mbcnt_hi_u32_b32 v2, -1, v14
	v_and_b32_e32 v3, 64, v2
	v_add_u32_e32 v3, 64, v3
	v_xor_b32_e32 v4, 32, v2
	v_cmp_lt_i32_e32 vcc, v4, v3
	v_xor_b32_e32 v7, 16, v2
	v_max_f32_e32 v5, v17, v17
	v_cndmask_b32_e32 v4, v2, v4, vcc
	v_lshlrev_b32_e32 v6, 2, v4
	ds_bpermute_b32 v4, v6, v17
	v_cmp_lt_i32_e32 vcc, v7, v3
	v_and_b32_e32 v18, 63, v0
	s_waitcnt lgkmcnt(0)
	v_max_f32_e32 v4, v4, v4
	v_max_f32_e32 v4, v5, v4
	v_cndmask_b32_e32 v5, v2, v7, vcc
	v_lshlrev_b32_e32 v8, 2, v5
	ds_bpermute_b32 v5, v8, v4
	v_xor_b32_e32 v7, 8, v2
	v_cmp_lt_i32_e32 vcc, v7, v3
	s_waitcnt lgkmcnt(0)
	v_max_f32_e32 v5, v5, v5
	v_max_f32_e32 v4, v4, v5
	v_cndmask_b32_e32 v5, v2, v7, vcc
	v_lshlrev_b32_e32 v9, 2, v5
	ds_bpermute_b32 v7, v9, v4
	v_cmp_eq_u32_e32 vcc, 0, v18
	v_lshlrev_b32_e32 v5, 2, v20
	s_and_saveexec_b64 s[0:1], vcc
	s_cbranch_execz .LBB315_38
; %bb.37:
	s_waitcnt lgkmcnt(0)
	v_max_f32_e32 v7, v7, v7
	v_max_f32_e32 v4, v4, v4
	;; [unrolled: 1-line block ×3, first 2 shown]
	ds_write_b32 v5, v4 offset:64
.LBB315_38:
	s_or_b64 exec, exec, s[0:1]
	v_cmp_gt_u32_e64 s[0:1], 2, v18
	v_mov_b32_e32 v4, 0xff7fffff
	s_waitcnt lgkmcnt(0)
	v_lshlrev_b32_e32 v7, 2, v18
	s_barrier
	s_and_saveexec_b64 s[6:7], s[0:1]
	s_cbranch_execz .LBB315_40
; %bb.39:
	ds_read_b32 v4, v7 offset:64
.LBB315_40:
	s_or_b64 exec, exec, s[6:7]
	v_xor_b32_e32 v12, 1, v2
	v_cmp_lt_i32_e64 s[6:7], v12, v3
	v_mov_b32_e32 v14, 0
	s_nop 0
	v_cndmask_b32_e64 v12, v2, v12, s[6:7]
	v_lshlrev_b32_e32 v12, 2, v12
	s_waitcnt lgkmcnt(0)
	ds_bpermute_b32 v13, v12, v4
	v_max_f32_e32 v4, v4, v4
	s_sub_i32 s6, s48, s52
	s_lshl_b32 s6, s6, 3
	s_add_i32 s6, s6, s50
	s_waitcnt lgkmcnt(0)
	v_max_f32_e32 v13, v13, v13
	v_max_f32_e32 v4, v4, v13
	v_lshlrev_b32_e32 v13, 2, v2
	v_and_b32_e32 v13, 0x100, v13
	ds_bpermute_b32 v4, v13, v4
	s_min_i32 s44, s6, s33
	s_sub_i32 s43, s44, s50
	v_cmp_gt_i32_e64 s[6:7], s43, v0
	s_and_saveexec_b64 s[12:13], s[6:7]
	s_cbranch_execz .LBB315_44
; %bb.41:
	v_mov_b32_e32 v14, 0x50
	v_lshl_add_u32 v15, v0, 2, v14
	s_mov_b64 s[18:19], 0
	v_mov_b32_e32 v14, 0
	v_mov_b32_e32 v16, v0
.LBB315_42:                             ; =>This Inner Loop Header: Depth=1
	ds_read_b32 v17, v15
	v_add_u32_e32 v16, 0x80, v16
	v_cmp_le_i32_e64 s[10:11], s43, v16
	s_or_b64 s[18:19], s[10:11], s[18:19]
	s_waitcnt lgkmcnt(0)
	v_sub_f32_e32 v17, v17, v4
	v_mul_f32_e32 v17, 0x3fb8aa3b, v17
	v_exp_f32_e32 v17, v17
	ds_write_b32 v15, v17
	v_add_f32_e32 v14, v14, v17
	v_add_u32_e32 v15, 0x200, v15
	s_andn2_b64 exec, exec, s[18:19]
	s_cbranch_execnz .LBB315_42
; %bb.43:
	s_or_b64 exec, exec, s[18:19]
.LBB315_44:
	s_or_b64 exec, exec, s[12:13]
	ds_bpermute_b32 v6, v6, v14
	s_waitcnt lgkmcnt(0)
	v_add_f32_e32 v6, v14, v6
	ds_bpermute_b32 v8, v8, v6
	s_waitcnt lgkmcnt(0)
	v_add_f32_e32 v6, v6, v8
	ds_bpermute_b32 v8, v9, v6
	v_xor_b32_e32 v9, 4, v2
	v_cmp_lt_i32_e64 s[10:11], v9, v3
	s_waitcnt lgkmcnt(0)
	v_add_f32_e32 v6, v6, v8
	v_cndmask_b32_e64 v9, v2, v9, s[10:11]
	v_lshlrev_b32_e32 v9, 2, v9
	ds_bpermute_b32 v8, v9, v6
	v_xor_b32_e32 v9, 2, v2
	v_cmp_lt_i32_e64 s[10:11], v9, v3
	s_waitcnt lgkmcnt(0)
	v_add_f32_e32 v3, v6, v8
	v_cndmask_b32_e64 v2, v2, v9, s[10:11]
	v_lshlrev_b32_e32 v2, 2, v2
	ds_bpermute_b32 v2, v2, v3
	s_waitcnt lgkmcnt(0)
	v_add_f32_e32 v2, v3, v2
	ds_bpermute_b32 v3, v12, v2
	s_waitcnt lgkmcnt(0)
	v_add_f32_e32 v2, v2, v3
	s_and_saveexec_b64 s[10:11], vcc
	s_cbranch_execz .LBB315_46
; %bb.45:
	ds_write_b32 v5, v2 offset:72
.LBB315_46:
	s_or_b64 exec, exec, s[10:11]
	s_waitcnt lgkmcnt(0)
	s_barrier
	s_and_saveexec_b64 s[10:11], s[0:1]
	s_cbranch_execz .LBB315_48
; %bb.47:
	ds_read_b32 v2, v7 offset:72
.LBB315_48:
	s_or_b64 exec, exec, s[10:11]
	s_waitcnt lgkmcnt(0)
	ds_bpermute_b32 v3, v12, v2
	s_waitcnt lgkmcnt(0)
	v_add_f32_e32 v2, v2, v3
	ds_bpermute_b32 v5, v13, v2
	s_and_saveexec_b64 s[0:1], s[6:7]
	s_cbranch_execz .LBB315_61
; %bb.49:
	s_waitcnt lgkmcnt(0)
	v_add_f32_e32 v2, 0x358637bd, v5
	v_div_scale_f32 v3, s[6:7], v2, v2, 1.0
	v_rcp_f32_e32 v6, v3
	v_div_scale_f32 v7, vcc, 1.0, v2, 1.0
	s_movk_i32 s6, 0x7f
	v_fma_f32 v8, -v3, v6, 1.0
	v_fmac_f32_e32 v6, v8, v6
	v_mul_f32_e32 v8, v7, v6
	v_fma_f32 v9, -v3, v8, v7
	v_fmac_f32_e32 v8, v9, v6
	v_fma_f32 v3, -v3, v8, v7
	v_div_fmas_f32 v3, v3, v6, v8
	v_div_fixup_f32 v2, v3, v2, 1.0
	v_xad_u32 v3, v0, -1, s44
	v_subrev_u32_e32 v6, s50, v3
	v_cmp_lt_u32_e32 vcc, s6, v6
	s_mov_b64 s[10:11], -1
	v_mov_b32_e32 v3, v0
	s_and_saveexec_b64 s[6:7], vcc
	s_cbranch_execz .LBB315_58
; %bb.50:
	v_lshrrev_b32_e32 v6, 7, v6
	v_add_u32_e32 v8, -1, v6
	v_lshrrev_b32_e32 v7, 1, v8
	v_mov_b32_e32 v3, v2
	v_add_u32_e32 v7, 1, v7
	v_cmp_lt_u32_e32 vcc, 13, v8
	v_mov_b32_e32 v12, 0
	s_and_saveexec_b64 s[10:11], vcc
	s_cbranch_execz .LBB315_54
; %bb.51:
	v_mov_b32_e32 v9, 0x50
	v_and_b32_e32 v8, -8, v7
	v_lshl_add_u32 v9, v0, 2, v9
	s_mov_b32 s18, 0
	s_mov_b64 s[12:13], 0
.LBB315_52:                             ; =>This Inner Loop Header: Depth=1
	ds_read2st64_b32 v[12:13], v9 offset1:2
	ds_read2st64_b32 v[14:15], v9 offset0:4 offset1:6
	ds_read2st64_b32 v[16:17], v9 offset0:8 offset1:10
	;; [unrolled: 1-line block ×3, first 2 shown]
	v_add_u32_e32 v8, -8, v8
	s_waitcnt lgkmcnt(3)
	v_pk_mul_f32 v[12:13], v[2:3], v[12:13]
	s_waitcnt lgkmcnt(2)
	v_pk_mul_f32 v[14:15], v[2:3], v[14:15]
	ds_write2st64_b32 v9, v12, v13 offset1:2
	ds_write2st64_b32 v9, v14, v15 offset0:4 offset1:6
	ds_read2st64_b32 v[14:15], v9 offset0:16 offset1:18
	s_waitcnt lgkmcnt(4)
	v_pk_mul_f32 v[12:13], v[2:3], v[16:17]
	ds_write2st64_b32 v9, v12, v13 offset0:8 offset1:10
	s_waitcnt lgkmcnt(4)
	v_pk_mul_f32 v[12:13], v[2:3], v[22:23]
	ds_write2st64_b32 v9, v12, v13 offset0:12 offset1:14
	ds_read2st64_b32 v[12:13], v9 offset0:20 offset1:22
	s_waitcnt lgkmcnt(3)
	v_pk_mul_f32 v[14:15], v[2:3], v[14:15]
	ds_read2st64_b32 v[16:17], v9 offset0:24 offset1:26
	ds_write2st64_b32 v9, v14, v15 offset0:16 offset1:18
	ds_read2st64_b32 v[14:15], v9 offset0:28 offset1:30
	s_waitcnt lgkmcnt(3)
	v_pk_mul_f32 v[12:13], v[2:3], v[12:13]
	ds_write2st64_b32 v9, v12, v13 offset0:20 offset1:22
	s_waitcnt lgkmcnt(3)
	v_pk_mul_f32 v[12:13], v[2:3], v[16:17]
	ds_write2st64_b32 v9, v12, v13 offset0:24 offset1:26
	s_waitcnt lgkmcnt(2)
	v_pk_mul_f32 v[12:13], v[2:3], v[14:15]
	s_add_i32 s18, s18, 16
	v_cmp_eq_u32_e32 vcc, 0, v8
	ds_write2st64_b32 v9, v12, v13 offset0:28 offset1:30
	v_add_u32_e32 v9, 0x2000, v9
	s_or_b64 s[12:13], vcc, s[12:13]
	v_mov_b32_e32 v12, s18
	s_andn2_b64 exec, exec, s[12:13]
	s_cbranch_execnz .LBB315_52
; %bb.53:
	s_or_b64 exec, exec, s[12:13]
.LBB315_54:
	s_or_b64 exec, exec, s[10:11]
	v_and_b32_e32 v7, 7, v7
	v_cmp_ne_u32_e32 vcc, 0, v7
	s_and_saveexec_b64 s[10:11], vcc
	s_cbranch_execz .LBB315_57
; %bb.55:
	v_lshlrev_b32_e32 v8, 9, v12
	v_lshlrev_b32_e32 v9, 2, v0
	s_movk_i32 s12, 0x50
	v_add3_u32 v8, v8, v9, s12
	s_mov_b64 s[12:13], 0
.LBB315_56:                             ; =>This Inner Loop Header: Depth=1
	ds_read2st64_b32 v[12:13], v8 offset1:2
	v_add_u32_e32 v7, -1, v7
	v_cmp_eq_u32_e32 vcc, 0, v7
	s_or_b64 s[12:13], vcc, s[12:13]
	s_waitcnt lgkmcnt(0)
	v_pk_mul_f32 v[12:13], v[2:3], v[12:13]
	ds_write2st64_b32 v8, v12, v13 offset1:2
	v_add_u32_e32 v8, 0x400, v8
	s_andn2_b64 exec, exec, s[12:13]
	s_cbranch_execnz .LBB315_56
.LBB315_57:
	s_or_b64 exec, exec, s[10:11]
	v_add_u32_e32 v6, 1, v6
	v_and_b32_e32 v7, 0x3fffffe, v6
	v_cmp_ne_u32_e32 vcc, v6, v7
	v_lshl_add_u32 v3, v7, 7, v0
	s_orn2_b64 s[10:11], vcc, exec
.LBB315_58:
	s_or_b64 exec, exec, s[6:7]
	s_and_b64 exec, exec, s[10:11]
	s_cbranch_execz .LBB315_61
; %bb.59:
	v_mov_b32_e32 v6, 0x50
	v_lshl_add_u32 v6, v3, 2, v6
	s_mov_b64 s[6:7], 0
.LBB315_60:                             ; =>This Inner Loop Header: Depth=1
	ds_read_b32 v7, v6
	v_add_u32_e32 v3, 0x80, v3
	v_cmp_le_i32_e32 vcc, s43, v3
	s_or_b64 s[6:7], vcc, s[6:7]
	s_waitcnt lgkmcnt(0)
	v_mul_f32_e32 v7, v2, v7
	ds_write_b32 v6, v7
	v_add_u32_e32 v6, 0x200, v6
	s_andn2_b64 exec, exec, s[6:7]
	s_cbranch_execnz .LBB315_60
.LBB315_61:
	s_or_b64 exec, exec, s[0:1]
	s_mul_i32 s0, s20, s34
	v_cmp_eq_u32_e32 vcc, 0, v0
	s_mul_i32 s6, s0, s5
	s_waitcnt lgkmcnt(0)
	s_barrier
	s_and_saveexec_b64 s[0:1], vcc
	s_cbranch_execz .LBB315_63
; %bb.62:
	s_ashr_i32 s7, s6, 31
	s_lshl_b64 s[10:11], s[6:7], 2
	s_add_u32 s5, s26, s10
	s_mul_i32 s12, s20, s2
	s_addc_u32 s7, s27, s11
	s_ashr_i32 s13, s12, 31
	s_lshl_b64 s[12:13], s[12:13], 2
	s_add_u32 s2, s5, s12
	s_addc_u32 s7, s7, s13
	s_ashr_i32 s5, s4, 31
	s_lshl_b64 s[18:19], s[4:5], 2
	s_add_u32 s26, s2, s18
	s_addc_u32 s27, s7, s19
	s_add_u32 s2, s24, s10
	s_addc_u32 s5, s25, s11
	;; [unrolled: 2-line block ×3, first 2 shown]
	s_add_u32 s10, s2, s18
	v_mov_b32_e32 v2, 0
	s_addc_u32 s11, s5, s19
	global_store_dword v2, v4, s[26:27]
	global_store_dword v2, v5, s[10:11]
.LBB315_63:
	s_or_b64 exec, exec, s[0:1]
	v_mov_b32_e32 v12, 0
	s_and_saveexec_b64 s[10:11], s[8:9]
	s_cbranch_execz .LBB315_169
; %bb.64:
	s_sub_i32 s5, s16, s21
	s_ashr_i32 s1, s49, 31
	s_add_u32 s0, s40, s49
	s_addc_u32 s1, s41, s1
	s_abs_i32 s7, s22
	v_cvt_f32_u32_e32 v2, s7
	v_lshlrev_b32_e32 v12, 3, v18
	v_mov_b32_e32 v13, 0
	v_lshl_add_u64 v[14:15], s[0:1], 0, v[12:13]
	v_rcp_iflag_f32_e32 v2, v2
	s_sub_i32 s0, 0, s7
	s_add_i32 s19, s3, -1
	v_cmp_gt_u32_e32 vcc, 32, v18
	v_mul_f32_e32 v2, 0x4f7ffffe, v2
	v_cvt_u32_f32_e32 v2, v2
	s_mov_b32 s18, s17
	s_mov_b64 s[8:9], 0
	s_mov_b32 s21, 0x7f800000
	v_mul_lo_u32 v3, s0, v2
	s_lshl_b64 s[0:1], s[38:39], 2
	v_mul_hi_u32 v3, v2, v3
	s_add_u32 s0, s36, s0
	v_add_u32_e32 v19, v2, v3
	s_addc_u32 s1, s37, s1
	v_mov_b32_e32 v2, 0x50
	v_lshl_add_u64 v[16:17], v[10:11], 2, s[0:1]
	v_lshl_add_u32 v11, v20, 5, v2
	s_movk_i32 s22, 0x7fff
	v_mov_b32_e32 v12, 0
	s_branch .LBB315_68
.LBB315_65:                             ;   in Loop: Header=BB315_68 Depth=1
	s_or_b64 exec, exec, s[16:17]
	v_and_b32_e32 v7, 0xffff0000, v6
	v_and_b32_e32 v6, 0xffff0000, v8
	;; [unrolled: 1-line block ×8, first 2 shown]
	v_pk_add_f32 v[2:3], v[4:5], v[8:9]
	v_pk_add_f32 v[4:5], v[22:23], v[6:7]
	v_add_f32_e32 v2, v2, v3
	v_add_f32_e32 v2, v2, v4
	;; [unrolled: 1-line block ×4, first 2 shown]
.LBB315_66:                             ;   in Loop: Header=BB315_68 Depth=1
	s_or_b64 exec, exec, s[12:13]
.LBB315_67:                             ;   in Loop: Header=BB315_68 Depth=1
	s_or_b64 exec, exec, s[2:3]
	v_add_u32_e32 v10, 2, v10
	v_cmp_le_i32_e64 s[0:1], s48, v10
	v_lshl_add_u64 v[16:17], v[16:17], 0, 8
	v_add_u32_e32 v1, 16, v1
	s_or_b64 s[8:9], s[0:1], s[8:9]
	v_add_u32_e32 v11, 64, v11
	s_andn2_b64 exec, exec, s[8:9]
	s_cbranch_execz .LBB315_168
.LBB315_68:                             ; =>This Inner Loop Header: Depth=1
	v_sub_u32_e32 v3, 0, v1
	v_max_i32_e32 v3, v1, v3
	v_mul_hi_u32 v4, v3, s35
	v_mul_lo_u32 v5, v4, s29
	v_sub_u32_e32 v3, v3, v5
	v_add_u32_e32 v5, 1, v4
	v_cmp_le_u32_e64 s[0:1], s29, v3
	v_ashrrev_i32_e32 v2, 31, v1
	v_xor_b32_e32 v2, s23, v2
	v_cndmask_b32_e64 v4, v4, v5, s[0:1]
	v_subrev_u32_e32 v5, s29, v3
	v_cndmask_b32_e64 v3, v3, v5, s[0:1]
	v_add_u32_e32 v5, 1, v4
	v_cmp_le_u32_e64 s[0:1], s29, v3
	s_nop 1
	v_cndmask_b32_e64 v3, v4, v5, s[0:1]
	v_xor_b32_e32 v3, v3, v2
	v_sub_u32_e32 v2, v3, v2
	v_add_u32_e32 v3, s42, v2
	v_sub_u32_e32 v5, 0, v3
	v_ashrrev_i32_e32 v4, 31, v3
	v_max_i32_e32 v3, v3, v5
	v_mul_hi_u32 v5, v3, v19
	v_mul_lo_u32 v5, v5, s7
	v_sub_u32_e32 v3, v3, v5
	v_subrev_u32_e32 v5, s7, v3
	v_cmp_le_u32_e64 s[0:1], s7, v3
	v_cmp_lt_i32_e64 s[2:3], s5, v2
	s_nop 0
	v_cndmask_b32_e64 v3, v3, v5, s[0:1]
	v_subrev_u32_e32 v5, s7, v3
	v_cmp_le_u32_e64 s[0:1], s7, v3
	s_nop 1
	v_cndmask_b32_e64 v3, v3, v5, s[0:1]
	v_xor_b32_e32 v3, v3, v4
	v_sub_u32_e32 v3, v3, v4
	v_cmp_eq_u32_e64 s[0:1], 0, v3
	s_or_b64 s[0:1], s[0:1], s[2:3]
	s_and_saveexec_b64 s[2:3], s[0:1]
	s_cbranch_execz .LBB315_67
; %bb.69:                               ;   in Loop: Header=BB315_68 Depth=1
	global_load_dword v24, v[16:17], off
	ds_read2_b64 v[6:9], v11 offset1:1
	ds_read2_b64 v[2:5], v11 offset0:2 offset1:3
                                        ; implicit-def: $vgpr23
	s_waitcnt lgkmcnt(1)
	v_and_b32_e32 v20, 0x7f800000, v6
	v_cmp_ne_u32_e64 s[0:1], s21, v20
	s_and_saveexec_b64 s[12:13], s[0:1]
	s_xor_b64 s[0:1], exec, s[12:13]
; %bb.70:                               ;   in Loop: Header=BB315_68 Depth=1
	v_bfe_u32 v20, v6, 16, 1
	v_add3_u32 v23, v6, v20, s22
; %bb.71:                               ;   in Loop: Header=BB315_68 Depth=1
	s_andn2_saveexec_b64 s[12:13], s[0:1]
; %bb.72:                               ;   in Loop: Header=BB315_68 Depth=1
	v_or_b32_e32 v20, 0x10000, v6
	v_cmp_eq_u32_sdwa s[0:1], v6, v13 src0_sel:WORD_0 src1_sel:DWORD
	s_nop 1
	v_cndmask_b32_e64 v23, v20, v6, s[0:1]
; %bb.73:                               ;   in Loop: Header=BB315_68 Depth=1
	s_or_b64 exec, exec, s[12:13]
	v_and_b32_e32 v6, 0x7f800000, v7
	v_cmp_ne_u32_e64 s[0:1], s21, v6
                                        ; implicit-def: $vgpr22
	s_and_saveexec_b64 s[12:13], s[0:1]
	s_xor_b64 s[0:1], exec, s[12:13]
; %bb.74:                               ;   in Loop: Header=BB315_68 Depth=1
	v_bfe_u32 v6, v7, 16, 1
	v_add3_u32 v22, v7, v6, s22
; %bb.75:                               ;   in Loop: Header=BB315_68 Depth=1
	s_andn2_saveexec_b64 s[12:13], s[0:1]
; %bb.76:                               ;   in Loop: Header=BB315_68 Depth=1
	v_or_b32_e32 v6, 0x10000, v7
	v_cmp_eq_u32_sdwa s[0:1], v7, v13 src0_sel:WORD_0 src1_sel:DWORD
	s_nop 1
	v_cndmask_b32_e64 v22, v6, v7, s[0:1]
; %bb.77:                               ;   in Loop: Header=BB315_68 Depth=1
	s_or_b64 exec, exec, s[12:13]
	v_and_b32_e32 v6, 0x7f800000, v8
	v_cmp_ne_u32_e64 s[0:1], s21, v6
                                        ; implicit-def: $vgpr21
	s_and_saveexec_b64 s[12:13], s[0:1]
	s_xor_b64 s[0:1], exec, s[12:13]
; %bb.78:                               ;   in Loop: Header=BB315_68 Depth=1
	v_bfe_u32 v6, v8, 16, 1
	v_add3_u32 v21, v8, v6, s22
; %bb.79:                               ;   in Loop: Header=BB315_68 Depth=1
	s_andn2_saveexec_b64 s[12:13], s[0:1]
; %bb.80:                               ;   in Loop: Header=BB315_68 Depth=1
	v_or_b32_e32 v6, 0x10000, v8
	v_cmp_eq_u32_sdwa s[0:1], v8, v13 src0_sel:WORD_0 src1_sel:DWORD
	s_nop 1
	v_cndmask_b32_e64 v21, v6, v8, s[0:1]
; %bb.81:                               ;   in Loop: Header=BB315_68 Depth=1
	s_or_b64 exec, exec, s[12:13]
	v_and_b32_e32 v6, 0x7f800000, v9
	v_cmp_ne_u32_e64 s[0:1], s21, v6
                                        ; implicit-def: $vgpr20
	s_and_saveexec_b64 s[12:13], s[0:1]
	s_xor_b64 s[0:1], exec, s[12:13]
; %bb.82:                               ;   in Loop: Header=BB315_68 Depth=1
	v_bfe_u32 v6, v9, 16, 1
	v_add3_u32 v20, v9, v6, s22
                                        ; implicit-def: $vgpr6_vgpr7_vgpr8_vgpr9
; %bb.83:                               ;   in Loop: Header=BB315_68 Depth=1
	s_andn2_saveexec_b64 s[12:13], s[0:1]
; %bb.84:                               ;   in Loop: Header=BB315_68 Depth=1
	v_or_b32_e32 v6, 0x10000, v9
	v_cmp_eq_u32_sdwa s[0:1], v9, v13 src0_sel:WORD_0 src1_sel:DWORD
	s_nop 1
	v_cndmask_b32_e64 v20, v6, v9, s[0:1]
; %bb.85:                               ;   in Loop: Header=BB315_68 Depth=1
	s_or_b64 exec, exec, s[12:13]
	s_waitcnt lgkmcnt(0)
	v_and_b32_e32 v6, 0x7f800000, v2
	v_cmp_ne_u32_e64 s[0:1], s21, v6
                                        ; implicit-def: $vgpr9
	s_and_saveexec_b64 s[12:13], s[0:1]
	s_xor_b64 s[0:1], exec, s[12:13]
; %bb.86:                               ;   in Loop: Header=BB315_68 Depth=1
	v_bfe_u32 v6, v2, 16, 1
	v_add3_u32 v9, v2, v6, s22
; %bb.87:                               ;   in Loop: Header=BB315_68 Depth=1
	s_andn2_saveexec_b64 s[12:13], s[0:1]
; %bb.88:                               ;   in Loop: Header=BB315_68 Depth=1
	v_or_b32_e32 v6, 0x10000, v2
	v_cmp_eq_u32_sdwa s[0:1], v2, v13 src0_sel:WORD_0 src1_sel:DWORD
	s_nop 1
	v_cndmask_b32_e64 v9, v6, v2, s[0:1]
; %bb.89:                               ;   in Loop: Header=BB315_68 Depth=1
	s_or_b64 exec, exec, s[12:13]
	v_and_b32_e32 v2, 0x7f800000, v3
	v_cmp_ne_u32_e64 s[0:1], s21, v2
                                        ; implicit-def: $vgpr8
	s_and_saveexec_b64 s[12:13], s[0:1]
	s_xor_b64 s[0:1], exec, s[12:13]
; %bb.90:                               ;   in Loop: Header=BB315_68 Depth=1
	v_bfe_u32 v2, v3, 16, 1
	v_add3_u32 v8, v3, v2, s22
; %bb.91:                               ;   in Loop: Header=BB315_68 Depth=1
	s_andn2_saveexec_b64 s[12:13], s[0:1]
; %bb.92:                               ;   in Loop: Header=BB315_68 Depth=1
	v_or_b32_e32 v2, 0x10000, v3
	v_cmp_eq_u32_sdwa s[0:1], v3, v13 src0_sel:WORD_0 src1_sel:DWORD
	s_nop 1
	v_cndmask_b32_e64 v8, v2, v3, s[0:1]
; %bb.93:                               ;   in Loop: Header=BB315_68 Depth=1
	s_or_b64 exec, exec, s[12:13]
	v_and_b32_e32 v2, 0x7f800000, v4
	v_cmp_ne_u32_e64 s[0:1], s21, v2
                                        ; implicit-def: $vgpr7
	s_and_saveexec_b64 s[12:13], s[0:1]
	s_xor_b64 s[0:1], exec, s[12:13]
; %bb.94:                               ;   in Loop: Header=BB315_68 Depth=1
	v_bfe_u32 v2, v4, 16, 1
	v_add3_u32 v7, v4, v2, s22
; %bb.95:                               ;   in Loop: Header=BB315_68 Depth=1
	s_andn2_saveexec_b64 s[12:13], s[0:1]
; %bb.96:                               ;   in Loop: Header=BB315_68 Depth=1
	v_or_b32_e32 v2, 0x10000, v4
	v_cmp_eq_u32_sdwa s[0:1], v4, v13 src0_sel:WORD_0 src1_sel:DWORD
	s_nop 1
	v_cndmask_b32_e64 v7, v2, v4, s[0:1]
; %bb.97:                               ;   in Loop: Header=BB315_68 Depth=1
	s_or_b64 exec, exec, s[12:13]
	v_and_b32_e32 v2, 0x7f800000, v5
	v_cmp_ne_u32_e64 s[0:1], s21, v2
                                        ; implicit-def: $vgpr6
	s_and_saveexec_b64 s[12:13], s[0:1]
	s_xor_b64 s[0:1], exec, s[12:13]
	s_cbranch_execnz .LBB315_100
; %bb.98:                               ;   in Loop: Header=BB315_68 Depth=1
	s_andn2_saveexec_b64 s[12:13], s[0:1]
	s_cbranch_execnz .LBB315_101
.LBB315_99:                             ;   in Loop: Header=BB315_68 Depth=1
	s_or_b64 exec, exec, s[12:13]
	s_and_saveexec_b64 s[12:13], vcc
	s_cbranch_execz .LBB315_66
	s_branch .LBB315_102
.LBB315_100:                            ;   in Loop: Header=BB315_68 Depth=1
	v_bfe_u32 v2, v5, 16, 1
	v_add3_u32 v6, v5, v2, s22
                                        ; implicit-def: $vgpr2_vgpr3_vgpr4_vgpr5
	s_andn2_saveexec_b64 s[12:13], s[0:1]
	s_cbranch_execz .LBB315_99
.LBB315_101:                            ;   in Loop: Header=BB315_68 Depth=1
	v_or_b32_e32 v2, 0x10000, v5
	v_cmp_eq_u32_sdwa s[0:1], v5, v13 src0_sel:WORD_0 src1_sel:DWORD
	s_nop 1
	v_cndmask_b32_e64 v6, v2, v5, s[0:1]
	s_or_b64 exec, exec, s[12:13]
	s_and_saveexec_b64 s[12:13], vcc
	s_cbranch_execz .LBB315_66
.LBB315_102:                            ;   in Loop: Header=BB315_68 Depth=1
	s_waitcnt vmcnt(0)
	v_mad_i64_i32 v[2:3], s[0:1], v24, s18, v[14:15]
	global_load_dwordx2 v[2:3], v[2:3], off
	s_load_dword s24, s[14:15], 0x0
	s_waitcnt vmcnt(0)
	v_and_b32_e32 v4, 0xff, v2
	v_cvt_f32_fp8_sdwa v4, v4 src0_sel:BYTE_0
	s_waitcnt lgkmcnt(0)
	v_mul_f32_e32 v5, s24, v4
	v_and_b32_e32 v4, 0x7f800000, v5
	v_cmp_ne_u32_e64 s[0:1], s21, v4
                                        ; implicit-def: $vgpr4
	s_and_saveexec_b64 s[16:17], s[0:1]
	s_xor_b64 s[0:1], exec, s[16:17]
; %bb.103:                              ;   in Loop: Header=BB315_68 Depth=1
	v_bfe_u32 v4, v5, 16, 1
	v_add3_u32 v4, v5, v4, s22
                                        ; implicit-def: $vgpr5
; %bb.104:                              ;   in Loop: Header=BB315_68 Depth=1
	s_andn2_saveexec_b64 s[16:17], s[0:1]
; %bb.105:                              ;   in Loop: Header=BB315_68 Depth=1
	v_or_b32_e32 v4, 0x10000, v5
	v_cmp_eq_u32_sdwa s[0:1], v5, v13 src0_sel:WORD_0 src1_sel:DWORD
	s_nop 1
	v_cndmask_b32_e64 v4, v4, v5, s[0:1]
; %bb.106:                              ;   in Loop: Header=BB315_68 Depth=1
	s_or_b64 exec, exec, s[16:17]
	v_bfe_u32 v5, v2, 8, 8
	v_cvt_f32_fp8_sdwa v5, v5 src0_sel:BYTE_0
	s_nop 0
	v_mul_f32_e32 v24, s24, v5
	v_and_b32_e32 v5, 0x7f800000, v24
	v_cmp_ne_u32_e64 s[0:1], s21, v5
                                        ; implicit-def: $vgpr5
	s_and_saveexec_b64 s[16:17], s[0:1]
	s_xor_b64 s[0:1], exec, s[16:17]
; %bb.107:                              ;   in Loop: Header=BB315_68 Depth=1
	v_bfe_u32 v5, v24, 16, 1
	v_add3_u32 v5, v24, v5, s22
                                        ; implicit-def: $vgpr24
; %bb.108:                              ;   in Loop: Header=BB315_68 Depth=1
	s_andn2_saveexec_b64 s[16:17], s[0:1]
; %bb.109:                              ;   in Loop: Header=BB315_68 Depth=1
	v_or_b32_e32 v5, 0x10000, v24
	v_cmp_eq_u32_sdwa s[0:1], v24, v13 src0_sel:WORD_0 src1_sel:DWORD
	s_nop 1
	v_cndmask_b32_e64 v5, v5, v24, s[0:1]
; %bb.110:                              ;   in Loop: Header=BB315_68 Depth=1
	s_or_b64 exec, exec, s[16:17]
	v_bfe_u32 v24, v2, 16, 8
	v_cvt_f32_fp8_sdwa v24, v24 src0_sel:BYTE_0
                                        ; implicit-def: $vgpr26
	s_nop 0
	v_mul_f32_e32 v24, s24, v24
	v_and_b32_e32 v25, 0x7f800000, v24
	v_cmp_ne_u32_e64 s[0:1], s21, v25
	s_and_saveexec_b64 s[16:17], s[0:1]
	s_xor_b64 s[0:1], exec, s[16:17]
; %bb.111:                              ;   in Loop: Header=BB315_68 Depth=1
	v_bfe_u32 v25, v24, 16, 1
	v_add3_u32 v26, v24, v25, s22
                                        ; implicit-def: $vgpr24
; %bb.112:                              ;   in Loop: Header=BB315_68 Depth=1
	s_andn2_saveexec_b64 s[16:17], s[0:1]
; %bb.113:                              ;   in Loop: Header=BB315_68 Depth=1
	v_or_b32_e32 v25, 0x10000, v24
	v_cmp_eq_u32_sdwa s[0:1], v24, v13 src0_sel:WORD_0 src1_sel:DWORD
	s_nop 1
	v_cndmask_b32_e64 v26, v25, v24, s[0:1]
; %bb.114:                              ;   in Loop: Header=BB315_68 Depth=1
	s_or_b64 exec, exec, s[16:17]
	v_lshrrev_b32_e32 v2, 24, v2
	v_cvt_f32_fp8_sdwa v2, v2 src0_sel:BYTE_0
	s_nop 0
	v_mul_f32_e32 v24, s24, v2
	v_and_b32_e32 v2, 0x7f800000, v24
	v_cmp_ne_u32_e64 s[0:1], s21, v2
                                        ; implicit-def: $vgpr2
	s_and_saveexec_b64 s[16:17], s[0:1]
	s_xor_b64 s[0:1], exec, s[16:17]
; %bb.115:                              ;   in Loop: Header=BB315_68 Depth=1
	v_bfe_u32 v2, v24, 16, 1
	v_add3_u32 v2, v24, v2, s22
                                        ; implicit-def: $vgpr24
; %bb.116:                              ;   in Loop: Header=BB315_68 Depth=1
	s_andn2_saveexec_b64 s[16:17], s[0:1]
; %bb.117:                              ;   in Loop: Header=BB315_68 Depth=1
	v_or_b32_e32 v2, 0x10000, v24
	v_cmp_eq_u32_sdwa s[0:1], v24, v13 src0_sel:WORD_0 src1_sel:DWORD
	s_nop 1
	v_cndmask_b32_e64 v2, v2, v24, s[0:1]
; %bb.118:                              ;   in Loop: Header=BB315_68 Depth=1
	s_or_b64 exec, exec, s[16:17]
	v_and_b32_e32 v24, 0xff, v3
	v_cvt_f32_fp8_sdwa v24, v24 src0_sel:BYTE_0
	s_nop 0
	v_mul_f32_e32 v24, s24, v24
	v_and_b32_e32 v25, 0x7f800000, v24
	v_cmp_ne_u32_e64 s[0:1], s21, v25
                                        ; implicit-def: $vgpr25
	s_and_saveexec_b64 s[16:17], s[0:1]
	s_xor_b64 s[0:1], exec, s[16:17]
; %bb.119:                              ;   in Loop: Header=BB315_68 Depth=1
	v_bfe_u32 v25, v24, 16, 1
	v_add3_u32 v25, v24, v25, s22
                                        ; implicit-def: $vgpr24
; %bb.120:                              ;   in Loop: Header=BB315_68 Depth=1
	s_andn2_saveexec_b64 s[16:17], s[0:1]
; %bb.121:                              ;   in Loop: Header=BB315_68 Depth=1
	v_or_b32_e32 v25, 0x10000, v24
	v_cmp_eq_u32_sdwa s[0:1], v24, v13 src0_sel:WORD_0 src1_sel:DWORD
	s_nop 1
	v_cndmask_b32_e64 v25, v25, v24, s[0:1]
; %bb.122:                              ;   in Loop: Header=BB315_68 Depth=1
	s_or_b64 exec, exec, s[16:17]
	v_bfe_u32 v24, v3, 8, 8
	v_cvt_f32_fp8_sdwa v24, v24 src0_sel:BYTE_0
	s_nop 0
	v_mul_f32_e32 v27, s24, v24
	v_and_b32_e32 v24, 0x7f800000, v27
	v_cmp_ne_u32_e64 s[0:1], s21, v24
                                        ; implicit-def: $vgpr24
	s_and_saveexec_b64 s[16:17], s[0:1]
	s_xor_b64 s[0:1], exec, s[16:17]
; %bb.123:                              ;   in Loop: Header=BB315_68 Depth=1
	v_bfe_u32 v24, v27, 16, 1
	v_add3_u32 v24, v27, v24, s22
                                        ; implicit-def: $vgpr27
; %bb.124:                              ;   in Loop: Header=BB315_68 Depth=1
	s_andn2_saveexec_b64 s[16:17], s[0:1]
; %bb.125:                              ;   in Loop: Header=BB315_68 Depth=1
	v_or_b32_e32 v24, 0x10000, v27
	v_cmp_eq_u32_sdwa s[0:1], v27, v13 src0_sel:WORD_0 src1_sel:DWORD
	s_nop 1
	v_cndmask_b32_e64 v24, v24, v27, s[0:1]
; %bb.126:                              ;   in Loop: Header=BB315_68 Depth=1
	s_or_b64 exec, exec, s[16:17]
	v_bfe_u32 v27, v3, 16, 8
	v_cvt_f32_fp8_sdwa v27, v27 src0_sel:BYTE_0
	s_nop 0
	v_mul_f32_e32 v27, s24, v27
	v_and_b32_e32 v28, 0x7f800000, v27
	v_cmp_ne_u32_e64 s[0:1], s21, v28
                                        ; implicit-def: $vgpr28
	s_and_saveexec_b64 s[16:17], s[0:1]
	s_xor_b64 s[0:1], exec, s[16:17]
; %bb.127:                              ;   in Loop: Header=BB315_68 Depth=1
	v_bfe_u32 v28, v27, 16, 1
	v_add3_u32 v28, v27, v28, s22
                                        ; implicit-def: $vgpr27
; %bb.128:                              ;   in Loop: Header=BB315_68 Depth=1
	s_andn2_saveexec_b64 s[16:17], s[0:1]
; %bb.129:                              ;   in Loop: Header=BB315_68 Depth=1
	v_or_b32_e32 v28, 0x10000, v27
	v_cmp_eq_u32_sdwa s[0:1], v27, v13 src0_sel:WORD_0 src1_sel:DWORD
	s_nop 1
	v_cndmask_b32_e64 v28, v28, v27, s[0:1]
; %bb.130:                              ;   in Loop: Header=BB315_68 Depth=1
	s_or_b64 exec, exec, s[16:17]
	v_lshrrev_b32_e32 v3, 24, v3
	v_cvt_f32_fp8_sdwa v3, v3 src0_sel:BYTE_0
                                        ; implicit-def: $vgpr29
	s_nop 0
	v_mul_f32_e32 v3, s24, v3
	v_and_b32_e32 v27, 0x7f800000, v3
	v_cmp_ne_u32_e64 s[0:1], s21, v27
	s_and_saveexec_b64 s[16:17], s[0:1]
	s_xor_b64 s[0:1], exec, s[16:17]
; %bb.131:                              ;   in Loop: Header=BB315_68 Depth=1
	v_bfe_u32 v27, v3, 16, 1
	v_add3_u32 v29, v3, v27, s22
                                        ; implicit-def: $vgpr3
; %bb.132:                              ;   in Loop: Header=BB315_68 Depth=1
	s_andn2_saveexec_b64 s[16:17], s[0:1]
; %bb.133:                              ;   in Loop: Header=BB315_68 Depth=1
	v_or_b32_e32 v27, 0x10000, v3
	v_cmp_eq_u32_sdwa s[0:1], v3, v13 src0_sel:WORD_0 src1_sel:DWORD
	s_nop 1
	v_cndmask_b32_e64 v29, v27, v3, s[0:1]
; %bb.134:                              ;   in Loop: Header=BB315_68 Depth=1
	s_or_b64 exec, exec, s[16:17]
	v_lshrrev_b32_e32 v24, 16, v24
	v_lshrrev_b32_e32 v25, 16, v25
	;; [unrolled: 1-line block ×8, first 2 shown]
	v_cmp_eq_u32_e64 s[0:1], s19, v10
	s_and_saveexec_b64 s[16:17], s[0:1]
	s_cbranch_execz .LBB315_136
; %bb.135:                              ;   in Loop: Header=BB315_68 Depth=1
	v_cmp_gt_i32_e64 s[0:1], s33, v1
	v_add_u32_e32 v28, 1, v1
	s_nop 0
	v_cndmask_b32_e64 v3, 0, v3, s[0:1]
	v_cmp_gt_i32_e64 s[0:1], s33, v28
	v_add_u32_e32 v28, 2, v1
	s_nop 0
	v_cndmask_b32_e64 v5, 0, v5, s[0:1]
	;; [unrolled: 4-line block ×7, first 2 shown]
	v_cmp_gt_i32_e64 s[0:1], s33, v28
	s_nop 1
	v_cndmask_b32_e64 v2, 0, v2, s[0:1]
.LBB315_136:                            ;   in Loop: Header=BB315_68 Depth=1
	s_or_b64 exec, exec, s[16:17]
	v_and_b32_e32 v23, 0xffff0000, v23
	v_lshlrev_b32_e32 v3, 16, v3
	v_mul_f32_e32 v23, v23, v3
	v_and_b32_e32 v3, 0x7f800000, v23
	v_cmp_ne_u32_e64 s[0:1], s21, v3
                                        ; implicit-def: $vgpr3
	s_and_saveexec_b64 s[16:17], s[0:1]
	s_xor_b64 s[0:1], exec, s[16:17]
; %bb.137:                              ;   in Loop: Header=BB315_68 Depth=1
	v_bfe_u32 v3, v23, 16, 1
	v_add3_u32 v3, v23, v3, s22
                                        ; implicit-def: $vgpr23
; %bb.138:                              ;   in Loop: Header=BB315_68 Depth=1
	s_andn2_saveexec_b64 s[16:17], s[0:1]
; %bb.139:                              ;   in Loop: Header=BB315_68 Depth=1
	v_or_b32_e32 v3, 0x10000, v23
	v_cmp_eq_u32_sdwa s[0:1], v23, v13 src0_sel:WORD_0 src1_sel:DWORD
	s_nop 1
	v_cndmask_b32_e64 v3, v3, v23, s[0:1]
; %bb.140:                              ;   in Loop: Header=BB315_68 Depth=1
	s_or_b64 exec, exec, s[16:17]
	v_and_b32_e32 v22, 0xffff0000, v22
	v_lshlrev_b32_e32 v5, 16, v5
	v_mul_f32_e32 v22, v22, v5
	v_and_b32_e32 v5, 0x7f800000, v22
	v_cmp_ne_u32_e64 s[0:1], s21, v5
                                        ; implicit-def: $vgpr5
	s_and_saveexec_b64 s[16:17], s[0:1]
	s_xor_b64 s[0:1], exec, s[16:17]
; %bb.141:                              ;   in Loop: Header=BB315_68 Depth=1
	v_bfe_u32 v5, v22, 16, 1
	v_add3_u32 v5, v22, v5, s22
                                        ; implicit-def: $vgpr22
; %bb.142:                              ;   in Loop: Header=BB315_68 Depth=1
	s_andn2_saveexec_b64 s[16:17], s[0:1]
; %bb.143:                              ;   in Loop: Header=BB315_68 Depth=1
	v_or_b32_e32 v5, 0x10000, v22
	v_cmp_eq_u32_sdwa s[0:1], v22, v13 src0_sel:WORD_0 src1_sel:DWORD
	s_nop 1
	v_cndmask_b32_e64 v5, v5, v22, s[0:1]
; %bb.144:                              ;   in Loop: Header=BB315_68 Depth=1
	s_or_b64 exec, exec, s[16:17]
	v_and_b32_e32 v21, 0xffff0000, v21
	v_lshlrev_b32_e32 v22, 16, v26
	v_mul_f32_e32 v22, v21, v22
	v_and_b32_e32 v21, 0x7f800000, v22
	v_cmp_ne_u32_e64 s[0:1], s21, v21
                                        ; implicit-def: $vgpr21
	s_and_saveexec_b64 s[16:17], s[0:1]
	s_xor_b64 s[0:1], exec, s[16:17]
; %bb.145:                              ;   in Loop: Header=BB315_68 Depth=1
	v_bfe_u32 v21, v22, 16, 1
	v_add3_u32 v21, v22, v21, s22
                                        ; implicit-def: $vgpr22
; %bb.146:                              ;   in Loop: Header=BB315_68 Depth=1
	s_andn2_saveexec_b64 s[16:17], s[0:1]
; %bb.147:                              ;   in Loop: Header=BB315_68 Depth=1
	v_or_b32_e32 v21, 0x10000, v22
	v_cmp_eq_u32_sdwa s[0:1], v22, v13 src0_sel:WORD_0 src1_sel:DWORD
	s_nop 1
	v_cndmask_b32_e64 v21, v21, v22, s[0:1]
; %bb.148:                              ;   in Loop: Header=BB315_68 Depth=1
	s_or_b64 exec, exec, s[16:17]
	v_and_b32_e32 v20, 0xffff0000, v20
	v_lshlrev_b32_e32 v22, 16, v27
	v_mul_f32_e32 v22, v20, v22
	v_and_b32_e32 v20, 0x7f800000, v22
	v_cmp_ne_u32_e64 s[0:1], s21, v20
                                        ; implicit-def: $vgpr20
	s_and_saveexec_b64 s[16:17], s[0:1]
	s_xor_b64 s[0:1], exec, s[16:17]
; %bb.149:                              ;   in Loop: Header=BB315_68 Depth=1
	v_bfe_u32 v20, v22, 16, 1
	v_add3_u32 v20, v22, v20, s22
                                        ; implicit-def: $vgpr22
; %bb.150:                              ;   in Loop: Header=BB315_68 Depth=1
	s_andn2_saveexec_b64 s[16:17], s[0:1]
; %bb.151:                              ;   in Loop: Header=BB315_68 Depth=1
	v_or_b32_e32 v20, 0x10000, v22
	v_cmp_eq_u32_sdwa s[0:1], v22, v13 src0_sel:WORD_0 src1_sel:DWORD
	s_nop 1
	v_cndmask_b32_e64 v20, v20, v22, s[0:1]
; %bb.152:                              ;   in Loop: Header=BB315_68 Depth=1
	s_or_b64 exec, exec, s[16:17]
	v_and_b32_e32 v9, 0xffff0000, v9
	v_lshlrev_b32_e32 v22, 16, v25
	v_mul_f32_e32 v22, v9, v22
	v_and_b32_e32 v9, 0x7f800000, v22
	v_cmp_ne_u32_e64 s[0:1], s21, v9
                                        ; implicit-def: $vgpr9
	s_and_saveexec_b64 s[16:17], s[0:1]
	s_xor_b64 s[0:1], exec, s[16:17]
; %bb.153:                              ;   in Loop: Header=BB315_68 Depth=1
	v_bfe_u32 v9, v22, 16, 1
	v_add3_u32 v9, v22, v9, s22
                                        ; implicit-def: $vgpr22
; %bb.154:                              ;   in Loop: Header=BB315_68 Depth=1
	s_andn2_saveexec_b64 s[16:17], s[0:1]
; %bb.155:                              ;   in Loop: Header=BB315_68 Depth=1
	v_or_b32_e32 v9, 0x10000, v22
	v_cmp_eq_u32_sdwa s[0:1], v22, v13 src0_sel:WORD_0 src1_sel:DWORD
	s_nop 1
	v_cndmask_b32_e64 v9, v9, v22, s[0:1]
; %bb.156:                              ;   in Loop: Header=BB315_68 Depth=1
	s_or_b64 exec, exec, s[16:17]
	v_and_b32_e32 v8, 0xffff0000, v8
	v_lshlrev_b32_e32 v22, 16, v24
	v_mul_f32_e32 v22, v8, v22
	v_and_b32_e32 v8, 0x7f800000, v22
	v_cmp_ne_u32_e64 s[0:1], s21, v8
                                        ; implicit-def: $vgpr8
	s_and_saveexec_b64 s[16:17], s[0:1]
	s_xor_b64 s[0:1], exec, s[16:17]
; %bb.157:                              ;   in Loop: Header=BB315_68 Depth=1
	v_bfe_u32 v8, v22, 16, 1
	v_add3_u32 v8, v22, v8, s22
                                        ; implicit-def: $vgpr22
; %bb.158:                              ;   in Loop: Header=BB315_68 Depth=1
	s_andn2_saveexec_b64 s[16:17], s[0:1]
; %bb.159:                              ;   in Loop: Header=BB315_68 Depth=1
	v_or_b32_e32 v8, 0x10000, v22
	v_cmp_eq_u32_sdwa s[0:1], v22, v13 src0_sel:WORD_0 src1_sel:DWORD
	s_nop 1
	v_cndmask_b32_e64 v8, v8, v22, s[0:1]
; %bb.160:                              ;   in Loop: Header=BB315_68 Depth=1
	s_or_b64 exec, exec, s[16:17]
	v_and_b32_e32 v7, 0xffff0000, v7
	v_lshlrev_b32_e32 v4, 16, v4
	v_mul_f32_e32 v7, v7, v4
	v_and_b32_e32 v4, 0x7f800000, v7
	v_cmp_ne_u32_e64 s[0:1], s21, v4
                                        ; implicit-def: $vgpr4
	s_and_saveexec_b64 s[16:17], s[0:1]
	s_xor_b64 s[0:1], exec, s[16:17]
; %bb.161:                              ;   in Loop: Header=BB315_68 Depth=1
	v_bfe_u32 v4, v7, 16, 1
	v_add3_u32 v4, v7, v4, s22
                                        ; implicit-def: $vgpr7
; %bb.162:                              ;   in Loop: Header=BB315_68 Depth=1
	s_andn2_saveexec_b64 s[16:17], s[0:1]
; %bb.163:                              ;   in Loop: Header=BB315_68 Depth=1
	v_or_b32_e32 v4, 0x10000, v7
	v_cmp_eq_u32_sdwa s[0:1], v7, v13 src0_sel:WORD_0 src1_sel:DWORD
	s_nop 1
	v_cndmask_b32_e64 v4, v4, v7, s[0:1]
; %bb.164:                              ;   in Loop: Header=BB315_68 Depth=1
	s_or_b64 exec, exec, s[16:17]
	v_and_b32_e32 v6, 0xffff0000, v6
	v_lshlrev_b32_e32 v2, 16, v2
	v_mul_f32_e32 v2, v6, v2
	v_and_b32_e32 v6, 0x7f800000, v2
	v_cmp_ne_u32_e64 s[0:1], s21, v6
                                        ; implicit-def: $vgpr6
	s_and_saveexec_b64 s[16:17], s[0:1]
	s_xor_b64 s[0:1], exec, s[16:17]
; %bb.165:                              ;   in Loop: Header=BB315_68 Depth=1
	v_bfe_u32 v6, v2, 16, 1
	v_add3_u32 v6, v2, v6, s22
                                        ; implicit-def: $vgpr2
; %bb.166:                              ;   in Loop: Header=BB315_68 Depth=1
	s_andn2_saveexec_b64 s[16:17], s[0:1]
	s_cbranch_execz .LBB315_65
; %bb.167:                              ;   in Loop: Header=BB315_68 Depth=1
	v_or_b32_e32 v6, 0x10000, v2
	v_cmp_eq_u32_sdwa s[0:1], v2, v13 src0_sel:WORD_0 src1_sel:DWORD
	s_nop 1
	v_cndmask_b32_e64 v6, v6, v2, s[0:1]
	s_branch .LBB315_65
.LBB315_168:
	s_or_b64 exec, exec, s[8:9]
.LBB315_169:
	s_or_b64 exec, exec, s[10:11]
	v_and_b32_e32 v1, 0x3c0, v0
	v_cmp_eq_u32_e64 s[0:1], 64, v1
	v_cmp_gt_u32_e32 vcc, 32, v18
	s_and_b64 s[2:3], s[0:1], vcc
	s_barrier
	s_and_saveexec_b64 s[0:1], s[2:3]
	s_cbranch_execz .LBB315_171
; %bb.170:
	v_mov_b32_e32 v1, 0x50
	v_lshl_add_u32 v1, v18, 2, v1
	ds_write_b32 v1, v12
.LBB315_171:
	s_or_b64 exec, exec, s[0:1]
	v_cmp_gt_u32_e64 s[0:1], 64, v0
	s_and_b64 s[0:1], s[0:1], vcc
	s_waitcnt lgkmcnt(0)
	s_barrier
	s_and_saveexec_b64 s[2:3], s[0:1]
	s_cbranch_execz .LBB315_173
; %bb.172:
	v_mov_b32_e32 v0, 0x50
	v_lshl_add_u32 v0, v18, 2, v0
	ds_read_b32 v0, v0
	s_waitcnt lgkmcnt(0)
	v_add_f32_e32 v12, v12, v0
.LBB315_173:
	s_or_b64 exec, exec, s[2:3]
	s_barrier
	s_and_saveexec_b64 s[2:3], s[0:1]
	s_cbranch_execz .LBB315_179
; %bb.174:
	s_mov_b32 s0, 0x7f800000
	v_and_b32_e32 v0, 0x7f800000, v12
	v_cmp_ne_u32_e32 vcc, s0, v0
                                        ; implicit-def: $vgpr0
	s_and_saveexec_b64 s[0:1], vcc
	s_xor_b64 s[0:1], exec, s[0:1]
; %bb.175:
	v_bfe_u32 v0, v12, 16, 1
	s_movk_i32 s2, 0x7fff
	v_add3_u32 v0, v12, v0, s2
                                        ; implicit-def: $vgpr12
; %bb.176:
	s_andn2_saveexec_b64 s[0:1], s[0:1]
; %bb.177:
	v_mov_b32_e32 v0, 0
	v_or_b32_e32 v1, 0x10000, v12
	v_cmp_eq_u32_sdwa vcc, v12, v0 src0_sel:WORD_0 src1_sel:DWORD
	s_nop 1
	v_cndmask_b32_e32 v0, v1, v12, vcc
; %bb.178:
	s_or_b64 exec, exec, s[0:1]
	s_lshl_b32 s0, s6, 5
	s_ashr_i32 s1, s0, 31
	s_lshl_b64 s[0:1], s[0:1], 1
	s_add_u32 s2, s30, s0
	s_mul_i32 s0, s20, s28
	s_addc_u32 s3, s31, s1
	s_ashr_i32 s1, s0, 31
	s_lshl_b64 s[0:1], s[0:1], 1
	s_add_u32 s2, s2, s0
	s_addc_u32 s3, s3, s1
	s_lshl_b32 s0, s4, 5
	s_ashr_i32 s1, s0, 31
	s_lshl_b64 s[0:1], s[0:1], 1
	s_add_u32 s0, s2, s0
	s_addc_u32 s1, s3, s1
	v_lshlrev_b32_e32 v1, 1, v18
	global_store_short_d16_hi v1, v0, s[0:1]
.LBB315_179:
	s_endpgm
	.section	.rodata,"a",@progbits
	.p2align	6, 0x0
	.amdhsa_kernel _ZN4vllm25paged_attention_v2_kernelI14__hip_bfloat16hLi32ELi8ELi128ELNS_18Fp8KVCacheDataTypeE1ELb1ELi512EEEvPfS3_PT_PKS4_PKT0_SA_ifPKiSC_iPKfiiiSE_SE_iiiii
		.amdhsa_group_segment_fixed_size 80
		.amdhsa_private_segment_fixed_size 0
		.amdhsa_kernarg_size 400
		.amdhsa_user_sgpr_count 2
		.amdhsa_user_sgpr_dispatch_ptr 0
		.amdhsa_user_sgpr_queue_ptr 0
		.amdhsa_user_sgpr_kernarg_segment_ptr 1
		.amdhsa_user_sgpr_dispatch_id 0
		.amdhsa_user_sgpr_kernarg_preload_length 0
		.amdhsa_user_sgpr_kernarg_preload_offset 0
		.amdhsa_user_sgpr_private_segment_size 0
		.amdhsa_uses_dynamic_stack 0
		.amdhsa_enable_private_segment 0
		.amdhsa_system_sgpr_workgroup_id_x 1
		.amdhsa_system_sgpr_workgroup_id_y 1
		.amdhsa_system_sgpr_workgroup_id_z 1
		.amdhsa_system_sgpr_workgroup_info 0
		.amdhsa_system_vgpr_workitem_id 0
		.amdhsa_next_free_vgpr 32
		.amdhsa_next_free_sgpr 59
		.amdhsa_accum_offset 32
		.amdhsa_reserve_vcc 1
		.amdhsa_float_round_mode_32 0
		.amdhsa_float_round_mode_16_64 0
		.amdhsa_float_denorm_mode_32 3
		.amdhsa_float_denorm_mode_16_64 3
		.amdhsa_dx10_clamp 1
		.amdhsa_ieee_mode 1
		.amdhsa_fp16_overflow 0
		.amdhsa_tg_split 0
		.amdhsa_exception_fp_ieee_invalid_op 0
		.amdhsa_exception_fp_denorm_src 0
		.amdhsa_exception_fp_ieee_div_zero 0
		.amdhsa_exception_fp_ieee_overflow 0
		.amdhsa_exception_fp_ieee_underflow 0
		.amdhsa_exception_fp_ieee_inexact 0
		.amdhsa_exception_int_div_zero 0
	.end_amdhsa_kernel
	.section	.text._ZN4vllm25paged_attention_v2_kernelI14__hip_bfloat16hLi32ELi8ELi128ELNS_18Fp8KVCacheDataTypeE1ELb1ELi512EEEvPfS3_PT_PKS4_PKT0_SA_ifPKiSC_iPKfiiiSE_SE_iiiii,"axG",@progbits,_ZN4vllm25paged_attention_v2_kernelI14__hip_bfloat16hLi32ELi8ELi128ELNS_18Fp8KVCacheDataTypeE1ELb1ELi512EEEvPfS3_PT_PKS4_PKT0_SA_ifPKiSC_iPKfiiiSE_SE_iiiii,comdat
.Lfunc_end315:
	.size	_ZN4vllm25paged_attention_v2_kernelI14__hip_bfloat16hLi32ELi8ELi128ELNS_18Fp8KVCacheDataTypeE1ELb1ELi512EEEvPfS3_PT_PKS4_PKT0_SA_ifPKiSC_iPKfiiiSE_SE_iiiii, .Lfunc_end315-_ZN4vllm25paged_attention_v2_kernelI14__hip_bfloat16hLi32ELi8ELi128ELNS_18Fp8KVCacheDataTypeE1ELb1ELi512EEEvPfS3_PT_PKS4_PKT0_SA_ifPKiSC_iPKfiiiSE_SE_iiiii
                                        ; -- End function
	.section	.AMDGPU.csdata,"",@progbits
; Kernel info:
; codeLenInByte = 6908
; NumSgprs: 65
; NumVgprs: 32
; NumAgprs: 0
; TotalNumVgprs: 32
; ScratchSize: 0
; MemoryBound: 0
; FloatMode: 240
; IeeeMode: 1
; LDSByteSize: 80 bytes/workgroup (compile time only)
; SGPRBlocks: 8
; VGPRBlocks: 3
; NumSGPRsForWavesPerEU: 65
; NumVGPRsForWavesPerEU: 32
; AccumOffset: 32
; Occupancy: 8
; WaveLimiterHint : 1
; COMPUTE_PGM_RSRC2:SCRATCH_EN: 0
; COMPUTE_PGM_RSRC2:USER_SGPR: 2
; COMPUTE_PGM_RSRC2:TRAP_HANDLER: 0
; COMPUTE_PGM_RSRC2:TGID_X_EN: 1
; COMPUTE_PGM_RSRC2:TGID_Y_EN: 1
; COMPUTE_PGM_RSRC2:TGID_Z_EN: 1
; COMPUTE_PGM_RSRC2:TIDIG_COMP_CNT: 0
; COMPUTE_PGM_RSRC3_GFX90A:ACCUM_OFFSET: 7
; COMPUTE_PGM_RSRC3_GFX90A:TG_SPLIT: 0
	.section	.text._ZN4vllm25paged_attention_v2_kernelI14__hip_bfloat16hLi64ELi8ELi128ELNS_18Fp8KVCacheDataTypeE1ELb1ELi512EEEvPfS3_PT_PKS4_PKT0_SA_ifPKiSC_iPKfiiiSE_SE_iiiii,"axG",@progbits,_ZN4vllm25paged_attention_v2_kernelI14__hip_bfloat16hLi64ELi8ELi128ELNS_18Fp8KVCacheDataTypeE1ELb1ELi512EEEvPfS3_PT_PKS4_PKT0_SA_ifPKiSC_iPKfiiiSE_SE_iiiii,comdat
	.protected	_ZN4vllm25paged_attention_v2_kernelI14__hip_bfloat16hLi64ELi8ELi128ELNS_18Fp8KVCacheDataTypeE1ELb1ELi512EEEvPfS3_PT_PKS4_PKT0_SA_ifPKiSC_iPKfiiiSE_SE_iiiii ; -- Begin function _ZN4vllm25paged_attention_v2_kernelI14__hip_bfloat16hLi64ELi8ELi128ELNS_18Fp8KVCacheDataTypeE1ELb1ELi512EEEvPfS3_PT_PKS4_PKT0_SA_ifPKiSC_iPKfiiiSE_SE_iiiii
	.globl	_ZN4vllm25paged_attention_v2_kernelI14__hip_bfloat16hLi64ELi8ELi128ELNS_18Fp8KVCacheDataTypeE1ELb1ELi512EEEvPfS3_PT_PKS4_PKT0_SA_ifPKiSC_iPKfiiiSE_SE_iiiii
	.p2align	8
	.type	_ZN4vllm25paged_attention_v2_kernelI14__hip_bfloat16hLi64ELi8ELi128ELNS_18Fp8KVCacheDataTypeE1ELb1ELi512EEEvPfS3_PT_PKS4_PKT0_SA_ifPKiSC_iPKfiiiSE_SE_iiiii,@function
_ZN4vllm25paged_attention_v2_kernelI14__hip_bfloat16hLi64ELi8ELi128ELNS_18Fp8KVCacheDataTypeE1ELb1ELi512EEEvPfS3_PT_PKS4_PKT0_SA_ifPKiSC_iPKfiiiSE_SE_iiiii: ; @_ZN4vllm25paged_attention_v2_kernelI14__hip_bfloat16hLi64ELi8ELi128ELNS_18Fp8KVCacheDataTypeE1ELb1ELi512EEEvPfS3_PT_PKS4_PKT0_SA_ifPKiSC_iPKfiiiSE_SE_iiiii
; %bb.0:
	s_load_dwordx2 s[6:7], s[0:1], 0x40
	s_mov_b32 s36, s3
	s_ashr_i32 s37, s3, 31
	s_lshl_b64 s[8:9], s[36:37], 2
	s_waitcnt lgkmcnt(0)
	s_add_u32 s6, s6, s8
	s_addc_u32 s7, s7, s9
	s_load_dword s33, s[6:7], 0x0
	s_lshl_b32 s54, s4, 9
	s_waitcnt lgkmcnt(0)
	s_cmp_ge_i32 s54, s33
	s_cbranch_scc1 .LBB316_193
; %bb.1:
	s_load_dword s5, s[0:1], 0x90
	s_load_dwordx2 s[44:45], s[0:1], 0x30
	s_waitcnt lgkmcnt(0)
	s_abs_i32 s7, s5
	s_abs_i32 s3, s44
	v_cvt_f32_u32_e32 v1, s3
	s_sub_i32 s8, 0, s3
	s_xor_b32 s6, s5, s44
	s_ashr_i32 s6, s6, 31
	v_rcp_iflag_f32_e32 v1, v1
	s_nop 0
	v_mul_f32_e32 v1, 0x4f7ffffe, v1
	v_cvt_u32_f32_e32 v1, v1
	s_nop 0
	v_readfirstlane_b32 s9, v1
	s_mul_i32 s8, s8, s9
	s_mul_hi_u32 s8, s9, s8
	s_add_i32 s9, s9, s8
	s_mul_hi_u32 s8, s7, s9
	s_mul_i32 s9, s8, s3
	s_sub_i32 s7, s7, s9
	s_add_i32 s10, s8, 1
	s_sub_i32 s9, s7, s3
	s_cmp_ge_u32 s7, s3
	s_cselect_b32 s8, s10, s8
	s_cselect_b32 s7, s9, s7
	s_add_i32 s9, s8, 1
	s_cmp_ge_u32 s7, s3
	s_cselect_b32 s3, s9, s8
	s_xor_b32 s3, s3, s6
	s_sub_i32 s10, s3, s6
	s_abs_i32 s8, s10
	v_cvt_f32_u32_e32 v1, s8
	s_load_dwordx2 s[6:7], s[0:1], 0x50
	s_sub_i32 s11, 0, s8
	s_abs_i32 s9, s2
	v_rcp_iflag_f32_e32 v1, v1
	s_mov_b32 s3, 0
	v_mul_f32_e32 v1, 0x4f7ffffe, v1
	v_cvt_u32_f32_e32 v1, v1
	s_nop 0
	v_readfirstlane_b32 s12, v1
	s_mul_i32 s11, s11, s12
	s_mul_hi_u32 s11, s12, s11
	s_add_i32 s12, s12, s11
	s_waitcnt lgkmcnt(0)
	s_cmp_eq_u64 s[6:7], 0
	s_mul_hi_u32 s12, s9, s12
	s_cbranch_scc1 .LBB316_3
; %bb.2:
	s_ashr_i32 s3, s2, 31
	s_lshl_b64 s[14:15], s[2:3], 2
	s_add_u32 s6, s6, s14
	s_addc_u32 s7, s7, s15
	s_load_dword s3, s[6:7], 0x0
.LBB316_3:
	s_load_dwordx4 s[20:23], s[0:1], 0x58
	s_ashr_i32 s13, s2, 31
	s_ashr_i32 s16, s10, 31
	v_and_b32_e32 v6, 7, v0
	s_lshl_b32 s14, s2, 6
	v_cmp_gt_u32_e64 s[10:11], 64, v0
	s_and_saveexec_b64 s[6:7], s[10:11]
	s_cbranch_execz .LBB316_5
; %bb.4:
	s_load_dwordx2 s[18:19], s[0:1], 0x18
	s_waitcnt lgkmcnt(0)
	s_mul_i32 s24, s36, s20
	s_ashr_i32 s25, s24, 31
	s_lshl_b64 s[24:25], s[24:25], 1
	v_lshlrev_b32_e32 v1, 1, v0
	s_add_u32 s17, s18, s24
	s_addc_u32 s20, s19, s25
	s_ashr_i32 s15, s14, 31
	s_lshl_b64 s[18:19], s[14:15], 1
	s_add_u32 s18, s17, s18
	s_addc_u32 s19, s20, s19
	global_load_ushort v1, v1, s[18:19]
	v_lshrrev_b32_e32 v2, 2, v0
	v_and_b32_e32 v2, 0xfe, v2
	v_lshl_add_u32 v2, v6, 4, v2
	s_waitcnt vmcnt(0)
	ds_write_b16 v2, v1
.LBB316_5:
	s_or_b64 exec, exec, s[6:7]
	s_mul_i32 s7, s12, s8
	s_sub_i32 s7, s9, s7
	s_xor_b32 s6, s13, s16
	s_add_i32 s9, s12, 1
	s_sub_i32 s13, s7, s8
	s_load_dwordx4 s[24:27], s[0:1], 0x78
	s_cmp_ge_u32 s7, s8
	s_cselect_b32 s9, s9, s12
	s_cselect_b32 s7, s13, s7
	s_add_i32 s12, s9, 1
	s_cmp_ge_u32 s7, s8
	s_cselect_b32 s7, s12, s9
	s_load_dword s12, s[0:1], 0x88
	s_waitcnt lgkmcnt(0)
	s_abs_i32 s37, s27
	v_cvt_f32_u32_e32 v1, s37
	s_xor_b32 s7, s7, s6
	s_sub_i32 s53, s7, s6
	s_sub_i32 s6, 0, s37
	v_rcp_iflag_f32_e32 v1, v1
	s_add_i32 s13, s33, -1
	s_abs_i32 s8, s13
	v_mul_f32_e32 v1, 0x4f7ffffe, v1
	v_cvt_u32_f32_e32 v1, v1
	s_barrier
	v_readfirstlane_b32 s50, v1
	s_mul_i32 s6, s6, s50
	s_mul_hi_u32 s6, s50, s6
	s_add_i32 s50, s50, s6
	s_cmp_lt_i32 s12, 0
	s_mul_hi_u32 s9, s8, s50
	s_cbranch_scc0 .LBB316_7
; %bb.6:
	s_mul_i32 s6, s24, s44
	s_add_i32 s6, s53, s6
	s_mul_i32 s6, s6, s12
	s_sub_i32 s44, 1, s6
	s_mov_b64 s[6:7], 0
	s_branch .LBB316_8
.LBB316_7:
	s_mov_b64 s[6:7], -1
                                        ; implicit-def: $sgpr44
.LBB316_8:
	s_load_dwordx2 s[38:39], s[0:1], 0x38
	s_ashr_i32 s13, s13, 31
	s_andn2_b64 vcc, exec, s[6:7]
	s_ashr_i32 s27, s27, 31
	s_cbranch_vccnz .LBB316_10
; %bb.9:
	s_mul_i32 s6, s5, s24
	s_add_i32 s6, s6, s2
	s_mul_i32 s6, s6, s12
	s_add_i32 s44, s6, 1
.LBB316_10:
	s_load_dwordx2 s[42:43], s[0:1], 0x28
	s_load_dword s6, s[0:1], 0x48
	s_load_dwordx4 s[28:31], s[0:1], 0x0
	s_load_dwordx2 s[34:35], s[0:1], 0x10
	s_load_dword s15, s[0:1], 0x98
	s_load_dwordx4 s[16:19], s[0:1], 0x68
	s_mul_i32 s7, s9, s37
	s_waitcnt lgkmcnt(0)
	s_mul_i32 s40, s36, s6
	s_sub_i32 s7, s8, s7
	s_ashr_i32 s41, s40, 31
	s_xor_b32 s6, s13, s27
	s_add_i32 s8, s9, 1
	s_sub_i32 s12, s7, s37
	s_cmp_ge_u32 s7, s37
	s_cselect_b32 s8, s8, s9
	s_cselect_b32 s7, s12, s7
	s_add_i32 s9, s8, 1
	s_cmp_ge_u32 s7, s37
	s_cselect_b32 s7, s9, s8
	s_xor_b32 s7, s7, s6
	s_sub_i32 s52, s7, s6
	s_add_i32 s6, s33, 7
	s_ashr_i32 s7, s6, 31
	s_lshr_b32 s7, s7, 29
	s_add_i32 s6, s6, s7
	s_lshl_b32 s20, s4, 6
	s_ashr_i32 s51, s6, 3
	s_add_i32 s6, s20, 64
	v_lshrrev_b32_e32 v19, 6, v0
	s_min_i32 s24, s6, s51
	v_or_b32_e32 v10, s20, v19
	v_cmp_gt_i32_e64 s[6:7], s24, v10
	v_mov_b32_e32 v20, 0xff7fffff
	s_mul_i32 s53, s53, s22
	v_ashrrev_i32_e32 v11, 31, v10
	v_lshl_add_u32 v1, v19, 3, s54
	v_mbcnt_lo_u32_b32 v16, -1, 0
	s_and_saveexec_b64 s[22:23], s[6:7]
	s_cbranch_execz .LBB316_52
; %bb.11:
	s_load_dwordx2 s[0:1], s[0:1], 0x20
	s_sub_i32 s55, s52, s25
	s_ashr_i32 s8, s53, 31
	v_bfe_u32 v17, v0, 3, 3
	v_mov_b32_e32 v7, 0
	s_waitcnt lgkmcnt(0)
	s_add_u32 s0, s0, s53
	s_addc_u32 s1, s1, s8
	s_abs_i32 s56, s26
	v_cvt_f32_u32_e32 v2, s56
	v_cmp_eq_u32_e32 vcc, 0, v6
	s_mov_b32 s57, s21
	v_lshlrev_b32_e32 v18, 4, v6
	v_rcp_iflag_f32_e32 v3, v2
	v_lshlrev_b32_e32 v2, 4, v17
	v_cmp_neq_f32_e64 s[8:9], s3, 0
	v_lshl_add_u32 v22, v19, 3, s54
	v_mul_f32_e32 v3, 0x4f7ffffe, v3
	v_cvt_u32_f32_e32 v4, v3
	v_mov_b32_e32 v3, v7
	v_lshl_add_u64 v[8:9], s[0:1], 0, v[2:3]
	s_sub_i32 s0, 0, s56
	v_mul_lo_u32 v2, s0, v4
	v_mul_hi_u32 v2, v4, v2
	v_add_u32_e32 v21, v4, v2
	s_lshl_b64 s[0:1], s[40:41], 2
	v_lshlrev_b32_e32 v2, 2, v17
	s_add_u32 s0, s38, s0
	v_lshl_or_b32 v2, v19, 5, v2
	s_addc_u32 s1, s39, s1
	v_add_u32_e32 v23, 0x90, v2
	v_subrev_u32_e32 v2, s33, v17
	v_lshl_add_u64 v[12:13], v[10:11], 2, s[0:1]
	v_add_u32_e32 v24, 1, v2
	s_mov_b64 s[46:47], 0
	v_mov_b32_e32 v25, 0xff7fffff
	s_mov_b32 s58, 0x7f800000
	s_movk_i32 s59, 0x7fff
	v_mbcnt_hi_u32_b32 v26, -1, v16
	v_mov_b32_e32 v20, 0xff7fffff
	v_mov_b32_e32 v27, v10
	s_branch .LBB316_14
.LBB316_12:                             ;   in Loop: Header=BB316_14 Depth=1
	s_or_b64 exec, exec, s[48:49]
.LBB316_13:                             ;   in Loop: Header=BB316_14 Depth=1
	s_or_b64 exec, exec, s[12:13]
	v_add_u32_e32 v27, 2, v27
	v_cmp_le_i32_e64 s[0:1], s24, v27
	v_lshl_add_u64 v[12:13], v[12:13], 0, 8
	v_add_u32_e32 v22, 16, v22
	s_or_b64 s[46:47], s[0:1], s[46:47]
	v_add_u32_e32 v23, 64, v23
	s_andn2_b64 exec, exec, s[46:47]
	s_cbranch_execz .LBB316_51
.LBB316_14:                             ; =>This Inner Loop Header: Depth=1
	s_waitcnt lgkmcnt(0)
	v_sub_u32_e32 v3, 0, v22
	v_max_i32_e32 v3, v22, v3
	v_mul_hi_u32 v4, v3, s50
	v_mul_lo_u32 v5, v4, s37
	v_sub_u32_e32 v3, v3, v5
	v_add_u32_e32 v5, 1, v4
	v_cmp_le_u32_e64 s[0:1], s37, v3
	v_ashrrev_i32_e32 v2, 31, v22
	v_xor_b32_e32 v2, s27, v2
	v_cndmask_b32_e64 v4, v4, v5, s[0:1]
	v_subrev_u32_e32 v5, s37, v3
	v_cndmask_b32_e64 v3, v3, v5, s[0:1]
	v_add_u32_e32 v5, 1, v4
	v_cmp_le_u32_e64 s[0:1], s37, v3
	s_nop 1
	v_cndmask_b32_e64 v3, v4, v5, s[0:1]
	v_xor_b32_e32 v3, v3, v2
	v_sub_u32_e32 v2, v3, v2
	v_add_u32_e32 v3, s44, v2
	v_sub_u32_e32 v5, 0, v3
	v_ashrrev_i32_e32 v4, 31, v3
	v_max_i32_e32 v3, v3, v5
	v_mul_hi_u32 v5, v3, v21
	v_mul_lo_u32 v5, v5, s56
	v_sub_u32_e32 v3, v3, v5
	v_subrev_u32_e32 v5, s56, v3
	v_cmp_le_u32_e64 s[0:1], s56, v3
	v_cmp_ge_i32_e64 s[12:13], s55, v2
	s_nop 0
	v_cndmask_b32_e64 v3, v3, v5, s[0:1]
	v_subrev_u32_e32 v5, s56, v3
	v_cmp_le_u32_e64 s[0:1], s56, v3
	s_nop 1
	v_cndmask_b32_e64 v3, v3, v5, s[0:1]
	v_xor_b32_e32 v3, v3, v4
	v_sub_u32_e32 v3, v3, v4
	v_cmp_ne_u32_e64 s[0:1], 0, v3
	s_and_b64 s[0:1], s[0:1], s[12:13]
	s_and_b64 s[48:49], vcc, s[0:1]
	s_and_saveexec_b64 s[12:13], s[48:49]
	s_cbranch_execz .LBB316_16
; %bb.15:                               ;   in Loop: Header=BB316_14 Depth=1
	ds_write_b32 v23, v25
.LBB316_16:                             ;   in Loop: Header=BB316_14 Depth=1
	s_or_b64 exec, exec, s[12:13]
	s_xor_b64 s[0:1], s[0:1], -1
	s_and_saveexec_b64 s[12:13], s[0:1]
	s_cbranch_execz .LBB316_13
; %bb.17:                               ;   in Loop: Header=BB316_14 Depth=1
	global_load_dword v2, v[12:13], off
	s_load_dword s60, s[16:17], 0x0
	s_waitcnt vmcnt(0)
	v_mad_i64_i32 v[2:3], s[0:1], v2, s57, v[8:9]
	v_lshl_add_u64 v[14:15], v[2:3], 0, v[6:7]
	global_load_ubyte v2, v[14:15], off
	s_waitcnt vmcnt(0)
	v_cvt_f32_fp8_sdwa v28, v2 src0_sel:BYTE_0
	ds_read_b128 v[2:5], v18
	s_waitcnt lgkmcnt(0)
	v_mul_f32_e32 v29, s60, v28
	v_and_b32_e32 v28, 0x7f800000, v29
	v_cmp_ne_u32_e64 s[0:1], s58, v28
                                        ; implicit-def: $vgpr28
	s_and_saveexec_b64 s[48:49], s[0:1]
	s_xor_b64 s[0:1], exec, s[48:49]
; %bb.18:                               ;   in Loop: Header=BB316_14 Depth=1
	v_bfe_u32 v28, v29, 16, 1
	v_add3_u32 v28, v29, v28, s59
                                        ; implicit-def: $vgpr29
; %bb.19:                               ;   in Loop: Header=BB316_14 Depth=1
	s_andn2_saveexec_b64 s[48:49], s[0:1]
; %bb.20:                               ;   in Loop: Header=BB316_14 Depth=1
	v_or_b32_e32 v28, 0x10000, v29
	v_cmp_eq_u32_sdwa s[0:1], v29, v7 src0_sel:WORD_0 src1_sel:DWORD
	s_nop 1
	v_cndmask_b32_e64 v28, v28, v29, s[0:1]
; %bb.21:                               ;   in Loop: Header=BB316_14 Depth=1
	s_or_b64 exec, exec, s[48:49]
	global_load_ubyte v29, v[14:15], off offset:8
	s_waitcnt vmcnt(0)
	v_cvt_f32_fp8_sdwa v29, v29 src0_sel:BYTE_0
	s_nop 0
	v_mul_f32_e32 v30, s60, v29
	v_and_b32_e32 v29, 0x7f800000, v30
	v_cmp_ne_u32_e64 s[0:1], s58, v29
                                        ; implicit-def: $vgpr29
	s_and_saveexec_b64 s[48:49], s[0:1]
	s_xor_b64 s[0:1], exec, s[48:49]
; %bb.22:                               ;   in Loop: Header=BB316_14 Depth=1
	v_bfe_u32 v29, v30, 16, 1
	v_add3_u32 v29, v30, v29, s59
                                        ; implicit-def: $vgpr30
; %bb.23:                               ;   in Loop: Header=BB316_14 Depth=1
	s_andn2_saveexec_b64 s[48:49], s[0:1]
; %bb.24:                               ;   in Loop: Header=BB316_14 Depth=1
	v_or_b32_e32 v29, 0x10000, v30
	v_cmp_eq_u32_sdwa s[0:1], v30, v7 src0_sel:WORD_0 src1_sel:DWORD
	s_nop 1
	v_cndmask_b32_e64 v29, v29, v30, s[0:1]
; %bb.25:                               ;   in Loop: Header=BB316_14 Depth=1
	s_or_b64 exec, exec, s[48:49]
	global_load_ubyte v30, v[14:15], off offset:128
	s_waitcnt vmcnt(0)
	v_cvt_f32_fp8_sdwa v30, v30 src0_sel:BYTE_0
	s_nop 0
	v_mul_f32_e32 v31, s60, v30
	v_and_b32_e32 v30, 0x7f800000, v31
	v_cmp_ne_u32_e64 s[0:1], s58, v30
                                        ; implicit-def: $vgpr30
	s_and_saveexec_b64 s[48:49], s[0:1]
	s_xor_b64 s[0:1], exec, s[48:49]
; %bb.26:                               ;   in Loop: Header=BB316_14 Depth=1
	v_bfe_u32 v30, v31, 16, 1
	v_add3_u32 v30, v31, v30, s59
                                        ; implicit-def: $vgpr31
; %bb.27:                               ;   in Loop: Header=BB316_14 Depth=1
	s_andn2_saveexec_b64 s[48:49], s[0:1]
; %bb.28:                               ;   in Loop: Header=BB316_14 Depth=1
	v_or_b32_e32 v30, 0x10000, v31
	v_cmp_eq_u32_sdwa s[0:1], v31, v7 src0_sel:WORD_0 src1_sel:DWORD
	s_nop 1
	v_cndmask_b32_e64 v30, v30, v31, s[0:1]
; %bb.29:                               ;   in Loop: Header=BB316_14 Depth=1
	s_or_b64 exec, exec, s[48:49]
	global_load_ubyte v31, v[14:15], off offset:136
	s_waitcnt vmcnt(0)
	v_cvt_f32_fp8_sdwa v31, v31 src0_sel:BYTE_0
	s_nop 0
	v_mul_f32_e32 v32, s60, v31
	v_and_b32_e32 v31, 0x7f800000, v32
	v_cmp_ne_u32_e64 s[0:1], s58, v31
                                        ; implicit-def: $vgpr31
	s_and_saveexec_b64 s[48:49], s[0:1]
	s_xor_b64 s[0:1], exec, s[48:49]
; %bb.30:                               ;   in Loop: Header=BB316_14 Depth=1
	v_bfe_u32 v31, v32, 16, 1
	v_add3_u32 v31, v32, v31, s59
                                        ; implicit-def: $vgpr32
; %bb.31:                               ;   in Loop: Header=BB316_14 Depth=1
	s_andn2_saveexec_b64 s[48:49], s[0:1]
; %bb.32:                               ;   in Loop: Header=BB316_14 Depth=1
	v_or_b32_e32 v31, 0x10000, v32
	v_cmp_eq_u32_sdwa s[0:1], v32, v7 src0_sel:WORD_0 src1_sel:DWORD
	s_nop 1
	v_cndmask_b32_e64 v31, v31, v32, s[0:1]
; %bb.33:                               ;   in Loop: Header=BB316_14 Depth=1
	s_or_b64 exec, exec, s[48:49]
	global_load_ubyte v32, v[14:15], off offset:256
	s_waitcnt vmcnt(0)
	v_cvt_f32_fp8_sdwa v32, v32 src0_sel:BYTE_0
	s_nop 0
	v_mul_f32_e32 v33, s60, v32
	v_and_b32_e32 v32, 0x7f800000, v33
	v_cmp_ne_u32_e64 s[0:1], s58, v32
                                        ; implicit-def: $vgpr32
	s_and_saveexec_b64 s[48:49], s[0:1]
	s_xor_b64 s[0:1], exec, s[48:49]
; %bb.34:                               ;   in Loop: Header=BB316_14 Depth=1
	v_bfe_u32 v32, v33, 16, 1
	v_add3_u32 v32, v33, v32, s59
                                        ; implicit-def: $vgpr33
; %bb.35:                               ;   in Loop: Header=BB316_14 Depth=1
	s_andn2_saveexec_b64 s[48:49], s[0:1]
; %bb.36:                               ;   in Loop: Header=BB316_14 Depth=1
	v_or_b32_e32 v32, 0x10000, v33
	v_cmp_eq_u32_sdwa s[0:1], v33, v7 src0_sel:WORD_0 src1_sel:DWORD
	s_nop 1
	v_cndmask_b32_e64 v32, v32, v33, s[0:1]
; %bb.37:                               ;   in Loop: Header=BB316_14 Depth=1
	s_or_b64 exec, exec, s[48:49]
	global_load_ubyte v33, v[14:15], off offset:264
	s_waitcnt vmcnt(0)
	v_cvt_f32_fp8_sdwa v33, v33 src0_sel:BYTE_0
	s_nop 0
	v_mul_f32_e32 v34, s60, v33
	v_and_b32_e32 v33, 0x7f800000, v34
	v_cmp_ne_u32_e64 s[0:1], s58, v33
                                        ; implicit-def: $vgpr33
	s_and_saveexec_b64 s[48:49], s[0:1]
	s_xor_b64 s[0:1], exec, s[48:49]
; %bb.38:                               ;   in Loop: Header=BB316_14 Depth=1
	v_bfe_u32 v33, v34, 16, 1
	v_add3_u32 v33, v34, v33, s59
                                        ; implicit-def: $vgpr34
; %bb.39:                               ;   in Loop: Header=BB316_14 Depth=1
	s_andn2_saveexec_b64 s[48:49], s[0:1]
; %bb.40:                               ;   in Loop: Header=BB316_14 Depth=1
	v_or_b32_e32 v33, 0x10000, v34
	v_cmp_eq_u32_sdwa s[0:1], v34, v7 src0_sel:WORD_0 src1_sel:DWORD
	s_nop 1
	v_cndmask_b32_e64 v33, v33, v34, s[0:1]
; %bb.41:                               ;   in Loop: Header=BB316_14 Depth=1
	s_or_b64 exec, exec, s[48:49]
	global_load_ubyte v34, v[14:15], off offset:384
	s_waitcnt vmcnt(0)
	v_cvt_f32_fp8_sdwa v34, v34 src0_sel:BYTE_0
	s_nop 0
	v_mul_f32_e32 v35, s60, v34
	v_and_b32_e32 v34, 0x7f800000, v35
	v_cmp_ne_u32_e64 s[0:1], s58, v34
                                        ; implicit-def: $vgpr34
	s_and_saveexec_b64 s[48:49], s[0:1]
	s_xor_b64 s[0:1], exec, s[48:49]
; %bb.42:                               ;   in Loop: Header=BB316_14 Depth=1
	v_bfe_u32 v34, v35, 16, 1
	v_add3_u32 v34, v35, v34, s59
                                        ; implicit-def: $vgpr35
; %bb.43:                               ;   in Loop: Header=BB316_14 Depth=1
	s_andn2_saveexec_b64 s[48:49], s[0:1]
; %bb.44:                               ;   in Loop: Header=BB316_14 Depth=1
	v_or_b32_e32 v34, 0x10000, v35
	v_cmp_eq_u32_sdwa s[0:1], v35, v7 src0_sel:WORD_0 src1_sel:DWORD
	s_nop 1
	v_cndmask_b32_e64 v34, v34, v35, s[0:1]
; %bb.45:                               ;   in Loop: Header=BB316_14 Depth=1
	s_or_b64 exec, exec, s[48:49]
	global_load_ubyte v14, v[14:15], off offset:392
	s_waitcnt vmcnt(0)
	v_cvt_f32_fp8_sdwa v14, v14 src0_sel:BYTE_0
	s_nop 0
	v_mul_f32_e32 v15, s60, v14
	v_and_b32_e32 v14, 0x7f800000, v15
	v_cmp_ne_u32_e64 s[0:1], s58, v14
                                        ; implicit-def: $vgpr14
	s_and_saveexec_b64 s[48:49], s[0:1]
	s_xor_b64 s[0:1], exec, s[48:49]
; %bb.46:                               ;   in Loop: Header=BB316_14 Depth=1
	v_bfe_u32 v14, v15, 16, 1
	v_add3_u32 v14, v15, v14, s59
                                        ; implicit-def: $vgpr15
; %bb.47:                               ;   in Loop: Header=BB316_14 Depth=1
	s_andn2_saveexec_b64 s[48:49], s[0:1]
; %bb.48:                               ;   in Loop: Header=BB316_14 Depth=1
	v_or_b32_e32 v14, 0x10000, v15
	v_cmp_eq_u32_sdwa s[0:1], v15, v7 src0_sel:WORD_0 src1_sel:DWORD
	s_nop 1
	v_cndmask_b32_e64 v14, v14, v15, s[0:1]
; %bb.49:                               ;   in Loop: Header=BB316_14 Depth=1
	s_or_b64 exec, exec, s[48:49]
	v_and_b32_e32 v15, 0xffff0000, v34
	v_and_b32_e32 v29, 0xffff0000, v29
	v_lshlrev_b32_e32 v34, 16, v2
	v_and_b32_e32 v2, 0xffff0000, v2
	v_and_b32_e32 v28, 0xffff0000, v28
	v_mul_f32_e32 v2, v2, v29
	v_and_b32_e32 v30, 0xffff0000, v30
	v_lshlrev_b32_e32 v35, 16, v3
	v_fmac_f32_e32 v2, v34, v28
	v_and_b32_e32 v31, 0xffff0000, v31
	v_and_b32_e32 v3, 0xffff0000, v3
	v_fmac_f32_e32 v2, v35, v30
	v_and_b32_e32 v32, 0xffff0000, v32
	v_lshlrev_b32_e32 v36, 16, v4
	v_and_b32_e32 v38, 64, v26
	v_fmac_f32_e32 v2, v3, v31
	v_and_b32_e32 v33, 0xffff0000, v33
	v_and_b32_e32 v4, 0xffff0000, v4
	v_add_u32_e32 v38, 64, v38
	v_xor_b32_e32 v39, 4, v26
	v_fmac_f32_e32 v2, v36, v32
	v_lshlrev_b32_e32 v37, 16, v5
	v_cmp_lt_i32_e64 s[0:1], v39, v38
	v_fmac_f32_e32 v2, v4, v33
	v_and_b32_e32 v5, 0xffff0000, v5
	v_cndmask_b32_e64 v39, v26, v39, s[0:1]
	v_and_b32_e32 v14, 0xffff0000, v14
	v_fmac_f32_e32 v2, v37, v15
	v_lshlrev_b32_e32 v39, 2, v39
	v_fmac_f32_e32 v2, v5, v14
	ds_bpermute_b32 v3, v39, v2
	v_xor_b32_e32 v4, 2, v26
	v_cmp_lt_i32_e64 s[0:1], v4, v38
	s_waitcnt lgkmcnt(0)
	v_add_f32_e32 v2, v2, v3
	v_cndmask_b32_e64 v4, v26, v4, s[0:1]
	v_lshlrev_b32_e32 v4, 2, v4
	ds_bpermute_b32 v3, v4, v2
	v_xor_b32_e32 v4, 1, v26
	v_cmp_lt_i32_e64 s[0:1], v4, v38
	s_waitcnt lgkmcnt(0)
	v_add_f32_e32 v2, v2, v3
	v_cndmask_b32_e64 v4, v26, v4, s[0:1]
	v_lshlrev_b32_e32 v4, 2, v4
	ds_bpermute_b32 v3, v4, v2
	s_and_saveexec_b64 s[48:49], vcc
	s_cbranch_execz .LBB316_12
; %bb.50:                               ;   in Loop: Header=BB316_14 Depth=1
	v_add_u32_e32 v4, v24, v22
	v_cvt_f32_i32_e32 v4, v4
	s_waitcnt lgkmcnt(0)
	v_add_f32_e32 v2, v2, v3
	v_add_u32_e32 v5, v17, v22
	v_cmp_gt_i32_e64 s[0:1], s33, v5
	v_mul_f32_e32 v3, s3, v4
	v_cndmask_b32_e64 v3, 0, v3, s[8:9]
	v_fmac_f32_e32 v3, s45, v2
	v_cndmask_b32_e64 v2, 0, v3, s[0:1]
	ds_write_b32 v23, v2
	v_max_f32_e32 v2, v20, v20
	v_max_f32_e32 v2, v2, v3
	v_cndmask_b32_e64 v20, v20, v2, s[0:1]
	s_branch .LBB316_12
.LBB316_51:
	s_or_b64 exec, exec, s[46:47]
.LBB316_52:
	s_or_b64 exec, exec, s[22:23]
	v_mbcnt_hi_u32_b32 v2, -1, v16
	s_waitcnt lgkmcnt(0)
	v_and_b32_e32 v3, 64, v2
	v_add_u32_e32 v3, 64, v3
	v_xor_b32_e32 v4, 32, v2
	v_cmp_lt_i32_e32 vcc, v4, v3
	v_xor_b32_e32 v7, 16, v2
	v_max_f32_e32 v5, v20, v20
	v_cndmask_b32_e32 v4, v2, v4, vcc
	v_lshlrev_b32_e32 v6, 2, v4
	ds_bpermute_b32 v4, v6, v20
	v_cmp_lt_i32_e32 vcc, v7, v3
	v_and_b32_e32 v18, 63, v0
	s_waitcnt lgkmcnt(0)
	v_max_f32_e32 v4, v4, v4
	v_max_f32_e32 v4, v5, v4
	v_cndmask_b32_e32 v5, v2, v7, vcc
	v_lshlrev_b32_e32 v8, 2, v5
	ds_bpermute_b32 v5, v8, v4
	v_xor_b32_e32 v7, 8, v2
	v_cmp_lt_i32_e32 vcc, v7, v3
	s_waitcnt lgkmcnt(0)
	v_max_f32_e32 v5, v5, v5
	v_max_f32_e32 v4, v4, v5
	v_cndmask_b32_e32 v5, v2, v7, vcc
	v_lshlrev_b32_e32 v9, 2, v5
	ds_bpermute_b32 v7, v9, v4
	v_cmp_eq_u32_e32 vcc, 0, v18
	v_lshlrev_b32_e32 v5, 2, v19
	s_and_saveexec_b64 s[0:1], vcc
	s_cbranch_execz .LBB316_54
; %bb.53:
	s_waitcnt lgkmcnt(0)
	v_max_f32_e32 v7, v7, v7
	v_max_f32_e32 v4, v4, v4
	v_max_f32_e32 v4, v4, v7
	ds_write_b32 v5, v4 offset:128
.LBB316_54:
	s_or_b64 exec, exec, s[0:1]
	v_cmp_gt_u32_e64 s[0:1], 2, v18
	v_mov_b32_e32 v4, 0xff7fffff
	s_waitcnt lgkmcnt(0)
	v_lshlrev_b32_e32 v7, 2, v18
	s_barrier
	s_and_saveexec_b64 s[8:9], s[0:1]
	s_cbranch_execz .LBB316_56
; %bb.55:
	ds_read_b32 v4, v7 offset:128
.LBB316_56:
	s_or_b64 exec, exec, s[8:9]
	v_xor_b32_e32 v12, 1, v2
	v_cmp_lt_i32_e64 s[8:9], v12, v3
	s_sub_i32 s3, s24, s20
	s_lshl_b32 s3, s3, 3
	v_cndmask_b32_e64 v12, v2, v12, s[8:9]
	v_lshlrev_b32_e32 v12, 2, v12
	s_waitcnt lgkmcnt(0)
	ds_bpermute_b32 v13, v12, v4
	v_max_f32_e32 v4, v4, v4
	s_add_i32 s3, s3, s54
	s_min_i32 s45, s3, s33
	s_sub_i32 s3, s45, s54
	s_waitcnt lgkmcnt(0)
	v_max_f32_e32 v13, v13, v13
	v_max_f32_e32 v4, v4, v13
	v_lshlrev_b32_e32 v13, 2, v2
	v_and_b32_e32 v13, 0x100, v13
	ds_bpermute_b32 v4, v13, v4
	v_cmp_gt_i32_e64 s[8:9], s3, v0
	v_mov_b32_e32 v14, 0
	s_and_saveexec_b64 s[16:17], s[8:9]
	s_cbranch_execz .LBB316_60
; %bb.57:
	v_mov_b32_e32 v14, 0x90
	v_lshl_add_u32 v15, v0, 2, v14
	s_mov_b64 s[22:23], 0
	v_mov_b32_e32 v14, 0
	v_mov_b32_e32 v16, v0
.LBB316_58:                             ; =>This Inner Loop Header: Depth=1
	ds_read_b32 v17, v15
	v_add_u32_e32 v16, 0x80, v16
	v_cmp_le_i32_e64 s[12:13], s3, v16
	s_or_b64 s[22:23], s[12:13], s[22:23]
	s_waitcnt lgkmcnt(0)
	v_sub_f32_e32 v17, v17, v4
	v_mul_f32_e32 v17, 0x3fb8aa3b, v17
	v_exp_f32_e32 v17, v17
	ds_write_b32 v15, v17
	v_add_f32_e32 v14, v14, v17
	v_add_u32_e32 v15, 0x200, v15
	s_andn2_b64 exec, exec, s[22:23]
	s_cbranch_execnz .LBB316_58
; %bb.59:
	s_or_b64 exec, exec, s[22:23]
.LBB316_60:
	s_or_b64 exec, exec, s[16:17]
	ds_bpermute_b32 v6, v6, v14
	s_waitcnt lgkmcnt(0)
	v_add_f32_e32 v6, v14, v6
	ds_bpermute_b32 v8, v8, v6
	s_waitcnt lgkmcnt(0)
	v_add_f32_e32 v6, v6, v8
	ds_bpermute_b32 v8, v9, v6
	v_xor_b32_e32 v9, 4, v2
	v_cmp_lt_i32_e64 s[12:13], v9, v3
	s_waitcnt lgkmcnt(0)
	v_add_f32_e32 v6, v6, v8
	v_cndmask_b32_e64 v9, v2, v9, s[12:13]
	v_lshlrev_b32_e32 v9, 2, v9
	ds_bpermute_b32 v8, v9, v6
	v_xor_b32_e32 v9, 2, v2
	v_cmp_lt_i32_e64 s[12:13], v9, v3
	s_waitcnt lgkmcnt(0)
	v_add_f32_e32 v3, v6, v8
	v_cndmask_b32_e64 v2, v2, v9, s[12:13]
	v_lshlrev_b32_e32 v2, 2, v2
	ds_bpermute_b32 v2, v2, v3
	s_waitcnt lgkmcnt(0)
	v_add_f32_e32 v2, v3, v2
	ds_bpermute_b32 v3, v12, v2
	s_waitcnt lgkmcnt(0)
	v_add_f32_e32 v2, v2, v3
	s_and_saveexec_b64 s[12:13], vcc
	s_cbranch_execz .LBB316_62
; %bb.61:
	ds_write_b32 v5, v2 offset:136
.LBB316_62:
	s_or_b64 exec, exec, s[12:13]
	s_waitcnt lgkmcnt(0)
	s_barrier
	s_and_saveexec_b64 s[12:13], s[0:1]
	s_cbranch_execz .LBB316_64
; %bb.63:
	ds_read_b32 v2, v7 offset:136
.LBB316_64:
	s_or_b64 exec, exec, s[12:13]
	s_waitcnt lgkmcnt(0)
	ds_bpermute_b32 v3, v12, v2
	s_waitcnt lgkmcnt(0)
	v_add_f32_e32 v2, v2, v3
	ds_bpermute_b32 v5, v13, v2
	s_and_saveexec_b64 s[0:1], s[8:9]
	s_cbranch_execz .LBB316_77
; %bb.65:
	s_waitcnt lgkmcnt(0)
	v_add_f32_e32 v2, 0x358637bd, v5
	v_div_scale_f32 v3, s[8:9], v2, v2, 1.0
	v_rcp_f32_e32 v6, v3
	v_div_scale_f32 v7, vcc, 1.0, v2, 1.0
	s_movk_i32 s8, 0x7f
	v_fma_f32 v8, -v3, v6, 1.0
	v_fmac_f32_e32 v6, v8, v6
	v_mul_f32_e32 v8, v7, v6
	v_fma_f32 v9, -v3, v8, v7
	v_fmac_f32_e32 v8, v9, v6
	v_fma_f32 v3, -v3, v8, v7
	v_div_fmas_f32 v3, v3, v6, v8
	v_div_fixup_f32 v2, v3, v2, 1.0
	v_xad_u32 v3, v0, -1, s45
	v_subrev_u32_e32 v6, s54, v3
	v_cmp_lt_u32_e32 vcc, s8, v6
	s_mov_b64 s[12:13], -1
	v_mov_b32_e32 v3, v0
	s_and_saveexec_b64 s[8:9], vcc
	s_cbranch_execz .LBB316_74
; %bb.66:
	v_lshrrev_b32_e32 v6, 7, v6
	v_add_u32_e32 v8, -1, v6
	v_lshrrev_b32_e32 v7, 1, v8
	v_mov_b32_e32 v3, v2
	v_add_u32_e32 v7, 1, v7
	v_cmp_lt_u32_e32 vcc, 13, v8
	v_mov_b32_e32 v12, 0
	s_and_saveexec_b64 s[12:13], vcc
	s_cbranch_execz .LBB316_70
; %bb.67:
	v_mov_b32_e32 v9, 0x90
	v_and_b32_e32 v8, -8, v7
	v_lshl_add_u32 v9, v0, 2, v9
	s_mov_b32 s22, 0
	s_mov_b64 s[16:17], 0
.LBB316_68:                             ; =>This Inner Loop Header: Depth=1
	ds_read2st64_b32 v[12:13], v9 offset1:2
	ds_read2st64_b32 v[14:15], v9 offset0:4 offset1:6
	ds_read2st64_b32 v[16:17], v9 offset0:8 offset1:10
	ds_read2st64_b32 v[20:21], v9 offset0:12 offset1:14
	v_add_u32_e32 v8, -8, v8
	s_waitcnt lgkmcnt(3)
	v_pk_mul_f32 v[12:13], v[2:3], v[12:13]
	s_waitcnt lgkmcnt(2)
	v_pk_mul_f32 v[14:15], v[2:3], v[14:15]
	ds_write2st64_b32 v9, v12, v13 offset1:2
	ds_write2st64_b32 v9, v14, v15 offset0:4 offset1:6
	ds_read2st64_b32 v[14:15], v9 offset0:16 offset1:18
	s_waitcnt lgkmcnt(4)
	v_pk_mul_f32 v[12:13], v[2:3], v[16:17]
	ds_write2st64_b32 v9, v12, v13 offset0:8 offset1:10
	s_waitcnt lgkmcnt(4)
	v_pk_mul_f32 v[12:13], v[2:3], v[20:21]
	ds_write2st64_b32 v9, v12, v13 offset0:12 offset1:14
	ds_read2st64_b32 v[12:13], v9 offset0:20 offset1:22
	s_waitcnt lgkmcnt(3)
	v_pk_mul_f32 v[14:15], v[2:3], v[14:15]
	ds_read2st64_b32 v[16:17], v9 offset0:24 offset1:26
	ds_write2st64_b32 v9, v14, v15 offset0:16 offset1:18
	ds_read2st64_b32 v[14:15], v9 offset0:28 offset1:30
	s_waitcnt lgkmcnt(3)
	v_pk_mul_f32 v[12:13], v[2:3], v[12:13]
	ds_write2st64_b32 v9, v12, v13 offset0:20 offset1:22
	s_waitcnt lgkmcnt(3)
	v_pk_mul_f32 v[12:13], v[2:3], v[16:17]
	ds_write2st64_b32 v9, v12, v13 offset0:24 offset1:26
	s_waitcnt lgkmcnt(2)
	v_pk_mul_f32 v[12:13], v[2:3], v[14:15]
	s_add_i32 s22, s22, 16
	v_cmp_eq_u32_e32 vcc, 0, v8
	ds_write2st64_b32 v9, v12, v13 offset0:28 offset1:30
	v_add_u32_e32 v9, 0x2000, v9
	s_or_b64 s[16:17], vcc, s[16:17]
	v_mov_b32_e32 v12, s22
	s_andn2_b64 exec, exec, s[16:17]
	s_cbranch_execnz .LBB316_68
; %bb.69:
	s_or_b64 exec, exec, s[16:17]
.LBB316_70:
	s_or_b64 exec, exec, s[12:13]
	v_and_b32_e32 v7, 7, v7
	v_cmp_ne_u32_e32 vcc, 0, v7
	s_and_saveexec_b64 s[12:13], vcc
	s_cbranch_execz .LBB316_73
; %bb.71:
	v_lshlrev_b32_e32 v8, 9, v12
	v_lshlrev_b32_e32 v9, 2, v0
	s_movk_i32 s16, 0x90
	v_add3_u32 v8, v8, v9, s16
	s_mov_b64 s[16:17], 0
.LBB316_72:                             ; =>This Inner Loop Header: Depth=1
	ds_read2st64_b32 v[12:13], v8 offset1:2
	v_add_u32_e32 v7, -1, v7
	v_cmp_eq_u32_e32 vcc, 0, v7
	s_or_b64 s[16:17], vcc, s[16:17]
	s_waitcnt lgkmcnt(0)
	v_pk_mul_f32 v[12:13], v[2:3], v[12:13]
	ds_write2st64_b32 v8, v12, v13 offset1:2
	v_add_u32_e32 v8, 0x400, v8
	s_andn2_b64 exec, exec, s[16:17]
	s_cbranch_execnz .LBB316_72
.LBB316_73:
	s_or_b64 exec, exec, s[12:13]
	v_add_u32_e32 v6, 1, v6
	v_and_b32_e32 v7, 0x3fffffe, v6
	v_cmp_ne_u32_e32 vcc, v6, v7
	v_lshl_add_u32 v3, v7, 7, v0
	s_orn2_b64 s[12:13], vcc, exec
.LBB316_74:
	s_or_b64 exec, exec, s[8:9]
	s_and_b64 exec, exec, s[12:13]
	s_cbranch_execz .LBB316_77
; %bb.75:
	v_mov_b32_e32 v6, 0x90
	v_lshl_add_u32 v6, v3, 2, v6
	s_mov_b64 s[8:9], 0
.LBB316_76:                             ; =>This Inner Loop Header: Depth=1
	ds_read_b32 v7, v6
	v_add_u32_e32 v3, 0x80, v3
	v_cmp_le_i32_e32 vcc, s3, v3
	s_or_b64 s[8:9], vcc, s[8:9]
	s_waitcnt lgkmcnt(0)
	v_mul_f32_e32 v7, v2, v7
	ds_write_b32 v6, v7
	v_add_u32_e32 v6, 0x200, v6
	s_andn2_b64 exec, exec, s[8:9]
	s_cbranch_execnz .LBB316_76
.LBB316_77:
	s_or_b64 exec, exec, s[0:1]
	s_mul_i32 s0, s15, s36
	v_cmp_eq_u32_e32 vcc, 0, v0
	s_mul_i32 s8, s0, s5
	s_waitcnt lgkmcnt(0)
	s_barrier
	s_and_saveexec_b64 s[0:1], vcc
	s_cbranch_execz .LBB316_79
; %bb.78:
	s_ashr_i32 s9, s8, 31
	s_lshl_b64 s[12:13], s[8:9], 2
	s_add_u32 s5, s30, s12
	s_mul_i32 s2, s15, s2
	s_addc_u32 s9, s31, s13
	s_ashr_i32 s3, s2, 31
	s_lshl_b64 s[2:3], s[2:3], 2
	s_add_u32 s16, s5, s2
	s_addc_u32 s9, s9, s3
	s_ashr_i32 s5, s4, 31
	s_lshl_b64 s[4:5], s[4:5], 2
	s_add_u32 s16, s16, s4
	s_addc_u32 s17, s9, s5
	s_add_u32 s9, s28, s12
	s_addc_u32 s12, s29, s13
	;; [unrolled: 2-line block ×3, first 2 shown]
	s_add_u32 s2, s2, s4
	v_mov_b32_e32 v2, 0
	s_addc_u32 s3, s3, s5
	global_store_dword v2, v4, s[16:17]
	global_store_dword v2, v5, s[2:3]
.LBB316_79:
	s_or_b64 exec, exec, s[0:1]
	v_mov_b32_e32 v12, 0
	s_and_saveexec_b64 s[2:3], s[6:7]
	s_cbranch_execz .LBB316_183
; %bb.80:
	s_sub_i32 s9, s52, s25
	s_ashr_i32 s1, s53, 31
	s_add_u32 s0, s42, s53
	s_addc_u32 s1, s43, s1
	s_abs_i32 s12, s26
	v_cvt_f32_u32_e32 v2, s12
	v_lshlrev_b32_e32 v12, 3, v18
	v_mov_b32_e32 v13, 0
	v_lshl_add_u64 v[14:15], s[0:1], 0, v[12:13]
	v_rcp_iflag_f32_e32 v2, v2
	s_sub_i32 s0, 0, s12
	s_add_i32 s51, s51, -1
	s_lshl_b64 s[4:5], s[40:41], 2
	v_mul_f32_e32 v2, 0x4f7ffffe, v2
	v_cvt_u32_f32_e32 v2, v2
	s_mov_b32 s13, s21
	s_mov_b32 s16, 0x7f800000
	s_movk_i32 s17, 0x7fff
	v_mul_lo_u32 v3, s0, v2
	v_mul_hi_u32 v3, v2, v3
	s_add_u32 s0, s38, s4
	v_add_u32_e32 v20, v2, v3
	s_addc_u32 s1, s39, s5
	v_mov_b32_e32 v2, 0x90
	v_lshl_add_u64 v[16:17], v[10:11], 2, s[0:1]
	v_lshl_add_u32 v11, v19, 5, v2
	s_mov_b64 s[4:5], 0
	v_mov_b32_e32 v12, 0
	s_branch .LBB316_83
.LBB316_81:                             ;   in Loop: Header=BB316_83 Depth=1
	s_or_b64 exec, exec, s[6:7]
	v_and_b32_e32 v7, 0xffff0000, v6
	v_and_b32_e32 v6, 0xffff0000, v8
	;; [unrolled: 1-line block ×8, first 2 shown]
	v_pk_add_f32 v[2:3], v[4:5], v[8:9]
	v_pk_add_f32 v[4:5], v[22:23], v[6:7]
	v_add_f32_e32 v2, v2, v3
	v_add_f32_e32 v2, v2, v4
	;; [unrolled: 1-line block ×4, first 2 shown]
.LBB316_82:                             ;   in Loop: Header=BB316_83 Depth=1
	s_or_b64 exec, exec, s[0:1]
	v_add_u32_e32 v10, 2, v10
	v_cmp_le_i32_e32 vcc, s24, v10
	v_lshl_add_u64 v[16:17], v[16:17], 0, 8
	v_add_u32_e32 v1, 16, v1
	s_or_b64 s[4:5], vcc, s[4:5]
	v_add_u32_e32 v11, 64, v11
	s_andn2_b64 exec, exec, s[4:5]
	s_cbranch_execz .LBB316_182
.LBB316_83:                             ; =>This Inner Loop Header: Depth=1
	v_sub_u32_e32 v3, 0, v1
	v_max_i32_e32 v3, v1, v3
	v_mul_hi_u32 v4, v3, s50
	v_mul_lo_u32 v5, v4, s37
	v_sub_u32_e32 v3, v3, v5
	v_add_u32_e32 v5, 1, v4
	v_cmp_le_u32_e32 vcc, s37, v3
	v_ashrrev_i32_e32 v2, 31, v1
	v_xor_b32_e32 v2, s27, v2
	v_cndmask_b32_e32 v4, v4, v5, vcc
	v_subrev_u32_e32 v5, s37, v3
	v_cndmask_b32_e32 v3, v3, v5, vcc
	v_add_u32_e32 v5, 1, v4
	v_cmp_le_u32_e32 vcc, s37, v3
	s_nop 1
	v_cndmask_b32_e32 v3, v4, v5, vcc
	v_xor_b32_e32 v3, v3, v2
	v_sub_u32_e32 v2, v3, v2
	v_add_u32_e32 v3, s44, v2
	v_sub_u32_e32 v5, 0, v3
	v_ashrrev_i32_e32 v4, 31, v3
	v_max_i32_e32 v3, v3, v5
	v_mul_hi_u32 v5, v3, v20
	v_mul_lo_u32 v5, v5, s12
	v_sub_u32_e32 v3, v3, v5
	v_subrev_u32_e32 v5, s12, v3
	v_cmp_le_u32_e32 vcc, s12, v3
	v_cmp_lt_i32_e64 s[0:1], s9, v2
	s_nop 0
	v_cndmask_b32_e32 v3, v3, v5, vcc
	v_subrev_u32_e32 v5, s12, v3
	v_cmp_le_u32_e32 vcc, s12, v3
	s_nop 1
	v_cndmask_b32_e32 v3, v3, v5, vcc
	v_xor_b32_e32 v3, v3, v4
	v_sub_u32_e32 v3, v3, v4
	v_cmp_eq_u32_e32 vcc, 0, v3
	s_or_b64 s[6:7], vcc, s[0:1]
	s_and_saveexec_b64 s[0:1], s[6:7]
	s_cbranch_execz .LBB316_82
; %bb.84:                               ;   in Loop: Header=BB316_83 Depth=1
	global_load_dword v24, v[16:17], off
	ds_read2_b64 v[6:9], v11 offset1:1
	ds_read2_b64 v[2:5], v11 offset0:2 offset1:3
                                        ; implicit-def: $vgpr23
	s_waitcnt lgkmcnt(1)
	v_and_b32_e32 v19, 0x7f800000, v6
	v_cmp_ne_u32_e32 vcc, s16, v19
	s_and_saveexec_b64 s[6:7], vcc
	s_xor_b64 s[6:7], exec, s[6:7]
; %bb.85:                               ;   in Loop: Header=BB316_83 Depth=1
	v_bfe_u32 v19, v6, 16, 1
	v_add3_u32 v23, v6, v19, s17
; %bb.86:                               ;   in Loop: Header=BB316_83 Depth=1
	s_andn2_saveexec_b64 s[6:7], s[6:7]
; %bb.87:                               ;   in Loop: Header=BB316_83 Depth=1
	v_or_b32_e32 v19, 0x10000, v6
	v_cmp_eq_u32_sdwa vcc, v6, v13 src0_sel:WORD_0 src1_sel:DWORD
	s_nop 1
	v_cndmask_b32_e32 v23, v19, v6, vcc
; %bb.88:                               ;   in Loop: Header=BB316_83 Depth=1
	s_or_b64 exec, exec, s[6:7]
	v_and_b32_e32 v6, 0x7f800000, v7
	v_cmp_ne_u32_e32 vcc, s16, v6
                                        ; implicit-def: $vgpr22
	s_and_saveexec_b64 s[6:7], vcc
	s_xor_b64 s[6:7], exec, s[6:7]
; %bb.89:                               ;   in Loop: Header=BB316_83 Depth=1
	v_bfe_u32 v6, v7, 16, 1
	v_add3_u32 v22, v7, v6, s17
; %bb.90:                               ;   in Loop: Header=BB316_83 Depth=1
	s_andn2_saveexec_b64 s[6:7], s[6:7]
; %bb.91:                               ;   in Loop: Header=BB316_83 Depth=1
	v_or_b32_e32 v6, 0x10000, v7
	v_cmp_eq_u32_sdwa vcc, v7, v13 src0_sel:WORD_0 src1_sel:DWORD
	s_nop 1
	v_cndmask_b32_e32 v22, v6, v7, vcc
; %bb.92:                               ;   in Loop: Header=BB316_83 Depth=1
	s_or_b64 exec, exec, s[6:7]
	v_and_b32_e32 v6, 0x7f800000, v8
	v_cmp_ne_u32_e32 vcc, s16, v6
                                        ; implicit-def: $vgpr21
	s_and_saveexec_b64 s[6:7], vcc
	s_xor_b64 s[6:7], exec, s[6:7]
; %bb.93:                               ;   in Loop: Header=BB316_83 Depth=1
	v_bfe_u32 v6, v8, 16, 1
	v_add3_u32 v21, v8, v6, s17
; %bb.94:                               ;   in Loop: Header=BB316_83 Depth=1
	s_andn2_saveexec_b64 s[6:7], s[6:7]
; %bb.95:                               ;   in Loop: Header=BB316_83 Depth=1
	v_or_b32_e32 v6, 0x10000, v8
	v_cmp_eq_u32_sdwa vcc, v8, v13 src0_sel:WORD_0 src1_sel:DWORD
	s_nop 1
	v_cndmask_b32_e32 v21, v6, v8, vcc
; %bb.96:                               ;   in Loop: Header=BB316_83 Depth=1
	s_or_b64 exec, exec, s[6:7]
	v_and_b32_e32 v6, 0x7f800000, v9
	v_cmp_ne_u32_e32 vcc, s16, v6
                                        ; implicit-def: $vgpr19
	s_and_saveexec_b64 s[6:7], vcc
	s_xor_b64 s[6:7], exec, s[6:7]
; %bb.97:                               ;   in Loop: Header=BB316_83 Depth=1
	v_bfe_u32 v6, v9, 16, 1
	v_add3_u32 v19, v9, v6, s17
                                        ; implicit-def: $vgpr6_vgpr7_vgpr8_vgpr9
; %bb.98:                               ;   in Loop: Header=BB316_83 Depth=1
	s_andn2_saveexec_b64 s[6:7], s[6:7]
; %bb.99:                               ;   in Loop: Header=BB316_83 Depth=1
	v_or_b32_e32 v6, 0x10000, v9
	v_cmp_eq_u32_sdwa vcc, v9, v13 src0_sel:WORD_0 src1_sel:DWORD
	s_nop 1
	v_cndmask_b32_e32 v19, v6, v9, vcc
; %bb.100:                              ;   in Loop: Header=BB316_83 Depth=1
	s_or_b64 exec, exec, s[6:7]
	s_waitcnt lgkmcnt(0)
	v_and_b32_e32 v6, 0x7f800000, v2
	v_cmp_ne_u32_e32 vcc, s16, v6
                                        ; implicit-def: $vgpr9
	s_and_saveexec_b64 s[6:7], vcc
	s_xor_b64 s[6:7], exec, s[6:7]
; %bb.101:                              ;   in Loop: Header=BB316_83 Depth=1
	v_bfe_u32 v6, v2, 16, 1
	v_add3_u32 v9, v2, v6, s17
; %bb.102:                              ;   in Loop: Header=BB316_83 Depth=1
	s_andn2_saveexec_b64 s[6:7], s[6:7]
; %bb.103:                              ;   in Loop: Header=BB316_83 Depth=1
	v_or_b32_e32 v6, 0x10000, v2
	v_cmp_eq_u32_sdwa vcc, v2, v13 src0_sel:WORD_0 src1_sel:DWORD
	s_nop 1
	v_cndmask_b32_e32 v9, v6, v2, vcc
; %bb.104:                              ;   in Loop: Header=BB316_83 Depth=1
	s_or_b64 exec, exec, s[6:7]
	v_and_b32_e32 v2, 0x7f800000, v3
	v_cmp_ne_u32_e32 vcc, s16, v2
                                        ; implicit-def: $vgpr8
	s_and_saveexec_b64 s[6:7], vcc
	s_xor_b64 s[6:7], exec, s[6:7]
; %bb.105:                              ;   in Loop: Header=BB316_83 Depth=1
	v_bfe_u32 v2, v3, 16, 1
	v_add3_u32 v8, v3, v2, s17
; %bb.106:                              ;   in Loop: Header=BB316_83 Depth=1
	s_andn2_saveexec_b64 s[6:7], s[6:7]
; %bb.107:                              ;   in Loop: Header=BB316_83 Depth=1
	v_or_b32_e32 v2, 0x10000, v3
	v_cmp_eq_u32_sdwa vcc, v3, v13 src0_sel:WORD_0 src1_sel:DWORD
	s_nop 1
	v_cndmask_b32_e32 v8, v2, v3, vcc
; %bb.108:                              ;   in Loop: Header=BB316_83 Depth=1
	s_or_b64 exec, exec, s[6:7]
	v_and_b32_e32 v2, 0x7f800000, v4
	v_cmp_ne_u32_e32 vcc, s16, v2
                                        ; implicit-def: $vgpr7
	s_and_saveexec_b64 s[6:7], vcc
	s_xor_b64 s[6:7], exec, s[6:7]
; %bb.109:                              ;   in Loop: Header=BB316_83 Depth=1
	v_bfe_u32 v2, v4, 16, 1
	v_add3_u32 v7, v4, v2, s17
; %bb.110:                              ;   in Loop: Header=BB316_83 Depth=1
	s_andn2_saveexec_b64 s[6:7], s[6:7]
; %bb.111:                              ;   in Loop: Header=BB316_83 Depth=1
	v_or_b32_e32 v2, 0x10000, v4
	v_cmp_eq_u32_sdwa vcc, v4, v13 src0_sel:WORD_0 src1_sel:DWORD
	s_nop 1
	v_cndmask_b32_e32 v7, v2, v4, vcc
; %bb.112:                              ;   in Loop: Header=BB316_83 Depth=1
	s_or_b64 exec, exec, s[6:7]
	v_and_b32_e32 v2, 0x7f800000, v5
	v_cmp_ne_u32_e32 vcc, s16, v2
                                        ; implicit-def: $vgpr6
	s_and_saveexec_b64 s[6:7], vcc
	s_xor_b64 s[6:7], exec, s[6:7]
; %bb.113:                              ;   in Loop: Header=BB316_83 Depth=1
	v_bfe_u32 v2, v5, 16, 1
	v_add3_u32 v6, v5, v2, s17
                                        ; implicit-def: $vgpr2_vgpr3_vgpr4_vgpr5
; %bb.114:                              ;   in Loop: Header=BB316_83 Depth=1
	s_andn2_saveexec_b64 s[6:7], s[6:7]
; %bb.115:                              ;   in Loop: Header=BB316_83 Depth=1
	v_or_b32_e32 v2, 0x10000, v5
	v_cmp_eq_u32_sdwa vcc, v5, v13 src0_sel:WORD_0 src1_sel:DWORD
	s_nop 1
	v_cndmask_b32_e32 v6, v2, v5, vcc
; %bb.116:                              ;   in Loop: Header=BB316_83 Depth=1
	s_or_b64 exec, exec, s[6:7]
	s_waitcnt vmcnt(0)
	v_mad_i64_i32 v[2:3], s[6:7], v24, s13, v[14:15]
	global_load_dwordx2 v[2:3], v[2:3], off
	s_load_dword s21, s[18:19], 0x0
	s_waitcnt vmcnt(0)
	v_and_b32_e32 v4, 0xff, v2
	v_cvt_f32_fp8_sdwa v4, v4 src0_sel:BYTE_0
	s_waitcnt lgkmcnt(0)
	v_mul_f32_e32 v5, s21, v4
	v_and_b32_e32 v4, 0x7f800000, v5
	v_cmp_ne_u32_e32 vcc, s16, v4
                                        ; implicit-def: $vgpr4
	s_and_saveexec_b64 s[6:7], vcc
	s_xor_b64 s[6:7], exec, s[6:7]
; %bb.117:                              ;   in Loop: Header=BB316_83 Depth=1
	v_bfe_u32 v4, v5, 16, 1
	v_add3_u32 v4, v5, v4, s17
                                        ; implicit-def: $vgpr5
; %bb.118:                              ;   in Loop: Header=BB316_83 Depth=1
	s_andn2_saveexec_b64 s[6:7], s[6:7]
; %bb.119:                              ;   in Loop: Header=BB316_83 Depth=1
	v_or_b32_e32 v4, 0x10000, v5
	v_cmp_eq_u32_sdwa vcc, v5, v13 src0_sel:WORD_0 src1_sel:DWORD
	s_nop 1
	v_cndmask_b32_e32 v4, v4, v5, vcc
; %bb.120:                              ;   in Loop: Header=BB316_83 Depth=1
	s_or_b64 exec, exec, s[6:7]
	v_bfe_u32 v5, v2, 8, 8
	v_cvt_f32_fp8_sdwa v5, v5 src0_sel:BYTE_0
	s_nop 0
	v_mul_f32_e32 v24, s21, v5
	v_and_b32_e32 v5, 0x7f800000, v24
	v_cmp_ne_u32_e32 vcc, s16, v5
                                        ; implicit-def: $vgpr5
	s_and_saveexec_b64 s[6:7], vcc
	s_xor_b64 s[6:7], exec, s[6:7]
; %bb.121:                              ;   in Loop: Header=BB316_83 Depth=1
	v_bfe_u32 v5, v24, 16, 1
	v_add3_u32 v5, v24, v5, s17
                                        ; implicit-def: $vgpr24
; %bb.122:                              ;   in Loop: Header=BB316_83 Depth=1
	s_andn2_saveexec_b64 s[6:7], s[6:7]
; %bb.123:                              ;   in Loop: Header=BB316_83 Depth=1
	v_or_b32_e32 v5, 0x10000, v24
	v_cmp_eq_u32_sdwa vcc, v24, v13 src0_sel:WORD_0 src1_sel:DWORD
	s_nop 1
	v_cndmask_b32_e32 v5, v5, v24, vcc
; %bb.124:                              ;   in Loop: Header=BB316_83 Depth=1
	s_or_b64 exec, exec, s[6:7]
	v_bfe_u32 v24, v2, 16, 8
	v_cvt_f32_fp8_sdwa v24, v24 src0_sel:BYTE_0
                                        ; implicit-def: $vgpr26
	s_nop 0
	v_mul_f32_e32 v24, s21, v24
	v_and_b32_e32 v25, 0x7f800000, v24
	v_cmp_ne_u32_e32 vcc, s16, v25
	s_and_saveexec_b64 s[6:7], vcc
	s_xor_b64 s[6:7], exec, s[6:7]
; %bb.125:                              ;   in Loop: Header=BB316_83 Depth=1
	v_bfe_u32 v25, v24, 16, 1
	v_add3_u32 v26, v24, v25, s17
                                        ; implicit-def: $vgpr24
; %bb.126:                              ;   in Loop: Header=BB316_83 Depth=1
	s_andn2_saveexec_b64 s[6:7], s[6:7]
; %bb.127:                              ;   in Loop: Header=BB316_83 Depth=1
	v_or_b32_e32 v25, 0x10000, v24
	v_cmp_eq_u32_sdwa vcc, v24, v13 src0_sel:WORD_0 src1_sel:DWORD
	s_nop 1
	v_cndmask_b32_e32 v26, v25, v24, vcc
; %bb.128:                              ;   in Loop: Header=BB316_83 Depth=1
	s_or_b64 exec, exec, s[6:7]
	v_lshrrev_b32_e32 v2, 24, v2
	v_cvt_f32_fp8_sdwa v2, v2 src0_sel:BYTE_0
	s_nop 0
	v_mul_f32_e32 v24, s21, v2
	v_and_b32_e32 v2, 0x7f800000, v24
	v_cmp_ne_u32_e32 vcc, s16, v2
                                        ; implicit-def: $vgpr2
	s_and_saveexec_b64 s[6:7], vcc
	s_xor_b64 s[6:7], exec, s[6:7]
; %bb.129:                              ;   in Loop: Header=BB316_83 Depth=1
	v_bfe_u32 v2, v24, 16, 1
	v_add3_u32 v2, v24, v2, s17
                                        ; implicit-def: $vgpr24
; %bb.130:                              ;   in Loop: Header=BB316_83 Depth=1
	s_andn2_saveexec_b64 s[6:7], s[6:7]
; %bb.131:                              ;   in Loop: Header=BB316_83 Depth=1
	v_or_b32_e32 v2, 0x10000, v24
	v_cmp_eq_u32_sdwa vcc, v24, v13 src0_sel:WORD_0 src1_sel:DWORD
	s_nop 1
	v_cndmask_b32_e32 v2, v2, v24, vcc
; %bb.132:                              ;   in Loop: Header=BB316_83 Depth=1
	s_or_b64 exec, exec, s[6:7]
	v_and_b32_e32 v24, 0xff, v3
	v_cvt_f32_fp8_sdwa v24, v24 src0_sel:BYTE_0
	s_nop 0
	v_mul_f32_e32 v24, s21, v24
	v_and_b32_e32 v25, 0x7f800000, v24
	v_cmp_ne_u32_e32 vcc, s16, v25
                                        ; implicit-def: $vgpr25
	s_and_saveexec_b64 s[6:7], vcc
	s_xor_b64 s[6:7], exec, s[6:7]
; %bb.133:                              ;   in Loop: Header=BB316_83 Depth=1
	v_bfe_u32 v25, v24, 16, 1
	v_add3_u32 v25, v24, v25, s17
                                        ; implicit-def: $vgpr24
; %bb.134:                              ;   in Loop: Header=BB316_83 Depth=1
	s_andn2_saveexec_b64 s[6:7], s[6:7]
; %bb.135:                              ;   in Loop: Header=BB316_83 Depth=1
	v_or_b32_e32 v25, 0x10000, v24
	v_cmp_eq_u32_sdwa vcc, v24, v13 src0_sel:WORD_0 src1_sel:DWORD
	s_nop 1
	v_cndmask_b32_e32 v25, v25, v24, vcc
; %bb.136:                              ;   in Loop: Header=BB316_83 Depth=1
	s_or_b64 exec, exec, s[6:7]
	v_bfe_u32 v24, v3, 8, 8
	v_cvt_f32_fp8_sdwa v24, v24 src0_sel:BYTE_0
	s_nop 0
	v_mul_f32_e32 v27, s21, v24
	v_and_b32_e32 v24, 0x7f800000, v27
	v_cmp_ne_u32_e32 vcc, s16, v24
                                        ; implicit-def: $vgpr24
	s_and_saveexec_b64 s[6:7], vcc
	s_xor_b64 s[6:7], exec, s[6:7]
; %bb.137:                              ;   in Loop: Header=BB316_83 Depth=1
	v_bfe_u32 v24, v27, 16, 1
	v_add3_u32 v24, v27, v24, s17
                                        ; implicit-def: $vgpr27
; %bb.138:                              ;   in Loop: Header=BB316_83 Depth=1
	s_andn2_saveexec_b64 s[6:7], s[6:7]
; %bb.139:                              ;   in Loop: Header=BB316_83 Depth=1
	v_or_b32_e32 v24, 0x10000, v27
	v_cmp_eq_u32_sdwa vcc, v27, v13 src0_sel:WORD_0 src1_sel:DWORD
	s_nop 1
	v_cndmask_b32_e32 v24, v24, v27, vcc
; %bb.140:                              ;   in Loop: Header=BB316_83 Depth=1
	s_or_b64 exec, exec, s[6:7]
	v_bfe_u32 v27, v3, 16, 8
	v_cvt_f32_fp8_sdwa v27, v27 src0_sel:BYTE_0
	s_nop 0
	v_mul_f32_e32 v27, s21, v27
	v_and_b32_e32 v28, 0x7f800000, v27
	v_cmp_ne_u32_e32 vcc, s16, v28
                                        ; implicit-def: $vgpr28
	s_and_saveexec_b64 s[6:7], vcc
	s_xor_b64 s[6:7], exec, s[6:7]
; %bb.141:                              ;   in Loop: Header=BB316_83 Depth=1
	v_bfe_u32 v28, v27, 16, 1
	v_add3_u32 v28, v27, v28, s17
                                        ; implicit-def: $vgpr27
; %bb.142:                              ;   in Loop: Header=BB316_83 Depth=1
	s_andn2_saveexec_b64 s[6:7], s[6:7]
; %bb.143:                              ;   in Loop: Header=BB316_83 Depth=1
	v_or_b32_e32 v28, 0x10000, v27
	v_cmp_eq_u32_sdwa vcc, v27, v13 src0_sel:WORD_0 src1_sel:DWORD
	s_nop 1
	v_cndmask_b32_e32 v28, v28, v27, vcc
; %bb.144:                              ;   in Loop: Header=BB316_83 Depth=1
	s_or_b64 exec, exec, s[6:7]
	v_lshrrev_b32_e32 v3, 24, v3
	v_cvt_f32_fp8_sdwa v3, v3 src0_sel:BYTE_0
                                        ; implicit-def: $vgpr29
	s_nop 0
	v_mul_f32_e32 v3, s21, v3
	v_and_b32_e32 v27, 0x7f800000, v3
	v_cmp_ne_u32_e32 vcc, s16, v27
	s_and_saveexec_b64 s[6:7], vcc
	s_xor_b64 s[6:7], exec, s[6:7]
; %bb.145:                              ;   in Loop: Header=BB316_83 Depth=1
	v_bfe_u32 v27, v3, 16, 1
	v_add3_u32 v29, v3, v27, s17
                                        ; implicit-def: $vgpr3
; %bb.146:                              ;   in Loop: Header=BB316_83 Depth=1
	s_andn2_saveexec_b64 s[6:7], s[6:7]
; %bb.147:                              ;   in Loop: Header=BB316_83 Depth=1
	v_or_b32_e32 v27, 0x10000, v3
	v_cmp_eq_u32_sdwa vcc, v3, v13 src0_sel:WORD_0 src1_sel:DWORD
	s_nop 1
	v_cndmask_b32_e32 v29, v27, v3, vcc
; %bb.148:                              ;   in Loop: Header=BB316_83 Depth=1
	s_or_b64 exec, exec, s[6:7]
	v_lshrrev_b32_e32 v24, 16, v24
	v_lshrrev_b32_e32 v25, 16, v25
	;; [unrolled: 1-line block ×8, first 2 shown]
	v_cmp_eq_u32_e32 vcc, s51, v10
	s_and_saveexec_b64 s[6:7], vcc
	s_cbranch_execz .LBB316_150
; %bb.149:                              ;   in Loop: Header=BB316_83 Depth=1
	v_cmp_gt_i32_e32 vcc, s33, v1
	v_add_u32_e32 v28, 1, v1
	s_nop 0
	v_cndmask_b32_e32 v3, 0, v3, vcc
	v_cmp_gt_i32_e32 vcc, s33, v28
	v_add_u32_e32 v28, 2, v1
	s_nop 0
	v_cndmask_b32_e32 v5, 0, v5, vcc
	;; [unrolled: 4-line block ×7, first 2 shown]
	v_cmp_gt_i32_e32 vcc, s33, v28
	s_nop 1
	v_cndmask_b32_e32 v2, 0, v2, vcc
.LBB316_150:                            ;   in Loop: Header=BB316_83 Depth=1
	s_or_b64 exec, exec, s[6:7]
	v_and_b32_e32 v23, 0xffff0000, v23
	v_lshlrev_b32_e32 v3, 16, v3
	v_mul_f32_e32 v23, v23, v3
	v_and_b32_e32 v3, 0x7f800000, v23
	v_cmp_ne_u32_e32 vcc, s16, v3
                                        ; implicit-def: $vgpr3
	s_and_saveexec_b64 s[6:7], vcc
	s_xor_b64 s[6:7], exec, s[6:7]
; %bb.151:                              ;   in Loop: Header=BB316_83 Depth=1
	v_bfe_u32 v3, v23, 16, 1
	v_add3_u32 v3, v23, v3, s17
                                        ; implicit-def: $vgpr23
; %bb.152:                              ;   in Loop: Header=BB316_83 Depth=1
	s_andn2_saveexec_b64 s[6:7], s[6:7]
; %bb.153:                              ;   in Loop: Header=BB316_83 Depth=1
	v_or_b32_e32 v3, 0x10000, v23
	v_cmp_eq_u32_sdwa vcc, v23, v13 src0_sel:WORD_0 src1_sel:DWORD
	s_nop 1
	v_cndmask_b32_e32 v3, v3, v23, vcc
; %bb.154:                              ;   in Loop: Header=BB316_83 Depth=1
	s_or_b64 exec, exec, s[6:7]
	v_and_b32_e32 v22, 0xffff0000, v22
	v_lshlrev_b32_e32 v5, 16, v5
	v_mul_f32_e32 v22, v22, v5
	v_and_b32_e32 v5, 0x7f800000, v22
	v_cmp_ne_u32_e32 vcc, s16, v5
                                        ; implicit-def: $vgpr5
	s_and_saveexec_b64 s[6:7], vcc
	s_xor_b64 s[6:7], exec, s[6:7]
; %bb.155:                              ;   in Loop: Header=BB316_83 Depth=1
	v_bfe_u32 v5, v22, 16, 1
	v_add3_u32 v5, v22, v5, s17
                                        ; implicit-def: $vgpr22
; %bb.156:                              ;   in Loop: Header=BB316_83 Depth=1
	s_andn2_saveexec_b64 s[6:7], s[6:7]
; %bb.157:                              ;   in Loop: Header=BB316_83 Depth=1
	v_or_b32_e32 v5, 0x10000, v22
	v_cmp_eq_u32_sdwa vcc, v22, v13 src0_sel:WORD_0 src1_sel:DWORD
	s_nop 1
	v_cndmask_b32_e32 v5, v5, v22, vcc
; %bb.158:                              ;   in Loop: Header=BB316_83 Depth=1
	s_or_b64 exec, exec, s[6:7]
	v_and_b32_e32 v21, 0xffff0000, v21
	v_lshlrev_b32_e32 v22, 16, v26
	v_mul_f32_e32 v22, v21, v22
	v_and_b32_e32 v21, 0x7f800000, v22
	v_cmp_ne_u32_e32 vcc, s16, v21
                                        ; implicit-def: $vgpr21
	s_and_saveexec_b64 s[6:7], vcc
	s_xor_b64 s[6:7], exec, s[6:7]
; %bb.159:                              ;   in Loop: Header=BB316_83 Depth=1
	v_bfe_u32 v21, v22, 16, 1
	v_add3_u32 v21, v22, v21, s17
                                        ; implicit-def: $vgpr22
; %bb.160:                              ;   in Loop: Header=BB316_83 Depth=1
	s_andn2_saveexec_b64 s[6:7], s[6:7]
; %bb.161:                              ;   in Loop: Header=BB316_83 Depth=1
	v_or_b32_e32 v21, 0x10000, v22
	v_cmp_eq_u32_sdwa vcc, v22, v13 src0_sel:WORD_0 src1_sel:DWORD
	s_nop 1
	v_cndmask_b32_e32 v21, v21, v22, vcc
; %bb.162:                              ;   in Loop: Header=BB316_83 Depth=1
	s_or_b64 exec, exec, s[6:7]
	v_and_b32_e32 v19, 0xffff0000, v19
	v_lshlrev_b32_e32 v22, 16, v27
	v_mul_f32_e32 v22, v19, v22
	v_and_b32_e32 v19, 0x7f800000, v22
	v_cmp_ne_u32_e32 vcc, s16, v19
                                        ; implicit-def: $vgpr19
	s_and_saveexec_b64 s[6:7], vcc
	s_xor_b64 s[6:7], exec, s[6:7]
; %bb.163:                              ;   in Loop: Header=BB316_83 Depth=1
	v_bfe_u32 v19, v22, 16, 1
	v_add3_u32 v19, v22, v19, s17
                                        ; implicit-def: $vgpr22
; %bb.164:                              ;   in Loop: Header=BB316_83 Depth=1
	s_andn2_saveexec_b64 s[6:7], s[6:7]
; %bb.165:                              ;   in Loop: Header=BB316_83 Depth=1
	v_or_b32_e32 v19, 0x10000, v22
	v_cmp_eq_u32_sdwa vcc, v22, v13 src0_sel:WORD_0 src1_sel:DWORD
	s_nop 1
	v_cndmask_b32_e32 v19, v19, v22, vcc
; %bb.166:                              ;   in Loop: Header=BB316_83 Depth=1
	s_or_b64 exec, exec, s[6:7]
	v_and_b32_e32 v9, 0xffff0000, v9
	v_lshlrev_b32_e32 v22, 16, v25
	v_mul_f32_e32 v22, v9, v22
	v_and_b32_e32 v9, 0x7f800000, v22
	v_cmp_ne_u32_e32 vcc, s16, v9
                                        ; implicit-def: $vgpr9
	s_and_saveexec_b64 s[6:7], vcc
	s_xor_b64 s[6:7], exec, s[6:7]
; %bb.167:                              ;   in Loop: Header=BB316_83 Depth=1
	v_bfe_u32 v9, v22, 16, 1
	v_add3_u32 v9, v22, v9, s17
                                        ; implicit-def: $vgpr22
; %bb.168:                              ;   in Loop: Header=BB316_83 Depth=1
	s_andn2_saveexec_b64 s[6:7], s[6:7]
; %bb.169:                              ;   in Loop: Header=BB316_83 Depth=1
	v_or_b32_e32 v9, 0x10000, v22
	v_cmp_eq_u32_sdwa vcc, v22, v13 src0_sel:WORD_0 src1_sel:DWORD
	s_nop 1
	v_cndmask_b32_e32 v9, v9, v22, vcc
; %bb.170:                              ;   in Loop: Header=BB316_83 Depth=1
	s_or_b64 exec, exec, s[6:7]
	v_and_b32_e32 v8, 0xffff0000, v8
	v_lshlrev_b32_e32 v22, 16, v24
	v_mul_f32_e32 v22, v8, v22
	v_and_b32_e32 v8, 0x7f800000, v22
	v_cmp_ne_u32_e32 vcc, s16, v8
                                        ; implicit-def: $vgpr8
	s_and_saveexec_b64 s[6:7], vcc
	s_xor_b64 s[6:7], exec, s[6:7]
; %bb.171:                              ;   in Loop: Header=BB316_83 Depth=1
	v_bfe_u32 v8, v22, 16, 1
	v_add3_u32 v8, v22, v8, s17
                                        ; implicit-def: $vgpr22
; %bb.172:                              ;   in Loop: Header=BB316_83 Depth=1
	s_andn2_saveexec_b64 s[6:7], s[6:7]
; %bb.173:                              ;   in Loop: Header=BB316_83 Depth=1
	v_or_b32_e32 v8, 0x10000, v22
	v_cmp_eq_u32_sdwa vcc, v22, v13 src0_sel:WORD_0 src1_sel:DWORD
	s_nop 1
	v_cndmask_b32_e32 v8, v8, v22, vcc
; %bb.174:                              ;   in Loop: Header=BB316_83 Depth=1
	s_or_b64 exec, exec, s[6:7]
	v_and_b32_e32 v7, 0xffff0000, v7
	v_lshlrev_b32_e32 v4, 16, v4
	v_mul_f32_e32 v7, v7, v4
	v_and_b32_e32 v4, 0x7f800000, v7
	v_cmp_ne_u32_e32 vcc, s16, v4
                                        ; implicit-def: $vgpr4
	s_and_saveexec_b64 s[6:7], vcc
	s_xor_b64 s[6:7], exec, s[6:7]
; %bb.175:                              ;   in Loop: Header=BB316_83 Depth=1
	v_bfe_u32 v4, v7, 16, 1
	v_add3_u32 v4, v7, v4, s17
                                        ; implicit-def: $vgpr7
; %bb.176:                              ;   in Loop: Header=BB316_83 Depth=1
	s_andn2_saveexec_b64 s[6:7], s[6:7]
; %bb.177:                              ;   in Loop: Header=BB316_83 Depth=1
	v_or_b32_e32 v4, 0x10000, v7
	v_cmp_eq_u32_sdwa vcc, v7, v13 src0_sel:WORD_0 src1_sel:DWORD
	s_nop 1
	v_cndmask_b32_e32 v4, v4, v7, vcc
; %bb.178:                              ;   in Loop: Header=BB316_83 Depth=1
	s_or_b64 exec, exec, s[6:7]
	v_and_b32_e32 v6, 0xffff0000, v6
	v_lshlrev_b32_e32 v2, 16, v2
	v_mul_f32_e32 v2, v6, v2
	v_and_b32_e32 v6, 0x7f800000, v2
	v_cmp_ne_u32_e32 vcc, s16, v6
                                        ; implicit-def: $vgpr6
	s_and_saveexec_b64 s[6:7], vcc
	s_xor_b64 s[6:7], exec, s[6:7]
; %bb.179:                              ;   in Loop: Header=BB316_83 Depth=1
	v_bfe_u32 v6, v2, 16, 1
	v_add3_u32 v6, v2, v6, s17
                                        ; implicit-def: $vgpr2
; %bb.180:                              ;   in Loop: Header=BB316_83 Depth=1
	s_andn2_saveexec_b64 s[6:7], s[6:7]
	s_cbranch_execz .LBB316_81
; %bb.181:                              ;   in Loop: Header=BB316_83 Depth=1
	v_or_b32_e32 v6, 0x10000, v2
	v_cmp_eq_u32_sdwa vcc, v2, v13 src0_sel:WORD_0 src1_sel:DWORD
	s_nop 1
	v_cndmask_b32_e32 v6, v6, v2, vcc
	s_branch .LBB316_81
.LBB316_182:
	s_or_b64 exec, exec, s[4:5]
.LBB316_183:
	s_or_b64 exec, exec, s[2:3]
	v_and_b32_e32 v0, 0x3c0, v0
	v_cmp_eq_u32_e32 vcc, 64, v0
	s_barrier
	s_and_saveexec_b64 s[0:1], vcc
	s_cbranch_execz .LBB316_185
; %bb.184:
	v_mov_b32_e32 v0, 0x90
	v_lshl_add_u32 v0, v18, 2, v0
	ds_write_b32 v0, v12
.LBB316_185:
	s_or_b64 exec, exec, s[0:1]
	s_waitcnt lgkmcnt(0)
	s_barrier
	s_and_saveexec_b64 s[0:1], s[10:11]
	s_cbranch_execz .LBB316_187
; %bb.186:
	v_mov_b32_e32 v0, 0x90
	v_lshl_add_u32 v0, v18, 2, v0
	ds_read_b32 v0, v0
	s_waitcnt lgkmcnt(0)
	v_add_f32_e32 v12, v12, v0
.LBB316_187:
	s_or_b64 exec, exec, s[0:1]
	s_barrier
	s_and_saveexec_b64 s[0:1], s[10:11]
	s_cbranch_execz .LBB316_193
; %bb.188:
	s_mov_b32 s0, 0x7f800000
	v_and_b32_e32 v0, 0x7f800000, v12
	v_cmp_ne_u32_e32 vcc, s0, v0
                                        ; implicit-def: $vgpr0
	s_and_saveexec_b64 s[0:1], vcc
	s_xor_b64 s[0:1], exec, s[0:1]
; %bb.189:
	v_bfe_u32 v0, v12, 16, 1
	s_movk_i32 s2, 0x7fff
	v_add3_u32 v0, v12, v0, s2
                                        ; implicit-def: $vgpr12
; %bb.190:
	s_andn2_saveexec_b64 s[0:1], s[0:1]
; %bb.191:
	v_mov_b32_e32 v0, 0
	v_or_b32_e32 v1, 0x10000, v12
	v_cmp_eq_u32_sdwa vcc, v12, v0 src0_sel:WORD_0 src1_sel:DWORD
	s_nop 1
	v_cndmask_b32_e32 v0, v1, v12, vcc
; %bb.192:
	s_or_b64 exec, exec, s[0:1]
	s_lshl_b32 s0, s8, 6
	s_ashr_i32 s1, s0, 31
	s_lshl_b64 s[0:1], s[0:1], 1
	s_add_u32 s2, s34, s0
	s_mul_i32 s0, s15, s14
	s_addc_u32 s3, s35, s1
	s_ashr_i32 s1, s0, 31
	s_lshl_b64 s[0:1], s[0:1], 1
	s_add_u32 s2, s2, s0
	s_addc_u32 s3, s3, s1
	s_ashr_i32 s21, s20, 31
	s_lshl_b64 s[0:1], s[20:21], 1
	s_add_u32 s0, s2, s0
	s_addc_u32 s1, s3, s1
	v_lshlrev_b32_e32 v1, 1, v18
	global_store_short_d16_hi v1, v0, s[0:1]
.LBB316_193:
	s_endpgm
	.section	.rodata,"a",@progbits
	.p2align	6, 0x0
	.amdhsa_kernel _ZN4vllm25paged_attention_v2_kernelI14__hip_bfloat16hLi64ELi8ELi128ELNS_18Fp8KVCacheDataTypeE1ELb1ELi512EEEvPfS3_PT_PKS4_PKT0_SA_ifPKiSC_iPKfiiiSE_SE_iiiii
		.amdhsa_group_segment_fixed_size 144
		.amdhsa_private_segment_fixed_size 0
		.amdhsa_kernarg_size 400
		.amdhsa_user_sgpr_count 2
		.amdhsa_user_sgpr_dispatch_ptr 0
		.amdhsa_user_sgpr_queue_ptr 0
		.amdhsa_user_sgpr_kernarg_segment_ptr 1
		.amdhsa_user_sgpr_dispatch_id 0
		.amdhsa_user_sgpr_kernarg_preload_length 0
		.amdhsa_user_sgpr_kernarg_preload_offset 0
		.amdhsa_user_sgpr_private_segment_size 0
		.amdhsa_uses_dynamic_stack 0
		.amdhsa_enable_private_segment 0
		.amdhsa_system_sgpr_workgroup_id_x 1
		.amdhsa_system_sgpr_workgroup_id_y 1
		.amdhsa_system_sgpr_workgroup_id_z 1
		.amdhsa_system_sgpr_workgroup_info 0
		.amdhsa_system_vgpr_workitem_id 0
		.amdhsa_next_free_vgpr 40
		.amdhsa_next_free_sgpr 61
		.amdhsa_accum_offset 40
		.amdhsa_reserve_vcc 1
		.amdhsa_float_round_mode_32 0
		.amdhsa_float_round_mode_16_64 0
		.amdhsa_float_denorm_mode_32 3
		.amdhsa_float_denorm_mode_16_64 3
		.amdhsa_dx10_clamp 1
		.amdhsa_ieee_mode 1
		.amdhsa_fp16_overflow 0
		.amdhsa_tg_split 0
		.amdhsa_exception_fp_ieee_invalid_op 0
		.amdhsa_exception_fp_denorm_src 0
		.amdhsa_exception_fp_ieee_div_zero 0
		.amdhsa_exception_fp_ieee_overflow 0
		.amdhsa_exception_fp_ieee_underflow 0
		.amdhsa_exception_fp_ieee_inexact 0
		.amdhsa_exception_int_div_zero 0
	.end_amdhsa_kernel
	.section	.text._ZN4vllm25paged_attention_v2_kernelI14__hip_bfloat16hLi64ELi8ELi128ELNS_18Fp8KVCacheDataTypeE1ELb1ELi512EEEvPfS3_PT_PKS4_PKT0_SA_ifPKiSC_iPKfiiiSE_SE_iiiii,"axG",@progbits,_ZN4vllm25paged_attention_v2_kernelI14__hip_bfloat16hLi64ELi8ELi128ELNS_18Fp8KVCacheDataTypeE1ELb1ELi512EEEvPfS3_PT_PKS4_PKT0_SA_ifPKiSC_iPKfiiiSE_SE_iiiii,comdat
.Lfunc_end316:
	.size	_ZN4vllm25paged_attention_v2_kernelI14__hip_bfloat16hLi64ELi8ELi128ELNS_18Fp8KVCacheDataTypeE1ELb1ELi512EEEvPfS3_PT_PKS4_PKT0_SA_ifPKiSC_iPKfiiiSE_SE_iiiii, .Lfunc_end316-_ZN4vllm25paged_attention_v2_kernelI14__hip_bfloat16hLi64ELi8ELi128ELNS_18Fp8KVCacheDataTypeE1ELb1ELi512EEEvPfS3_PT_PKS4_PKT0_SA_ifPKiSC_iPKfiiiSE_SE_iiiii
                                        ; -- End function
	.section	.AMDGPU.csdata,"",@progbits
; Kernel info:
; codeLenInByte = 7016
; NumSgprs: 67
; NumVgprs: 40
; NumAgprs: 0
; TotalNumVgprs: 40
; ScratchSize: 0
; MemoryBound: 0
; FloatMode: 240
; IeeeMode: 1
; LDSByteSize: 144 bytes/workgroup (compile time only)
; SGPRBlocks: 8
; VGPRBlocks: 4
; NumSGPRsForWavesPerEU: 67
; NumVGPRsForWavesPerEU: 40
; AccumOffset: 40
; Occupancy: 8
; WaveLimiterHint : 1
; COMPUTE_PGM_RSRC2:SCRATCH_EN: 0
; COMPUTE_PGM_RSRC2:USER_SGPR: 2
; COMPUTE_PGM_RSRC2:TRAP_HANDLER: 0
; COMPUTE_PGM_RSRC2:TGID_X_EN: 1
; COMPUTE_PGM_RSRC2:TGID_Y_EN: 1
; COMPUTE_PGM_RSRC2:TGID_Z_EN: 1
; COMPUTE_PGM_RSRC2:TIDIG_COMP_CNT: 0
; COMPUTE_PGM_RSRC3_GFX90A:ACCUM_OFFSET: 9
; COMPUTE_PGM_RSRC3_GFX90A:TG_SPLIT: 0
	.section	.text._ZN4vllm25paged_attention_v2_kernelI14__hip_bfloat16hLi80ELi8ELi128ELNS_18Fp8KVCacheDataTypeE1ELb1ELi512EEEvPfS3_PT_PKS4_PKT0_SA_ifPKiSC_iPKfiiiSE_SE_iiiii,"axG",@progbits,_ZN4vllm25paged_attention_v2_kernelI14__hip_bfloat16hLi80ELi8ELi128ELNS_18Fp8KVCacheDataTypeE1ELb1ELi512EEEvPfS3_PT_PKS4_PKT0_SA_ifPKiSC_iPKfiiiSE_SE_iiiii,comdat
	.protected	_ZN4vllm25paged_attention_v2_kernelI14__hip_bfloat16hLi80ELi8ELi128ELNS_18Fp8KVCacheDataTypeE1ELb1ELi512EEEvPfS3_PT_PKS4_PKT0_SA_ifPKiSC_iPKfiiiSE_SE_iiiii ; -- Begin function _ZN4vllm25paged_attention_v2_kernelI14__hip_bfloat16hLi80ELi8ELi128ELNS_18Fp8KVCacheDataTypeE1ELb1ELi512EEEvPfS3_PT_PKS4_PKT0_SA_ifPKiSC_iPKfiiiSE_SE_iiiii
	.globl	_ZN4vllm25paged_attention_v2_kernelI14__hip_bfloat16hLi80ELi8ELi128ELNS_18Fp8KVCacheDataTypeE1ELb1ELi512EEEvPfS3_PT_PKS4_PKT0_SA_ifPKiSC_iPKfiiiSE_SE_iiiii
	.p2align	8
	.type	_ZN4vllm25paged_attention_v2_kernelI14__hip_bfloat16hLi80ELi8ELi128ELNS_18Fp8KVCacheDataTypeE1ELb1ELi512EEEvPfS3_PT_PKS4_PKT0_SA_ifPKiSC_iPKfiiiSE_SE_iiiii,@function
_ZN4vllm25paged_attention_v2_kernelI14__hip_bfloat16hLi80ELi8ELi128ELNS_18Fp8KVCacheDataTypeE1ELb1ELi512EEEvPfS3_PT_PKS4_PKT0_SA_ifPKiSC_iPKfiiiSE_SE_iiiii: ; @_ZN4vllm25paged_attention_v2_kernelI14__hip_bfloat16hLi80ELi8ELi128ELNS_18Fp8KVCacheDataTypeE1ELb1ELi512EEEvPfS3_PT_PKS4_PKT0_SA_ifPKiSC_iPKfiiiSE_SE_iiiii
; %bb.0:
	s_load_dwordx2 s[6:7], s[0:1], 0x40
	s_mov_b32 s36, s3
	s_ashr_i32 s37, s3, 31
	s_lshl_b64 s[8:9], s[36:37], 2
	s_waitcnt lgkmcnt(0)
	s_add_u32 s6, s6, s8
	s_addc_u32 s7, s7, s9
	s_load_dword s33, s[6:7], 0x0
	s_lshl_b32 s52, s4, 9
	s_waitcnt lgkmcnt(0)
	s_cmp_ge_i32 s52, s33
	s_cbranch_scc1 .LBB317_277
; %bb.1:
	s_load_dword s5, s[0:1], 0x90
	s_load_dwordx2 s[44:45], s[0:1], 0x30
	s_mov_b32 s53, 0
	s_waitcnt lgkmcnt(0)
	s_abs_i32 s7, s5
	s_abs_i32 s3, s44
	v_cvt_f32_u32_e32 v1, s3
	s_sub_i32 s8, 0, s3
	s_xor_b32 s6, s5, s44
	s_ashr_i32 s6, s6, 31
	v_rcp_iflag_f32_e32 v1, v1
	s_nop 0
	v_mul_f32_e32 v1, 0x4f7ffffe, v1
	v_cvt_u32_f32_e32 v1, v1
	s_nop 0
	v_readfirstlane_b32 s9, v1
	s_mul_i32 s8, s8, s9
	s_mul_hi_u32 s8, s9, s8
	s_add_i32 s9, s9, s8
	s_mul_hi_u32 s8, s7, s9
	s_mul_i32 s9, s8, s3
	s_sub_i32 s7, s7, s9
	s_add_i32 s10, s8, 1
	s_sub_i32 s9, s7, s3
	s_cmp_ge_u32 s7, s3
	s_cselect_b32 s8, s10, s8
	s_cselect_b32 s7, s9, s7
	s_add_i32 s9, s8, 1
	s_cmp_ge_u32 s7, s3
	s_cselect_b32 s3, s9, s8
	s_xor_b32 s3, s3, s6
	s_sub_i32 s10, s3, s6
	s_abs_i32 s8, s10
	v_cvt_f32_u32_e32 v1, s8
	s_load_dwordx2 s[6:7], s[0:1], 0x50
	s_sub_i32 s3, 0, s8
	s_abs_i32 s9, s2
	v_rcp_iflag_f32_e32 v1, v1
	s_nop 0
	v_mul_f32_e32 v1, 0x4f7ffffe, v1
	v_cvt_u32_f32_e32 v1, v1
	s_nop 0
	v_readfirstlane_b32 s11, v1
	s_mul_i32 s3, s3, s11
	s_mul_hi_u32 s3, s11, s3
	s_add_i32 s11, s11, s3
	s_waitcnt lgkmcnt(0)
	s_cmp_eq_u64 s[6:7], 0
	s_mul_hi_u32 s12, s9, s11
	s_cbranch_scc1 .LBB317_3
; %bb.2:
	s_ashr_i32 s3, s2, 31
	s_lshl_b64 s[14:15], s[2:3], 2
	s_add_u32 s6, s6, s14
	s_addc_u32 s7, s7, s15
	s_load_dword s53, s[6:7], 0x0
.LBB317_3:
	s_load_dwordx4 s[20:23], s[0:1], 0x58
	s_movk_i32 s6, 0x50
	s_ashr_i32 s3, s2, 31
	s_ashr_i32 s13, s10, 31
	v_and_b32_e32 v2, 7, v0
	s_mul_i32 s14, s2, 0x50
	v_cmp_gt_u32_e64 s[10:11], s6, v0
	v_lshlrev_b32_e32 v10, 1, v0
	s_and_saveexec_b64 s[6:7], s[10:11]
	s_cbranch_execz .LBB317_5
; %bb.4:
	s_load_dwordx2 s[16:17], s[0:1], 0x18
	s_waitcnt lgkmcnt(0)
	s_mul_i32 s18, s36, s20
	s_ashr_i32 s19, s18, 31
	s_lshl_b64 s[18:19], s[18:19], 1
	v_lshrrev_b32_e32 v3, 2, v0
	s_add_u32 s18, s16, s18
	s_addc_u32 s19, s17, s19
	s_ashr_i32 s15, s14, 31
	s_lshl_b64 s[16:17], s[14:15], 1
	s_add_u32 s16, s18, s16
	s_addc_u32 s17, s19, s17
	global_load_ushort v1, v10, s[16:17]
	v_and_b32_e32 v3, 0xfe, v3
	v_mad_u32_u24 v3, v2, 20, v3
	s_waitcnt vmcnt(0)
	ds_write_b16 v3, v1
.LBB317_5:
	s_or_b64 exec, exec, s[6:7]
	s_mul_i32 s6, s12, s8
	s_sub_i32 s6, s9, s6
	s_xor_b32 s3, s3, s13
	s_add_i32 s7, s12, 1
	s_sub_i32 s9, s6, s8
	s_load_dwordx4 s[24:27], s[0:1], 0x78
	s_cmp_ge_u32 s6, s8
	s_cselect_b32 s7, s7, s12
	s_load_dword s12, s[0:1], 0x88
	s_cselect_b32 s6, s9, s6
	s_add_i32 s9, s7, 1
	s_cmp_ge_u32 s6, s8
	s_cselect_b32 s6, s9, s7
	s_waitcnt lgkmcnt(0)
	s_abs_i32 s37, s27
	v_cvt_f32_u32_e32 v1, s37
	s_xor_b32 s6, s6, s3
	s_sub_i32 s8, s6, s3
	s_sub_i32 s6, 0, s37
	v_rcp_iflag_f32_e32 v1, v1
	s_add_i32 s13, s33, -1
	s_abs_i32 s3, s13
	v_mul_f32_e32 v1, 0x4f7ffffe, v1
	v_cvt_u32_f32_e32 v1, v1
	s_barrier
	v_readfirstlane_b32 s50, v1
	s_mul_i32 s6, s6, s50
	s_mul_hi_u32 s6, s50, s6
	s_add_i32 s50, s50, s6
	s_cmp_lt_i32 s12, 0
	s_mul_hi_u32 s9, s3, s50
	s_cbranch_scc0 .LBB317_7
; %bb.6:
	s_mul_i32 s6, s24, s44
	s_add_i32 s6, s8, s6
	s_mul_i32 s6, s6, s12
	s_sub_i32 s44, 1, s6
	s_mov_b64 s[6:7], 0
	s_branch .LBB317_8
.LBB317_7:
	s_mov_b64 s[6:7], -1
                                        ; implicit-def: $sgpr44
.LBB317_8:
	s_load_dwordx2 s[38:39], s[0:1], 0x38
	s_ashr_i32 s13, s13, 31
	s_andn2_b64 vcc, exec, s[6:7]
	s_ashr_i32 s27, s27, 31
	s_cbranch_vccnz .LBB317_10
; %bb.9:
	s_mul_i32 s6, s5, s24
	s_add_i32 s6, s6, s2
	s_mul_i32 s6, s6, s12
	s_add_i32 s44, s6, 1
.LBB317_10:
	s_load_dwordx2 s[42:43], s[0:1], 0x28
	s_load_dword s6, s[0:1], 0x48
	s_load_dwordx4 s[28:31], s[0:1], 0x0
	s_load_dwordx2 s[34:35], s[0:1], 0x10
	s_load_dword s15, s[0:1], 0x98
	s_load_dwordx4 s[16:19], s[0:1], 0x68
	s_mul_i32 s7, s9, s37
	s_waitcnt lgkmcnt(0)
	s_mul_i32 s40, s36, s6
	s_sub_i32 s3, s3, s7
	s_ashr_i32 s41, s40, 31
	s_xor_b32 s6, s13, s27
	s_add_i32 s7, s9, 1
	s_sub_i32 s12, s3, s37
	s_cmp_ge_u32 s3, s37
	s_cselect_b32 s7, s7, s9
	s_cselect_b32 s3, s12, s3
	s_add_i32 s9, s7, 1
	s_cmp_ge_u32 s3, s37
	s_cselect_b32 s3, s9, s7
	s_xor_b32 s3, s3, s6
	s_sub_i32 s20, s3, s6
	s_add_i32 s3, s33, 7
	s_ashr_i32 s6, s3, 31
	s_lshr_b32 s6, s6, 29
	s_add_i32 s3, s3, s6
	s_lshl_b32 s54, s4, 6
	s_ashr_i32 s3, s3, 3
	s_add_i32 s6, s54, 64
	v_lshrrev_b32_e32 v23, 6, v0
	s_min_i32 s51, s6, s3
	v_or_b32_e32 v12, s54, v23
	v_cmp_gt_i32_e64 s[6:7], s51, v12
	v_mov_b32_e32 v20, 0xff7fffff
	s_mul_i32 s24, s8, s22
	v_ashrrev_i32_e32 v13, 31, v12
	v_lshl_add_u32 v1, v23, 3, s52
	v_mbcnt_lo_u32_b32 v11, -1, 0
	s_and_saveexec_b64 s[22:23], s[6:7]
	s_cbranch_execz .LBB317_60
; %bb.11:
	s_load_dwordx2 s[0:1], s[0:1], 0x20
	s_sub_i32 s55, s20, s25
	s_ashr_i32 s8, s24, 31
	v_bfe_u32 v18, v0, 3, 3
	v_mov_b32_e32 v3, 0
	s_waitcnt lgkmcnt(0)
	s_add_u32 s0, s0, s24
	s_addc_u32 s1, s1, s8
	s_abs_i32 s56, s26
	v_cvt_f32_u32_e32 v4, s56
	v_lshlrev_b32_e32 v8, 2, v18
	v_lshl_or_b32 v8, v23, 5, v8
	v_add_u32_e32 v24, 0xb0, v8
	v_rcp_iflag_f32_e32 v5, v4
	v_lshlrev_b32_e32 v4, 4, v18
	v_subrev_u32_e32 v8, s33, v18
	v_cmp_eq_u32_e32 vcc, 0, v2
	v_mul_f32_e32 v5, 0x4f7ffffe, v5
	v_cvt_u32_f32_e32 v6, v5
	v_mov_b32_e32 v5, v3
	v_lshl_add_u64 v[4:5], s[0:1], 0, v[4:5]
	s_sub_i32 s0, 0, s56
	v_mul_lo_u32 v7, s0, v6
	s_lshl_b64 s[0:1], s[40:41], 2
	s_add_u32 s0, s38, s0
	v_mul_hi_u32 v7, v6, v7
	s_addc_u32 s1, s39, s1
	s_mov_b32 s57, s21
	v_mul_u32_u24_e32 v19, 20, v2
	v_cmp_neq_f32_e64 s[8:9], s53, 0
	v_add_u32_e32 v21, v6, v7
	v_lshl_add_u64 v[6:7], v[12:13], 2, s[0:1]
	v_lshl_add_u32 v22, v23, 3, s52
	v_add_u32_e32 v25, 1, v8
	s_mov_b64 s[46:47], 0
	v_mov_b32_e32 v26, 0xff7fffff
	s_mov_b32 s58, 0x7f800000
	s_movk_i32 s59, 0x7fff
	v_mbcnt_hi_u32_b32 v27, -1, v11
	v_mov_b32_e32 v20, 0xff7fffff
	v_mov_b32_e32 v28, v12
	s_branch .LBB317_14
.LBB317_12:                             ;   in Loop: Header=BB317_14 Depth=1
	s_or_b64 exec, exec, s[48:49]
.LBB317_13:                             ;   in Loop: Header=BB317_14 Depth=1
	s_or_b64 exec, exec, s[12:13]
	v_add_u32_e32 v28, 2, v28
	v_cmp_le_i32_e64 s[0:1], s51, v28
	v_lshl_add_u64 v[6:7], v[6:7], 0, 8
	v_add_u32_e32 v22, 16, v22
	s_or_b64 s[46:47], s[0:1], s[46:47]
	v_add_u32_e32 v24, 64, v24
	s_andn2_b64 exec, exec, s[46:47]
	s_cbranch_execz .LBB317_59
.LBB317_14:                             ; =>This Inner Loop Header: Depth=1
	s_waitcnt lgkmcnt(0)
	v_sub_u32_e32 v9, 0, v22
	v_max_i32_e32 v9, v22, v9
	v_mul_hi_u32 v14, v9, s50
	v_mul_lo_u32 v15, v14, s37
	v_sub_u32_e32 v9, v9, v15
	v_add_u32_e32 v15, 1, v14
	v_cmp_le_u32_e64 s[0:1], s37, v9
	v_ashrrev_i32_e32 v8, 31, v22
	v_xor_b32_e32 v8, s27, v8
	v_cndmask_b32_e64 v14, v14, v15, s[0:1]
	v_subrev_u32_e32 v15, s37, v9
	v_cndmask_b32_e64 v9, v9, v15, s[0:1]
	v_add_u32_e32 v15, 1, v14
	v_cmp_le_u32_e64 s[0:1], s37, v9
	s_nop 1
	v_cndmask_b32_e64 v9, v14, v15, s[0:1]
	v_xor_b32_e32 v9, v9, v8
	v_sub_u32_e32 v8, v9, v8
	v_add_u32_e32 v9, s44, v8
	v_sub_u32_e32 v15, 0, v9
	v_ashrrev_i32_e32 v14, 31, v9
	v_max_i32_e32 v9, v9, v15
	v_mul_hi_u32 v15, v9, v21
	v_mul_lo_u32 v15, v15, s56
	v_sub_u32_e32 v9, v9, v15
	v_subrev_u32_e32 v15, s56, v9
	v_cmp_le_u32_e64 s[0:1], s56, v9
	v_cmp_ge_i32_e64 s[12:13], s55, v8
	s_nop 0
	v_cndmask_b32_e64 v9, v9, v15, s[0:1]
	v_subrev_u32_e32 v15, s56, v9
	v_cmp_le_u32_e64 s[0:1], s56, v9
	s_nop 1
	v_cndmask_b32_e64 v9, v9, v15, s[0:1]
	v_xor_b32_e32 v9, v9, v14
	v_sub_u32_e32 v9, v9, v14
	v_cmp_ne_u32_e64 s[0:1], 0, v9
	s_and_b64 s[0:1], s[0:1], s[12:13]
	s_and_b64 s[48:49], vcc, s[0:1]
	s_and_saveexec_b64 s[12:13], s[48:49]
	s_cbranch_execz .LBB317_16
; %bb.15:                               ;   in Loop: Header=BB317_14 Depth=1
	ds_write_b32 v24, v26
.LBB317_16:                             ;   in Loop: Header=BB317_14 Depth=1
	s_or_b64 exec, exec, s[12:13]
	s_xor_b64 s[0:1], s[0:1], -1
	s_and_saveexec_b64 s[12:13], s[0:1]
	s_cbranch_execz .LBB317_13
; %bb.17:                               ;   in Loop: Header=BB317_14 Depth=1
	global_load_dword v8, v[6:7], off
	s_load_dword s60, s[16:17], 0x0
	s_waitcnt vmcnt(0)
	v_mad_i64_i32 v[8:9], s[0:1], v8, s57, v[4:5]
	v_lshl_add_u64 v[16:17], v[8:9], 0, v[2:3]
	global_load_ubyte v8, v[16:17], off
	s_waitcnt vmcnt(0)
	v_cvt_f32_fp8_sdwa v30, v8 src0_sel:BYTE_0
	ds_read2_b32 v[14:15], v19 offset1:1
	ds_read2_b32 v[8:9], v19 offset0:2 offset1:3
	ds_read_b32 v29, v19 offset:16
	s_waitcnt lgkmcnt(0)
	v_mul_f32_e32 v31, s60, v30
	v_and_b32_e32 v30, 0x7f800000, v31
	v_cmp_ne_u32_e64 s[0:1], s58, v30
                                        ; implicit-def: $vgpr30
	s_and_saveexec_b64 s[48:49], s[0:1]
	s_xor_b64 s[0:1], exec, s[48:49]
; %bb.18:                               ;   in Loop: Header=BB317_14 Depth=1
	v_bfe_u32 v30, v31, 16, 1
	v_add3_u32 v30, v31, v30, s59
                                        ; implicit-def: $vgpr31
; %bb.19:                               ;   in Loop: Header=BB317_14 Depth=1
	s_andn2_saveexec_b64 s[48:49], s[0:1]
; %bb.20:                               ;   in Loop: Header=BB317_14 Depth=1
	v_or_b32_e32 v30, 0x10000, v31
	v_cmp_eq_u32_sdwa s[0:1], v31, v3 src0_sel:WORD_0 src1_sel:DWORD
	s_nop 1
	v_cndmask_b32_e64 v30, v30, v31, s[0:1]
; %bb.21:                               ;   in Loop: Header=BB317_14 Depth=1
	s_or_b64 exec, exec, s[48:49]
	global_load_ubyte v31, v[16:17], off offset:8
	s_waitcnt vmcnt(0)
	v_cvt_f32_fp8_sdwa v31, v31 src0_sel:BYTE_0
	s_nop 0
	v_mul_f32_e32 v32, s60, v31
	v_and_b32_e32 v31, 0x7f800000, v32
	v_cmp_ne_u32_e64 s[0:1], s58, v31
                                        ; implicit-def: $vgpr31
	s_and_saveexec_b64 s[48:49], s[0:1]
	s_xor_b64 s[0:1], exec, s[48:49]
; %bb.22:                               ;   in Loop: Header=BB317_14 Depth=1
	v_bfe_u32 v31, v32, 16, 1
	v_add3_u32 v31, v32, v31, s59
                                        ; implicit-def: $vgpr32
; %bb.23:                               ;   in Loop: Header=BB317_14 Depth=1
	s_andn2_saveexec_b64 s[48:49], s[0:1]
; %bb.24:                               ;   in Loop: Header=BB317_14 Depth=1
	v_or_b32_e32 v31, 0x10000, v32
	v_cmp_eq_u32_sdwa s[0:1], v32, v3 src0_sel:WORD_0 src1_sel:DWORD
	s_nop 1
	v_cndmask_b32_e64 v31, v31, v32, s[0:1]
; %bb.25:                               ;   in Loop: Header=BB317_14 Depth=1
	s_or_b64 exec, exec, s[48:49]
	global_load_ubyte v32, v[16:17], off offset:128
	s_waitcnt vmcnt(0)
	v_cvt_f32_fp8_sdwa v32, v32 src0_sel:BYTE_0
	s_nop 0
	v_mul_f32_e32 v33, s60, v32
	v_and_b32_e32 v32, 0x7f800000, v33
	v_cmp_ne_u32_e64 s[0:1], s58, v32
                                        ; implicit-def: $vgpr32
	s_and_saveexec_b64 s[48:49], s[0:1]
	s_xor_b64 s[0:1], exec, s[48:49]
; %bb.26:                               ;   in Loop: Header=BB317_14 Depth=1
	v_bfe_u32 v32, v33, 16, 1
	v_add3_u32 v32, v33, v32, s59
                                        ; implicit-def: $vgpr33
; %bb.27:                               ;   in Loop: Header=BB317_14 Depth=1
	s_andn2_saveexec_b64 s[48:49], s[0:1]
; %bb.28:                               ;   in Loop: Header=BB317_14 Depth=1
	v_or_b32_e32 v32, 0x10000, v33
	v_cmp_eq_u32_sdwa s[0:1], v33, v3 src0_sel:WORD_0 src1_sel:DWORD
	s_nop 1
	v_cndmask_b32_e64 v32, v32, v33, s[0:1]
; %bb.29:                               ;   in Loop: Header=BB317_14 Depth=1
	s_or_b64 exec, exec, s[48:49]
	global_load_ubyte v33, v[16:17], off offset:136
	s_waitcnt vmcnt(0)
	v_cvt_f32_fp8_sdwa v33, v33 src0_sel:BYTE_0
	s_nop 0
	v_mul_f32_e32 v34, s60, v33
	v_and_b32_e32 v33, 0x7f800000, v34
	v_cmp_ne_u32_e64 s[0:1], s58, v33
                                        ; implicit-def: $vgpr33
	s_and_saveexec_b64 s[48:49], s[0:1]
	s_xor_b64 s[0:1], exec, s[48:49]
; %bb.30:                               ;   in Loop: Header=BB317_14 Depth=1
	v_bfe_u32 v33, v34, 16, 1
	v_add3_u32 v33, v34, v33, s59
                                        ; implicit-def: $vgpr34
; %bb.31:                               ;   in Loop: Header=BB317_14 Depth=1
	s_andn2_saveexec_b64 s[48:49], s[0:1]
; %bb.32:                               ;   in Loop: Header=BB317_14 Depth=1
	v_or_b32_e32 v33, 0x10000, v34
	v_cmp_eq_u32_sdwa s[0:1], v34, v3 src0_sel:WORD_0 src1_sel:DWORD
	s_nop 1
	v_cndmask_b32_e64 v33, v33, v34, s[0:1]
; %bb.33:                               ;   in Loop: Header=BB317_14 Depth=1
	s_or_b64 exec, exec, s[48:49]
	global_load_ubyte v34, v[16:17], off offset:256
	s_waitcnt vmcnt(0)
	v_cvt_f32_fp8_sdwa v34, v34 src0_sel:BYTE_0
	s_nop 0
	v_mul_f32_e32 v35, s60, v34
	v_and_b32_e32 v34, 0x7f800000, v35
	v_cmp_ne_u32_e64 s[0:1], s58, v34
                                        ; implicit-def: $vgpr34
	s_and_saveexec_b64 s[48:49], s[0:1]
	s_xor_b64 s[0:1], exec, s[48:49]
; %bb.34:                               ;   in Loop: Header=BB317_14 Depth=1
	v_bfe_u32 v34, v35, 16, 1
	v_add3_u32 v34, v35, v34, s59
                                        ; implicit-def: $vgpr35
; %bb.35:                               ;   in Loop: Header=BB317_14 Depth=1
	s_andn2_saveexec_b64 s[48:49], s[0:1]
; %bb.36:                               ;   in Loop: Header=BB317_14 Depth=1
	v_or_b32_e32 v34, 0x10000, v35
	v_cmp_eq_u32_sdwa s[0:1], v35, v3 src0_sel:WORD_0 src1_sel:DWORD
	s_nop 1
	v_cndmask_b32_e64 v34, v34, v35, s[0:1]
; %bb.37:                               ;   in Loop: Header=BB317_14 Depth=1
	s_or_b64 exec, exec, s[48:49]
	global_load_ubyte v35, v[16:17], off offset:264
	s_waitcnt vmcnt(0)
	v_cvt_f32_fp8_sdwa v35, v35 src0_sel:BYTE_0
	s_nop 0
	v_mul_f32_e32 v36, s60, v35
	v_and_b32_e32 v35, 0x7f800000, v36
	v_cmp_ne_u32_e64 s[0:1], s58, v35
                                        ; implicit-def: $vgpr35
	s_and_saveexec_b64 s[48:49], s[0:1]
	s_xor_b64 s[0:1], exec, s[48:49]
; %bb.38:                               ;   in Loop: Header=BB317_14 Depth=1
	v_bfe_u32 v35, v36, 16, 1
	v_add3_u32 v35, v36, v35, s59
                                        ; implicit-def: $vgpr36
; %bb.39:                               ;   in Loop: Header=BB317_14 Depth=1
	s_andn2_saveexec_b64 s[48:49], s[0:1]
; %bb.40:                               ;   in Loop: Header=BB317_14 Depth=1
	v_or_b32_e32 v35, 0x10000, v36
	v_cmp_eq_u32_sdwa s[0:1], v36, v3 src0_sel:WORD_0 src1_sel:DWORD
	s_nop 1
	v_cndmask_b32_e64 v35, v35, v36, s[0:1]
; %bb.41:                               ;   in Loop: Header=BB317_14 Depth=1
	s_or_b64 exec, exec, s[48:49]
	global_load_ubyte v36, v[16:17], off offset:384
	s_waitcnt vmcnt(0)
	v_cvt_f32_fp8_sdwa v36, v36 src0_sel:BYTE_0
	s_nop 0
	v_mul_f32_e32 v37, s60, v36
	v_and_b32_e32 v36, 0x7f800000, v37
	v_cmp_ne_u32_e64 s[0:1], s58, v36
                                        ; implicit-def: $vgpr36
	s_and_saveexec_b64 s[48:49], s[0:1]
	s_xor_b64 s[0:1], exec, s[48:49]
; %bb.42:                               ;   in Loop: Header=BB317_14 Depth=1
	v_bfe_u32 v36, v37, 16, 1
	v_add3_u32 v36, v37, v36, s59
                                        ; implicit-def: $vgpr37
; %bb.43:                               ;   in Loop: Header=BB317_14 Depth=1
	s_andn2_saveexec_b64 s[48:49], s[0:1]
; %bb.44:                               ;   in Loop: Header=BB317_14 Depth=1
	v_or_b32_e32 v36, 0x10000, v37
	v_cmp_eq_u32_sdwa s[0:1], v37, v3 src0_sel:WORD_0 src1_sel:DWORD
	s_nop 1
	v_cndmask_b32_e64 v36, v36, v37, s[0:1]
; %bb.45:                               ;   in Loop: Header=BB317_14 Depth=1
	s_or_b64 exec, exec, s[48:49]
	global_load_ubyte v37, v[16:17], off offset:392
	s_waitcnt vmcnt(0)
	v_cvt_f32_fp8_sdwa v37, v37 src0_sel:BYTE_0
	s_nop 0
	v_mul_f32_e32 v38, s60, v37
	v_and_b32_e32 v37, 0x7f800000, v38
	v_cmp_ne_u32_e64 s[0:1], s58, v37
                                        ; implicit-def: $vgpr37
	s_and_saveexec_b64 s[48:49], s[0:1]
	s_xor_b64 s[0:1], exec, s[48:49]
; %bb.46:                               ;   in Loop: Header=BB317_14 Depth=1
	v_bfe_u32 v37, v38, 16, 1
	v_add3_u32 v37, v38, v37, s59
                                        ; implicit-def: $vgpr38
; %bb.47:                               ;   in Loop: Header=BB317_14 Depth=1
	s_andn2_saveexec_b64 s[48:49], s[0:1]
; %bb.48:                               ;   in Loop: Header=BB317_14 Depth=1
	v_or_b32_e32 v37, 0x10000, v38
	v_cmp_eq_u32_sdwa s[0:1], v38, v3 src0_sel:WORD_0 src1_sel:DWORD
	s_nop 1
	v_cndmask_b32_e64 v37, v37, v38, s[0:1]
; %bb.49:                               ;   in Loop: Header=BB317_14 Depth=1
	s_or_b64 exec, exec, s[48:49]
	global_load_ubyte v38, v[16:17], off offset:512
	s_waitcnt vmcnt(0)
	v_cvt_f32_fp8_sdwa v38, v38 src0_sel:BYTE_0
	s_nop 0
	v_mul_f32_e32 v39, s60, v38
	v_and_b32_e32 v38, 0x7f800000, v39
	v_cmp_ne_u32_e64 s[0:1], s58, v38
                                        ; implicit-def: $vgpr38
	s_and_saveexec_b64 s[48:49], s[0:1]
	s_xor_b64 s[0:1], exec, s[48:49]
; %bb.50:                               ;   in Loop: Header=BB317_14 Depth=1
	v_bfe_u32 v38, v39, 16, 1
	v_add3_u32 v38, v39, v38, s59
                                        ; implicit-def: $vgpr39
; %bb.51:                               ;   in Loop: Header=BB317_14 Depth=1
	s_andn2_saveexec_b64 s[48:49], s[0:1]
; %bb.52:                               ;   in Loop: Header=BB317_14 Depth=1
	v_or_b32_e32 v38, 0x10000, v39
	v_cmp_eq_u32_sdwa s[0:1], v39, v3 src0_sel:WORD_0 src1_sel:DWORD
	s_nop 1
	v_cndmask_b32_e64 v38, v38, v39, s[0:1]
; %bb.53:                               ;   in Loop: Header=BB317_14 Depth=1
	s_or_b64 exec, exec, s[48:49]
	global_load_ubyte v16, v[16:17], off offset:520
	s_waitcnt vmcnt(0)
	v_cvt_f32_fp8_sdwa v16, v16 src0_sel:BYTE_0
	s_nop 0
	v_mul_f32_e32 v17, s60, v16
	v_and_b32_e32 v16, 0x7f800000, v17
	v_cmp_ne_u32_e64 s[0:1], s58, v16
                                        ; implicit-def: $vgpr16
	s_and_saveexec_b64 s[48:49], s[0:1]
	s_xor_b64 s[0:1], exec, s[48:49]
; %bb.54:                               ;   in Loop: Header=BB317_14 Depth=1
	v_bfe_u32 v16, v17, 16, 1
	v_add3_u32 v16, v17, v16, s59
                                        ; implicit-def: $vgpr17
; %bb.55:                               ;   in Loop: Header=BB317_14 Depth=1
	s_andn2_saveexec_b64 s[48:49], s[0:1]
; %bb.56:                               ;   in Loop: Header=BB317_14 Depth=1
	v_or_b32_e32 v16, 0x10000, v17
	v_cmp_eq_u32_sdwa s[0:1], v17, v3 src0_sel:WORD_0 src1_sel:DWORD
	s_nop 1
	v_cndmask_b32_e64 v16, v16, v17, s[0:1]
; %bb.57:                               ;   in Loop: Header=BB317_14 Depth=1
	s_or_b64 exec, exec, s[48:49]
	v_and_b32_e32 v17, 0xffff0000, v38
	v_and_b32_e32 v31, 0xffff0000, v31
	v_lshlrev_b32_e32 v38, 16, v14
	v_and_b32_e32 v14, 0xffff0000, v14
	v_and_b32_e32 v30, 0xffff0000, v30
	v_mul_f32_e32 v14, v14, v31
	v_and_b32_e32 v32, 0xffff0000, v32
	v_lshlrev_b32_e32 v39, 16, v15
	v_fmac_f32_e32 v14, v38, v30
	v_and_b32_e32 v33, 0xffff0000, v33
	v_and_b32_e32 v15, 0xffff0000, v15
	v_fmac_f32_e32 v14, v39, v32
	v_and_b32_e32 v34, 0xffff0000, v34
	v_lshlrev_b32_e32 v40, 16, v8
	v_fmac_f32_e32 v14, v15, v33
	v_and_b32_e32 v35, 0xffff0000, v35
	v_and_b32_e32 v8, 0xffff0000, v8
	v_fmac_f32_e32 v14, v40, v34
	v_and_b32_e32 v36, 0xffff0000, v36
	v_lshlrev_b32_e32 v41, 16, v9
	v_and_b32_e32 v43, 64, v27
	v_fmac_f32_e32 v14, v8, v35
	v_and_b32_e32 v37, 0xffff0000, v37
	v_and_b32_e32 v9, 0xffff0000, v9
	v_add_u32_e32 v43, 64, v43
	v_xor_b32_e32 v44, 4, v27
	v_fmac_f32_e32 v14, v41, v36
	v_lshlrev_b32_e32 v42, 16, v29
	v_cmp_lt_i32_e64 s[0:1], v44, v43
	v_fmac_f32_e32 v14, v9, v37
	v_and_b32_e32 v29, 0xffff0000, v29
	v_cndmask_b32_e64 v44, v27, v44, s[0:1]
	v_and_b32_e32 v16, 0xffff0000, v16
	v_fmac_f32_e32 v14, v42, v17
	v_lshlrev_b32_e32 v44, 2, v44
	v_fmac_f32_e32 v14, v29, v16
	ds_bpermute_b32 v8, v44, v14
	v_xor_b32_e32 v9, 2, v27
	v_cmp_lt_i32_e64 s[0:1], v9, v43
	s_waitcnt lgkmcnt(0)
	v_add_f32_e32 v8, v14, v8
	v_cndmask_b32_e64 v9, v27, v9, s[0:1]
	v_lshlrev_b32_e32 v9, 2, v9
	ds_bpermute_b32 v9, v9, v8
	v_xor_b32_e32 v14, 1, v27
	v_cmp_lt_i32_e64 s[0:1], v14, v43
	s_waitcnt lgkmcnt(0)
	v_add_f32_e32 v8, v8, v9
	v_cndmask_b32_e64 v14, v27, v14, s[0:1]
	v_lshlrev_b32_e32 v14, 2, v14
	ds_bpermute_b32 v9, v14, v8
	s_and_saveexec_b64 s[48:49], vcc
	s_cbranch_execz .LBB317_12
; %bb.58:                               ;   in Loop: Header=BB317_14 Depth=1
	v_add_u32_e32 v14, v25, v22
	v_cvt_f32_i32_e32 v14, v14
	s_waitcnt lgkmcnt(0)
	v_add_f32_e32 v8, v8, v9
	v_add_u32_e32 v15, v18, v22
	v_cmp_gt_i32_e64 s[0:1], s33, v15
	v_mul_f32_e32 v9, s53, v14
	v_cndmask_b32_e64 v9, 0, v9, s[8:9]
	v_fmac_f32_e32 v9, s45, v8
	v_cndmask_b32_e64 v8, 0, v9, s[0:1]
	ds_write_b32 v24, v8
	v_max_f32_e32 v8, v20, v20
	v_max_f32_e32 v8, v8, v9
	v_cndmask_b32_e64 v20, v20, v8, s[0:1]
	s_branch .LBB317_12
.LBB317_59:
	s_or_b64 exec, exec, s[46:47]
.LBB317_60:
	s_or_b64 exec, exec, s[22:23]
	v_mbcnt_hi_u32_b32 v2, -1, v11
	v_and_b32_e32 v3, 64, v2
	v_add_u32_e32 v3, 64, v3
	v_xor_b32_e32 v4, 32, v2
	v_cmp_lt_i32_e32 vcc, v4, v3
	v_xor_b32_e32 v7, 16, v2
	v_max_f32_e32 v5, v20, v20
	v_cndmask_b32_e32 v4, v2, v4, vcc
	v_lshlrev_b32_e32 v6, 2, v4
	ds_bpermute_b32 v4, v6, v20
	v_cmp_lt_i32_e32 vcc, v7, v3
	v_and_b32_e32 v11, 63, v0
	s_waitcnt lgkmcnt(0)
	v_max_f32_e32 v4, v4, v4
	v_max_f32_e32 v4, v5, v4
	v_cndmask_b32_e32 v5, v2, v7, vcc
	v_lshlrev_b32_e32 v8, 2, v5
	ds_bpermute_b32 v5, v8, v4
	v_xor_b32_e32 v7, 8, v2
	v_cmp_lt_i32_e32 vcc, v7, v3
	s_waitcnt lgkmcnt(0)
	v_max_f32_e32 v5, v5, v5
	v_max_f32_e32 v4, v4, v5
	v_cndmask_b32_e32 v5, v2, v7, vcc
	v_lshlrev_b32_e32 v9, 2, v5
	ds_bpermute_b32 v7, v9, v4
	v_cmp_eq_u32_e32 vcc, 0, v11
	v_lshlrev_b32_e32 v5, 2, v23
	s_and_saveexec_b64 s[0:1], vcc
	s_cbranch_execz .LBB317_62
; %bb.61:
	s_waitcnt lgkmcnt(0)
	v_max_f32_e32 v7, v7, v7
	v_max_f32_e32 v4, v4, v4
	;; [unrolled: 1-line block ×3, first 2 shown]
	ds_write_b32 v5, v4 offset:160
.LBB317_62:
	s_or_b64 exec, exec, s[0:1]
	v_cmp_gt_u32_e64 s[0:1], 2, v11
	v_mov_b32_e32 v4, 0xff7fffff
	s_waitcnt lgkmcnt(0)
	v_lshlrev_b32_e32 v7, 2, v11
	s_barrier
	s_and_saveexec_b64 s[8:9], s[0:1]
	s_cbranch_execz .LBB317_64
; %bb.63:
	ds_read_b32 v4, v7 offset:160
.LBB317_64:
	s_or_b64 exec, exec, s[8:9]
	v_xor_b32_e32 v14, 1, v2
	v_cmp_lt_i32_e64 s[8:9], v14, v3
	v_mov_b32_e32 v16, 0
	s_nop 0
	v_cndmask_b32_e64 v14, v2, v14, s[8:9]
	v_lshlrev_b32_e32 v14, 2, v14
	s_waitcnt lgkmcnt(0)
	ds_bpermute_b32 v15, v14, v4
	v_max_f32_e32 v4, v4, v4
	s_sub_i32 s8, s51, s54
	s_lshl_b32 s8, s8, 3
	s_add_i32 s8, s8, s52
	s_waitcnt lgkmcnt(0)
	v_max_f32_e32 v15, v15, v15
	v_max_f32_e32 v4, v4, v15
	v_lshlrev_b32_e32 v15, 2, v2
	v_and_b32_e32 v15, 0x100, v15
	ds_bpermute_b32 v4, v15, v4
	s_min_i32 s46, s8, s33
	s_sub_i32 s45, s46, s52
	v_cmp_gt_i32_e64 s[8:9], s45, v0
	s_and_saveexec_b64 s[16:17], s[8:9]
	s_cbranch_execz .LBB317_68
; %bb.65:
	v_mov_b32_e32 v16, 0xb0
	v_lshl_add_u32 v17, v0, 2, v16
	s_mov_b64 s[22:23], 0
	v_mov_b32_e32 v16, 0
	v_mov_b32_e32 v18, v0
.LBB317_66:                             ; =>This Inner Loop Header: Depth=1
	ds_read_b32 v19, v17
	v_add_u32_e32 v18, 0x80, v18
	v_cmp_le_i32_e64 s[12:13], s45, v18
	s_or_b64 s[22:23], s[12:13], s[22:23]
	s_waitcnt lgkmcnt(0)
	v_sub_f32_e32 v19, v19, v4
	v_mul_f32_e32 v19, 0x3fb8aa3b, v19
	v_exp_f32_e32 v19, v19
	ds_write_b32 v17, v19
	v_add_f32_e32 v16, v16, v19
	v_add_u32_e32 v17, 0x200, v17
	s_andn2_b64 exec, exec, s[22:23]
	s_cbranch_execnz .LBB317_66
; %bb.67:
	s_or_b64 exec, exec, s[22:23]
.LBB317_68:
	s_or_b64 exec, exec, s[16:17]
	ds_bpermute_b32 v6, v6, v16
	s_waitcnt lgkmcnt(0)
	v_add_f32_e32 v6, v16, v6
	ds_bpermute_b32 v8, v8, v6
	s_waitcnt lgkmcnt(0)
	v_add_f32_e32 v6, v6, v8
	ds_bpermute_b32 v8, v9, v6
	v_xor_b32_e32 v9, 4, v2
	v_cmp_lt_i32_e64 s[12:13], v9, v3
	s_waitcnt lgkmcnt(0)
	v_add_f32_e32 v6, v6, v8
	v_cndmask_b32_e64 v9, v2, v9, s[12:13]
	v_lshlrev_b32_e32 v9, 2, v9
	ds_bpermute_b32 v8, v9, v6
	v_xor_b32_e32 v9, 2, v2
	v_cmp_lt_i32_e64 s[12:13], v9, v3
	s_waitcnt lgkmcnt(0)
	v_add_f32_e32 v3, v6, v8
	v_cndmask_b32_e64 v2, v2, v9, s[12:13]
	v_lshlrev_b32_e32 v2, 2, v2
	ds_bpermute_b32 v2, v2, v3
	s_waitcnt lgkmcnt(0)
	v_add_f32_e32 v2, v3, v2
	ds_bpermute_b32 v3, v14, v2
	s_waitcnt lgkmcnt(0)
	v_add_f32_e32 v2, v2, v3
	s_and_saveexec_b64 s[12:13], vcc
	s_cbranch_execz .LBB317_70
; %bb.69:
	ds_write_b32 v5, v2 offset:168
.LBB317_70:
	s_or_b64 exec, exec, s[12:13]
	s_waitcnt lgkmcnt(0)
	s_barrier
	s_and_saveexec_b64 s[12:13], s[0:1]
	s_cbranch_execz .LBB317_72
; %bb.71:
	ds_read_b32 v2, v7 offset:168
.LBB317_72:
	s_or_b64 exec, exec, s[12:13]
	s_waitcnt lgkmcnt(0)
	ds_bpermute_b32 v3, v14, v2
	s_waitcnt lgkmcnt(0)
	v_add_f32_e32 v2, v2, v3
	ds_bpermute_b32 v5, v15, v2
	s_and_saveexec_b64 s[0:1], s[8:9]
	s_cbranch_execz .LBB317_85
; %bb.73:
	s_waitcnt lgkmcnt(0)
	v_add_f32_e32 v2, 0x358637bd, v5
	v_div_scale_f32 v3, s[8:9], v2, v2, 1.0
	v_rcp_f32_e32 v6, v3
	v_div_scale_f32 v7, vcc, 1.0, v2, 1.0
	s_movk_i32 s8, 0x7f
	v_fma_f32 v8, -v3, v6, 1.0
	v_fmac_f32_e32 v6, v8, v6
	v_mul_f32_e32 v8, v7, v6
	v_fma_f32 v9, -v3, v8, v7
	v_fmac_f32_e32 v8, v9, v6
	v_fma_f32 v3, -v3, v8, v7
	v_div_fmas_f32 v3, v3, v6, v8
	v_div_fixup_f32 v2, v3, v2, 1.0
	v_xad_u32 v3, v0, -1, s46
	v_subrev_u32_e32 v6, s52, v3
	v_cmp_lt_u32_e32 vcc, s8, v6
	s_mov_b64 s[12:13], -1
	v_mov_b32_e32 v3, v0
	s_and_saveexec_b64 s[8:9], vcc
	s_cbranch_execz .LBB317_82
; %bb.74:
	v_lshrrev_b32_e32 v6, 7, v6
	v_add_u32_e32 v8, -1, v6
	v_lshrrev_b32_e32 v7, 1, v8
	v_mov_b32_e32 v3, v2
	v_add_u32_e32 v7, 1, v7
	v_cmp_lt_u32_e32 vcc, 13, v8
	v_mov_b32_e32 v14, 0
	s_and_saveexec_b64 s[12:13], vcc
	s_cbranch_execz .LBB317_78
; %bb.75:
	v_mov_b32_e32 v9, 0xb0
	v_and_b32_e32 v8, -8, v7
	v_lshl_add_u32 v9, v0, 2, v9
	s_mov_b32 s22, 0
	s_mov_b64 s[16:17], 0
.LBB317_76:                             ; =>This Inner Loop Header: Depth=1
	ds_read2st64_b32 v[14:15], v9 offset1:2
	ds_read2st64_b32 v[16:17], v9 offset0:4 offset1:6
	ds_read2st64_b32 v[18:19], v9 offset0:8 offset1:10
	;; [unrolled: 1-line block ×3, first 2 shown]
	v_add_u32_e32 v8, -8, v8
	s_waitcnt lgkmcnt(3)
	v_pk_mul_f32 v[14:15], v[2:3], v[14:15]
	s_waitcnt lgkmcnt(2)
	v_pk_mul_f32 v[16:17], v[2:3], v[16:17]
	ds_write2st64_b32 v9, v14, v15 offset1:2
	ds_write2st64_b32 v9, v16, v17 offset0:4 offset1:6
	ds_read2st64_b32 v[16:17], v9 offset0:16 offset1:18
	s_waitcnt lgkmcnt(4)
	v_pk_mul_f32 v[14:15], v[2:3], v[18:19]
	ds_write2st64_b32 v9, v14, v15 offset0:8 offset1:10
	s_waitcnt lgkmcnt(4)
	v_pk_mul_f32 v[14:15], v[2:3], v[20:21]
	ds_write2st64_b32 v9, v14, v15 offset0:12 offset1:14
	ds_read2st64_b32 v[14:15], v9 offset0:20 offset1:22
	s_waitcnt lgkmcnt(3)
	v_pk_mul_f32 v[16:17], v[2:3], v[16:17]
	ds_read2st64_b32 v[18:19], v9 offset0:24 offset1:26
	ds_write2st64_b32 v9, v16, v17 offset0:16 offset1:18
	ds_read2st64_b32 v[16:17], v9 offset0:28 offset1:30
	s_waitcnt lgkmcnt(3)
	v_pk_mul_f32 v[14:15], v[2:3], v[14:15]
	ds_write2st64_b32 v9, v14, v15 offset0:20 offset1:22
	s_waitcnt lgkmcnt(3)
	v_pk_mul_f32 v[14:15], v[2:3], v[18:19]
	ds_write2st64_b32 v9, v14, v15 offset0:24 offset1:26
	s_waitcnt lgkmcnt(2)
	v_pk_mul_f32 v[14:15], v[2:3], v[16:17]
	s_add_i32 s22, s22, 16
	v_cmp_eq_u32_e32 vcc, 0, v8
	ds_write2st64_b32 v9, v14, v15 offset0:28 offset1:30
	v_add_u32_e32 v9, 0x2000, v9
	s_or_b64 s[16:17], vcc, s[16:17]
	v_mov_b32_e32 v14, s22
	s_andn2_b64 exec, exec, s[16:17]
	s_cbranch_execnz .LBB317_76
; %bb.77:
	s_or_b64 exec, exec, s[16:17]
.LBB317_78:
	s_or_b64 exec, exec, s[12:13]
	v_and_b32_e32 v7, 7, v7
	v_cmp_ne_u32_e32 vcc, 0, v7
	s_and_saveexec_b64 s[12:13], vcc
	s_cbranch_execz .LBB317_81
; %bb.79:
	v_lshlrev_b32_e32 v8, 9, v14
	v_lshlrev_b32_e32 v9, 2, v0
	s_movk_i32 s16, 0xb0
	v_add3_u32 v8, v8, v9, s16
	s_mov_b64 s[16:17], 0
.LBB317_80:                             ; =>This Inner Loop Header: Depth=1
	ds_read2st64_b32 v[14:15], v8 offset1:2
	v_add_u32_e32 v7, -1, v7
	v_cmp_eq_u32_e32 vcc, 0, v7
	s_or_b64 s[16:17], vcc, s[16:17]
	s_waitcnt lgkmcnt(0)
	v_pk_mul_f32 v[14:15], v[2:3], v[14:15]
	ds_write2st64_b32 v8, v14, v15 offset1:2
	v_add_u32_e32 v8, 0x400, v8
	s_andn2_b64 exec, exec, s[16:17]
	s_cbranch_execnz .LBB317_80
.LBB317_81:
	s_or_b64 exec, exec, s[12:13]
	v_add_u32_e32 v6, 1, v6
	v_and_b32_e32 v7, 0x3fffffe, v6
	v_cmp_ne_u32_e32 vcc, v6, v7
	v_lshl_add_u32 v3, v7, 7, v0
	s_orn2_b64 s[12:13], vcc, exec
.LBB317_82:
	s_or_b64 exec, exec, s[8:9]
	s_and_b64 exec, exec, s[12:13]
	s_cbranch_execz .LBB317_85
; %bb.83:
	v_mov_b32_e32 v6, 0xb0
	v_lshl_add_u32 v6, v3, 2, v6
	s_mov_b64 s[8:9], 0
.LBB317_84:                             ; =>This Inner Loop Header: Depth=1
	ds_read_b32 v7, v6
	v_add_u32_e32 v3, 0x80, v3
	v_cmp_le_i32_e32 vcc, s45, v3
	s_or_b64 s[8:9], vcc, s[8:9]
	s_waitcnt lgkmcnt(0)
	v_mul_f32_e32 v7, v2, v7
	ds_write_b32 v6, v7
	v_add_u32_e32 v6, 0x200, v6
	s_andn2_b64 exec, exec, s[8:9]
	s_cbranch_execnz .LBB317_84
.LBB317_85:
	s_or_b64 exec, exec, s[0:1]
	s_mul_i32 s0, s15, s36
	v_cmp_eq_u32_e32 vcc, 0, v0
	s_mul_i32 s8, s0, s5
	s_waitcnt lgkmcnt(0)
	s_barrier
	s_and_saveexec_b64 s[0:1], vcc
	s_cbranch_execz .LBB317_87
; %bb.86:
	s_ashr_i32 s9, s8, 31
	s_lshl_b64 s[12:13], s[8:9], 2
	s_add_u32 s5, s30, s12
	s_mul_i32 s16, s15, s2
	s_addc_u32 s9, s31, s13
	s_ashr_i32 s17, s16, 31
	s_lshl_b64 s[16:17], s[16:17], 2
	s_add_u32 s2, s5, s16
	s_addc_u32 s9, s9, s17
	s_ashr_i32 s5, s4, 31
	s_lshl_b64 s[22:23], s[4:5], 2
	s_add_u32 s30, s2, s22
	s_addc_u32 s31, s9, s23
	s_add_u32 s2, s28, s12
	s_addc_u32 s5, s29, s13
	;; [unrolled: 2-line block ×3, first 2 shown]
	s_add_u32 s12, s2, s22
	v_mov_b32_e32 v2, 0
	s_addc_u32 s13, s5, s23
	global_store_dword v2, v4, s[30:31]
	global_store_dword v2, v5, s[12:13]
.LBB317_87:
	s_or_b64 exec, exec, s[0:1]
	v_mov_b32_e32 v15, 0
	v_mov_b32_e32 v14, v15
	s_and_saveexec_b64 s[12:13], s[6:7]
	s_cbranch_execz .LBB317_259
; %bb.88:
	s_sub_i32 s5, s20, s25
	s_ashr_i32 s0, s24, 31
	s_add_u32 s6, s42, s24
	s_addc_u32 s7, s43, s0
	s_abs_i32 s26, s26
	v_cvt_f32_u32_e32 v2, s26
	v_or_b32_e32 v3, 64, v11
	s_movk_i32 s0, 0x50
	v_cmp_gt_u32_e32 vcc, s0, v3
	v_rcp_iflag_f32_e32 v2, v2
	s_sub_i32 s0, 0, s26
	s_add_i32 s28, s3, -1
	v_lshlrev_b32_e32 v18, 3, v3
	v_mul_f32_e32 v2, 0x4f7ffffe, v2
	v_cvt_u32_f32_e32 v2, v2
	v_mov_b32_e32 v17, 0
	s_mov_b32 s9, s21
	v_lshlrev_b32_e32 v16, 3, v11
	v_mul_lo_u32 v3, s0, v2
	s_lshl_b64 s[0:1], s[40:41], 2
	v_mul_hi_u32 v3, v2, v3
	s_add_u32 s0, s38, s0
	v_add_u32_e32 v22, v2, v3
	s_addc_u32 s1, s39, s1
	v_mov_b32_e32 v2, 0xb0
	v_mov_b32_e32 v19, v17
	v_lshl_add_u64 v[20:21], v[12:13], 2, s[0:1]
	v_lshl_add_u32 v13, v23, 5, v2
	s_mov_b64 s[16:17], 0
	s_mov_b32 s29, 0x7f800000
	s_movk_i32 s30, 0x7fff
	v_mov_b32_e32 v14, v17
	v_mov_b32_e32 v15, v17
	s_branch .LBB317_92
.LBB317_89:                             ;   in Loop: Header=BB317_92 Depth=1
	s_or_b64 exec, exec, s[2:3]
	v_and_b32_e32 v27, 0xffff0000, v5
	v_and_b32_e32 v26, 0xffff0000, v9
	;; [unrolled: 1-line block ×6, first 2 shown]
	v_pk_add_f32 v[4:5], v[4:5], v[8:9]
	v_and_b32_e32 v25, 0xffff0000, v24
	v_and_b32_e32 v24, 0xffff0000, v23
	v_mov_b32_e32 v6, v5
	v_pk_add_f32 v[4:5], v[4:5], v[6:7]
	v_pk_add_f32 v[6:7], v[26:27], v[24:25]
	s_nop 0
	v_pk_add_f32 v[4:5], v[4:5], v[6:7]
	v_mov_b32_e32 v6, v7
	v_pk_add_f32 v[4:5], v[4:5], v[6:7]
	s_nop 0
	v_mov_b32_e32 v3, v4
	v_pk_add_f32 v[14:15], v[14:15], v[2:3]
.LBB317_90:                             ;   in Loop: Header=BB317_92 Depth=1
	s_or_b64 exec, exec, s[22:23]
	v_mov_b32_e32 v14, v2
.LBB317_91:                             ;   in Loop: Header=BB317_92 Depth=1
	s_or_b64 exec, exec, s[20:21]
	v_add_u32_e32 v12, 2, v12
	v_cmp_le_i32_e64 s[0:1], s51, v12
	v_lshl_add_u64 v[20:21], v[20:21], 0, 8
	v_add_u32_e32 v1, 16, v1
	s_or_b64 s[16:17], s[0:1], s[16:17]
	v_add_u32_e32 v13, 64, v13
	s_andn2_b64 exec, exec, s[16:17]
	s_cbranch_execz .LBB317_258
.LBB317_92:                             ; =>This Inner Loop Header: Depth=1
	v_sub_u32_e32 v3, 0, v1
	v_max_i32_e32 v3, v1, v3
	v_mul_hi_u32 v4, v3, s50
	v_mul_lo_u32 v5, v4, s37
	v_sub_u32_e32 v3, v3, v5
	v_add_u32_e32 v5, 1, v4
	v_cmp_le_u32_e64 s[0:1], s37, v3
	v_ashrrev_i32_e32 v2, 31, v1
	v_xor_b32_e32 v2, s27, v2
	v_cndmask_b32_e64 v4, v4, v5, s[0:1]
	v_subrev_u32_e32 v5, s37, v3
	v_cndmask_b32_e64 v3, v3, v5, s[0:1]
	v_add_u32_e32 v5, 1, v4
	v_cmp_le_u32_e64 s[0:1], s37, v3
	s_nop 1
	v_cndmask_b32_e64 v3, v4, v5, s[0:1]
	v_xor_b32_e32 v3, v3, v2
	v_sub_u32_e32 v2, v3, v2
	v_add_u32_e32 v3, s44, v2
	v_sub_u32_e32 v5, 0, v3
	v_ashrrev_i32_e32 v4, 31, v3
	v_max_i32_e32 v3, v3, v5
	v_mul_hi_u32 v5, v3, v22
	v_mul_lo_u32 v5, v5, s26
	v_sub_u32_e32 v3, v3, v5
	v_subrev_u32_e32 v5, s26, v3
	v_cmp_le_u32_e64 s[0:1], s26, v3
	v_cmp_lt_i32_e64 s[2:3], s5, v2
	s_nop 0
	v_cndmask_b32_e64 v3, v3, v5, s[0:1]
	v_subrev_u32_e32 v5, s26, v3
	v_cmp_le_u32_e64 s[0:1], s26, v3
	s_nop 1
	v_cndmask_b32_e64 v3, v3, v5, s[0:1]
	v_xor_b32_e32 v3, v3, v4
	v_sub_u32_e32 v3, v3, v4
	v_cmp_eq_u32_e64 s[0:1], 0, v3
	s_or_b64 s[0:1], s[0:1], s[2:3]
	s_and_saveexec_b64 s[20:21], s[0:1]
	s_cbranch_execz .LBB317_91
; %bb.93:                               ;   in Loop: Header=BB317_92 Depth=1
	global_load_dword v31, v[20:21], off
	ds_read2_b64 v[6:9], v13 offset1:1
	ds_read2_b64 v[2:5], v13 offset0:2 offset1:3
                                        ; implicit-def: $vgpr30
	s_waitcnt lgkmcnt(1)
	v_and_b32_e32 v23, 0x7f800000, v6
	v_cmp_ne_u32_e64 s[0:1], s29, v23
	s_and_saveexec_b64 s[2:3], s[0:1]
	s_xor_b64 s[0:1], exec, s[2:3]
; %bb.94:                               ;   in Loop: Header=BB317_92 Depth=1
	v_bfe_u32 v23, v6, 16, 1
	v_add3_u32 v30, v6, v23, s30
; %bb.95:                               ;   in Loop: Header=BB317_92 Depth=1
	s_andn2_saveexec_b64 s[2:3], s[0:1]
; %bb.96:                               ;   in Loop: Header=BB317_92 Depth=1
	v_or_b32_e32 v23, 0x10000, v6
	v_cmp_eq_u32_sdwa s[0:1], v6, v17 src0_sel:WORD_0 src1_sel:DWORD
	s_nop 1
	v_cndmask_b32_e64 v30, v23, v6, s[0:1]
; %bb.97:                               ;   in Loop: Header=BB317_92 Depth=1
	s_or_b64 exec, exec, s[2:3]
	v_and_b32_e32 v6, 0x7f800000, v7
	v_cmp_ne_u32_e64 s[0:1], s29, v6
                                        ; implicit-def: $vgpr29
	s_and_saveexec_b64 s[2:3], s[0:1]
	s_xor_b64 s[0:1], exec, s[2:3]
; %bb.98:                               ;   in Loop: Header=BB317_92 Depth=1
	v_bfe_u32 v6, v7, 16, 1
	v_add3_u32 v29, v7, v6, s30
; %bb.99:                               ;   in Loop: Header=BB317_92 Depth=1
	s_andn2_saveexec_b64 s[2:3], s[0:1]
; %bb.100:                              ;   in Loop: Header=BB317_92 Depth=1
	v_or_b32_e32 v6, 0x10000, v7
	v_cmp_eq_u32_sdwa s[0:1], v7, v17 src0_sel:WORD_0 src1_sel:DWORD
	s_nop 1
	v_cndmask_b32_e64 v29, v6, v7, s[0:1]
; %bb.101:                              ;   in Loop: Header=BB317_92 Depth=1
	s_or_b64 exec, exec, s[2:3]
	v_and_b32_e32 v6, 0x7f800000, v8
	v_cmp_ne_u32_e64 s[0:1], s29, v6
                                        ; implicit-def: $vgpr28
	s_and_saveexec_b64 s[2:3], s[0:1]
	s_xor_b64 s[0:1], exec, s[2:3]
; %bb.102:                              ;   in Loop: Header=BB317_92 Depth=1
	v_bfe_u32 v6, v8, 16, 1
	v_add3_u32 v28, v8, v6, s30
; %bb.103:                              ;   in Loop: Header=BB317_92 Depth=1
	s_andn2_saveexec_b64 s[2:3], s[0:1]
; %bb.104:                              ;   in Loop: Header=BB317_92 Depth=1
	v_or_b32_e32 v6, 0x10000, v8
	v_cmp_eq_u32_sdwa s[0:1], v8, v17 src0_sel:WORD_0 src1_sel:DWORD
	s_nop 1
	v_cndmask_b32_e64 v28, v6, v8, s[0:1]
; %bb.105:                              ;   in Loop: Header=BB317_92 Depth=1
	s_or_b64 exec, exec, s[2:3]
	v_and_b32_e32 v6, 0x7f800000, v9
	v_cmp_ne_u32_e64 s[0:1], s29, v6
                                        ; implicit-def: $vgpr27
	s_and_saveexec_b64 s[2:3], s[0:1]
	s_xor_b64 s[0:1], exec, s[2:3]
; %bb.106:                              ;   in Loop: Header=BB317_92 Depth=1
	v_bfe_u32 v6, v9, 16, 1
	v_add3_u32 v27, v9, v6, s30
                                        ; implicit-def: $vgpr6_vgpr7_vgpr8_vgpr9
; %bb.107:                              ;   in Loop: Header=BB317_92 Depth=1
	s_andn2_saveexec_b64 s[2:3], s[0:1]
; %bb.108:                              ;   in Loop: Header=BB317_92 Depth=1
	v_or_b32_e32 v6, 0x10000, v9
	v_cmp_eq_u32_sdwa s[0:1], v9, v17 src0_sel:WORD_0 src1_sel:DWORD
	s_nop 1
	v_cndmask_b32_e64 v27, v6, v9, s[0:1]
; %bb.109:                              ;   in Loop: Header=BB317_92 Depth=1
	s_or_b64 exec, exec, s[2:3]
	s_waitcnt lgkmcnt(0)
	v_and_b32_e32 v6, 0x7f800000, v2
	v_cmp_ne_u32_e64 s[0:1], s29, v6
                                        ; implicit-def: $vgpr23
	s_and_saveexec_b64 s[2:3], s[0:1]
	s_xor_b64 s[0:1], exec, s[2:3]
; %bb.110:                              ;   in Loop: Header=BB317_92 Depth=1
	v_bfe_u32 v6, v2, 16, 1
	v_add3_u32 v23, v2, v6, s30
; %bb.111:                              ;   in Loop: Header=BB317_92 Depth=1
	s_andn2_saveexec_b64 s[2:3], s[0:1]
; %bb.112:                              ;   in Loop: Header=BB317_92 Depth=1
	v_or_b32_e32 v6, 0x10000, v2
	v_cmp_eq_u32_sdwa s[0:1], v2, v17 src0_sel:WORD_0 src1_sel:DWORD
	s_nop 1
	v_cndmask_b32_e64 v23, v6, v2, s[0:1]
; %bb.113:                              ;   in Loop: Header=BB317_92 Depth=1
	s_or_b64 exec, exec, s[2:3]
	v_and_b32_e32 v2, 0x7f800000, v3
	v_cmp_ne_u32_e64 s[0:1], s29, v2
                                        ; implicit-def: $vgpr24
	s_and_saveexec_b64 s[2:3], s[0:1]
	s_xor_b64 s[0:1], exec, s[2:3]
; %bb.114:                              ;   in Loop: Header=BB317_92 Depth=1
	v_bfe_u32 v2, v3, 16, 1
	v_add3_u32 v24, v3, v2, s30
; %bb.115:                              ;   in Loop: Header=BB317_92 Depth=1
	s_andn2_saveexec_b64 s[2:3], s[0:1]
; %bb.116:                              ;   in Loop: Header=BB317_92 Depth=1
	v_or_b32_e32 v2, 0x10000, v3
	v_cmp_eq_u32_sdwa s[0:1], v3, v17 src0_sel:WORD_0 src1_sel:DWORD
	s_nop 1
	v_cndmask_b32_e64 v24, v2, v3, s[0:1]
; %bb.117:                              ;   in Loop: Header=BB317_92 Depth=1
	s_or_b64 exec, exec, s[2:3]
	v_and_b32_e32 v2, 0x7f800000, v4
	v_cmp_ne_u32_e64 s[0:1], s29, v2
                                        ; implicit-def: $vgpr25
	s_and_saveexec_b64 s[2:3], s[0:1]
	s_xor_b64 s[0:1], exec, s[2:3]
; %bb.118:                              ;   in Loop: Header=BB317_92 Depth=1
	v_bfe_u32 v2, v4, 16, 1
	v_add3_u32 v25, v4, v2, s30
; %bb.119:                              ;   in Loop: Header=BB317_92 Depth=1
	s_andn2_saveexec_b64 s[2:3], s[0:1]
; %bb.120:                              ;   in Loop: Header=BB317_92 Depth=1
	v_or_b32_e32 v2, 0x10000, v4
	v_cmp_eq_u32_sdwa s[0:1], v4, v17 src0_sel:WORD_0 src1_sel:DWORD
	s_nop 1
	v_cndmask_b32_e64 v25, v2, v4, s[0:1]
; %bb.121:                              ;   in Loop: Header=BB317_92 Depth=1
	s_or_b64 exec, exec, s[2:3]
	v_and_b32_e32 v2, 0x7f800000, v5
	v_cmp_ne_u32_e64 s[0:1], s29, v2
                                        ; implicit-def: $vgpr26
	s_and_saveexec_b64 s[2:3], s[0:1]
	s_xor_b64 s[0:1], exec, s[2:3]
; %bb.122:                              ;   in Loop: Header=BB317_92 Depth=1
	v_bfe_u32 v2, v5, 16, 1
	v_add3_u32 v26, v5, v2, s30
                                        ; implicit-def: $vgpr2_vgpr3_vgpr4_vgpr5
; %bb.123:                              ;   in Loop: Header=BB317_92 Depth=1
	s_andn2_saveexec_b64 s[2:3], s[0:1]
; %bb.124:                              ;   in Loop: Header=BB317_92 Depth=1
	v_or_b32_e32 v2, 0x10000, v5
	v_cmp_eq_u32_sdwa s[0:1], v5, v17 src0_sel:WORD_0 src1_sel:DWORD
	s_nop 1
	v_cndmask_b32_e64 v26, v2, v5, s[0:1]
; %bb.125:                              ;   in Loop: Header=BB317_92 Depth=1
	s_or_b64 exec, exec, s[2:3]
	v_mov_b64_e32 v[2:3], s[6:7]
	s_waitcnt vmcnt(0)
	v_mad_i64_i32 v[4:5], s[0:1], v31, s9, v[2:3]
	v_lshl_add_u64 v[2:3], v[4:5], 0, v[16:17]
	global_load_dwordx2 v[2:3], v[2:3], off
	s_load_dword s31, s[18:19], 0x0
	s_waitcnt vmcnt(0)
	v_and_b32_e32 v6, 0xff, v2
	v_cvt_f32_fp8_sdwa v6, v6 src0_sel:BYTE_0
	s_waitcnt lgkmcnt(0)
	v_mul_f32_e32 v7, s31, v6
	v_and_b32_e32 v6, 0x7f800000, v7
	v_cmp_ne_u32_e64 s[0:1], s29, v6
                                        ; implicit-def: $vgpr6
	s_and_saveexec_b64 s[2:3], s[0:1]
	s_xor_b64 s[0:1], exec, s[2:3]
; %bb.126:                              ;   in Loop: Header=BB317_92 Depth=1
	v_bfe_u32 v6, v7, 16, 1
	v_add3_u32 v6, v7, v6, s30
                                        ; implicit-def: $vgpr7
; %bb.127:                              ;   in Loop: Header=BB317_92 Depth=1
	s_andn2_saveexec_b64 s[2:3], s[0:1]
; %bb.128:                              ;   in Loop: Header=BB317_92 Depth=1
	v_or_b32_e32 v6, 0x10000, v7
	v_cmp_eq_u32_sdwa s[0:1], v7, v17 src0_sel:WORD_0 src1_sel:DWORD
	s_nop 1
	v_cndmask_b32_e64 v6, v6, v7, s[0:1]
; %bb.129:                              ;   in Loop: Header=BB317_92 Depth=1
	s_or_b64 exec, exec, s[2:3]
	v_bfe_u32 v7, v2, 8, 8
	v_cvt_f32_fp8_sdwa v7, v7 src0_sel:BYTE_0
	s_nop 0
	v_mul_f32_e32 v8, s31, v7
	v_and_b32_e32 v7, 0x7f800000, v8
	v_cmp_ne_u32_e64 s[0:1], s29, v7
                                        ; implicit-def: $vgpr7
	s_and_saveexec_b64 s[2:3], s[0:1]
	s_xor_b64 s[0:1], exec, s[2:3]
; %bb.130:                              ;   in Loop: Header=BB317_92 Depth=1
	v_bfe_u32 v7, v8, 16, 1
	v_add3_u32 v7, v8, v7, s30
                                        ; implicit-def: $vgpr8
; %bb.131:                              ;   in Loop: Header=BB317_92 Depth=1
	s_andn2_saveexec_b64 s[2:3], s[0:1]
; %bb.132:                              ;   in Loop: Header=BB317_92 Depth=1
	v_or_b32_e32 v7, 0x10000, v8
	v_cmp_eq_u32_sdwa s[0:1], v8, v17 src0_sel:WORD_0 src1_sel:DWORD
	s_nop 1
	v_cndmask_b32_e64 v7, v7, v8, s[0:1]
; %bb.133:                              ;   in Loop: Header=BB317_92 Depth=1
	s_or_b64 exec, exec, s[2:3]
	v_bfe_u32 v8, v2, 16, 8
	v_cvt_f32_fp8_sdwa v8, v8 src0_sel:BYTE_0
	s_nop 0
	v_mul_f32_e32 v9, s31, v8
	v_and_b32_e32 v8, 0x7f800000, v9
	v_cmp_ne_u32_e64 s[0:1], s29, v8
                                        ; implicit-def: $vgpr8
	s_and_saveexec_b64 s[2:3], s[0:1]
	s_xor_b64 s[0:1], exec, s[2:3]
; %bb.134:                              ;   in Loop: Header=BB317_92 Depth=1
	v_bfe_u32 v8, v9, 16, 1
	v_add3_u32 v8, v9, v8, s30
                                        ; implicit-def: $vgpr9
; %bb.135:                              ;   in Loop: Header=BB317_92 Depth=1
	s_andn2_saveexec_b64 s[2:3], s[0:1]
; %bb.136:                              ;   in Loop: Header=BB317_92 Depth=1
	v_or_b32_e32 v8, 0x10000, v9
	v_cmp_eq_u32_sdwa s[0:1], v9, v17 src0_sel:WORD_0 src1_sel:DWORD
	s_nop 1
	v_cndmask_b32_e64 v8, v8, v9, s[0:1]
; %bb.137:                              ;   in Loop: Header=BB317_92 Depth=1
	s_or_b64 exec, exec, s[2:3]
	v_lshrrev_b32_e32 v2, 24, v2
	v_cvt_f32_fp8_sdwa v2, v2 src0_sel:BYTE_0
	s_nop 0
	v_mul_f32_e32 v9, s31, v2
	v_and_b32_e32 v2, 0x7f800000, v9
	v_cmp_ne_u32_e64 s[0:1], s29, v2
                                        ; implicit-def: $vgpr2
	s_and_saveexec_b64 s[2:3], s[0:1]
	s_xor_b64 s[0:1], exec, s[2:3]
; %bb.138:                              ;   in Loop: Header=BB317_92 Depth=1
	v_bfe_u32 v2, v9, 16, 1
	v_add3_u32 v2, v9, v2, s30
                                        ; implicit-def: $vgpr9
; %bb.139:                              ;   in Loop: Header=BB317_92 Depth=1
	s_andn2_saveexec_b64 s[2:3], s[0:1]
; %bb.140:                              ;   in Loop: Header=BB317_92 Depth=1
	v_or_b32_e32 v2, 0x10000, v9
	v_cmp_eq_u32_sdwa s[0:1], v9, v17 src0_sel:WORD_0 src1_sel:DWORD
	s_nop 1
	v_cndmask_b32_e64 v2, v2, v9, s[0:1]
; %bb.141:                              ;   in Loop: Header=BB317_92 Depth=1
	s_or_b64 exec, exec, s[2:3]
	v_and_b32_e32 v9, 0xff, v3
	v_cvt_f32_fp8_sdwa v9, v9 src0_sel:BYTE_0
	s_nop 0
	v_mul_f32_e32 v31, s31, v9
	v_and_b32_e32 v9, 0x7f800000, v31
	v_cmp_ne_u32_e64 s[0:1], s29, v9
                                        ; implicit-def: $vgpr9
	s_and_saveexec_b64 s[2:3], s[0:1]
	s_xor_b64 s[0:1], exec, s[2:3]
; %bb.142:                              ;   in Loop: Header=BB317_92 Depth=1
	v_bfe_u32 v9, v31, 16, 1
	v_add3_u32 v9, v31, v9, s30
                                        ; implicit-def: $vgpr31
; %bb.143:                              ;   in Loop: Header=BB317_92 Depth=1
	s_andn2_saveexec_b64 s[2:3], s[0:1]
; %bb.144:                              ;   in Loop: Header=BB317_92 Depth=1
	v_or_b32_e32 v9, 0x10000, v31
	v_cmp_eq_u32_sdwa s[0:1], v31, v17 src0_sel:WORD_0 src1_sel:DWORD
	s_nop 1
	v_cndmask_b32_e64 v9, v9, v31, s[0:1]
; %bb.145:                              ;   in Loop: Header=BB317_92 Depth=1
	s_or_b64 exec, exec, s[2:3]
	v_bfe_u32 v31, v3, 8, 8
	v_cvt_f32_fp8_sdwa v31, v31 src0_sel:BYTE_0
	s_nop 0
	v_mul_f32_e32 v32, s31, v31
	v_and_b32_e32 v31, 0x7f800000, v32
	v_cmp_ne_u32_e64 s[0:1], s29, v31
                                        ; implicit-def: $vgpr31
	s_and_saveexec_b64 s[2:3], s[0:1]
	s_xor_b64 s[0:1], exec, s[2:3]
; %bb.146:                              ;   in Loop: Header=BB317_92 Depth=1
	v_bfe_u32 v31, v32, 16, 1
	v_add3_u32 v31, v32, v31, s30
                                        ; implicit-def: $vgpr32
; %bb.147:                              ;   in Loop: Header=BB317_92 Depth=1
	s_andn2_saveexec_b64 s[2:3], s[0:1]
; %bb.148:                              ;   in Loop: Header=BB317_92 Depth=1
	v_or_b32_e32 v31, 0x10000, v32
	v_cmp_eq_u32_sdwa s[0:1], v32, v17 src0_sel:WORD_0 src1_sel:DWORD
	s_nop 1
	v_cndmask_b32_e64 v31, v31, v32, s[0:1]
; %bb.149:                              ;   in Loop: Header=BB317_92 Depth=1
	s_or_b64 exec, exec, s[2:3]
	v_bfe_u32 v32, v3, 16, 8
	v_cvt_f32_fp8_sdwa v32, v32 src0_sel:BYTE_0
                                        ; implicit-def: $vgpr35
	s_nop 0
	v_mul_f32_e32 v32, s31, v32
	v_and_b32_e32 v33, 0x7f800000, v32
	v_cmp_ne_u32_e64 s[0:1], s29, v33
	s_and_saveexec_b64 s[2:3], s[0:1]
	s_xor_b64 s[0:1], exec, s[2:3]
; %bb.150:                              ;   in Loop: Header=BB317_92 Depth=1
	v_bfe_u32 v33, v32, 16, 1
	v_add3_u32 v35, v32, v33, s30
                                        ; implicit-def: $vgpr32
; %bb.151:                              ;   in Loop: Header=BB317_92 Depth=1
	s_andn2_saveexec_b64 s[2:3], s[0:1]
; %bb.152:                              ;   in Loop: Header=BB317_92 Depth=1
	v_or_b32_e32 v33, 0x10000, v32
	v_cmp_eq_u32_sdwa s[0:1], v32, v17 src0_sel:WORD_0 src1_sel:DWORD
	s_nop 1
	v_cndmask_b32_e64 v35, v33, v32, s[0:1]
; %bb.153:                              ;   in Loop: Header=BB317_92 Depth=1
	s_or_b64 exec, exec, s[2:3]
	v_lshrrev_b32_e32 v3, 24, v3
	v_cvt_f32_fp8_sdwa v3, v3 src0_sel:BYTE_0
                                        ; implicit-def: $vgpr36
	s_nop 0
	v_mul_f32_e32 v3, s31, v3
	v_and_b32_e32 v32, 0x7f800000, v3
	v_cmp_ne_u32_e64 s[0:1], s29, v32
	s_and_saveexec_b64 s[2:3], s[0:1]
	s_xor_b64 s[0:1], exec, s[2:3]
; %bb.154:                              ;   in Loop: Header=BB317_92 Depth=1
	v_bfe_u32 v32, v3, 16, 1
	v_add3_u32 v36, v3, v32, s30
                                        ; implicit-def: $vgpr3
; %bb.155:                              ;   in Loop: Header=BB317_92 Depth=1
	s_andn2_saveexec_b64 s[2:3], s[0:1]
; %bb.156:                              ;   in Loop: Header=BB317_92 Depth=1
	v_or_b32_e32 v32, 0x10000, v3
	v_cmp_eq_u32_sdwa s[0:1], v3, v17 src0_sel:WORD_0 src1_sel:DWORD
	s_nop 1
	v_cndmask_b32_e64 v36, v32, v3, s[0:1]
; %bb.157:                              ;   in Loop: Header=BB317_92 Depth=1
	s_or_b64 exec, exec, s[2:3]
	v_cmp_eq_u32_e64 s[2:3], s28, v12
	v_lshrrev_b32_e32 v32, 16, v31
	v_lshrrev_b32_e32 v33, 16, v9
	;; [unrolled: 1-line block ×8, first 2 shown]
	s_and_saveexec_b64 s[22:23], s[2:3]
	s_cbranch_execz .LBB317_159
; %bb.158:                              ;   in Loop: Header=BB317_92 Depth=1
	v_cmp_gt_i32_e64 s[0:1], s33, v1
	v_add_u32_e32 v6, 1, v1
	s_nop 0
	v_cndmask_b32_e64 v3, 0, v3, s[0:1]
	v_cmp_gt_i32_e64 s[0:1], s33, v6
	v_add_u32_e32 v6, 2, v1
	s_nop 0
	v_cndmask_b32_e64 v8, 0, v8, s[0:1]
	;; [unrolled: 4-line block ×7, first 2 shown]
	v_cmp_gt_i32_e64 s[0:1], s33, v6
	s_nop 1
	v_cndmask_b32_e64 v2, 0, v2, s[0:1]
.LBB317_159:                            ;   in Loop: Header=BB317_92 Depth=1
	s_or_b64 exec, exec, s[22:23]
	v_and_b32_e32 v6, 0xffff0000, v30
	v_lshlrev_b32_e32 v3, 16, v3
	v_mul_f32_e32 v7, v6, v3
	v_and_b32_e32 v3, 0x7f800000, v7
	v_cmp_ne_u32_e64 s[0:1], s29, v3
                                        ; implicit-def: $vgpr3
	s_and_saveexec_b64 s[22:23], s[0:1]
	s_xor_b64 s[0:1], exec, s[22:23]
; %bb.160:                              ;   in Loop: Header=BB317_92 Depth=1
	v_bfe_u32 v3, v7, 16, 1
	v_add3_u32 v3, v7, v3, s30
                                        ; implicit-def: $vgpr7
; %bb.161:                              ;   in Loop: Header=BB317_92 Depth=1
	s_andn2_saveexec_b64 s[22:23], s[0:1]
; %bb.162:                              ;   in Loop: Header=BB317_92 Depth=1
	v_or_b32_e32 v3, 0x10000, v7
	v_cmp_eq_u32_sdwa s[0:1], v7, v17 src0_sel:WORD_0 src1_sel:DWORD
	s_nop 1
	v_cndmask_b32_e64 v3, v3, v7, s[0:1]
; %bb.163:                              ;   in Loop: Header=BB317_92 Depth=1
	s_or_b64 exec, exec, s[22:23]
	v_and_b32_e32 v7, 0xffff0000, v29
	v_lshlrev_b32_e32 v8, 16, v8
	v_mul_f32_e32 v8, v7, v8
	v_and_b32_e32 v29, 0x7f800000, v8
	v_cmp_ne_u32_e64 s[0:1], s29, v29
                                        ; implicit-def: $vgpr29
	s_and_saveexec_b64 s[22:23], s[0:1]
	s_xor_b64 s[0:1], exec, s[22:23]
; %bb.164:                              ;   in Loop: Header=BB317_92 Depth=1
	v_bfe_u32 v29, v8, 16, 1
	v_add3_u32 v29, v8, v29, s30
                                        ; implicit-def: $vgpr8
; %bb.165:                              ;   in Loop: Header=BB317_92 Depth=1
	s_andn2_saveexec_b64 s[22:23], s[0:1]
; %bb.166:                              ;   in Loop: Header=BB317_92 Depth=1
	v_or_b32_e32 v29, 0x10000, v8
	v_cmp_eq_u32_sdwa s[0:1], v8, v17 src0_sel:WORD_0 src1_sel:DWORD
	s_nop 1
	v_cndmask_b32_e64 v29, v29, v8, s[0:1]
; %bb.167:                              ;   in Loop: Header=BB317_92 Depth=1
	s_or_b64 exec, exec, s[22:23]
	v_and_b32_e32 v8, 0xffff0000, v28
	v_lshlrev_b32_e32 v9, 16, v9
	v_mul_f32_e32 v9, v8, v9
	v_and_b32_e32 v28, 0x7f800000, v9
	v_cmp_ne_u32_e64 s[0:1], s29, v28
                                        ; implicit-def: $vgpr28
	s_and_saveexec_b64 s[22:23], s[0:1]
	s_xor_b64 s[0:1], exec, s[22:23]
; %bb.168:                              ;   in Loop: Header=BB317_92 Depth=1
	v_bfe_u32 v28, v9, 16, 1
	v_add3_u32 v28, v9, v28, s30
                                        ; implicit-def: $vgpr9
; %bb.169:                              ;   in Loop: Header=BB317_92 Depth=1
	s_andn2_saveexec_b64 s[22:23], s[0:1]
; %bb.170:                              ;   in Loop: Header=BB317_92 Depth=1
	v_or_b32_e32 v28, 0x10000, v9
	v_cmp_eq_u32_sdwa s[0:1], v9, v17 src0_sel:WORD_0 src1_sel:DWORD
	s_nop 1
	v_cndmask_b32_e64 v28, v28, v9, s[0:1]
; %bb.171:                              ;   in Loop: Header=BB317_92 Depth=1
	s_or_b64 exec, exec, s[22:23]
	v_and_b32_e32 v9, 0xffff0000, v27
	v_lshlrev_b32_e32 v27, 16, v34
	v_mul_f32_e32 v30, v9, v27
	v_and_b32_e32 v27, 0x7f800000, v30
	v_cmp_ne_u32_e64 s[0:1], s29, v27
                                        ; implicit-def: $vgpr27
	s_and_saveexec_b64 s[22:23], s[0:1]
	s_xor_b64 s[0:1], exec, s[22:23]
; %bb.172:                              ;   in Loop: Header=BB317_92 Depth=1
	v_bfe_u32 v27, v30, 16, 1
	v_add3_u32 v27, v30, v27, s30
                                        ; implicit-def: $vgpr30
; %bb.173:                              ;   in Loop: Header=BB317_92 Depth=1
	s_andn2_saveexec_b64 s[22:23], s[0:1]
; %bb.174:                              ;   in Loop: Header=BB317_92 Depth=1
	v_or_b32_e32 v27, 0x10000, v30
	v_cmp_eq_u32_sdwa s[0:1], v30, v17 src0_sel:WORD_0 src1_sel:DWORD
	s_nop 1
	v_cndmask_b32_e64 v27, v27, v30, s[0:1]
; %bb.175:                              ;   in Loop: Header=BB317_92 Depth=1
	s_or_b64 exec, exec, s[22:23]
	v_and_b32_e32 v23, 0xffff0000, v23
	v_lshlrev_b32_e32 v30, 16, v33
	v_mul_f32_e32 v33, v23, v30
	v_and_b32_e32 v30, 0x7f800000, v33
	v_cmp_ne_u32_e64 s[0:1], s29, v30
                                        ; implicit-def: $vgpr30
	s_and_saveexec_b64 s[22:23], s[0:1]
	s_xor_b64 s[0:1], exec, s[22:23]
; %bb.176:                              ;   in Loop: Header=BB317_92 Depth=1
	v_bfe_u32 v30, v33, 16, 1
	v_add3_u32 v30, v33, v30, s30
                                        ; implicit-def: $vgpr33
; %bb.177:                              ;   in Loop: Header=BB317_92 Depth=1
	s_andn2_saveexec_b64 s[22:23], s[0:1]
; %bb.178:                              ;   in Loop: Header=BB317_92 Depth=1
	v_or_b32_e32 v30, 0x10000, v33
	v_cmp_eq_u32_sdwa s[0:1], v33, v17 src0_sel:WORD_0 src1_sel:DWORD
	s_nop 1
	v_cndmask_b32_e64 v30, v30, v33, s[0:1]
; %bb.179:                              ;   in Loop: Header=BB317_92 Depth=1
	s_or_b64 exec, exec, s[22:23]
	v_and_b32_e32 v24, 0xffff0000, v24
	v_lshlrev_b32_e32 v32, 16, v32
	v_mul_f32_e32 v33, v24, v32
	v_and_b32_e32 v32, 0x7f800000, v33
	v_cmp_ne_u32_e64 s[0:1], s29, v32
                                        ; implicit-def: $vgpr32
	s_and_saveexec_b64 s[22:23], s[0:1]
	s_xor_b64 s[0:1], exec, s[22:23]
; %bb.180:                              ;   in Loop: Header=BB317_92 Depth=1
	v_bfe_u32 v32, v33, 16, 1
	v_add3_u32 v32, v33, v32, s30
                                        ; implicit-def: $vgpr33
; %bb.181:                              ;   in Loop: Header=BB317_92 Depth=1
	s_andn2_saveexec_b64 s[22:23], s[0:1]
; %bb.182:                              ;   in Loop: Header=BB317_92 Depth=1
	v_or_b32_e32 v32, 0x10000, v33
	v_cmp_eq_u32_sdwa s[0:1], v33, v17 src0_sel:WORD_0 src1_sel:DWORD
	s_nop 1
	v_cndmask_b32_e64 v32, v32, v33, s[0:1]
; %bb.183:                              ;   in Loop: Header=BB317_92 Depth=1
	s_or_b64 exec, exec, s[22:23]
	v_and_b32_e32 v25, 0xffff0000, v25
	v_lshlrev_b32_e32 v31, 16, v31
	v_mul_f32_e32 v33, v25, v31
	v_and_b32_e32 v31, 0x7f800000, v33
	v_cmp_ne_u32_e64 s[0:1], s29, v31
                                        ; implicit-def: $vgpr31
	s_and_saveexec_b64 s[22:23], s[0:1]
	s_xor_b64 s[0:1], exec, s[22:23]
; %bb.184:                              ;   in Loop: Header=BB317_92 Depth=1
	v_bfe_u32 v31, v33, 16, 1
	v_add3_u32 v31, v33, v31, s30
                                        ; implicit-def: $vgpr33
; %bb.185:                              ;   in Loop: Header=BB317_92 Depth=1
	s_andn2_saveexec_b64 s[22:23], s[0:1]
; %bb.186:                              ;   in Loop: Header=BB317_92 Depth=1
	v_or_b32_e32 v31, 0x10000, v33
	v_cmp_eq_u32_sdwa s[0:1], v33, v17 src0_sel:WORD_0 src1_sel:DWORD
	s_nop 1
	v_cndmask_b32_e64 v31, v31, v33, s[0:1]
; %bb.187:                              ;   in Loop: Header=BB317_92 Depth=1
	s_or_b64 exec, exec, s[22:23]
	v_and_b32_e32 v26, 0xffff0000, v26
	v_lshlrev_b32_e32 v2, 16, v2
	v_mul_f32_e32 v2, v26, v2
	v_and_b32_e32 v33, 0x7f800000, v2
	v_cmp_ne_u32_e64 s[0:1], s29, v33
                                        ; implicit-def: $vgpr33
	s_and_saveexec_b64 s[22:23], s[0:1]
	s_xor_b64 s[0:1], exec, s[22:23]
; %bb.188:                              ;   in Loop: Header=BB317_92 Depth=1
	v_bfe_u32 v33, v2, 16, 1
	v_add3_u32 v33, v2, v33, s30
                                        ; implicit-def: $vgpr2
; %bb.189:                              ;   in Loop: Header=BB317_92 Depth=1
	s_andn2_saveexec_b64 s[22:23], s[0:1]
; %bb.190:                              ;   in Loop: Header=BB317_92 Depth=1
	v_or_b32_e32 v33, 0x10000, v2
	v_cmp_eq_u32_sdwa s[0:1], v2, v17 src0_sel:WORD_0 src1_sel:DWORD
	s_nop 1
	v_cndmask_b32_e64 v33, v33, v2, s[0:1]
; %bb.191:                              ;   in Loop: Header=BB317_92 Depth=1
	s_or_b64 exec, exec, s[22:23]
	v_and_b32_e32 v35, 0xffff0000, v27
	v_and_b32_e32 v34, 0xffff0000, v29
	;; [unrolled: 1-line block ×4, first 2 shown]
	v_pk_add_f32 v[2:3], v[28:29], v[34:35]
	v_and_b32_e32 v33, 0xffff0000, v33
	v_and_b32_e32 v32, 0xffff0000, v32
	;; [unrolled: 1-line block ×4, first 2 shown]
	v_mov_b32_e32 v28, v3
	v_pk_add_f32 v[2:3], v[2:3], v[28:29]
	v_pk_add_f32 v[28:29], v[30:31], v[32:33]
	s_nop 0
	v_pk_add_f32 v[2:3], v[2:3], v[28:29]
	v_mov_b32_e32 v28, v29
	v_pk_add_f32 v[2:3], v[2:3], v[28:29]
	s_nop 0
	v_pk_add_f32 v[2:3], v[14:15], v[2:3]
	s_and_saveexec_b64 s[22:23], vcc
	s_cbranch_execz .LBB317_90
; %bb.192:                              ;   in Loop: Header=BB317_92 Depth=1
	v_lshl_add_u64 v[4:5], v[4:5], 0, v[18:19]
	global_load_dwordx2 v[4:5], v[4:5], off
	s_waitcnt vmcnt(0)
	v_and_b32_e32 v3, 0xff, v4
	v_cvt_f32_fp8_sdwa v3, v3 src0_sel:BYTE_0
	s_nop 0
	v_mul_f32_e32 v27, s31, v3
	v_and_b32_e32 v3, 0x7f800000, v27
	v_cmp_ne_u32_e64 s[0:1], s29, v3
                                        ; implicit-def: $vgpr3
	s_and_saveexec_b64 s[24:25], s[0:1]
	s_xor_b64 s[0:1], exec, s[24:25]
; %bb.193:                              ;   in Loop: Header=BB317_92 Depth=1
	v_bfe_u32 v3, v27, 16, 1
	v_add3_u32 v3, v27, v3, s30
                                        ; implicit-def: $vgpr27
; %bb.194:                              ;   in Loop: Header=BB317_92 Depth=1
	s_andn2_saveexec_b64 s[24:25], s[0:1]
; %bb.195:                              ;   in Loop: Header=BB317_92 Depth=1
	v_or_b32_e32 v3, 0x10000, v27
	v_cmp_eq_u32_sdwa s[0:1], v27, v17 src0_sel:WORD_0 src1_sel:DWORD
	s_nop 1
	v_cndmask_b32_e64 v3, v3, v27, s[0:1]
; %bb.196:                              ;   in Loop: Header=BB317_92 Depth=1
	s_or_b64 exec, exec, s[24:25]
	v_bfe_u32 v27, v4, 8, 8
	v_cvt_f32_fp8_sdwa v27, v27 src0_sel:BYTE_0
	s_nop 0
	v_mul_f32_e32 v28, s31, v27
	v_and_b32_e32 v27, 0x7f800000, v28
	v_cmp_ne_u32_e64 s[0:1], s29, v27
                                        ; implicit-def: $vgpr27
	s_and_saveexec_b64 s[24:25], s[0:1]
	s_xor_b64 s[0:1], exec, s[24:25]
; %bb.197:                              ;   in Loop: Header=BB317_92 Depth=1
	v_bfe_u32 v27, v28, 16, 1
	v_add3_u32 v27, v28, v27, s30
                                        ; implicit-def: $vgpr28
; %bb.198:                              ;   in Loop: Header=BB317_92 Depth=1
	s_andn2_saveexec_b64 s[24:25], s[0:1]
; %bb.199:                              ;   in Loop: Header=BB317_92 Depth=1
	v_or_b32_e32 v27, 0x10000, v28
	v_cmp_eq_u32_sdwa s[0:1], v28, v17 src0_sel:WORD_0 src1_sel:DWORD
	s_nop 1
	v_cndmask_b32_e64 v27, v27, v28, s[0:1]
; %bb.200:                              ;   in Loop: Header=BB317_92 Depth=1
	s_or_b64 exec, exec, s[24:25]
	v_bfe_u32 v28, v4, 16, 8
	v_cvt_f32_fp8_sdwa v28, v28 src0_sel:BYTE_0
	s_nop 0
	v_mul_f32_e32 v28, s31, v28
	v_and_b32_e32 v29, 0x7f800000, v28
	v_cmp_ne_u32_e64 s[0:1], s29, v29
                                        ; implicit-def: $vgpr29
	s_and_saveexec_b64 s[24:25], s[0:1]
	s_xor_b64 s[0:1], exec, s[24:25]
; %bb.201:                              ;   in Loop: Header=BB317_92 Depth=1
	v_bfe_u32 v29, v28, 16, 1
	v_add3_u32 v29, v28, v29, s30
                                        ; implicit-def: $vgpr28
; %bb.202:                              ;   in Loop: Header=BB317_92 Depth=1
	s_andn2_saveexec_b64 s[24:25], s[0:1]
; %bb.203:                              ;   in Loop: Header=BB317_92 Depth=1
	v_or_b32_e32 v29, 0x10000, v28
	v_cmp_eq_u32_sdwa s[0:1], v28, v17 src0_sel:WORD_0 src1_sel:DWORD
	s_nop 1
	v_cndmask_b32_e64 v29, v29, v28, s[0:1]
; %bb.204:                              ;   in Loop: Header=BB317_92 Depth=1
	s_or_b64 exec, exec, s[24:25]
	v_lshrrev_b32_e32 v4, 24, v4
	v_cvt_f32_fp8_sdwa v4, v4 src0_sel:BYTE_0
	s_nop 0
	v_mul_f32_e32 v28, s31, v4
	v_and_b32_e32 v4, 0x7f800000, v28
	v_cmp_ne_u32_e64 s[0:1], s29, v4
                                        ; implicit-def: $vgpr4
	s_and_saveexec_b64 s[24:25], s[0:1]
	s_xor_b64 s[0:1], exec, s[24:25]
; %bb.205:                              ;   in Loop: Header=BB317_92 Depth=1
	v_bfe_u32 v4, v28, 16, 1
	v_add3_u32 v4, v28, v4, s30
                                        ; implicit-def: $vgpr28
; %bb.206:                              ;   in Loop: Header=BB317_92 Depth=1
	s_andn2_saveexec_b64 s[24:25], s[0:1]
; %bb.207:                              ;   in Loop: Header=BB317_92 Depth=1
	v_or_b32_e32 v4, 0x10000, v28
	v_cmp_eq_u32_sdwa s[0:1], v28, v17 src0_sel:WORD_0 src1_sel:DWORD
	s_nop 1
	v_cndmask_b32_e64 v4, v4, v28, s[0:1]
; %bb.208:                              ;   in Loop: Header=BB317_92 Depth=1
	s_or_b64 exec, exec, s[24:25]
	v_and_b32_e32 v28, 0xff, v5
	v_cvt_f32_fp8_sdwa v28, v28 src0_sel:BYTE_0
	s_nop 0
	v_mul_f32_e32 v28, s31, v28
	v_and_b32_e32 v30, 0x7f800000, v28
	v_cmp_ne_u32_e64 s[0:1], s29, v30
                                        ; implicit-def: $vgpr30
	s_and_saveexec_b64 s[24:25], s[0:1]
	s_xor_b64 s[0:1], exec, s[24:25]
; %bb.209:                              ;   in Loop: Header=BB317_92 Depth=1
	v_bfe_u32 v30, v28, 16, 1
	v_add3_u32 v30, v28, v30, s30
                                        ; implicit-def: $vgpr28
; %bb.210:                              ;   in Loop: Header=BB317_92 Depth=1
	s_andn2_saveexec_b64 s[24:25], s[0:1]
; %bb.211:                              ;   in Loop: Header=BB317_92 Depth=1
	v_or_b32_e32 v30, 0x10000, v28
	v_cmp_eq_u32_sdwa s[0:1], v28, v17 src0_sel:WORD_0 src1_sel:DWORD
	s_nop 1
	v_cndmask_b32_e64 v30, v30, v28, s[0:1]
; %bb.212:                              ;   in Loop: Header=BB317_92 Depth=1
	s_or_b64 exec, exec, s[24:25]
	v_bfe_u32 v28, v5, 8, 8
	v_cvt_f32_fp8_sdwa v28, v28 src0_sel:BYTE_0
	s_nop 0
	v_mul_f32_e32 v31, s31, v28
	v_and_b32_e32 v28, 0x7f800000, v31
	v_cmp_ne_u32_e64 s[0:1], s29, v28
                                        ; implicit-def: $vgpr28
	s_and_saveexec_b64 s[24:25], s[0:1]
	s_xor_b64 s[0:1], exec, s[24:25]
; %bb.213:                              ;   in Loop: Header=BB317_92 Depth=1
	v_bfe_u32 v28, v31, 16, 1
	v_add3_u32 v28, v31, v28, s30
                                        ; implicit-def: $vgpr31
; %bb.214:                              ;   in Loop: Header=BB317_92 Depth=1
	s_andn2_saveexec_b64 s[24:25], s[0:1]
; %bb.215:                              ;   in Loop: Header=BB317_92 Depth=1
	v_or_b32_e32 v28, 0x10000, v31
	v_cmp_eq_u32_sdwa s[0:1], v31, v17 src0_sel:WORD_0 src1_sel:DWORD
	s_nop 1
	v_cndmask_b32_e64 v28, v28, v31, s[0:1]
; %bb.216:                              ;   in Loop: Header=BB317_92 Depth=1
	s_or_b64 exec, exec, s[24:25]
	v_bfe_u32 v31, v5, 16, 8
	v_cvt_f32_fp8_sdwa v31, v31 src0_sel:BYTE_0
	s_nop 0
	v_mul_f32_e32 v31, s31, v31
	v_and_b32_e32 v32, 0x7f800000, v31
	v_cmp_ne_u32_e64 s[0:1], s29, v32
                                        ; implicit-def: $vgpr32
	s_and_saveexec_b64 s[24:25], s[0:1]
	s_xor_b64 s[0:1], exec, s[24:25]
; %bb.217:                              ;   in Loop: Header=BB317_92 Depth=1
	v_bfe_u32 v32, v31, 16, 1
	v_add3_u32 v32, v31, v32, s30
                                        ; implicit-def: $vgpr31
; %bb.218:                              ;   in Loop: Header=BB317_92 Depth=1
	s_andn2_saveexec_b64 s[24:25], s[0:1]
; %bb.219:                              ;   in Loop: Header=BB317_92 Depth=1
	v_or_b32_e32 v32, 0x10000, v31
	v_cmp_eq_u32_sdwa s[0:1], v31, v17 src0_sel:WORD_0 src1_sel:DWORD
	s_nop 1
	v_cndmask_b32_e64 v32, v32, v31, s[0:1]
; %bb.220:                              ;   in Loop: Header=BB317_92 Depth=1
	s_or_b64 exec, exec, s[24:25]
	v_lshrrev_b32_e32 v5, 24, v5
	v_cvt_f32_fp8_sdwa v5, v5 src0_sel:BYTE_0
                                        ; implicit-def: $vgpr33
	s_nop 0
	v_mul_f32_e32 v5, s31, v5
	v_and_b32_e32 v31, 0x7f800000, v5
	v_cmp_ne_u32_e64 s[0:1], s29, v31
	s_and_saveexec_b64 s[24:25], s[0:1]
	s_xor_b64 s[0:1], exec, s[24:25]
; %bb.221:                              ;   in Loop: Header=BB317_92 Depth=1
	v_bfe_u32 v31, v5, 16, 1
	v_add3_u32 v33, v5, v31, s30
                                        ; implicit-def: $vgpr5
; %bb.222:                              ;   in Loop: Header=BB317_92 Depth=1
	s_andn2_saveexec_b64 s[24:25], s[0:1]
; %bb.223:                              ;   in Loop: Header=BB317_92 Depth=1
	v_or_b32_e32 v31, 0x10000, v5
	v_cmp_eq_u32_sdwa s[0:1], v5, v17 src0_sel:WORD_0 src1_sel:DWORD
	s_nop 1
	v_cndmask_b32_e64 v33, v31, v5, s[0:1]
; %bb.224:                              ;   in Loop: Header=BB317_92 Depth=1
	s_or_b64 exec, exec, s[24:25]
	v_lshrrev_b32_e32 v28, 16, v28
	v_lshrrev_b32_e32 v30, 16, v30
	;; [unrolled: 1-line block ×8, first 2 shown]
	s_and_saveexec_b64 s[24:25], s[2:3]
	s_cbranch_execz .LBB317_226
; %bb.225:                              ;   in Loop: Header=BB317_92 Depth=1
	v_cmp_gt_i32_e64 s[0:1], s33, v1
	v_add_u32_e32 v32, 1, v1
	s_nop 0
	v_cndmask_b32_e64 v4, 0, v4, s[0:1]
	v_cmp_gt_i32_e64 s[0:1], s33, v32
	v_add_u32_e32 v32, 2, v1
	s_nop 0
	v_cndmask_b32_e64 v27, 0, v27, s[0:1]
	;; [unrolled: 4-line block ×7, first 2 shown]
	v_cmp_gt_i32_e64 s[0:1], s33, v32
	s_nop 1
	v_cndmask_b32_e64 v3, 0, v3, s[0:1]
.LBB317_226:                            ;   in Loop: Header=BB317_92 Depth=1
	s_or_b64 exec, exec, s[24:25]
	v_lshlrev_b32_e32 v4, 16, v4
	v_mul_f32_e32 v6, v6, v4
	v_and_b32_e32 v4, 0x7f800000, v6
	v_cmp_ne_u32_e64 s[0:1], s29, v4
                                        ; implicit-def: $vgpr4
	s_and_saveexec_b64 s[2:3], s[0:1]
	s_xor_b64 s[0:1], exec, s[2:3]
; %bb.227:                              ;   in Loop: Header=BB317_92 Depth=1
	v_bfe_u32 v4, v6, 16, 1
	v_add3_u32 v4, v6, v4, s30
                                        ; implicit-def: $vgpr6
; %bb.228:                              ;   in Loop: Header=BB317_92 Depth=1
	s_andn2_saveexec_b64 s[2:3], s[0:1]
; %bb.229:                              ;   in Loop: Header=BB317_92 Depth=1
	v_or_b32_e32 v4, 0x10000, v6
	v_cmp_eq_u32_sdwa s[0:1], v6, v17 src0_sel:WORD_0 src1_sel:DWORD
	s_nop 1
	v_cndmask_b32_e64 v4, v4, v6, s[0:1]
; %bb.230:                              ;   in Loop: Header=BB317_92 Depth=1
	s_or_b64 exec, exec, s[2:3]
	v_lshlrev_b32_e32 v6, 16, v27
	v_mul_f32_e32 v7, v7, v6
	v_and_b32_e32 v6, 0x7f800000, v7
	v_cmp_ne_u32_e64 s[0:1], s29, v6
                                        ; implicit-def: $vgpr6
	s_and_saveexec_b64 s[2:3], s[0:1]
	s_xor_b64 s[0:1], exec, s[2:3]
; %bb.231:                              ;   in Loop: Header=BB317_92 Depth=1
	v_bfe_u32 v6, v7, 16, 1
	v_add3_u32 v6, v7, v6, s30
                                        ; implicit-def: $vgpr7
; %bb.232:                              ;   in Loop: Header=BB317_92 Depth=1
	s_andn2_saveexec_b64 s[2:3], s[0:1]
; %bb.233:                              ;   in Loop: Header=BB317_92 Depth=1
	v_or_b32_e32 v6, 0x10000, v7
	v_cmp_eq_u32_sdwa s[0:1], v7, v17 src0_sel:WORD_0 src1_sel:DWORD
	s_nop 1
	v_cndmask_b32_e64 v6, v6, v7, s[0:1]
; %bb.234:                              ;   in Loop: Header=BB317_92 Depth=1
	s_or_b64 exec, exec, s[2:3]
	v_lshlrev_b32_e32 v7, 16, v29
	v_mul_f32_e32 v8, v8, v7
	v_and_b32_e32 v7, 0x7f800000, v8
	v_cmp_ne_u32_e64 s[0:1], s29, v7
                                        ; implicit-def: $vgpr7
	s_and_saveexec_b64 s[2:3], s[0:1]
	s_xor_b64 s[0:1], exec, s[2:3]
; %bb.235:                              ;   in Loop: Header=BB317_92 Depth=1
	v_bfe_u32 v7, v8, 16, 1
	v_add3_u32 v7, v8, v7, s30
                                        ; implicit-def: $vgpr8
; %bb.236:                              ;   in Loop: Header=BB317_92 Depth=1
	s_andn2_saveexec_b64 s[2:3], s[0:1]
; %bb.237:                              ;   in Loop: Header=BB317_92 Depth=1
	v_or_b32_e32 v7, 0x10000, v8
	v_cmp_eq_u32_sdwa s[0:1], v8, v17 src0_sel:WORD_0 src1_sel:DWORD
	s_nop 1
	v_cndmask_b32_e64 v7, v7, v8, s[0:1]
; %bb.238:                              ;   in Loop: Header=BB317_92 Depth=1
	s_or_b64 exec, exec, s[2:3]
	v_lshlrev_b32_e32 v8, 16, v31
	v_mul_f32_e32 v9, v9, v8
	v_and_b32_e32 v8, 0x7f800000, v9
	v_cmp_ne_u32_e64 s[0:1], s29, v8
                                        ; implicit-def: $vgpr8
	s_and_saveexec_b64 s[2:3], s[0:1]
	s_xor_b64 s[0:1], exec, s[2:3]
; %bb.239:                              ;   in Loop: Header=BB317_92 Depth=1
	v_bfe_u32 v8, v9, 16, 1
	v_add3_u32 v8, v9, v8, s30
                                        ; implicit-def: $vgpr9
; %bb.240:                              ;   in Loop: Header=BB317_92 Depth=1
	s_andn2_saveexec_b64 s[2:3], s[0:1]
; %bb.241:                              ;   in Loop: Header=BB317_92 Depth=1
	v_or_b32_e32 v8, 0x10000, v9
	v_cmp_eq_u32_sdwa s[0:1], v9, v17 src0_sel:WORD_0 src1_sel:DWORD
	s_nop 1
	v_cndmask_b32_e64 v8, v8, v9, s[0:1]
; %bb.242:                              ;   in Loop: Header=BB317_92 Depth=1
	s_or_b64 exec, exec, s[2:3]
	v_lshlrev_b32_e32 v9, 16, v30
	v_mul_f32_e32 v23, v23, v9
	v_and_b32_e32 v9, 0x7f800000, v23
	v_cmp_ne_u32_e64 s[0:1], s29, v9
                                        ; implicit-def: $vgpr9
	s_and_saveexec_b64 s[2:3], s[0:1]
	s_xor_b64 s[0:1], exec, s[2:3]
; %bb.243:                              ;   in Loop: Header=BB317_92 Depth=1
	v_bfe_u32 v9, v23, 16, 1
	v_add3_u32 v9, v23, v9, s30
                                        ; implicit-def: $vgpr23
; %bb.244:                              ;   in Loop: Header=BB317_92 Depth=1
	s_andn2_saveexec_b64 s[2:3], s[0:1]
; %bb.245:                              ;   in Loop: Header=BB317_92 Depth=1
	v_or_b32_e32 v9, 0x10000, v23
	v_cmp_eq_u32_sdwa s[0:1], v23, v17 src0_sel:WORD_0 src1_sel:DWORD
	s_nop 1
	v_cndmask_b32_e64 v9, v9, v23, s[0:1]
; %bb.246:                              ;   in Loop: Header=BB317_92 Depth=1
	s_or_b64 exec, exec, s[2:3]
	v_lshlrev_b32_e32 v23, 16, v28
	v_mul_f32_e32 v24, v24, v23
	v_and_b32_e32 v23, 0x7f800000, v24
	v_cmp_ne_u32_e64 s[0:1], s29, v23
                                        ; implicit-def: $vgpr23
	s_and_saveexec_b64 s[2:3], s[0:1]
	s_xor_b64 s[0:1], exec, s[2:3]
; %bb.247:                              ;   in Loop: Header=BB317_92 Depth=1
	v_bfe_u32 v23, v24, 16, 1
	v_add3_u32 v23, v24, v23, s30
                                        ; implicit-def: $vgpr24
; %bb.248:                              ;   in Loop: Header=BB317_92 Depth=1
	s_andn2_saveexec_b64 s[2:3], s[0:1]
; %bb.249:                              ;   in Loop: Header=BB317_92 Depth=1
	v_or_b32_e32 v23, 0x10000, v24
	v_cmp_eq_u32_sdwa s[0:1], v24, v17 src0_sel:WORD_0 src1_sel:DWORD
	s_nop 1
	v_cndmask_b32_e64 v23, v23, v24, s[0:1]
; %bb.250:                              ;   in Loop: Header=BB317_92 Depth=1
	s_or_b64 exec, exec, s[2:3]
	v_lshlrev_b32_e32 v5, 16, v5
	v_mul_f32_e32 v24, v25, v5
	v_and_b32_e32 v5, 0x7f800000, v24
	v_cmp_ne_u32_e64 s[0:1], s29, v5
                                        ; implicit-def: $vgpr5
	s_and_saveexec_b64 s[2:3], s[0:1]
	s_xor_b64 s[0:1], exec, s[2:3]
; %bb.251:                              ;   in Loop: Header=BB317_92 Depth=1
	v_bfe_u32 v5, v24, 16, 1
	v_add3_u32 v5, v24, v5, s30
                                        ; implicit-def: $vgpr24
; %bb.252:                              ;   in Loop: Header=BB317_92 Depth=1
	s_andn2_saveexec_b64 s[2:3], s[0:1]
; %bb.253:                              ;   in Loop: Header=BB317_92 Depth=1
	v_or_b32_e32 v5, 0x10000, v24
	v_cmp_eq_u32_sdwa s[0:1], v24, v17 src0_sel:WORD_0 src1_sel:DWORD
	s_nop 1
	v_cndmask_b32_e64 v5, v5, v24, s[0:1]
; %bb.254:                              ;   in Loop: Header=BB317_92 Depth=1
	s_or_b64 exec, exec, s[2:3]
	v_lshlrev_b32_e32 v3, 16, v3
	v_mul_f32_e32 v3, v26, v3
	v_and_b32_e32 v24, 0x7f800000, v3
	v_cmp_ne_u32_e64 s[0:1], s29, v24
                                        ; implicit-def: $vgpr24
	s_and_saveexec_b64 s[2:3], s[0:1]
	s_xor_b64 s[0:1], exec, s[2:3]
; %bb.255:                              ;   in Loop: Header=BB317_92 Depth=1
	v_bfe_u32 v24, v3, 16, 1
	v_add3_u32 v24, v3, v24, s30
                                        ; implicit-def: $vgpr3
; %bb.256:                              ;   in Loop: Header=BB317_92 Depth=1
	s_andn2_saveexec_b64 s[2:3], s[0:1]
	s_cbranch_execz .LBB317_89
; %bb.257:                              ;   in Loop: Header=BB317_92 Depth=1
	v_or_b32_e32 v24, 0x10000, v3
	v_cmp_eq_u32_sdwa s[0:1], v3, v17 src0_sel:WORD_0 src1_sel:DWORD
	s_nop 1
	v_cndmask_b32_e64 v24, v24, v3, s[0:1]
	s_branch .LBB317_89
.LBB317_258:
	s_or_b64 exec, exec, s[16:17]
.LBB317_259:
	s_or_b64 exec, exec, s[12:13]
	v_and_b32_e32 v1, 0x3c0, v0
	v_cmp_eq_u32_e32 vcc, 64, v1
	s_barrier
	s_and_saveexec_b64 s[0:1], vcc
	s_cbranch_execz .LBB317_262
; %bb.260:
	v_mov_b32_e32 v1, 0xb0
	v_lshl_add_u32 v2, v11, 2, v1
	ds_write_b32 v2, v14
	s_and_b64 exec, exec, s[10:11]
	s_cbranch_execz .LBB317_262
; %bb.261:
	v_lshl_add_u32 v1, v0, 2, v1
	ds_write_b32 v1, v15
.LBB317_262:
	s_or_b64 exec, exec, s[0:1]
	v_cmp_gt_u32_e32 vcc, 64, v0
	v_or_b32_e32 v1, 64, v0
	s_waitcnt lgkmcnt(0)
	s_barrier
	s_and_saveexec_b64 s[2:3], vcc
	s_cbranch_execz .LBB317_266
; %bb.263:
	v_mov_b32_e32 v2, 0xb0
	v_lshl_add_u32 v2, v0, 2, v2
	ds_read_b32 v0, v2
	s_movk_i32 s0, 0x50
	v_cmp_gt_u32_e64 s[0:1], s0, v1
	s_and_saveexec_b64 s[6:7], s[0:1]
	s_cbranch_execz .LBB317_265
; %bb.264:
	ds_read_b32 v2, v2 offset:256
	s_waitcnt lgkmcnt(0)
	v_add_f32_e32 v15, v15, v2
.LBB317_265:
	s_or_b64 exec, exec, s[6:7]
	s_waitcnt lgkmcnt(0)
	v_add_f32_e32 v14, v14, v0
.LBB317_266:
	s_or_b64 exec, exec, s[2:3]
	s_barrier
	s_and_saveexec_b64 s[0:1], vcc
	s_cbranch_execz .LBB317_277
; %bb.267:
	s_mov_b32 s0, 0x7f800000
	v_and_b32_e32 v0, 0x7f800000, v14
	v_cmp_ne_u32_e32 vcc, s0, v0
                                        ; implicit-def: $vgpr0
	s_and_saveexec_b64 s[0:1], vcc
	s_xor_b64 s[0:1], exec, s[0:1]
; %bb.268:
	v_bfe_u32 v0, v14, 16, 1
	s_movk_i32 s2, 0x7fff
	v_add3_u32 v0, v14, v0, s2
; %bb.269:
	s_andn2_saveexec_b64 s[0:1], s[0:1]
; %bb.270:
	v_mov_b32_e32 v0, 0
	v_or_b32_e32 v2, 0x10000, v14
	v_cmp_eq_u32_sdwa vcc, v14, v0 src0_sel:WORD_0 src1_sel:DWORD
	s_nop 1
	v_cndmask_b32_e32 v0, v2, v14, vcc
; %bb.271:
	s_or_b64 exec, exec, s[0:1]
	s_mul_i32 s0, s8, 0x50
	s_ashr_i32 s1, s0, 31
	s_lshl_b64 s[0:1], s[0:1], 1
	s_add_u32 s3, s34, s0
	s_mul_i32 s0, s15, s14
	s_addc_u32 s5, s35, s1
	s_ashr_i32 s1, s0, 31
	s_lshl_b64 s[0:1], s[0:1], 1
	s_add_u32 s3, s3, s0
	s_mul_i32 s0, s4, 0x50
	s_addc_u32 s5, s5, s1
	s_ashr_i32 s1, s0, 31
	s_lshl_b64 s[0:1], s[0:1], 1
	s_movk_i32 s2, 0x50
	s_add_u32 s0, s3, s0
	s_addc_u32 s1, s5, s1
	v_cmp_gt_u32_e32 vcc, s2, v1
	global_store_short_d16_hi v10, v0, s[0:1]
	s_and_b64 exec, exec, vcc
	s_cbranch_execz .LBB317_277
; %bb.272:
	s_mov_b32 s2, 0x7f800000
	v_and_b32_e32 v0, 0x7f800000, v15
	v_mov_b32_e32 v11, 0
	v_cmp_ne_u32_e32 vcc, s2, v0
                                        ; implicit-def: $vgpr2
	s_and_saveexec_b64 s[2:3], vcc
	s_xor_b64 s[2:3], exec, s[2:3]
; %bb.273:
	v_bfe_u32 v0, v15, 16, 1
	s_movk_i32 s4, 0x7fff
	v_add3_u32 v2, v15, v0, s4
                                        ; implicit-def: $vgpr15
; %bb.274:
	s_or_saveexec_b64 s[2:3], s[2:3]
	v_lshl_add_u64 v[0:1], s[0:1], 0, v[10:11]
	s_xor_b64 exec, exec, s[2:3]
; %bb.275:
	v_mov_b32_e32 v2, 0
	v_or_b32_e32 v3, 0x10000, v15
	v_cmp_eq_u32_sdwa vcc, v15, v2 src0_sel:WORD_0 src1_sel:DWORD
	s_nop 1
	v_cndmask_b32_e32 v2, v3, v15, vcc
; %bb.276:
	s_or_b64 exec, exec, s[2:3]
	global_store_short_d16_hi v[0:1], v2, off offset:128
.LBB317_277:
	s_endpgm
	.section	.rodata,"a",@progbits
	.p2align	6, 0x0
	.amdhsa_kernel _ZN4vllm25paged_attention_v2_kernelI14__hip_bfloat16hLi80ELi8ELi128ELNS_18Fp8KVCacheDataTypeE1ELb1ELi512EEEvPfS3_PT_PKS4_PKT0_SA_ifPKiSC_iPKfiiiSE_SE_iiiii
		.amdhsa_group_segment_fixed_size 176
		.amdhsa_private_segment_fixed_size 0
		.amdhsa_kernarg_size 400
		.amdhsa_user_sgpr_count 2
		.amdhsa_user_sgpr_dispatch_ptr 0
		.amdhsa_user_sgpr_queue_ptr 0
		.amdhsa_user_sgpr_kernarg_segment_ptr 1
		.amdhsa_user_sgpr_dispatch_id 0
		.amdhsa_user_sgpr_kernarg_preload_length 0
		.amdhsa_user_sgpr_kernarg_preload_offset 0
		.amdhsa_user_sgpr_private_segment_size 0
		.amdhsa_uses_dynamic_stack 0
		.amdhsa_enable_private_segment 0
		.amdhsa_system_sgpr_workgroup_id_x 1
		.amdhsa_system_sgpr_workgroup_id_y 1
		.amdhsa_system_sgpr_workgroup_id_z 1
		.amdhsa_system_sgpr_workgroup_info 0
		.amdhsa_system_vgpr_workitem_id 0
		.amdhsa_next_free_vgpr 45
		.amdhsa_next_free_sgpr 61
		.amdhsa_accum_offset 48
		.amdhsa_reserve_vcc 1
		.amdhsa_float_round_mode_32 0
		.amdhsa_float_round_mode_16_64 0
		.amdhsa_float_denorm_mode_32 3
		.amdhsa_float_denorm_mode_16_64 3
		.amdhsa_dx10_clamp 1
		.amdhsa_ieee_mode 1
		.amdhsa_fp16_overflow 0
		.amdhsa_tg_split 0
		.amdhsa_exception_fp_ieee_invalid_op 0
		.amdhsa_exception_fp_denorm_src 0
		.amdhsa_exception_fp_ieee_div_zero 0
		.amdhsa_exception_fp_ieee_overflow 0
		.amdhsa_exception_fp_ieee_underflow 0
		.amdhsa_exception_fp_ieee_inexact 0
		.amdhsa_exception_int_div_zero 0
	.end_amdhsa_kernel
	.section	.text._ZN4vllm25paged_attention_v2_kernelI14__hip_bfloat16hLi80ELi8ELi128ELNS_18Fp8KVCacheDataTypeE1ELb1ELi512EEEvPfS3_PT_PKS4_PKT0_SA_ifPKiSC_iPKfiiiSE_SE_iiiii,"axG",@progbits,_ZN4vllm25paged_attention_v2_kernelI14__hip_bfloat16hLi80ELi8ELi128ELNS_18Fp8KVCacheDataTypeE1ELb1ELi512EEEvPfS3_PT_PKS4_PKT0_SA_ifPKiSC_iPKfiiiSE_SE_iiiii,comdat
.Lfunc_end317:
	.size	_ZN4vllm25paged_attention_v2_kernelI14__hip_bfloat16hLi80ELi8ELi128ELNS_18Fp8KVCacheDataTypeE1ELb1ELi512EEEvPfS3_PT_PKS4_PKT0_SA_ifPKiSC_iPKfiiiSE_SE_iiiii, .Lfunc_end317-_ZN4vllm25paged_attention_v2_kernelI14__hip_bfloat16hLi80ELi8ELi128ELNS_18Fp8KVCacheDataTypeE1ELb1ELi512EEEvPfS3_PT_PKS4_PKT0_SA_ifPKiSC_iPKfiiiSE_SE_iiiii
                                        ; -- End function
	.section	.AMDGPU.csdata,"",@progbits
; Kernel info:
; codeLenInByte = 9724
; NumSgprs: 67
; NumVgprs: 45
; NumAgprs: 0
; TotalNumVgprs: 45
; ScratchSize: 0
; MemoryBound: 0
; FloatMode: 240
; IeeeMode: 1
; LDSByteSize: 176 bytes/workgroup (compile time only)
; SGPRBlocks: 8
; VGPRBlocks: 5
; NumSGPRsForWavesPerEU: 67
; NumVGPRsForWavesPerEU: 45
; AccumOffset: 48
; Occupancy: 8
; WaveLimiterHint : 1
; COMPUTE_PGM_RSRC2:SCRATCH_EN: 0
; COMPUTE_PGM_RSRC2:USER_SGPR: 2
; COMPUTE_PGM_RSRC2:TRAP_HANDLER: 0
; COMPUTE_PGM_RSRC2:TGID_X_EN: 1
; COMPUTE_PGM_RSRC2:TGID_Y_EN: 1
; COMPUTE_PGM_RSRC2:TGID_Z_EN: 1
; COMPUTE_PGM_RSRC2:TIDIG_COMP_CNT: 0
; COMPUTE_PGM_RSRC3_GFX90A:ACCUM_OFFSET: 11
; COMPUTE_PGM_RSRC3_GFX90A:TG_SPLIT: 0
	.section	.text._ZN4vllm25paged_attention_v2_kernelI14__hip_bfloat16hLi96ELi8ELi128ELNS_18Fp8KVCacheDataTypeE1ELb1ELi512EEEvPfS3_PT_PKS4_PKT0_SA_ifPKiSC_iPKfiiiSE_SE_iiiii,"axG",@progbits,_ZN4vllm25paged_attention_v2_kernelI14__hip_bfloat16hLi96ELi8ELi128ELNS_18Fp8KVCacheDataTypeE1ELb1ELi512EEEvPfS3_PT_PKS4_PKT0_SA_ifPKiSC_iPKfiiiSE_SE_iiiii,comdat
	.protected	_ZN4vllm25paged_attention_v2_kernelI14__hip_bfloat16hLi96ELi8ELi128ELNS_18Fp8KVCacheDataTypeE1ELb1ELi512EEEvPfS3_PT_PKS4_PKT0_SA_ifPKiSC_iPKfiiiSE_SE_iiiii ; -- Begin function _ZN4vllm25paged_attention_v2_kernelI14__hip_bfloat16hLi96ELi8ELi128ELNS_18Fp8KVCacheDataTypeE1ELb1ELi512EEEvPfS3_PT_PKS4_PKT0_SA_ifPKiSC_iPKfiiiSE_SE_iiiii
	.globl	_ZN4vllm25paged_attention_v2_kernelI14__hip_bfloat16hLi96ELi8ELi128ELNS_18Fp8KVCacheDataTypeE1ELb1ELi512EEEvPfS3_PT_PKS4_PKT0_SA_ifPKiSC_iPKfiiiSE_SE_iiiii
	.p2align	8
	.type	_ZN4vllm25paged_attention_v2_kernelI14__hip_bfloat16hLi96ELi8ELi128ELNS_18Fp8KVCacheDataTypeE1ELb1ELi512EEEvPfS3_PT_PKS4_PKT0_SA_ifPKiSC_iPKfiiiSE_SE_iiiii,@function
_ZN4vllm25paged_attention_v2_kernelI14__hip_bfloat16hLi96ELi8ELi128ELNS_18Fp8KVCacheDataTypeE1ELb1ELi512EEEvPfS3_PT_PKS4_PKT0_SA_ifPKiSC_iPKfiiiSE_SE_iiiii: ; @_ZN4vllm25paged_attention_v2_kernelI14__hip_bfloat16hLi96ELi8ELi128ELNS_18Fp8KVCacheDataTypeE1ELb1ELi512EEEvPfS3_PT_PKS4_PKT0_SA_ifPKiSC_iPKfiiiSE_SE_iiiii
; %bb.0:
	s_load_dwordx2 s[6:7], s[0:1], 0x40
	s_mov_b32 s36, s3
	s_ashr_i32 s37, s3, 31
	s_lshl_b64 s[8:9], s[36:37], 2
	s_waitcnt lgkmcnt(0)
	s_add_u32 s6, s6, s8
	s_addc_u32 s7, s7, s9
	s_load_dword s33, s[6:7], 0x0
	s_lshl_b32 s52, s4, 9
	s_waitcnt lgkmcnt(0)
	s_cmp_ge_i32 s52, s33
	s_cbranch_scc1 .LBB318_285
; %bb.1:
	s_load_dword s5, s[0:1], 0x90
	s_load_dwordx2 s[44:45], s[0:1], 0x30
	s_mov_b32 s53, 0
	s_waitcnt lgkmcnt(0)
	s_abs_i32 s7, s5
	s_abs_i32 s3, s44
	v_cvt_f32_u32_e32 v1, s3
	s_sub_i32 s8, 0, s3
	s_xor_b32 s6, s5, s44
	s_ashr_i32 s6, s6, 31
	v_rcp_iflag_f32_e32 v1, v1
	s_nop 0
	v_mul_f32_e32 v1, 0x4f7ffffe, v1
	v_cvt_u32_f32_e32 v1, v1
	s_nop 0
	v_readfirstlane_b32 s9, v1
	s_mul_i32 s8, s8, s9
	s_mul_hi_u32 s8, s9, s8
	s_add_i32 s9, s9, s8
	s_mul_hi_u32 s8, s7, s9
	s_mul_i32 s9, s8, s3
	s_sub_i32 s7, s7, s9
	s_add_i32 s10, s8, 1
	s_sub_i32 s9, s7, s3
	s_cmp_ge_u32 s7, s3
	s_cselect_b32 s8, s10, s8
	s_cselect_b32 s7, s9, s7
	s_add_i32 s9, s8, 1
	s_cmp_ge_u32 s7, s3
	s_cselect_b32 s3, s9, s8
	s_xor_b32 s3, s3, s6
	s_sub_i32 s10, s3, s6
	s_abs_i32 s8, s10
	v_cvt_f32_u32_e32 v1, s8
	s_load_dwordx2 s[6:7], s[0:1], 0x50
	s_sub_i32 s3, 0, s8
	s_abs_i32 s9, s2
	v_rcp_iflag_f32_e32 v1, v1
	s_nop 0
	v_mul_f32_e32 v1, 0x4f7ffffe, v1
	v_cvt_u32_f32_e32 v1, v1
	s_nop 0
	v_readfirstlane_b32 s11, v1
	s_mul_i32 s3, s3, s11
	s_mul_hi_u32 s3, s11, s3
	s_add_i32 s11, s11, s3
	s_waitcnt lgkmcnt(0)
	s_cmp_eq_u64 s[6:7], 0
	s_mul_hi_u32 s12, s9, s11
	s_cbranch_scc1 .LBB318_3
; %bb.2:
	s_ashr_i32 s3, s2, 31
	s_lshl_b64 s[14:15], s[2:3], 2
	s_add_u32 s6, s6, s14
	s_addc_u32 s7, s7, s15
	s_load_dword s53, s[6:7], 0x0
.LBB318_3:
	s_load_dwordx4 s[20:23], s[0:1], 0x58
	s_movk_i32 s6, 0x60
	s_ashr_i32 s3, s2, 31
	s_ashr_i32 s13, s10, 31
	v_and_b32_e32 v6, 7, v0
	s_mul_i32 s14, s2, 0x60
	v_cmp_gt_u32_e64 s[10:11], s6, v0
	v_lshlrev_b32_e32 v10, 1, v0
	s_and_saveexec_b64 s[6:7], s[10:11]
	s_cbranch_execz .LBB318_5
; %bb.4:
	s_load_dwordx2 s[16:17], s[0:1], 0x18
	s_waitcnt lgkmcnt(0)
	s_mul_i32 s18, s36, s20
	s_ashr_i32 s19, s18, 31
	s_lshl_b64 s[18:19], s[18:19], 1
	v_lshrrev_b32_e32 v2, 2, v0
	s_add_u32 s18, s16, s18
	s_addc_u32 s19, s17, s19
	s_ashr_i32 s15, s14, 31
	s_lshl_b64 s[16:17], s[14:15], 1
	s_add_u32 s16, s18, s16
	s_addc_u32 s17, s19, s17
	global_load_ushort v1, v10, s[16:17]
	v_and_b32_e32 v2, 0xfe, v2
	v_mad_u32_u24 v2, v6, 24, v2
	s_waitcnt vmcnt(0)
	ds_write_b16 v2, v1
.LBB318_5:
	s_or_b64 exec, exec, s[6:7]
	s_mul_i32 s6, s12, s8
	s_sub_i32 s6, s9, s6
	s_xor_b32 s3, s3, s13
	s_add_i32 s7, s12, 1
	s_sub_i32 s9, s6, s8
	s_load_dwordx4 s[24:27], s[0:1], 0x78
	s_cmp_ge_u32 s6, s8
	s_cselect_b32 s7, s7, s12
	s_load_dword s12, s[0:1], 0x88
	s_cselect_b32 s6, s9, s6
	s_add_i32 s9, s7, 1
	s_cmp_ge_u32 s6, s8
	s_cselect_b32 s6, s9, s7
	s_waitcnt lgkmcnt(0)
	s_abs_i32 s37, s27
	v_cvt_f32_u32_e32 v1, s37
	s_xor_b32 s6, s6, s3
	s_sub_i32 s8, s6, s3
	s_sub_i32 s6, 0, s37
	v_rcp_iflag_f32_e32 v1, v1
	s_add_i32 s13, s33, -1
	s_abs_i32 s3, s13
	v_mul_f32_e32 v1, 0x4f7ffffe, v1
	v_cvt_u32_f32_e32 v1, v1
	s_barrier
	v_readfirstlane_b32 s50, v1
	s_mul_i32 s6, s6, s50
	s_mul_hi_u32 s6, s50, s6
	s_add_i32 s50, s50, s6
	s_cmp_lt_i32 s12, 0
	s_mul_hi_u32 s9, s3, s50
	s_cbranch_scc0 .LBB318_7
; %bb.6:
	s_mul_i32 s6, s24, s44
	s_add_i32 s6, s8, s6
	s_mul_i32 s6, s6, s12
	s_sub_i32 s44, 1, s6
	s_mov_b64 s[6:7], 0
	s_branch .LBB318_8
.LBB318_7:
	s_mov_b64 s[6:7], -1
                                        ; implicit-def: $sgpr44
.LBB318_8:
	s_load_dwordx2 s[38:39], s[0:1], 0x38
	s_ashr_i32 s13, s13, 31
	s_andn2_b64 vcc, exec, s[6:7]
	s_ashr_i32 s27, s27, 31
	s_cbranch_vccnz .LBB318_10
; %bb.9:
	s_mul_i32 s6, s5, s24
	s_add_i32 s6, s6, s2
	s_mul_i32 s6, s6, s12
	s_add_i32 s44, s6, 1
.LBB318_10:
	s_load_dwordx2 s[42:43], s[0:1], 0x28
	s_load_dword s6, s[0:1], 0x48
	s_load_dwordx4 s[28:31], s[0:1], 0x0
	s_load_dwordx2 s[34:35], s[0:1], 0x10
	s_load_dword s15, s[0:1], 0x98
	s_load_dwordx4 s[16:19], s[0:1], 0x68
	s_mul_i32 s7, s9, s37
	s_waitcnt lgkmcnt(0)
	s_mul_i32 s40, s36, s6
	s_sub_i32 s3, s3, s7
	s_ashr_i32 s41, s40, 31
	s_xor_b32 s6, s13, s27
	s_add_i32 s7, s9, 1
	s_sub_i32 s12, s3, s37
	s_cmp_ge_u32 s3, s37
	s_cselect_b32 s7, s7, s9
	s_cselect_b32 s3, s12, s3
	s_add_i32 s9, s7, 1
	s_cmp_ge_u32 s3, s37
	s_cselect_b32 s3, s9, s7
	s_xor_b32 s3, s3, s6
	s_sub_i32 s20, s3, s6
	s_add_i32 s3, s33, 7
	s_ashr_i32 s6, s3, 31
	s_lshr_b32 s6, s6, 29
	s_add_i32 s3, s3, s6
	s_lshl_b32 s54, s4, 6
	s_ashr_i32 s3, s3, 3
	s_add_i32 s6, s54, 64
	v_lshrrev_b32_e32 v23, 6, v0
	s_min_i32 s51, s6, s3
	v_or_b32_e32 v12, s54, v23
	v_cmp_gt_i32_e64 s[6:7], s51, v12
	v_mov_b32_e32 v22, 0xff7fffff
	s_mul_i32 s24, s8, s22
	v_ashrrev_i32_e32 v13, 31, v12
	v_lshl_add_u32 v1, v23, 3, s52
	v_mbcnt_lo_u32_b32 v11, -1, 0
	s_and_saveexec_b64 s[22:23], s[6:7]
	s_cbranch_execz .LBB318_68
; %bb.11:
	s_load_dwordx2 s[0:1], s[0:1], 0x20
	s_sub_i32 s55, s20, s25
	s_ashr_i32 s8, s24, 31
	v_bfe_u32 v20, v0, 3, 3
	v_mov_b32_e32 v7, 0
	s_waitcnt lgkmcnt(0)
	s_add_u32 s0, s0, s24
	s_addc_u32 s1, s1, s8
	s_abs_i32 s56, s26
	v_cvt_f32_u32_e32 v2, s56
	v_cmp_eq_u32_e32 vcc, 0, v6
	s_mov_b32 s57, s21
	v_mul_u32_u24_e32 v21, 24, v6
	v_rcp_iflag_f32_e32 v3, v2
	v_lshlrev_b32_e32 v2, 4, v20
	v_cmp_neq_f32_e64 s[8:9], s53, 0
	v_lshl_add_u32 v25, v23, 3, s52
	v_mul_f32_e32 v3, 0x4f7ffffe, v3
	v_cvt_u32_f32_e32 v4, v3
	v_mov_b32_e32 v3, v7
	v_lshl_add_u64 v[8:9], s[0:1], 0, v[2:3]
	s_sub_i32 s0, 0, s56
	v_mul_lo_u32 v2, s0, v4
	v_mul_hi_u32 v2, v4, v2
	v_add_u32_e32 v24, v4, v2
	s_lshl_b64 s[0:1], s[40:41], 2
	v_lshlrev_b32_e32 v2, 2, v20
	s_add_u32 s0, s38, s0
	v_lshl_or_b32 v2, v23, 5, v2
	s_addc_u32 s1, s39, s1
	v_add_u32_e32 v26, 0xd0, v2
	v_subrev_u32_e32 v2, s33, v20
	v_lshl_add_u64 v[14:15], v[12:13], 2, s[0:1]
	v_add_u32_e32 v27, 1, v2
	s_mov_b64 s[46:47], 0
	v_mov_b32_e32 v28, 0xff7fffff
	s_mov_b32 s58, 0x7f800000
	s_movk_i32 s59, 0x7fff
	v_mbcnt_hi_u32_b32 v29, -1, v11
	v_mov_b32_e32 v22, 0xff7fffff
	v_mov_b32_e32 v30, v12
	s_branch .LBB318_14
.LBB318_12:                             ;   in Loop: Header=BB318_14 Depth=1
	s_or_b64 exec, exec, s[48:49]
.LBB318_13:                             ;   in Loop: Header=BB318_14 Depth=1
	s_or_b64 exec, exec, s[12:13]
	v_add_u32_e32 v30, 2, v30
	v_cmp_le_i32_e64 s[0:1], s51, v30
	v_lshl_add_u64 v[14:15], v[14:15], 0, 8
	v_add_u32_e32 v25, 16, v25
	s_or_b64 s[46:47], s[0:1], s[46:47]
	v_add_u32_e32 v26, 64, v26
	s_andn2_b64 exec, exec, s[46:47]
	s_cbranch_execz .LBB318_67
.LBB318_14:                             ; =>This Inner Loop Header: Depth=1
	s_waitcnt lgkmcnt(0)
	v_sub_u32_e32 v3, 0, v25
	v_max_i32_e32 v3, v25, v3
	v_mul_hi_u32 v4, v3, s50
	v_mul_lo_u32 v5, v4, s37
	v_sub_u32_e32 v3, v3, v5
	v_add_u32_e32 v5, 1, v4
	v_cmp_le_u32_e64 s[0:1], s37, v3
	v_ashrrev_i32_e32 v2, 31, v25
	v_xor_b32_e32 v2, s27, v2
	v_cndmask_b32_e64 v4, v4, v5, s[0:1]
	v_subrev_u32_e32 v5, s37, v3
	v_cndmask_b32_e64 v3, v3, v5, s[0:1]
	v_add_u32_e32 v5, 1, v4
	v_cmp_le_u32_e64 s[0:1], s37, v3
	s_nop 1
	v_cndmask_b32_e64 v3, v4, v5, s[0:1]
	v_xor_b32_e32 v3, v3, v2
	v_sub_u32_e32 v2, v3, v2
	v_add_u32_e32 v3, s44, v2
	v_sub_u32_e32 v5, 0, v3
	v_ashrrev_i32_e32 v4, 31, v3
	v_max_i32_e32 v3, v3, v5
	v_mul_hi_u32 v5, v3, v24
	v_mul_lo_u32 v5, v5, s56
	v_sub_u32_e32 v3, v3, v5
	v_subrev_u32_e32 v5, s56, v3
	v_cmp_le_u32_e64 s[0:1], s56, v3
	v_cmp_ge_i32_e64 s[12:13], s55, v2
	s_nop 0
	v_cndmask_b32_e64 v3, v3, v5, s[0:1]
	v_subrev_u32_e32 v5, s56, v3
	v_cmp_le_u32_e64 s[0:1], s56, v3
	s_nop 1
	v_cndmask_b32_e64 v3, v3, v5, s[0:1]
	v_xor_b32_e32 v3, v3, v4
	v_sub_u32_e32 v3, v3, v4
	v_cmp_ne_u32_e64 s[0:1], 0, v3
	s_and_b64 s[0:1], s[0:1], s[12:13]
	s_and_b64 s[48:49], vcc, s[0:1]
	s_and_saveexec_b64 s[12:13], s[48:49]
	s_cbranch_execz .LBB318_16
; %bb.15:                               ;   in Loop: Header=BB318_14 Depth=1
	ds_write_b32 v26, v28
.LBB318_16:                             ;   in Loop: Header=BB318_14 Depth=1
	s_or_b64 exec, exec, s[12:13]
	s_xor_b64 s[0:1], s[0:1], -1
	s_and_saveexec_b64 s[12:13], s[0:1]
	s_cbranch_execz .LBB318_13
; %bb.17:                               ;   in Loop: Header=BB318_14 Depth=1
	global_load_dword v2, v[14:15], off
	s_load_dword s60, s[16:17], 0x0
	s_waitcnt vmcnt(0)
	v_mad_i64_i32 v[2:3], s[0:1], v2, s57, v[8:9]
	v_lshl_add_u64 v[18:19], v[2:3], 0, v[6:7]
	global_load_ubyte v2, v[18:19], off
	s_waitcnt vmcnt(0)
	v_cvt_f32_fp8_sdwa v31, v2 src0_sel:BYTE_0
	ds_read2_b64 v[2:5], v21 offset1:1
	ds_read_b64 v[16:17], v21 offset:16
	s_waitcnt lgkmcnt(0)
	v_mul_f32_e32 v32, s60, v31
	v_and_b32_e32 v31, 0x7f800000, v32
	v_cmp_ne_u32_e64 s[0:1], s58, v31
                                        ; implicit-def: $vgpr31
	s_and_saveexec_b64 s[48:49], s[0:1]
	s_xor_b64 s[0:1], exec, s[48:49]
; %bb.18:                               ;   in Loop: Header=BB318_14 Depth=1
	v_bfe_u32 v31, v32, 16, 1
	v_add3_u32 v31, v32, v31, s59
                                        ; implicit-def: $vgpr32
; %bb.19:                               ;   in Loop: Header=BB318_14 Depth=1
	s_andn2_saveexec_b64 s[48:49], s[0:1]
; %bb.20:                               ;   in Loop: Header=BB318_14 Depth=1
	v_or_b32_e32 v31, 0x10000, v32
	v_cmp_eq_u32_sdwa s[0:1], v32, v7 src0_sel:WORD_0 src1_sel:DWORD
	s_nop 1
	v_cndmask_b32_e64 v31, v31, v32, s[0:1]
; %bb.21:                               ;   in Loop: Header=BB318_14 Depth=1
	s_or_b64 exec, exec, s[48:49]
	global_load_ubyte v32, v[18:19], off offset:8
	s_waitcnt vmcnt(0)
	v_cvt_f32_fp8_sdwa v32, v32 src0_sel:BYTE_0
	s_nop 0
	v_mul_f32_e32 v33, s60, v32
	v_and_b32_e32 v32, 0x7f800000, v33
	v_cmp_ne_u32_e64 s[0:1], s58, v32
                                        ; implicit-def: $vgpr32
	s_and_saveexec_b64 s[48:49], s[0:1]
	s_xor_b64 s[0:1], exec, s[48:49]
; %bb.22:                               ;   in Loop: Header=BB318_14 Depth=1
	v_bfe_u32 v32, v33, 16, 1
	v_add3_u32 v32, v33, v32, s59
                                        ; implicit-def: $vgpr33
; %bb.23:                               ;   in Loop: Header=BB318_14 Depth=1
	s_andn2_saveexec_b64 s[48:49], s[0:1]
; %bb.24:                               ;   in Loop: Header=BB318_14 Depth=1
	v_or_b32_e32 v32, 0x10000, v33
	v_cmp_eq_u32_sdwa s[0:1], v33, v7 src0_sel:WORD_0 src1_sel:DWORD
	s_nop 1
	v_cndmask_b32_e64 v32, v32, v33, s[0:1]
; %bb.25:                               ;   in Loop: Header=BB318_14 Depth=1
	s_or_b64 exec, exec, s[48:49]
	global_load_ubyte v33, v[18:19], off offset:128
	s_waitcnt vmcnt(0)
	v_cvt_f32_fp8_sdwa v33, v33 src0_sel:BYTE_0
	s_nop 0
	v_mul_f32_e32 v34, s60, v33
	v_and_b32_e32 v33, 0x7f800000, v34
	v_cmp_ne_u32_e64 s[0:1], s58, v33
                                        ; implicit-def: $vgpr33
	s_and_saveexec_b64 s[48:49], s[0:1]
	s_xor_b64 s[0:1], exec, s[48:49]
; %bb.26:                               ;   in Loop: Header=BB318_14 Depth=1
	v_bfe_u32 v33, v34, 16, 1
	v_add3_u32 v33, v34, v33, s59
                                        ; implicit-def: $vgpr34
; %bb.27:                               ;   in Loop: Header=BB318_14 Depth=1
	s_andn2_saveexec_b64 s[48:49], s[0:1]
; %bb.28:                               ;   in Loop: Header=BB318_14 Depth=1
	v_or_b32_e32 v33, 0x10000, v34
	v_cmp_eq_u32_sdwa s[0:1], v34, v7 src0_sel:WORD_0 src1_sel:DWORD
	s_nop 1
	v_cndmask_b32_e64 v33, v33, v34, s[0:1]
; %bb.29:                               ;   in Loop: Header=BB318_14 Depth=1
	s_or_b64 exec, exec, s[48:49]
	global_load_ubyte v34, v[18:19], off offset:136
	s_waitcnt vmcnt(0)
	v_cvt_f32_fp8_sdwa v34, v34 src0_sel:BYTE_0
	s_nop 0
	v_mul_f32_e32 v35, s60, v34
	v_and_b32_e32 v34, 0x7f800000, v35
	v_cmp_ne_u32_e64 s[0:1], s58, v34
                                        ; implicit-def: $vgpr34
	s_and_saveexec_b64 s[48:49], s[0:1]
	s_xor_b64 s[0:1], exec, s[48:49]
; %bb.30:                               ;   in Loop: Header=BB318_14 Depth=1
	v_bfe_u32 v34, v35, 16, 1
	v_add3_u32 v34, v35, v34, s59
                                        ; implicit-def: $vgpr35
; %bb.31:                               ;   in Loop: Header=BB318_14 Depth=1
	s_andn2_saveexec_b64 s[48:49], s[0:1]
; %bb.32:                               ;   in Loop: Header=BB318_14 Depth=1
	v_or_b32_e32 v34, 0x10000, v35
	v_cmp_eq_u32_sdwa s[0:1], v35, v7 src0_sel:WORD_0 src1_sel:DWORD
	s_nop 1
	v_cndmask_b32_e64 v34, v34, v35, s[0:1]
; %bb.33:                               ;   in Loop: Header=BB318_14 Depth=1
	s_or_b64 exec, exec, s[48:49]
	global_load_ubyte v35, v[18:19], off offset:256
	s_waitcnt vmcnt(0)
	v_cvt_f32_fp8_sdwa v35, v35 src0_sel:BYTE_0
	s_nop 0
	v_mul_f32_e32 v36, s60, v35
	v_and_b32_e32 v35, 0x7f800000, v36
	v_cmp_ne_u32_e64 s[0:1], s58, v35
                                        ; implicit-def: $vgpr35
	s_and_saveexec_b64 s[48:49], s[0:1]
	s_xor_b64 s[0:1], exec, s[48:49]
; %bb.34:                               ;   in Loop: Header=BB318_14 Depth=1
	v_bfe_u32 v35, v36, 16, 1
	v_add3_u32 v35, v36, v35, s59
                                        ; implicit-def: $vgpr36
; %bb.35:                               ;   in Loop: Header=BB318_14 Depth=1
	s_andn2_saveexec_b64 s[48:49], s[0:1]
; %bb.36:                               ;   in Loop: Header=BB318_14 Depth=1
	v_or_b32_e32 v35, 0x10000, v36
	v_cmp_eq_u32_sdwa s[0:1], v36, v7 src0_sel:WORD_0 src1_sel:DWORD
	s_nop 1
	v_cndmask_b32_e64 v35, v35, v36, s[0:1]
; %bb.37:                               ;   in Loop: Header=BB318_14 Depth=1
	s_or_b64 exec, exec, s[48:49]
	global_load_ubyte v36, v[18:19], off offset:264
	s_waitcnt vmcnt(0)
	v_cvt_f32_fp8_sdwa v36, v36 src0_sel:BYTE_0
	s_nop 0
	v_mul_f32_e32 v37, s60, v36
	v_and_b32_e32 v36, 0x7f800000, v37
	v_cmp_ne_u32_e64 s[0:1], s58, v36
                                        ; implicit-def: $vgpr36
	s_and_saveexec_b64 s[48:49], s[0:1]
	s_xor_b64 s[0:1], exec, s[48:49]
; %bb.38:                               ;   in Loop: Header=BB318_14 Depth=1
	v_bfe_u32 v36, v37, 16, 1
	v_add3_u32 v36, v37, v36, s59
                                        ; implicit-def: $vgpr37
; %bb.39:                               ;   in Loop: Header=BB318_14 Depth=1
	s_andn2_saveexec_b64 s[48:49], s[0:1]
; %bb.40:                               ;   in Loop: Header=BB318_14 Depth=1
	v_or_b32_e32 v36, 0x10000, v37
	v_cmp_eq_u32_sdwa s[0:1], v37, v7 src0_sel:WORD_0 src1_sel:DWORD
	s_nop 1
	v_cndmask_b32_e64 v36, v36, v37, s[0:1]
; %bb.41:                               ;   in Loop: Header=BB318_14 Depth=1
	s_or_b64 exec, exec, s[48:49]
	global_load_ubyte v37, v[18:19], off offset:384
	s_waitcnt vmcnt(0)
	v_cvt_f32_fp8_sdwa v37, v37 src0_sel:BYTE_0
	s_nop 0
	v_mul_f32_e32 v38, s60, v37
	v_and_b32_e32 v37, 0x7f800000, v38
	v_cmp_ne_u32_e64 s[0:1], s58, v37
                                        ; implicit-def: $vgpr37
	s_and_saveexec_b64 s[48:49], s[0:1]
	s_xor_b64 s[0:1], exec, s[48:49]
; %bb.42:                               ;   in Loop: Header=BB318_14 Depth=1
	v_bfe_u32 v37, v38, 16, 1
	v_add3_u32 v37, v38, v37, s59
                                        ; implicit-def: $vgpr38
; %bb.43:                               ;   in Loop: Header=BB318_14 Depth=1
	s_andn2_saveexec_b64 s[48:49], s[0:1]
; %bb.44:                               ;   in Loop: Header=BB318_14 Depth=1
	v_or_b32_e32 v37, 0x10000, v38
	v_cmp_eq_u32_sdwa s[0:1], v38, v7 src0_sel:WORD_0 src1_sel:DWORD
	s_nop 1
	v_cndmask_b32_e64 v37, v37, v38, s[0:1]
; %bb.45:                               ;   in Loop: Header=BB318_14 Depth=1
	s_or_b64 exec, exec, s[48:49]
	global_load_ubyte v38, v[18:19], off offset:392
	s_waitcnt vmcnt(0)
	v_cvt_f32_fp8_sdwa v38, v38 src0_sel:BYTE_0
	s_nop 0
	v_mul_f32_e32 v39, s60, v38
	v_and_b32_e32 v38, 0x7f800000, v39
	v_cmp_ne_u32_e64 s[0:1], s58, v38
                                        ; implicit-def: $vgpr38
	s_and_saveexec_b64 s[48:49], s[0:1]
	s_xor_b64 s[0:1], exec, s[48:49]
; %bb.46:                               ;   in Loop: Header=BB318_14 Depth=1
	v_bfe_u32 v38, v39, 16, 1
	v_add3_u32 v38, v39, v38, s59
                                        ; implicit-def: $vgpr39
; %bb.47:                               ;   in Loop: Header=BB318_14 Depth=1
	s_andn2_saveexec_b64 s[48:49], s[0:1]
; %bb.48:                               ;   in Loop: Header=BB318_14 Depth=1
	v_or_b32_e32 v38, 0x10000, v39
	v_cmp_eq_u32_sdwa s[0:1], v39, v7 src0_sel:WORD_0 src1_sel:DWORD
	s_nop 1
	v_cndmask_b32_e64 v38, v38, v39, s[0:1]
; %bb.49:                               ;   in Loop: Header=BB318_14 Depth=1
	s_or_b64 exec, exec, s[48:49]
	global_load_ubyte v39, v[18:19], off offset:512
	s_waitcnt vmcnt(0)
	v_cvt_f32_fp8_sdwa v39, v39 src0_sel:BYTE_0
	s_nop 0
	v_mul_f32_e32 v40, s60, v39
	v_and_b32_e32 v39, 0x7f800000, v40
	v_cmp_ne_u32_e64 s[0:1], s58, v39
                                        ; implicit-def: $vgpr39
	s_and_saveexec_b64 s[48:49], s[0:1]
	s_xor_b64 s[0:1], exec, s[48:49]
; %bb.50:                               ;   in Loop: Header=BB318_14 Depth=1
	v_bfe_u32 v39, v40, 16, 1
	v_add3_u32 v39, v40, v39, s59
                                        ; implicit-def: $vgpr40
; %bb.51:                               ;   in Loop: Header=BB318_14 Depth=1
	s_andn2_saveexec_b64 s[48:49], s[0:1]
; %bb.52:                               ;   in Loop: Header=BB318_14 Depth=1
	v_or_b32_e32 v39, 0x10000, v40
	v_cmp_eq_u32_sdwa s[0:1], v40, v7 src0_sel:WORD_0 src1_sel:DWORD
	s_nop 1
	v_cndmask_b32_e64 v39, v39, v40, s[0:1]
; %bb.53:                               ;   in Loop: Header=BB318_14 Depth=1
	s_or_b64 exec, exec, s[48:49]
	global_load_ubyte v40, v[18:19], off offset:520
	s_waitcnt vmcnt(0)
	v_cvt_f32_fp8_sdwa v40, v40 src0_sel:BYTE_0
	s_nop 0
	v_mul_f32_e32 v41, s60, v40
	v_and_b32_e32 v40, 0x7f800000, v41
	v_cmp_ne_u32_e64 s[0:1], s58, v40
                                        ; implicit-def: $vgpr40
	s_and_saveexec_b64 s[48:49], s[0:1]
	s_xor_b64 s[0:1], exec, s[48:49]
; %bb.54:                               ;   in Loop: Header=BB318_14 Depth=1
	v_bfe_u32 v40, v41, 16, 1
	v_add3_u32 v40, v41, v40, s59
                                        ; implicit-def: $vgpr41
; %bb.55:                               ;   in Loop: Header=BB318_14 Depth=1
	s_andn2_saveexec_b64 s[48:49], s[0:1]
; %bb.56:                               ;   in Loop: Header=BB318_14 Depth=1
	v_or_b32_e32 v40, 0x10000, v41
	v_cmp_eq_u32_sdwa s[0:1], v41, v7 src0_sel:WORD_0 src1_sel:DWORD
	s_nop 1
	v_cndmask_b32_e64 v40, v40, v41, s[0:1]
; %bb.57:                               ;   in Loop: Header=BB318_14 Depth=1
	s_or_b64 exec, exec, s[48:49]
	global_load_ubyte v41, v[18:19], off offset:640
	s_waitcnt vmcnt(0)
	v_cvt_f32_fp8_sdwa v41, v41 src0_sel:BYTE_0
	s_nop 0
	v_mul_f32_e32 v42, s60, v41
	v_and_b32_e32 v41, 0x7f800000, v42
	v_cmp_ne_u32_e64 s[0:1], s58, v41
                                        ; implicit-def: $vgpr41
	s_and_saveexec_b64 s[48:49], s[0:1]
	s_xor_b64 s[0:1], exec, s[48:49]
; %bb.58:                               ;   in Loop: Header=BB318_14 Depth=1
	v_bfe_u32 v41, v42, 16, 1
	v_add3_u32 v41, v42, v41, s59
                                        ; implicit-def: $vgpr42
; %bb.59:                               ;   in Loop: Header=BB318_14 Depth=1
	s_andn2_saveexec_b64 s[48:49], s[0:1]
; %bb.60:                               ;   in Loop: Header=BB318_14 Depth=1
	v_or_b32_e32 v41, 0x10000, v42
	v_cmp_eq_u32_sdwa s[0:1], v42, v7 src0_sel:WORD_0 src1_sel:DWORD
	s_nop 1
	v_cndmask_b32_e64 v41, v41, v42, s[0:1]
; %bb.61:                               ;   in Loop: Header=BB318_14 Depth=1
	s_or_b64 exec, exec, s[48:49]
	global_load_ubyte v18, v[18:19], off offset:648
	s_waitcnt vmcnt(0)
	v_cvt_f32_fp8_sdwa v18, v18 src0_sel:BYTE_0
	s_nop 0
	v_mul_f32_e32 v19, s60, v18
	v_and_b32_e32 v18, 0x7f800000, v19
	v_cmp_ne_u32_e64 s[0:1], s58, v18
                                        ; implicit-def: $vgpr18
	s_and_saveexec_b64 s[48:49], s[0:1]
	s_xor_b64 s[0:1], exec, s[48:49]
; %bb.62:                               ;   in Loop: Header=BB318_14 Depth=1
	v_bfe_u32 v18, v19, 16, 1
	v_add3_u32 v18, v19, v18, s59
                                        ; implicit-def: $vgpr19
; %bb.63:                               ;   in Loop: Header=BB318_14 Depth=1
	s_andn2_saveexec_b64 s[48:49], s[0:1]
; %bb.64:                               ;   in Loop: Header=BB318_14 Depth=1
	v_or_b32_e32 v18, 0x10000, v19
	v_cmp_eq_u32_sdwa s[0:1], v19, v7 src0_sel:WORD_0 src1_sel:DWORD
	s_nop 1
	v_cndmask_b32_e64 v18, v18, v19, s[0:1]
; %bb.65:                               ;   in Loop: Header=BB318_14 Depth=1
	s_or_b64 exec, exec, s[48:49]
	v_and_b32_e32 v19, 0xffff0000, v41
	v_and_b32_e32 v32, 0xffff0000, v32
	v_lshlrev_b32_e32 v41, 16, v2
	v_and_b32_e32 v2, 0xffff0000, v2
	v_and_b32_e32 v31, 0xffff0000, v31
	v_mul_f32_e32 v2, v2, v32
	v_and_b32_e32 v33, 0xffff0000, v33
	v_lshlrev_b32_e32 v42, 16, v3
	v_fmac_f32_e32 v2, v41, v31
	v_and_b32_e32 v34, 0xffff0000, v34
	v_and_b32_e32 v3, 0xffff0000, v3
	v_fmac_f32_e32 v2, v42, v33
	v_and_b32_e32 v35, 0xffff0000, v35
	v_lshlrev_b32_e32 v43, 16, v4
	v_fmac_f32_e32 v2, v3, v34
	v_and_b32_e32 v36, 0xffff0000, v36
	v_and_b32_e32 v4, 0xffff0000, v4
	v_fmac_f32_e32 v2, v43, v35
	;; [unrolled: 6-line block ×3, first 2 shown]
	v_and_b32_e32 v39, 0xffff0000, v39
	v_lshlrev_b32_e32 v45, 16, v16
	v_and_b32_e32 v47, 64, v29
	v_fmac_f32_e32 v2, v5, v38
	v_and_b32_e32 v40, 0xffff0000, v40
	v_and_b32_e32 v16, 0xffff0000, v16
	v_add_u32_e32 v47, 64, v47
	v_xor_b32_e32 v48, 4, v29
	v_fmac_f32_e32 v2, v45, v39
	v_lshlrev_b32_e32 v46, 16, v17
	v_cmp_lt_i32_e64 s[0:1], v48, v47
	v_fmac_f32_e32 v2, v16, v40
	v_and_b32_e32 v17, 0xffff0000, v17
	v_cndmask_b32_e64 v48, v29, v48, s[0:1]
	v_and_b32_e32 v18, 0xffff0000, v18
	v_fmac_f32_e32 v2, v46, v19
	v_lshlrev_b32_e32 v48, 2, v48
	v_fmac_f32_e32 v2, v17, v18
	ds_bpermute_b32 v3, v48, v2
	v_xor_b32_e32 v4, 2, v29
	v_cmp_lt_i32_e64 s[0:1], v4, v47
	s_waitcnt lgkmcnt(0)
	v_add_f32_e32 v2, v2, v3
	v_cndmask_b32_e64 v4, v29, v4, s[0:1]
	v_lshlrev_b32_e32 v4, 2, v4
	ds_bpermute_b32 v3, v4, v2
	v_xor_b32_e32 v4, 1, v29
	v_cmp_lt_i32_e64 s[0:1], v4, v47
	s_waitcnt lgkmcnt(0)
	v_add_f32_e32 v2, v2, v3
	v_cndmask_b32_e64 v4, v29, v4, s[0:1]
	v_lshlrev_b32_e32 v4, 2, v4
	ds_bpermute_b32 v3, v4, v2
	s_and_saveexec_b64 s[48:49], vcc
	s_cbranch_execz .LBB318_12
; %bb.66:                               ;   in Loop: Header=BB318_14 Depth=1
	v_add_u32_e32 v4, v27, v25
	v_cvt_f32_i32_e32 v4, v4
	s_waitcnt lgkmcnt(0)
	v_add_f32_e32 v2, v2, v3
	v_add_u32_e32 v5, v20, v25
	v_cmp_gt_i32_e64 s[0:1], s33, v5
	v_mul_f32_e32 v3, s53, v4
	v_cndmask_b32_e64 v3, 0, v3, s[8:9]
	v_fmac_f32_e32 v3, s45, v2
	v_cndmask_b32_e64 v2, 0, v3, s[0:1]
	ds_write_b32 v26, v2
	v_max_f32_e32 v2, v22, v22
	v_max_f32_e32 v2, v2, v3
	v_cndmask_b32_e64 v22, v22, v2, s[0:1]
	s_branch .LBB318_12
.LBB318_67:
	s_or_b64 exec, exec, s[46:47]
.LBB318_68:
	s_or_b64 exec, exec, s[22:23]
	v_mbcnt_hi_u32_b32 v2, -1, v11
	s_waitcnt lgkmcnt(0)
	v_and_b32_e32 v3, 64, v2
	v_add_u32_e32 v3, 64, v3
	v_xor_b32_e32 v4, 32, v2
	v_cmp_lt_i32_e32 vcc, v4, v3
	v_xor_b32_e32 v7, 16, v2
	v_max_f32_e32 v5, v22, v22
	v_cndmask_b32_e32 v4, v2, v4, vcc
	v_lshlrev_b32_e32 v6, 2, v4
	ds_bpermute_b32 v4, v6, v22
	v_cmp_lt_i32_e32 vcc, v7, v3
	v_and_b32_e32 v11, 63, v0
	s_waitcnt lgkmcnt(0)
	v_max_f32_e32 v4, v4, v4
	v_max_f32_e32 v4, v5, v4
	v_cndmask_b32_e32 v5, v2, v7, vcc
	v_lshlrev_b32_e32 v8, 2, v5
	ds_bpermute_b32 v5, v8, v4
	v_xor_b32_e32 v7, 8, v2
	v_cmp_lt_i32_e32 vcc, v7, v3
	s_waitcnt lgkmcnt(0)
	v_max_f32_e32 v5, v5, v5
	v_max_f32_e32 v4, v4, v5
	v_cndmask_b32_e32 v5, v2, v7, vcc
	v_lshlrev_b32_e32 v9, 2, v5
	ds_bpermute_b32 v7, v9, v4
	v_cmp_eq_u32_e32 vcc, 0, v11
	v_lshlrev_b32_e32 v5, 2, v23
	s_and_saveexec_b64 s[0:1], vcc
	s_cbranch_execz .LBB318_70
; %bb.69:
	s_waitcnt lgkmcnt(0)
	v_max_f32_e32 v7, v7, v7
	v_max_f32_e32 v4, v4, v4
	v_max_f32_e32 v4, v4, v7
	ds_write_b32 v5, v4 offset:192
.LBB318_70:
	s_or_b64 exec, exec, s[0:1]
	v_cmp_gt_u32_e64 s[0:1], 2, v11
	v_mov_b32_e32 v4, 0xff7fffff
	s_waitcnt lgkmcnt(0)
	v_lshlrev_b32_e32 v7, 2, v11
	s_barrier
	s_and_saveexec_b64 s[8:9], s[0:1]
	s_cbranch_execz .LBB318_72
; %bb.71:
	ds_read_b32 v4, v7 offset:192
.LBB318_72:
	s_or_b64 exec, exec, s[8:9]
	v_xor_b32_e32 v14, 1, v2
	v_cmp_lt_i32_e64 s[8:9], v14, v3
	v_mov_b32_e32 v16, 0
	s_nop 0
	v_cndmask_b32_e64 v14, v2, v14, s[8:9]
	v_lshlrev_b32_e32 v14, 2, v14
	s_waitcnt lgkmcnt(0)
	ds_bpermute_b32 v15, v14, v4
	v_max_f32_e32 v4, v4, v4
	s_sub_i32 s8, s51, s54
	s_lshl_b32 s8, s8, 3
	s_add_i32 s8, s8, s52
	s_waitcnt lgkmcnt(0)
	v_max_f32_e32 v15, v15, v15
	v_max_f32_e32 v4, v4, v15
	v_lshlrev_b32_e32 v15, 2, v2
	v_and_b32_e32 v15, 0x100, v15
	ds_bpermute_b32 v4, v15, v4
	s_min_i32 s46, s8, s33
	s_sub_i32 s45, s46, s52
	v_cmp_gt_i32_e64 s[8:9], s45, v0
	s_and_saveexec_b64 s[16:17], s[8:9]
	s_cbranch_execz .LBB318_76
; %bb.73:
	v_mov_b32_e32 v16, 0xd0
	v_lshl_add_u32 v17, v0, 2, v16
	s_mov_b64 s[22:23], 0
	v_mov_b32_e32 v16, 0
	v_mov_b32_e32 v18, v0
.LBB318_74:                             ; =>This Inner Loop Header: Depth=1
	ds_read_b32 v19, v17
	v_add_u32_e32 v18, 0x80, v18
	v_cmp_le_i32_e64 s[12:13], s45, v18
	s_or_b64 s[22:23], s[12:13], s[22:23]
	s_waitcnt lgkmcnt(0)
	v_sub_f32_e32 v19, v19, v4
	v_mul_f32_e32 v19, 0x3fb8aa3b, v19
	v_exp_f32_e32 v19, v19
	ds_write_b32 v17, v19
	v_add_f32_e32 v16, v16, v19
	v_add_u32_e32 v17, 0x200, v17
	s_andn2_b64 exec, exec, s[22:23]
	s_cbranch_execnz .LBB318_74
; %bb.75:
	s_or_b64 exec, exec, s[22:23]
.LBB318_76:
	s_or_b64 exec, exec, s[16:17]
	ds_bpermute_b32 v6, v6, v16
	s_waitcnt lgkmcnt(0)
	v_add_f32_e32 v6, v16, v6
	ds_bpermute_b32 v8, v8, v6
	s_waitcnt lgkmcnt(0)
	v_add_f32_e32 v6, v6, v8
	ds_bpermute_b32 v8, v9, v6
	v_xor_b32_e32 v9, 4, v2
	v_cmp_lt_i32_e64 s[12:13], v9, v3
	s_waitcnt lgkmcnt(0)
	v_add_f32_e32 v6, v6, v8
	v_cndmask_b32_e64 v9, v2, v9, s[12:13]
	v_lshlrev_b32_e32 v9, 2, v9
	ds_bpermute_b32 v8, v9, v6
	v_xor_b32_e32 v9, 2, v2
	v_cmp_lt_i32_e64 s[12:13], v9, v3
	s_waitcnt lgkmcnt(0)
	v_add_f32_e32 v3, v6, v8
	v_cndmask_b32_e64 v2, v2, v9, s[12:13]
	v_lshlrev_b32_e32 v2, 2, v2
	ds_bpermute_b32 v2, v2, v3
	s_waitcnt lgkmcnt(0)
	v_add_f32_e32 v2, v3, v2
	ds_bpermute_b32 v3, v14, v2
	s_waitcnt lgkmcnt(0)
	v_add_f32_e32 v2, v2, v3
	s_and_saveexec_b64 s[12:13], vcc
	s_cbranch_execz .LBB318_78
; %bb.77:
	ds_write_b32 v5, v2 offset:200
.LBB318_78:
	s_or_b64 exec, exec, s[12:13]
	s_waitcnt lgkmcnt(0)
	s_barrier
	s_and_saveexec_b64 s[12:13], s[0:1]
	s_cbranch_execz .LBB318_80
; %bb.79:
	ds_read_b32 v2, v7 offset:200
.LBB318_80:
	s_or_b64 exec, exec, s[12:13]
	s_waitcnt lgkmcnt(0)
	ds_bpermute_b32 v3, v14, v2
	s_waitcnt lgkmcnt(0)
	v_add_f32_e32 v2, v2, v3
	ds_bpermute_b32 v5, v15, v2
	s_and_saveexec_b64 s[0:1], s[8:9]
	s_cbranch_execz .LBB318_93
; %bb.81:
	s_waitcnt lgkmcnt(0)
	v_add_f32_e32 v2, 0x358637bd, v5
	v_div_scale_f32 v3, s[8:9], v2, v2, 1.0
	v_rcp_f32_e32 v6, v3
	v_div_scale_f32 v7, vcc, 1.0, v2, 1.0
	s_movk_i32 s8, 0x7f
	v_fma_f32 v8, -v3, v6, 1.0
	v_fmac_f32_e32 v6, v8, v6
	v_mul_f32_e32 v8, v7, v6
	v_fma_f32 v9, -v3, v8, v7
	v_fmac_f32_e32 v8, v9, v6
	v_fma_f32 v3, -v3, v8, v7
	v_div_fmas_f32 v3, v3, v6, v8
	v_div_fixup_f32 v2, v3, v2, 1.0
	v_xad_u32 v3, v0, -1, s46
	v_subrev_u32_e32 v6, s52, v3
	v_cmp_lt_u32_e32 vcc, s8, v6
	s_mov_b64 s[12:13], -1
	v_mov_b32_e32 v3, v0
	s_and_saveexec_b64 s[8:9], vcc
	s_cbranch_execz .LBB318_90
; %bb.82:
	v_lshrrev_b32_e32 v6, 7, v6
	v_add_u32_e32 v8, -1, v6
	v_lshrrev_b32_e32 v7, 1, v8
	v_mov_b32_e32 v3, v2
	v_add_u32_e32 v7, 1, v7
	v_cmp_lt_u32_e32 vcc, 13, v8
	v_mov_b32_e32 v14, 0
	s_and_saveexec_b64 s[12:13], vcc
	s_cbranch_execz .LBB318_86
; %bb.83:
	v_mov_b32_e32 v9, 0xd0
	v_and_b32_e32 v8, -8, v7
	v_lshl_add_u32 v9, v0, 2, v9
	s_mov_b32 s22, 0
	s_mov_b64 s[16:17], 0
.LBB318_84:                             ; =>This Inner Loop Header: Depth=1
	ds_read2st64_b32 v[14:15], v9 offset1:2
	ds_read2st64_b32 v[16:17], v9 offset0:4 offset1:6
	ds_read2st64_b32 v[18:19], v9 offset0:8 offset1:10
	;; [unrolled: 1-line block ×3, first 2 shown]
	v_add_u32_e32 v8, -8, v8
	s_waitcnt lgkmcnt(3)
	v_pk_mul_f32 v[14:15], v[2:3], v[14:15]
	s_waitcnt lgkmcnt(2)
	v_pk_mul_f32 v[16:17], v[2:3], v[16:17]
	ds_write2st64_b32 v9, v14, v15 offset1:2
	ds_write2st64_b32 v9, v16, v17 offset0:4 offset1:6
	ds_read2st64_b32 v[16:17], v9 offset0:16 offset1:18
	s_waitcnt lgkmcnt(4)
	v_pk_mul_f32 v[14:15], v[2:3], v[18:19]
	ds_write2st64_b32 v9, v14, v15 offset0:8 offset1:10
	s_waitcnt lgkmcnt(4)
	v_pk_mul_f32 v[14:15], v[2:3], v[20:21]
	ds_write2st64_b32 v9, v14, v15 offset0:12 offset1:14
	ds_read2st64_b32 v[14:15], v9 offset0:20 offset1:22
	s_waitcnt lgkmcnt(3)
	v_pk_mul_f32 v[16:17], v[2:3], v[16:17]
	ds_read2st64_b32 v[18:19], v9 offset0:24 offset1:26
	ds_write2st64_b32 v9, v16, v17 offset0:16 offset1:18
	ds_read2st64_b32 v[16:17], v9 offset0:28 offset1:30
	s_waitcnt lgkmcnt(3)
	v_pk_mul_f32 v[14:15], v[2:3], v[14:15]
	ds_write2st64_b32 v9, v14, v15 offset0:20 offset1:22
	s_waitcnt lgkmcnt(3)
	v_pk_mul_f32 v[14:15], v[2:3], v[18:19]
	ds_write2st64_b32 v9, v14, v15 offset0:24 offset1:26
	s_waitcnt lgkmcnt(2)
	v_pk_mul_f32 v[14:15], v[2:3], v[16:17]
	s_add_i32 s22, s22, 16
	v_cmp_eq_u32_e32 vcc, 0, v8
	ds_write2st64_b32 v9, v14, v15 offset0:28 offset1:30
	v_add_u32_e32 v9, 0x2000, v9
	s_or_b64 s[16:17], vcc, s[16:17]
	v_mov_b32_e32 v14, s22
	s_andn2_b64 exec, exec, s[16:17]
	s_cbranch_execnz .LBB318_84
; %bb.85:
	s_or_b64 exec, exec, s[16:17]
.LBB318_86:
	s_or_b64 exec, exec, s[12:13]
	v_and_b32_e32 v7, 7, v7
	v_cmp_ne_u32_e32 vcc, 0, v7
	s_and_saveexec_b64 s[12:13], vcc
	s_cbranch_execz .LBB318_89
; %bb.87:
	v_lshlrev_b32_e32 v8, 9, v14
	v_lshlrev_b32_e32 v9, 2, v0
	s_movk_i32 s16, 0xd0
	v_add3_u32 v8, v8, v9, s16
	s_mov_b64 s[16:17], 0
.LBB318_88:                             ; =>This Inner Loop Header: Depth=1
	ds_read2st64_b32 v[14:15], v8 offset1:2
	v_add_u32_e32 v7, -1, v7
	v_cmp_eq_u32_e32 vcc, 0, v7
	s_or_b64 s[16:17], vcc, s[16:17]
	s_waitcnt lgkmcnt(0)
	v_pk_mul_f32 v[14:15], v[2:3], v[14:15]
	ds_write2st64_b32 v8, v14, v15 offset1:2
	v_add_u32_e32 v8, 0x400, v8
	s_andn2_b64 exec, exec, s[16:17]
	s_cbranch_execnz .LBB318_88
.LBB318_89:
	s_or_b64 exec, exec, s[12:13]
	v_add_u32_e32 v6, 1, v6
	v_and_b32_e32 v7, 0x3fffffe, v6
	v_cmp_ne_u32_e32 vcc, v6, v7
	v_lshl_add_u32 v3, v7, 7, v0
	s_orn2_b64 s[12:13], vcc, exec
.LBB318_90:
	s_or_b64 exec, exec, s[8:9]
	s_and_b64 exec, exec, s[12:13]
	s_cbranch_execz .LBB318_93
; %bb.91:
	v_mov_b32_e32 v6, 0xd0
	v_lshl_add_u32 v6, v3, 2, v6
	s_mov_b64 s[8:9], 0
.LBB318_92:                             ; =>This Inner Loop Header: Depth=1
	ds_read_b32 v7, v6
	v_add_u32_e32 v3, 0x80, v3
	v_cmp_le_i32_e32 vcc, s45, v3
	s_or_b64 s[8:9], vcc, s[8:9]
	s_waitcnt lgkmcnt(0)
	v_mul_f32_e32 v7, v2, v7
	ds_write_b32 v6, v7
	v_add_u32_e32 v6, 0x200, v6
	s_andn2_b64 exec, exec, s[8:9]
	s_cbranch_execnz .LBB318_92
.LBB318_93:
	s_or_b64 exec, exec, s[0:1]
	s_mul_i32 s0, s15, s36
	v_cmp_eq_u32_e32 vcc, 0, v0
	s_mul_i32 s8, s0, s5
	s_waitcnt lgkmcnt(0)
	s_barrier
	s_and_saveexec_b64 s[0:1], vcc
	s_cbranch_execz .LBB318_95
; %bb.94:
	s_ashr_i32 s9, s8, 31
	s_lshl_b64 s[12:13], s[8:9], 2
	s_add_u32 s5, s30, s12
	s_mul_i32 s16, s15, s2
	s_addc_u32 s9, s31, s13
	s_ashr_i32 s17, s16, 31
	s_lshl_b64 s[16:17], s[16:17], 2
	s_add_u32 s2, s5, s16
	s_addc_u32 s9, s9, s17
	s_ashr_i32 s5, s4, 31
	s_lshl_b64 s[22:23], s[4:5], 2
	s_add_u32 s30, s2, s22
	s_addc_u32 s31, s9, s23
	s_add_u32 s2, s28, s12
	s_addc_u32 s5, s29, s13
	;; [unrolled: 2-line block ×3, first 2 shown]
	s_add_u32 s12, s2, s22
	v_mov_b32_e32 v2, 0
	s_addc_u32 s13, s5, s23
	global_store_dword v2, v4, s[30:31]
	global_store_dword v2, v5, s[12:13]
.LBB318_95:
	s_or_b64 exec, exec, s[0:1]
	v_mov_b32_e32 v15, 0
	v_mov_b32_e32 v14, v15
	s_and_saveexec_b64 s[12:13], s[6:7]
	s_cbranch_execz .LBB318_267
; %bb.96:
	s_sub_i32 s5, s20, s25
	s_ashr_i32 s0, s24, 31
	s_add_u32 s6, s42, s24
	s_addc_u32 s7, s43, s0
	s_abs_i32 s26, s26
	v_cvt_f32_u32_e32 v2, s26
	v_or_b32_e32 v3, 64, v11
	s_movk_i32 s0, 0x60
	v_cmp_gt_u32_e32 vcc, s0, v3
	v_rcp_iflag_f32_e32 v2, v2
	s_sub_i32 s0, 0, s26
	s_add_i32 s28, s3, -1
	v_lshlrev_b32_e32 v18, 3, v3
	v_mul_f32_e32 v2, 0x4f7ffffe, v2
	v_cvt_u32_f32_e32 v2, v2
	v_mov_b32_e32 v17, 0
	s_mov_b32 s9, s21
	v_lshlrev_b32_e32 v16, 3, v11
	v_mul_lo_u32 v3, s0, v2
	s_lshl_b64 s[0:1], s[40:41], 2
	v_mul_hi_u32 v3, v2, v3
	s_add_u32 s0, s38, s0
	v_add_u32_e32 v22, v2, v3
	s_addc_u32 s1, s39, s1
	v_mov_b32_e32 v2, 0xd0
	v_mov_b32_e32 v19, v17
	v_lshl_add_u64 v[20:21], v[12:13], 2, s[0:1]
	v_lshl_add_u32 v13, v23, 5, v2
	s_mov_b64 s[16:17], 0
	s_mov_b32 s29, 0x7f800000
	s_movk_i32 s30, 0x7fff
	v_mov_b32_e32 v14, v17
	v_mov_b32_e32 v15, v17
	s_branch .LBB318_100
.LBB318_97:                             ;   in Loop: Header=BB318_100 Depth=1
	s_or_b64 exec, exec, s[2:3]
	v_and_b32_e32 v27, 0xffff0000, v5
	v_and_b32_e32 v26, 0xffff0000, v9
	;; [unrolled: 1-line block ×6, first 2 shown]
	v_pk_add_f32 v[4:5], v[4:5], v[8:9]
	v_and_b32_e32 v25, 0xffff0000, v24
	v_and_b32_e32 v24, 0xffff0000, v23
	v_mov_b32_e32 v6, v5
	v_pk_add_f32 v[4:5], v[4:5], v[6:7]
	v_pk_add_f32 v[6:7], v[26:27], v[24:25]
	s_nop 0
	v_pk_add_f32 v[4:5], v[4:5], v[6:7]
	v_mov_b32_e32 v6, v7
	v_pk_add_f32 v[4:5], v[4:5], v[6:7]
	s_nop 0
	v_mov_b32_e32 v3, v4
	v_pk_add_f32 v[14:15], v[14:15], v[2:3]
.LBB318_98:                             ;   in Loop: Header=BB318_100 Depth=1
	s_or_b64 exec, exec, s[22:23]
	v_mov_b32_e32 v14, v2
.LBB318_99:                             ;   in Loop: Header=BB318_100 Depth=1
	s_or_b64 exec, exec, s[20:21]
	v_add_u32_e32 v12, 2, v12
	v_cmp_le_i32_e64 s[0:1], s51, v12
	v_lshl_add_u64 v[20:21], v[20:21], 0, 8
	v_add_u32_e32 v1, 16, v1
	s_or_b64 s[16:17], s[0:1], s[16:17]
	v_add_u32_e32 v13, 64, v13
	s_andn2_b64 exec, exec, s[16:17]
	s_cbranch_execz .LBB318_266
.LBB318_100:                            ; =>This Inner Loop Header: Depth=1
	v_sub_u32_e32 v3, 0, v1
	v_max_i32_e32 v3, v1, v3
	v_mul_hi_u32 v4, v3, s50
	v_mul_lo_u32 v5, v4, s37
	v_sub_u32_e32 v3, v3, v5
	v_add_u32_e32 v5, 1, v4
	v_cmp_le_u32_e64 s[0:1], s37, v3
	v_ashrrev_i32_e32 v2, 31, v1
	v_xor_b32_e32 v2, s27, v2
	v_cndmask_b32_e64 v4, v4, v5, s[0:1]
	v_subrev_u32_e32 v5, s37, v3
	v_cndmask_b32_e64 v3, v3, v5, s[0:1]
	v_add_u32_e32 v5, 1, v4
	v_cmp_le_u32_e64 s[0:1], s37, v3
	s_nop 1
	v_cndmask_b32_e64 v3, v4, v5, s[0:1]
	v_xor_b32_e32 v3, v3, v2
	v_sub_u32_e32 v2, v3, v2
	v_add_u32_e32 v3, s44, v2
	v_sub_u32_e32 v5, 0, v3
	v_ashrrev_i32_e32 v4, 31, v3
	v_max_i32_e32 v3, v3, v5
	v_mul_hi_u32 v5, v3, v22
	v_mul_lo_u32 v5, v5, s26
	v_sub_u32_e32 v3, v3, v5
	v_subrev_u32_e32 v5, s26, v3
	v_cmp_le_u32_e64 s[0:1], s26, v3
	v_cmp_lt_i32_e64 s[2:3], s5, v2
	s_nop 0
	v_cndmask_b32_e64 v3, v3, v5, s[0:1]
	v_subrev_u32_e32 v5, s26, v3
	v_cmp_le_u32_e64 s[0:1], s26, v3
	s_nop 1
	v_cndmask_b32_e64 v3, v3, v5, s[0:1]
	v_xor_b32_e32 v3, v3, v4
	v_sub_u32_e32 v3, v3, v4
	v_cmp_eq_u32_e64 s[0:1], 0, v3
	s_or_b64 s[0:1], s[0:1], s[2:3]
	s_and_saveexec_b64 s[20:21], s[0:1]
	s_cbranch_execz .LBB318_99
; %bb.101:                              ;   in Loop: Header=BB318_100 Depth=1
	global_load_dword v31, v[20:21], off
	ds_read2_b64 v[6:9], v13 offset1:1
	ds_read2_b64 v[2:5], v13 offset0:2 offset1:3
                                        ; implicit-def: $vgpr30
	s_waitcnt lgkmcnt(1)
	v_and_b32_e32 v23, 0x7f800000, v6
	v_cmp_ne_u32_e64 s[0:1], s29, v23
	s_and_saveexec_b64 s[2:3], s[0:1]
	s_xor_b64 s[0:1], exec, s[2:3]
; %bb.102:                              ;   in Loop: Header=BB318_100 Depth=1
	v_bfe_u32 v23, v6, 16, 1
	v_add3_u32 v30, v6, v23, s30
; %bb.103:                              ;   in Loop: Header=BB318_100 Depth=1
	s_andn2_saveexec_b64 s[2:3], s[0:1]
; %bb.104:                              ;   in Loop: Header=BB318_100 Depth=1
	v_or_b32_e32 v23, 0x10000, v6
	v_cmp_eq_u32_sdwa s[0:1], v6, v17 src0_sel:WORD_0 src1_sel:DWORD
	s_nop 1
	v_cndmask_b32_e64 v30, v23, v6, s[0:1]
; %bb.105:                              ;   in Loop: Header=BB318_100 Depth=1
	s_or_b64 exec, exec, s[2:3]
	v_and_b32_e32 v6, 0x7f800000, v7
	v_cmp_ne_u32_e64 s[0:1], s29, v6
                                        ; implicit-def: $vgpr29
	s_and_saveexec_b64 s[2:3], s[0:1]
	s_xor_b64 s[0:1], exec, s[2:3]
; %bb.106:                              ;   in Loop: Header=BB318_100 Depth=1
	v_bfe_u32 v6, v7, 16, 1
	v_add3_u32 v29, v7, v6, s30
; %bb.107:                              ;   in Loop: Header=BB318_100 Depth=1
	s_andn2_saveexec_b64 s[2:3], s[0:1]
; %bb.108:                              ;   in Loop: Header=BB318_100 Depth=1
	v_or_b32_e32 v6, 0x10000, v7
	v_cmp_eq_u32_sdwa s[0:1], v7, v17 src0_sel:WORD_0 src1_sel:DWORD
	s_nop 1
	v_cndmask_b32_e64 v29, v6, v7, s[0:1]
; %bb.109:                              ;   in Loop: Header=BB318_100 Depth=1
	s_or_b64 exec, exec, s[2:3]
	v_and_b32_e32 v6, 0x7f800000, v8
	v_cmp_ne_u32_e64 s[0:1], s29, v6
                                        ; implicit-def: $vgpr28
	s_and_saveexec_b64 s[2:3], s[0:1]
	s_xor_b64 s[0:1], exec, s[2:3]
; %bb.110:                              ;   in Loop: Header=BB318_100 Depth=1
	v_bfe_u32 v6, v8, 16, 1
	v_add3_u32 v28, v8, v6, s30
; %bb.111:                              ;   in Loop: Header=BB318_100 Depth=1
	s_andn2_saveexec_b64 s[2:3], s[0:1]
; %bb.112:                              ;   in Loop: Header=BB318_100 Depth=1
	v_or_b32_e32 v6, 0x10000, v8
	v_cmp_eq_u32_sdwa s[0:1], v8, v17 src0_sel:WORD_0 src1_sel:DWORD
	s_nop 1
	v_cndmask_b32_e64 v28, v6, v8, s[0:1]
; %bb.113:                              ;   in Loop: Header=BB318_100 Depth=1
	s_or_b64 exec, exec, s[2:3]
	v_and_b32_e32 v6, 0x7f800000, v9
	v_cmp_ne_u32_e64 s[0:1], s29, v6
                                        ; implicit-def: $vgpr27
	s_and_saveexec_b64 s[2:3], s[0:1]
	s_xor_b64 s[0:1], exec, s[2:3]
; %bb.114:                              ;   in Loop: Header=BB318_100 Depth=1
	v_bfe_u32 v6, v9, 16, 1
	v_add3_u32 v27, v9, v6, s30
                                        ; implicit-def: $vgpr6_vgpr7_vgpr8_vgpr9
; %bb.115:                              ;   in Loop: Header=BB318_100 Depth=1
	s_andn2_saveexec_b64 s[2:3], s[0:1]
; %bb.116:                              ;   in Loop: Header=BB318_100 Depth=1
	v_or_b32_e32 v6, 0x10000, v9
	v_cmp_eq_u32_sdwa s[0:1], v9, v17 src0_sel:WORD_0 src1_sel:DWORD
	s_nop 1
	v_cndmask_b32_e64 v27, v6, v9, s[0:1]
; %bb.117:                              ;   in Loop: Header=BB318_100 Depth=1
	s_or_b64 exec, exec, s[2:3]
	s_waitcnt lgkmcnt(0)
	v_and_b32_e32 v6, 0x7f800000, v2
	v_cmp_ne_u32_e64 s[0:1], s29, v6
                                        ; implicit-def: $vgpr23
	s_and_saveexec_b64 s[2:3], s[0:1]
	s_xor_b64 s[0:1], exec, s[2:3]
; %bb.118:                              ;   in Loop: Header=BB318_100 Depth=1
	v_bfe_u32 v6, v2, 16, 1
	v_add3_u32 v23, v2, v6, s30
; %bb.119:                              ;   in Loop: Header=BB318_100 Depth=1
	s_andn2_saveexec_b64 s[2:3], s[0:1]
; %bb.120:                              ;   in Loop: Header=BB318_100 Depth=1
	v_or_b32_e32 v6, 0x10000, v2
	v_cmp_eq_u32_sdwa s[0:1], v2, v17 src0_sel:WORD_0 src1_sel:DWORD
	s_nop 1
	v_cndmask_b32_e64 v23, v6, v2, s[0:1]
; %bb.121:                              ;   in Loop: Header=BB318_100 Depth=1
	s_or_b64 exec, exec, s[2:3]
	v_and_b32_e32 v2, 0x7f800000, v3
	v_cmp_ne_u32_e64 s[0:1], s29, v2
                                        ; implicit-def: $vgpr24
	s_and_saveexec_b64 s[2:3], s[0:1]
	s_xor_b64 s[0:1], exec, s[2:3]
; %bb.122:                              ;   in Loop: Header=BB318_100 Depth=1
	v_bfe_u32 v2, v3, 16, 1
	v_add3_u32 v24, v3, v2, s30
; %bb.123:                              ;   in Loop: Header=BB318_100 Depth=1
	s_andn2_saveexec_b64 s[2:3], s[0:1]
; %bb.124:                              ;   in Loop: Header=BB318_100 Depth=1
	v_or_b32_e32 v2, 0x10000, v3
	v_cmp_eq_u32_sdwa s[0:1], v3, v17 src0_sel:WORD_0 src1_sel:DWORD
	s_nop 1
	v_cndmask_b32_e64 v24, v2, v3, s[0:1]
; %bb.125:                              ;   in Loop: Header=BB318_100 Depth=1
	s_or_b64 exec, exec, s[2:3]
	v_and_b32_e32 v2, 0x7f800000, v4
	v_cmp_ne_u32_e64 s[0:1], s29, v2
                                        ; implicit-def: $vgpr25
	s_and_saveexec_b64 s[2:3], s[0:1]
	s_xor_b64 s[0:1], exec, s[2:3]
; %bb.126:                              ;   in Loop: Header=BB318_100 Depth=1
	v_bfe_u32 v2, v4, 16, 1
	v_add3_u32 v25, v4, v2, s30
; %bb.127:                              ;   in Loop: Header=BB318_100 Depth=1
	s_andn2_saveexec_b64 s[2:3], s[0:1]
; %bb.128:                              ;   in Loop: Header=BB318_100 Depth=1
	v_or_b32_e32 v2, 0x10000, v4
	v_cmp_eq_u32_sdwa s[0:1], v4, v17 src0_sel:WORD_0 src1_sel:DWORD
	s_nop 1
	v_cndmask_b32_e64 v25, v2, v4, s[0:1]
; %bb.129:                              ;   in Loop: Header=BB318_100 Depth=1
	s_or_b64 exec, exec, s[2:3]
	v_and_b32_e32 v2, 0x7f800000, v5
	v_cmp_ne_u32_e64 s[0:1], s29, v2
                                        ; implicit-def: $vgpr26
	s_and_saveexec_b64 s[2:3], s[0:1]
	s_xor_b64 s[0:1], exec, s[2:3]
; %bb.130:                              ;   in Loop: Header=BB318_100 Depth=1
	v_bfe_u32 v2, v5, 16, 1
	v_add3_u32 v26, v5, v2, s30
                                        ; implicit-def: $vgpr2_vgpr3_vgpr4_vgpr5
; %bb.131:                              ;   in Loop: Header=BB318_100 Depth=1
	s_andn2_saveexec_b64 s[2:3], s[0:1]
; %bb.132:                              ;   in Loop: Header=BB318_100 Depth=1
	v_or_b32_e32 v2, 0x10000, v5
	v_cmp_eq_u32_sdwa s[0:1], v5, v17 src0_sel:WORD_0 src1_sel:DWORD
	s_nop 1
	v_cndmask_b32_e64 v26, v2, v5, s[0:1]
; %bb.133:                              ;   in Loop: Header=BB318_100 Depth=1
	s_or_b64 exec, exec, s[2:3]
	v_mov_b64_e32 v[2:3], s[6:7]
	s_waitcnt vmcnt(0)
	v_mad_i64_i32 v[4:5], s[0:1], v31, s9, v[2:3]
	v_lshl_add_u64 v[2:3], v[4:5], 0, v[16:17]
	global_load_dwordx2 v[2:3], v[2:3], off
	s_load_dword s31, s[18:19], 0x0
	s_waitcnt vmcnt(0)
	v_and_b32_e32 v6, 0xff, v2
	v_cvt_f32_fp8_sdwa v6, v6 src0_sel:BYTE_0
	s_waitcnt lgkmcnt(0)
	v_mul_f32_e32 v7, s31, v6
	v_and_b32_e32 v6, 0x7f800000, v7
	v_cmp_ne_u32_e64 s[0:1], s29, v6
                                        ; implicit-def: $vgpr6
	s_and_saveexec_b64 s[2:3], s[0:1]
	s_xor_b64 s[0:1], exec, s[2:3]
; %bb.134:                              ;   in Loop: Header=BB318_100 Depth=1
	v_bfe_u32 v6, v7, 16, 1
	v_add3_u32 v6, v7, v6, s30
                                        ; implicit-def: $vgpr7
; %bb.135:                              ;   in Loop: Header=BB318_100 Depth=1
	s_andn2_saveexec_b64 s[2:3], s[0:1]
; %bb.136:                              ;   in Loop: Header=BB318_100 Depth=1
	v_or_b32_e32 v6, 0x10000, v7
	v_cmp_eq_u32_sdwa s[0:1], v7, v17 src0_sel:WORD_0 src1_sel:DWORD
	s_nop 1
	v_cndmask_b32_e64 v6, v6, v7, s[0:1]
; %bb.137:                              ;   in Loop: Header=BB318_100 Depth=1
	s_or_b64 exec, exec, s[2:3]
	v_bfe_u32 v7, v2, 8, 8
	v_cvt_f32_fp8_sdwa v7, v7 src0_sel:BYTE_0
	s_nop 0
	v_mul_f32_e32 v8, s31, v7
	v_and_b32_e32 v7, 0x7f800000, v8
	v_cmp_ne_u32_e64 s[0:1], s29, v7
                                        ; implicit-def: $vgpr7
	s_and_saveexec_b64 s[2:3], s[0:1]
	s_xor_b64 s[0:1], exec, s[2:3]
; %bb.138:                              ;   in Loop: Header=BB318_100 Depth=1
	v_bfe_u32 v7, v8, 16, 1
	v_add3_u32 v7, v8, v7, s30
                                        ; implicit-def: $vgpr8
; %bb.139:                              ;   in Loop: Header=BB318_100 Depth=1
	s_andn2_saveexec_b64 s[2:3], s[0:1]
; %bb.140:                              ;   in Loop: Header=BB318_100 Depth=1
	v_or_b32_e32 v7, 0x10000, v8
	v_cmp_eq_u32_sdwa s[0:1], v8, v17 src0_sel:WORD_0 src1_sel:DWORD
	s_nop 1
	v_cndmask_b32_e64 v7, v7, v8, s[0:1]
; %bb.141:                              ;   in Loop: Header=BB318_100 Depth=1
	s_or_b64 exec, exec, s[2:3]
	v_bfe_u32 v8, v2, 16, 8
	v_cvt_f32_fp8_sdwa v8, v8 src0_sel:BYTE_0
	s_nop 0
	v_mul_f32_e32 v9, s31, v8
	v_and_b32_e32 v8, 0x7f800000, v9
	v_cmp_ne_u32_e64 s[0:1], s29, v8
                                        ; implicit-def: $vgpr8
	s_and_saveexec_b64 s[2:3], s[0:1]
	s_xor_b64 s[0:1], exec, s[2:3]
; %bb.142:                              ;   in Loop: Header=BB318_100 Depth=1
	v_bfe_u32 v8, v9, 16, 1
	v_add3_u32 v8, v9, v8, s30
                                        ; implicit-def: $vgpr9
; %bb.143:                              ;   in Loop: Header=BB318_100 Depth=1
	s_andn2_saveexec_b64 s[2:3], s[0:1]
; %bb.144:                              ;   in Loop: Header=BB318_100 Depth=1
	v_or_b32_e32 v8, 0x10000, v9
	v_cmp_eq_u32_sdwa s[0:1], v9, v17 src0_sel:WORD_0 src1_sel:DWORD
	s_nop 1
	v_cndmask_b32_e64 v8, v8, v9, s[0:1]
; %bb.145:                              ;   in Loop: Header=BB318_100 Depth=1
	s_or_b64 exec, exec, s[2:3]
	v_lshrrev_b32_e32 v2, 24, v2
	v_cvt_f32_fp8_sdwa v2, v2 src0_sel:BYTE_0
	s_nop 0
	v_mul_f32_e32 v9, s31, v2
	v_and_b32_e32 v2, 0x7f800000, v9
	v_cmp_ne_u32_e64 s[0:1], s29, v2
                                        ; implicit-def: $vgpr2
	s_and_saveexec_b64 s[2:3], s[0:1]
	s_xor_b64 s[0:1], exec, s[2:3]
; %bb.146:                              ;   in Loop: Header=BB318_100 Depth=1
	v_bfe_u32 v2, v9, 16, 1
	v_add3_u32 v2, v9, v2, s30
                                        ; implicit-def: $vgpr9
; %bb.147:                              ;   in Loop: Header=BB318_100 Depth=1
	s_andn2_saveexec_b64 s[2:3], s[0:1]
; %bb.148:                              ;   in Loop: Header=BB318_100 Depth=1
	v_or_b32_e32 v2, 0x10000, v9
	v_cmp_eq_u32_sdwa s[0:1], v9, v17 src0_sel:WORD_0 src1_sel:DWORD
	s_nop 1
	v_cndmask_b32_e64 v2, v2, v9, s[0:1]
; %bb.149:                              ;   in Loop: Header=BB318_100 Depth=1
	s_or_b64 exec, exec, s[2:3]
	v_and_b32_e32 v9, 0xff, v3
	v_cvt_f32_fp8_sdwa v9, v9 src0_sel:BYTE_0
	s_nop 0
	v_mul_f32_e32 v31, s31, v9
	v_and_b32_e32 v9, 0x7f800000, v31
	v_cmp_ne_u32_e64 s[0:1], s29, v9
                                        ; implicit-def: $vgpr9
	s_and_saveexec_b64 s[2:3], s[0:1]
	s_xor_b64 s[0:1], exec, s[2:3]
; %bb.150:                              ;   in Loop: Header=BB318_100 Depth=1
	v_bfe_u32 v9, v31, 16, 1
	v_add3_u32 v9, v31, v9, s30
                                        ; implicit-def: $vgpr31
; %bb.151:                              ;   in Loop: Header=BB318_100 Depth=1
	s_andn2_saveexec_b64 s[2:3], s[0:1]
; %bb.152:                              ;   in Loop: Header=BB318_100 Depth=1
	v_or_b32_e32 v9, 0x10000, v31
	v_cmp_eq_u32_sdwa s[0:1], v31, v17 src0_sel:WORD_0 src1_sel:DWORD
	s_nop 1
	v_cndmask_b32_e64 v9, v9, v31, s[0:1]
; %bb.153:                              ;   in Loop: Header=BB318_100 Depth=1
	s_or_b64 exec, exec, s[2:3]
	v_bfe_u32 v31, v3, 8, 8
	v_cvt_f32_fp8_sdwa v31, v31 src0_sel:BYTE_0
	s_nop 0
	v_mul_f32_e32 v32, s31, v31
	v_and_b32_e32 v31, 0x7f800000, v32
	v_cmp_ne_u32_e64 s[0:1], s29, v31
                                        ; implicit-def: $vgpr31
	s_and_saveexec_b64 s[2:3], s[0:1]
	s_xor_b64 s[0:1], exec, s[2:3]
; %bb.154:                              ;   in Loop: Header=BB318_100 Depth=1
	v_bfe_u32 v31, v32, 16, 1
	v_add3_u32 v31, v32, v31, s30
                                        ; implicit-def: $vgpr32
; %bb.155:                              ;   in Loop: Header=BB318_100 Depth=1
	s_andn2_saveexec_b64 s[2:3], s[0:1]
; %bb.156:                              ;   in Loop: Header=BB318_100 Depth=1
	v_or_b32_e32 v31, 0x10000, v32
	v_cmp_eq_u32_sdwa s[0:1], v32, v17 src0_sel:WORD_0 src1_sel:DWORD
	s_nop 1
	v_cndmask_b32_e64 v31, v31, v32, s[0:1]
; %bb.157:                              ;   in Loop: Header=BB318_100 Depth=1
	s_or_b64 exec, exec, s[2:3]
	v_bfe_u32 v32, v3, 16, 8
	v_cvt_f32_fp8_sdwa v32, v32 src0_sel:BYTE_0
                                        ; implicit-def: $vgpr35
	s_nop 0
	v_mul_f32_e32 v32, s31, v32
	v_and_b32_e32 v33, 0x7f800000, v32
	v_cmp_ne_u32_e64 s[0:1], s29, v33
	s_and_saveexec_b64 s[2:3], s[0:1]
	s_xor_b64 s[0:1], exec, s[2:3]
; %bb.158:                              ;   in Loop: Header=BB318_100 Depth=1
	v_bfe_u32 v33, v32, 16, 1
	v_add3_u32 v35, v32, v33, s30
                                        ; implicit-def: $vgpr32
; %bb.159:                              ;   in Loop: Header=BB318_100 Depth=1
	s_andn2_saveexec_b64 s[2:3], s[0:1]
; %bb.160:                              ;   in Loop: Header=BB318_100 Depth=1
	v_or_b32_e32 v33, 0x10000, v32
	v_cmp_eq_u32_sdwa s[0:1], v32, v17 src0_sel:WORD_0 src1_sel:DWORD
	s_nop 1
	v_cndmask_b32_e64 v35, v33, v32, s[0:1]
; %bb.161:                              ;   in Loop: Header=BB318_100 Depth=1
	s_or_b64 exec, exec, s[2:3]
	v_lshrrev_b32_e32 v3, 24, v3
	v_cvt_f32_fp8_sdwa v3, v3 src0_sel:BYTE_0
                                        ; implicit-def: $vgpr36
	s_nop 0
	v_mul_f32_e32 v3, s31, v3
	v_and_b32_e32 v32, 0x7f800000, v3
	v_cmp_ne_u32_e64 s[0:1], s29, v32
	s_and_saveexec_b64 s[2:3], s[0:1]
	s_xor_b64 s[0:1], exec, s[2:3]
; %bb.162:                              ;   in Loop: Header=BB318_100 Depth=1
	v_bfe_u32 v32, v3, 16, 1
	v_add3_u32 v36, v3, v32, s30
                                        ; implicit-def: $vgpr3
; %bb.163:                              ;   in Loop: Header=BB318_100 Depth=1
	s_andn2_saveexec_b64 s[2:3], s[0:1]
; %bb.164:                              ;   in Loop: Header=BB318_100 Depth=1
	v_or_b32_e32 v32, 0x10000, v3
	v_cmp_eq_u32_sdwa s[0:1], v3, v17 src0_sel:WORD_0 src1_sel:DWORD
	s_nop 1
	v_cndmask_b32_e64 v36, v32, v3, s[0:1]
; %bb.165:                              ;   in Loop: Header=BB318_100 Depth=1
	s_or_b64 exec, exec, s[2:3]
	v_cmp_eq_u32_e64 s[2:3], s28, v12
	v_lshrrev_b32_e32 v32, 16, v31
	v_lshrrev_b32_e32 v33, 16, v9
	;; [unrolled: 1-line block ×8, first 2 shown]
	s_and_saveexec_b64 s[22:23], s[2:3]
	s_cbranch_execz .LBB318_167
; %bb.166:                              ;   in Loop: Header=BB318_100 Depth=1
	v_cmp_gt_i32_e64 s[0:1], s33, v1
	v_add_u32_e32 v6, 1, v1
	s_nop 0
	v_cndmask_b32_e64 v3, 0, v3, s[0:1]
	v_cmp_gt_i32_e64 s[0:1], s33, v6
	v_add_u32_e32 v6, 2, v1
	s_nop 0
	v_cndmask_b32_e64 v8, 0, v8, s[0:1]
	;; [unrolled: 4-line block ×7, first 2 shown]
	v_cmp_gt_i32_e64 s[0:1], s33, v6
	s_nop 1
	v_cndmask_b32_e64 v2, 0, v2, s[0:1]
.LBB318_167:                            ;   in Loop: Header=BB318_100 Depth=1
	s_or_b64 exec, exec, s[22:23]
	v_and_b32_e32 v6, 0xffff0000, v30
	v_lshlrev_b32_e32 v3, 16, v3
	v_mul_f32_e32 v7, v6, v3
	v_and_b32_e32 v3, 0x7f800000, v7
	v_cmp_ne_u32_e64 s[0:1], s29, v3
                                        ; implicit-def: $vgpr3
	s_and_saveexec_b64 s[22:23], s[0:1]
	s_xor_b64 s[0:1], exec, s[22:23]
; %bb.168:                              ;   in Loop: Header=BB318_100 Depth=1
	v_bfe_u32 v3, v7, 16, 1
	v_add3_u32 v3, v7, v3, s30
                                        ; implicit-def: $vgpr7
; %bb.169:                              ;   in Loop: Header=BB318_100 Depth=1
	s_andn2_saveexec_b64 s[22:23], s[0:1]
; %bb.170:                              ;   in Loop: Header=BB318_100 Depth=1
	v_or_b32_e32 v3, 0x10000, v7
	v_cmp_eq_u32_sdwa s[0:1], v7, v17 src0_sel:WORD_0 src1_sel:DWORD
	s_nop 1
	v_cndmask_b32_e64 v3, v3, v7, s[0:1]
; %bb.171:                              ;   in Loop: Header=BB318_100 Depth=1
	s_or_b64 exec, exec, s[22:23]
	v_and_b32_e32 v7, 0xffff0000, v29
	v_lshlrev_b32_e32 v8, 16, v8
	v_mul_f32_e32 v8, v7, v8
	v_and_b32_e32 v29, 0x7f800000, v8
	v_cmp_ne_u32_e64 s[0:1], s29, v29
                                        ; implicit-def: $vgpr29
	s_and_saveexec_b64 s[22:23], s[0:1]
	s_xor_b64 s[0:1], exec, s[22:23]
; %bb.172:                              ;   in Loop: Header=BB318_100 Depth=1
	v_bfe_u32 v29, v8, 16, 1
	v_add3_u32 v29, v8, v29, s30
                                        ; implicit-def: $vgpr8
; %bb.173:                              ;   in Loop: Header=BB318_100 Depth=1
	s_andn2_saveexec_b64 s[22:23], s[0:1]
; %bb.174:                              ;   in Loop: Header=BB318_100 Depth=1
	v_or_b32_e32 v29, 0x10000, v8
	v_cmp_eq_u32_sdwa s[0:1], v8, v17 src0_sel:WORD_0 src1_sel:DWORD
	s_nop 1
	v_cndmask_b32_e64 v29, v29, v8, s[0:1]
; %bb.175:                              ;   in Loop: Header=BB318_100 Depth=1
	s_or_b64 exec, exec, s[22:23]
	v_and_b32_e32 v8, 0xffff0000, v28
	v_lshlrev_b32_e32 v9, 16, v9
	v_mul_f32_e32 v9, v8, v9
	v_and_b32_e32 v28, 0x7f800000, v9
	v_cmp_ne_u32_e64 s[0:1], s29, v28
                                        ; implicit-def: $vgpr28
	s_and_saveexec_b64 s[22:23], s[0:1]
	s_xor_b64 s[0:1], exec, s[22:23]
; %bb.176:                              ;   in Loop: Header=BB318_100 Depth=1
	v_bfe_u32 v28, v9, 16, 1
	v_add3_u32 v28, v9, v28, s30
                                        ; implicit-def: $vgpr9
; %bb.177:                              ;   in Loop: Header=BB318_100 Depth=1
	s_andn2_saveexec_b64 s[22:23], s[0:1]
; %bb.178:                              ;   in Loop: Header=BB318_100 Depth=1
	v_or_b32_e32 v28, 0x10000, v9
	v_cmp_eq_u32_sdwa s[0:1], v9, v17 src0_sel:WORD_0 src1_sel:DWORD
	s_nop 1
	v_cndmask_b32_e64 v28, v28, v9, s[0:1]
; %bb.179:                              ;   in Loop: Header=BB318_100 Depth=1
	s_or_b64 exec, exec, s[22:23]
	v_and_b32_e32 v9, 0xffff0000, v27
	v_lshlrev_b32_e32 v27, 16, v34
	v_mul_f32_e32 v30, v9, v27
	v_and_b32_e32 v27, 0x7f800000, v30
	v_cmp_ne_u32_e64 s[0:1], s29, v27
                                        ; implicit-def: $vgpr27
	s_and_saveexec_b64 s[22:23], s[0:1]
	s_xor_b64 s[0:1], exec, s[22:23]
; %bb.180:                              ;   in Loop: Header=BB318_100 Depth=1
	v_bfe_u32 v27, v30, 16, 1
	v_add3_u32 v27, v30, v27, s30
                                        ; implicit-def: $vgpr30
; %bb.181:                              ;   in Loop: Header=BB318_100 Depth=1
	s_andn2_saveexec_b64 s[22:23], s[0:1]
; %bb.182:                              ;   in Loop: Header=BB318_100 Depth=1
	v_or_b32_e32 v27, 0x10000, v30
	v_cmp_eq_u32_sdwa s[0:1], v30, v17 src0_sel:WORD_0 src1_sel:DWORD
	s_nop 1
	v_cndmask_b32_e64 v27, v27, v30, s[0:1]
; %bb.183:                              ;   in Loop: Header=BB318_100 Depth=1
	s_or_b64 exec, exec, s[22:23]
	v_and_b32_e32 v23, 0xffff0000, v23
	v_lshlrev_b32_e32 v30, 16, v33
	v_mul_f32_e32 v33, v23, v30
	v_and_b32_e32 v30, 0x7f800000, v33
	v_cmp_ne_u32_e64 s[0:1], s29, v30
                                        ; implicit-def: $vgpr30
	s_and_saveexec_b64 s[22:23], s[0:1]
	s_xor_b64 s[0:1], exec, s[22:23]
; %bb.184:                              ;   in Loop: Header=BB318_100 Depth=1
	v_bfe_u32 v30, v33, 16, 1
	v_add3_u32 v30, v33, v30, s30
                                        ; implicit-def: $vgpr33
; %bb.185:                              ;   in Loop: Header=BB318_100 Depth=1
	s_andn2_saveexec_b64 s[22:23], s[0:1]
; %bb.186:                              ;   in Loop: Header=BB318_100 Depth=1
	v_or_b32_e32 v30, 0x10000, v33
	v_cmp_eq_u32_sdwa s[0:1], v33, v17 src0_sel:WORD_0 src1_sel:DWORD
	s_nop 1
	v_cndmask_b32_e64 v30, v30, v33, s[0:1]
; %bb.187:                              ;   in Loop: Header=BB318_100 Depth=1
	s_or_b64 exec, exec, s[22:23]
	v_and_b32_e32 v24, 0xffff0000, v24
	v_lshlrev_b32_e32 v32, 16, v32
	v_mul_f32_e32 v33, v24, v32
	v_and_b32_e32 v32, 0x7f800000, v33
	v_cmp_ne_u32_e64 s[0:1], s29, v32
                                        ; implicit-def: $vgpr32
	s_and_saveexec_b64 s[22:23], s[0:1]
	s_xor_b64 s[0:1], exec, s[22:23]
; %bb.188:                              ;   in Loop: Header=BB318_100 Depth=1
	v_bfe_u32 v32, v33, 16, 1
	v_add3_u32 v32, v33, v32, s30
                                        ; implicit-def: $vgpr33
; %bb.189:                              ;   in Loop: Header=BB318_100 Depth=1
	s_andn2_saveexec_b64 s[22:23], s[0:1]
; %bb.190:                              ;   in Loop: Header=BB318_100 Depth=1
	v_or_b32_e32 v32, 0x10000, v33
	v_cmp_eq_u32_sdwa s[0:1], v33, v17 src0_sel:WORD_0 src1_sel:DWORD
	s_nop 1
	v_cndmask_b32_e64 v32, v32, v33, s[0:1]
; %bb.191:                              ;   in Loop: Header=BB318_100 Depth=1
	s_or_b64 exec, exec, s[22:23]
	v_and_b32_e32 v25, 0xffff0000, v25
	v_lshlrev_b32_e32 v31, 16, v31
	v_mul_f32_e32 v33, v25, v31
	v_and_b32_e32 v31, 0x7f800000, v33
	v_cmp_ne_u32_e64 s[0:1], s29, v31
                                        ; implicit-def: $vgpr31
	s_and_saveexec_b64 s[22:23], s[0:1]
	s_xor_b64 s[0:1], exec, s[22:23]
; %bb.192:                              ;   in Loop: Header=BB318_100 Depth=1
	v_bfe_u32 v31, v33, 16, 1
	v_add3_u32 v31, v33, v31, s30
                                        ; implicit-def: $vgpr33
; %bb.193:                              ;   in Loop: Header=BB318_100 Depth=1
	s_andn2_saveexec_b64 s[22:23], s[0:1]
; %bb.194:                              ;   in Loop: Header=BB318_100 Depth=1
	v_or_b32_e32 v31, 0x10000, v33
	v_cmp_eq_u32_sdwa s[0:1], v33, v17 src0_sel:WORD_0 src1_sel:DWORD
	s_nop 1
	v_cndmask_b32_e64 v31, v31, v33, s[0:1]
; %bb.195:                              ;   in Loop: Header=BB318_100 Depth=1
	s_or_b64 exec, exec, s[22:23]
	v_and_b32_e32 v26, 0xffff0000, v26
	v_lshlrev_b32_e32 v2, 16, v2
	v_mul_f32_e32 v2, v26, v2
	v_and_b32_e32 v33, 0x7f800000, v2
	v_cmp_ne_u32_e64 s[0:1], s29, v33
                                        ; implicit-def: $vgpr33
	s_and_saveexec_b64 s[22:23], s[0:1]
	s_xor_b64 s[0:1], exec, s[22:23]
; %bb.196:                              ;   in Loop: Header=BB318_100 Depth=1
	v_bfe_u32 v33, v2, 16, 1
	v_add3_u32 v33, v2, v33, s30
                                        ; implicit-def: $vgpr2
; %bb.197:                              ;   in Loop: Header=BB318_100 Depth=1
	s_andn2_saveexec_b64 s[22:23], s[0:1]
; %bb.198:                              ;   in Loop: Header=BB318_100 Depth=1
	v_or_b32_e32 v33, 0x10000, v2
	v_cmp_eq_u32_sdwa s[0:1], v2, v17 src0_sel:WORD_0 src1_sel:DWORD
	s_nop 1
	v_cndmask_b32_e64 v33, v33, v2, s[0:1]
; %bb.199:                              ;   in Loop: Header=BB318_100 Depth=1
	s_or_b64 exec, exec, s[22:23]
	v_and_b32_e32 v35, 0xffff0000, v27
	v_and_b32_e32 v34, 0xffff0000, v29
	v_and_b32_e32 v29, 0xffff0000, v28
	v_and_b32_e32 v28, 0xffff0000, v3
	v_pk_add_f32 v[2:3], v[28:29], v[34:35]
	v_and_b32_e32 v33, 0xffff0000, v33
	v_and_b32_e32 v32, 0xffff0000, v32
	;; [unrolled: 1-line block ×4, first 2 shown]
	v_mov_b32_e32 v28, v3
	v_pk_add_f32 v[2:3], v[2:3], v[28:29]
	v_pk_add_f32 v[28:29], v[30:31], v[32:33]
	s_nop 0
	v_pk_add_f32 v[2:3], v[2:3], v[28:29]
	v_mov_b32_e32 v28, v29
	v_pk_add_f32 v[2:3], v[2:3], v[28:29]
	s_nop 0
	v_pk_add_f32 v[2:3], v[14:15], v[2:3]
	s_and_saveexec_b64 s[22:23], vcc
	s_cbranch_execz .LBB318_98
; %bb.200:                              ;   in Loop: Header=BB318_100 Depth=1
	v_lshl_add_u64 v[4:5], v[4:5], 0, v[18:19]
	global_load_dwordx2 v[4:5], v[4:5], off
	s_waitcnt vmcnt(0)
	v_and_b32_e32 v3, 0xff, v4
	v_cvt_f32_fp8_sdwa v3, v3 src0_sel:BYTE_0
	s_nop 0
	v_mul_f32_e32 v27, s31, v3
	v_and_b32_e32 v3, 0x7f800000, v27
	v_cmp_ne_u32_e64 s[0:1], s29, v3
                                        ; implicit-def: $vgpr3
	s_and_saveexec_b64 s[24:25], s[0:1]
	s_xor_b64 s[0:1], exec, s[24:25]
; %bb.201:                              ;   in Loop: Header=BB318_100 Depth=1
	v_bfe_u32 v3, v27, 16, 1
	v_add3_u32 v3, v27, v3, s30
                                        ; implicit-def: $vgpr27
; %bb.202:                              ;   in Loop: Header=BB318_100 Depth=1
	s_andn2_saveexec_b64 s[24:25], s[0:1]
; %bb.203:                              ;   in Loop: Header=BB318_100 Depth=1
	v_or_b32_e32 v3, 0x10000, v27
	v_cmp_eq_u32_sdwa s[0:1], v27, v17 src0_sel:WORD_0 src1_sel:DWORD
	s_nop 1
	v_cndmask_b32_e64 v3, v3, v27, s[0:1]
; %bb.204:                              ;   in Loop: Header=BB318_100 Depth=1
	s_or_b64 exec, exec, s[24:25]
	v_bfe_u32 v27, v4, 8, 8
	v_cvt_f32_fp8_sdwa v27, v27 src0_sel:BYTE_0
	s_nop 0
	v_mul_f32_e32 v28, s31, v27
	v_and_b32_e32 v27, 0x7f800000, v28
	v_cmp_ne_u32_e64 s[0:1], s29, v27
                                        ; implicit-def: $vgpr27
	s_and_saveexec_b64 s[24:25], s[0:1]
	s_xor_b64 s[0:1], exec, s[24:25]
; %bb.205:                              ;   in Loop: Header=BB318_100 Depth=1
	v_bfe_u32 v27, v28, 16, 1
	v_add3_u32 v27, v28, v27, s30
                                        ; implicit-def: $vgpr28
; %bb.206:                              ;   in Loop: Header=BB318_100 Depth=1
	s_andn2_saveexec_b64 s[24:25], s[0:1]
; %bb.207:                              ;   in Loop: Header=BB318_100 Depth=1
	v_or_b32_e32 v27, 0x10000, v28
	v_cmp_eq_u32_sdwa s[0:1], v28, v17 src0_sel:WORD_0 src1_sel:DWORD
	s_nop 1
	v_cndmask_b32_e64 v27, v27, v28, s[0:1]
; %bb.208:                              ;   in Loop: Header=BB318_100 Depth=1
	s_or_b64 exec, exec, s[24:25]
	v_bfe_u32 v28, v4, 16, 8
	v_cvt_f32_fp8_sdwa v28, v28 src0_sel:BYTE_0
	s_nop 0
	v_mul_f32_e32 v28, s31, v28
	v_and_b32_e32 v29, 0x7f800000, v28
	v_cmp_ne_u32_e64 s[0:1], s29, v29
                                        ; implicit-def: $vgpr29
	s_and_saveexec_b64 s[24:25], s[0:1]
	s_xor_b64 s[0:1], exec, s[24:25]
; %bb.209:                              ;   in Loop: Header=BB318_100 Depth=1
	v_bfe_u32 v29, v28, 16, 1
	v_add3_u32 v29, v28, v29, s30
                                        ; implicit-def: $vgpr28
; %bb.210:                              ;   in Loop: Header=BB318_100 Depth=1
	s_andn2_saveexec_b64 s[24:25], s[0:1]
; %bb.211:                              ;   in Loop: Header=BB318_100 Depth=1
	v_or_b32_e32 v29, 0x10000, v28
	v_cmp_eq_u32_sdwa s[0:1], v28, v17 src0_sel:WORD_0 src1_sel:DWORD
	s_nop 1
	v_cndmask_b32_e64 v29, v29, v28, s[0:1]
; %bb.212:                              ;   in Loop: Header=BB318_100 Depth=1
	s_or_b64 exec, exec, s[24:25]
	v_lshrrev_b32_e32 v4, 24, v4
	v_cvt_f32_fp8_sdwa v4, v4 src0_sel:BYTE_0
	s_nop 0
	v_mul_f32_e32 v28, s31, v4
	v_and_b32_e32 v4, 0x7f800000, v28
	v_cmp_ne_u32_e64 s[0:1], s29, v4
                                        ; implicit-def: $vgpr4
	s_and_saveexec_b64 s[24:25], s[0:1]
	s_xor_b64 s[0:1], exec, s[24:25]
; %bb.213:                              ;   in Loop: Header=BB318_100 Depth=1
	v_bfe_u32 v4, v28, 16, 1
	v_add3_u32 v4, v28, v4, s30
                                        ; implicit-def: $vgpr28
; %bb.214:                              ;   in Loop: Header=BB318_100 Depth=1
	s_andn2_saveexec_b64 s[24:25], s[0:1]
; %bb.215:                              ;   in Loop: Header=BB318_100 Depth=1
	v_or_b32_e32 v4, 0x10000, v28
	v_cmp_eq_u32_sdwa s[0:1], v28, v17 src0_sel:WORD_0 src1_sel:DWORD
	s_nop 1
	v_cndmask_b32_e64 v4, v4, v28, s[0:1]
; %bb.216:                              ;   in Loop: Header=BB318_100 Depth=1
	s_or_b64 exec, exec, s[24:25]
	v_and_b32_e32 v28, 0xff, v5
	v_cvt_f32_fp8_sdwa v28, v28 src0_sel:BYTE_0
	s_nop 0
	v_mul_f32_e32 v28, s31, v28
	v_and_b32_e32 v30, 0x7f800000, v28
	v_cmp_ne_u32_e64 s[0:1], s29, v30
                                        ; implicit-def: $vgpr30
	s_and_saveexec_b64 s[24:25], s[0:1]
	s_xor_b64 s[0:1], exec, s[24:25]
; %bb.217:                              ;   in Loop: Header=BB318_100 Depth=1
	v_bfe_u32 v30, v28, 16, 1
	v_add3_u32 v30, v28, v30, s30
                                        ; implicit-def: $vgpr28
; %bb.218:                              ;   in Loop: Header=BB318_100 Depth=1
	s_andn2_saveexec_b64 s[24:25], s[0:1]
; %bb.219:                              ;   in Loop: Header=BB318_100 Depth=1
	v_or_b32_e32 v30, 0x10000, v28
	v_cmp_eq_u32_sdwa s[0:1], v28, v17 src0_sel:WORD_0 src1_sel:DWORD
	s_nop 1
	v_cndmask_b32_e64 v30, v30, v28, s[0:1]
; %bb.220:                              ;   in Loop: Header=BB318_100 Depth=1
	s_or_b64 exec, exec, s[24:25]
	v_bfe_u32 v28, v5, 8, 8
	v_cvt_f32_fp8_sdwa v28, v28 src0_sel:BYTE_0
	s_nop 0
	v_mul_f32_e32 v31, s31, v28
	v_and_b32_e32 v28, 0x7f800000, v31
	v_cmp_ne_u32_e64 s[0:1], s29, v28
                                        ; implicit-def: $vgpr28
	s_and_saveexec_b64 s[24:25], s[0:1]
	s_xor_b64 s[0:1], exec, s[24:25]
; %bb.221:                              ;   in Loop: Header=BB318_100 Depth=1
	v_bfe_u32 v28, v31, 16, 1
	v_add3_u32 v28, v31, v28, s30
                                        ; implicit-def: $vgpr31
; %bb.222:                              ;   in Loop: Header=BB318_100 Depth=1
	s_andn2_saveexec_b64 s[24:25], s[0:1]
; %bb.223:                              ;   in Loop: Header=BB318_100 Depth=1
	v_or_b32_e32 v28, 0x10000, v31
	v_cmp_eq_u32_sdwa s[0:1], v31, v17 src0_sel:WORD_0 src1_sel:DWORD
	s_nop 1
	v_cndmask_b32_e64 v28, v28, v31, s[0:1]
; %bb.224:                              ;   in Loop: Header=BB318_100 Depth=1
	s_or_b64 exec, exec, s[24:25]
	v_bfe_u32 v31, v5, 16, 8
	v_cvt_f32_fp8_sdwa v31, v31 src0_sel:BYTE_0
	s_nop 0
	v_mul_f32_e32 v31, s31, v31
	v_and_b32_e32 v32, 0x7f800000, v31
	v_cmp_ne_u32_e64 s[0:1], s29, v32
                                        ; implicit-def: $vgpr32
	s_and_saveexec_b64 s[24:25], s[0:1]
	s_xor_b64 s[0:1], exec, s[24:25]
; %bb.225:                              ;   in Loop: Header=BB318_100 Depth=1
	v_bfe_u32 v32, v31, 16, 1
	v_add3_u32 v32, v31, v32, s30
                                        ; implicit-def: $vgpr31
; %bb.226:                              ;   in Loop: Header=BB318_100 Depth=1
	s_andn2_saveexec_b64 s[24:25], s[0:1]
; %bb.227:                              ;   in Loop: Header=BB318_100 Depth=1
	v_or_b32_e32 v32, 0x10000, v31
	v_cmp_eq_u32_sdwa s[0:1], v31, v17 src0_sel:WORD_0 src1_sel:DWORD
	s_nop 1
	v_cndmask_b32_e64 v32, v32, v31, s[0:1]
; %bb.228:                              ;   in Loop: Header=BB318_100 Depth=1
	s_or_b64 exec, exec, s[24:25]
	v_lshrrev_b32_e32 v5, 24, v5
	v_cvt_f32_fp8_sdwa v5, v5 src0_sel:BYTE_0
                                        ; implicit-def: $vgpr33
	s_nop 0
	v_mul_f32_e32 v5, s31, v5
	v_and_b32_e32 v31, 0x7f800000, v5
	v_cmp_ne_u32_e64 s[0:1], s29, v31
	s_and_saveexec_b64 s[24:25], s[0:1]
	s_xor_b64 s[0:1], exec, s[24:25]
; %bb.229:                              ;   in Loop: Header=BB318_100 Depth=1
	v_bfe_u32 v31, v5, 16, 1
	v_add3_u32 v33, v5, v31, s30
                                        ; implicit-def: $vgpr5
; %bb.230:                              ;   in Loop: Header=BB318_100 Depth=1
	s_andn2_saveexec_b64 s[24:25], s[0:1]
; %bb.231:                              ;   in Loop: Header=BB318_100 Depth=1
	v_or_b32_e32 v31, 0x10000, v5
	v_cmp_eq_u32_sdwa s[0:1], v5, v17 src0_sel:WORD_0 src1_sel:DWORD
	s_nop 1
	v_cndmask_b32_e64 v33, v31, v5, s[0:1]
; %bb.232:                              ;   in Loop: Header=BB318_100 Depth=1
	s_or_b64 exec, exec, s[24:25]
	v_lshrrev_b32_e32 v28, 16, v28
	v_lshrrev_b32_e32 v30, 16, v30
	;; [unrolled: 1-line block ×8, first 2 shown]
	s_and_saveexec_b64 s[24:25], s[2:3]
	s_cbranch_execz .LBB318_234
; %bb.233:                              ;   in Loop: Header=BB318_100 Depth=1
	v_cmp_gt_i32_e64 s[0:1], s33, v1
	v_add_u32_e32 v32, 1, v1
	s_nop 0
	v_cndmask_b32_e64 v4, 0, v4, s[0:1]
	v_cmp_gt_i32_e64 s[0:1], s33, v32
	v_add_u32_e32 v32, 2, v1
	s_nop 0
	v_cndmask_b32_e64 v27, 0, v27, s[0:1]
	;; [unrolled: 4-line block ×7, first 2 shown]
	v_cmp_gt_i32_e64 s[0:1], s33, v32
	s_nop 1
	v_cndmask_b32_e64 v3, 0, v3, s[0:1]
.LBB318_234:                            ;   in Loop: Header=BB318_100 Depth=1
	s_or_b64 exec, exec, s[24:25]
	v_lshlrev_b32_e32 v4, 16, v4
	v_mul_f32_e32 v6, v6, v4
	v_and_b32_e32 v4, 0x7f800000, v6
	v_cmp_ne_u32_e64 s[0:1], s29, v4
                                        ; implicit-def: $vgpr4
	s_and_saveexec_b64 s[2:3], s[0:1]
	s_xor_b64 s[0:1], exec, s[2:3]
; %bb.235:                              ;   in Loop: Header=BB318_100 Depth=1
	v_bfe_u32 v4, v6, 16, 1
	v_add3_u32 v4, v6, v4, s30
                                        ; implicit-def: $vgpr6
; %bb.236:                              ;   in Loop: Header=BB318_100 Depth=1
	s_andn2_saveexec_b64 s[2:3], s[0:1]
; %bb.237:                              ;   in Loop: Header=BB318_100 Depth=1
	v_or_b32_e32 v4, 0x10000, v6
	v_cmp_eq_u32_sdwa s[0:1], v6, v17 src0_sel:WORD_0 src1_sel:DWORD
	s_nop 1
	v_cndmask_b32_e64 v4, v4, v6, s[0:1]
; %bb.238:                              ;   in Loop: Header=BB318_100 Depth=1
	s_or_b64 exec, exec, s[2:3]
	v_lshlrev_b32_e32 v6, 16, v27
	v_mul_f32_e32 v7, v7, v6
	v_and_b32_e32 v6, 0x7f800000, v7
	v_cmp_ne_u32_e64 s[0:1], s29, v6
                                        ; implicit-def: $vgpr6
	s_and_saveexec_b64 s[2:3], s[0:1]
	s_xor_b64 s[0:1], exec, s[2:3]
; %bb.239:                              ;   in Loop: Header=BB318_100 Depth=1
	v_bfe_u32 v6, v7, 16, 1
	v_add3_u32 v6, v7, v6, s30
                                        ; implicit-def: $vgpr7
; %bb.240:                              ;   in Loop: Header=BB318_100 Depth=1
	s_andn2_saveexec_b64 s[2:3], s[0:1]
; %bb.241:                              ;   in Loop: Header=BB318_100 Depth=1
	v_or_b32_e32 v6, 0x10000, v7
	v_cmp_eq_u32_sdwa s[0:1], v7, v17 src0_sel:WORD_0 src1_sel:DWORD
	s_nop 1
	v_cndmask_b32_e64 v6, v6, v7, s[0:1]
; %bb.242:                              ;   in Loop: Header=BB318_100 Depth=1
	s_or_b64 exec, exec, s[2:3]
	v_lshlrev_b32_e32 v7, 16, v29
	v_mul_f32_e32 v8, v8, v7
	v_and_b32_e32 v7, 0x7f800000, v8
	v_cmp_ne_u32_e64 s[0:1], s29, v7
                                        ; implicit-def: $vgpr7
	s_and_saveexec_b64 s[2:3], s[0:1]
	s_xor_b64 s[0:1], exec, s[2:3]
; %bb.243:                              ;   in Loop: Header=BB318_100 Depth=1
	v_bfe_u32 v7, v8, 16, 1
	v_add3_u32 v7, v8, v7, s30
                                        ; implicit-def: $vgpr8
; %bb.244:                              ;   in Loop: Header=BB318_100 Depth=1
	s_andn2_saveexec_b64 s[2:3], s[0:1]
; %bb.245:                              ;   in Loop: Header=BB318_100 Depth=1
	v_or_b32_e32 v7, 0x10000, v8
	v_cmp_eq_u32_sdwa s[0:1], v8, v17 src0_sel:WORD_0 src1_sel:DWORD
	s_nop 1
	v_cndmask_b32_e64 v7, v7, v8, s[0:1]
; %bb.246:                              ;   in Loop: Header=BB318_100 Depth=1
	s_or_b64 exec, exec, s[2:3]
	v_lshlrev_b32_e32 v8, 16, v31
	v_mul_f32_e32 v9, v9, v8
	v_and_b32_e32 v8, 0x7f800000, v9
	v_cmp_ne_u32_e64 s[0:1], s29, v8
                                        ; implicit-def: $vgpr8
	s_and_saveexec_b64 s[2:3], s[0:1]
	s_xor_b64 s[0:1], exec, s[2:3]
; %bb.247:                              ;   in Loop: Header=BB318_100 Depth=1
	v_bfe_u32 v8, v9, 16, 1
	v_add3_u32 v8, v9, v8, s30
                                        ; implicit-def: $vgpr9
; %bb.248:                              ;   in Loop: Header=BB318_100 Depth=1
	s_andn2_saveexec_b64 s[2:3], s[0:1]
; %bb.249:                              ;   in Loop: Header=BB318_100 Depth=1
	v_or_b32_e32 v8, 0x10000, v9
	v_cmp_eq_u32_sdwa s[0:1], v9, v17 src0_sel:WORD_0 src1_sel:DWORD
	s_nop 1
	v_cndmask_b32_e64 v8, v8, v9, s[0:1]
; %bb.250:                              ;   in Loop: Header=BB318_100 Depth=1
	s_or_b64 exec, exec, s[2:3]
	v_lshlrev_b32_e32 v9, 16, v30
	v_mul_f32_e32 v23, v23, v9
	v_and_b32_e32 v9, 0x7f800000, v23
	v_cmp_ne_u32_e64 s[0:1], s29, v9
                                        ; implicit-def: $vgpr9
	s_and_saveexec_b64 s[2:3], s[0:1]
	s_xor_b64 s[0:1], exec, s[2:3]
; %bb.251:                              ;   in Loop: Header=BB318_100 Depth=1
	v_bfe_u32 v9, v23, 16, 1
	v_add3_u32 v9, v23, v9, s30
                                        ; implicit-def: $vgpr23
; %bb.252:                              ;   in Loop: Header=BB318_100 Depth=1
	s_andn2_saveexec_b64 s[2:3], s[0:1]
; %bb.253:                              ;   in Loop: Header=BB318_100 Depth=1
	v_or_b32_e32 v9, 0x10000, v23
	v_cmp_eq_u32_sdwa s[0:1], v23, v17 src0_sel:WORD_0 src1_sel:DWORD
	s_nop 1
	v_cndmask_b32_e64 v9, v9, v23, s[0:1]
; %bb.254:                              ;   in Loop: Header=BB318_100 Depth=1
	s_or_b64 exec, exec, s[2:3]
	v_lshlrev_b32_e32 v23, 16, v28
	v_mul_f32_e32 v24, v24, v23
	v_and_b32_e32 v23, 0x7f800000, v24
	v_cmp_ne_u32_e64 s[0:1], s29, v23
                                        ; implicit-def: $vgpr23
	s_and_saveexec_b64 s[2:3], s[0:1]
	s_xor_b64 s[0:1], exec, s[2:3]
; %bb.255:                              ;   in Loop: Header=BB318_100 Depth=1
	v_bfe_u32 v23, v24, 16, 1
	v_add3_u32 v23, v24, v23, s30
                                        ; implicit-def: $vgpr24
; %bb.256:                              ;   in Loop: Header=BB318_100 Depth=1
	s_andn2_saveexec_b64 s[2:3], s[0:1]
; %bb.257:                              ;   in Loop: Header=BB318_100 Depth=1
	v_or_b32_e32 v23, 0x10000, v24
	v_cmp_eq_u32_sdwa s[0:1], v24, v17 src0_sel:WORD_0 src1_sel:DWORD
	s_nop 1
	v_cndmask_b32_e64 v23, v23, v24, s[0:1]
; %bb.258:                              ;   in Loop: Header=BB318_100 Depth=1
	s_or_b64 exec, exec, s[2:3]
	v_lshlrev_b32_e32 v5, 16, v5
	v_mul_f32_e32 v24, v25, v5
	v_and_b32_e32 v5, 0x7f800000, v24
	v_cmp_ne_u32_e64 s[0:1], s29, v5
                                        ; implicit-def: $vgpr5
	s_and_saveexec_b64 s[2:3], s[0:1]
	s_xor_b64 s[0:1], exec, s[2:3]
; %bb.259:                              ;   in Loop: Header=BB318_100 Depth=1
	v_bfe_u32 v5, v24, 16, 1
	v_add3_u32 v5, v24, v5, s30
                                        ; implicit-def: $vgpr24
; %bb.260:                              ;   in Loop: Header=BB318_100 Depth=1
	s_andn2_saveexec_b64 s[2:3], s[0:1]
; %bb.261:                              ;   in Loop: Header=BB318_100 Depth=1
	v_or_b32_e32 v5, 0x10000, v24
	v_cmp_eq_u32_sdwa s[0:1], v24, v17 src0_sel:WORD_0 src1_sel:DWORD
	s_nop 1
	v_cndmask_b32_e64 v5, v5, v24, s[0:1]
; %bb.262:                              ;   in Loop: Header=BB318_100 Depth=1
	s_or_b64 exec, exec, s[2:3]
	v_lshlrev_b32_e32 v3, 16, v3
	v_mul_f32_e32 v3, v26, v3
	v_and_b32_e32 v24, 0x7f800000, v3
	v_cmp_ne_u32_e64 s[0:1], s29, v24
                                        ; implicit-def: $vgpr24
	s_and_saveexec_b64 s[2:3], s[0:1]
	s_xor_b64 s[0:1], exec, s[2:3]
; %bb.263:                              ;   in Loop: Header=BB318_100 Depth=1
	v_bfe_u32 v24, v3, 16, 1
	v_add3_u32 v24, v3, v24, s30
                                        ; implicit-def: $vgpr3
; %bb.264:                              ;   in Loop: Header=BB318_100 Depth=1
	s_andn2_saveexec_b64 s[2:3], s[0:1]
	s_cbranch_execz .LBB318_97
; %bb.265:                              ;   in Loop: Header=BB318_100 Depth=1
	v_or_b32_e32 v24, 0x10000, v3
	v_cmp_eq_u32_sdwa s[0:1], v3, v17 src0_sel:WORD_0 src1_sel:DWORD
	s_nop 1
	v_cndmask_b32_e64 v24, v24, v3, s[0:1]
	s_branch .LBB318_97
.LBB318_266:
	s_or_b64 exec, exec, s[16:17]
.LBB318_267:
	s_or_b64 exec, exec, s[12:13]
	v_and_b32_e32 v1, 0x3c0, v0
	v_cmp_eq_u32_e32 vcc, 64, v1
	s_barrier
	s_and_saveexec_b64 s[0:1], vcc
	s_cbranch_execz .LBB318_270
; %bb.268:
	v_mov_b32_e32 v1, 0xd0
	v_lshl_add_u32 v2, v11, 2, v1
	ds_write_b32 v2, v14
	s_and_b64 exec, exec, s[10:11]
	s_cbranch_execz .LBB318_270
; %bb.269:
	v_lshl_add_u32 v1, v0, 2, v1
	ds_write_b32 v1, v15
.LBB318_270:
	s_or_b64 exec, exec, s[0:1]
	v_cmp_gt_u32_e32 vcc, 64, v0
	v_or_b32_e32 v1, 64, v0
	s_waitcnt lgkmcnt(0)
	s_barrier
	s_and_saveexec_b64 s[2:3], vcc
	s_cbranch_execz .LBB318_274
; %bb.271:
	v_mov_b32_e32 v2, 0xd0
	v_lshl_add_u32 v2, v0, 2, v2
	ds_read_b32 v0, v2
	s_movk_i32 s0, 0x60
	v_cmp_gt_u32_e64 s[0:1], s0, v1
	s_and_saveexec_b64 s[6:7], s[0:1]
	s_cbranch_execz .LBB318_273
; %bb.272:
	ds_read_b32 v2, v2 offset:256
	s_waitcnt lgkmcnt(0)
	v_add_f32_e32 v15, v15, v2
.LBB318_273:
	s_or_b64 exec, exec, s[6:7]
	s_waitcnt lgkmcnt(0)
	v_add_f32_e32 v14, v14, v0
.LBB318_274:
	s_or_b64 exec, exec, s[2:3]
	s_barrier
	s_and_saveexec_b64 s[0:1], vcc
	s_cbranch_execz .LBB318_285
; %bb.275:
	s_mov_b32 s0, 0x7f800000
	v_and_b32_e32 v0, 0x7f800000, v14
	v_cmp_ne_u32_e32 vcc, s0, v0
                                        ; implicit-def: $vgpr0
	s_and_saveexec_b64 s[0:1], vcc
	s_xor_b64 s[0:1], exec, s[0:1]
; %bb.276:
	v_bfe_u32 v0, v14, 16, 1
	s_movk_i32 s2, 0x7fff
	v_add3_u32 v0, v14, v0, s2
; %bb.277:
	s_andn2_saveexec_b64 s[0:1], s[0:1]
; %bb.278:
	v_mov_b32_e32 v0, 0
	v_or_b32_e32 v2, 0x10000, v14
	v_cmp_eq_u32_sdwa vcc, v14, v0 src0_sel:WORD_0 src1_sel:DWORD
	s_nop 1
	v_cndmask_b32_e32 v0, v2, v14, vcc
; %bb.279:
	s_or_b64 exec, exec, s[0:1]
	s_mul_i32 s0, s8, 0x60
	s_ashr_i32 s1, s0, 31
	s_lshl_b64 s[0:1], s[0:1], 1
	s_add_u32 s3, s34, s0
	s_mul_i32 s0, s15, s14
	s_addc_u32 s5, s35, s1
	s_ashr_i32 s1, s0, 31
	s_lshl_b64 s[0:1], s[0:1], 1
	s_add_u32 s3, s3, s0
	s_mul_i32 s0, s4, 0x60
	s_addc_u32 s5, s5, s1
	s_ashr_i32 s1, s0, 31
	s_lshl_b64 s[0:1], s[0:1], 1
	s_movk_i32 s2, 0x60
	s_add_u32 s0, s3, s0
	s_addc_u32 s1, s5, s1
	v_cmp_gt_u32_e32 vcc, s2, v1
	global_store_short_d16_hi v10, v0, s[0:1]
	s_and_b64 exec, exec, vcc
	s_cbranch_execz .LBB318_285
; %bb.280:
	s_mov_b32 s2, 0x7f800000
	v_and_b32_e32 v0, 0x7f800000, v15
	v_mov_b32_e32 v11, 0
	v_cmp_ne_u32_e32 vcc, s2, v0
                                        ; implicit-def: $vgpr2
	s_and_saveexec_b64 s[2:3], vcc
	s_xor_b64 s[2:3], exec, s[2:3]
; %bb.281:
	v_bfe_u32 v0, v15, 16, 1
	s_movk_i32 s4, 0x7fff
	v_add3_u32 v2, v15, v0, s4
                                        ; implicit-def: $vgpr15
; %bb.282:
	s_or_saveexec_b64 s[2:3], s[2:3]
	v_lshl_add_u64 v[0:1], s[0:1], 0, v[10:11]
	s_xor_b64 exec, exec, s[2:3]
; %bb.283:
	v_mov_b32_e32 v2, 0
	v_or_b32_e32 v3, 0x10000, v15
	v_cmp_eq_u32_sdwa vcc, v15, v2 src0_sel:WORD_0 src1_sel:DWORD
	s_nop 1
	v_cndmask_b32_e32 v2, v3, v15, vcc
; %bb.284:
	s_or_b64 exec, exec, s[2:3]
	global_store_short_d16_hi v[0:1], v2, off offset:128
.LBB318_285:
	s_endpgm
	.section	.rodata,"a",@progbits
	.p2align	6, 0x0
	.amdhsa_kernel _ZN4vllm25paged_attention_v2_kernelI14__hip_bfloat16hLi96ELi8ELi128ELNS_18Fp8KVCacheDataTypeE1ELb1ELi512EEEvPfS3_PT_PKS4_PKT0_SA_ifPKiSC_iPKfiiiSE_SE_iiiii
		.amdhsa_group_segment_fixed_size 208
		.amdhsa_private_segment_fixed_size 0
		.amdhsa_kernarg_size 400
		.amdhsa_user_sgpr_count 2
		.amdhsa_user_sgpr_dispatch_ptr 0
		.amdhsa_user_sgpr_queue_ptr 0
		.amdhsa_user_sgpr_kernarg_segment_ptr 1
		.amdhsa_user_sgpr_dispatch_id 0
		.amdhsa_user_sgpr_kernarg_preload_length 0
		.amdhsa_user_sgpr_kernarg_preload_offset 0
		.amdhsa_user_sgpr_private_segment_size 0
		.amdhsa_uses_dynamic_stack 0
		.amdhsa_enable_private_segment 0
		.amdhsa_system_sgpr_workgroup_id_x 1
		.amdhsa_system_sgpr_workgroup_id_y 1
		.amdhsa_system_sgpr_workgroup_id_z 1
		.amdhsa_system_sgpr_workgroup_info 0
		.amdhsa_system_vgpr_workitem_id 0
		.amdhsa_next_free_vgpr 49
		.amdhsa_next_free_sgpr 61
		.amdhsa_accum_offset 52
		.amdhsa_reserve_vcc 1
		.amdhsa_float_round_mode_32 0
		.amdhsa_float_round_mode_16_64 0
		.amdhsa_float_denorm_mode_32 3
		.amdhsa_float_denorm_mode_16_64 3
		.amdhsa_dx10_clamp 1
		.amdhsa_ieee_mode 1
		.amdhsa_fp16_overflow 0
		.amdhsa_tg_split 0
		.amdhsa_exception_fp_ieee_invalid_op 0
		.amdhsa_exception_fp_denorm_src 0
		.amdhsa_exception_fp_ieee_div_zero 0
		.amdhsa_exception_fp_ieee_overflow 0
		.amdhsa_exception_fp_ieee_underflow 0
		.amdhsa_exception_fp_ieee_inexact 0
		.amdhsa_exception_int_div_zero 0
	.end_amdhsa_kernel
	.section	.text._ZN4vllm25paged_attention_v2_kernelI14__hip_bfloat16hLi96ELi8ELi128ELNS_18Fp8KVCacheDataTypeE1ELb1ELi512EEEvPfS3_PT_PKS4_PKT0_SA_ifPKiSC_iPKfiiiSE_SE_iiiii,"axG",@progbits,_ZN4vllm25paged_attention_v2_kernelI14__hip_bfloat16hLi96ELi8ELi128ELNS_18Fp8KVCacheDataTypeE1ELb1ELi512EEEvPfS3_PT_PKS4_PKT0_SA_ifPKiSC_iPKfiiiSE_SE_iiiii,comdat
.Lfunc_end318:
	.size	_ZN4vllm25paged_attention_v2_kernelI14__hip_bfloat16hLi96ELi8ELi128ELNS_18Fp8KVCacheDataTypeE1ELb1ELi512EEEvPfS3_PT_PKS4_PKT0_SA_ifPKiSC_iPKfiiiSE_SE_iiiii, .Lfunc_end318-_ZN4vllm25paged_attention_v2_kernelI14__hip_bfloat16hLi96ELi8ELi128ELNS_18Fp8KVCacheDataTypeE1ELb1ELi512EEEvPfS3_PT_PKS4_PKT0_SA_ifPKiSC_iPKfiiiSE_SE_iiiii
                                        ; -- End function
	.section	.AMDGPU.csdata,"",@progbits
; Kernel info:
; codeLenInByte = 9964
; NumSgprs: 67
; NumVgprs: 49
; NumAgprs: 0
; TotalNumVgprs: 49
; ScratchSize: 0
; MemoryBound: 0
; FloatMode: 240
; IeeeMode: 1
; LDSByteSize: 208 bytes/workgroup (compile time only)
; SGPRBlocks: 8
; VGPRBlocks: 6
; NumSGPRsForWavesPerEU: 67
; NumVGPRsForWavesPerEU: 49
; AccumOffset: 52
; Occupancy: 8
; WaveLimiterHint : 1
; COMPUTE_PGM_RSRC2:SCRATCH_EN: 0
; COMPUTE_PGM_RSRC2:USER_SGPR: 2
; COMPUTE_PGM_RSRC2:TRAP_HANDLER: 0
; COMPUTE_PGM_RSRC2:TGID_X_EN: 1
; COMPUTE_PGM_RSRC2:TGID_Y_EN: 1
; COMPUTE_PGM_RSRC2:TGID_Z_EN: 1
; COMPUTE_PGM_RSRC2:TIDIG_COMP_CNT: 0
; COMPUTE_PGM_RSRC3_GFX90A:ACCUM_OFFSET: 12
; COMPUTE_PGM_RSRC3_GFX90A:TG_SPLIT: 0
	.section	.text._ZN4vllm25paged_attention_v2_kernelI14__hip_bfloat16hLi112ELi8ELi128ELNS_18Fp8KVCacheDataTypeE1ELb1ELi512EEEvPfS3_PT_PKS4_PKT0_SA_ifPKiSC_iPKfiiiSE_SE_iiiii,"axG",@progbits,_ZN4vllm25paged_attention_v2_kernelI14__hip_bfloat16hLi112ELi8ELi128ELNS_18Fp8KVCacheDataTypeE1ELb1ELi512EEEvPfS3_PT_PKS4_PKT0_SA_ifPKiSC_iPKfiiiSE_SE_iiiii,comdat
	.protected	_ZN4vllm25paged_attention_v2_kernelI14__hip_bfloat16hLi112ELi8ELi128ELNS_18Fp8KVCacheDataTypeE1ELb1ELi512EEEvPfS3_PT_PKS4_PKT0_SA_ifPKiSC_iPKfiiiSE_SE_iiiii ; -- Begin function _ZN4vllm25paged_attention_v2_kernelI14__hip_bfloat16hLi112ELi8ELi128ELNS_18Fp8KVCacheDataTypeE1ELb1ELi512EEEvPfS3_PT_PKS4_PKT0_SA_ifPKiSC_iPKfiiiSE_SE_iiiii
	.globl	_ZN4vllm25paged_attention_v2_kernelI14__hip_bfloat16hLi112ELi8ELi128ELNS_18Fp8KVCacheDataTypeE1ELb1ELi512EEEvPfS3_PT_PKS4_PKT0_SA_ifPKiSC_iPKfiiiSE_SE_iiiii
	.p2align	8
	.type	_ZN4vllm25paged_attention_v2_kernelI14__hip_bfloat16hLi112ELi8ELi128ELNS_18Fp8KVCacheDataTypeE1ELb1ELi512EEEvPfS3_PT_PKS4_PKT0_SA_ifPKiSC_iPKfiiiSE_SE_iiiii,@function
_ZN4vllm25paged_attention_v2_kernelI14__hip_bfloat16hLi112ELi8ELi128ELNS_18Fp8KVCacheDataTypeE1ELb1ELi512EEEvPfS3_PT_PKS4_PKT0_SA_ifPKiSC_iPKfiiiSE_SE_iiiii: ; @_ZN4vllm25paged_attention_v2_kernelI14__hip_bfloat16hLi112ELi8ELi128ELNS_18Fp8KVCacheDataTypeE1ELb1ELi512EEEvPfS3_PT_PKS4_PKT0_SA_ifPKiSC_iPKfiiiSE_SE_iiiii
; %bb.0:
	s_load_dwordx2 s[6:7], s[0:1], 0x40
	s_mov_b32 s36, s3
	s_ashr_i32 s37, s3, 31
	s_lshl_b64 s[8:9], s[36:37], 2
	s_waitcnt lgkmcnt(0)
	s_add_u32 s6, s6, s8
	s_addc_u32 s7, s7, s9
	s_load_dword s33, s[6:7], 0x0
	s_lshl_b32 s52, s4, 9
	s_waitcnt lgkmcnt(0)
	s_cmp_ge_i32 s52, s33
	s_cbranch_scc1 .LBB319_293
; %bb.1:
	s_load_dword s5, s[0:1], 0x90
	s_load_dwordx2 s[44:45], s[0:1], 0x30
	s_mov_b32 s53, 0
	s_waitcnt lgkmcnt(0)
	s_abs_i32 s7, s5
	s_abs_i32 s3, s44
	v_cvt_f32_u32_e32 v1, s3
	s_sub_i32 s8, 0, s3
	s_xor_b32 s6, s5, s44
	s_ashr_i32 s6, s6, 31
	v_rcp_iflag_f32_e32 v1, v1
	s_nop 0
	v_mul_f32_e32 v1, 0x4f7ffffe, v1
	v_cvt_u32_f32_e32 v1, v1
	s_nop 0
	v_readfirstlane_b32 s9, v1
	s_mul_i32 s8, s8, s9
	s_mul_hi_u32 s8, s9, s8
	s_add_i32 s9, s9, s8
	s_mul_hi_u32 s8, s7, s9
	s_mul_i32 s9, s8, s3
	s_sub_i32 s7, s7, s9
	s_add_i32 s10, s8, 1
	s_sub_i32 s9, s7, s3
	s_cmp_ge_u32 s7, s3
	s_cselect_b32 s8, s10, s8
	s_cselect_b32 s7, s9, s7
	s_add_i32 s9, s8, 1
	s_cmp_ge_u32 s7, s3
	s_cselect_b32 s3, s9, s8
	s_xor_b32 s3, s3, s6
	s_sub_i32 s10, s3, s6
	s_abs_i32 s8, s10
	v_cvt_f32_u32_e32 v1, s8
	s_load_dwordx2 s[6:7], s[0:1], 0x50
	s_sub_i32 s3, 0, s8
	s_abs_i32 s9, s2
	v_rcp_iflag_f32_e32 v1, v1
	s_nop 0
	v_mul_f32_e32 v1, 0x4f7ffffe, v1
	v_cvt_u32_f32_e32 v1, v1
	s_nop 0
	v_readfirstlane_b32 s11, v1
	s_mul_i32 s3, s3, s11
	s_mul_hi_u32 s3, s11, s3
	s_add_i32 s11, s11, s3
	s_waitcnt lgkmcnt(0)
	s_cmp_eq_u64 s[6:7], 0
	s_mul_hi_u32 s12, s9, s11
	s_cbranch_scc1 .LBB319_3
; %bb.2:
	s_ashr_i32 s3, s2, 31
	s_lshl_b64 s[14:15], s[2:3], 2
	s_add_u32 s6, s6, s14
	s_addc_u32 s7, s7, s15
	s_load_dword s53, s[6:7], 0x0
.LBB319_3:
	s_load_dwordx4 s[20:23], s[0:1], 0x58
	s_movk_i32 s6, 0x70
	s_ashr_i32 s3, s2, 31
	s_ashr_i32 s13, s10, 31
	v_and_b32_e32 v2, 7, v0
	s_mul_i32 s14, s2, 0x70
	v_cmp_gt_u32_e64 s[10:11], s6, v0
	v_lshlrev_b32_e32 v10, 1, v0
	s_and_saveexec_b64 s[6:7], s[10:11]
	s_cbranch_execz .LBB319_5
; %bb.4:
	s_load_dwordx2 s[16:17], s[0:1], 0x18
	s_waitcnt lgkmcnt(0)
	s_mul_i32 s18, s36, s20
	s_ashr_i32 s19, s18, 31
	s_lshl_b64 s[18:19], s[18:19], 1
	v_lshrrev_b32_e32 v3, 2, v0
	s_add_u32 s18, s16, s18
	s_addc_u32 s19, s17, s19
	s_ashr_i32 s15, s14, 31
	s_lshl_b64 s[16:17], s[14:15], 1
	s_add_u32 s16, s18, s16
	s_addc_u32 s17, s19, s17
	global_load_ushort v1, v10, s[16:17]
	v_and_b32_e32 v3, 0xfe, v3
	v_mad_u32_u24 v3, v2, 28, v3
	s_waitcnt vmcnt(0)
	ds_write_b16 v3, v1
.LBB319_5:
	s_or_b64 exec, exec, s[6:7]
	s_mul_i32 s6, s12, s8
	s_sub_i32 s6, s9, s6
	s_xor_b32 s3, s3, s13
	s_add_i32 s7, s12, 1
	s_sub_i32 s9, s6, s8
	s_load_dwordx4 s[24:27], s[0:1], 0x78
	s_cmp_ge_u32 s6, s8
	s_cselect_b32 s7, s7, s12
	s_load_dword s12, s[0:1], 0x88
	s_cselect_b32 s6, s9, s6
	s_add_i32 s9, s7, 1
	s_cmp_ge_u32 s6, s8
	s_cselect_b32 s6, s9, s7
	s_waitcnt lgkmcnt(0)
	s_abs_i32 s37, s27
	v_cvt_f32_u32_e32 v1, s37
	s_xor_b32 s6, s6, s3
	s_sub_i32 s8, s6, s3
	s_sub_i32 s6, 0, s37
	v_rcp_iflag_f32_e32 v1, v1
	s_add_i32 s13, s33, -1
	s_abs_i32 s3, s13
	v_mul_f32_e32 v1, 0x4f7ffffe, v1
	v_cvt_u32_f32_e32 v1, v1
	s_barrier
	v_readfirstlane_b32 s50, v1
	s_mul_i32 s6, s6, s50
	s_mul_hi_u32 s6, s50, s6
	s_add_i32 s50, s50, s6
	s_cmp_lt_i32 s12, 0
	s_mul_hi_u32 s9, s3, s50
	s_cbranch_scc0 .LBB319_7
; %bb.6:
	s_mul_i32 s6, s24, s44
	s_add_i32 s6, s8, s6
	s_mul_i32 s6, s6, s12
	s_sub_i32 s44, 1, s6
	s_mov_b64 s[6:7], 0
	s_branch .LBB319_8
.LBB319_7:
	s_mov_b64 s[6:7], -1
                                        ; implicit-def: $sgpr44
.LBB319_8:
	s_load_dwordx2 s[38:39], s[0:1], 0x38
	s_ashr_i32 s13, s13, 31
	s_andn2_b64 vcc, exec, s[6:7]
	s_ashr_i32 s27, s27, 31
	s_cbranch_vccnz .LBB319_10
; %bb.9:
	s_mul_i32 s6, s5, s24
	s_add_i32 s6, s6, s2
	s_mul_i32 s6, s6, s12
	s_add_i32 s44, s6, 1
.LBB319_10:
	s_load_dwordx2 s[42:43], s[0:1], 0x28
	s_load_dword s6, s[0:1], 0x48
	s_load_dwordx4 s[28:31], s[0:1], 0x0
	s_load_dwordx2 s[34:35], s[0:1], 0x10
	s_load_dword s15, s[0:1], 0x98
	s_load_dwordx4 s[16:19], s[0:1], 0x68
	s_mul_i32 s7, s9, s37
	s_waitcnt lgkmcnt(0)
	s_mul_i32 s40, s36, s6
	s_sub_i32 s3, s3, s7
	s_ashr_i32 s41, s40, 31
	s_xor_b32 s6, s13, s27
	s_add_i32 s7, s9, 1
	s_sub_i32 s12, s3, s37
	s_cmp_ge_u32 s3, s37
	s_cselect_b32 s7, s7, s9
	s_cselect_b32 s3, s12, s3
	s_add_i32 s9, s7, 1
	s_cmp_ge_u32 s3, s37
	s_cselect_b32 s3, s9, s7
	s_xor_b32 s3, s3, s6
	s_sub_i32 s20, s3, s6
	s_add_i32 s3, s33, 7
	s_ashr_i32 s6, s3, 31
	s_lshr_b32 s6, s6, 29
	s_add_i32 s3, s3, s6
	s_lshl_b32 s54, s4, 6
	s_ashr_i32 s3, s3, 3
	s_add_i32 s6, s54, 64
	v_lshrrev_b32_e32 v23, 6, v0
	s_min_i32 s51, s6, s3
	v_or_b32_e32 v12, s54, v23
	v_cmp_gt_i32_e64 s[6:7], s51, v12
	v_mov_b32_e32 v22, 0xff7fffff
	s_mul_i32 s24, s8, s22
	v_ashrrev_i32_e32 v13, 31, v12
	v_lshl_add_u32 v1, v23, 3, s52
	v_mbcnt_lo_u32_b32 v11, -1, 0
	s_and_saveexec_b64 s[22:23], s[6:7]
	s_cbranch_execz .LBB319_76
; %bb.11:
	s_load_dwordx2 s[0:1], s[0:1], 0x20
	s_sub_i32 s55, s20, s25
	s_ashr_i32 s8, s24, 31
	v_bfe_u32 v20, v0, 3, 3
	v_mov_b32_e32 v3, 0
	s_waitcnt lgkmcnt(0)
	s_add_u32 s0, s0, s24
	s_addc_u32 s1, s1, s8
	s_abs_i32 s56, s26
	v_cvt_f32_u32_e32 v4, s56
	v_lshlrev_b32_e32 v8, 2, v20
	v_lshl_or_b32 v8, v23, 5, v8
	v_add_u32_e32 v26, 0xf0, v8
	v_rcp_iflag_f32_e32 v5, v4
	v_lshlrev_b32_e32 v4, 4, v20
	v_subrev_u32_e32 v8, s33, v20
	v_cmp_eq_u32_e32 vcc, 0, v2
	v_mul_f32_e32 v5, 0x4f7ffffe, v5
	v_cvt_u32_f32_e32 v6, v5
	v_mov_b32_e32 v5, v3
	v_lshl_add_u64 v[4:5], s[0:1], 0, v[4:5]
	s_sub_i32 s0, 0, s56
	v_mul_lo_u32 v7, s0, v6
	s_lshl_b64 s[0:1], s[40:41], 2
	s_add_u32 s0, s38, s0
	v_mul_hi_u32 v7, v6, v7
	s_addc_u32 s1, s39, s1
	s_mov_b32 s57, s21
	v_mul_u32_u24_e32 v21, 28, v2
	v_cmp_neq_f32_e64 s[8:9], s53, 0
	v_add_u32_e32 v24, v6, v7
	v_lshl_add_u64 v[6:7], v[12:13], 2, s[0:1]
	v_lshl_add_u32 v25, v23, 3, s52
	v_add_u32_e32 v27, 1, v8
	s_mov_b64 s[46:47], 0
	v_mov_b32_e32 v28, 0xff7fffff
	s_mov_b32 s58, 0x7f800000
	s_movk_i32 s59, 0x7fff
	v_mbcnt_hi_u32_b32 v29, -1, v11
	v_mov_b32_e32 v22, 0xff7fffff
	v_mov_b32_e32 v30, v12
	s_branch .LBB319_14
.LBB319_12:                             ;   in Loop: Header=BB319_14 Depth=1
	s_or_b64 exec, exec, s[48:49]
.LBB319_13:                             ;   in Loop: Header=BB319_14 Depth=1
	s_or_b64 exec, exec, s[12:13]
	v_add_u32_e32 v30, 2, v30
	v_cmp_le_i32_e64 s[0:1], s51, v30
	v_lshl_add_u64 v[6:7], v[6:7], 0, 8
	v_add_u32_e32 v25, 16, v25
	s_or_b64 s[46:47], s[0:1], s[46:47]
	v_add_u32_e32 v26, 64, v26
	s_andn2_b64 exec, exec, s[46:47]
	s_cbranch_execz .LBB319_75
.LBB319_14:                             ; =>This Inner Loop Header: Depth=1
	s_waitcnt lgkmcnt(0)
	v_sub_u32_e32 v9, 0, v25
	v_max_i32_e32 v9, v25, v9
	v_mul_hi_u32 v14, v9, s50
	v_mul_lo_u32 v15, v14, s37
	v_sub_u32_e32 v9, v9, v15
	v_add_u32_e32 v15, 1, v14
	v_cmp_le_u32_e64 s[0:1], s37, v9
	v_ashrrev_i32_e32 v8, 31, v25
	v_xor_b32_e32 v8, s27, v8
	v_cndmask_b32_e64 v14, v14, v15, s[0:1]
	v_subrev_u32_e32 v15, s37, v9
	v_cndmask_b32_e64 v9, v9, v15, s[0:1]
	v_add_u32_e32 v15, 1, v14
	v_cmp_le_u32_e64 s[0:1], s37, v9
	s_nop 1
	v_cndmask_b32_e64 v9, v14, v15, s[0:1]
	v_xor_b32_e32 v9, v9, v8
	v_sub_u32_e32 v8, v9, v8
	v_add_u32_e32 v9, s44, v8
	v_sub_u32_e32 v15, 0, v9
	v_ashrrev_i32_e32 v14, 31, v9
	v_max_i32_e32 v9, v9, v15
	v_mul_hi_u32 v15, v9, v24
	v_mul_lo_u32 v15, v15, s56
	v_sub_u32_e32 v9, v9, v15
	v_subrev_u32_e32 v15, s56, v9
	v_cmp_le_u32_e64 s[0:1], s56, v9
	v_cmp_ge_i32_e64 s[12:13], s55, v8
	s_nop 0
	v_cndmask_b32_e64 v9, v9, v15, s[0:1]
	v_subrev_u32_e32 v15, s56, v9
	v_cmp_le_u32_e64 s[0:1], s56, v9
	s_nop 1
	v_cndmask_b32_e64 v9, v9, v15, s[0:1]
	v_xor_b32_e32 v9, v9, v14
	v_sub_u32_e32 v9, v9, v14
	v_cmp_ne_u32_e64 s[0:1], 0, v9
	s_and_b64 s[0:1], s[0:1], s[12:13]
	s_and_b64 s[48:49], vcc, s[0:1]
	s_and_saveexec_b64 s[12:13], s[48:49]
	s_cbranch_execz .LBB319_16
; %bb.15:                               ;   in Loop: Header=BB319_14 Depth=1
	ds_write_b32 v26, v28
.LBB319_16:                             ;   in Loop: Header=BB319_14 Depth=1
	s_or_b64 exec, exec, s[12:13]
	s_xor_b64 s[0:1], s[0:1], -1
	s_and_saveexec_b64 s[12:13], s[0:1]
	s_cbranch_execz .LBB319_13
; %bb.17:                               ;   in Loop: Header=BB319_14 Depth=1
	global_load_dword v8, v[6:7], off
	s_load_dword s60, s[16:17], 0x0
	s_waitcnt vmcnt(0)
	v_mad_i64_i32 v[8:9], s[0:1], v8, s57, v[4:5]
	v_lshl_add_u64 v[18:19], v[8:9], 0, v[2:3]
	global_load_ubyte v8, v[18:19], off
	s_waitcnt vmcnt(0)
	v_cvt_f32_fp8_sdwa v32, v8 src0_sel:BYTE_0
	ds_read2_b32 v[16:17], v21 offset1:1
	ds_read2_b32 v[14:15], v21 offset0:2 offset1:3
	ds_read2_b32 v[8:9], v21 offset0:4 offset1:5
	ds_read_b32 v31, v21 offset:24
	s_waitcnt lgkmcnt(0)
	v_mul_f32_e32 v33, s60, v32
	v_and_b32_e32 v32, 0x7f800000, v33
	v_cmp_ne_u32_e64 s[0:1], s58, v32
                                        ; implicit-def: $vgpr32
	s_and_saveexec_b64 s[48:49], s[0:1]
	s_xor_b64 s[0:1], exec, s[48:49]
; %bb.18:                               ;   in Loop: Header=BB319_14 Depth=1
	v_bfe_u32 v32, v33, 16, 1
	v_add3_u32 v32, v33, v32, s59
                                        ; implicit-def: $vgpr33
; %bb.19:                               ;   in Loop: Header=BB319_14 Depth=1
	s_andn2_saveexec_b64 s[48:49], s[0:1]
; %bb.20:                               ;   in Loop: Header=BB319_14 Depth=1
	v_or_b32_e32 v32, 0x10000, v33
	v_cmp_eq_u32_sdwa s[0:1], v33, v3 src0_sel:WORD_0 src1_sel:DWORD
	s_nop 1
	v_cndmask_b32_e64 v32, v32, v33, s[0:1]
; %bb.21:                               ;   in Loop: Header=BB319_14 Depth=1
	s_or_b64 exec, exec, s[48:49]
	global_load_ubyte v33, v[18:19], off offset:8
	s_waitcnt vmcnt(0)
	v_cvt_f32_fp8_sdwa v33, v33 src0_sel:BYTE_0
	s_nop 0
	v_mul_f32_e32 v34, s60, v33
	v_and_b32_e32 v33, 0x7f800000, v34
	v_cmp_ne_u32_e64 s[0:1], s58, v33
                                        ; implicit-def: $vgpr33
	s_and_saveexec_b64 s[48:49], s[0:1]
	s_xor_b64 s[0:1], exec, s[48:49]
; %bb.22:                               ;   in Loop: Header=BB319_14 Depth=1
	v_bfe_u32 v33, v34, 16, 1
	v_add3_u32 v33, v34, v33, s59
                                        ; implicit-def: $vgpr34
; %bb.23:                               ;   in Loop: Header=BB319_14 Depth=1
	s_andn2_saveexec_b64 s[48:49], s[0:1]
; %bb.24:                               ;   in Loop: Header=BB319_14 Depth=1
	v_or_b32_e32 v33, 0x10000, v34
	v_cmp_eq_u32_sdwa s[0:1], v34, v3 src0_sel:WORD_0 src1_sel:DWORD
	s_nop 1
	v_cndmask_b32_e64 v33, v33, v34, s[0:1]
; %bb.25:                               ;   in Loop: Header=BB319_14 Depth=1
	s_or_b64 exec, exec, s[48:49]
	global_load_ubyte v34, v[18:19], off offset:128
	s_waitcnt vmcnt(0)
	v_cvt_f32_fp8_sdwa v34, v34 src0_sel:BYTE_0
	s_nop 0
	v_mul_f32_e32 v35, s60, v34
	v_and_b32_e32 v34, 0x7f800000, v35
	v_cmp_ne_u32_e64 s[0:1], s58, v34
                                        ; implicit-def: $vgpr34
	s_and_saveexec_b64 s[48:49], s[0:1]
	s_xor_b64 s[0:1], exec, s[48:49]
; %bb.26:                               ;   in Loop: Header=BB319_14 Depth=1
	v_bfe_u32 v34, v35, 16, 1
	v_add3_u32 v34, v35, v34, s59
                                        ; implicit-def: $vgpr35
; %bb.27:                               ;   in Loop: Header=BB319_14 Depth=1
	s_andn2_saveexec_b64 s[48:49], s[0:1]
; %bb.28:                               ;   in Loop: Header=BB319_14 Depth=1
	v_or_b32_e32 v34, 0x10000, v35
	v_cmp_eq_u32_sdwa s[0:1], v35, v3 src0_sel:WORD_0 src1_sel:DWORD
	s_nop 1
	v_cndmask_b32_e64 v34, v34, v35, s[0:1]
; %bb.29:                               ;   in Loop: Header=BB319_14 Depth=1
	s_or_b64 exec, exec, s[48:49]
	global_load_ubyte v35, v[18:19], off offset:136
	s_waitcnt vmcnt(0)
	v_cvt_f32_fp8_sdwa v35, v35 src0_sel:BYTE_0
	s_nop 0
	v_mul_f32_e32 v36, s60, v35
	v_and_b32_e32 v35, 0x7f800000, v36
	v_cmp_ne_u32_e64 s[0:1], s58, v35
                                        ; implicit-def: $vgpr35
	s_and_saveexec_b64 s[48:49], s[0:1]
	s_xor_b64 s[0:1], exec, s[48:49]
; %bb.30:                               ;   in Loop: Header=BB319_14 Depth=1
	v_bfe_u32 v35, v36, 16, 1
	v_add3_u32 v35, v36, v35, s59
                                        ; implicit-def: $vgpr36
; %bb.31:                               ;   in Loop: Header=BB319_14 Depth=1
	s_andn2_saveexec_b64 s[48:49], s[0:1]
; %bb.32:                               ;   in Loop: Header=BB319_14 Depth=1
	v_or_b32_e32 v35, 0x10000, v36
	v_cmp_eq_u32_sdwa s[0:1], v36, v3 src0_sel:WORD_0 src1_sel:DWORD
	s_nop 1
	v_cndmask_b32_e64 v35, v35, v36, s[0:1]
; %bb.33:                               ;   in Loop: Header=BB319_14 Depth=1
	s_or_b64 exec, exec, s[48:49]
	global_load_ubyte v36, v[18:19], off offset:256
	s_waitcnt vmcnt(0)
	v_cvt_f32_fp8_sdwa v36, v36 src0_sel:BYTE_0
	s_nop 0
	v_mul_f32_e32 v37, s60, v36
	v_and_b32_e32 v36, 0x7f800000, v37
	v_cmp_ne_u32_e64 s[0:1], s58, v36
                                        ; implicit-def: $vgpr36
	s_and_saveexec_b64 s[48:49], s[0:1]
	s_xor_b64 s[0:1], exec, s[48:49]
; %bb.34:                               ;   in Loop: Header=BB319_14 Depth=1
	v_bfe_u32 v36, v37, 16, 1
	v_add3_u32 v36, v37, v36, s59
                                        ; implicit-def: $vgpr37
; %bb.35:                               ;   in Loop: Header=BB319_14 Depth=1
	s_andn2_saveexec_b64 s[48:49], s[0:1]
; %bb.36:                               ;   in Loop: Header=BB319_14 Depth=1
	v_or_b32_e32 v36, 0x10000, v37
	v_cmp_eq_u32_sdwa s[0:1], v37, v3 src0_sel:WORD_0 src1_sel:DWORD
	s_nop 1
	v_cndmask_b32_e64 v36, v36, v37, s[0:1]
; %bb.37:                               ;   in Loop: Header=BB319_14 Depth=1
	s_or_b64 exec, exec, s[48:49]
	global_load_ubyte v37, v[18:19], off offset:264
	s_waitcnt vmcnt(0)
	v_cvt_f32_fp8_sdwa v37, v37 src0_sel:BYTE_0
	s_nop 0
	v_mul_f32_e32 v38, s60, v37
	v_and_b32_e32 v37, 0x7f800000, v38
	v_cmp_ne_u32_e64 s[0:1], s58, v37
                                        ; implicit-def: $vgpr37
	s_and_saveexec_b64 s[48:49], s[0:1]
	s_xor_b64 s[0:1], exec, s[48:49]
; %bb.38:                               ;   in Loop: Header=BB319_14 Depth=1
	v_bfe_u32 v37, v38, 16, 1
	v_add3_u32 v37, v38, v37, s59
                                        ; implicit-def: $vgpr38
; %bb.39:                               ;   in Loop: Header=BB319_14 Depth=1
	s_andn2_saveexec_b64 s[48:49], s[0:1]
; %bb.40:                               ;   in Loop: Header=BB319_14 Depth=1
	v_or_b32_e32 v37, 0x10000, v38
	v_cmp_eq_u32_sdwa s[0:1], v38, v3 src0_sel:WORD_0 src1_sel:DWORD
	s_nop 1
	v_cndmask_b32_e64 v37, v37, v38, s[0:1]
; %bb.41:                               ;   in Loop: Header=BB319_14 Depth=1
	s_or_b64 exec, exec, s[48:49]
	global_load_ubyte v38, v[18:19], off offset:384
	s_waitcnt vmcnt(0)
	v_cvt_f32_fp8_sdwa v38, v38 src0_sel:BYTE_0
	s_nop 0
	v_mul_f32_e32 v39, s60, v38
	v_and_b32_e32 v38, 0x7f800000, v39
	v_cmp_ne_u32_e64 s[0:1], s58, v38
                                        ; implicit-def: $vgpr38
	s_and_saveexec_b64 s[48:49], s[0:1]
	s_xor_b64 s[0:1], exec, s[48:49]
; %bb.42:                               ;   in Loop: Header=BB319_14 Depth=1
	v_bfe_u32 v38, v39, 16, 1
	v_add3_u32 v38, v39, v38, s59
                                        ; implicit-def: $vgpr39
; %bb.43:                               ;   in Loop: Header=BB319_14 Depth=1
	s_andn2_saveexec_b64 s[48:49], s[0:1]
; %bb.44:                               ;   in Loop: Header=BB319_14 Depth=1
	v_or_b32_e32 v38, 0x10000, v39
	v_cmp_eq_u32_sdwa s[0:1], v39, v3 src0_sel:WORD_0 src1_sel:DWORD
	s_nop 1
	v_cndmask_b32_e64 v38, v38, v39, s[0:1]
; %bb.45:                               ;   in Loop: Header=BB319_14 Depth=1
	s_or_b64 exec, exec, s[48:49]
	global_load_ubyte v39, v[18:19], off offset:392
	s_waitcnt vmcnt(0)
	v_cvt_f32_fp8_sdwa v39, v39 src0_sel:BYTE_0
	s_nop 0
	v_mul_f32_e32 v40, s60, v39
	v_and_b32_e32 v39, 0x7f800000, v40
	v_cmp_ne_u32_e64 s[0:1], s58, v39
                                        ; implicit-def: $vgpr39
	s_and_saveexec_b64 s[48:49], s[0:1]
	s_xor_b64 s[0:1], exec, s[48:49]
; %bb.46:                               ;   in Loop: Header=BB319_14 Depth=1
	v_bfe_u32 v39, v40, 16, 1
	v_add3_u32 v39, v40, v39, s59
                                        ; implicit-def: $vgpr40
; %bb.47:                               ;   in Loop: Header=BB319_14 Depth=1
	s_andn2_saveexec_b64 s[48:49], s[0:1]
; %bb.48:                               ;   in Loop: Header=BB319_14 Depth=1
	v_or_b32_e32 v39, 0x10000, v40
	v_cmp_eq_u32_sdwa s[0:1], v40, v3 src0_sel:WORD_0 src1_sel:DWORD
	s_nop 1
	v_cndmask_b32_e64 v39, v39, v40, s[0:1]
; %bb.49:                               ;   in Loop: Header=BB319_14 Depth=1
	s_or_b64 exec, exec, s[48:49]
	global_load_ubyte v40, v[18:19], off offset:512
	s_waitcnt vmcnt(0)
	v_cvt_f32_fp8_sdwa v40, v40 src0_sel:BYTE_0
	s_nop 0
	v_mul_f32_e32 v41, s60, v40
	v_and_b32_e32 v40, 0x7f800000, v41
	v_cmp_ne_u32_e64 s[0:1], s58, v40
                                        ; implicit-def: $vgpr40
	s_and_saveexec_b64 s[48:49], s[0:1]
	s_xor_b64 s[0:1], exec, s[48:49]
; %bb.50:                               ;   in Loop: Header=BB319_14 Depth=1
	v_bfe_u32 v40, v41, 16, 1
	v_add3_u32 v40, v41, v40, s59
                                        ; implicit-def: $vgpr41
; %bb.51:                               ;   in Loop: Header=BB319_14 Depth=1
	s_andn2_saveexec_b64 s[48:49], s[0:1]
; %bb.52:                               ;   in Loop: Header=BB319_14 Depth=1
	v_or_b32_e32 v40, 0x10000, v41
	v_cmp_eq_u32_sdwa s[0:1], v41, v3 src0_sel:WORD_0 src1_sel:DWORD
	s_nop 1
	v_cndmask_b32_e64 v40, v40, v41, s[0:1]
; %bb.53:                               ;   in Loop: Header=BB319_14 Depth=1
	s_or_b64 exec, exec, s[48:49]
	global_load_ubyte v41, v[18:19], off offset:520
	s_waitcnt vmcnt(0)
	v_cvt_f32_fp8_sdwa v41, v41 src0_sel:BYTE_0
	s_nop 0
	v_mul_f32_e32 v42, s60, v41
	v_and_b32_e32 v41, 0x7f800000, v42
	v_cmp_ne_u32_e64 s[0:1], s58, v41
                                        ; implicit-def: $vgpr41
	s_and_saveexec_b64 s[48:49], s[0:1]
	s_xor_b64 s[0:1], exec, s[48:49]
; %bb.54:                               ;   in Loop: Header=BB319_14 Depth=1
	v_bfe_u32 v41, v42, 16, 1
	v_add3_u32 v41, v42, v41, s59
                                        ; implicit-def: $vgpr42
; %bb.55:                               ;   in Loop: Header=BB319_14 Depth=1
	s_andn2_saveexec_b64 s[48:49], s[0:1]
; %bb.56:                               ;   in Loop: Header=BB319_14 Depth=1
	v_or_b32_e32 v41, 0x10000, v42
	v_cmp_eq_u32_sdwa s[0:1], v42, v3 src0_sel:WORD_0 src1_sel:DWORD
	s_nop 1
	v_cndmask_b32_e64 v41, v41, v42, s[0:1]
; %bb.57:                               ;   in Loop: Header=BB319_14 Depth=1
	s_or_b64 exec, exec, s[48:49]
	global_load_ubyte v42, v[18:19], off offset:640
	s_waitcnt vmcnt(0)
	v_cvt_f32_fp8_sdwa v42, v42 src0_sel:BYTE_0
	s_nop 0
	v_mul_f32_e32 v43, s60, v42
	v_and_b32_e32 v42, 0x7f800000, v43
	v_cmp_ne_u32_e64 s[0:1], s58, v42
                                        ; implicit-def: $vgpr42
	s_and_saveexec_b64 s[48:49], s[0:1]
	s_xor_b64 s[0:1], exec, s[48:49]
; %bb.58:                               ;   in Loop: Header=BB319_14 Depth=1
	v_bfe_u32 v42, v43, 16, 1
	v_add3_u32 v42, v43, v42, s59
                                        ; implicit-def: $vgpr43
; %bb.59:                               ;   in Loop: Header=BB319_14 Depth=1
	s_andn2_saveexec_b64 s[48:49], s[0:1]
; %bb.60:                               ;   in Loop: Header=BB319_14 Depth=1
	v_or_b32_e32 v42, 0x10000, v43
	v_cmp_eq_u32_sdwa s[0:1], v43, v3 src0_sel:WORD_0 src1_sel:DWORD
	s_nop 1
	v_cndmask_b32_e64 v42, v42, v43, s[0:1]
; %bb.61:                               ;   in Loop: Header=BB319_14 Depth=1
	s_or_b64 exec, exec, s[48:49]
	global_load_ubyte v43, v[18:19], off offset:648
	s_waitcnt vmcnt(0)
	v_cvt_f32_fp8_sdwa v43, v43 src0_sel:BYTE_0
	s_nop 0
	v_mul_f32_e32 v44, s60, v43
	v_and_b32_e32 v43, 0x7f800000, v44
	v_cmp_ne_u32_e64 s[0:1], s58, v43
                                        ; implicit-def: $vgpr43
	s_and_saveexec_b64 s[48:49], s[0:1]
	s_xor_b64 s[0:1], exec, s[48:49]
; %bb.62:                               ;   in Loop: Header=BB319_14 Depth=1
	v_bfe_u32 v43, v44, 16, 1
	v_add3_u32 v43, v44, v43, s59
                                        ; implicit-def: $vgpr44
; %bb.63:                               ;   in Loop: Header=BB319_14 Depth=1
	s_andn2_saveexec_b64 s[48:49], s[0:1]
; %bb.64:                               ;   in Loop: Header=BB319_14 Depth=1
	v_or_b32_e32 v43, 0x10000, v44
	v_cmp_eq_u32_sdwa s[0:1], v44, v3 src0_sel:WORD_0 src1_sel:DWORD
	s_nop 1
	v_cndmask_b32_e64 v43, v43, v44, s[0:1]
; %bb.65:                               ;   in Loop: Header=BB319_14 Depth=1
	s_or_b64 exec, exec, s[48:49]
	global_load_ubyte v44, v[18:19], off offset:768
	s_waitcnt vmcnt(0)
	v_cvt_f32_fp8_sdwa v44, v44 src0_sel:BYTE_0
	s_nop 0
	v_mul_f32_e32 v45, s60, v44
	v_and_b32_e32 v44, 0x7f800000, v45
	v_cmp_ne_u32_e64 s[0:1], s58, v44
                                        ; implicit-def: $vgpr44
	s_and_saveexec_b64 s[48:49], s[0:1]
	s_xor_b64 s[0:1], exec, s[48:49]
; %bb.66:                               ;   in Loop: Header=BB319_14 Depth=1
	v_bfe_u32 v44, v45, 16, 1
	v_add3_u32 v44, v45, v44, s59
                                        ; implicit-def: $vgpr45
; %bb.67:                               ;   in Loop: Header=BB319_14 Depth=1
	s_andn2_saveexec_b64 s[48:49], s[0:1]
; %bb.68:                               ;   in Loop: Header=BB319_14 Depth=1
	v_or_b32_e32 v44, 0x10000, v45
	v_cmp_eq_u32_sdwa s[0:1], v45, v3 src0_sel:WORD_0 src1_sel:DWORD
	s_nop 1
	v_cndmask_b32_e64 v44, v44, v45, s[0:1]
; %bb.69:                               ;   in Loop: Header=BB319_14 Depth=1
	s_or_b64 exec, exec, s[48:49]
	global_load_ubyte v18, v[18:19], off offset:776
	s_waitcnt vmcnt(0)
	v_cvt_f32_fp8_sdwa v18, v18 src0_sel:BYTE_0
	s_nop 0
	v_mul_f32_e32 v19, s60, v18
	v_and_b32_e32 v18, 0x7f800000, v19
	v_cmp_ne_u32_e64 s[0:1], s58, v18
                                        ; implicit-def: $vgpr18
	s_and_saveexec_b64 s[48:49], s[0:1]
	s_xor_b64 s[0:1], exec, s[48:49]
; %bb.70:                               ;   in Loop: Header=BB319_14 Depth=1
	v_bfe_u32 v18, v19, 16, 1
	v_add3_u32 v18, v19, v18, s59
                                        ; implicit-def: $vgpr19
; %bb.71:                               ;   in Loop: Header=BB319_14 Depth=1
	s_andn2_saveexec_b64 s[48:49], s[0:1]
; %bb.72:                               ;   in Loop: Header=BB319_14 Depth=1
	v_or_b32_e32 v18, 0x10000, v19
	v_cmp_eq_u32_sdwa s[0:1], v19, v3 src0_sel:WORD_0 src1_sel:DWORD
	s_nop 1
	v_cndmask_b32_e64 v18, v18, v19, s[0:1]
; %bb.73:                               ;   in Loop: Header=BB319_14 Depth=1
	s_or_b64 exec, exec, s[48:49]
	v_and_b32_e32 v19, 0xffff0000, v44
	v_and_b32_e32 v33, 0xffff0000, v33
	v_lshlrev_b32_e32 v44, 16, v16
	v_and_b32_e32 v16, 0xffff0000, v16
	v_and_b32_e32 v32, 0xffff0000, v32
	v_mul_f32_e32 v16, v16, v33
	v_and_b32_e32 v34, 0xffff0000, v34
	v_lshlrev_b32_e32 v45, 16, v17
	v_fmac_f32_e32 v16, v44, v32
	v_and_b32_e32 v35, 0xffff0000, v35
	v_and_b32_e32 v17, 0xffff0000, v17
	v_fmac_f32_e32 v16, v45, v34
	v_and_b32_e32 v36, 0xffff0000, v36
	v_lshlrev_b32_e32 v46, 16, v14
	v_fmac_f32_e32 v16, v17, v35
	v_and_b32_e32 v37, 0xffff0000, v37
	v_and_b32_e32 v14, 0xffff0000, v14
	v_fmac_f32_e32 v16, v46, v36
	;; [unrolled: 6-line block ×4, first 2 shown]
	v_and_b32_e32 v42, 0xffff0000, v42
	v_lshlrev_b32_e32 v49, 16, v9
	v_and_b32_e32 v51, 64, v29
	v_fmac_f32_e32 v16, v8, v41
	v_and_b32_e32 v43, 0xffff0000, v43
	v_and_b32_e32 v9, 0xffff0000, v9
	v_add_u32_e32 v51, 64, v51
	v_xor_b32_e32 v52, 4, v29
	v_fmac_f32_e32 v16, v49, v42
	v_lshlrev_b32_e32 v50, 16, v31
	v_cmp_lt_i32_e64 s[0:1], v52, v51
	v_fmac_f32_e32 v16, v9, v43
	v_and_b32_e32 v31, 0xffff0000, v31
	v_cndmask_b32_e64 v52, v29, v52, s[0:1]
	v_and_b32_e32 v18, 0xffff0000, v18
	v_fmac_f32_e32 v16, v50, v19
	v_lshlrev_b32_e32 v52, 2, v52
	v_fmac_f32_e32 v16, v31, v18
	ds_bpermute_b32 v8, v52, v16
	v_xor_b32_e32 v9, 2, v29
	v_cmp_lt_i32_e64 s[0:1], v9, v51
	v_xor_b32_e32 v14, 1, v29
	s_waitcnt lgkmcnt(0)
	v_add_f32_e32 v8, v16, v8
	v_cndmask_b32_e64 v9, v29, v9, s[0:1]
	v_lshlrev_b32_e32 v9, 2, v9
	ds_bpermute_b32 v9, v9, v8
	v_cmp_lt_i32_e64 s[0:1], v14, v51
	s_waitcnt lgkmcnt(0)
	v_add_f32_e32 v8, v8, v9
	v_cndmask_b32_e64 v14, v29, v14, s[0:1]
	v_lshlrev_b32_e32 v14, 2, v14
	ds_bpermute_b32 v9, v14, v8
	s_and_saveexec_b64 s[48:49], vcc
	s_cbranch_execz .LBB319_12
; %bb.74:                               ;   in Loop: Header=BB319_14 Depth=1
	v_add_u32_e32 v14, v27, v25
	v_cvt_f32_i32_e32 v14, v14
	s_waitcnt lgkmcnt(0)
	v_add_f32_e32 v8, v8, v9
	v_add_u32_e32 v15, v20, v25
	v_cmp_gt_i32_e64 s[0:1], s33, v15
	v_mul_f32_e32 v9, s53, v14
	v_cndmask_b32_e64 v9, 0, v9, s[8:9]
	v_fmac_f32_e32 v9, s45, v8
	v_cndmask_b32_e64 v8, 0, v9, s[0:1]
	ds_write_b32 v26, v8
	v_max_f32_e32 v8, v22, v22
	v_max_f32_e32 v8, v8, v9
	v_cndmask_b32_e64 v22, v22, v8, s[0:1]
	s_branch .LBB319_12
.LBB319_75:
	s_or_b64 exec, exec, s[46:47]
.LBB319_76:
	s_or_b64 exec, exec, s[22:23]
	v_mbcnt_hi_u32_b32 v2, -1, v11
	v_and_b32_e32 v3, 64, v2
	v_add_u32_e32 v3, 64, v3
	v_xor_b32_e32 v4, 32, v2
	v_cmp_lt_i32_e32 vcc, v4, v3
	v_xor_b32_e32 v7, 16, v2
	v_max_f32_e32 v5, v22, v22
	v_cndmask_b32_e32 v4, v2, v4, vcc
	v_lshlrev_b32_e32 v6, 2, v4
	ds_bpermute_b32 v4, v6, v22
	v_cmp_lt_i32_e32 vcc, v7, v3
	v_and_b32_e32 v11, 63, v0
	s_waitcnt lgkmcnt(0)
	v_max_f32_e32 v4, v4, v4
	v_max_f32_e32 v4, v5, v4
	v_cndmask_b32_e32 v5, v2, v7, vcc
	v_lshlrev_b32_e32 v8, 2, v5
	ds_bpermute_b32 v5, v8, v4
	v_xor_b32_e32 v7, 8, v2
	v_cmp_lt_i32_e32 vcc, v7, v3
	s_waitcnt lgkmcnt(0)
	v_max_f32_e32 v5, v5, v5
	v_max_f32_e32 v4, v4, v5
	v_cndmask_b32_e32 v5, v2, v7, vcc
	v_lshlrev_b32_e32 v9, 2, v5
	ds_bpermute_b32 v7, v9, v4
	v_cmp_eq_u32_e32 vcc, 0, v11
	v_lshlrev_b32_e32 v5, 2, v23
	s_and_saveexec_b64 s[0:1], vcc
	s_cbranch_execz .LBB319_78
; %bb.77:
	s_waitcnt lgkmcnt(0)
	v_max_f32_e32 v7, v7, v7
	v_max_f32_e32 v4, v4, v4
	;; [unrolled: 1-line block ×3, first 2 shown]
	ds_write_b32 v5, v4 offset:224
.LBB319_78:
	s_or_b64 exec, exec, s[0:1]
	v_cmp_gt_u32_e64 s[0:1], 2, v11
	v_mov_b32_e32 v4, 0xff7fffff
	s_waitcnt lgkmcnt(0)
	v_lshlrev_b32_e32 v7, 2, v11
	s_barrier
	s_and_saveexec_b64 s[8:9], s[0:1]
	s_cbranch_execz .LBB319_80
; %bb.79:
	ds_read_b32 v4, v7 offset:224
.LBB319_80:
	s_or_b64 exec, exec, s[8:9]
	v_xor_b32_e32 v14, 1, v2
	v_cmp_lt_i32_e64 s[8:9], v14, v3
	v_mov_b32_e32 v16, 0
	s_nop 0
	v_cndmask_b32_e64 v14, v2, v14, s[8:9]
	v_lshlrev_b32_e32 v14, 2, v14
	s_waitcnt lgkmcnt(0)
	ds_bpermute_b32 v15, v14, v4
	v_max_f32_e32 v4, v4, v4
	s_sub_i32 s8, s51, s54
	s_lshl_b32 s8, s8, 3
	s_add_i32 s8, s8, s52
	s_waitcnt lgkmcnt(0)
	v_max_f32_e32 v15, v15, v15
	v_max_f32_e32 v4, v4, v15
	v_lshlrev_b32_e32 v15, 2, v2
	v_and_b32_e32 v15, 0x100, v15
	ds_bpermute_b32 v4, v15, v4
	s_min_i32 s46, s8, s33
	s_sub_i32 s45, s46, s52
	v_cmp_gt_i32_e64 s[8:9], s45, v0
	s_and_saveexec_b64 s[16:17], s[8:9]
	s_cbranch_execz .LBB319_84
; %bb.81:
	v_mov_b32_e32 v16, 0xf0
	v_lshl_add_u32 v17, v0, 2, v16
	s_mov_b64 s[22:23], 0
	v_mov_b32_e32 v16, 0
	v_mov_b32_e32 v18, v0
.LBB319_82:                             ; =>This Inner Loop Header: Depth=1
	ds_read_b32 v19, v17
	v_add_u32_e32 v18, 0x80, v18
	v_cmp_le_i32_e64 s[12:13], s45, v18
	s_or_b64 s[22:23], s[12:13], s[22:23]
	s_waitcnt lgkmcnt(0)
	v_sub_f32_e32 v19, v19, v4
	v_mul_f32_e32 v19, 0x3fb8aa3b, v19
	v_exp_f32_e32 v19, v19
	ds_write_b32 v17, v19
	v_add_f32_e32 v16, v16, v19
	v_add_u32_e32 v17, 0x200, v17
	s_andn2_b64 exec, exec, s[22:23]
	s_cbranch_execnz .LBB319_82
; %bb.83:
	s_or_b64 exec, exec, s[22:23]
.LBB319_84:
	s_or_b64 exec, exec, s[16:17]
	ds_bpermute_b32 v6, v6, v16
	s_waitcnt lgkmcnt(0)
	v_add_f32_e32 v6, v16, v6
	ds_bpermute_b32 v8, v8, v6
	s_waitcnt lgkmcnt(0)
	v_add_f32_e32 v6, v6, v8
	ds_bpermute_b32 v8, v9, v6
	v_xor_b32_e32 v9, 4, v2
	v_cmp_lt_i32_e64 s[12:13], v9, v3
	s_waitcnt lgkmcnt(0)
	v_add_f32_e32 v6, v6, v8
	v_cndmask_b32_e64 v9, v2, v9, s[12:13]
	v_lshlrev_b32_e32 v9, 2, v9
	ds_bpermute_b32 v8, v9, v6
	v_xor_b32_e32 v9, 2, v2
	v_cmp_lt_i32_e64 s[12:13], v9, v3
	s_waitcnt lgkmcnt(0)
	v_add_f32_e32 v3, v6, v8
	v_cndmask_b32_e64 v2, v2, v9, s[12:13]
	v_lshlrev_b32_e32 v2, 2, v2
	ds_bpermute_b32 v2, v2, v3
	s_waitcnt lgkmcnt(0)
	v_add_f32_e32 v2, v3, v2
	ds_bpermute_b32 v3, v14, v2
	s_waitcnt lgkmcnt(0)
	v_add_f32_e32 v2, v2, v3
	s_and_saveexec_b64 s[12:13], vcc
	s_cbranch_execz .LBB319_86
; %bb.85:
	ds_write_b32 v5, v2 offset:232
.LBB319_86:
	s_or_b64 exec, exec, s[12:13]
	s_waitcnt lgkmcnt(0)
	s_barrier
	s_and_saveexec_b64 s[12:13], s[0:1]
	s_cbranch_execz .LBB319_88
; %bb.87:
	ds_read_b32 v2, v7 offset:232
.LBB319_88:
	s_or_b64 exec, exec, s[12:13]
	s_waitcnt lgkmcnt(0)
	ds_bpermute_b32 v3, v14, v2
	s_waitcnt lgkmcnt(0)
	v_add_f32_e32 v2, v2, v3
	ds_bpermute_b32 v5, v15, v2
	s_and_saveexec_b64 s[0:1], s[8:9]
	s_cbranch_execz .LBB319_101
; %bb.89:
	s_waitcnt lgkmcnt(0)
	v_add_f32_e32 v2, 0x358637bd, v5
	v_div_scale_f32 v3, s[8:9], v2, v2, 1.0
	v_rcp_f32_e32 v6, v3
	v_div_scale_f32 v7, vcc, 1.0, v2, 1.0
	s_movk_i32 s8, 0x7f
	v_fma_f32 v8, -v3, v6, 1.0
	v_fmac_f32_e32 v6, v8, v6
	v_mul_f32_e32 v8, v7, v6
	v_fma_f32 v9, -v3, v8, v7
	v_fmac_f32_e32 v8, v9, v6
	v_fma_f32 v3, -v3, v8, v7
	v_div_fmas_f32 v3, v3, v6, v8
	v_div_fixup_f32 v2, v3, v2, 1.0
	v_xad_u32 v3, v0, -1, s46
	v_subrev_u32_e32 v6, s52, v3
	v_cmp_lt_u32_e32 vcc, s8, v6
	s_mov_b64 s[12:13], -1
	v_mov_b32_e32 v3, v0
	s_and_saveexec_b64 s[8:9], vcc
	s_cbranch_execz .LBB319_98
; %bb.90:
	v_lshrrev_b32_e32 v6, 7, v6
	v_add_u32_e32 v8, -1, v6
	v_lshrrev_b32_e32 v7, 1, v8
	v_mov_b32_e32 v3, v2
	v_add_u32_e32 v7, 1, v7
	v_cmp_lt_u32_e32 vcc, 13, v8
	v_mov_b32_e32 v14, 0
	s_and_saveexec_b64 s[12:13], vcc
	s_cbranch_execz .LBB319_94
; %bb.91:
	v_mov_b32_e32 v9, 0xf0
	v_and_b32_e32 v8, -8, v7
	v_lshl_add_u32 v9, v0, 2, v9
	s_mov_b32 s22, 0
	s_mov_b64 s[16:17], 0
.LBB319_92:                             ; =>This Inner Loop Header: Depth=1
	ds_read2st64_b32 v[14:15], v9 offset1:2
	ds_read2st64_b32 v[16:17], v9 offset0:4 offset1:6
	ds_read2st64_b32 v[18:19], v9 offset0:8 offset1:10
	;; [unrolled: 1-line block ×3, first 2 shown]
	v_add_u32_e32 v8, -8, v8
	s_waitcnt lgkmcnt(3)
	v_pk_mul_f32 v[14:15], v[2:3], v[14:15]
	s_waitcnt lgkmcnt(2)
	v_pk_mul_f32 v[16:17], v[2:3], v[16:17]
	ds_write2st64_b32 v9, v14, v15 offset1:2
	ds_write2st64_b32 v9, v16, v17 offset0:4 offset1:6
	ds_read2st64_b32 v[16:17], v9 offset0:16 offset1:18
	s_waitcnt lgkmcnt(4)
	v_pk_mul_f32 v[14:15], v[2:3], v[18:19]
	ds_write2st64_b32 v9, v14, v15 offset0:8 offset1:10
	s_waitcnt lgkmcnt(4)
	v_pk_mul_f32 v[14:15], v[2:3], v[20:21]
	ds_write2st64_b32 v9, v14, v15 offset0:12 offset1:14
	ds_read2st64_b32 v[14:15], v9 offset0:20 offset1:22
	s_waitcnt lgkmcnt(3)
	v_pk_mul_f32 v[16:17], v[2:3], v[16:17]
	ds_read2st64_b32 v[18:19], v9 offset0:24 offset1:26
	ds_write2st64_b32 v9, v16, v17 offset0:16 offset1:18
	ds_read2st64_b32 v[16:17], v9 offset0:28 offset1:30
	s_waitcnt lgkmcnt(3)
	v_pk_mul_f32 v[14:15], v[2:3], v[14:15]
	ds_write2st64_b32 v9, v14, v15 offset0:20 offset1:22
	s_waitcnt lgkmcnt(3)
	v_pk_mul_f32 v[14:15], v[2:3], v[18:19]
	ds_write2st64_b32 v9, v14, v15 offset0:24 offset1:26
	s_waitcnt lgkmcnt(2)
	v_pk_mul_f32 v[14:15], v[2:3], v[16:17]
	s_add_i32 s22, s22, 16
	v_cmp_eq_u32_e32 vcc, 0, v8
	ds_write2st64_b32 v9, v14, v15 offset0:28 offset1:30
	v_add_u32_e32 v9, 0x2000, v9
	s_or_b64 s[16:17], vcc, s[16:17]
	v_mov_b32_e32 v14, s22
	s_andn2_b64 exec, exec, s[16:17]
	s_cbranch_execnz .LBB319_92
; %bb.93:
	s_or_b64 exec, exec, s[16:17]
.LBB319_94:
	s_or_b64 exec, exec, s[12:13]
	v_and_b32_e32 v7, 7, v7
	v_cmp_ne_u32_e32 vcc, 0, v7
	s_and_saveexec_b64 s[12:13], vcc
	s_cbranch_execz .LBB319_97
; %bb.95:
	v_lshlrev_b32_e32 v8, 9, v14
	v_lshlrev_b32_e32 v9, 2, v0
	s_movk_i32 s16, 0xf0
	v_add3_u32 v8, v8, v9, s16
	s_mov_b64 s[16:17], 0
.LBB319_96:                             ; =>This Inner Loop Header: Depth=1
	ds_read2st64_b32 v[14:15], v8 offset1:2
	v_add_u32_e32 v7, -1, v7
	v_cmp_eq_u32_e32 vcc, 0, v7
	s_or_b64 s[16:17], vcc, s[16:17]
	s_waitcnt lgkmcnt(0)
	v_pk_mul_f32 v[14:15], v[2:3], v[14:15]
	ds_write2st64_b32 v8, v14, v15 offset1:2
	v_add_u32_e32 v8, 0x400, v8
	s_andn2_b64 exec, exec, s[16:17]
	s_cbranch_execnz .LBB319_96
.LBB319_97:
	s_or_b64 exec, exec, s[12:13]
	v_add_u32_e32 v6, 1, v6
	v_and_b32_e32 v7, 0x3fffffe, v6
	v_cmp_ne_u32_e32 vcc, v6, v7
	v_lshl_add_u32 v3, v7, 7, v0
	s_orn2_b64 s[12:13], vcc, exec
.LBB319_98:
	s_or_b64 exec, exec, s[8:9]
	s_and_b64 exec, exec, s[12:13]
	s_cbranch_execz .LBB319_101
; %bb.99:
	v_mov_b32_e32 v6, 0xf0
	v_lshl_add_u32 v6, v3, 2, v6
	s_mov_b64 s[8:9], 0
.LBB319_100:                            ; =>This Inner Loop Header: Depth=1
	ds_read_b32 v7, v6
	v_add_u32_e32 v3, 0x80, v3
	v_cmp_le_i32_e32 vcc, s45, v3
	s_or_b64 s[8:9], vcc, s[8:9]
	s_waitcnt lgkmcnt(0)
	v_mul_f32_e32 v7, v2, v7
	ds_write_b32 v6, v7
	v_add_u32_e32 v6, 0x200, v6
	s_andn2_b64 exec, exec, s[8:9]
	s_cbranch_execnz .LBB319_100
.LBB319_101:
	s_or_b64 exec, exec, s[0:1]
	s_mul_i32 s0, s15, s36
	v_cmp_eq_u32_e32 vcc, 0, v0
	s_mul_i32 s8, s0, s5
	s_waitcnt lgkmcnt(0)
	s_barrier
	s_and_saveexec_b64 s[0:1], vcc
	s_cbranch_execz .LBB319_103
; %bb.102:
	s_ashr_i32 s9, s8, 31
	s_lshl_b64 s[12:13], s[8:9], 2
	s_add_u32 s5, s30, s12
	s_mul_i32 s16, s15, s2
	s_addc_u32 s9, s31, s13
	s_ashr_i32 s17, s16, 31
	s_lshl_b64 s[16:17], s[16:17], 2
	s_add_u32 s2, s5, s16
	s_addc_u32 s9, s9, s17
	s_ashr_i32 s5, s4, 31
	s_lshl_b64 s[22:23], s[4:5], 2
	s_add_u32 s30, s2, s22
	s_addc_u32 s31, s9, s23
	s_add_u32 s2, s28, s12
	s_addc_u32 s5, s29, s13
	;; [unrolled: 2-line block ×3, first 2 shown]
	s_add_u32 s12, s2, s22
	v_mov_b32_e32 v2, 0
	s_addc_u32 s13, s5, s23
	global_store_dword v2, v4, s[30:31]
	global_store_dword v2, v5, s[12:13]
.LBB319_103:
	s_or_b64 exec, exec, s[0:1]
	v_mov_b32_e32 v15, 0
	v_mov_b32_e32 v14, v15
	s_and_saveexec_b64 s[12:13], s[6:7]
	s_cbranch_execz .LBB319_275
; %bb.104:
	s_sub_i32 s5, s20, s25
	s_ashr_i32 s0, s24, 31
	s_add_u32 s6, s42, s24
	s_addc_u32 s7, s43, s0
	s_abs_i32 s26, s26
	v_cvt_f32_u32_e32 v2, s26
	v_or_b32_e32 v3, 64, v11
	s_movk_i32 s0, 0x70
	v_cmp_gt_u32_e32 vcc, s0, v3
	v_rcp_iflag_f32_e32 v2, v2
	s_sub_i32 s0, 0, s26
	s_add_i32 s28, s3, -1
	v_lshlrev_b32_e32 v18, 3, v3
	v_mul_f32_e32 v2, 0x4f7ffffe, v2
	v_cvt_u32_f32_e32 v2, v2
	v_mov_b32_e32 v17, 0
	s_mov_b32 s9, s21
	v_lshlrev_b32_e32 v16, 3, v11
	v_mul_lo_u32 v3, s0, v2
	s_lshl_b64 s[0:1], s[40:41], 2
	v_mul_hi_u32 v3, v2, v3
	s_add_u32 s0, s38, s0
	v_add_u32_e32 v22, v2, v3
	s_addc_u32 s1, s39, s1
	v_mov_b32_e32 v2, 0xf0
	v_mov_b32_e32 v19, v17
	v_lshl_add_u64 v[20:21], v[12:13], 2, s[0:1]
	v_lshl_add_u32 v13, v23, 5, v2
	s_mov_b64 s[16:17], 0
	s_mov_b32 s29, 0x7f800000
	s_movk_i32 s30, 0x7fff
	v_mov_b32_e32 v14, v17
	v_mov_b32_e32 v15, v17
	s_branch .LBB319_108
.LBB319_105:                            ;   in Loop: Header=BB319_108 Depth=1
	s_or_b64 exec, exec, s[2:3]
	v_and_b32_e32 v27, 0xffff0000, v5
	v_and_b32_e32 v26, 0xffff0000, v9
	v_and_b32_e32 v9, 0xffff0000, v8
	v_and_b32_e32 v8, 0xffff0000, v6
	v_and_b32_e32 v5, 0xffff0000, v7
	v_and_b32_e32 v4, 0xffff0000, v4
	v_pk_add_f32 v[4:5], v[4:5], v[8:9]
	v_and_b32_e32 v25, 0xffff0000, v24
	v_and_b32_e32 v24, 0xffff0000, v23
	v_mov_b32_e32 v6, v5
	v_pk_add_f32 v[4:5], v[4:5], v[6:7]
	v_pk_add_f32 v[6:7], v[26:27], v[24:25]
	s_nop 0
	v_pk_add_f32 v[4:5], v[4:5], v[6:7]
	v_mov_b32_e32 v6, v7
	v_pk_add_f32 v[4:5], v[4:5], v[6:7]
	s_nop 0
	v_mov_b32_e32 v3, v4
	v_pk_add_f32 v[14:15], v[14:15], v[2:3]
.LBB319_106:                            ;   in Loop: Header=BB319_108 Depth=1
	s_or_b64 exec, exec, s[22:23]
	v_mov_b32_e32 v14, v2
.LBB319_107:                            ;   in Loop: Header=BB319_108 Depth=1
	s_or_b64 exec, exec, s[20:21]
	v_add_u32_e32 v12, 2, v12
	v_cmp_le_i32_e64 s[0:1], s51, v12
	v_lshl_add_u64 v[20:21], v[20:21], 0, 8
	v_add_u32_e32 v1, 16, v1
	s_or_b64 s[16:17], s[0:1], s[16:17]
	v_add_u32_e32 v13, 64, v13
	s_andn2_b64 exec, exec, s[16:17]
	s_cbranch_execz .LBB319_274
.LBB319_108:                            ; =>This Inner Loop Header: Depth=1
	v_sub_u32_e32 v3, 0, v1
	v_max_i32_e32 v3, v1, v3
	v_mul_hi_u32 v4, v3, s50
	v_mul_lo_u32 v5, v4, s37
	v_sub_u32_e32 v3, v3, v5
	v_add_u32_e32 v5, 1, v4
	v_cmp_le_u32_e64 s[0:1], s37, v3
	v_ashrrev_i32_e32 v2, 31, v1
	v_xor_b32_e32 v2, s27, v2
	v_cndmask_b32_e64 v4, v4, v5, s[0:1]
	v_subrev_u32_e32 v5, s37, v3
	v_cndmask_b32_e64 v3, v3, v5, s[0:1]
	v_add_u32_e32 v5, 1, v4
	v_cmp_le_u32_e64 s[0:1], s37, v3
	s_nop 1
	v_cndmask_b32_e64 v3, v4, v5, s[0:1]
	v_xor_b32_e32 v3, v3, v2
	v_sub_u32_e32 v2, v3, v2
	v_add_u32_e32 v3, s44, v2
	v_sub_u32_e32 v5, 0, v3
	v_ashrrev_i32_e32 v4, 31, v3
	v_max_i32_e32 v3, v3, v5
	v_mul_hi_u32 v5, v3, v22
	v_mul_lo_u32 v5, v5, s26
	v_sub_u32_e32 v3, v3, v5
	v_subrev_u32_e32 v5, s26, v3
	v_cmp_le_u32_e64 s[0:1], s26, v3
	v_cmp_lt_i32_e64 s[2:3], s5, v2
	s_nop 0
	v_cndmask_b32_e64 v3, v3, v5, s[0:1]
	v_subrev_u32_e32 v5, s26, v3
	v_cmp_le_u32_e64 s[0:1], s26, v3
	s_nop 1
	v_cndmask_b32_e64 v3, v3, v5, s[0:1]
	v_xor_b32_e32 v3, v3, v4
	v_sub_u32_e32 v3, v3, v4
	v_cmp_eq_u32_e64 s[0:1], 0, v3
	s_or_b64 s[0:1], s[0:1], s[2:3]
	s_and_saveexec_b64 s[20:21], s[0:1]
	s_cbranch_execz .LBB319_107
; %bb.109:                              ;   in Loop: Header=BB319_108 Depth=1
	global_load_dword v31, v[20:21], off
	ds_read2_b64 v[6:9], v13 offset1:1
	ds_read2_b64 v[2:5], v13 offset0:2 offset1:3
                                        ; implicit-def: $vgpr30
	s_waitcnt lgkmcnt(1)
	v_and_b32_e32 v23, 0x7f800000, v6
	v_cmp_ne_u32_e64 s[0:1], s29, v23
	s_and_saveexec_b64 s[2:3], s[0:1]
	s_xor_b64 s[0:1], exec, s[2:3]
; %bb.110:                              ;   in Loop: Header=BB319_108 Depth=1
	v_bfe_u32 v23, v6, 16, 1
	v_add3_u32 v30, v6, v23, s30
; %bb.111:                              ;   in Loop: Header=BB319_108 Depth=1
	s_andn2_saveexec_b64 s[2:3], s[0:1]
; %bb.112:                              ;   in Loop: Header=BB319_108 Depth=1
	v_or_b32_e32 v23, 0x10000, v6
	v_cmp_eq_u32_sdwa s[0:1], v6, v17 src0_sel:WORD_0 src1_sel:DWORD
	s_nop 1
	v_cndmask_b32_e64 v30, v23, v6, s[0:1]
; %bb.113:                              ;   in Loop: Header=BB319_108 Depth=1
	s_or_b64 exec, exec, s[2:3]
	v_and_b32_e32 v6, 0x7f800000, v7
	v_cmp_ne_u32_e64 s[0:1], s29, v6
                                        ; implicit-def: $vgpr29
	s_and_saveexec_b64 s[2:3], s[0:1]
	s_xor_b64 s[0:1], exec, s[2:3]
; %bb.114:                              ;   in Loop: Header=BB319_108 Depth=1
	v_bfe_u32 v6, v7, 16, 1
	v_add3_u32 v29, v7, v6, s30
; %bb.115:                              ;   in Loop: Header=BB319_108 Depth=1
	s_andn2_saveexec_b64 s[2:3], s[0:1]
; %bb.116:                              ;   in Loop: Header=BB319_108 Depth=1
	v_or_b32_e32 v6, 0x10000, v7
	v_cmp_eq_u32_sdwa s[0:1], v7, v17 src0_sel:WORD_0 src1_sel:DWORD
	s_nop 1
	v_cndmask_b32_e64 v29, v6, v7, s[0:1]
; %bb.117:                              ;   in Loop: Header=BB319_108 Depth=1
	s_or_b64 exec, exec, s[2:3]
	v_and_b32_e32 v6, 0x7f800000, v8
	v_cmp_ne_u32_e64 s[0:1], s29, v6
                                        ; implicit-def: $vgpr28
	s_and_saveexec_b64 s[2:3], s[0:1]
	s_xor_b64 s[0:1], exec, s[2:3]
; %bb.118:                              ;   in Loop: Header=BB319_108 Depth=1
	v_bfe_u32 v6, v8, 16, 1
	v_add3_u32 v28, v8, v6, s30
; %bb.119:                              ;   in Loop: Header=BB319_108 Depth=1
	s_andn2_saveexec_b64 s[2:3], s[0:1]
; %bb.120:                              ;   in Loop: Header=BB319_108 Depth=1
	v_or_b32_e32 v6, 0x10000, v8
	v_cmp_eq_u32_sdwa s[0:1], v8, v17 src0_sel:WORD_0 src1_sel:DWORD
	s_nop 1
	v_cndmask_b32_e64 v28, v6, v8, s[0:1]
; %bb.121:                              ;   in Loop: Header=BB319_108 Depth=1
	s_or_b64 exec, exec, s[2:3]
	v_and_b32_e32 v6, 0x7f800000, v9
	v_cmp_ne_u32_e64 s[0:1], s29, v6
                                        ; implicit-def: $vgpr27
	s_and_saveexec_b64 s[2:3], s[0:1]
	s_xor_b64 s[0:1], exec, s[2:3]
; %bb.122:                              ;   in Loop: Header=BB319_108 Depth=1
	v_bfe_u32 v6, v9, 16, 1
	v_add3_u32 v27, v9, v6, s30
                                        ; implicit-def: $vgpr6_vgpr7_vgpr8_vgpr9
; %bb.123:                              ;   in Loop: Header=BB319_108 Depth=1
	s_andn2_saveexec_b64 s[2:3], s[0:1]
; %bb.124:                              ;   in Loop: Header=BB319_108 Depth=1
	v_or_b32_e32 v6, 0x10000, v9
	v_cmp_eq_u32_sdwa s[0:1], v9, v17 src0_sel:WORD_0 src1_sel:DWORD
	s_nop 1
	v_cndmask_b32_e64 v27, v6, v9, s[0:1]
; %bb.125:                              ;   in Loop: Header=BB319_108 Depth=1
	s_or_b64 exec, exec, s[2:3]
	s_waitcnt lgkmcnt(0)
	v_and_b32_e32 v6, 0x7f800000, v2
	v_cmp_ne_u32_e64 s[0:1], s29, v6
                                        ; implicit-def: $vgpr23
	s_and_saveexec_b64 s[2:3], s[0:1]
	s_xor_b64 s[0:1], exec, s[2:3]
; %bb.126:                              ;   in Loop: Header=BB319_108 Depth=1
	v_bfe_u32 v6, v2, 16, 1
	v_add3_u32 v23, v2, v6, s30
; %bb.127:                              ;   in Loop: Header=BB319_108 Depth=1
	s_andn2_saveexec_b64 s[2:3], s[0:1]
; %bb.128:                              ;   in Loop: Header=BB319_108 Depth=1
	v_or_b32_e32 v6, 0x10000, v2
	v_cmp_eq_u32_sdwa s[0:1], v2, v17 src0_sel:WORD_0 src1_sel:DWORD
	s_nop 1
	v_cndmask_b32_e64 v23, v6, v2, s[0:1]
; %bb.129:                              ;   in Loop: Header=BB319_108 Depth=1
	s_or_b64 exec, exec, s[2:3]
	v_and_b32_e32 v2, 0x7f800000, v3
	v_cmp_ne_u32_e64 s[0:1], s29, v2
                                        ; implicit-def: $vgpr24
	s_and_saveexec_b64 s[2:3], s[0:1]
	s_xor_b64 s[0:1], exec, s[2:3]
; %bb.130:                              ;   in Loop: Header=BB319_108 Depth=1
	v_bfe_u32 v2, v3, 16, 1
	v_add3_u32 v24, v3, v2, s30
; %bb.131:                              ;   in Loop: Header=BB319_108 Depth=1
	s_andn2_saveexec_b64 s[2:3], s[0:1]
; %bb.132:                              ;   in Loop: Header=BB319_108 Depth=1
	v_or_b32_e32 v2, 0x10000, v3
	v_cmp_eq_u32_sdwa s[0:1], v3, v17 src0_sel:WORD_0 src1_sel:DWORD
	s_nop 1
	v_cndmask_b32_e64 v24, v2, v3, s[0:1]
; %bb.133:                              ;   in Loop: Header=BB319_108 Depth=1
	s_or_b64 exec, exec, s[2:3]
	v_and_b32_e32 v2, 0x7f800000, v4
	v_cmp_ne_u32_e64 s[0:1], s29, v2
                                        ; implicit-def: $vgpr25
	s_and_saveexec_b64 s[2:3], s[0:1]
	s_xor_b64 s[0:1], exec, s[2:3]
; %bb.134:                              ;   in Loop: Header=BB319_108 Depth=1
	v_bfe_u32 v2, v4, 16, 1
	v_add3_u32 v25, v4, v2, s30
; %bb.135:                              ;   in Loop: Header=BB319_108 Depth=1
	s_andn2_saveexec_b64 s[2:3], s[0:1]
; %bb.136:                              ;   in Loop: Header=BB319_108 Depth=1
	v_or_b32_e32 v2, 0x10000, v4
	v_cmp_eq_u32_sdwa s[0:1], v4, v17 src0_sel:WORD_0 src1_sel:DWORD
	s_nop 1
	v_cndmask_b32_e64 v25, v2, v4, s[0:1]
; %bb.137:                              ;   in Loop: Header=BB319_108 Depth=1
	s_or_b64 exec, exec, s[2:3]
	v_and_b32_e32 v2, 0x7f800000, v5
	v_cmp_ne_u32_e64 s[0:1], s29, v2
                                        ; implicit-def: $vgpr26
	s_and_saveexec_b64 s[2:3], s[0:1]
	s_xor_b64 s[0:1], exec, s[2:3]
; %bb.138:                              ;   in Loop: Header=BB319_108 Depth=1
	v_bfe_u32 v2, v5, 16, 1
	v_add3_u32 v26, v5, v2, s30
                                        ; implicit-def: $vgpr2_vgpr3_vgpr4_vgpr5
; %bb.139:                              ;   in Loop: Header=BB319_108 Depth=1
	s_andn2_saveexec_b64 s[2:3], s[0:1]
; %bb.140:                              ;   in Loop: Header=BB319_108 Depth=1
	v_or_b32_e32 v2, 0x10000, v5
	v_cmp_eq_u32_sdwa s[0:1], v5, v17 src0_sel:WORD_0 src1_sel:DWORD
	s_nop 1
	v_cndmask_b32_e64 v26, v2, v5, s[0:1]
; %bb.141:                              ;   in Loop: Header=BB319_108 Depth=1
	s_or_b64 exec, exec, s[2:3]
	v_mov_b64_e32 v[2:3], s[6:7]
	s_waitcnt vmcnt(0)
	v_mad_i64_i32 v[4:5], s[0:1], v31, s9, v[2:3]
	v_lshl_add_u64 v[2:3], v[4:5], 0, v[16:17]
	global_load_dwordx2 v[2:3], v[2:3], off
	s_load_dword s31, s[18:19], 0x0
	s_waitcnt vmcnt(0)
	v_and_b32_e32 v6, 0xff, v2
	v_cvt_f32_fp8_sdwa v6, v6 src0_sel:BYTE_0
	s_waitcnt lgkmcnt(0)
	v_mul_f32_e32 v7, s31, v6
	v_and_b32_e32 v6, 0x7f800000, v7
	v_cmp_ne_u32_e64 s[0:1], s29, v6
                                        ; implicit-def: $vgpr6
	s_and_saveexec_b64 s[2:3], s[0:1]
	s_xor_b64 s[0:1], exec, s[2:3]
; %bb.142:                              ;   in Loop: Header=BB319_108 Depth=1
	v_bfe_u32 v6, v7, 16, 1
	v_add3_u32 v6, v7, v6, s30
                                        ; implicit-def: $vgpr7
; %bb.143:                              ;   in Loop: Header=BB319_108 Depth=1
	s_andn2_saveexec_b64 s[2:3], s[0:1]
; %bb.144:                              ;   in Loop: Header=BB319_108 Depth=1
	v_or_b32_e32 v6, 0x10000, v7
	v_cmp_eq_u32_sdwa s[0:1], v7, v17 src0_sel:WORD_0 src1_sel:DWORD
	s_nop 1
	v_cndmask_b32_e64 v6, v6, v7, s[0:1]
; %bb.145:                              ;   in Loop: Header=BB319_108 Depth=1
	s_or_b64 exec, exec, s[2:3]
	v_bfe_u32 v7, v2, 8, 8
	v_cvt_f32_fp8_sdwa v7, v7 src0_sel:BYTE_0
	s_nop 0
	v_mul_f32_e32 v8, s31, v7
	v_and_b32_e32 v7, 0x7f800000, v8
	v_cmp_ne_u32_e64 s[0:1], s29, v7
                                        ; implicit-def: $vgpr7
	s_and_saveexec_b64 s[2:3], s[0:1]
	s_xor_b64 s[0:1], exec, s[2:3]
; %bb.146:                              ;   in Loop: Header=BB319_108 Depth=1
	v_bfe_u32 v7, v8, 16, 1
	v_add3_u32 v7, v8, v7, s30
                                        ; implicit-def: $vgpr8
; %bb.147:                              ;   in Loop: Header=BB319_108 Depth=1
	s_andn2_saveexec_b64 s[2:3], s[0:1]
; %bb.148:                              ;   in Loop: Header=BB319_108 Depth=1
	v_or_b32_e32 v7, 0x10000, v8
	v_cmp_eq_u32_sdwa s[0:1], v8, v17 src0_sel:WORD_0 src1_sel:DWORD
	s_nop 1
	v_cndmask_b32_e64 v7, v7, v8, s[0:1]
; %bb.149:                              ;   in Loop: Header=BB319_108 Depth=1
	s_or_b64 exec, exec, s[2:3]
	v_bfe_u32 v8, v2, 16, 8
	v_cvt_f32_fp8_sdwa v8, v8 src0_sel:BYTE_0
	s_nop 0
	v_mul_f32_e32 v9, s31, v8
	v_and_b32_e32 v8, 0x7f800000, v9
	v_cmp_ne_u32_e64 s[0:1], s29, v8
                                        ; implicit-def: $vgpr8
	s_and_saveexec_b64 s[2:3], s[0:1]
	s_xor_b64 s[0:1], exec, s[2:3]
; %bb.150:                              ;   in Loop: Header=BB319_108 Depth=1
	v_bfe_u32 v8, v9, 16, 1
	v_add3_u32 v8, v9, v8, s30
                                        ; implicit-def: $vgpr9
; %bb.151:                              ;   in Loop: Header=BB319_108 Depth=1
	s_andn2_saveexec_b64 s[2:3], s[0:1]
; %bb.152:                              ;   in Loop: Header=BB319_108 Depth=1
	v_or_b32_e32 v8, 0x10000, v9
	v_cmp_eq_u32_sdwa s[0:1], v9, v17 src0_sel:WORD_0 src1_sel:DWORD
	s_nop 1
	v_cndmask_b32_e64 v8, v8, v9, s[0:1]
; %bb.153:                              ;   in Loop: Header=BB319_108 Depth=1
	s_or_b64 exec, exec, s[2:3]
	v_lshrrev_b32_e32 v2, 24, v2
	v_cvt_f32_fp8_sdwa v2, v2 src0_sel:BYTE_0
	s_nop 0
	v_mul_f32_e32 v9, s31, v2
	v_and_b32_e32 v2, 0x7f800000, v9
	v_cmp_ne_u32_e64 s[0:1], s29, v2
                                        ; implicit-def: $vgpr2
	s_and_saveexec_b64 s[2:3], s[0:1]
	s_xor_b64 s[0:1], exec, s[2:3]
; %bb.154:                              ;   in Loop: Header=BB319_108 Depth=1
	v_bfe_u32 v2, v9, 16, 1
	v_add3_u32 v2, v9, v2, s30
                                        ; implicit-def: $vgpr9
; %bb.155:                              ;   in Loop: Header=BB319_108 Depth=1
	s_andn2_saveexec_b64 s[2:3], s[0:1]
; %bb.156:                              ;   in Loop: Header=BB319_108 Depth=1
	v_or_b32_e32 v2, 0x10000, v9
	v_cmp_eq_u32_sdwa s[0:1], v9, v17 src0_sel:WORD_0 src1_sel:DWORD
	s_nop 1
	v_cndmask_b32_e64 v2, v2, v9, s[0:1]
; %bb.157:                              ;   in Loop: Header=BB319_108 Depth=1
	s_or_b64 exec, exec, s[2:3]
	v_and_b32_e32 v9, 0xff, v3
	v_cvt_f32_fp8_sdwa v9, v9 src0_sel:BYTE_0
	s_nop 0
	v_mul_f32_e32 v31, s31, v9
	v_and_b32_e32 v9, 0x7f800000, v31
	v_cmp_ne_u32_e64 s[0:1], s29, v9
                                        ; implicit-def: $vgpr9
	s_and_saveexec_b64 s[2:3], s[0:1]
	s_xor_b64 s[0:1], exec, s[2:3]
; %bb.158:                              ;   in Loop: Header=BB319_108 Depth=1
	v_bfe_u32 v9, v31, 16, 1
	v_add3_u32 v9, v31, v9, s30
                                        ; implicit-def: $vgpr31
; %bb.159:                              ;   in Loop: Header=BB319_108 Depth=1
	s_andn2_saveexec_b64 s[2:3], s[0:1]
; %bb.160:                              ;   in Loop: Header=BB319_108 Depth=1
	v_or_b32_e32 v9, 0x10000, v31
	v_cmp_eq_u32_sdwa s[0:1], v31, v17 src0_sel:WORD_0 src1_sel:DWORD
	s_nop 1
	v_cndmask_b32_e64 v9, v9, v31, s[0:1]
; %bb.161:                              ;   in Loop: Header=BB319_108 Depth=1
	s_or_b64 exec, exec, s[2:3]
	v_bfe_u32 v31, v3, 8, 8
	v_cvt_f32_fp8_sdwa v31, v31 src0_sel:BYTE_0
	s_nop 0
	v_mul_f32_e32 v32, s31, v31
	v_and_b32_e32 v31, 0x7f800000, v32
	v_cmp_ne_u32_e64 s[0:1], s29, v31
                                        ; implicit-def: $vgpr31
	s_and_saveexec_b64 s[2:3], s[0:1]
	s_xor_b64 s[0:1], exec, s[2:3]
; %bb.162:                              ;   in Loop: Header=BB319_108 Depth=1
	v_bfe_u32 v31, v32, 16, 1
	v_add3_u32 v31, v32, v31, s30
                                        ; implicit-def: $vgpr32
; %bb.163:                              ;   in Loop: Header=BB319_108 Depth=1
	s_andn2_saveexec_b64 s[2:3], s[0:1]
; %bb.164:                              ;   in Loop: Header=BB319_108 Depth=1
	v_or_b32_e32 v31, 0x10000, v32
	v_cmp_eq_u32_sdwa s[0:1], v32, v17 src0_sel:WORD_0 src1_sel:DWORD
	s_nop 1
	v_cndmask_b32_e64 v31, v31, v32, s[0:1]
; %bb.165:                              ;   in Loop: Header=BB319_108 Depth=1
	s_or_b64 exec, exec, s[2:3]
	v_bfe_u32 v32, v3, 16, 8
	v_cvt_f32_fp8_sdwa v32, v32 src0_sel:BYTE_0
                                        ; implicit-def: $vgpr35
	s_nop 0
	v_mul_f32_e32 v32, s31, v32
	v_and_b32_e32 v33, 0x7f800000, v32
	v_cmp_ne_u32_e64 s[0:1], s29, v33
	s_and_saveexec_b64 s[2:3], s[0:1]
	s_xor_b64 s[0:1], exec, s[2:3]
; %bb.166:                              ;   in Loop: Header=BB319_108 Depth=1
	v_bfe_u32 v33, v32, 16, 1
	v_add3_u32 v35, v32, v33, s30
                                        ; implicit-def: $vgpr32
; %bb.167:                              ;   in Loop: Header=BB319_108 Depth=1
	s_andn2_saveexec_b64 s[2:3], s[0:1]
; %bb.168:                              ;   in Loop: Header=BB319_108 Depth=1
	v_or_b32_e32 v33, 0x10000, v32
	v_cmp_eq_u32_sdwa s[0:1], v32, v17 src0_sel:WORD_0 src1_sel:DWORD
	s_nop 1
	v_cndmask_b32_e64 v35, v33, v32, s[0:1]
; %bb.169:                              ;   in Loop: Header=BB319_108 Depth=1
	s_or_b64 exec, exec, s[2:3]
	v_lshrrev_b32_e32 v3, 24, v3
	v_cvt_f32_fp8_sdwa v3, v3 src0_sel:BYTE_0
                                        ; implicit-def: $vgpr36
	s_nop 0
	v_mul_f32_e32 v3, s31, v3
	v_and_b32_e32 v32, 0x7f800000, v3
	v_cmp_ne_u32_e64 s[0:1], s29, v32
	s_and_saveexec_b64 s[2:3], s[0:1]
	s_xor_b64 s[0:1], exec, s[2:3]
; %bb.170:                              ;   in Loop: Header=BB319_108 Depth=1
	v_bfe_u32 v32, v3, 16, 1
	v_add3_u32 v36, v3, v32, s30
                                        ; implicit-def: $vgpr3
; %bb.171:                              ;   in Loop: Header=BB319_108 Depth=1
	s_andn2_saveexec_b64 s[2:3], s[0:1]
; %bb.172:                              ;   in Loop: Header=BB319_108 Depth=1
	v_or_b32_e32 v32, 0x10000, v3
	v_cmp_eq_u32_sdwa s[0:1], v3, v17 src0_sel:WORD_0 src1_sel:DWORD
	s_nop 1
	v_cndmask_b32_e64 v36, v32, v3, s[0:1]
; %bb.173:                              ;   in Loop: Header=BB319_108 Depth=1
	s_or_b64 exec, exec, s[2:3]
	v_cmp_eq_u32_e64 s[2:3], s28, v12
	v_lshrrev_b32_e32 v32, 16, v31
	v_lshrrev_b32_e32 v33, 16, v9
	;; [unrolled: 1-line block ×8, first 2 shown]
	s_and_saveexec_b64 s[22:23], s[2:3]
	s_cbranch_execz .LBB319_175
; %bb.174:                              ;   in Loop: Header=BB319_108 Depth=1
	v_cmp_gt_i32_e64 s[0:1], s33, v1
	v_add_u32_e32 v6, 1, v1
	s_nop 0
	v_cndmask_b32_e64 v3, 0, v3, s[0:1]
	v_cmp_gt_i32_e64 s[0:1], s33, v6
	v_add_u32_e32 v6, 2, v1
	s_nop 0
	v_cndmask_b32_e64 v8, 0, v8, s[0:1]
	v_cmp_gt_i32_e64 s[0:1], s33, v6
	v_add_u32_e32 v6, 3, v1
	s_nop 0
	v_cndmask_b32_e64 v9, 0, v9, s[0:1]
	v_cmp_gt_i32_e64 s[0:1], s33, v6
	v_add_u32_e32 v6, 4, v1
	s_nop 0
	v_cndmask_b32_e64 v34, 0, v34, s[0:1]
	v_cmp_gt_i32_e64 s[0:1], s33, v6
	v_add_u32_e32 v6, 5, v1
	s_nop 0
	v_cndmask_b32_e64 v33, 0, v33, s[0:1]
	v_cmp_gt_i32_e64 s[0:1], s33, v6
	v_add_u32_e32 v6, 6, v1
	s_nop 0
	v_cndmask_b32_e64 v32, 0, v32, s[0:1]
	v_cmp_gt_i32_e64 s[0:1], s33, v6
	v_add_u32_e32 v6, 7, v1
	s_nop 0
	v_cndmask_b32_e64 v31, 0, v31, s[0:1]
	v_cmp_gt_i32_e64 s[0:1], s33, v6
	s_nop 1
	v_cndmask_b32_e64 v2, 0, v2, s[0:1]
.LBB319_175:                            ;   in Loop: Header=BB319_108 Depth=1
	s_or_b64 exec, exec, s[22:23]
	v_and_b32_e32 v6, 0xffff0000, v30
	v_lshlrev_b32_e32 v3, 16, v3
	v_mul_f32_e32 v7, v6, v3
	v_and_b32_e32 v3, 0x7f800000, v7
	v_cmp_ne_u32_e64 s[0:1], s29, v3
                                        ; implicit-def: $vgpr3
	s_and_saveexec_b64 s[22:23], s[0:1]
	s_xor_b64 s[0:1], exec, s[22:23]
; %bb.176:                              ;   in Loop: Header=BB319_108 Depth=1
	v_bfe_u32 v3, v7, 16, 1
	v_add3_u32 v3, v7, v3, s30
                                        ; implicit-def: $vgpr7
; %bb.177:                              ;   in Loop: Header=BB319_108 Depth=1
	s_andn2_saveexec_b64 s[22:23], s[0:1]
; %bb.178:                              ;   in Loop: Header=BB319_108 Depth=1
	v_or_b32_e32 v3, 0x10000, v7
	v_cmp_eq_u32_sdwa s[0:1], v7, v17 src0_sel:WORD_0 src1_sel:DWORD
	s_nop 1
	v_cndmask_b32_e64 v3, v3, v7, s[0:1]
; %bb.179:                              ;   in Loop: Header=BB319_108 Depth=1
	s_or_b64 exec, exec, s[22:23]
	v_and_b32_e32 v7, 0xffff0000, v29
	v_lshlrev_b32_e32 v8, 16, v8
	v_mul_f32_e32 v8, v7, v8
	v_and_b32_e32 v29, 0x7f800000, v8
	v_cmp_ne_u32_e64 s[0:1], s29, v29
                                        ; implicit-def: $vgpr29
	s_and_saveexec_b64 s[22:23], s[0:1]
	s_xor_b64 s[0:1], exec, s[22:23]
; %bb.180:                              ;   in Loop: Header=BB319_108 Depth=1
	v_bfe_u32 v29, v8, 16, 1
	v_add3_u32 v29, v8, v29, s30
                                        ; implicit-def: $vgpr8
; %bb.181:                              ;   in Loop: Header=BB319_108 Depth=1
	s_andn2_saveexec_b64 s[22:23], s[0:1]
; %bb.182:                              ;   in Loop: Header=BB319_108 Depth=1
	v_or_b32_e32 v29, 0x10000, v8
	v_cmp_eq_u32_sdwa s[0:1], v8, v17 src0_sel:WORD_0 src1_sel:DWORD
	s_nop 1
	v_cndmask_b32_e64 v29, v29, v8, s[0:1]
; %bb.183:                              ;   in Loop: Header=BB319_108 Depth=1
	s_or_b64 exec, exec, s[22:23]
	v_and_b32_e32 v8, 0xffff0000, v28
	v_lshlrev_b32_e32 v9, 16, v9
	v_mul_f32_e32 v9, v8, v9
	v_and_b32_e32 v28, 0x7f800000, v9
	v_cmp_ne_u32_e64 s[0:1], s29, v28
                                        ; implicit-def: $vgpr28
	s_and_saveexec_b64 s[22:23], s[0:1]
	s_xor_b64 s[0:1], exec, s[22:23]
; %bb.184:                              ;   in Loop: Header=BB319_108 Depth=1
	v_bfe_u32 v28, v9, 16, 1
	v_add3_u32 v28, v9, v28, s30
                                        ; implicit-def: $vgpr9
; %bb.185:                              ;   in Loop: Header=BB319_108 Depth=1
	s_andn2_saveexec_b64 s[22:23], s[0:1]
; %bb.186:                              ;   in Loop: Header=BB319_108 Depth=1
	v_or_b32_e32 v28, 0x10000, v9
	v_cmp_eq_u32_sdwa s[0:1], v9, v17 src0_sel:WORD_0 src1_sel:DWORD
	s_nop 1
	v_cndmask_b32_e64 v28, v28, v9, s[0:1]
; %bb.187:                              ;   in Loop: Header=BB319_108 Depth=1
	s_or_b64 exec, exec, s[22:23]
	v_and_b32_e32 v9, 0xffff0000, v27
	v_lshlrev_b32_e32 v27, 16, v34
	v_mul_f32_e32 v30, v9, v27
	v_and_b32_e32 v27, 0x7f800000, v30
	v_cmp_ne_u32_e64 s[0:1], s29, v27
                                        ; implicit-def: $vgpr27
	s_and_saveexec_b64 s[22:23], s[0:1]
	s_xor_b64 s[0:1], exec, s[22:23]
; %bb.188:                              ;   in Loop: Header=BB319_108 Depth=1
	v_bfe_u32 v27, v30, 16, 1
	v_add3_u32 v27, v30, v27, s30
                                        ; implicit-def: $vgpr30
; %bb.189:                              ;   in Loop: Header=BB319_108 Depth=1
	s_andn2_saveexec_b64 s[22:23], s[0:1]
; %bb.190:                              ;   in Loop: Header=BB319_108 Depth=1
	v_or_b32_e32 v27, 0x10000, v30
	v_cmp_eq_u32_sdwa s[0:1], v30, v17 src0_sel:WORD_0 src1_sel:DWORD
	s_nop 1
	v_cndmask_b32_e64 v27, v27, v30, s[0:1]
; %bb.191:                              ;   in Loop: Header=BB319_108 Depth=1
	s_or_b64 exec, exec, s[22:23]
	v_and_b32_e32 v23, 0xffff0000, v23
	v_lshlrev_b32_e32 v30, 16, v33
	v_mul_f32_e32 v33, v23, v30
	v_and_b32_e32 v30, 0x7f800000, v33
	v_cmp_ne_u32_e64 s[0:1], s29, v30
                                        ; implicit-def: $vgpr30
	s_and_saveexec_b64 s[22:23], s[0:1]
	s_xor_b64 s[0:1], exec, s[22:23]
; %bb.192:                              ;   in Loop: Header=BB319_108 Depth=1
	v_bfe_u32 v30, v33, 16, 1
	v_add3_u32 v30, v33, v30, s30
                                        ; implicit-def: $vgpr33
; %bb.193:                              ;   in Loop: Header=BB319_108 Depth=1
	s_andn2_saveexec_b64 s[22:23], s[0:1]
; %bb.194:                              ;   in Loop: Header=BB319_108 Depth=1
	v_or_b32_e32 v30, 0x10000, v33
	v_cmp_eq_u32_sdwa s[0:1], v33, v17 src0_sel:WORD_0 src1_sel:DWORD
	s_nop 1
	v_cndmask_b32_e64 v30, v30, v33, s[0:1]
; %bb.195:                              ;   in Loop: Header=BB319_108 Depth=1
	s_or_b64 exec, exec, s[22:23]
	v_and_b32_e32 v24, 0xffff0000, v24
	v_lshlrev_b32_e32 v32, 16, v32
	v_mul_f32_e32 v33, v24, v32
	v_and_b32_e32 v32, 0x7f800000, v33
	v_cmp_ne_u32_e64 s[0:1], s29, v32
                                        ; implicit-def: $vgpr32
	s_and_saveexec_b64 s[22:23], s[0:1]
	s_xor_b64 s[0:1], exec, s[22:23]
; %bb.196:                              ;   in Loop: Header=BB319_108 Depth=1
	v_bfe_u32 v32, v33, 16, 1
	v_add3_u32 v32, v33, v32, s30
                                        ; implicit-def: $vgpr33
; %bb.197:                              ;   in Loop: Header=BB319_108 Depth=1
	s_andn2_saveexec_b64 s[22:23], s[0:1]
; %bb.198:                              ;   in Loop: Header=BB319_108 Depth=1
	v_or_b32_e32 v32, 0x10000, v33
	v_cmp_eq_u32_sdwa s[0:1], v33, v17 src0_sel:WORD_0 src1_sel:DWORD
	s_nop 1
	v_cndmask_b32_e64 v32, v32, v33, s[0:1]
; %bb.199:                              ;   in Loop: Header=BB319_108 Depth=1
	s_or_b64 exec, exec, s[22:23]
	v_and_b32_e32 v25, 0xffff0000, v25
	v_lshlrev_b32_e32 v31, 16, v31
	v_mul_f32_e32 v33, v25, v31
	v_and_b32_e32 v31, 0x7f800000, v33
	v_cmp_ne_u32_e64 s[0:1], s29, v31
                                        ; implicit-def: $vgpr31
	s_and_saveexec_b64 s[22:23], s[0:1]
	s_xor_b64 s[0:1], exec, s[22:23]
; %bb.200:                              ;   in Loop: Header=BB319_108 Depth=1
	v_bfe_u32 v31, v33, 16, 1
	v_add3_u32 v31, v33, v31, s30
                                        ; implicit-def: $vgpr33
; %bb.201:                              ;   in Loop: Header=BB319_108 Depth=1
	s_andn2_saveexec_b64 s[22:23], s[0:1]
; %bb.202:                              ;   in Loop: Header=BB319_108 Depth=1
	v_or_b32_e32 v31, 0x10000, v33
	v_cmp_eq_u32_sdwa s[0:1], v33, v17 src0_sel:WORD_0 src1_sel:DWORD
	s_nop 1
	v_cndmask_b32_e64 v31, v31, v33, s[0:1]
; %bb.203:                              ;   in Loop: Header=BB319_108 Depth=1
	s_or_b64 exec, exec, s[22:23]
	v_and_b32_e32 v26, 0xffff0000, v26
	v_lshlrev_b32_e32 v2, 16, v2
	v_mul_f32_e32 v2, v26, v2
	v_and_b32_e32 v33, 0x7f800000, v2
	v_cmp_ne_u32_e64 s[0:1], s29, v33
                                        ; implicit-def: $vgpr33
	s_and_saveexec_b64 s[22:23], s[0:1]
	s_xor_b64 s[0:1], exec, s[22:23]
; %bb.204:                              ;   in Loop: Header=BB319_108 Depth=1
	v_bfe_u32 v33, v2, 16, 1
	v_add3_u32 v33, v2, v33, s30
                                        ; implicit-def: $vgpr2
; %bb.205:                              ;   in Loop: Header=BB319_108 Depth=1
	s_andn2_saveexec_b64 s[22:23], s[0:1]
; %bb.206:                              ;   in Loop: Header=BB319_108 Depth=1
	v_or_b32_e32 v33, 0x10000, v2
	v_cmp_eq_u32_sdwa s[0:1], v2, v17 src0_sel:WORD_0 src1_sel:DWORD
	s_nop 1
	v_cndmask_b32_e64 v33, v33, v2, s[0:1]
; %bb.207:                              ;   in Loop: Header=BB319_108 Depth=1
	s_or_b64 exec, exec, s[22:23]
	v_and_b32_e32 v35, 0xffff0000, v27
	v_and_b32_e32 v34, 0xffff0000, v29
	;; [unrolled: 1-line block ×4, first 2 shown]
	v_pk_add_f32 v[2:3], v[28:29], v[34:35]
	v_and_b32_e32 v33, 0xffff0000, v33
	v_and_b32_e32 v32, 0xffff0000, v32
	;; [unrolled: 1-line block ×4, first 2 shown]
	v_mov_b32_e32 v28, v3
	v_pk_add_f32 v[2:3], v[2:3], v[28:29]
	v_pk_add_f32 v[28:29], v[30:31], v[32:33]
	s_nop 0
	v_pk_add_f32 v[2:3], v[2:3], v[28:29]
	v_mov_b32_e32 v28, v29
	v_pk_add_f32 v[2:3], v[2:3], v[28:29]
	s_nop 0
	v_pk_add_f32 v[2:3], v[14:15], v[2:3]
	s_and_saveexec_b64 s[22:23], vcc
	s_cbranch_execz .LBB319_106
; %bb.208:                              ;   in Loop: Header=BB319_108 Depth=1
	v_lshl_add_u64 v[4:5], v[4:5], 0, v[18:19]
	global_load_dwordx2 v[4:5], v[4:5], off
	s_waitcnt vmcnt(0)
	v_and_b32_e32 v3, 0xff, v4
	v_cvt_f32_fp8_sdwa v3, v3 src0_sel:BYTE_0
	s_nop 0
	v_mul_f32_e32 v27, s31, v3
	v_and_b32_e32 v3, 0x7f800000, v27
	v_cmp_ne_u32_e64 s[0:1], s29, v3
                                        ; implicit-def: $vgpr3
	s_and_saveexec_b64 s[24:25], s[0:1]
	s_xor_b64 s[0:1], exec, s[24:25]
; %bb.209:                              ;   in Loop: Header=BB319_108 Depth=1
	v_bfe_u32 v3, v27, 16, 1
	v_add3_u32 v3, v27, v3, s30
                                        ; implicit-def: $vgpr27
; %bb.210:                              ;   in Loop: Header=BB319_108 Depth=1
	s_andn2_saveexec_b64 s[24:25], s[0:1]
; %bb.211:                              ;   in Loop: Header=BB319_108 Depth=1
	v_or_b32_e32 v3, 0x10000, v27
	v_cmp_eq_u32_sdwa s[0:1], v27, v17 src0_sel:WORD_0 src1_sel:DWORD
	s_nop 1
	v_cndmask_b32_e64 v3, v3, v27, s[0:1]
; %bb.212:                              ;   in Loop: Header=BB319_108 Depth=1
	s_or_b64 exec, exec, s[24:25]
	v_bfe_u32 v27, v4, 8, 8
	v_cvt_f32_fp8_sdwa v27, v27 src0_sel:BYTE_0
	s_nop 0
	v_mul_f32_e32 v28, s31, v27
	v_and_b32_e32 v27, 0x7f800000, v28
	v_cmp_ne_u32_e64 s[0:1], s29, v27
                                        ; implicit-def: $vgpr27
	s_and_saveexec_b64 s[24:25], s[0:1]
	s_xor_b64 s[0:1], exec, s[24:25]
; %bb.213:                              ;   in Loop: Header=BB319_108 Depth=1
	v_bfe_u32 v27, v28, 16, 1
	v_add3_u32 v27, v28, v27, s30
                                        ; implicit-def: $vgpr28
; %bb.214:                              ;   in Loop: Header=BB319_108 Depth=1
	s_andn2_saveexec_b64 s[24:25], s[0:1]
; %bb.215:                              ;   in Loop: Header=BB319_108 Depth=1
	v_or_b32_e32 v27, 0x10000, v28
	v_cmp_eq_u32_sdwa s[0:1], v28, v17 src0_sel:WORD_0 src1_sel:DWORD
	s_nop 1
	v_cndmask_b32_e64 v27, v27, v28, s[0:1]
; %bb.216:                              ;   in Loop: Header=BB319_108 Depth=1
	s_or_b64 exec, exec, s[24:25]
	v_bfe_u32 v28, v4, 16, 8
	v_cvt_f32_fp8_sdwa v28, v28 src0_sel:BYTE_0
	s_nop 0
	v_mul_f32_e32 v28, s31, v28
	v_and_b32_e32 v29, 0x7f800000, v28
	v_cmp_ne_u32_e64 s[0:1], s29, v29
                                        ; implicit-def: $vgpr29
	s_and_saveexec_b64 s[24:25], s[0:1]
	s_xor_b64 s[0:1], exec, s[24:25]
; %bb.217:                              ;   in Loop: Header=BB319_108 Depth=1
	v_bfe_u32 v29, v28, 16, 1
	v_add3_u32 v29, v28, v29, s30
                                        ; implicit-def: $vgpr28
; %bb.218:                              ;   in Loop: Header=BB319_108 Depth=1
	s_andn2_saveexec_b64 s[24:25], s[0:1]
; %bb.219:                              ;   in Loop: Header=BB319_108 Depth=1
	v_or_b32_e32 v29, 0x10000, v28
	v_cmp_eq_u32_sdwa s[0:1], v28, v17 src0_sel:WORD_0 src1_sel:DWORD
	s_nop 1
	v_cndmask_b32_e64 v29, v29, v28, s[0:1]
; %bb.220:                              ;   in Loop: Header=BB319_108 Depth=1
	s_or_b64 exec, exec, s[24:25]
	v_lshrrev_b32_e32 v4, 24, v4
	v_cvt_f32_fp8_sdwa v4, v4 src0_sel:BYTE_0
	s_nop 0
	v_mul_f32_e32 v28, s31, v4
	v_and_b32_e32 v4, 0x7f800000, v28
	v_cmp_ne_u32_e64 s[0:1], s29, v4
                                        ; implicit-def: $vgpr4
	s_and_saveexec_b64 s[24:25], s[0:1]
	s_xor_b64 s[0:1], exec, s[24:25]
; %bb.221:                              ;   in Loop: Header=BB319_108 Depth=1
	v_bfe_u32 v4, v28, 16, 1
	v_add3_u32 v4, v28, v4, s30
                                        ; implicit-def: $vgpr28
; %bb.222:                              ;   in Loop: Header=BB319_108 Depth=1
	s_andn2_saveexec_b64 s[24:25], s[0:1]
; %bb.223:                              ;   in Loop: Header=BB319_108 Depth=1
	v_or_b32_e32 v4, 0x10000, v28
	v_cmp_eq_u32_sdwa s[0:1], v28, v17 src0_sel:WORD_0 src1_sel:DWORD
	s_nop 1
	v_cndmask_b32_e64 v4, v4, v28, s[0:1]
; %bb.224:                              ;   in Loop: Header=BB319_108 Depth=1
	s_or_b64 exec, exec, s[24:25]
	v_and_b32_e32 v28, 0xff, v5
	v_cvt_f32_fp8_sdwa v28, v28 src0_sel:BYTE_0
	s_nop 0
	v_mul_f32_e32 v28, s31, v28
	v_and_b32_e32 v30, 0x7f800000, v28
	v_cmp_ne_u32_e64 s[0:1], s29, v30
                                        ; implicit-def: $vgpr30
	s_and_saveexec_b64 s[24:25], s[0:1]
	s_xor_b64 s[0:1], exec, s[24:25]
; %bb.225:                              ;   in Loop: Header=BB319_108 Depth=1
	v_bfe_u32 v30, v28, 16, 1
	v_add3_u32 v30, v28, v30, s30
                                        ; implicit-def: $vgpr28
; %bb.226:                              ;   in Loop: Header=BB319_108 Depth=1
	s_andn2_saveexec_b64 s[24:25], s[0:1]
; %bb.227:                              ;   in Loop: Header=BB319_108 Depth=1
	v_or_b32_e32 v30, 0x10000, v28
	v_cmp_eq_u32_sdwa s[0:1], v28, v17 src0_sel:WORD_0 src1_sel:DWORD
	s_nop 1
	v_cndmask_b32_e64 v30, v30, v28, s[0:1]
; %bb.228:                              ;   in Loop: Header=BB319_108 Depth=1
	s_or_b64 exec, exec, s[24:25]
	v_bfe_u32 v28, v5, 8, 8
	v_cvt_f32_fp8_sdwa v28, v28 src0_sel:BYTE_0
	s_nop 0
	v_mul_f32_e32 v31, s31, v28
	v_and_b32_e32 v28, 0x7f800000, v31
	v_cmp_ne_u32_e64 s[0:1], s29, v28
                                        ; implicit-def: $vgpr28
	s_and_saveexec_b64 s[24:25], s[0:1]
	s_xor_b64 s[0:1], exec, s[24:25]
; %bb.229:                              ;   in Loop: Header=BB319_108 Depth=1
	v_bfe_u32 v28, v31, 16, 1
	v_add3_u32 v28, v31, v28, s30
                                        ; implicit-def: $vgpr31
; %bb.230:                              ;   in Loop: Header=BB319_108 Depth=1
	s_andn2_saveexec_b64 s[24:25], s[0:1]
; %bb.231:                              ;   in Loop: Header=BB319_108 Depth=1
	v_or_b32_e32 v28, 0x10000, v31
	v_cmp_eq_u32_sdwa s[0:1], v31, v17 src0_sel:WORD_0 src1_sel:DWORD
	s_nop 1
	v_cndmask_b32_e64 v28, v28, v31, s[0:1]
; %bb.232:                              ;   in Loop: Header=BB319_108 Depth=1
	s_or_b64 exec, exec, s[24:25]
	v_bfe_u32 v31, v5, 16, 8
	v_cvt_f32_fp8_sdwa v31, v31 src0_sel:BYTE_0
	s_nop 0
	v_mul_f32_e32 v31, s31, v31
	v_and_b32_e32 v32, 0x7f800000, v31
	v_cmp_ne_u32_e64 s[0:1], s29, v32
                                        ; implicit-def: $vgpr32
	s_and_saveexec_b64 s[24:25], s[0:1]
	s_xor_b64 s[0:1], exec, s[24:25]
; %bb.233:                              ;   in Loop: Header=BB319_108 Depth=1
	v_bfe_u32 v32, v31, 16, 1
	v_add3_u32 v32, v31, v32, s30
                                        ; implicit-def: $vgpr31
; %bb.234:                              ;   in Loop: Header=BB319_108 Depth=1
	s_andn2_saveexec_b64 s[24:25], s[0:1]
; %bb.235:                              ;   in Loop: Header=BB319_108 Depth=1
	v_or_b32_e32 v32, 0x10000, v31
	v_cmp_eq_u32_sdwa s[0:1], v31, v17 src0_sel:WORD_0 src1_sel:DWORD
	s_nop 1
	v_cndmask_b32_e64 v32, v32, v31, s[0:1]
; %bb.236:                              ;   in Loop: Header=BB319_108 Depth=1
	s_or_b64 exec, exec, s[24:25]
	v_lshrrev_b32_e32 v5, 24, v5
	v_cvt_f32_fp8_sdwa v5, v5 src0_sel:BYTE_0
                                        ; implicit-def: $vgpr33
	s_nop 0
	v_mul_f32_e32 v5, s31, v5
	v_and_b32_e32 v31, 0x7f800000, v5
	v_cmp_ne_u32_e64 s[0:1], s29, v31
	s_and_saveexec_b64 s[24:25], s[0:1]
	s_xor_b64 s[0:1], exec, s[24:25]
; %bb.237:                              ;   in Loop: Header=BB319_108 Depth=1
	v_bfe_u32 v31, v5, 16, 1
	v_add3_u32 v33, v5, v31, s30
                                        ; implicit-def: $vgpr5
; %bb.238:                              ;   in Loop: Header=BB319_108 Depth=1
	s_andn2_saveexec_b64 s[24:25], s[0:1]
; %bb.239:                              ;   in Loop: Header=BB319_108 Depth=1
	v_or_b32_e32 v31, 0x10000, v5
	v_cmp_eq_u32_sdwa s[0:1], v5, v17 src0_sel:WORD_0 src1_sel:DWORD
	s_nop 1
	v_cndmask_b32_e64 v33, v31, v5, s[0:1]
; %bb.240:                              ;   in Loop: Header=BB319_108 Depth=1
	s_or_b64 exec, exec, s[24:25]
	v_lshrrev_b32_e32 v28, 16, v28
	v_lshrrev_b32_e32 v30, 16, v30
	;; [unrolled: 1-line block ×8, first 2 shown]
	s_and_saveexec_b64 s[24:25], s[2:3]
	s_cbranch_execz .LBB319_242
; %bb.241:                              ;   in Loop: Header=BB319_108 Depth=1
	v_cmp_gt_i32_e64 s[0:1], s33, v1
	v_add_u32_e32 v32, 1, v1
	s_nop 0
	v_cndmask_b32_e64 v4, 0, v4, s[0:1]
	v_cmp_gt_i32_e64 s[0:1], s33, v32
	v_add_u32_e32 v32, 2, v1
	s_nop 0
	v_cndmask_b32_e64 v27, 0, v27, s[0:1]
	;; [unrolled: 4-line block ×7, first 2 shown]
	v_cmp_gt_i32_e64 s[0:1], s33, v32
	s_nop 1
	v_cndmask_b32_e64 v3, 0, v3, s[0:1]
.LBB319_242:                            ;   in Loop: Header=BB319_108 Depth=1
	s_or_b64 exec, exec, s[24:25]
	v_lshlrev_b32_e32 v4, 16, v4
	v_mul_f32_e32 v6, v6, v4
	v_and_b32_e32 v4, 0x7f800000, v6
	v_cmp_ne_u32_e64 s[0:1], s29, v4
                                        ; implicit-def: $vgpr4
	s_and_saveexec_b64 s[2:3], s[0:1]
	s_xor_b64 s[0:1], exec, s[2:3]
; %bb.243:                              ;   in Loop: Header=BB319_108 Depth=1
	v_bfe_u32 v4, v6, 16, 1
	v_add3_u32 v4, v6, v4, s30
                                        ; implicit-def: $vgpr6
; %bb.244:                              ;   in Loop: Header=BB319_108 Depth=1
	s_andn2_saveexec_b64 s[2:3], s[0:1]
; %bb.245:                              ;   in Loop: Header=BB319_108 Depth=1
	v_or_b32_e32 v4, 0x10000, v6
	v_cmp_eq_u32_sdwa s[0:1], v6, v17 src0_sel:WORD_0 src1_sel:DWORD
	s_nop 1
	v_cndmask_b32_e64 v4, v4, v6, s[0:1]
; %bb.246:                              ;   in Loop: Header=BB319_108 Depth=1
	s_or_b64 exec, exec, s[2:3]
	v_lshlrev_b32_e32 v6, 16, v27
	v_mul_f32_e32 v7, v7, v6
	v_and_b32_e32 v6, 0x7f800000, v7
	v_cmp_ne_u32_e64 s[0:1], s29, v6
                                        ; implicit-def: $vgpr6
	s_and_saveexec_b64 s[2:3], s[0:1]
	s_xor_b64 s[0:1], exec, s[2:3]
; %bb.247:                              ;   in Loop: Header=BB319_108 Depth=1
	v_bfe_u32 v6, v7, 16, 1
	v_add3_u32 v6, v7, v6, s30
                                        ; implicit-def: $vgpr7
; %bb.248:                              ;   in Loop: Header=BB319_108 Depth=1
	s_andn2_saveexec_b64 s[2:3], s[0:1]
; %bb.249:                              ;   in Loop: Header=BB319_108 Depth=1
	v_or_b32_e32 v6, 0x10000, v7
	v_cmp_eq_u32_sdwa s[0:1], v7, v17 src0_sel:WORD_0 src1_sel:DWORD
	s_nop 1
	v_cndmask_b32_e64 v6, v6, v7, s[0:1]
; %bb.250:                              ;   in Loop: Header=BB319_108 Depth=1
	s_or_b64 exec, exec, s[2:3]
	v_lshlrev_b32_e32 v7, 16, v29
	v_mul_f32_e32 v8, v8, v7
	v_and_b32_e32 v7, 0x7f800000, v8
	v_cmp_ne_u32_e64 s[0:1], s29, v7
                                        ; implicit-def: $vgpr7
	s_and_saveexec_b64 s[2:3], s[0:1]
	s_xor_b64 s[0:1], exec, s[2:3]
; %bb.251:                              ;   in Loop: Header=BB319_108 Depth=1
	v_bfe_u32 v7, v8, 16, 1
	v_add3_u32 v7, v8, v7, s30
                                        ; implicit-def: $vgpr8
; %bb.252:                              ;   in Loop: Header=BB319_108 Depth=1
	s_andn2_saveexec_b64 s[2:3], s[0:1]
; %bb.253:                              ;   in Loop: Header=BB319_108 Depth=1
	v_or_b32_e32 v7, 0x10000, v8
	v_cmp_eq_u32_sdwa s[0:1], v8, v17 src0_sel:WORD_0 src1_sel:DWORD
	s_nop 1
	v_cndmask_b32_e64 v7, v7, v8, s[0:1]
; %bb.254:                              ;   in Loop: Header=BB319_108 Depth=1
	s_or_b64 exec, exec, s[2:3]
	v_lshlrev_b32_e32 v8, 16, v31
	v_mul_f32_e32 v9, v9, v8
	v_and_b32_e32 v8, 0x7f800000, v9
	v_cmp_ne_u32_e64 s[0:1], s29, v8
                                        ; implicit-def: $vgpr8
	s_and_saveexec_b64 s[2:3], s[0:1]
	s_xor_b64 s[0:1], exec, s[2:3]
; %bb.255:                              ;   in Loop: Header=BB319_108 Depth=1
	v_bfe_u32 v8, v9, 16, 1
	v_add3_u32 v8, v9, v8, s30
                                        ; implicit-def: $vgpr9
; %bb.256:                              ;   in Loop: Header=BB319_108 Depth=1
	s_andn2_saveexec_b64 s[2:3], s[0:1]
; %bb.257:                              ;   in Loop: Header=BB319_108 Depth=1
	v_or_b32_e32 v8, 0x10000, v9
	v_cmp_eq_u32_sdwa s[0:1], v9, v17 src0_sel:WORD_0 src1_sel:DWORD
	s_nop 1
	v_cndmask_b32_e64 v8, v8, v9, s[0:1]
; %bb.258:                              ;   in Loop: Header=BB319_108 Depth=1
	s_or_b64 exec, exec, s[2:3]
	v_lshlrev_b32_e32 v9, 16, v30
	v_mul_f32_e32 v23, v23, v9
	v_and_b32_e32 v9, 0x7f800000, v23
	v_cmp_ne_u32_e64 s[0:1], s29, v9
                                        ; implicit-def: $vgpr9
	s_and_saveexec_b64 s[2:3], s[0:1]
	s_xor_b64 s[0:1], exec, s[2:3]
; %bb.259:                              ;   in Loop: Header=BB319_108 Depth=1
	v_bfe_u32 v9, v23, 16, 1
	v_add3_u32 v9, v23, v9, s30
                                        ; implicit-def: $vgpr23
; %bb.260:                              ;   in Loop: Header=BB319_108 Depth=1
	s_andn2_saveexec_b64 s[2:3], s[0:1]
; %bb.261:                              ;   in Loop: Header=BB319_108 Depth=1
	v_or_b32_e32 v9, 0x10000, v23
	v_cmp_eq_u32_sdwa s[0:1], v23, v17 src0_sel:WORD_0 src1_sel:DWORD
	s_nop 1
	v_cndmask_b32_e64 v9, v9, v23, s[0:1]
; %bb.262:                              ;   in Loop: Header=BB319_108 Depth=1
	s_or_b64 exec, exec, s[2:3]
	v_lshlrev_b32_e32 v23, 16, v28
	v_mul_f32_e32 v24, v24, v23
	v_and_b32_e32 v23, 0x7f800000, v24
	v_cmp_ne_u32_e64 s[0:1], s29, v23
                                        ; implicit-def: $vgpr23
	s_and_saveexec_b64 s[2:3], s[0:1]
	s_xor_b64 s[0:1], exec, s[2:3]
; %bb.263:                              ;   in Loop: Header=BB319_108 Depth=1
	v_bfe_u32 v23, v24, 16, 1
	v_add3_u32 v23, v24, v23, s30
                                        ; implicit-def: $vgpr24
; %bb.264:                              ;   in Loop: Header=BB319_108 Depth=1
	s_andn2_saveexec_b64 s[2:3], s[0:1]
; %bb.265:                              ;   in Loop: Header=BB319_108 Depth=1
	v_or_b32_e32 v23, 0x10000, v24
	v_cmp_eq_u32_sdwa s[0:1], v24, v17 src0_sel:WORD_0 src1_sel:DWORD
	s_nop 1
	v_cndmask_b32_e64 v23, v23, v24, s[0:1]
; %bb.266:                              ;   in Loop: Header=BB319_108 Depth=1
	s_or_b64 exec, exec, s[2:3]
	v_lshlrev_b32_e32 v5, 16, v5
	v_mul_f32_e32 v24, v25, v5
	v_and_b32_e32 v5, 0x7f800000, v24
	v_cmp_ne_u32_e64 s[0:1], s29, v5
                                        ; implicit-def: $vgpr5
	s_and_saveexec_b64 s[2:3], s[0:1]
	s_xor_b64 s[0:1], exec, s[2:3]
; %bb.267:                              ;   in Loop: Header=BB319_108 Depth=1
	v_bfe_u32 v5, v24, 16, 1
	v_add3_u32 v5, v24, v5, s30
                                        ; implicit-def: $vgpr24
; %bb.268:                              ;   in Loop: Header=BB319_108 Depth=1
	s_andn2_saveexec_b64 s[2:3], s[0:1]
; %bb.269:                              ;   in Loop: Header=BB319_108 Depth=1
	v_or_b32_e32 v5, 0x10000, v24
	v_cmp_eq_u32_sdwa s[0:1], v24, v17 src0_sel:WORD_0 src1_sel:DWORD
	s_nop 1
	v_cndmask_b32_e64 v5, v5, v24, s[0:1]
; %bb.270:                              ;   in Loop: Header=BB319_108 Depth=1
	s_or_b64 exec, exec, s[2:3]
	v_lshlrev_b32_e32 v3, 16, v3
	v_mul_f32_e32 v3, v26, v3
	v_and_b32_e32 v24, 0x7f800000, v3
	v_cmp_ne_u32_e64 s[0:1], s29, v24
                                        ; implicit-def: $vgpr24
	s_and_saveexec_b64 s[2:3], s[0:1]
	s_xor_b64 s[0:1], exec, s[2:3]
; %bb.271:                              ;   in Loop: Header=BB319_108 Depth=1
	v_bfe_u32 v24, v3, 16, 1
	v_add3_u32 v24, v3, v24, s30
                                        ; implicit-def: $vgpr3
; %bb.272:                              ;   in Loop: Header=BB319_108 Depth=1
	s_andn2_saveexec_b64 s[2:3], s[0:1]
	s_cbranch_execz .LBB319_105
; %bb.273:                              ;   in Loop: Header=BB319_108 Depth=1
	v_or_b32_e32 v24, 0x10000, v3
	v_cmp_eq_u32_sdwa s[0:1], v3, v17 src0_sel:WORD_0 src1_sel:DWORD
	s_nop 1
	v_cndmask_b32_e64 v24, v24, v3, s[0:1]
	s_branch .LBB319_105
.LBB319_274:
	s_or_b64 exec, exec, s[16:17]
.LBB319_275:
	s_or_b64 exec, exec, s[12:13]
	v_and_b32_e32 v1, 0x3c0, v0
	v_cmp_eq_u32_e32 vcc, 64, v1
	s_barrier
	s_and_saveexec_b64 s[0:1], vcc
	s_cbranch_execz .LBB319_278
; %bb.276:
	v_mov_b32_e32 v1, 0xf0
	v_lshl_add_u32 v2, v11, 2, v1
	ds_write_b32 v2, v14
	s_and_b64 exec, exec, s[10:11]
	s_cbranch_execz .LBB319_278
; %bb.277:
	v_lshl_add_u32 v1, v0, 2, v1
	ds_write_b32 v1, v15
.LBB319_278:
	s_or_b64 exec, exec, s[0:1]
	v_cmp_gt_u32_e32 vcc, 64, v0
	v_or_b32_e32 v1, 64, v0
	s_waitcnt lgkmcnt(0)
	s_barrier
	s_and_saveexec_b64 s[2:3], vcc
	s_cbranch_execz .LBB319_282
; %bb.279:
	v_mov_b32_e32 v2, 0xf0
	v_lshl_add_u32 v2, v0, 2, v2
	ds_read_b32 v0, v2
	s_movk_i32 s0, 0x70
	v_cmp_gt_u32_e64 s[0:1], s0, v1
	s_and_saveexec_b64 s[6:7], s[0:1]
	s_cbranch_execz .LBB319_281
; %bb.280:
	ds_read_b32 v2, v2 offset:256
	s_waitcnt lgkmcnt(0)
	v_add_f32_e32 v15, v15, v2
.LBB319_281:
	s_or_b64 exec, exec, s[6:7]
	s_waitcnt lgkmcnt(0)
	v_add_f32_e32 v14, v14, v0
.LBB319_282:
	s_or_b64 exec, exec, s[2:3]
	s_barrier
	s_and_saveexec_b64 s[0:1], vcc
	s_cbranch_execz .LBB319_293
; %bb.283:
	s_mov_b32 s0, 0x7f800000
	v_and_b32_e32 v0, 0x7f800000, v14
	v_cmp_ne_u32_e32 vcc, s0, v0
                                        ; implicit-def: $vgpr0
	s_and_saveexec_b64 s[0:1], vcc
	s_xor_b64 s[0:1], exec, s[0:1]
; %bb.284:
	v_bfe_u32 v0, v14, 16, 1
	s_movk_i32 s2, 0x7fff
	v_add3_u32 v0, v14, v0, s2
; %bb.285:
	s_andn2_saveexec_b64 s[0:1], s[0:1]
; %bb.286:
	v_mov_b32_e32 v0, 0
	v_or_b32_e32 v2, 0x10000, v14
	v_cmp_eq_u32_sdwa vcc, v14, v0 src0_sel:WORD_0 src1_sel:DWORD
	s_nop 1
	v_cndmask_b32_e32 v0, v2, v14, vcc
; %bb.287:
	s_or_b64 exec, exec, s[0:1]
	s_mul_i32 s0, s8, 0x70
	s_ashr_i32 s1, s0, 31
	s_lshl_b64 s[0:1], s[0:1], 1
	s_add_u32 s3, s34, s0
	s_mul_i32 s0, s15, s14
	s_addc_u32 s5, s35, s1
	s_ashr_i32 s1, s0, 31
	s_lshl_b64 s[0:1], s[0:1], 1
	s_add_u32 s3, s3, s0
	s_mul_i32 s0, s4, 0x70
	s_addc_u32 s5, s5, s1
	s_ashr_i32 s1, s0, 31
	s_lshl_b64 s[0:1], s[0:1], 1
	s_movk_i32 s2, 0x70
	s_add_u32 s0, s3, s0
	s_addc_u32 s1, s5, s1
	v_cmp_gt_u32_e32 vcc, s2, v1
	global_store_short_d16_hi v10, v0, s[0:1]
	s_and_b64 exec, exec, vcc
	s_cbranch_execz .LBB319_293
; %bb.288:
	s_mov_b32 s2, 0x7f800000
	v_and_b32_e32 v0, 0x7f800000, v15
	v_mov_b32_e32 v11, 0
	v_cmp_ne_u32_e32 vcc, s2, v0
                                        ; implicit-def: $vgpr2
	s_and_saveexec_b64 s[2:3], vcc
	s_xor_b64 s[2:3], exec, s[2:3]
; %bb.289:
	v_bfe_u32 v0, v15, 16, 1
	s_movk_i32 s4, 0x7fff
	v_add3_u32 v2, v15, v0, s4
                                        ; implicit-def: $vgpr15
; %bb.290:
	s_or_saveexec_b64 s[2:3], s[2:3]
	v_lshl_add_u64 v[0:1], s[0:1], 0, v[10:11]
	s_xor_b64 exec, exec, s[2:3]
; %bb.291:
	v_mov_b32_e32 v2, 0
	v_or_b32_e32 v3, 0x10000, v15
	v_cmp_eq_u32_sdwa vcc, v15, v2 src0_sel:WORD_0 src1_sel:DWORD
	s_nop 1
	v_cndmask_b32_e32 v2, v3, v15, vcc
; %bb.292:
	s_or_b64 exec, exec, s[2:3]
	global_store_short_d16_hi v[0:1], v2, off offset:128
.LBB319_293:
	s_endpgm
	.section	.rodata,"a",@progbits
	.p2align	6, 0x0
	.amdhsa_kernel _ZN4vllm25paged_attention_v2_kernelI14__hip_bfloat16hLi112ELi8ELi128ELNS_18Fp8KVCacheDataTypeE1ELb1ELi512EEEvPfS3_PT_PKS4_PKT0_SA_ifPKiSC_iPKfiiiSE_SE_iiiii
		.amdhsa_group_segment_fixed_size 240
		.amdhsa_private_segment_fixed_size 0
		.amdhsa_kernarg_size 400
		.amdhsa_user_sgpr_count 2
		.amdhsa_user_sgpr_dispatch_ptr 0
		.amdhsa_user_sgpr_queue_ptr 0
		.amdhsa_user_sgpr_kernarg_segment_ptr 1
		.amdhsa_user_sgpr_dispatch_id 0
		.amdhsa_user_sgpr_kernarg_preload_length 0
		.amdhsa_user_sgpr_kernarg_preload_offset 0
		.amdhsa_user_sgpr_private_segment_size 0
		.amdhsa_uses_dynamic_stack 0
		.amdhsa_enable_private_segment 0
		.amdhsa_system_sgpr_workgroup_id_x 1
		.amdhsa_system_sgpr_workgroup_id_y 1
		.amdhsa_system_sgpr_workgroup_id_z 1
		.amdhsa_system_sgpr_workgroup_info 0
		.amdhsa_system_vgpr_workitem_id 0
		.amdhsa_next_free_vgpr 53
		.amdhsa_next_free_sgpr 61
		.amdhsa_accum_offset 56
		.amdhsa_reserve_vcc 1
		.amdhsa_float_round_mode_32 0
		.amdhsa_float_round_mode_16_64 0
		.amdhsa_float_denorm_mode_32 3
		.amdhsa_float_denorm_mode_16_64 3
		.amdhsa_dx10_clamp 1
		.amdhsa_ieee_mode 1
		.amdhsa_fp16_overflow 0
		.amdhsa_tg_split 0
		.amdhsa_exception_fp_ieee_invalid_op 0
		.amdhsa_exception_fp_denorm_src 0
		.amdhsa_exception_fp_ieee_div_zero 0
		.amdhsa_exception_fp_ieee_overflow 0
		.amdhsa_exception_fp_ieee_underflow 0
		.amdhsa_exception_fp_ieee_inexact 0
		.amdhsa_exception_int_div_zero 0
	.end_amdhsa_kernel
	.section	.text._ZN4vllm25paged_attention_v2_kernelI14__hip_bfloat16hLi112ELi8ELi128ELNS_18Fp8KVCacheDataTypeE1ELb1ELi512EEEvPfS3_PT_PKS4_PKT0_SA_ifPKiSC_iPKfiiiSE_SE_iiiii,"axG",@progbits,_ZN4vllm25paged_attention_v2_kernelI14__hip_bfloat16hLi112ELi8ELi128ELNS_18Fp8KVCacheDataTypeE1ELb1ELi512EEEvPfS3_PT_PKS4_PKT0_SA_ifPKiSC_iPKfiiiSE_SE_iiiii,comdat
.Lfunc_end319:
	.size	_ZN4vllm25paged_attention_v2_kernelI14__hip_bfloat16hLi112ELi8ELi128ELNS_18Fp8KVCacheDataTypeE1ELb1ELi512EEEvPfS3_PT_PKS4_PKT0_SA_ifPKiSC_iPKfiiiSE_SE_iiiii, .Lfunc_end319-_ZN4vllm25paged_attention_v2_kernelI14__hip_bfloat16hLi112ELi8ELi128ELNS_18Fp8KVCacheDataTypeE1ELb1ELi512EEEvPfS3_PT_PKS4_PKT0_SA_ifPKiSC_iPKfiiiSE_SE_iiiii
                                        ; -- End function
	.section	.AMDGPU.csdata,"",@progbits
; Kernel info:
; codeLenInByte = 10220
; NumSgprs: 67
; NumVgprs: 53
; NumAgprs: 0
; TotalNumVgprs: 53
; ScratchSize: 0
; MemoryBound: 0
; FloatMode: 240
; IeeeMode: 1
; LDSByteSize: 240 bytes/workgroup (compile time only)
; SGPRBlocks: 8
; VGPRBlocks: 6
; NumSGPRsForWavesPerEU: 67
; NumVGPRsForWavesPerEU: 53
; AccumOffset: 56
; Occupancy: 8
; WaveLimiterHint : 1
; COMPUTE_PGM_RSRC2:SCRATCH_EN: 0
; COMPUTE_PGM_RSRC2:USER_SGPR: 2
; COMPUTE_PGM_RSRC2:TRAP_HANDLER: 0
; COMPUTE_PGM_RSRC2:TGID_X_EN: 1
; COMPUTE_PGM_RSRC2:TGID_Y_EN: 1
; COMPUTE_PGM_RSRC2:TGID_Z_EN: 1
; COMPUTE_PGM_RSRC2:TIDIG_COMP_CNT: 0
; COMPUTE_PGM_RSRC3_GFX90A:ACCUM_OFFSET: 13
; COMPUTE_PGM_RSRC3_GFX90A:TG_SPLIT: 0
	.section	.text._ZN4vllm25paged_attention_v2_kernelI14__hip_bfloat16hLi120ELi8ELi128ELNS_18Fp8KVCacheDataTypeE1ELb1ELi512EEEvPfS3_PT_PKS4_PKT0_SA_ifPKiSC_iPKfiiiSE_SE_iiiii,"axG",@progbits,_ZN4vllm25paged_attention_v2_kernelI14__hip_bfloat16hLi120ELi8ELi128ELNS_18Fp8KVCacheDataTypeE1ELb1ELi512EEEvPfS3_PT_PKS4_PKT0_SA_ifPKiSC_iPKfiiiSE_SE_iiiii,comdat
	.protected	_ZN4vllm25paged_attention_v2_kernelI14__hip_bfloat16hLi120ELi8ELi128ELNS_18Fp8KVCacheDataTypeE1ELb1ELi512EEEvPfS3_PT_PKS4_PKT0_SA_ifPKiSC_iPKfiiiSE_SE_iiiii ; -- Begin function _ZN4vllm25paged_attention_v2_kernelI14__hip_bfloat16hLi120ELi8ELi128ELNS_18Fp8KVCacheDataTypeE1ELb1ELi512EEEvPfS3_PT_PKS4_PKT0_SA_ifPKiSC_iPKfiiiSE_SE_iiiii
	.globl	_ZN4vllm25paged_attention_v2_kernelI14__hip_bfloat16hLi120ELi8ELi128ELNS_18Fp8KVCacheDataTypeE1ELb1ELi512EEEvPfS3_PT_PKS4_PKT0_SA_ifPKiSC_iPKfiiiSE_SE_iiiii
	.p2align	8
	.type	_ZN4vllm25paged_attention_v2_kernelI14__hip_bfloat16hLi120ELi8ELi128ELNS_18Fp8KVCacheDataTypeE1ELb1ELi512EEEvPfS3_PT_PKS4_PKT0_SA_ifPKiSC_iPKfiiiSE_SE_iiiii,@function
_ZN4vllm25paged_attention_v2_kernelI14__hip_bfloat16hLi120ELi8ELi128ELNS_18Fp8KVCacheDataTypeE1ELb1ELi512EEEvPfS3_PT_PKS4_PKT0_SA_ifPKiSC_iPKfiiiSE_SE_iiiii: ; @_ZN4vllm25paged_attention_v2_kernelI14__hip_bfloat16hLi120ELi8ELi128ELNS_18Fp8KVCacheDataTypeE1ELb1ELi512EEEvPfS3_PT_PKS4_PKT0_SA_ifPKiSC_iPKfiiiSE_SE_iiiii
; %bb.0:
	s_load_dwordx2 s[6:7], s[0:1], 0x40
	s_mov_b32 s36, s3
	s_ashr_i32 s37, s3, 31
	s_lshl_b64 s[8:9], s[36:37], 2
	s_waitcnt lgkmcnt(0)
	s_add_u32 s6, s6, s8
	s_addc_u32 s7, s7, s9
	s_load_dword s33, s[6:7], 0x0
	s_lshl_b32 s52, s4, 9
	s_waitcnt lgkmcnt(0)
	s_cmp_ge_i32 s52, s33
	s_cbranch_scc1 .LBB320_297
; %bb.1:
	s_load_dword s5, s[0:1], 0x90
	s_load_dwordx2 s[44:45], s[0:1], 0x30
	s_mov_b32 s53, 0
	s_waitcnt lgkmcnt(0)
	s_abs_i32 s7, s5
	s_abs_i32 s3, s44
	v_cvt_f32_u32_e32 v1, s3
	s_sub_i32 s8, 0, s3
	s_xor_b32 s6, s5, s44
	s_ashr_i32 s6, s6, 31
	v_rcp_iflag_f32_e32 v1, v1
	s_nop 0
	v_mul_f32_e32 v1, 0x4f7ffffe, v1
	v_cvt_u32_f32_e32 v1, v1
	s_nop 0
	v_readfirstlane_b32 s9, v1
	s_mul_i32 s8, s8, s9
	s_mul_hi_u32 s8, s9, s8
	s_add_i32 s9, s9, s8
	s_mul_hi_u32 s8, s7, s9
	s_mul_i32 s9, s8, s3
	s_sub_i32 s7, s7, s9
	s_add_i32 s10, s8, 1
	s_sub_i32 s9, s7, s3
	s_cmp_ge_u32 s7, s3
	s_cselect_b32 s8, s10, s8
	s_cselect_b32 s7, s9, s7
	s_add_i32 s9, s8, 1
	s_cmp_ge_u32 s7, s3
	s_cselect_b32 s3, s9, s8
	s_xor_b32 s3, s3, s6
	s_sub_i32 s10, s3, s6
	s_abs_i32 s8, s10
	v_cvt_f32_u32_e32 v1, s8
	s_load_dwordx2 s[6:7], s[0:1], 0x50
	s_sub_i32 s3, 0, s8
	s_abs_i32 s9, s2
	v_rcp_iflag_f32_e32 v1, v1
	s_nop 0
	v_mul_f32_e32 v1, 0x4f7ffffe, v1
	v_cvt_u32_f32_e32 v1, v1
	s_nop 0
	v_readfirstlane_b32 s11, v1
	s_mul_i32 s3, s3, s11
	s_mul_hi_u32 s3, s11, s3
	s_add_i32 s11, s11, s3
	s_waitcnt lgkmcnt(0)
	s_cmp_eq_u64 s[6:7], 0
	s_mul_hi_u32 s12, s9, s11
	s_cbranch_scc1 .LBB320_3
; %bb.2:
	s_ashr_i32 s3, s2, 31
	s_lshl_b64 s[14:15], s[2:3], 2
	s_add_u32 s6, s6, s14
	s_addc_u32 s7, s7, s15
	s_load_dword s53, s[6:7], 0x0
.LBB320_3:
	s_load_dwordx4 s[20:23], s[0:1], 0x58
	s_movk_i32 s6, 0x78
	s_ashr_i32 s3, s2, 31
	s_ashr_i32 s13, s10, 31
	v_and_b32_e32 v14, 7, v0
	s_mul_i32 s14, s2, 0x78
	v_cmp_gt_u32_e64 s[10:11], s6, v0
	v_lshlrev_b32_e32 v10, 1, v0
	s_and_saveexec_b64 s[6:7], s[10:11]
	s_cbranch_execz .LBB320_5
; %bb.4:
	s_load_dwordx2 s[16:17], s[0:1], 0x18
	s_waitcnt lgkmcnt(0)
	s_mul_i32 s18, s36, s20
	s_ashr_i32 s19, s18, 31
	s_lshl_b64 s[18:19], s[18:19], 1
	v_lshrrev_b32_e32 v2, 2, v0
	s_add_u32 s18, s16, s18
	s_addc_u32 s19, s17, s19
	s_ashr_i32 s15, s14, 31
	s_lshl_b64 s[16:17], s[14:15], 1
	s_add_u32 s16, s18, s16
	s_addc_u32 s17, s19, s17
	global_load_ushort v1, v10, s[16:17]
	v_and_b32_e32 v2, 0xfe, v2
	v_mad_u32_u24 v2, v14, 30, v2
	s_waitcnt vmcnt(0)
	ds_write_b16 v2, v1
.LBB320_5:
	s_or_b64 exec, exec, s[6:7]
	s_mul_i32 s6, s12, s8
	s_sub_i32 s6, s9, s6
	s_xor_b32 s3, s3, s13
	s_add_i32 s7, s12, 1
	s_sub_i32 s9, s6, s8
	s_load_dwordx4 s[24:27], s[0:1], 0x78
	s_cmp_ge_u32 s6, s8
	s_cselect_b32 s7, s7, s12
	s_load_dword s12, s[0:1], 0x88
	s_cselect_b32 s6, s9, s6
	s_add_i32 s9, s7, 1
	s_cmp_ge_u32 s6, s8
	s_cselect_b32 s6, s9, s7
	s_waitcnt lgkmcnt(0)
	s_abs_i32 s37, s27
	v_cvt_f32_u32_e32 v1, s37
	s_xor_b32 s6, s6, s3
	s_sub_i32 s8, s6, s3
	s_sub_i32 s6, 0, s37
	v_rcp_iflag_f32_e32 v1, v1
	s_add_i32 s13, s33, -1
	s_abs_i32 s3, s13
	v_mul_f32_e32 v1, 0x4f7ffffe, v1
	v_cvt_u32_f32_e32 v1, v1
	s_barrier
	v_readfirstlane_b32 s50, v1
	s_mul_i32 s6, s6, s50
	s_mul_hi_u32 s6, s50, s6
	s_add_i32 s50, s50, s6
	s_cmp_lt_i32 s12, 0
	s_mul_hi_u32 s9, s3, s50
	s_cbranch_scc0 .LBB320_7
; %bb.6:
	s_mul_i32 s6, s24, s44
	s_add_i32 s6, s8, s6
	s_mul_i32 s6, s6, s12
	s_sub_i32 s44, 1, s6
	s_mov_b64 s[6:7], 0
	s_branch .LBB320_8
.LBB320_7:
	s_mov_b64 s[6:7], -1
                                        ; implicit-def: $sgpr44
.LBB320_8:
	s_load_dwordx2 s[38:39], s[0:1], 0x38
	s_ashr_i32 s13, s13, 31
	s_andn2_b64 vcc, exec, s[6:7]
	s_ashr_i32 s27, s27, 31
	s_cbranch_vccnz .LBB320_10
; %bb.9:
	s_mul_i32 s6, s5, s24
	s_add_i32 s6, s6, s2
	s_mul_i32 s6, s6, s12
	s_add_i32 s44, s6, 1
.LBB320_10:
	s_load_dwordx2 s[42:43], s[0:1], 0x28
	s_load_dword s6, s[0:1], 0x48
	s_load_dwordx4 s[28:31], s[0:1], 0x0
	s_load_dwordx2 s[34:35], s[0:1], 0x10
	s_load_dword s15, s[0:1], 0x98
	s_load_dwordx4 s[16:19], s[0:1], 0x68
	s_mul_i32 s7, s9, s37
	s_waitcnt lgkmcnt(0)
	s_mul_i32 s40, s36, s6
	s_sub_i32 s3, s3, s7
	s_ashr_i32 s41, s40, 31
	s_xor_b32 s6, s13, s27
	s_add_i32 s7, s9, 1
	s_sub_i32 s12, s3, s37
	s_cmp_ge_u32 s3, s37
	s_cselect_b32 s7, s7, s9
	s_cselect_b32 s3, s12, s3
	s_add_i32 s9, s7, 1
	s_cmp_ge_u32 s3, s37
	s_cselect_b32 s3, s9, s7
	s_xor_b32 s3, s3, s6
	s_sub_i32 s20, s3, s6
	s_add_i32 s3, s33, 7
	s_ashr_i32 s6, s3, 31
	s_lshr_b32 s6, s6, 29
	s_add_i32 s3, s3, s6
	s_lshl_b32 s54, s4, 6
	s_ashr_i32 s3, s3, 3
	s_add_i32 s6, s54, 64
	v_lshrrev_b32_e32 v9, 6, v0
	s_min_i32 s51, s6, s3
	v_or_b32_e32 v12, s54, v9
	v_cmp_gt_i32_e64 s[6:7], s51, v12
	v_mov_b32_e32 v24, 0xff7fffff
	s_mul_i32 s24, s8, s22
	v_ashrrev_i32_e32 v13, 31, v12
	v_lshl_add_u32 v1, v9, 3, s52
	v_mbcnt_lo_u32_b32 v11, -1, 0
	s_and_saveexec_b64 s[22:23], s[6:7]
	s_cbranch_execz .LBB320_80
; %bb.11:
	s_load_dwordx2 s[0:1], s[0:1], 0x20
	s_sub_i32 s55, s20, s25
	s_ashr_i32 s8, s24, 31
	v_bfe_u32 v22, v0, 3, 3
	v_mov_b32_e32 v15, 0
	s_waitcnt lgkmcnt(0)
	s_add_u32 s0, s0, s24
	s_addc_u32 s1, s1, s8
	s_abs_i32 s56, s26
	v_cvt_f32_u32_e32 v2, s56
	v_cmp_eq_u32_e32 vcc, 0, v14
	s_mov_b32 s57, s21
	v_mul_u32_u24_e32 v23, 30, v14
	v_rcp_iflag_f32_e32 v3, v2
	v_lshlrev_b32_e32 v2, 4, v22
	v_cmp_neq_f32_e64 s[8:9], s53, 0
	v_lshl_add_u32 v26, v9, 3, s52
	v_mul_f32_e32 v3, 0x4f7ffffe, v3
	v_cvt_u32_f32_e32 v4, v3
	v_mov_b32_e32 v3, v15
	v_lshl_add_u64 v[16:17], s[0:1], 0, v[2:3]
	s_sub_i32 s0, 0, s56
	v_mul_lo_u32 v2, s0, v4
	v_mul_hi_u32 v2, v4, v2
	v_add_u32_e32 v25, v4, v2
	s_lshl_b64 s[0:1], s[40:41], 2
	v_lshlrev_b32_e32 v2, 2, v22
	s_add_u32 s0, s38, s0
	v_lshl_or_b32 v2, v9, 5, v2
	s_addc_u32 s1, s39, s1
	v_add_u32_e32 v27, 0x100, v2
	v_subrev_u32_e32 v2, s33, v22
	v_lshl_add_u64 v[18:19], v[12:13], 2, s[0:1]
	v_add_u32_e32 v28, 1, v2
	s_mov_b64 s[46:47], 0
	v_mov_b32_e32 v29, 0xff7fffff
	s_mov_b32 s58, 0x7f800000
	s_movk_i32 s59, 0x7fff
	v_mbcnt_hi_u32_b32 v30, -1, v11
	v_mov_b32_e32 v24, 0xff7fffff
	v_mov_b32_e32 v31, v12
	s_branch .LBB320_14
.LBB320_12:                             ;   in Loop: Header=BB320_14 Depth=1
	s_or_b64 exec, exec, s[48:49]
.LBB320_13:                             ;   in Loop: Header=BB320_14 Depth=1
	s_or_b64 exec, exec, s[12:13]
	v_add_u32_e32 v31, 2, v31
	v_cmp_le_i32_e64 s[0:1], s51, v31
	v_lshl_add_u64 v[18:19], v[18:19], 0, 8
	v_add_u32_e32 v26, 16, v26
	s_or_b64 s[46:47], s[0:1], s[46:47]
	v_add_u32_e32 v27, 64, v27
	s_andn2_b64 exec, exec, s[46:47]
	s_cbranch_execz .LBB320_79
.LBB320_14:                             ; =>This Inner Loop Header: Depth=1
	s_waitcnt lgkmcnt(0)
	v_sub_u32_e32 v3, 0, v26
	v_max_i32_e32 v3, v26, v3
	v_mul_hi_u32 v4, v3, s50
	v_mul_lo_u32 v5, v4, s37
	v_sub_u32_e32 v3, v3, v5
	v_add_u32_e32 v5, 1, v4
	v_cmp_le_u32_e64 s[0:1], s37, v3
	v_ashrrev_i32_e32 v2, 31, v26
	v_xor_b32_e32 v2, s27, v2
	v_cndmask_b32_e64 v4, v4, v5, s[0:1]
	v_subrev_u32_e32 v5, s37, v3
	v_cndmask_b32_e64 v3, v3, v5, s[0:1]
	v_add_u32_e32 v5, 1, v4
	v_cmp_le_u32_e64 s[0:1], s37, v3
	s_nop 1
	v_cndmask_b32_e64 v3, v4, v5, s[0:1]
	v_xor_b32_e32 v3, v3, v2
	v_sub_u32_e32 v2, v3, v2
	v_add_u32_e32 v3, s44, v2
	v_sub_u32_e32 v5, 0, v3
	v_ashrrev_i32_e32 v4, 31, v3
	v_max_i32_e32 v3, v3, v5
	v_mul_hi_u32 v5, v3, v25
	v_mul_lo_u32 v5, v5, s56
	v_sub_u32_e32 v3, v3, v5
	v_subrev_u32_e32 v5, s56, v3
	v_cmp_le_u32_e64 s[0:1], s56, v3
	v_cmp_ge_i32_e64 s[12:13], s55, v2
	s_nop 0
	v_cndmask_b32_e64 v3, v3, v5, s[0:1]
	v_subrev_u32_e32 v5, s56, v3
	v_cmp_le_u32_e64 s[0:1], s56, v3
	s_nop 1
	v_cndmask_b32_e64 v3, v3, v5, s[0:1]
	v_xor_b32_e32 v3, v3, v4
	v_sub_u32_e32 v3, v3, v4
	v_cmp_ne_u32_e64 s[0:1], 0, v3
	s_and_b64 s[0:1], s[0:1], s[12:13]
	s_and_b64 s[48:49], vcc, s[0:1]
	s_and_saveexec_b64 s[12:13], s[48:49]
	s_cbranch_execz .LBB320_16
; %bb.15:                               ;   in Loop: Header=BB320_14 Depth=1
	ds_write_b32 v27, v29
.LBB320_16:                             ;   in Loop: Header=BB320_14 Depth=1
	s_or_b64 exec, exec, s[12:13]
	s_xor_b64 s[0:1], s[0:1], -1
	s_and_saveexec_b64 s[12:13], s[0:1]
	s_cbranch_execz .LBB320_13
; %bb.17:                               ;   in Loop: Header=BB320_14 Depth=1
	global_load_dword v2, v[18:19], off
	s_load_dword s60, s[16:17], 0x0
	s_waitcnt vmcnt(0)
	v_mad_i64_i32 v[2:3], s[0:1], v2, s57, v[16:17]
	v_lshl_add_u64 v[20:21], v[2:3], 0, v[14:15]
	global_load_ubyte v2, v[20:21], off
	s_waitcnt vmcnt(0)
	v_cvt_f32_fp8_sdwa v33, v2 src0_sel:BYTE_0
	ds_read_b128 v[2:5], v23
	ds_read_b96 v[6:8], v23 offset:16
	ds_read_u16 v32, v23 offset:28
	s_waitcnt lgkmcnt(0)
	v_mul_f32_e32 v34, s60, v33
	v_and_b32_e32 v33, 0x7f800000, v34
	v_cmp_ne_u32_e64 s[0:1], s58, v33
                                        ; implicit-def: $vgpr33
	s_and_saveexec_b64 s[48:49], s[0:1]
	s_xor_b64 s[0:1], exec, s[48:49]
; %bb.18:                               ;   in Loop: Header=BB320_14 Depth=1
	v_bfe_u32 v33, v34, 16, 1
	v_add3_u32 v33, v34, v33, s59
                                        ; implicit-def: $vgpr34
; %bb.19:                               ;   in Loop: Header=BB320_14 Depth=1
	s_andn2_saveexec_b64 s[48:49], s[0:1]
; %bb.20:                               ;   in Loop: Header=BB320_14 Depth=1
	v_or_b32_e32 v33, 0x10000, v34
	v_cmp_eq_u32_sdwa s[0:1], v34, v15 src0_sel:WORD_0 src1_sel:DWORD
	s_nop 1
	v_cndmask_b32_e64 v33, v33, v34, s[0:1]
; %bb.21:                               ;   in Loop: Header=BB320_14 Depth=1
	s_or_b64 exec, exec, s[48:49]
	global_load_ubyte v34, v[20:21], off offset:8
	s_waitcnt vmcnt(0)
	v_cvt_f32_fp8_sdwa v34, v34 src0_sel:BYTE_0
	s_nop 0
	v_mul_f32_e32 v35, s60, v34
	v_and_b32_e32 v34, 0x7f800000, v35
	v_cmp_ne_u32_e64 s[0:1], s58, v34
                                        ; implicit-def: $vgpr34
	s_and_saveexec_b64 s[48:49], s[0:1]
	s_xor_b64 s[0:1], exec, s[48:49]
; %bb.22:                               ;   in Loop: Header=BB320_14 Depth=1
	v_bfe_u32 v34, v35, 16, 1
	v_add3_u32 v34, v35, v34, s59
                                        ; implicit-def: $vgpr35
; %bb.23:                               ;   in Loop: Header=BB320_14 Depth=1
	s_andn2_saveexec_b64 s[48:49], s[0:1]
; %bb.24:                               ;   in Loop: Header=BB320_14 Depth=1
	v_or_b32_e32 v34, 0x10000, v35
	v_cmp_eq_u32_sdwa s[0:1], v35, v15 src0_sel:WORD_0 src1_sel:DWORD
	s_nop 1
	v_cndmask_b32_e64 v34, v34, v35, s[0:1]
; %bb.25:                               ;   in Loop: Header=BB320_14 Depth=1
	s_or_b64 exec, exec, s[48:49]
	global_load_ubyte v35, v[20:21], off offset:128
	s_waitcnt vmcnt(0)
	v_cvt_f32_fp8_sdwa v35, v35 src0_sel:BYTE_0
	s_nop 0
	v_mul_f32_e32 v36, s60, v35
	v_and_b32_e32 v35, 0x7f800000, v36
	v_cmp_ne_u32_e64 s[0:1], s58, v35
                                        ; implicit-def: $vgpr35
	s_and_saveexec_b64 s[48:49], s[0:1]
	s_xor_b64 s[0:1], exec, s[48:49]
; %bb.26:                               ;   in Loop: Header=BB320_14 Depth=1
	v_bfe_u32 v35, v36, 16, 1
	v_add3_u32 v35, v36, v35, s59
                                        ; implicit-def: $vgpr36
; %bb.27:                               ;   in Loop: Header=BB320_14 Depth=1
	s_andn2_saveexec_b64 s[48:49], s[0:1]
; %bb.28:                               ;   in Loop: Header=BB320_14 Depth=1
	v_or_b32_e32 v35, 0x10000, v36
	v_cmp_eq_u32_sdwa s[0:1], v36, v15 src0_sel:WORD_0 src1_sel:DWORD
	s_nop 1
	v_cndmask_b32_e64 v35, v35, v36, s[0:1]
; %bb.29:                               ;   in Loop: Header=BB320_14 Depth=1
	s_or_b64 exec, exec, s[48:49]
	global_load_ubyte v36, v[20:21], off offset:136
	s_waitcnt vmcnt(0)
	v_cvt_f32_fp8_sdwa v36, v36 src0_sel:BYTE_0
	s_nop 0
	v_mul_f32_e32 v37, s60, v36
	v_and_b32_e32 v36, 0x7f800000, v37
	v_cmp_ne_u32_e64 s[0:1], s58, v36
                                        ; implicit-def: $vgpr36
	s_and_saveexec_b64 s[48:49], s[0:1]
	s_xor_b64 s[0:1], exec, s[48:49]
; %bb.30:                               ;   in Loop: Header=BB320_14 Depth=1
	v_bfe_u32 v36, v37, 16, 1
	v_add3_u32 v36, v37, v36, s59
                                        ; implicit-def: $vgpr37
; %bb.31:                               ;   in Loop: Header=BB320_14 Depth=1
	s_andn2_saveexec_b64 s[48:49], s[0:1]
; %bb.32:                               ;   in Loop: Header=BB320_14 Depth=1
	v_or_b32_e32 v36, 0x10000, v37
	v_cmp_eq_u32_sdwa s[0:1], v37, v15 src0_sel:WORD_0 src1_sel:DWORD
	s_nop 1
	v_cndmask_b32_e64 v36, v36, v37, s[0:1]
; %bb.33:                               ;   in Loop: Header=BB320_14 Depth=1
	s_or_b64 exec, exec, s[48:49]
	global_load_ubyte v37, v[20:21], off offset:256
	s_waitcnt vmcnt(0)
	v_cvt_f32_fp8_sdwa v37, v37 src0_sel:BYTE_0
	s_nop 0
	v_mul_f32_e32 v38, s60, v37
	v_and_b32_e32 v37, 0x7f800000, v38
	v_cmp_ne_u32_e64 s[0:1], s58, v37
                                        ; implicit-def: $vgpr37
	s_and_saveexec_b64 s[48:49], s[0:1]
	s_xor_b64 s[0:1], exec, s[48:49]
; %bb.34:                               ;   in Loop: Header=BB320_14 Depth=1
	v_bfe_u32 v37, v38, 16, 1
	v_add3_u32 v37, v38, v37, s59
                                        ; implicit-def: $vgpr38
; %bb.35:                               ;   in Loop: Header=BB320_14 Depth=1
	s_andn2_saveexec_b64 s[48:49], s[0:1]
; %bb.36:                               ;   in Loop: Header=BB320_14 Depth=1
	v_or_b32_e32 v37, 0x10000, v38
	v_cmp_eq_u32_sdwa s[0:1], v38, v15 src0_sel:WORD_0 src1_sel:DWORD
	s_nop 1
	v_cndmask_b32_e64 v37, v37, v38, s[0:1]
; %bb.37:                               ;   in Loop: Header=BB320_14 Depth=1
	s_or_b64 exec, exec, s[48:49]
	global_load_ubyte v38, v[20:21], off offset:264
	s_waitcnt vmcnt(0)
	v_cvt_f32_fp8_sdwa v38, v38 src0_sel:BYTE_0
	s_nop 0
	v_mul_f32_e32 v39, s60, v38
	v_and_b32_e32 v38, 0x7f800000, v39
	v_cmp_ne_u32_e64 s[0:1], s58, v38
                                        ; implicit-def: $vgpr38
	s_and_saveexec_b64 s[48:49], s[0:1]
	s_xor_b64 s[0:1], exec, s[48:49]
; %bb.38:                               ;   in Loop: Header=BB320_14 Depth=1
	v_bfe_u32 v38, v39, 16, 1
	v_add3_u32 v38, v39, v38, s59
                                        ; implicit-def: $vgpr39
; %bb.39:                               ;   in Loop: Header=BB320_14 Depth=1
	s_andn2_saveexec_b64 s[48:49], s[0:1]
; %bb.40:                               ;   in Loop: Header=BB320_14 Depth=1
	v_or_b32_e32 v38, 0x10000, v39
	v_cmp_eq_u32_sdwa s[0:1], v39, v15 src0_sel:WORD_0 src1_sel:DWORD
	s_nop 1
	v_cndmask_b32_e64 v38, v38, v39, s[0:1]
; %bb.41:                               ;   in Loop: Header=BB320_14 Depth=1
	s_or_b64 exec, exec, s[48:49]
	global_load_ubyte v39, v[20:21], off offset:384
	s_waitcnt vmcnt(0)
	v_cvt_f32_fp8_sdwa v39, v39 src0_sel:BYTE_0
	s_nop 0
	v_mul_f32_e32 v40, s60, v39
	v_and_b32_e32 v39, 0x7f800000, v40
	v_cmp_ne_u32_e64 s[0:1], s58, v39
                                        ; implicit-def: $vgpr39
	s_and_saveexec_b64 s[48:49], s[0:1]
	s_xor_b64 s[0:1], exec, s[48:49]
; %bb.42:                               ;   in Loop: Header=BB320_14 Depth=1
	v_bfe_u32 v39, v40, 16, 1
	v_add3_u32 v39, v40, v39, s59
                                        ; implicit-def: $vgpr40
; %bb.43:                               ;   in Loop: Header=BB320_14 Depth=1
	s_andn2_saveexec_b64 s[48:49], s[0:1]
; %bb.44:                               ;   in Loop: Header=BB320_14 Depth=1
	v_or_b32_e32 v39, 0x10000, v40
	v_cmp_eq_u32_sdwa s[0:1], v40, v15 src0_sel:WORD_0 src1_sel:DWORD
	s_nop 1
	v_cndmask_b32_e64 v39, v39, v40, s[0:1]
; %bb.45:                               ;   in Loop: Header=BB320_14 Depth=1
	s_or_b64 exec, exec, s[48:49]
	global_load_ubyte v40, v[20:21], off offset:392
	s_waitcnt vmcnt(0)
	v_cvt_f32_fp8_sdwa v40, v40 src0_sel:BYTE_0
	s_nop 0
	v_mul_f32_e32 v41, s60, v40
	v_and_b32_e32 v40, 0x7f800000, v41
	v_cmp_ne_u32_e64 s[0:1], s58, v40
                                        ; implicit-def: $vgpr40
	s_and_saveexec_b64 s[48:49], s[0:1]
	s_xor_b64 s[0:1], exec, s[48:49]
; %bb.46:                               ;   in Loop: Header=BB320_14 Depth=1
	v_bfe_u32 v40, v41, 16, 1
	v_add3_u32 v40, v41, v40, s59
                                        ; implicit-def: $vgpr41
; %bb.47:                               ;   in Loop: Header=BB320_14 Depth=1
	s_andn2_saveexec_b64 s[48:49], s[0:1]
; %bb.48:                               ;   in Loop: Header=BB320_14 Depth=1
	v_or_b32_e32 v40, 0x10000, v41
	v_cmp_eq_u32_sdwa s[0:1], v41, v15 src0_sel:WORD_0 src1_sel:DWORD
	s_nop 1
	v_cndmask_b32_e64 v40, v40, v41, s[0:1]
; %bb.49:                               ;   in Loop: Header=BB320_14 Depth=1
	s_or_b64 exec, exec, s[48:49]
	global_load_ubyte v41, v[20:21], off offset:512
	s_waitcnt vmcnt(0)
	v_cvt_f32_fp8_sdwa v41, v41 src0_sel:BYTE_0
	s_nop 0
	v_mul_f32_e32 v42, s60, v41
	v_and_b32_e32 v41, 0x7f800000, v42
	v_cmp_ne_u32_e64 s[0:1], s58, v41
                                        ; implicit-def: $vgpr41
	s_and_saveexec_b64 s[48:49], s[0:1]
	s_xor_b64 s[0:1], exec, s[48:49]
; %bb.50:                               ;   in Loop: Header=BB320_14 Depth=1
	v_bfe_u32 v41, v42, 16, 1
	v_add3_u32 v41, v42, v41, s59
                                        ; implicit-def: $vgpr42
; %bb.51:                               ;   in Loop: Header=BB320_14 Depth=1
	s_andn2_saveexec_b64 s[48:49], s[0:1]
; %bb.52:                               ;   in Loop: Header=BB320_14 Depth=1
	v_or_b32_e32 v41, 0x10000, v42
	v_cmp_eq_u32_sdwa s[0:1], v42, v15 src0_sel:WORD_0 src1_sel:DWORD
	s_nop 1
	v_cndmask_b32_e64 v41, v41, v42, s[0:1]
; %bb.53:                               ;   in Loop: Header=BB320_14 Depth=1
	s_or_b64 exec, exec, s[48:49]
	global_load_ubyte v42, v[20:21], off offset:520
	s_waitcnt vmcnt(0)
	v_cvt_f32_fp8_sdwa v42, v42 src0_sel:BYTE_0
	s_nop 0
	v_mul_f32_e32 v43, s60, v42
	v_and_b32_e32 v42, 0x7f800000, v43
	v_cmp_ne_u32_e64 s[0:1], s58, v42
                                        ; implicit-def: $vgpr42
	s_and_saveexec_b64 s[48:49], s[0:1]
	s_xor_b64 s[0:1], exec, s[48:49]
; %bb.54:                               ;   in Loop: Header=BB320_14 Depth=1
	v_bfe_u32 v42, v43, 16, 1
	v_add3_u32 v42, v43, v42, s59
                                        ; implicit-def: $vgpr43
; %bb.55:                               ;   in Loop: Header=BB320_14 Depth=1
	s_andn2_saveexec_b64 s[48:49], s[0:1]
; %bb.56:                               ;   in Loop: Header=BB320_14 Depth=1
	v_or_b32_e32 v42, 0x10000, v43
	v_cmp_eq_u32_sdwa s[0:1], v43, v15 src0_sel:WORD_0 src1_sel:DWORD
	s_nop 1
	v_cndmask_b32_e64 v42, v42, v43, s[0:1]
; %bb.57:                               ;   in Loop: Header=BB320_14 Depth=1
	s_or_b64 exec, exec, s[48:49]
	global_load_ubyte v43, v[20:21], off offset:640
	s_waitcnt vmcnt(0)
	v_cvt_f32_fp8_sdwa v43, v43 src0_sel:BYTE_0
	s_nop 0
	v_mul_f32_e32 v44, s60, v43
	v_and_b32_e32 v43, 0x7f800000, v44
	v_cmp_ne_u32_e64 s[0:1], s58, v43
                                        ; implicit-def: $vgpr43
	s_and_saveexec_b64 s[48:49], s[0:1]
	s_xor_b64 s[0:1], exec, s[48:49]
; %bb.58:                               ;   in Loop: Header=BB320_14 Depth=1
	v_bfe_u32 v43, v44, 16, 1
	v_add3_u32 v43, v44, v43, s59
                                        ; implicit-def: $vgpr44
; %bb.59:                               ;   in Loop: Header=BB320_14 Depth=1
	s_andn2_saveexec_b64 s[48:49], s[0:1]
; %bb.60:                               ;   in Loop: Header=BB320_14 Depth=1
	v_or_b32_e32 v43, 0x10000, v44
	v_cmp_eq_u32_sdwa s[0:1], v44, v15 src0_sel:WORD_0 src1_sel:DWORD
	s_nop 1
	v_cndmask_b32_e64 v43, v43, v44, s[0:1]
; %bb.61:                               ;   in Loop: Header=BB320_14 Depth=1
	s_or_b64 exec, exec, s[48:49]
	global_load_ubyte v44, v[20:21], off offset:648
	s_waitcnt vmcnt(0)
	v_cvt_f32_fp8_sdwa v44, v44 src0_sel:BYTE_0
	s_nop 0
	v_mul_f32_e32 v45, s60, v44
	v_and_b32_e32 v44, 0x7f800000, v45
	v_cmp_ne_u32_e64 s[0:1], s58, v44
                                        ; implicit-def: $vgpr44
	s_and_saveexec_b64 s[48:49], s[0:1]
	s_xor_b64 s[0:1], exec, s[48:49]
; %bb.62:                               ;   in Loop: Header=BB320_14 Depth=1
	v_bfe_u32 v44, v45, 16, 1
	v_add3_u32 v44, v45, v44, s59
                                        ; implicit-def: $vgpr45
; %bb.63:                               ;   in Loop: Header=BB320_14 Depth=1
	s_andn2_saveexec_b64 s[48:49], s[0:1]
; %bb.64:                               ;   in Loop: Header=BB320_14 Depth=1
	v_or_b32_e32 v44, 0x10000, v45
	v_cmp_eq_u32_sdwa s[0:1], v45, v15 src0_sel:WORD_0 src1_sel:DWORD
	s_nop 1
	v_cndmask_b32_e64 v44, v44, v45, s[0:1]
; %bb.65:                               ;   in Loop: Header=BB320_14 Depth=1
	s_or_b64 exec, exec, s[48:49]
	global_load_ubyte v45, v[20:21], off offset:768
	s_waitcnt vmcnt(0)
	v_cvt_f32_fp8_sdwa v45, v45 src0_sel:BYTE_0
	s_nop 0
	v_mul_f32_e32 v46, s60, v45
	v_and_b32_e32 v45, 0x7f800000, v46
	v_cmp_ne_u32_e64 s[0:1], s58, v45
                                        ; implicit-def: $vgpr45
	s_and_saveexec_b64 s[48:49], s[0:1]
	s_xor_b64 s[0:1], exec, s[48:49]
; %bb.66:                               ;   in Loop: Header=BB320_14 Depth=1
	v_bfe_u32 v45, v46, 16, 1
	v_add3_u32 v45, v46, v45, s59
                                        ; implicit-def: $vgpr46
; %bb.67:                               ;   in Loop: Header=BB320_14 Depth=1
	s_andn2_saveexec_b64 s[48:49], s[0:1]
; %bb.68:                               ;   in Loop: Header=BB320_14 Depth=1
	v_or_b32_e32 v45, 0x10000, v46
	v_cmp_eq_u32_sdwa s[0:1], v46, v15 src0_sel:WORD_0 src1_sel:DWORD
	s_nop 1
	v_cndmask_b32_e64 v45, v45, v46, s[0:1]
; %bb.69:                               ;   in Loop: Header=BB320_14 Depth=1
	s_or_b64 exec, exec, s[48:49]
	global_load_ubyte v46, v[20:21], off offset:776
	s_waitcnt vmcnt(0)
	v_cvt_f32_fp8_sdwa v46, v46 src0_sel:BYTE_0
	s_nop 0
	v_mul_f32_e32 v47, s60, v46
	v_and_b32_e32 v46, 0x7f800000, v47
	v_cmp_ne_u32_e64 s[0:1], s58, v46
                                        ; implicit-def: $vgpr46
	s_and_saveexec_b64 s[48:49], s[0:1]
	s_xor_b64 s[0:1], exec, s[48:49]
; %bb.70:                               ;   in Loop: Header=BB320_14 Depth=1
	v_bfe_u32 v46, v47, 16, 1
	v_add3_u32 v46, v47, v46, s59
                                        ; implicit-def: $vgpr47
; %bb.71:                               ;   in Loop: Header=BB320_14 Depth=1
	s_andn2_saveexec_b64 s[48:49], s[0:1]
; %bb.72:                               ;   in Loop: Header=BB320_14 Depth=1
	v_or_b32_e32 v46, 0x10000, v47
	v_cmp_eq_u32_sdwa s[0:1], v47, v15 src0_sel:WORD_0 src1_sel:DWORD
	s_nop 1
	v_cndmask_b32_e64 v46, v46, v47, s[0:1]
; %bb.73:                               ;   in Loop: Header=BB320_14 Depth=1
	s_or_b64 exec, exec, s[48:49]
	global_load_ubyte v20, v[20:21], off offset:896
	s_waitcnt vmcnt(0)
	v_cvt_f32_fp8_sdwa v20, v20 src0_sel:BYTE_0
	s_nop 0
	v_mul_f32_e32 v21, s60, v20
	v_and_b32_e32 v20, 0x7f800000, v21
	v_cmp_ne_u32_e64 s[0:1], s58, v20
                                        ; implicit-def: $vgpr20
	s_and_saveexec_b64 s[48:49], s[0:1]
	s_xor_b64 s[0:1], exec, s[48:49]
; %bb.74:                               ;   in Loop: Header=BB320_14 Depth=1
	v_bfe_u32 v20, v21, 16, 1
	v_add3_u32 v20, v21, v20, s59
                                        ; implicit-def: $vgpr21
; %bb.75:                               ;   in Loop: Header=BB320_14 Depth=1
	s_andn2_saveexec_b64 s[48:49], s[0:1]
; %bb.76:                               ;   in Loop: Header=BB320_14 Depth=1
	v_or_b32_e32 v20, 0x10000, v21
	v_cmp_eq_u32_sdwa s[0:1], v21, v15 src0_sel:WORD_0 src1_sel:DWORD
	s_nop 1
	v_cndmask_b32_e64 v20, v20, v21, s[0:1]
; %bb.77:                               ;   in Loop: Header=BB320_14 Depth=1
	s_or_b64 exec, exec, s[48:49]
	v_and_b32_e32 v21, 0xffff0000, v46
	v_and_b32_e32 v34, 0xffff0000, v34
	v_lshlrev_b32_e32 v46, 16, v2
	v_and_b32_e32 v2, 0xffff0000, v2
	v_and_b32_e32 v33, 0xffff0000, v33
	v_mul_f32_e32 v2, v2, v34
	v_and_b32_e32 v35, 0xffff0000, v35
	v_lshlrev_b32_e32 v47, 16, v3
	v_fmac_f32_e32 v2, v46, v33
	v_and_b32_e32 v36, 0xffff0000, v36
	v_and_b32_e32 v3, 0xffff0000, v3
	v_fmac_f32_e32 v2, v47, v35
	v_and_b32_e32 v37, 0xffff0000, v37
	v_lshlrev_b32_e32 v48, 16, v4
	v_fmac_f32_e32 v2, v3, v36
	v_and_b32_e32 v38, 0xffff0000, v38
	v_and_b32_e32 v4, 0xffff0000, v4
	v_fmac_f32_e32 v2, v48, v37
	;; [unrolled: 6-line block ×4, first 2 shown]
	v_and_b32_e32 v43, 0xffff0000, v43
	v_lshlrev_b32_e32 v51, 16, v7
	v_fmac_f32_e32 v2, v6, v42
	v_and_b32_e32 v44, 0xffff0000, v44
	v_and_b32_e32 v7, 0xffff0000, v7
	;; [unrolled: 1-line block ×3, first 2 shown]
	v_fmac_f32_e32 v2, v51, v43
	v_and_b32_e32 v45, 0xffff0000, v45
	v_lshlrev_b32_e32 v52, 16, v8
	v_add_u32_e32 v53, 64, v53
	v_xor_b32_e32 v54, 4, v30
	v_fmac_f32_e32 v2, v7, v44
	v_and_b32_e32 v8, 0xffff0000, v8
	v_cmp_lt_i32_e64 s[0:1], v54, v53
	v_fmac_f32_e32 v2, v52, v45
	v_lshlrev_b32_e32 v32, 16, v32
	v_cndmask_b32_e64 v54, v30, v54, s[0:1]
	v_and_b32_e32 v20, 0xffff0000, v20
	v_fmac_f32_e32 v2, v8, v21
	v_lshlrev_b32_e32 v54, 2, v54
	v_fmac_f32_e32 v2, v32, v20
	ds_bpermute_b32 v3, v54, v2
	v_xor_b32_e32 v4, 2, v30
	v_cmp_lt_i32_e64 s[0:1], v4, v53
	s_waitcnt lgkmcnt(0)
	v_add_f32_e32 v2, v2, v3
	v_cndmask_b32_e64 v4, v30, v4, s[0:1]
	v_lshlrev_b32_e32 v4, 2, v4
	ds_bpermute_b32 v3, v4, v2
	v_xor_b32_e32 v4, 1, v30
	v_cmp_lt_i32_e64 s[0:1], v4, v53
	s_waitcnt lgkmcnt(0)
	v_add_f32_e32 v2, v2, v3
	v_cndmask_b32_e64 v4, v30, v4, s[0:1]
	v_lshlrev_b32_e32 v4, 2, v4
	ds_bpermute_b32 v3, v4, v2
	s_and_saveexec_b64 s[48:49], vcc
	s_cbranch_execz .LBB320_12
; %bb.78:                               ;   in Loop: Header=BB320_14 Depth=1
	v_add_u32_e32 v4, v28, v26
	v_cvt_f32_i32_e32 v4, v4
	s_waitcnt lgkmcnt(0)
	v_add_f32_e32 v2, v2, v3
	v_add_u32_e32 v5, v22, v26
	v_cmp_gt_i32_e64 s[0:1], s33, v5
	v_mul_f32_e32 v3, s53, v4
	v_cndmask_b32_e64 v3, 0, v3, s[8:9]
	v_fmac_f32_e32 v3, s45, v2
	v_cndmask_b32_e64 v2, 0, v3, s[0:1]
	ds_write_b32 v27, v2
	v_max_f32_e32 v2, v24, v24
	v_max_f32_e32 v2, v2, v3
	v_cndmask_b32_e64 v24, v24, v2, s[0:1]
	s_branch .LBB320_12
.LBB320_79:
	s_or_b64 exec, exec, s[46:47]
.LBB320_80:
	s_or_b64 exec, exec, s[22:23]
	v_mbcnt_hi_u32_b32 v2, -1, v11
	s_waitcnt lgkmcnt(0)
	v_and_b32_e32 v3, 64, v2
	v_add_u32_e32 v3, 64, v3
	v_xor_b32_e32 v4, 32, v2
	v_cmp_lt_i32_e32 vcc, v4, v3
	v_xor_b32_e32 v7, 16, v2
	v_max_f32_e32 v5, v24, v24
	v_cndmask_b32_e32 v4, v2, v4, vcc
	v_lshlrev_b32_e32 v6, 2, v4
	ds_bpermute_b32 v4, v6, v24
	v_cmp_lt_i32_e32 vcc, v7, v3
	v_and_b32_e32 v11, 63, v0
	s_waitcnt lgkmcnt(0)
	v_max_f32_e32 v4, v4, v4
	v_max_f32_e32 v4, v5, v4
	v_cndmask_b32_e32 v5, v2, v7, vcc
	v_lshlrev_b32_e32 v8, 2, v5
	ds_bpermute_b32 v5, v8, v4
	v_xor_b32_e32 v7, 8, v2
	v_cmp_lt_i32_e32 vcc, v7, v3
	s_waitcnt lgkmcnt(0)
	v_max_f32_e32 v5, v5, v5
	v_max_f32_e32 v4, v4, v5
	v_cndmask_b32_e32 v5, v2, v7, vcc
	v_lshlrev_b32_e32 v14, 2, v5
	ds_bpermute_b32 v7, v14, v4
	v_cmp_eq_u32_e32 vcc, 0, v11
	v_lshlrev_b32_e32 v5, 2, v9
	s_and_saveexec_b64 s[0:1], vcc
	s_cbranch_execz .LBB320_82
; %bb.81:
	s_waitcnt lgkmcnt(0)
	v_max_f32_e32 v7, v7, v7
	v_max_f32_e32 v4, v4, v4
	;; [unrolled: 1-line block ×3, first 2 shown]
	ds_write_b32 v5, v4 offset:240
.LBB320_82:
	s_or_b64 exec, exec, s[0:1]
	v_cmp_gt_u32_e64 s[0:1], 2, v11
	v_mov_b32_e32 v4, 0xff7fffff
	s_waitcnt lgkmcnt(0)
	v_lshlrev_b32_e32 v7, 2, v11
	s_barrier
	s_and_saveexec_b64 s[8:9], s[0:1]
	s_cbranch_execz .LBB320_84
; %bb.83:
	ds_read_b32 v4, v7 offset:240
.LBB320_84:
	s_or_b64 exec, exec, s[8:9]
	v_xor_b32_e32 v15, 1, v2
	v_cmp_lt_i32_e64 s[8:9], v15, v3
	v_mov_b32_e32 v17, 0
	s_nop 0
	v_cndmask_b32_e64 v15, v2, v15, s[8:9]
	v_lshlrev_b32_e32 v15, 2, v15
	s_waitcnt lgkmcnt(0)
	ds_bpermute_b32 v16, v15, v4
	v_max_f32_e32 v4, v4, v4
	s_sub_i32 s8, s51, s54
	s_lshl_b32 s8, s8, 3
	s_add_i32 s8, s8, s52
	s_waitcnt lgkmcnt(0)
	v_max_f32_e32 v16, v16, v16
	v_max_f32_e32 v4, v4, v16
	v_lshlrev_b32_e32 v16, 2, v2
	v_and_b32_e32 v16, 0x100, v16
	ds_bpermute_b32 v4, v16, v4
	s_min_i32 s46, s8, s33
	s_sub_i32 s45, s46, s52
	v_cmp_gt_i32_e64 s[8:9], s45, v0
	s_and_saveexec_b64 s[16:17], s[8:9]
	s_cbranch_execz .LBB320_88
; %bb.85:
	v_mov_b32_e32 v17, 0x100
	v_lshl_add_u32 v18, v0, 2, v17
	s_mov_b64 s[22:23], 0
	v_mov_b32_e32 v17, 0
	v_mov_b32_e32 v19, v0
.LBB320_86:                             ; =>This Inner Loop Header: Depth=1
	ds_read_b32 v20, v18
	v_add_u32_e32 v19, 0x80, v19
	v_cmp_le_i32_e64 s[12:13], s45, v19
	s_or_b64 s[22:23], s[12:13], s[22:23]
	s_waitcnt lgkmcnt(0)
	v_sub_f32_e32 v20, v20, v4
	v_mul_f32_e32 v20, 0x3fb8aa3b, v20
	v_exp_f32_e32 v20, v20
	ds_write_b32 v18, v20
	v_add_f32_e32 v17, v17, v20
	v_add_u32_e32 v18, 0x200, v18
	s_andn2_b64 exec, exec, s[22:23]
	s_cbranch_execnz .LBB320_86
; %bb.87:
	s_or_b64 exec, exec, s[22:23]
.LBB320_88:
	s_or_b64 exec, exec, s[16:17]
	ds_bpermute_b32 v6, v6, v17
	s_waitcnt lgkmcnt(0)
	v_add_f32_e32 v6, v17, v6
	ds_bpermute_b32 v8, v8, v6
	s_waitcnt lgkmcnt(0)
	v_add_f32_e32 v6, v6, v8
	ds_bpermute_b32 v8, v14, v6
	v_xor_b32_e32 v14, 4, v2
	v_cmp_lt_i32_e64 s[12:13], v14, v3
	s_waitcnt lgkmcnt(0)
	v_add_f32_e32 v6, v6, v8
	v_cndmask_b32_e64 v14, v2, v14, s[12:13]
	v_lshlrev_b32_e32 v14, 2, v14
	ds_bpermute_b32 v8, v14, v6
	v_xor_b32_e32 v14, 2, v2
	v_cmp_lt_i32_e64 s[12:13], v14, v3
	s_waitcnt lgkmcnt(0)
	v_add_f32_e32 v3, v6, v8
	v_cndmask_b32_e64 v2, v2, v14, s[12:13]
	v_lshlrev_b32_e32 v2, 2, v2
	ds_bpermute_b32 v2, v2, v3
	s_waitcnt lgkmcnt(0)
	v_add_f32_e32 v2, v3, v2
	ds_bpermute_b32 v3, v15, v2
	s_waitcnt lgkmcnt(0)
	v_add_f32_e32 v2, v2, v3
	s_and_saveexec_b64 s[12:13], vcc
	s_cbranch_execz .LBB320_90
; %bb.89:
	ds_write_b32 v5, v2 offset:248
.LBB320_90:
	s_or_b64 exec, exec, s[12:13]
	s_waitcnt lgkmcnt(0)
	s_barrier
	s_and_saveexec_b64 s[12:13], s[0:1]
	s_cbranch_execz .LBB320_92
; %bb.91:
	ds_read_b32 v2, v7 offset:248
.LBB320_92:
	s_or_b64 exec, exec, s[12:13]
	s_waitcnt lgkmcnt(0)
	ds_bpermute_b32 v3, v15, v2
	s_waitcnt lgkmcnt(0)
	v_add_f32_e32 v2, v2, v3
	ds_bpermute_b32 v5, v16, v2
	s_and_saveexec_b64 s[0:1], s[8:9]
	s_cbranch_execz .LBB320_105
; %bb.93:
	s_waitcnt lgkmcnt(0)
	v_add_f32_e32 v2, 0x358637bd, v5
	v_div_scale_f32 v3, s[8:9], v2, v2, 1.0
	v_rcp_f32_e32 v6, v3
	v_div_scale_f32 v7, vcc, 1.0, v2, 1.0
	s_movk_i32 s8, 0x7f
	v_fma_f32 v8, -v3, v6, 1.0
	v_fmac_f32_e32 v6, v8, v6
	v_mul_f32_e32 v8, v7, v6
	v_fma_f32 v14, -v3, v8, v7
	v_fmac_f32_e32 v8, v14, v6
	v_fma_f32 v3, -v3, v8, v7
	v_div_fmas_f32 v3, v3, v6, v8
	v_div_fixup_f32 v2, v3, v2, 1.0
	v_xad_u32 v3, v0, -1, s46
	v_subrev_u32_e32 v6, s52, v3
	v_cmp_lt_u32_e32 vcc, s8, v6
	s_mov_b64 s[12:13], -1
	v_mov_b32_e32 v3, v0
	s_and_saveexec_b64 s[8:9], vcc
	s_cbranch_execz .LBB320_102
; %bb.94:
	v_lshrrev_b32_e32 v6, 7, v6
	v_add_u32_e32 v8, -1, v6
	v_lshrrev_b32_e32 v7, 1, v8
	v_mov_b32_e32 v3, v2
	v_add_u32_e32 v7, 1, v7
	v_cmp_lt_u32_e32 vcc, 13, v8
	v_mov_b32_e32 v15, 0
	s_and_saveexec_b64 s[12:13], vcc
	s_cbranch_execz .LBB320_98
; %bb.95:
	v_mov_b32_e32 v14, 0x100
	v_and_b32_e32 v8, -8, v7
	v_lshl_add_u32 v14, v0, 2, v14
	s_mov_b32 s22, 0
	s_mov_b64 s[16:17], 0
.LBB320_96:                             ; =>This Inner Loop Header: Depth=1
	ds_read2st64_b32 v[16:17], v14 offset1:2
	ds_read2st64_b32 v[18:19], v14 offset0:4 offset1:6
	ds_read2st64_b32 v[20:21], v14 offset0:8 offset1:10
	ds_read2st64_b32 v[22:23], v14 offset0:12 offset1:14
	v_add_u32_e32 v8, -8, v8
	s_waitcnt lgkmcnt(3)
	v_pk_mul_f32 v[16:17], v[2:3], v[16:17]
	s_waitcnt lgkmcnt(2)
	v_pk_mul_f32 v[18:19], v[2:3], v[18:19]
	ds_write2st64_b32 v14, v16, v17 offset1:2
	ds_write2st64_b32 v14, v18, v19 offset0:4 offset1:6
	ds_read2st64_b32 v[18:19], v14 offset0:16 offset1:18
	s_waitcnt lgkmcnt(4)
	v_pk_mul_f32 v[16:17], v[2:3], v[20:21]
	ds_write2st64_b32 v14, v16, v17 offset0:8 offset1:10
	s_waitcnt lgkmcnt(4)
	v_pk_mul_f32 v[16:17], v[2:3], v[22:23]
	ds_write2st64_b32 v14, v16, v17 offset0:12 offset1:14
	ds_read2st64_b32 v[16:17], v14 offset0:20 offset1:22
	s_waitcnt lgkmcnt(3)
	v_pk_mul_f32 v[18:19], v[2:3], v[18:19]
	ds_read2st64_b32 v[20:21], v14 offset0:24 offset1:26
	ds_write2st64_b32 v14, v18, v19 offset0:16 offset1:18
	ds_read2st64_b32 v[18:19], v14 offset0:28 offset1:30
	s_waitcnt lgkmcnt(3)
	v_pk_mul_f32 v[16:17], v[2:3], v[16:17]
	ds_write2st64_b32 v14, v16, v17 offset0:20 offset1:22
	s_waitcnt lgkmcnt(3)
	v_pk_mul_f32 v[16:17], v[2:3], v[20:21]
	ds_write2st64_b32 v14, v16, v17 offset0:24 offset1:26
	s_waitcnt lgkmcnt(2)
	v_pk_mul_f32 v[16:17], v[2:3], v[18:19]
	s_add_i32 s22, s22, 16
	v_cmp_eq_u32_e32 vcc, 0, v8
	ds_write2st64_b32 v14, v16, v17 offset0:28 offset1:30
	v_add_u32_e32 v14, 0x2000, v14
	s_or_b64 s[16:17], vcc, s[16:17]
	v_mov_b32_e32 v15, s22
	s_andn2_b64 exec, exec, s[16:17]
	s_cbranch_execnz .LBB320_96
; %bb.97:
	s_or_b64 exec, exec, s[16:17]
.LBB320_98:
	s_or_b64 exec, exec, s[12:13]
	v_and_b32_e32 v7, 7, v7
	v_cmp_ne_u32_e32 vcc, 0, v7
	s_and_saveexec_b64 s[12:13], vcc
	s_cbranch_execz .LBB320_101
; %bb.99:
	v_lshlrev_b32_e32 v8, 9, v15
	v_lshlrev_b32_e32 v14, 2, v0
	s_movk_i32 s16, 0x100
	v_add3_u32 v8, v8, v14, s16
	s_mov_b64 s[16:17], 0
.LBB320_100:                            ; =>This Inner Loop Header: Depth=1
	ds_read2st64_b32 v[14:15], v8 offset1:2
	v_add_u32_e32 v7, -1, v7
	v_cmp_eq_u32_e32 vcc, 0, v7
	s_or_b64 s[16:17], vcc, s[16:17]
	s_waitcnt lgkmcnt(0)
	v_pk_mul_f32 v[14:15], v[2:3], v[14:15]
	ds_write2st64_b32 v8, v14, v15 offset1:2
	v_add_u32_e32 v8, 0x400, v8
	s_andn2_b64 exec, exec, s[16:17]
	s_cbranch_execnz .LBB320_100
.LBB320_101:
	s_or_b64 exec, exec, s[12:13]
	v_add_u32_e32 v6, 1, v6
	v_and_b32_e32 v7, 0x3fffffe, v6
	v_cmp_ne_u32_e32 vcc, v6, v7
	v_lshl_add_u32 v3, v7, 7, v0
	s_orn2_b64 s[12:13], vcc, exec
.LBB320_102:
	s_or_b64 exec, exec, s[8:9]
	s_and_b64 exec, exec, s[12:13]
	s_cbranch_execz .LBB320_105
; %bb.103:
	v_mov_b32_e32 v6, 0x100
	v_lshl_add_u32 v6, v3, 2, v6
	s_mov_b64 s[8:9], 0
.LBB320_104:                            ; =>This Inner Loop Header: Depth=1
	ds_read_b32 v7, v6
	v_add_u32_e32 v3, 0x80, v3
	v_cmp_le_i32_e32 vcc, s45, v3
	s_or_b64 s[8:9], vcc, s[8:9]
	s_waitcnt lgkmcnt(0)
	v_mul_f32_e32 v7, v2, v7
	ds_write_b32 v6, v7
	v_add_u32_e32 v6, 0x200, v6
	s_andn2_b64 exec, exec, s[8:9]
	s_cbranch_execnz .LBB320_104
.LBB320_105:
	s_or_b64 exec, exec, s[0:1]
	s_mul_i32 s0, s15, s36
	v_cmp_eq_u32_e32 vcc, 0, v0
	s_mul_i32 s8, s0, s5
	s_waitcnt lgkmcnt(0)
	s_barrier
	s_and_saveexec_b64 s[0:1], vcc
	s_cbranch_execz .LBB320_107
; %bb.106:
	s_ashr_i32 s9, s8, 31
	s_lshl_b64 s[12:13], s[8:9], 2
	s_add_u32 s5, s30, s12
	s_mul_i32 s16, s15, s2
	s_addc_u32 s9, s31, s13
	s_ashr_i32 s17, s16, 31
	s_lshl_b64 s[16:17], s[16:17], 2
	s_add_u32 s2, s5, s16
	s_addc_u32 s9, s9, s17
	s_ashr_i32 s5, s4, 31
	s_lshl_b64 s[22:23], s[4:5], 2
	s_add_u32 s30, s2, s22
	s_addc_u32 s31, s9, s23
	s_add_u32 s2, s28, s12
	s_addc_u32 s5, s29, s13
	;; [unrolled: 2-line block ×3, first 2 shown]
	s_add_u32 s12, s2, s22
	v_mov_b32_e32 v2, 0
	s_addc_u32 s13, s5, s23
	global_store_dword v2, v4, s[30:31]
	global_store_dword v2, v5, s[12:13]
.LBB320_107:
	s_or_b64 exec, exec, s[0:1]
	v_mov_b32_e32 v15, 0
	v_mov_b32_e32 v14, v15
	s_and_saveexec_b64 s[12:13], s[6:7]
	s_cbranch_execz .LBB320_279
; %bb.108:
	s_sub_i32 s5, s20, s25
	s_ashr_i32 s0, s24, 31
	s_add_u32 s6, s42, s24
	s_addc_u32 s7, s43, s0
	s_abs_i32 s26, s26
	v_cvt_f32_u32_e32 v2, s26
	v_or_b32_e32 v3, 64, v11
	s_movk_i32 s0, 0x78
	v_cmp_gt_u32_e32 vcc, s0, v3
	v_rcp_iflag_f32_e32 v2, v2
	s_sub_i32 s0, 0, s26
	s_add_i32 s28, s3, -1
	v_lshlrev_b32_e32 v18, 3, v3
	v_mul_f32_e32 v2, 0x4f7ffffe, v2
	v_cvt_u32_f32_e32 v2, v2
	v_mov_b32_e32 v17, 0
	s_mov_b32 s9, s21
	v_lshlrev_b32_e32 v16, 3, v11
	v_mul_lo_u32 v3, s0, v2
	s_lshl_b64 s[0:1], s[40:41], 2
	v_mul_hi_u32 v3, v2, v3
	s_add_u32 s0, s38, s0
	v_add_u32_e32 v22, v2, v3
	s_addc_u32 s1, s39, s1
	v_mov_b32_e32 v2, 0x100
	v_mov_b32_e32 v19, v17
	v_lshl_add_u64 v[20:21], v[12:13], 2, s[0:1]
	v_lshl_add_u32 v13, v9, 5, v2
	s_mov_b64 s[16:17], 0
	s_mov_b32 s29, 0x7f800000
	s_movk_i32 s30, 0x7fff
	v_mov_b32_e32 v14, v17
	v_mov_b32_e32 v15, v17
	s_branch .LBB320_112
.LBB320_109:                            ;   in Loop: Header=BB320_112 Depth=1
	s_or_b64 exec, exec, s[2:3]
	v_and_b32_e32 v27, 0xffff0000, v5
	v_and_b32_e32 v26, 0xffff0000, v9
	;; [unrolled: 1-line block ×6, first 2 shown]
	v_pk_add_f32 v[4:5], v[4:5], v[8:9]
	v_and_b32_e32 v25, 0xffff0000, v24
	v_and_b32_e32 v24, 0xffff0000, v23
	v_mov_b32_e32 v6, v5
	v_pk_add_f32 v[4:5], v[4:5], v[6:7]
	v_pk_add_f32 v[6:7], v[26:27], v[24:25]
	s_nop 0
	v_pk_add_f32 v[4:5], v[4:5], v[6:7]
	v_mov_b32_e32 v6, v7
	v_pk_add_f32 v[4:5], v[4:5], v[6:7]
	s_nop 0
	v_mov_b32_e32 v3, v4
	v_pk_add_f32 v[14:15], v[14:15], v[2:3]
.LBB320_110:                            ;   in Loop: Header=BB320_112 Depth=1
	s_or_b64 exec, exec, s[22:23]
	v_mov_b32_e32 v14, v2
.LBB320_111:                            ;   in Loop: Header=BB320_112 Depth=1
	s_or_b64 exec, exec, s[20:21]
	v_add_u32_e32 v12, 2, v12
	v_cmp_le_i32_e64 s[0:1], s51, v12
	v_lshl_add_u64 v[20:21], v[20:21], 0, 8
	v_add_u32_e32 v1, 16, v1
	s_or_b64 s[16:17], s[0:1], s[16:17]
	v_add_u32_e32 v13, 64, v13
	s_andn2_b64 exec, exec, s[16:17]
	s_cbranch_execz .LBB320_278
.LBB320_112:                            ; =>This Inner Loop Header: Depth=1
	v_sub_u32_e32 v3, 0, v1
	v_max_i32_e32 v3, v1, v3
	v_mul_hi_u32 v4, v3, s50
	v_mul_lo_u32 v5, v4, s37
	v_sub_u32_e32 v3, v3, v5
	v_add_u32_e32 v5, 1, v4
	v_cmp_le_u32_e64 s[0:1], s37, v3
	v_ashrrev_i32_e32 v2, 31, v1
	v_xor_b32_e32 v2, s27, v2
	v_cndmask_b32_e64 v4, v4, v5, s[0:1]
	v_subrev_u32_e32 v5, s37, v3
	v_cndmask_b32_e64 v3, v3, v5, s[0:1]
	v_add_u32_e32 v5, 1, v4
	v_cmp_le_u32_e64 s[0:1], s37, v3
	s_nop 1
	v_cndmask_b32_e64 v3, v4, v5, s[0:1]
	v_xor_b32_e32 v3, v3, v2
	v_sub_u32_e32 v2, v3, v2
	v_add_u32_e32 v3, s44, v2
	v_sub_u32_e32 v5, 0, v3
	v_ashrrev_i32_e32 v4, 31, v3
	v_max_i32_e32 v3, v3, v5
	v_mul_hi_u32 v5, v3, v22
	v_mul_lo_u32 v5, v5, s26
	v_sub_u32_e32 v3, v3, v5
	v_subrev_u32_e32 v5, s26, v3
	v_cmp_le_u32_e64 s[0:1], s26, v3
	v_cmp_lt_i32_e64 s[2:3], s5, v2
	s_nop 0
	v_cndmask_b32_e64 v3, v3, v5, s[0:1]
	v_subrev_u32_e32 v5, s26, v3
	v_cmp_le_u32_e64 s[0:1], s26, v3
	s_nop 1
	v_cndmask_b32_e64 v3, v3, v5, s[0:1]
	v_xor_b32_e32 v3, v3, v4
	v_sub_u32_e32 v3, v3, v4
	v_cmp_eq_u32_e64 s[0:1], 0, v3
	s_or_b64 s[0:1], s[0:1], s[2:3]
	s_and_saveexec_b64 s[20:21], s[0:1]
	s_cbranch_execz .LBB320_111
; %bb.113:                              ;   in Loop: Header=BB320_112 Depth=1
	global_load_dword v31, v[20:21], off
	ds_read2_b64 v[6:9], v13 offset1:1
	ds_read2_b64 v[2:5], v13 offset0:2 offset1:3
                                        ; implicit-def: $vgpr30
	s_waitcnt lgkmcnt(1)
	v_and_b32_e32 v23, 0x7f800000, v6
	v_cmp_ne_u32_e64 s[0:1], s29, v23
	s_and_saveexec_b64 s[2:3], s[0:1]
	s_xor_b64 s[0:1], exec, s[2:3]
; %bb.114:                              ;   in Loop: Header=BB320_112 Depth=1
	v_bfe_u32 v23, v6, 16, 1
	v_add3_u32 v30, v6, v23, s30
; %bb.115:                              ;   in Loop: Header=BB320_112 Depth=1
	s_andn2_saveexec_b64 s[2:3], s[0:1]
; %bb.116:                              ;   in Loop: Header=BB320_112 Depth=1
	v_or_b32_e32 v23, 0x10000, v6
	v_cmp_eq_u32_sdwa s[0:1], v6, v17 src0_sel:WORD_0 src1_sel:DWORD
	s_nop 1
	v_cndmask_b32_e64 v30, v23, v6, s[0:1]
; %bb.117:                              ;   in Loop: Header=BB320_112 Depth=1
	s_or_b64 exec, exec, s[2:3]
	v_and_b32_e32 v6, 0x7f800000, v7
	v_cmp_ne_u32_e64 s[0:1], s29, v6
                                        ; implicit-def: $vgpr29
	s_and_saveexec_b64 s[2:3], s[0:1]
	s_xor_b64 s[0:1], exec, s[2:3]
; %bb.118:                              ;   in Loop: Header=BB320_112 Depth=1
	v_bfe_u32 v6, v7, 16, 1
	v_add3_u32 v29, v7, v6, s30
; %bb.119:                              ;   in Loop: Header=BB320_112 Depth=1
	s_andn2_saveexec_b64 s[2:3], s[0:1]
; %bb.120:                              ;   in Loop: Header=BB320_112 Depth=1
	v_or_b32_e32 v6, 0x10000, v7
	v_cmp_eq_u32_sdwa s[0:1], v7, v17 src0_sel:WORD_0 src1_sel:DWORD
	s_nop 1
	v_cndmask_b32_e64 v29, v6, v7, s[0:1]
; %bb.121:                              ;   in Loop: Header=BB320_112 Depth=1
	s_or_b64 exec, exec, s[2:3]
	v_and_b32_e32 v6, 0x7f800000, v8
	v_cmp_ne_u32_e64 s[0:1], s29, v6
                                        ; implicit-def: $vgpr28
	s_and_saveexec_b64 s[2:3], s[0:1]
	s_xor_b64 s[0:1], exec, s[2:3]
; %bb.122:                              ;   in Loop: Header=BB320_112 Depth=1
	v_bfe_u32 v6, v8, 16, 1
	v_add3_u32 v28, v8, v6, s30
; %bb.123:                              ;   in Loop: Header=BB320_112 Depth=1
	s_andn2_saveexec_b64 s[2:3], s[0:1]
; %bb.124:                              ;   in Loop: Header=BB320_112 Depth=1
	v_or_b32_e32 v6, 0x10000, v8
	v_cmp_eq_u32_sdwa s[0:1], v8, v17 src0_sel:WORD_0 src1_sel:DWORD
	s_nop 1
	v_cndmask_b32_e64 v28, v6, v8, s[0:1]
; %bb.125:                              ;   in Loop: Header=BB320_112 Depth=1
	s_or_b64 exec, exec, s[2:3]
	v_and_b32_e32 v6, 0x7f800000, v9
	v_cmp_ne_u32_e64 s[0:1], s29, v6
                                        ; implicit-def: $vgpr27
	s_and_saveexec_b64 s[2:3], s[0:1]
	s_xor_b64 s[0:1], exec, s[2:3]
; %bb.126:                              ;   in Loop: Header=BB320_112 Depth=1
	v_bfe_u32 v6, v9, 16, 1
	v_add3_u32 v27, v9, v6, s30
                                        ; implicit-def: $vgpr6_vgpr7_vgpr8_vgpr9
; %bb.127:                              ;   in Loop: Header=BB320_112 Depth=1
	s_andn2_saveexec_b64 s[2:3], s[0:1]
; %bb.128:                              ;   in Loop: Header=BB320_112 Depth=1
	v_or_b32_e32 v6, 0x10000, v9
	v_cmp_eq_u32_sdwa s[0:1], v9, v17 src0_sel:WORD_0 src1_sel:DWORD
	s_nop 1
	v_cndmask_b32_e64 v27, v6, v9, s[0:1]
; %bb.129:                              ;   in Loop: Header=BB320_112 Depth=1
	s_or_b64 exec, exec, s[2:3]
	s_waitcnt lgkmcnt(0)
	v_and_b32_e32 v6, 0x7f800000, v2
	v_cmp_ne_u32_e64 s[0:1], s29, v6
                                        ; implicit-def: $vgpr23
	s_and_saveexec_b64 s[2:3], s[0:1]
	s_xor_b64 s[0:1], exec, s[2:3]
; %bb.130:                              ;   in Loop: Header=BB320_112 Depth=1
	v_bfe_u32 v6, v2, 16, 1
	v_add3_u32 v23, v2, v6, s30
; %bb.131:                              ;   in Loop: Header=BB320_112 Depth=1
	s_andn2_saveexec_b64 s[2:3], s[0:1]
; %bb.132:                              ;   in Loop: Header=BB320_112 Depth=1
	v_or_b32_e32 v6, 0x10000, v2
	v_cmp_eq_u32_sdwa s[0:1], v2, v17 src0_sel:WORD_0 src1_sel:DWORD
	s_nop 1
	v_cndmask_b32_e64 v23, v6, v2, s[0:1]
; %bb.133:                              ;   in Loop: Header=BB320_112 Depth=1
	s_or_b64 exec, exec, s[2:3]
	v_and_b32_e32 v2, 0x7f800000, v3
	v_cmp_ne_u32_e64 s[0:1], s29, v2
                                        ; implicit-def: $vgpr24
	s_and_saveexec_b64 s[2:3], s[0:1]
	s_xor_b64 s[0:1], exec, s[2:3]
; %bb.134:                              ;   in Loop: Header=BB320_112 Depth=1
	v_bfe_u32 v2, v3, 16, 1
	v_add3_u32 v24, v3, v2, s30
; %bb.135:                              ;   in Loop: Header=BB320_112 Depth=1
	s_andn2_saveexec_b64 s[2:3], s[0:1]
; %bb.136:                              ;   in Loop: Header=BB320_112 Depth=1
	v_or_b32_e32 v2, 0x10000, v3
	v_cmp_eq_u32_sdwa s[0:1], v3, v17 src0_sel:WORD_0 src1_sel:DWORD
	s_nop 1
	v_cndmask_b32_e64 v24, v2, v3, s[0:1]
; %bb.137:                              ;   in Loop: Header=BB320_112 Depth=1
	s_or_b64 exec, exec, s[2:3]
	v_and_b32_e32 v2, 0x7f800000, v4
	v_cmp_ne_u32_e64 s[0:1], s29, v2
                                        ; implicit-def: $vgpr25
	s_and_saveexec_b64 s[2:3], s[0:1]
	s_xor_b64 s[0:1], exec, s[2:3]
; %bb.138:                              ;   in Loop: Header=BB320_112 Depth=1
	v_bfe_u32 v2, v4, 16, 1
	v_add3_u32 v25, v4, v2, s30
; %bb.139:                              ;   in Loop: Header=BB320_112 Depth=1
	s_andn2_saveexec_b64 s[2:3], s[0:1]
; %bb.140:                              ;   in Loop: Header=BB320_112 Depth=1
	v_or_b32_e32 v2, 0x10000, v4
	v_cmp_eq_u32_sdwa s[0:1], v4, v17 src0_sel:WORD_0 src1_sel:DWORD
	s_nop 1
	v_cndmask_b32_e64 v25, v2, v4, s[0:1]
; %bb.141:                              ;   in Loop: Header=BB320_112 Depth=1
	s_or_b64 exec, exec, s[2:3]
	v_and_b32_e32 v2, 0x7f800000, v5
	v_cmp_ne_u32_e64 s[0:1], s29, v2
                                        ; implicit-def: $vgpr26
	s_and_saveexec_b64 s[2:3], s[0:1]
	s_xor_b64 s[0:1], exec, s[2:3]
; %bb.142:                              ;   in Loop: Header=BB320_112 Depth=1
	v_bfe_u32 v2, v5, 16, 1
	v_add3_u32 v26, v5, v2, s30
                                        ; implicit-def: $vgpr2_vgpr3_vgpr4_vgpr5
; %bb.143:                              ;   in Loop: Header=BB320_112 Depth=1
	s_andn2_saveexec_b64 s[2:3], s[0:1]
; %bb.144:                              ;   in Loop: Header=BB320_112 Depth=1
	v_or_b32_e32 v2, 0x10000, v5
	v_cmp_eq_u32_sdwa s[0:1], v5, v17 src0_sel:WORD_0 src1_sel:DWORD
	s_nop 1
	v_cndmask_b32_e64 v26, v2, v5, s[0:1]
; %bb.145:                              ;   in Loop: Header=BB320_112 Depth=1
	s_or_b64 exec, exec, s[2:3]
	v_mov_b64_e32 v[2:3], s[6:7]
	s_waitcnt vmcnt(0)
	v_mad_i64_i32 v[4:5], s[0:1], v31, s9, v[2:3]
	v_lshl_add_u64 v[2:3], v[4:5], 0, v[16:17]
	global_load_dwordx2 v[2:3], v[2:3], off
	s_load_dword s31, s[18:19], 0x0
	s_waitcnt vmcnt(0)
	v_and_b32_e32 v6, 0xff, v2
	v_cvt_f32_fp8_sdwa v6, v6 src0_sel:BYTE_0
	s_waitcnt lgkmcnt(0)
	v_mul_f32_e32 v7, s31, v6
	v_and_b32_e32 v6, 0x7f800000, v7
	v_cmp_ne_u32_e64 s[0:1], s29, v6
                                        ; implicit-def: $vgpr6
	s_and_saveexec_b64 s[2:3], s[0:1]
	s_xor_b64 s[0:1], exec, s[2:3]
; %bb.146:                              ;   in Loop: Header=BB320_112 Depth=1
	v_bfe_u32 v6, v7, 16, 1
	v_add3_u32 v6, v7, v6, s30
                                        ; implicit-def: $vgpr7
; %bb.147:                              ;   in Loop: Header=BB320_112 Depth=1
	s_andn2_saveexec_b64 s[2:3], s[0:1]
; %bb.148:                              ;   in Loop: Header=BB320_112 Depth=1
	v_or_b32_e32 v6, 0x10000, v7
	v_cmp_eq_u32_sdwa s[0:1], v7, v17 src0_sel:WORD_0 src1_sel:DWORD
	s_nop 1
	v_cndmask_b32_e64 v6, v6, v7, s[0:1]
; %bb.149:                              ;   in Loop: Header=BB320_112 Depth=1
	s_or_b64 exec, exec, s[2:3]
	v_bfe_u32 v7, v2, 8, 8
	v_cvt_f32_fp8_sdwa v7, v7 src0_sel:BYTE_0
	s_nop 0
	v_mul_f32_e32 v8, s31, v7
	v_and_b32_e32 v7, 0x7f800000, v8
	v_cmp_ne_u32_e64 s[0:1], s29, v7
                                        ; implicit-def: $vgpr7
	s_and_saveexec_b64 s[2:3], s[0:1]
	s_xor_b64 s[0:1], exec, s[2:3]
; %bb.150:                              ;   in Loop: Header=BB320_112 Depth=1
	v_bfe_u32 v7, v8, 16, 1
	v_add3_u32 v7, v8, v7, s30
                                        ; implicit-def: $vgpr8
; %bb.151:                              ;   in Loop: Header=BB320_112 Depth=1
	s_andn2_saveexec_b64 s[2:3], s[0:1]
; %bb.152:                              ;   in Loop: Header=BB320_112 Depth=1
	v_or_b32_e32 v7, 0x10000, v8
	v_cmp_eq_u32_sdwa s[0:1], v8, v17 src0_sel:WORD_0 src1_sel:DWORD
	s_nop 1
	v_cndmask_b32_e64 v7, v7, v8, s[0:1]
; %bb.153:                              ;   in Loop: Header=BB320_112 Depth=1
	s_or_b64 exec, exec, s[2:3]
	v_bfe_u32 v8, v2, 16, 8
	v_cvt_f32_fp8_sdwa v8, v8 src0_sel:BYTE_0
	s_nop 0
	v_mul_f32_e32 v9, s31, v8
	v_and_b32_e32 v8, 0x7f800000, v9
	v_cmp_ne_u32_e64 s[0:1], s29, v8
                                        ; implicit-def: $vgpr8
	s_and_saveexec_b64 s[2:3], s[0:1]
	s_xor_b64 s[0:1], exec, s[2:3]
; %bb.154:                              ;   in Loop: Header=BB320_112 Depth=1
	v_bfe_u32 v8, v9, 16, 1
	v_add3_u32 v8, v9, v8, s30
                                        ; implicit-def: $vgpr9
; %bb.155:                              ;   in Loop: Header=BB320_112 Depth=1
	s_andn2_saveexec_b64 s[2:3], s[0:1]
; %bb.156:                              ;   in Loop: Header=BB320_112 Depth=1
	v_or_b32_e32 v8, 0x10000, v9
	v_cmp_eq_u32_sdwa s[0:1], v9, v17 src0_sel:WORD_0 src1_sel:DWORD
	s_nop 1
	v_cndmask_b32_e64 v8, v8, v9, s[0:1]
; %bb.157:                              ;   in Loop: Header=BB320_112 Depth=1
	s_or_b64 exec, exec, s[2:3]
	v_lshrrev_b32_e32 v2, 24, v2
	v_cvt_f32_fp8_sdwa v2, v2 src0_sel:BYTE_0
	s_nop 0
	v_mul_f32_e32 v9, s31, v2
	v_and_b32_e32 v2, 0x7f800000, v9
	v_cmp_ne_u32_e64 s[0:1], s29, v2
                                        ; implicit-def: $vgpr2
	s_and_saveexec_b64 s[2:3], s[0:1]
	s_xor_b64 s[0:1], exec, s[2:3]
; %bb.158:                              ;   in Loop: Header=BB320_112 Depth=1
	v_bfe_u32 v2, v9, 16, 1
	v_add3_u32 v2, v9, v2, s30
                                        ; implicit-def: $vgpr9
; %bb.159:                              ;   in Loop: Header=BB320_112 Depth=1
	s_andn2_saveexec_b64 s[2:3], s[0:1]
; %bb.160:                              ;   in Loop: Header=BB320_112 Depth=1
	v_or_b32_e32 v2, 0x10000, v9
	v_cmp_eq_u32_sdwa s[0:1], v9, v17 src0_sel:WORD_0 src1_sel:DWORD
	s_nop 1
	v_cndmask_b32_e64 v2, v2, v9, s[0:1]
; %bb.161:                              ;   in Loop: Header=BB320_112 Depth=1
	s_or_b64 exec, exec, s[2:3]
	v_and_b32_e32 v9, 0xff, v3
	v_cvt_f32_fp8_sdwa v9, v9 src0_sel:BYTE_0
	s_nop 0
	v_mul_f32_e32 v31, s31, v9
	v_and_b32_e32 v9, 0x7f800000, v31
	v_cmp_ne_u32_e64 s[0:1], s29, v9
                                        ; implicit-def: $vgpr9
	s_and_saveexec_b64 s[2:3], s[0:1]
	s_xor_b64 s[0:1], exec, s[2:3]
; %bb.162:                              ;   in Loop: Header=BB320_112 Depth=1
	v_bfe_u32 v9, v31, 16, 1
	v_add3_u32 v9, v31, v9, s30
                                        ; implicit-def: $vgpr31
; %bb.163:                              ;   in Loop: Header=BB320_112 Depth=1
	s_andn2_saveexec_b64 s[2:3], s[0:1]
; %bb.164:                              ;   in Loop: Header=BB320_112 Depth=1
	v_or_b32_e32 v9, 0x10000, v31
	v_cmp_eq_u32_sdwa s[0:1], v31, v17 src0_sel:WORD_0 src1_sel:DWORD
	s_nop 1
	v_cndmask_b32_e64 v9, v9, v31, s[0:1]
; %bb.165:                              ;   in Loop: Header=BB320_112 Depth=1
	s_or_b64 exec, exec, s[2:3]
	v_bfe_u32 v31, v3, 8, 8
	v_cvt_f32_fp8_sdwa v31, v31 src0_sel:BYTE_0
	s_nop 0
	v_mul_f32_e32 v32, s31, v31
	v_and_b32_e32 v31, 0x7f800000, v32
	v_cmp_ne_u32_e64 s[0:1], s29, v31
                                        ; implicit-def: $vgpr31
	s_and_saveexec_b64 s[2:3], s[0:1]
	s_xor_b64 s[0:1], exec, s[2:3]
; %bb.166:                              ;   in Loop: Header=BB320_112 Depth=1
	v_bfe_u32 v31, v32, 16, 1
	v_add3_u32 v31, v32, v31, s30
                                        ; implicit-def: $vgpr32
; %bb.167:                              ;   in Loop: Header=BB320_112 Depth=1
	s_andn2_saveexec_b64 s[2:3], s[0:1]
; %bb.168:                              ;   in Loop: Header=BB320_112 Depth=1
	v_or_b32_e32 v31, 0x10000, v32
	v_cmp_eq_u32_sdwa s[0:1], v32, v17 src0_sel:WORD_0 src1_sel:DWORD
	s_nop 1
	v_cndmask_b32_e64 v31, v31, v32, s[0:1]
; %bb.169:                              ;   in Loop: Header=BB320_112 Depth=1
	s_or_b64 exec, exec, s[2:3]
	v_bfe_u32 v32, v3, 16, 8
	v_cvt_f32_fp8_sdwa v32, v32 src0_sel:BYTE_0
                                        ; implicit-def: $vgpr35
	s_nop 0
	v_mul_f32_e32 v32, s31, v32
	v_and_b32_e32 v33, 0x7f800000, v32
	v_cmp_ne_u32_e64 s[0:1], s29, v33
	s_and_saveexec_b64 s[2:3], s[0:1]
	s_xor_b64 s[0:1], exec, s[2:3]
; %bb.170:                              ;   in Loop: Header=BB320_112 Depth=1
	v_bfe_u32 v33, v32, 16, 1
	v_add3_u32 v35, v32, v33, s30
                                        ; implicit-def: $vgpr32
; %bb.171:                              ;   in Loop: Header=BB320_112 Depth=1
	s_andn2_saveexec_b64 s[2:3], s[0:1]
; %bb.172:                              ;   in Loop: Header=BB320_112 Depth=1
	v_or_b32_e32 v33, 0x10000, v32
	v_cmp_eq_u32_sdwa s[0:1], v32, v17 src0_sel:WORD_0 src1_sel:DWORD
	s_nop 1
	v_cndmask_b32_e64 v35, v33, v32, s[0:1]
; %bb.173:                              ;   in Loop: Header=BB320_112 Depth=1
	s_or_b64 exec, exec, s[2:3]
	v_lshrrev_b32_e32 v3, 24, v3
	v_cvt_f32_fp8_sdwa v3, v3 src0_sel:BYTE_0
                                        ; implicit-def: $vgpr36
	s_nop 0
	v_mul_f32_e32 v3, s31, v3
	v_and_b32_e32 v32, 0x7f800000, v3
	v_cmp_ne_u32_e64 s[0:1], s29, v32
	s_and_saveexec_b64 s[2:3], s[0:1]
	s_xor_b64 s[0:1], exec, s[2:3]
; %bb.174:                              ;   in Loop: Header=BB320_112 Depth=1
	v_bfe_u32 v32, v3, 16, 1
	v_add3_u32 v36, v3, v32, s30
                                        ; implicit-def: $vgpr3
; %bb.175:                              ;   in Loop: Header=BB320_112 Depth=1
	s_andn2_saveexec_b64 s[2:3], s[0:1]
; %bb.176:                              ;   in Loop: Header=BB320_112 Depth=1
	v_or_b32_e32 v32, 0x10000, v3
	v_cmp_eq_u32_sdwa s[0:1], v3, v17 src0_sel:WORD_0 src1_sel:DWORD
	s_nop 1
	v_cndmask_b32_e64 v36, v32, v3, s[0:1]
; %bb.177:                              ;   in Loop: Header=BB320_112 Depth=1
	s_or_b64 exec, exec, s[2:3]
	v_cmp_eq_u32_e64 s[2:3], s28, v12
	v_lshrrev_b32_e32 v32, 16, v31
	v_lshrrev_b32_e32 v33, 16, v9
	;; [unrolled: 1-line block ×8, first 2 shown]
	s_and_saveexec_b64 s[22:23], s[2:3]
	s_cbranch_execz .LBB320_179
; %bb.178:                              ;   in Loop: Header=BB320_112 Depth=1
	v_cmp_gt_i32_e64 s[0:1], s33, v1
	v_add_u32_e32 v6, 1, v1
	s_nop 0
	v_cndmask_b32_e64 v3, 0, v3, s[0:1]
	v_cmp_gt_i32_e64 s[0:1], s33, v6
	v_add_u32_e32 v6, 2, v1
	s_nop 0
	v_cndmask_b32_e64 v8, 0, v8, s[0:1]
	;; [unrolled: 4-line block ×7, first 2 shown]
	v_cmp_gt_i32_e64 s[0:1], s33, v6
	s_nop 1
	v_cndmask_b32_e64 v2, 0, v2, s[0:1]
.LBB320_179:                            ;   in Loop: Header=BB320_112 Depth=1
	s_or_b64 exec, exec, s[22:23]
	v_and_b32_e32 v6, 0xffff0000, v30
	v_lshlrev_b32_e32 v3, 16, v3
	v_mul_f32_e32 v7, v6, v3
	v_and_b32_e32 v3, 0x7f800000, v7
	v_cmp_ne_u32_e64 s[0:1], s29, v3
                                        ; implicit-def: $vgpr3
	s_and_saveexec_b64 s[22:23], s[0:1]
	s_xor_b64 s[0:1], exec, s[22:23]
; %bb.180:                              ;   in Loop: Header=BB320_112 Depth=1
	v_bfe_u32 v3, v7, 16, 1
	v_add3_u32 v3, v7, v3, s30
                                        ; implicit-def: $vgpr7
; %bb.181:                              ;   in Loop: Header=BB320_112 Depth=1
	s_andn2_saveexec_b64 s[22:23], s[0:1]
; %bb.182:                              ;   in Loop: Header=BB320_112 Depth=1
	v_or_b32_e32 v3, 0x10000, v7
	v_cmp_eq_u32_sdwa s[0:1], v7, v17 src0_sel:WORD_0 src1_sel:DWORD
	s_nop 1
	v_cndmask_b32_e64 v3, v3, v7, s[0:1]
; %bb.183:                              ;   in Loop: Header=BB320_112 Depth=1
	s_or_b64 exec, exec, s[22:23]
	v_and_b32_e32 v7, 0xffff0000, v29
	v_lshlrev_b32_e32 v8, 16, v8
	v_mul_f32_e32 v8, v7, v8
	v_and_b32_e32 v29, 0x7f800000, v8
	v_cmp_ne_u32_e64 s[0:1], s29, v29
                                        ; implicit-def: $vgpr29
	s_and_saveexec_b64 s[22:23], s[0:1]
	s_xor_b64 s[0:1], exec, s[22:23]
; %bb.184:                              ;   in Loop: Header=BB320_112 Depth=1
	v_bfe_u32 v29, v8, 16, 1
	v_add3_u32 v29, v8, v29, s30
                                        ; implicit-def: $vgpr8
; %bb.185:                              ;   in Loop: Header=BB320_112 Depth=1
	s_andn2_saveexec_b64 s[22:23], s[0:1]
; %bb.186:                              ;   in Loop: Header=BB320_112 Depth=1
	v_or_b32_e32 v29, 0x10000, v8
	v_cmp_eq_u32_sdwa s[0:1], v8, v17 src0_sel:WORD_0 src1_sel:DWORD
	s_nop 1
	v_cndmask_b32_e64 v29, v29, v8, s[0:1]
; %bb.187:                              ;   in Loop: Header=BB320_112 Depth=1
	s_or_b64 exec, exec, s[22:23]
	v_and_b32_e32 v8, 0xffff0000, v28
	v_lshlrev_b32_e32 v9, 16, v9
	v_mul_f32_e32 v9, v8, v9
	v_and_b32_e32 v28, 0x7f800000, v9
	v_cmp_ne_u32_e64 s[0:1], s29, v28
                                        ; implicit-def: $vgpr28
	s_and_saveexec_b64 s[22:23], s[0:1]
	s_xor_b64 s[0:1], exec, s[22:23]
; %bb.188:                              ;   in Loop: Header=BB320_112 Depth=1
	v_bfe_u32 v28, v9, 16, 1
	v_add3_u32 v28, v9, v28, s30
                                        ; implicit-def: $vgpr9
; %bb.189:                              ;   in Loop: Header=BB320_112 Depth=1
	s_andn2_saveexec_b64 s[22:23], s[0:1]
; %bb.190:                              ;   in Loop: Header=BB320_112 Depth=1
	v_or_b32_e32 v28, 0x10000, v9
	v_cmp_eq_u32_sdwa s[0:1], v9, v17 src0_sel:WORD_0 src1_sel:DWORD
	s_nop 1
	v_cndmask_b32_e64 v28, v28, v9, s[0:1]
; %bb.191:                              ;   in Loop: Header=BB320_112 Depth=1
	s_or_b64 exec, exec, s[22:23]
	v_and_b32_e32 v9, 0xffff0000, v27
	v_lshlrev_b32_e32 v27, 16, v34
	v_mul_f32_e32 v30, v9, v27
	v_and_b32_e32 v27, 0x7f800000, v30
	v_cmp_ne_u32_e64 s[0:1], s29, v27
                                        ; implicit-def: $vgpr27
	s_and_saveexec_b64 s[22:23], s[0:1]
	s_xor_b64 s[0:1], exec, s[22:23]
; %bb.192:                              ;   in Loop: Header=BB320_112 Depth=1
	v_bfe_u32 v27, v30, 16, 1
	v_add3_u32 v27, v30, v27, s30
                                        ; implicit-def: $vgpr30
; %bb.193:                              ;   in Loop: Header=BB320_112 Depth=1
	s_andn2_saveexec_b64 s[22:23], s[0:1]
; %bb.194:                              ;   in Loop: Header=BB320_112 Depth=1
	v_or_b32_e32 v27, 0x10000, v30
	v_cmp_eq_u32_sdwa s[0:1], v30, v17 src0_sel:WORD_0 src1_sel:DWORD
	s_nop 1
	v_cndmask_b32_e64 v27, v27, v30, s[0:1]
; %bb.195:                              ;   in Loop: Header=BB320_112 Depth=1
	s_or_b64 exec, exec, s[22:23]
	v_and_b32_e32 v23, 0xffff0000, v23
	v_lshlrev_b32_e32 v30, 16, v33
	v_mul_f32_e32 v33, v23, v30
	v_and_b32_e32 v30, 0x7f800000, v33
	v_cmp_ne_u32_e64 s[0:1], s29, v30
                                        ; implicit-def: $vgpr30
	s_and_saveexec_b64 s[22:23], s[0:1]
	s_xor_b64 s[0:1], exec, s[22:23]
; %bb.196:                              ;   in Loop: Header=BB320_112 Depth=1
	v_bfe_u32 v30, v33, 16, 1
	v_add3_u32 v30, v33, v30, s30
                                        ; implicit-def: $vgpr33
; %bb.197:                              ;   in Loop: Header=BB320_112 Depth=1
	s_andn2_saveexec_b64 s[22:23], s[0:1]
; %bb.198:                              ;   in Loop: Header=BB320_112 Depth=1
	v_or_b32_e32 v30, 0x10000, v33
	v_cmp_eq_u32_sdwa s[0:1], v33, v17 src0_sel:WORD_0 src1_sel:DWORD
	s_nop 1
	v_cndmask_b32_e64 v30, v30, v33, s[0:1]
; %bb.199:                              ;   in Loop: Header=BB320_112 Depth=1
	s_or_b64 exec, exec, s[22:23]
	v_and_b32_e32 v24, 0xffff0000, v24
	v_lshlrev_b32_e32 v32, 16, v32
	v_mul_f32_e32 v33, v24, v32
	v_and_b32_e32 v32, 0x7f800000, v33
	v_cmp_ne_u32_e64 s[0:1], s29, v32
                                        ; implicit-def: $vgpr32
	s_and_saveexec_b64 s[22:23], s[0:1]
	s_xor_b64 s[0:1], exec, s[22:23]
; %bb.200:                              ;   in Loop: Header=BB320_112 Depth=1
	v_bfe_u32 v32, v33, 16, 1
	v_add3_u32 v32, v33, v32, s30
                                        ; implicit-def: $vgpr33
; %bb.201:                              ;   in Loop: Header=BB320_112 Depth=1
	s_andn2_saveexec_b64 s[22:23], s[0:1]
; %bb.202:                              ;   in Loop: Header=BB320_112 Depth=1
	v_or_b32_e32 v32, 0x10000, v33
	v_cmp_eq_u32_sdwa s[0:1], v33, v17 src0_sel:WORD_0 src1_sel:DWORD
	s_nop 1
	v_cndmask_b32_e64 v32, v32, v33, s[0:1]
; %bb.203:                              ;   in Loop: Header=BB320_112 Depth=1
	s_or_b64 exec, exec, s[22:23]
	v_and_b32_e32 v25, 0xffff0000, v25
	v_lshlrev_b32_e32 v31, 16, v31
	v_mul_f32_e32 v33, v25, v31
	v_and_b32_e32 v31, 0x7f800000, v33
	v_cmp_ne_u32_e64 s[0:1], s29, v31
                                        ; implicit-def: $vgpr31
	s_and_saveexec_b64 s[22:23], s[0:1]
	s_xor_b64 s[0:1], exec, s[22:23]
; %bb.204:                              ;   in Loop: Header=BB320_112 Depth=1
	v_bfe_u32 v31, v33, 16, 1
	v_add3_u32 v31, v33, v31, s30
                                        ; implicit-def: $vgpr33
; %bb.205:                              ;   in Loop: Header=BB320_112 Depth=1
	s_andn2_saveexec_b64 s[22:23], s[0:1]
; %bb.206:                              ;   in Loop: Header=BB320_112 Depth=1
	v_or_b32_e32 v31, 0x10000, v33
	v_cmp_eq_u32_sdwa s[0:1], v33, v17 src0_sel:WORD_0 src1_sel:DWORD
	s_nop 1
	v_cndmask_b32_e64 v31, v31, v33, s[0:1]
; %bb.207:                              ;   in Loop: Header=BB320_112 Depth=1
	s_or_b64 exec, exec, s[22:23]
	v_and_b32_e32 v26, 0xffff0000, v26
	v_lshlrev_b32_e32 v2, 16, v2
	v_mul_f32_e32 v2, v26, v2
	v_and_b32_e32 v33, 0x7f800000, v2
	v_cmp_ne_u32_e64 s[0:1], s29, v33
                                        ; implicit-def: $vgpr33
	s_and_saveexec_b64 s[22:23], s[0:1]
	s_xor_b64 s[0:1], exec, s[22:23]
; %bb.208:                              ;   in Loop: Header=BB320_112 Depth=1
	v_bfe_u32 v33, v2, 16, 1
	v_add3_u32 v33, v2, v33, s30
                                        ; implicit-def: $vgpr2
; %bb.209:                              ;   in Loop: Header=BB320_112 Depth=1
	s_andn2_saveexec_b64 s[22:23], s[0:1]
; %bb.210:                              ;   in Loop: Header=BB320_112 Depth=1
	v_or_b32_e32 v33, 0x10000, v2
	v_cmp_eq_u32_sdwa s[0:1], v2, v17 src0_sel:WORD_0 src1_sel:DWORD
	s_nop 1
	v_cndmask_b32_e64 v33, v33, v2, s[0:1]
; %bb.211:                              ;   in Loop: Header=BB320_112 Depth=1
	s_or_b64 exec, exec, s[22:23]
	v_and_b32_e32 v35, 0xffff0000, v27
	v_and_b32_e32 v34, 0xffff0000, v29
	;; [unrolled: 1-line block ×4, first 2 shown]
	v_pk_add_f32 v[2:3], v[28:29], v[34:35]
	v_and_b32_e32 v33, 0xffff0000, v33
	v_and_b32_e32 v32, 0xffff0000, v32
	v_and_b32_e32 v31, 0xffff0000, v31
	v_and_b32_e32 v30, 0xffff0000, v30
	v_mov_b32_e32 v28, v3
	v_pk_add_f32 v[2:3], v[2:3], v[28:29]
	v_pk_add_f32 v[28:29], v[30:31], v[32:33]
	s_nop 0
	v_pk_add_f32 v[2:3], v[2:3], v[28:29]
	v_mov_b32_e32 v28, v29
	v_pk_add_f32 v[2:3], v[2:3], v[28:29]
	s_nop 0
	v_pk_add_f32 v[2:3], v[14:15], v[2:3]
	s_and_saveexec_b64 s[22:23], vcc
	s_cbranch_execz .LBB320_110
; %bb.212:                              ;   in Loop: Header=BB320_112 Depth=1
	v_lshl_add_u64 v[4:5], v[4:5], 0, v[18:19]
	global_load_dwordx2 v[4:5], v[4:5], off
	s_waitcnt vmcnt(0)
	v_and_b32_e32 v3, 0xff, v4
	v_cvt_f32_fp8_sdwa v3, v3 src0_sel:BYTE_0
	s_nop 0
	v_mul_f32_e32 v27, s31, v3
	v_and_b32_e32 v3, 0x7f800000, v27
	v_cmp_ne_u32_e64 s[0:1], s29, v3
                                        ; implicit-def: $vgpr3
	s_and_saveexec_b64 s[24:25], s[0:1]
	s_xor_b64 s[0:1], exec, s[24:25]
; %bb.213:                              ;   in Loop: Header=BB320_112 Depth=1
	v_bfe_u32 v3, v27, 16, 1
	v_add3_u32 v3, v27, v3, s30
                                        ; implicit-def: $vgpr27
; %bb.214:                              ;   in Loop: Header=BB320_112 Depth=1
	s_andn2_saveexec_b64 s[24:25], s[0:1]
; %bb.215:                              ;   in Loop: Header=BB320_112 Depth=1
	v_or_b32_e32 v3, 0x10000, v27
	v_cmp_eq_u32_sdwa s[0:1], v27, v17 src0_sel:WORD_0 src1_sel:DWORD
	s_nop 1
	v_cndmask_b32_e64 v3, v3, v27, s[0:1]
; %bb.216:                              ;   in Loop: Header=BB320_112 Depth=1
	s_or_b64 exec, exec, s[24:25]
	v_bfe_u32 v27, v4, 8, 8
	v_cvt_f32_fp8_sdwa v27, v27 src0_sel:BYTE_0
	s_nop 0
	v_mul_f32_e32 v28, s31, v27
	v_and_b32_e32 v27, 0x7f800000, v28
	v_cmp_ne_u32_e64 s[0:1], s29, v27
                                        ; implicit-def: $vgpr27
	s_and_saveexec_b64 s[24:25], s[0:1]
	s_xor_b64 s[0:1], exec, s[24:25]
; %bb.217:                              ;   in Loop: Header=BB320_112 Depth=1
	v_bfe_u32 v27, v28, 16, 1
	v_add3_u32 v27, v28, v27, s30
                                        ; implicit-def: $vgpr28
; %bb.218:                              ;   in Loop: Header=BB320_112 Depth=1
	s_andn2_saveexec_b64 s[24:25], s[0:1]
; %bb.219:                              ;   in Loop: Header=BB320_112 Depth=1
	v_or_b32_e32 v27, 0x10000, v28
	v_cmp_eq_u32_sdwa s[0:1], v28, v17 src0_sel:WORD_0 src1_sel:DWORD
	s_nop 1
	v_cndmask_b32_e64 v27, v27, v28, s[0:1]
; %bb.220:                              ;   in Loop: Header=BB320_112 Depth=1
	s_or_b64 exec, exec, s[24:25]
	v_bfe_u32 v28, v4, 16, 8
	v_cvt_f32_fp8_sdwa v28, v28 src0_sel:BYTE_0
	s_nop 0
	v_mul_f32_e32 v28, s31, v28
	v_and_b32_e32 v29, 0x7f800000, v28
	v_cmp_ne_u32_e64 s[0:1], s29, v29
                                        ; implicit-def: $vgpr29
	s_and_saveexec_b64 s[24:25], s[0:1]
	s_xor_b64 s[0:1], exec, s[24:25]
; %bb.221:                              ;   in Loop: Header=BB320_112 Depth=1
	v_bfe_u32 v29, v28, 16, 1
	v_add3_u32 v29, v28, v29, s30
                                        ; implicit-def: $vgpr28
; %bb.222:                              ;   in Loop: Header=BB320_112 Depth=1
	s_andn2_saveexec_b64 s[24:25], s[0:1]
; %bb.223:                              ;   in Loop: Header=BB320_112 Depth=1
	v_or_b32_e32 v29, 0x10000, v28
	v_cmp_eq_u32_sdwa s[0:1], v28, v17 src0_sel:WORD_0 src1_sel:DWORD
	s_nop 1
	v_cndmask_b32_e64 v29, v29, v28, s[0:1]
; %bb.224:                              ;   in Loop: Header=BB320_112 Depth=1
	s_or_b64 exec, exec, s[24:25]
	v_lshrrev_b32_e32 v4, 24, v4
	v_cvt_f32_fp8_sdwa v4, v4 src0_sel:BYTE_0
	s_nop 0
	v_mul_f32_e32 v28, s31, v4
	v_and_b32_e32 v4, 0x7f800000, v28
	v_cmp_ne_u32_e64 s[0:1], s29, v4
                                        ; implicit-def: $vgpr4
	s_and_saveexec_b64 s[24:25], s[0:1]
	s_xor_b64 s[0:1], exec, s[24:25]
; %bb.225:                              ;   in Loop: Header=BB320_112 Depth=1
	v_bfe_u32 v4, v28, 16, 1
	v_add3_u32 v4, v28, v4, s30
                                        ; implicit-def: $vgpr28
; %bb.226:                              ;   in Loop: Header=BB320_112 Depth=1
	s_andn2_saveexec_b64 s[24:25], s[0:1]
; %bb.227:                              ;   in Loop: Header=BB320_112 Depth=1
	v_or_b32_e32 v4, 0x10000, v28
	v_cmp_eq_u32_sdwa s[0:1], v28, v17 src0_sel:WORD_0 src1_sel:DWORD
	s_nop 1
	v_cndmask_b32_e64 v4, v4, v28, s[0:1]
; %bb.228:                              ;   in Loop: Header=BB320_112 Depth=1
	s_or_b64 exec, exec, s[24:25]
	v_and_b32_e32 v28, 0xff, v5
	v_cvt_f32_fp8_sdwa v28, v28 src0_sel:BYTE_0
	s_nop 0
	v_mul_f32_e32 v28, s31, v28
	v_and_b32_e32 v30, 0x7f800000, v28
	v_cmp_ne_u32_e64 s[0:1], s29, v30
                                        ; implicit-def: $vgpr30
	s_and_saveexec_b64 s[24:25], s[0:1]
	s_xor_b64 s[0:1], exec, s[24:25]
; %bb.229:                              ;   in Loop: Header=BB320_112 Depth=1
	v_bfe_u32 v30, v28, 16, 1
	v_add3_u32 v30, v28, v30, s30
                                        ; implicit-def: $vgpr28
; %bb.230:                              ;   in Loop: Header=BB320_112 Depth=1
	s_andn2_saveexec_b64 s[24:25], s[0:1]
; %bb.231:                              ;   in Loop: Header=BB320_112 Depth=1
	v_or_b32_e32 v30, 0x10000, v28
	v_cmp_eq_u32_sdwa s[0:1], v28, v17 src0_sel:WORD_0 src1_sel:DWORD
	s_nop 1
	v_cndmask_b32_e64 v30, v30, v28, s[0:1]
; %bb.232:                              ;   in Loop: Header=BB320_112 Depth=1
	s_or_b64 exec, exec, s[24:25]
	v_bfe_u32 v28, v5, 8, 8
	v_cvt_f32_fp8_sdwa v28, v28 src0_sel:BYTE_0
	s_nop 0
	v_mul_f32_e32 v31, s31, v28
	v_and_b32_e32 v28, 0x7f800000, v31
	v_cmp_ne_u32_e64 s[0:1], s29, v28
                                        ; implicit-def: $vgpr28
	s_and_saveexec_b64 s[24:25], s[0:1]
	s_xor_b64 s[0:1], exec, s[24:25]
; %bb.233:                              ;   in Loop: Header=BB320_112 Depth=1
	v_bfe_u32 v28, v31, 16, 1
	v_add3_u32 v28, v31, v28, s30
                                        ; implicit-def: $vgpr31
; %bb.234:                              ;   in Loop: Header=BB320_112 Depth=1
	s_andn2_saveexec_b64 s[24:25], s[0:1]
; %bb.235:                              ;   in Loop: Header=BB320_112 Depth=1
	v_or_b32_e32 v28, 0x10000, v31
	v_cmp_eq_u32_sdwa s[0:1], v31, v17 src0_sel:WORD_0 src1_sel:DWORD
	s_nop 1
	v_cndmask_b32_e64 v28, v28, v31, s[0:1]
; %bb.236:                              ;   in Loop: Header=BB320_112 Depth=1
	s_or_b64 exec, exec, s[24:25]
	v_bfe_u32 v31, v5, 16, 8
	v_cvt_f32_fp8_sdwa v31, v31 src0_sel:BYTE_0
	s_nop 0
	v_mul_f32_e32 v31, s31, v31
	v_and_b32_e32 v32, 0x7f800000, v31
	v_cmp_ne_u32_e64 s[0:1], s29, v32
                                        ; implicit-def: $vgpr32
	s_and_saveexec_b64 s[24:25], s[0:1]
	s_xor_b64 s[0:1], exec, s[24:25]
; %bb.237:                              ;   in Loop: Header=BB320_112 Depth=1
	v_bfe_u32 v32, v31, 16, 1
	v_add3_u32 v32, v31, v32, s30
                                        ; implicit-def: $vgpr31
; %bb.238:                              ;   in Loop: Header=BB320_112 Depth=1
	s_andn2_saveexec_b64 s[24:25], s[0:1]
; %bb.239:                              ;   in Loop: Header=BB320_112 Depth=1
	v_or_b32_e32 v32, 0x10000, v31
	v_cmp_eq_u32_sdwa s[0:1], v31, v17 src0_sel:WORD_0 src1_sel:DWORD
	s_nop 1
	v_cndmask_b32_e64 v32, v32, v31, s[0:1]
; %bb.240:                              ;   in Loop: Header=BB320_112 Depth=1
	s_or_b64 exec, exec, s[24:25]
	v_lshrrev_b32_e32 v5, 24, v5
	v_cvt_f32_fp8_sdwa v5, v5 src0_sel:BYTE_0
                                        ; implicit-def: $vgpr33
	s_nop 0
	v_mul_f32_e32 v5, s31, v5
	v_and_b32_e32 v31, 0x7f800000, v5
	v_cmp_ne_u32_e64 s[0:1], s29, v31
	s_and_saveexec_b64 s[24:25], s[0:1]
	s_xor_b64 s[0:1], exec, s[24:25]
; %bb.241:                              ;   in Loop: Header=BB320_112 Depth=1
	v_bfe_u32 v31, v5, 16, 1
	v_add3_u32 v33, v5, v31, s30
                                        ; implicit-def: $vgpr5
; %bb.242:                              ;   in Loop: Header=BB320_112 Depth=1
	s_andn2_saveexec_b64 s[24:25], s[0:1]
; %bb.243:                              ;   in Loop: Header=BB320_112 Depth=1
	v_or_b32_e32 v31, 0x10000, v5
	v_cmp_eq_u32_sdwa s[0:1], v5, v17 src0_sel:WORD_0 src1_sel:DWORD
	s_nop 1
	v_cndmask_b32_e64 v33, v31, v5, s[0:1]
; %bb.244:                              ;   in Loop: Header=BB320_112 Depth=1
	s_or_b64 exec, exec, s[24:25]
	v_lshrrev_b32_e32 v28, 16, v28
	v_lshrrev_b32_e32 v30, 16, v30
	;; [unrolled: 1-line block ×8, first 2 shown]
	s_and_saveexec_b64 s[24:25], s[2:3]
	s_cbranch_execz .LBB320_246
; %bb.245:                              ;   in Loop: Header=BB320_112 Depth=1
	v_cmp_gt_i32_e64 s[0:1], s33, v1
	v_add_u32_e32 v32, 1, v1
	s_nop 0
	v_cndmask_b32_e64 v4, 0, v4, s[0:1]
	v_cmp_gt_i32_e64 s[0:1], s33, v32
	v_add_u32_e32 v32, 2, v1
	s_nop 0
	v_cndmask_b32_e64 v27, 0, v27, s[0:1]
	;; [unrolled: 4-line block ×7, first 2 shown]
	v_cmp_gt_i32_e64 s[0:1], s33, v32
	s_nop 1
	v_cndmask_b32_e64 v3, 0, v3, s[0:1]
.LBB320_246:                            ;   in Loop: Header=BB320_112 Depth=1
	s_or_b64 exec, exec, s[24:25]
	v_lshlrev_b32_e32 v4, 16, v4
	v_mul_f32_e32 v6, v6, v4
	v_and_b32_e32 v4, 0x7f800000, v6
	v_cmp_ne_u32_e64 s[0:1], s29, v4
                                        ; implicit-def: $vgpr4
	s_and_saveexec_b64 s[2:3], s[0:1]
	s_xor_b64 s[0:1], exec, s[2:3]
; %bb.247:                              ;   in Loop: Header=BB320_112 Depth=1
	v_bfe_u32 v4, v6, 16, 1
	v_add3_u32 v4, v6, v4, s30
                                        ; implicit-def: $vgpr6
; %bb.248:                              ;   in Loop: Header=BB320_112 Depth=1
	s_andn2_saveexec_b64 s[2:3], s[0:1]
; %bb.249:                              ;   in Loop: Header=BB320_112 Depth=1
	v_or_b32_e32 v4, 0x10000, v6
	v_cmp_eq_u32_sdwa s[0:1], v6, v17 src0_sel:WORD_0 src1_sel:DWORD
	s_nop 1
	v_cndmask_b32_e64 v4, v4, v6, s[0:1]
; %bb.250:                              ;   in Loop: Header=BB320_112 Depth=1
	s_or_b64 exec, exec, s[2:3]
	v_lshlrev_b32_e32 v6, 16, v27
	v_mul_f32_e32 v7, v7, v6
	v_and_b32_e32 v6, 0x7f800000, v7
	v_cmp_ne_u32_e64 s[0:1], s29, v6
                                        ; implicit-def: $vgpr6
	s_and_saveexec_b64 s[2:3], s[0:1]
	s_xor_b64 s[0:1], exec, s[2:3]
; %bb.251:                              ;   in Loop: Header=BB320_112 Depth=1
	v_bfe_u32 v6, v7, 16, 1
	v_add3_u32 v6, v7, v6, s30
                                        ; implicit-def: $vgpr7
; %bb.252:                              ;   in Loop: Header=BB320_112 Depth=1
	s_andn2_saveexec_b64 s[2:3], s[0:1]
; %bb.253:                              ;   in Loop: Header=BB320_112 Depth=1
	v_or_b32_e32 v6, 0x10000, v7
	v_cmp_eq_u32_sdwa s[0:1], v7, v17 src0_sel:WORD_0 src1_sel:DWORD
	s_nop 1
	v_cndmask_b32_e64 v6, v6, v7, s[0:1]
; %bb.254:                              ;   in Loop: Header=BB320_112 Depth=1
	s_or_b64 exec, exec, s[2:3]
	v_lshlrev_b32_e32 v7, 16, v29
	v_mul_f32_e32 v8, v8, v7
	v_and_b32_e32 v7, 0x7f800000, v8
	v_cmp_ne_u32_e64 s[0:1], s29, v7
                                        ; implicit-def: $vgpr7
	s_and_saveexec_b64 s[2:3], s[0:1]
	s_xor_b64 s[0:1], exec, s[2:3]
; %bb.255:                              ;   in Loop: Header=BB320_112 Depth=1
	v_bfe_u32 v7, v8, 16, 1
	v_add3_u32 v7, v8, v7, s30
                                        ; implicit-def: $vgpr8
; %bb.256:                              ;   in Loop: Header=BB320_112 Depth=1
	s_andn2_saveexec_b64 s[2:3], s[0:1]
; %bb.257:                              ;   in Loop: Header=BB320_112 Depth=1
	v_or_b32_e32 v7, 0x10000, v8
	v_cmp_eq_u32_sdwa s[0:1], v8, v17 src0_sel:WORD_0 src1_sel:DWORD
	s_nop 1
	v_cndmask_b32_e64 v7, v7, v8, s[0:1]
; %bb.258:                              ;   in Loop: Header=BB320_112 Depth=1
	s_or_b64 exec, exec, s[2:3]
	v_lshlrev_b32_e32 v8, 16, v31
	v_mul_f32_e32 v9, v9, v8
	v_and_b32_e32 v8, 0x7f800000, v9
	v_cmp_ne_u32_e64 s[0:1], s29, v8
                                        ; implicit-def: $vgpr8
	s_and_saveexec_b64 s[2:3], s[0:1]
	s_xor_b64 s[0:1], exec, s[2:3]
; %bb.259:                              ;   in Loop: Header=BB320_112 Depth=1
	v_bfe_u32 v8, v9, 16, 1
	v_add3_u32 v8, v9, v8, s30
                                        ; implicit-def: $vgpr9
; %bb.260:                              ;   in Loop: Header=BB320_112 Depth=1
	s_andn2_saveexec_b64 s[2:3], s[0:1]
; %bb.261:                              ;   in Loop: Header=BB320_112 Depth=1
	v_or_b32_e32 v8, 0x10000, v9
	v_cmp_eq_u32_sdwa s[0:1], v9, v17 src0_sel:WORD_0 src1_sel:DWORD
	s_nop 1
	v_cndmask_b32_e64 v8, v8, v9, s[0:1]
; %bb.262:                              ;   in Loop: Header=BB320_112 Depth=1
	s_or_b64 exec, exec, s[2:3]
	v_lshlrev_b32_e32 v9, 16, v30
	v_mul_f32_e32 v23, v23, v9
	v_and_b32_e32 v9, 0x7f800000, v23
	v_cmp_ne_u32_e64 s[0:1], s29, v9
                                        ; implicit-def: $vgpr9
	s_and_saveexec_b64 s[2:3], s[0:1]
	s_xor_b64 s[0:1], exec, s[2:3]
; %bb.263:                              ;   in Loop: Header=BB320_112 Depth=1
	v_bfe_u32 v9, v23, 16, 1
	v_add3_u32 v9, v23, v9, s30
                                        ; implicit-def: $vgpr23
; %bb.264:                              ;   in Loop: Header=BB320_112 Depth=1
	s_andn2_saveexec_b64 s[2:3], s[0:1]
; %bb.265:                              ;   in Loop: Header=BB320_112 Depth=1
	v_or_b32_e32 v9, 0x10000, v23
	v_cmp_eq_u32_sdwa s[0:1], v23, v17 src0_sel:WORD_0 src1_sel:DWORD
	s_nop 1
	v_cndmask_b32_e64 v9, v9, v23, s[0:1]
; %bb.266:                              ;   in Loop: Header=BB320_112 Depth=1
	s_or_b64 exec, exec, s[2:3]
	v_lshlrev_b32_e32 v23, 16, v28
	v_mul_f32_e32 v24, v24, v23
	v_and_b32_e32 v23, 0x7f800000, v24
	v_cmp_ne_u32_e64 s[0:1], s29, v23
                                        ; implicit-def: $vgpr23
	s_and_saveexec_b64 s[2:3], s[0:1]
	s_xor_b64 s[0:1], exec, s[2:3]
; %bb.267:                              ;   in Loop: Header=BB320_112 Depth=1
	v_bfe_u32 v23, v24, 16, 1
	v_add3_u32 v23, v24, v23, s30
                                        ; implicit-def: $vgpr24
; %bb.268:                              ;   in Loop: Header=BB320_112 Depth=1
	s_andn2_saveexec_b64 s[2:3], s[0:1]
; %bb.269:                              ;   in Loop: Header=BB320_112 Depth=1
	v_or_b32_e32 v23, 0x10000, v24
	v_cmp_eq_u32_sdwa s[0:1], v24, v17 src0_sel:WORD_0 src1_sel:DWORD
	s_nop 1
	v_cndmask_b32_e64 v23, v23, v24, s[0:1]
; %bb.270:                              ;   in Loop: Header=BB320_112 Depth=1
	s_or_b64 exec, exec, s[2:3]
	v_lshlrev_b32_e32 v5, 16, v5
	v_mul_f32_e32 v24, v25, v5
	v_and_b32_e32 v5, 0x7f800000, v24
	v_cmp_ne_u32_e64 s[0:1], s29, v5
                                        ; implicit-def: $vgpr5
	s_and_saveexec_b64 s[2:3], s[0:1]
	s_xor_b64 s[0:1], exec, s[2:3]
; %bb.271:                              ;   in Loop: Header=BB320_112 Depth=1
	v_bfe_u32 v5, v24, 16, 1
	v_add3_u32 v5, v24, v5, s30
                                        ; implicit-def: $vgpr24
; %bb.272:                              ;   in Loop: Header=BB320_112 Depth=1
	s_andn2_saveexec_b64 s[2:3], s[0:1]
; %bb.273:                              ;   in Loop: Header=BB320_112 Depth=1
	v_or_b32_e32 v5, 0x10000, v24
	v_cmp_eq_u32_sdwa s[0:1], v24, v17 src0_sel:WORD_0 src1_sel:DWORD
	s_nop 1
	v_cndmask_b32_e64 v5, v5, v24, s[0:1]
; %bb.274:                              ;   in Loop: Header=BB320_112 Depth=1
	s_or_b64 exec, exec, s[2:3]
	v_lshlrev_b32_e32 v3, 16, v3
	v_mul_f32_e32 v3, v26, v3
	v_and_b32_e32 v24, 0x7f800000, v3
	v_cmp_ne_u32_e64 s[0:1], s29, v24
                                        ; implicit-def: $vgpr24
	s_and_saveexec_b64 s[2:3], s[0:1]
	s_xor_b64 s[0:1], exec, s[2:3]
; %bb.275:                              ;   in Loop: Header=BB320_112 Depth=1
	v_bfe_u32 v24, v3, 16, 1
	v_add3_u32 v24, v3, v24, s30
                                        ; implicit-def: $vgpr3
; %bb.276:                              ;   in Loop: Header=BB320_112 Depth=1
	s_andn2_saveexec_b64 s[2:3], s[0:1]
	s_cbranch_execz .LBB320_109
; %bb.277:                              ;   in Loop: Header=BB320_112 Depth=1
	v_or_b32_e32 v24, 0x10000, v3
	v_cmp_eq_u32_sdwa s[0:1], v3, v17 src0_sel:WORD_0 src1_sel:DWORD
	s_nop 1
	v_cndmask_b32_e64 v24, v24, v3, s[0:1]
	s_branch .LBB320_109
.LBB320_278:
	s_or_b64 exec, exec, s[16:17]
.LBB320_279:
	s_or_b64 exec, exec, s[12:13]
	v_and_b32_e32 v1, 0x3c0, v0
	v_cmp_eq_u32_e32 vcc, 64, v1
	s_barrier
	s_and_saveexec_b64 s[0:1], vcc
	s_cbranch_execz .LBB320_282
; %bb.280:
	v_mov_b32_e32 v1, 0x100
	v_lshl_add_u32 v2, v11, 2, v1
	ds_write_b32 v2, v14
	s_and_b64 exec, exec, s[10:11]
	s_cbranch_execz .LBB320_282
; %bb.281:
	v_lshl_add_u32 v1, v0, 2, v1
	ds_write_b32 v1, v15
.LBB320_282:
	s_or_b64 exec, exec, s[0:1]
	v_cmp_gt_u32_e32 vcc, 64, v0
	v_or_b32_e32 v1, 64, v0
	s_waitcnt lgkmcnt(0)
	s_barrier
	s_and_saveexec_b64 s[2:3], vcc
	s_cbranch_execz .LBB320_286
; %bb.283:
	v_mov_b32_e32 v2, 0x100
	v_lshl_add_u32 v2, v0, 2, v2
	ds_read_b32 v0, v2
	s_movk_i32 s0, 0x78
	v_cmp_gt_u32_e64 s[0:1], s0, v1
	s_and_saveexec_b64 s[6:7], s[0:1]
	s_cbranch_execz .LBB320_285
; %bb.284:
	ds_read_b32 v2, v2 offset:256
	s_waitcnt lgkmcnt(0)
	v_add_f32_e32 v15, v15, v2
.LBB320_285:
	s_or_b64 exec, exec, s[6:7]
	s_waitcnt lgkmcnt(0)
	v_add_f32_e32 v14, v14, v0
.LBB320_286:
	s_or_b64 exec, exec, s[2:3]
	s_barrier
	s_and_saveexec_b64 s[0:1], vcc
	s_cbranch_execz .LBB320_297
; %bb.287:
	s_mov_b32 s0, 0x7f800000
	v_and_b32_e32 v0, 0x7f800000, v14
	v_cmp_ne_u32_e32 vcc, s0, v0
                                        ; implicit-def: $vgpr0
	s_and_saveexec_b64 s[0:1], vcc
	s_xor_b64 s[0:1], exec, s[0:1]
; %bb.288:
	v_bfe_u32 v0, v14, 16, 1
	s_movk_i32 s2, 0x7fff
	v_add3_u32 v0, v14, v0, s2
; %bb.289:
	s_andn2_saveexec_b64 s[0:1], s[0:1]
; %bb.290:
	v_mov_b32_e32 v0, 0
	v_or_b32_e32 v2, 0x10000, v14
	v_cmp_eq_u32_sdwa vcc, v14, v0 src0_sel:WORD_0 src1_sel:DWORD
	s_nop 1
	v_cndmask_b32_e32 v0, v2, v14, vcc
; %bb.291:
	s_or_b64 exec, exec, s[0:1]
	s_mul_i32 s0, s8, 0x78
	s_ashr_i32 s1, s0, 31
	s_lshl_b64 s[0:1], s[0:1], 1
	s_add_u32 s3, s34, s0
	s_mul_i32 s0, s15, s14
	s_addc_u32 s5, s35, s1
	s_ashr_i32 s1, s0, 31
	s_lshl_b64 s[0:1], s[0:1], 1
	s_add_u32 s3, s3, s0
	s_mul_i32 s0, s4, 0x78
	s_addc_u32 s5, s5, s1
	s_ashr_i32 s1, s0, 31
	s_lshl_b64 s[0:1], s[0:1], 1
	s_movk_i32 s2, 0x78
	s_add_u32 s0, s3, s0
	s_addc_u32 s1, s5, s1
	v_cmp_gt_u32_e32 vcc, s2, v1
	global_store_short_d16_hi v10, v0, s[0:1]
	s_and_b64 exec, exec, vcc
	s_cbranch_execz .LBB320_297
; %bb.292:
	s_mov_b32 s2, 0x7f800000
	v_and_b32_e32 v0, 0x7f800000, v15
	v_mov_b32_e32 v11, 0
	v_cmp_ne_u32_e32 vcc, s2, v0
                                        ; implicit-def: $vgpr2
	s_and_saveexec_b64 s[2:3], vcc
	s_xor_b64 s[2:3], exec, s[2:3]
; %bb.293:
	v_bfe_u32 v0, v15, 16, 1
	s_movk_i32 s4, 0x7fff
	v_add3_u32 v2, v15, v0, s4
                                        ; implicit-def: $vgpr15
; %bb.294:
	s_or_saveexec_b64 s[2:3], s[2:3]
	v_lshl_add_u64 v[0:1], s[0:1], 0, v[10:11]
	s_xor_b64 exec, exec, s[2:3]
; %bb.295:
	v_mov_b32_e32 v2, 0
	v_or_b32_e32 v3, 0x10000, v15
	v_cmp_eq_u32_sdwa vcc, v15, v2 src0_sel:WORD_0 src1_sel:DWORD
	s_nop 1
	v_cndmask_b32_e32 v2, v3, v15, vcc
; %bb.296:
	s_or_b64 exec, exec, s[2:3]
	global_store_short_d16_hi v[0:1], v2, off offset:128
.LBB320_297:
	s_endpgm
	.section	.rodata,"a",@progbits
	.p2align	6, 0x0
	.amdhsa_kernel _ZN4vllm25paged_attention_v2_kernelI14__hip_bfloat16hLi120ELi8ELi128ELNS_18Fp8KVCacheDataTypeE1ELb1ELi512EEEvPfS3_PT_PKS4_PKT0_SA_ifPKiSC_iPKfiiiSE_SE_iiiii
		.amdhsa_group_segment_fixed_size 256
		.amdhsa_private_segment_fixed_size 0
		.amdhsa_kernarg_size 400
		.amdhsa_user_sgpr_count 2
		.amdhsa_user_sgpr_dispatch_ptr 0
		.amdhsa_user_sgpr_queue_ptr 0
		.amdhsa_user_sgpr_kernarg_segment_ptr 1
		.amdhsa_user_sgpr_dispatch_id 0
		.amdhsa_user_sgpr_kernarg_preload_length 0
		.amdhsa_user_sgpr_kernarg_preload_offset 0
		.amdhsa_user_sgpr_private_segment_size 0
		.amdhsa_uses_dynamic_stack 0
		.amdhsa_enable_private_segment 0
		.amdhsa_system_sgpr_workgroup_id_x 1
		.amdhsa_system_sgpr_workgroup_id_y 1
		.amdhsa_system_sgpr_workgroup_id_z 1
		.amdhsa_system_sgpr_workgroup_info 0
		.amdhsa_system_vgpr_workitem_id 0
		.amdhsa_next_free_vgpr 55
		.amdhsa_next_free_sgpr 61
		.amdhsa_accum_offset 56
		.amdhsa_reserve_vcc 1
		.amdhsa_float_round_mode_32 0
		.amdhsa_float_round_mode_16_64 0
		.amdhsa_float_denorm_mode_32 3
		.amdhsa_float_denorm_mode_16_64 3
		.amdhsa_dx10_clamp 1
		.amdhsa_ieee_mode 1
		.amdhsa_fp16_overflow 0
		.amdhsa_tg_split 0
		.amdhsa_exception_fp_ieee_invalid_op 0
		.amdhsa_exception_fp_denorm_src 0
		.amdhsa_exception_fp_ieee_div_zero 0
		.amdhsa_exception_fp_ieee_overflow 0
		.amdhsa_exception_fp_ieee_underflow 0
		.amdhsa_exception_fp_ieee_inexact 0
		.amdhsa_exception_int_div_zero 0
	.end_amdhsa_kernel
	.section	.text._ZN4vllm25paged_attention_v2_kernelI14__hip_bfloat16hLi120ELi8ELi128ELNS_18Fp8KVCacheDataTypeE1ELb1ELi512EEEvPfS3_PT_PKS4_PKT0_SA_ifPKiSC_iPKfiiiSE_SE_iiiii,"axG",@progbits,_ZN4vllm25paged_attention_v2_kernelI14__hip_bfloat16hLi120ELi8ELi128ELNS_18Fp8KVCacheDataTypeE1ELb1ELi512EEEvPfS3_PT_PKS4_PKT0_SA_ifPKiSC_iPKfiiiSE_SE_iiiii,comdat
.Lfunc_end320:
	.size	_ZN4vllm25paged_attention_v2_kernelI14__hip_bfloat16hLi120ELi8ELi128ELNS_18Fp8KVCacheDataTypeE1ELb1ELi512EEEvPfS3_PT_PKS4_PKT0_SA_ifPKiSC_iPKfiiiSE_SE_iiiii, .Lfunc_end320-_ZN4vllm25paged_attention_v2_kernelI14__hip_bfloat16hLi120ELi8ELi128ELNS_18Fp8KVCacheDataTypeE1ELb1ELi512EEEvPfS3_PT_PKS4_PKT0_SA_ifPKiSC_iPKfiiiSE_SE_iiiii
                                        ; -- End function
	.section	.AMDGPU.csdata,"",@progbits
; Kernel info:
; codeLenInByte = 10336
; NumSgprs: 67
; NumVgprs: 55
; NumAgprs: 0
; TotalNumVgprs: 55
; ScratchSize: 0
; MemoryBound: 0
; FloatMode: 240
; IeeeMode: 1
; LDSByteSize: 256 bytes/workgroup (compile time only)
; SGPRBlocks: 8
; VGPRBlocks: 6
; NumSGPRsForWavesPerEU: 67
; NumVGPRsForWavesPerEU: 55
; AccumOffset: 56
; Occupancy: 8
; WaveLimiterHint : 1
; COMPUTE_PGM_RSRC2:SCRATCH_EN: 0
; COMPUTE_PGM_RSRC2:USER_SGPR: 2
; COMPUTE_PGM_RSRC2:TRAP_HANDLER: 0
; COMPUTE_PGM_RSRC2:TGID_X_EN: 1
; COMPUTE_PGM_RSRC2:TGID_Y_EN: 1
; COMPUTE_PGM_RSRC2:TGID_Z_EN: 1
; COMPUTE_PGM_RSRC2:TIDIG_COMP_CNT: 0
; COMPUTE_PGM_RSRC3_GFX90A:ACCUM_OFFSET: 13
; COMPUTE_PGM_RSRC3_GFX90A:TG_SPLIT: 0
	.section	.text._ZN4vllm25paged_attention_v2_kernelI14__hip_bfloat16hLi128ELi8ELi128ELNS_18Fp8KVCacheDataTypeE1ELb1ELi512EEEvPfS3_PT_PKS4_PKT0_SA_ifPKiSC_iPKfiiiSE_SE_iiiii,"axG",@progbits,_ZN4vllm25paged_attention_v2_kernelI14__hip_bfloat16hLi128ELi8ELi128ELNS_18Fp8KVCacheDataTypeE1ELb1ELi512EEEvPfS3_PT_PKS4_PKT0_SA_ifPKiSC_iPKfiiiSE_SE_iiiii,comdat
	.protected	_ZN4vllm25paged_attention_v2_kernelI14__hip_bfloat16hLi128ELi8ELi128ELNS_18Fp8KVCacheDataTypeE1ELb1ELi512EEEvPfS3_PT_PKS4_PKT0_SA_ifPKiSC_iPKfiiiSE_SE_iiiii ; -- Begin function _ZN4vllm25paged_attention_v2_kernelI14__hip_bfloat16hLi128ELi8ELi128ELNS_18Fp8KVCacheDataTypeE1ELb1ELi512EEEvPfS3_PT_PKS4_PKT0_SA_ifPKiSC_iPKfiiiSE_SE_iiiii
	.globl	_ZN4vllm25paged_attention_v2_kernelI14__hip_bfloat16hLi128ELi8ELi128ELNS_18Fp8KVCacheDataTypeE1ELb1ELi512EEEvPfS3_PT_PKS4_PKT0_SA_ifPKiSC_iPKfiiiSE_SE_iiiii
	.p2align	8
	.type	_ZN4vllm25paged_attention_v2_kernelI14__hip_bfloat16hLi128ELi8ELi128ELNS_18Fp8KVCacheDataTypeE1ELb1ELi512EEEvPfS3_PT_PKS4_PKT0_SA_ifPKiSC_iPKfiiiSE_SE_iiiii,@function
_ZN4vllm25paged_attention_v2_kernelI14__hip_bfloat16hLi128ELi8ELi128ELNS_18Fp8KVCacheDataTypeE1ELb1ELi512EEEvPfS3_PT_PKS4_PKT0_SA_ifPKiSC_iPKfiiiSE_SE_iiiii: ; @_ZN4vllm25paged_attention_v2_kernelI14__hip_bfloat16hLi128ELi8ELi128ELNS_18Fp8KVCacheDataTypeE1ELb1ELi512EEEvPfS3_PT_PKS4_PKT0_SA_ifPKiSC_iPKfiiiSE_SE_iiiii
; %bb.0:
	s_load_dwordx2 s[6:7], s[0:1], 0x40
	s_mov_b32 s34, s3
	s_ashr_i32 s35, s3, 31
	s_lshl_b64 s[8:9], s[34:35], 2
	s_waitcnt lgkmcnt(0)
	s_add_u32 s6, s6, s8
	s_addc_u32 s7, s7, s9
	s_load_dword s33, s[6:7], 0x0
	s_lshl_b32 s51, s4, 9
	s_waitcnt lgkmcnt(0)
	s_cmp_ge_i32 s51, s33
	s_cbranch_scc1 .LBB321_295
; %bb.1:
	s_load_dword s5, s[0:1], 0x90
	s_load_dwordx2 s[42:43], s[0:1], 0x30
	s_waitcnt lgkmcnt(0)
	s_abs_i32 s7, s5
	s_abs_i32 s3, s42
	v_cvt_f32_u32_e32 v1, s3
	s_sub_i32 s8, 0, s3
	s_xor_b32 s6, s5, s42
	s_ashr_i32 s6, s6, 31
	v_rcp_iflag_f32_e32 v1, v1
	s_nop 0
	v_mul_f32_e32 v1, 0x4f7ffffe, v1
	v_cvt_u32_f32_e32 v1, v1
	s_nop 0
	v_readfirstlane_b32 s9, v1
	s_mul_i32 s8, s8, s9
	s_mul_hi_u32 s8, s9, s8
	s_add_i32 s9, s9, s8
	s_mul_hi_u32 s8, s7, s9
	s_mul_i32 s9, s8, s3
	s_sub_i32 s7, s7, s9
	s_add_i32 s10, s8, 1
	s_sub_i32 s9, s7, s3
	s_cmp_ge_u32 s7, s3
	s_cselect_b32 s8, s10, s8
	s_cselect_b32 s7, s9, s7
	s_add_i32 s9, s8, 1
	s_cmp_ge_u32 s7, s3
	s_cselect_b32 s3, s9, s8
	s_xor_b32 s3, s3, s6
	s_sub_i32 s12, s3, s6
	s_abs_i32 s8, s12
	v_cvt_f32_u32_e32 v1, s8
	s_load_dwordx2 s[6:7], s[0:1], 0x50
	s_sub_i32 s10, 0, s8
	s_abs_i32 s9, s2
	v_rcp_iflag_f32_e32 v1, v1
	s_mov_b32 s3, 0
	v_mul_f32_e32 v1, 0x4f7ffffe, v1
	v_cvt_u32_f32_e32 v1, v1
	s_nop 0
	v_readfirstlane_b32 s11, v1
	s_mul_i32 s10, s10, s11
	s_mul_hi_u32 s10, s11, s10
	s_add_i32 s11, s11, s10
	s_waitcnt lgkmcnt(0)
	s_cmp_eq_u64 s[6:7], 0
	s_mul_hi_u32 s10, s9, s11
	s_cbranch_scc1 .LBB321_3
; %bb.2:
	s_ashr_i32 s3, s2, 31
	s_lshl_b64 s[14:15], s[2:3], 2
	s_add_u32 s6, s6, s14
	s_addc_u32 s7, s7, s15
	s_load_dword s3, s[6:7], 0x0
.LBB321_3:
	s_load_dwordx4 s[16:19], s[0:1], 0x58
	s_movk_i32 s6, 0x80
	s_ashr_i32 s11, s2, 31
	s_ashr_i32 s12, s12, 31
	v_and_b32_e32 v14, 7, v0
	s_lshl_b32 s28, s2, 7
	v_cmp_gt_u32_e32 vcc, s6, v0
	v_lshlrev_b32_e32 v10, 1, v0
	s_and_saveexec_b64 s[6:7], vcc
	s_cbranch_execz .LBB321_5
; %bb.4:
	s_load_dwordx2 s[14:15], s[0:1], 0x18
	s_waitcnt lgkmcnt(0)
	s_mul_i32 s20, s34, s16
	s_ashr_i32 s21, s20, 31
	s_lshl_b64 s[20:21], s[20:21], 1
	v_lshrrev_b32_e32 v2, 2, v0
	s_add_u32 s13, s14, s20
	s_addc_u32 s16, s15, s21
	s_ashr_i32 s29, s28, 31
	s_lshl_b64 s[14:15], s[28:29], 1
	s_add_u32 s14, s13, s14
	s_addc_u32 s15, s16, s15
	global_load_ushort v1, v10, s[14:15]
	v_and_b32_e32 v2, 0xfe, v2
	v_lshl_add_u32 v2, v14, 5, v2
	s_waitcnt vmcnt(0)
	ds_write_b16 v2, v1
.LBB321_5:
	s_or_b64 exec, exec, s[6:7]
	s_mul_i32 s7, s10, s8
	s_sub_i32 s7, s9, s7
	s_xor_b32 s6, s11, s12
	s_add_i32 s9, s10, 1
	s_sub_i32 s11, s7, s8
	s_load_dwordx4 s[20:23], s[0:1], 0x78
	s_cmp_ge_u32 s7, s8
	s_cselect_b32 s9, s9, s10
	s_cselect_b32 s7, s11, s7
	s_add_i32 s10, s9, 1
	s_cmp_ge_u32 s7, s8
	s_cselect_b32 s7, s10, s9
	s_load_dword s10, s[0:1], 0x88
	s_waitcnt lgkmcnt(0)
	s_abs_i32 s29, s23
	v_cvt_f32_u32_e32 v1, s29
	s_xor_b32 s7, s7, s6
	s_sub_i32 s50, s7, s6
	s_sub_i32 s6, 0, s29
	v_rcp_iflag_f32_e32 v1, v1
	s_add_i32 s11, s33, -1
	s_abs_i32 s8, s11
	v_mul_f32_e32 v1, 0x4f7ffffe, v1
	v_cvt_u32_f32_e32 v1, v1
	s_barrier
	v_readfirstlane_b32 s35, v1
	s_mul_i32 s6, s6, s35
	s_mul_hi_u32 s6, s35, s6
	s_add_i32 s35, s35, s6
	s_cmp_lt_i32 s10, 0
	s_mul_hi_u32 s9, s8, s35
	s_cbranch_scc0 .LBB321_7
; %bb.6:
	s_mul_i32 s6, s20, s42
	s_add_i32 s6, s50, s6
	s_mul_i32 s6, s6, s10
	s_sub_i32 s42, 1, s6
	s_mov_b64 s[6:7], 0
	s_branch .LBB321_8
.LBB321_7:
	s_mov_b64 s[6:7], -1
                                        ; implicit-def: $sgpr42
.LBB321_8:
	s_load_dwordx2 s[36:37], s[0:1], 0x38
	s_ashr_i32 s11, s11, 31
	s_andn2_b64 vcc, exec, s[6:7]
	s_ashr_i32 s23, s23, 31
	s_cbranch_vccnz .LBB321_10
; %bb.9:
	s_mul_i32 s6, s5, s20
	s_add_i32 s6, s6, s2
	s_mul_i32 s6, s6, s10
	s_add_i32 s42, s6, 1
.LBB321_10:
	s_load_dwordx2 s[40:41], s[0:1], 0x28
	s_load_dword s6, s[0:1], 0x48
	s_load_dwordx4 s[24:27], s[0:1], 0x0
	s_load_dwordx2 s[30:31], s[0:1], 0x10
	s_load_dword s16, s[0:1], 0x98
	s_load_dwordx4 s[12:15], s[0:1], 0x68
	s_mul_i32 s7, s9, s29
	s_waitcnt lgkmcnt(0)
	s_mul_i32 s38, s34, s6
	s_sub_i32 s7, s8, s7
	s_ashr_i32 s39, s38, 31
	s_xor_b32 s6, s11, s23
	s_add_i32 s8, s9, 1
	s_sub_i32 s10, s7, s29
	s_cmp_ge_u32 s7, s29
	s_cselect_b32 s8, s8, s9
	s_cselect_b32 s7, s10, s7
	s_add_i32 s9, s8, 1
	s_cmp_ge_u32 s7, s29
	s_cselect_b32 s7, s9, s8
	s_xor_b32 s7, s7, s6
	s_sub_i32 s49, s7, s6
	s_add_i32 s6, s33, 7
	s_ashr_i32 s7, s6, 31
	s_lshr_b32 s7, s7, 29
	s_add_i32 s6, s6, s7
	s_lshl_b32 s52, s4, 6
	s_ashr_i32 s48, s6, 3
	s_add_i32 s6, s52, 64
	v_lshrrev_b32_e32 v22, 6, v0
	s_min_i32 s20, s6, s48
	v_or_b32_e32 v12, s52, v22
	v_cmp_gt_i32_e64 s[8:9], s20, v12
	v_mov_b32_e32 v25, 0xff7fffff
	s_mul_i32 s50, s50, s18
	v_ashrrev_i32_e32 v13, 31, v12
	v_lshl_add_u32 v1, v22, 3, s51
	v_mbcnt_lo_u32_b32 v11, -1, 0
	s_and_saveexec_b64 s[18:19], s[8:9]
	s_cbranch_execz .LBB321_84
; %bb.11:
	s_load_dwordx2 s[0:1], s[0:1], 0x20
	s_sub_i32 s53, s49, s21
	s_ashr_i32 s6, s50, 31
	v_bfe_u32 v23, v0, 3, 3
	v_mov_b32_e32 v15, 0
	s_waitcnt lgkmcnt(0)
	s_add_u32 s0, s0, s50
	s_addc_u32 s1, s1, s6
	s_abs_i32 s54, s22
	v_cvt_f32_u32_e32 v2, s54
	v_cmp_eq_u32_e32 vcc, 0, v14
	s_mov_b32 s55, s17
	v_lshlrev_b32_e32 v24, 5, v14
	v_rcp_iflag_f32_e32 v3, v2
	v_lshlrev_b32_e32 v2, 4, v23
	v_cmp_neq_f32_e64 s[6:7], s3, 0
	v_lshl_add_u32 v27, v22, 3, s51
	v_mul_f32_e32 v3, 0x4f7ffffe, v3
	v_cvt_u32_f32_e32 v4, v3
	v_mov_b32_e32 v3, v15
	v_lshl_add_u64 v[16:17], s[0:1], 0, v[2:3]
	s_sub_i32 s0, 0, s54
	v_mul_lo_u32 v2, s0, v4
	v_mul_hi_u32 v2, v4, v2
	v_add_u32_e32 v26, v4, v2
	s_lshl_b64 s[0:1], s[38:39], 2
	v_lshlrev_b32_e32 v2, 2, v23
	s_add_u32 s0, s36, s0
	v_lshl_or_b32 v2, v22, 5, v2
	s_addc_u32 s1, s37, s1
	v_add_u32_e32 v28, 0x110, v2
	v_subrev_u32_e32 v2, s33, v23
	v_lshl_add_u64 v[18:19], v[12:13], 2, s[0:1]
	v_add_u32_e32 v29, 1, v2
	s_mov_b64 s[44:45], 0
	v_mov_b32_e32 v30, 0xff7fffff
	s_mov_b32 s56, 0x7f800000
	s_movk_i32 s57, 0x7fff
	v_mbcnt_hi_u32_b32 v31, -1, v11
	v_mov_b32_e32 v25, 0xff7fffff
	v_mov_b32_e32 v32, v12
	s_branch .LBB321_14
.LBB321_12:                             ;   in Loop: Header=BB321_14 Depth=1
	s_or_b64 exec, exec, s[46:47]
.LBB321_13:                             ;   in Loop: Header=BB321_14 Depth=1
	s_or_b64 exec, exec, s[10:11]
	v_add_u32_e32 v32, 2, v32
	v_cmp_le_i32_e64 s[0:1], s20, v32
	v_lshl_add_u64 v[18:19], v[18:19], 0, 8
	v_add_u32_e32 v27, 16, v27
	s_or_b64 s[44:45], s[0:1], s[44:45]
	v_add_u32_e32 v28, 64, v28
	s_andn2_b64 exec, exec, s[44:45]
	s_cbranch_execz .LBB321_83
.LBB321_14:                             ; =>This Inner Loop Header: Depth=1
	s_waitcnt lgkmcnt(0)
	v_sub_u32_e32 v3, 0, v27
	v_max_i32_e32 v3, v27, v3
	v_mul_hi_u32 v4, v3, s35
	v_mul_lo_u32 v5, v4, s29
	v_sub_u32_e32 v3, v3, v5
	v_add_u32_e32 v5, 1, v4
	v_cmp_le_u32_e64 s[0:1], s29, v3
	v_ashrrev_i32_e32 v2, 31, v27
	v_xor_b32_e32 v2, s23, v2
	v_cndmask_b32_e64 v4, v4, v5, s[0:1]
	v_subrev_u32_e32 v5, s29, v3
	v_cndmask_b32_e64 v3, v3, v5, s[0:1]
	v_add_u32_e32 v5, 1, v4
	v_cmp_le_u32_e64 s[0:1], s29, v3
	s_nop 1
	v_cndmask_b32_e64 v3, v4, v5, s[0:1]
	v_xor_b32_e32 v3, v3, v2
	v_sub_u32_e32 v2, v3, v2
	v_add_u32_e32 v3, s42, v2
	v_sub_u32_e32 v5, 0, v3
	v_ashrrev_i32_e32 v4, 31, v3
	v_max_i32_e32 v3, v3, v5
	v_mul_hi_u32 v5, v3, v26
	v_mul_lo_u32 v5, v5, s54
	v_sub_u32_e32 v3, v3, v5
	v_subrev_u32_e32 v5, s54, v3
	v_cmp_le_u32_e64 s[0:1], s54, v3
	v_cmp_ge_i32_e64 s[10:11], s53, v2
	s_nop 0
	v_cndmask_b32_e64 v3, v3, v5, s[0:1]
	v_subrev_u32_e32 v5, s54, v3
	v_cmp_le_u32_e64 s[0:1], s54, v3
	s_nop 1
	v_cndmask_b32_e64 v3, v3, v5, s[0:1]
	v_xor_b32_e32 v3, v3, v4
	v_sub_u32_e32 v3, v3, v4
	v_cmp_ne_u32_e64 s[0:1], 0, v3
	s_and_b64 s[0:1], s[0:1], s[10:11]
	s_and_b64 s[46:47], vcc, s[0:1]
	s_and_saveexec_b64 s[10:11], s[46:47]
	s_cbranch_execz .LBB321_16
; %bb.15:                               ;   in Loop: Header=BB321_14 Depth=1
	ds_write_b32 v28, v30
.LBB321_16:                             ;   in Loop: Header=BB321_14 Depth=1
	s_or_b64 exec, exec, s[10:11]
	s_xor_b64 s[0:1], s[0:1], -1
	s_and_saveexec_b64 s[10:11], s[0:1]
	s_cbranch_execz .LBB321_13
; %bb.17:                               ;   in Loop: Header=BB321_14 Depth=1
	global_load_dword v2, v[18:19], off
	s_load_dword s58, s[12:13], 0x0
	s_waitcnt vmcnt(0)
	v_mad_i64_i32 v[2:3], s[0:1], v2, s55, v[16:17]
	v_lshl_add_u64 v[20:21], v[2:3], 0, v[14:15]
	global_load_ubyte v2, v[20:21], off
	s_waitcnt vmcnt(0)
	v_cvt_f32_fp8_sdwa v33, v2 src0_sel:BYTE_0
	ds_read_b128 v[6:9], v24
	ds_read_b128 v[2:5], v24 offset:16
	s_waitcnt lgkmcnt(0)
	v_mul_f32_e32 v34, s58, v33
	v_and_b32_e32 v33, 0x7f800000, v34
	v_cmp_ne_u32_e64 s[0:1], s56, v33
                                        ; implicit-def: $vgpr33
	s_and_saveexec_b64 s[46:47], s[0:1]
	s_xor_b64 s[0:1], exec, s[46:47]
; %bb.18:                               ;   in Loop: Header=BB321_14 Depth=1
	v_bfe_u32 v33, v34, 16, 1
	v_add3_u32 v33, v34, v33, s57
                                        ; implicit-def: $vgpr34
; %bb.19:                               ;   in Loop: Header=BB321_14 Depth=1
	s_andn2_saveexec_b64 s[46:47], s[0:1]
; %bb.20:                               ;   in Loop: Header=BB321_14 Depth=1
	v_or_b32_e32 v33, 0x10000, v34
	v_cmp_eq_u32_sdwa s[0:1], v34, v15 src0_sel:WORD_0 src1_sel:DWORD
	s_nop 1
	v_cndmask_b32_e64 v33, v33, v34, s[0:1]
; %bb.21:                               ;   in Loop: Header=BB321_14 Depth=1
	s_or_b64 exec, exec, s[46:47]
	global_load_ubyte v34, v[20:21], off offset:8
	s_waitcnt vmcnt(0)
	v_cvt_f32_fp8_sdwa v34, v34 src0_sel:BYTE_0
	s_nop 0
	v_mul_f32_e32 v35, s58, v34
	v_and_b32_e32 v34, 0x7f800000, v35
	v_cmp_ne_u32_e64 s[0:1], s56, v34
                                        ; implicit-def: $vgpr34
	s_and_saveexec_b64 s[46:47], s[0:1]
	s_xor_b64 s[0:1], exec, s[46:47]
; %bb.22:                               ;   in Loop: Header=BB321_14 Depth=1
	v_bfe_u32 v34, v35, 16, 1
	v_add3_u32 v34, v35, v34, s57
                                        ; implicit-def: $vgpr35
; %bb.23:                               ;   in Loop: Header=BB321_14 Depth=1
	s_andn2_saveexec_b64 s[46:47], s[0:1]
; %bb.24:                               ;   in Loop: Header=BB321_14 Depth=1
	v_or_b32_e32 v34, 0x10000, v35
	v_cmp_eq_u32_sdwa s[0:1], v35, v15 src0_sel:WORD_0 src1_sel:DWORD
	s_nop 1
	v_cndmask_b32_e64 v34, v34, v35, s[0:1]
; %bb.25:                               ;   in Loop: Header=BB321_14 Depth=1
	s_or_b64 exec, exec, s[46:47]
	global_load_ubyte v35, v[20:21], off offset:128
	s_waitcnt vmcnt(0)
	v_cvt_f32_fp8_sdwa v35, v35 src0_sel:BYTE_0
	s_nop 0
	v_mul_f32_e32 v36, s58, v35
	v_and_b32_e32 v35, 0x7f800000, v36
	v_cmp_ne_u32_e64 s[0:1], s56, v35
                                        ; implicit-def: $vgpr35
	s_and_saveexec_b64 s[46:47], s[0:1]
	s_xor_b64 s[0:1], exec, s[46:47]
; %bb.26:                               ;   in Loop: Header=BB321_14 Depth=1
	v_bfe_u32 v35, v36, 16, 1
	v_add3_u32 v35, v36, v35, s57
                                        ; implicit-def: $vgpr36
; %bb.27:                               ;   in Loop: Header=BB321_14 Depth=1
	s_andn2_saveexec_b64 s[46:47], s[0:1]
; %bb.28:                               ;   in Loop: Header=BB321_14 Depth=1
	v_or_b32_e32 v35, 0x10000, v36
	v_cmp_eq_u32_sdwa s[0:1], v36, v15 src0_sel:WORD_0 src1_sel:DWORD
	s_nop 1
	v_cndmask_b32_e64 v35, v35, v36, s[0:1]
; %bb.29:                               ;   in Loop: Header=BB321_14 Depth=1
	s_or_b64 exec, exec, s[46:47]
	global_load_ubyte v36, v[20:21], off offset:136
	s_waitcnt vmcnt(0)
	v_cvt_f32_fp8_sdwa v36, v36 src0_sel:BYTE_0
	s_nop 0
	v_mul_f32_e32 v37, s58, v36
	v_and_b32_e32 v36, 0x7f800000, v37
	v_cmp_ne_u32_e64 s[0:1], s56, v36
                                        ; implicit-def: $vgpr36
	s_and_saveexec_b64 s[46:47], s[0:1]
	s_xor_b64 s[0:1], exec, s[46:47]
; %bb.30:                               ;   in Loop: Header=BB321_14 Depth=1
	v_bfe_u32 v36, v37, 16, 1
	v_add3_u32 v36, v37, v36, s57
                                        ; implicit-def: $vgpr37
; %bb.31:                               ;   in Loop: Header=BB321_14 Depth=1
	s_andn2_saveexec_b64 s[46:47], s[0:1]
; %bb.32:                               ;   in Loop: Header=BB321_14 Depth=1
	v_or_b32_e32 v36, 0x10000, v37
	v_cmp_eq_u32_sdwa s[0:1], v37, v15 src0_sel:WORD_0 src1_sel:DWORD
	s_nop 1
	v_cndmask_b32_e64 v36, v36, v37, s[0:1]
; %bb.33:                               ;   in Loop: Header=BB321_14 Depth=1
	s_or_b64 exec, exec, s[46:47]
	global_load_ubyte v37, v[20:21], off offset:256
	s_waitcnt vmcnt(0)
	v_cvt_f32_fp8_sdwa v37, v37 src0_sel:BYTE_0
	s_nop 0
	v_mul_f32_e32 v38, s58, v37
	v_and_b32_e32 v37, 0x7f800000, v38
	v_cmp_ne_u32_e64 s[0:1], s56, v37
                                        ; implicit-def: $vgpr37
	s_and_saveexec_b64 s[46:47], s[0:1]
	s_xor_b64 s[0:1], exec, s[46:47]
; %bb.34:                               ;   in Loop: Header=BB321_14 Depth=1
	v_bfe_u32 v37, v38, 16, 1
	v_add3_u32 v37, v38, v37, s57
                                        ; implicit-def: $vgpr38
; %bb.35:                               ;   in Loop: Header=BB321_14 Depth=1
	s_andn2_saveexec_b64 s[46:47], s[0:1]
; %bb.36:                               ;   in Loop: Header=BB321_14 Depth=1
	v_or_b32_e32 v37, 0x10000, v38
	v_cmp_eq_u32_sdwa s[0:1], v38, v15 src0_sel:WORD_0 src1_sel:DWORD
	s_nop 1
	v_cndmask_b32_e64 v37, v37, v38, s[0:1]
; %bb.37:                               ;   in Loop: Header=BB321_14 Depth=1
	s_or_b64 exec, exec, s[46:47]
	global_load_ubyte v38, v[20:21], off offset:264
	s_waitcnt vmcnt(0)
	v_cvt_f32_fp8_sdwa v38, v38 src0_sel:BYTE_0
	s_nop 0
	v_mul_f32_e32 v39, s58, v38
	v_and_b32_e32 v38, 0x7f800000, v39
	v_cmp_ne_u32_e64 s[0:1], s56, v38
                                        ; implicit-def: $vgpr38
	s_and_saveexec_b64 s[46:47], s[0:1]
	s_xor_b64 s[0:1], exec, s[46:47]
; %bb.38:                               ;   in Loop: Header=BB321_14 Depth=1
	v_bfe_u32 v38, v39, 16, 1
	v_add3_u32 v38, v39, v38, s57
                                        ; implicit-def: $vgpr39
; %bb.39:                               ;   in Loop: Header=BB321_14 Depth=1
	s_andn2_saveexec_b64 s[46:47], s[0:1]
; %bb.40:                               ;   in Loop: Header=BB321_14 Depth=1
	v_or_b32_e32 v38, 0x10000, v39
	v_cmp_eq_u32_sdwa s[0:1], v39, v15 src0_sel:WORD_0 src1_sel:DWORD
	s_nop 1
	v_cndmask_b32_e64 v38, v38, v39, s[0:1]
; %bb.41:                               ;   in Loop: Header=BB321_14 Depth=1
	s_or_b64 exec, exec, s[46:47]
	global_load_ubyte v39, v[20:21], off offset:384
	s_waitcnt vmcnt(0)
	v_cvt_f32_fp8_sdwa v39, v39 src0_sel:BYTE_0
	s_nop 0
	v_mul_f32_e32 v40, s58, v39
	v_and_b32_e32 v39, 0x7f800000, v40
	v_cmp_ne_u32_e64 s[0:1], s56, v39
                                        ; implicit-def: $vgpr39
	s_and_saveexec_b64 s[46:47], s[0:1]
	s_xor_b64 s[0:1], exec, s[46:47]
; %bb.42:                               ;   in Loop: Header=BB321_14 Depth=1
	v_bfe_u32 v39, v40, 16, 1
	v_add3_u32 v39, v40, v39, s57
                                        ; implicit-def: $vgpr40
; %bb.43:                               ;   in Loop: Header=BB321_14 Depth=1
	s_andn2_saveexec_b64 s[46:47], s[0:1]
; %bb.44:                               ;   in Loop: Header=BB321_14 Depth=1
	v_or_b32_e32 v39, 0x10000, v40
	v_cmp_eq_u32_sdwa s[0:1], v40, v15 src0_sel:WORD_0 src1_sel:DWORD
	s_nop 1
	v_cndmask_b32_e64 v39, v39, v40, s[0:1]
; %bb.45:                               ;   in Loop: Header=BB321_14 Depth=1
	s_or_b64 exec, exec, s[46:47]
	global_load_ubyte v40, v[20:21], off offset:392
	s_waitcnt vmcnt(0)
	v_cvt_f32_fp8_sdwa v40, v40 src0_sel:BYTE_0
	s_nop 0
	v_mul_f32_e32 v41, s58, v40
	v_and_b32_e32 v40, 0x7f800000, v41
	v_cmp_ne_u32_e64 s[0:1], s56, v40
                                        ; implicit-def: $vgpr40
	s_and_saveexec_b64 s[46:47], s[0:1]
	s_xor_b64 s[0:1], exec, s[46:47]
; %bb.46:                               ;   in Loop: Header=BB321_14 Depth=1
	v_bfe_u32 v40, v41, 16, 1
	v_add3_u32 v40, v41, v40, s57
                                        ; implicit-def: $vgpr41
; %bb.47:                               ;   in Loop: Header=BB321_14 Depth=1
	s_andn2_saveexec_b64 s[46:47], s[0:1]
; %bb.48:                               ;   in Loop: Header=BB321_14 Depth=1
	v_or_b32_e32 v40, 0x10000, v41
	v_cmp_eq_u32_sdwa s[0:1], v41, v15 src0_sel:WORD_0 src1_sel:DWORD
	s_nop 1
	v_cndmask_b32_e64 v40, v40, v41, s[0:1]
; %bb.49:                               ;   in Loop: Header=BB321_14 Depth=1
	s_or_b64 exec, exec, s[46:47]
	global_load_ubyte v41, v[20:21], off offset:512
	s_waitcnt vmcnt(0)
	v_cvt_f32_fp8_sdwa v41, v41 src0_sel:BYTE_0
	s_nop 0
	v_mul_f32_e32 v42, s58, v41
	v_and_b32_e32 v41, 0x7f800000, v42
	v_cmp_ne_u32_e64 s[0:1], s56, v41
                                        ; implicit-def: $vgpr41
	s_and_saveexec_b64 s[46:47], s[0:1]
	s_xor_b64 s[0:1], exec, s[46:47]
; %bb.50:                               ;   in Loop: Header=BB321_14 Depth=1
	v_bfe_u32 v41, v42, 16, 1
	v_add3_u32 v41, v42, v41, s57
                                        ; implicit-def: $vgpr42
; %bb.51:                               ;   in Loop: Header=BB321_14 Depth=1
	s_andn2_saveexec_b64 s[46:47], s[0:1]
; %bb.52:                               ;   in Loop: Header=BB321_14 Depth=1
	v_or_b32_e32 v41, 0x10000, v42
	v_cmp_eq_u32_sdwa s[0:1], v42, v15 src0_sel:WORD_0 src1_sel:DWORD
	s_nop 1
	v_cndmask_b32_e64 v41, v41, v42, s[0:1]
; %bb.53:                               ;   in Loop: Header=BB321_14 Depth=1
	s_or_b64 exec, exec, s[46:47]
	global_load_ubyte v42, v[20:21], off offset:520
	s_waitcnt vmcnt(0)
	v_cvt_f32_fp8_sdwa v42, v42 src0_sel:BYTE_0
	s_nop 0
	v_mul_f32_e32 v43, s58, v42
	v_and_b32_e32 v42, 0x7f800000, v43
	v_cmp_ne_u32_e64 s[0:1], s56, v42
                                        ; implicit-def: $vgpr42
	s_and_saveexec_b64 s[46:47], s[0:1]
	s_xor_b64 s[0:1], exec, s[46:47]
; %bb.54:                               ;   in Loop: Header=BB321_14 Depth=1
	v_bfe_u32 v42, v43, 16, 1
	v_add3_u32 v42, v43, v42, s57
                                        ; implicit-def: $vgpr43
; %bb.55:                               ;   in Loop: Header=BB321_14 Depth=1
	s_andn2_saveexec_b64 s[46:47], s[0:1]
; %bb.56:                               ;   in Loop: Header=BB321_14 Depth=1
	v_or_b32_e32 v42, 0x10000, v43
	v_cmp_eq_u32_sdwa s[0:1], v43, v15 src0_sel:WORD_0 src1_sel:DWORD
	s_nop 1
	v_cndmask_b32_e64 v42, v42, v43, s[0:1]
; %bb.57:                               ;   in Loop: Header=BB321_14 Depth=1
	s_or_b64 exec, exec, s[46:47]
	global_load_ubyte v43, v[20:21], off offset:640
	s_waitcnt vmcnt(0)
	v_cvt_f32_fp8_sdwa v43, v43 src0_sel:BYTE_0
	s_nop 0
	v_mul_f32_e32 v44, s58, v43
	v_and_b32_e32 v43, 0x7f800000, v44
	v_cmp_ne_u32_e64 s[0:1], s56, v43
                                        ; implicit-def: $vgpr43
	s_and_saveexec_b64 s[46:47], s[0:1]
	s_xor_b64 s[0:1], exec, s[46:47]
; %bb.58:                               ;   in Loop: Header=BB321_14 Depth=1
	v_bfe_u32 v43, v44, 16, 1
	v_add3_u32 v43, v44, v43, s57
                                        ; implicit-def: $vgpr44
; %bb.59:                               ;   in Loop: Header=BB321_14 Depth=1
	s_andn2_saveexec_b64 s[46:47], s[0:1]
; %bb.60:                               ;   in Loop: Header=BB321_14 Depth=1
	v_or_b32_e32 v43, 0x10000, v44
	v_cmp_eq_u32_sdwa s[0:1], v44, v15 src0_sel:WORD_0 src1_sel:DWORD
	s_nop 1
	v_cndmask_b32_e64 v43, v43, v44, s[0:1]
; %bb.61:                               ;   in Loop: Header=BB321_14 Depth=1
	s_or_b64 exec, exec, s[46:47]
	global_load_ubyte v44, v[20:21], off offset:648
	s_waitcnt vmcnt(0)
	v_cvt_f32_fp8_sdwa v44, v44 src0_sel:BYTE_0
	s_nop 0
	v_mul_f32_e32 v45, s58, v44
	v_and_b32_e32 v44, 0x7f800000, v45
	v_cmp_ne_u32_e64 s[0:1], s56, v44
                                        ; implicit-def: $vgpr44
	s_and_saveexec_b64 s[46:47], s[0:1]
	s_xor_b64 s[0:1], exec, s[46:47]
; %bb.62:                               ;   in Loop: Header=BB321_14 Depth=1
	v_bfe_u32 v44, v45, 16, 1
	v_add3_u32 v44, v45, v44, s57
                                        ; implicit-def: $vgpr45
; %bb.63:                               ;   in Loop: Header=BB321_14 Depth=1
	s_andn2_saveexec_b64 s[46:47], s[0:1]
; %bb.64:                               ;   in Loop: Header=BB321_14 Depth=1
	v_or_b32_e32 v44, 0x10000, v45
	v_cmp_eq_u32_sdwa s[0:1], v45, v15 src0_sel:WORD_0 src1_sel:DWORD
	s_nop 1
	v_cndmask_b32_e64 v44, v44, v45, s[0:1]
; %bb.65:                               ;   in Loop: Header=BB321_14 Depth=1
	s_or_b64 exec, exec, s[46:47]
	global_load_ubyte v45, v[20:21], off offset:768
	s_waitcnt vmcnt(0)
	v_cvt_f32_fp8_sdwa v45, v45 src0_sel:BYTE_0
	s_nop 0
	v_mul_f32_e32 v46, s58, v45
	v_and_b32_e32 v45, 0x7f800000, v46
	v_cmp_ne_u32_e64 s[0:1], s56, v45
                                        ; implicit-def: $vgpr45
	s_and_saveexec_b64 s[46:47], s[0:1]
	s_xor_b64 s[0:1], exec, s[46:47]
; %bb.66:                               ;   in Loop: Header=BB321_14 Depth=1
	v_bfe_u32 v45, v46, 16, 1
	v_add3_u32 v45, v46, v45, s57
                                        ; implicit-def: $vgpr46
; %bb.67:                               ;   in Loop: Header=BB321_14 Depth=1
	s_andn2_saveexec_b64 s[46:47], s[0:1]
; %bb.68:                               ;   in Loop: Header=BB321_14 Depth=1
	v_or_b32_e32 v45, 0x10000, v46
	v_cmp_eq_u32_sdwa s[0:1], v46, v15 src0_sel:WORD_0 src1_sel:DWORD
	s_nop 1
	v_cndmask_b32_e64 v45, v45, v46, s[0:1]
; %bb.69:                               ;   in Loop: Header=BB321_14 Depth=1
	s_or_b64 exec, exec, s[46:47]
	global_load_ubyte v46, v[20:21], off offset:776
	s_waitcnt vmcnt(0)
	v_cvt_f32_fp8_sdwa v46, v46 src0_sel:BYTE_0
	s_nop 0
	v_mul_f32_e32 v47, s58, v46
	v_and_b32_e32 v46, 0x7f800000, v47
	v_cmp_ne_u32_e64 s[0:1], s56, v46
                                        ; implicit-def: $vgpr46
	s_and_saveexec_b64 s[46:47], s[0:1]
	s_xor_b64 s[0:1], exec, s[46:47]
; %bb.70:                               ;   in Loop: Header=BB321_14 Depth=1
	v_bfe_u32 v46, v47, 16, 1
	v_add3_u32 v46, v47, v46, s57
                                        ; implicit-def: $vgpr47
; %bb.71:                               ;   in Loop: Header=BB321_14 Depth=1
	s_andn2_saveexec_b64 s[46:47], s[0:1]
; %bb.72:                               ;   in Loop: Header=BB321_14 Depth=1
	v_or_b32_e32 v46, 0x10000, v47
	v_cmp_eq_u32_sdwa s[0:1], v47, v15 src0_sel:WORD_0 src1_sel:DWORD
	s_nop 1
	v_cndmask_b32_e64 v46, v46, v47, s[0:1]
; %bb.73:                               ;   in Loop: Header=BB321_14 Depth=1
	s_or_b64 exec, exec, s[46:47]
	global_load_ubyte v47, v[20:21], off offset:896
	s_waitcnt vmcnt(0)
	v_cvt_f32_fp8_sdwa v47, v47 src0_sel:BYTE_0
	s_nop 0
	v_mul_f32_e32 v48, s58, v47
	v_and_b32_e32 v47, 0x7f800000, v48
	v_cmp_ne_u32_e64 s[0:1], s56, v47
                                        ; implicit-def: $vgpr47
	s_and_saveexec_b64 s[46:47], s[0:1]
	s_xor_b64 s[0:1], exec, s[46:47]
; %bb.74:                               ;   in Loop: Header=BB321_14 Depth=1
	v_bfe_u32 v47, v48, 16, 1
	v_add3_u32 v47, v48, v47, s57
                                        ; implicit-def: $vgpr48
; %bb.75:                               ;   in Loop: Header=BB321_14 Depth=1
	s_andn2_saveexec_b64 s[46:47], s[0:1]
; %bb.76:                               ;   in Loop: Header=BB321_14 Depth=1
	v_or_b32_e32 v47, 0x10000, v48
	v_cmp_eq_u32_sdwa s[0:1], v48, v15 src0_sel:WORD_0 src1_sel:DWORD
	s_nop 1
	v_cndmask_b32_e64 v47, v47, v48, s[0:1]
; %bb.77:                               ;   in Loop: Header=BB321_14 Depth=1
	s_or_b64 exec, exec, s[46:47]
	global_load_ubyte v20, v[20:21], off offset:904
	s_waitcnt vmcnt(0)
	v_cvt_f32_fp8_sdwa v20, v20 src0_sel:BYTE_0
	s_nop 0
	v_mul_f32_e32 v21, s58, v20
	v_and_b32_e32 v20, 0x7f800000, v21
	v_cmp_ne_u32_e64 s[0:1], s56, v20
                                        ; implicit-def: $vgpr20
	s_and_saveexec_b64 s[46:47], s[0:1]
	s_xor_b64 s[0:1], exec, s[46:47]
; %bb.78:                               ;   in Loop: Header=BB321_14 Depth=1
	v_bfe_u32 v20, v21, 16, 1
	v_add3_u32 v20, v21, v20, s57
                                        ; implicit-def: $vgpr21
; %bb.79:                               ;   in Loop: Header=BB321_14 Depth=1
	s_andn2_saveexec_b64 s[46:47], s[0:1]
; %bb.80:                               ;   in Loop: Header=BB321_14 Depth=1
	v_or_b32_e32 v20, 0x10000, v21
	v_cmp_eq_u32_sdwa s[0:1], v21, v15 src0_sel:WORD_0 src1_sel:DWORD
	s_nop 1
	v_cndmask_b32_e64 v20, v20, v21, s[0:1]
; %bb.81:                               ;   in Loop: Header=BB321_14 Depth=1
	s_or_b64 exec, exec, s[46:47]
	v_and_b32_e32 v21, 0xffff0000, v47
	v_and_b32_e32 v34, 0xffff0000, v34
	v_lshlrev_b32_e32 v47, 16, v6
	v_and_b32_e32 v6, 0xffff0000, v6
	v_and_b32_e32 v33, 0xffff0000, v33
	v_mul_f32_e32 v6, v6, v34
	v_and_b32_e32 v35, 0xffff0000, v35
	v_lshlrev_b32_e32 v48, 16, v7
	v_fmac_f32_e32 v6, v47, v33
	v_and_b32_e32 v36, 0xffff0000, v36
	v_and_b32_e32 v7, 0xffff0000, v7
	v_fmac_f32_e32 v6, v48, v35
	v_and_b32_e32 v37, 0xffff0000, v37
	v_lshlrev_b32_e32 v49, 16, v8
	v_fmac_f32_e32 v6, v7, v36
	v_and_b32_e32 v38, 0xffff0000, v38
	v_and_b32_e32 v8, 0xffff0000, v8
	v_fmac_f32_e32 v6, v49, v37
	;; [unrolled: 6-line block ×5, first 2 shown]
	v_and_b32_e32 v45, 0xffff0000, v45
	v_lshlrev_b32_e32 v53, 16, v4
	v_and_b32_e32 v55, 64, v31
	v_fmac_f32_e32 v6, v3, v44
	v_and_b32_e32 v46, 0xffff0000, v46
	v_and_b32_e32 v4, 0xffff0000, v4
	v_add_u32_e32 v55, 64, v55
	v_xor_b32_e32 v56, 4, v31
	v_fmac_f32_e32 v6, v53, v45
	v_lshlrev_b32_e32 v54, 16, v5
	v_cmp_lt_i32_e64 s[0:1], v56, v55
	v_fmac_f32_e32 v6, v4, v46
	v_and_b32_e32 v5, 0xffff0000, v5
	v_cndmask_b32_e64 v56, v31, v56, s[0:1]
	v_and_b32_e32 v20, 0xffff0000, v20
	v_fmac_f32_e32 v6, v54, v21
	v_lshlrev_b32_e32 v56, 2, v56
	v_fmac_f32_e32 v6, v5, v20
	ds_bpermute_b32 v2, v56, v6
	v_xor_b32_e32 v3, 2, v31
	v_cmp_lt_i32_e64 s[0:1], v3, v55
	v_xor_b32_e32 v4, 1, v31
	s_waitcnt lgkmcnt(0)
	v_add_f32_e32 v2, v6, v2
	v_cndmask_b32_e64 v3, v31, v3, s[0:1]
	v_lshlrev_b32_e32 v3, 2, v3
	ds_bpermute_b32 v3, v3, v2
	v_cmp_lt_i32_e64 s[0:1], v4, v55
	s_waitcnt lgkmcnt(0)
	v_add_f32_e32 v2, v2, v3
	v_cndmask_b32_e64 v4, v31, v4, s[0:1]
	v_lshlrev_b32_e32 v4, 2, v4
	ds_bpermute_b32 v3, v4, v2
	s_and_saveexec_b64 s[46:47], vcc
	s_cbranch_execz .LBB321_12
; %bb.82:                               ;   in Loop: Header=BB321_14 Depth=1
	v_add_u32_e32 v4, v29, v27
	v_cvt_f32_i32_e32 v4, v4
	s_waitcnt lgkmcnt(0)
	v_add_f32_e32 v2, v2, v3
	v_add_u32_e32 v5, v23, v27
	v_cmp_gt_i32_e64 s[0:1], s33, v5
	v_mul_f32_e32 v3, s3, v4
	v_cndmask_b32_e64 v3, 0, v3, s[6:7]
	v_fmac_f32_e32 v3, s43, v2
	v_cndmask_b32_e64 v2, 0, v3, s[0:1]
	ds_write_b32 v28, v2
	v_max_f32_e32 v2, v25, v25
	v_max_f32_e32 v2, v2, v3
	v_cndmask_b32_e64 v25, v25, v2, s[0:1]
	s_branch .LBB321_12
.LBB321_83:
	s_or_b64 exec, exec, s[44:45]
.LBB321_84:
	s_or_b64 exec, exec, s[18:19]
	v_mbcnt_hi_u32_b32 v2, -1, v11
	s_waitcnt lgkmcnt(0)
	v_and_b32_e32 v3, 64, v2
	v_add_u32_e32 v3, 64, v3
	v_xor_b32_e32 v4, 32, v2
	v_cmp_lt_i32_e32 vcc, v4, v3
	v_xor_b32_e32 v7, 16, v2
	v_max_f32_e32 v5, v25, v25
	v_cndmask_b32_e32 v4, v2, v4, vcc
	v_lshlrev_b32_e32 v6, 2, v4
	ds_bpermute_b32 v4, v6, v25
	v_cmp_lt_i32_e32 vcc, v7, v3
	v_and_b32_e32 v11, 63, v0
	s_waitcnt lgkmcnt(0)
	v_max_f32_e32 v4, v4, v4
	v_max_f32_e32 v4, v5, v4
	v_cndmask_b32_e32 v5, v2, v7, vcc
	v_lshlrev_b32_e32 v8, 2, v5
	ds_bpermute_b32 v5, v8, v4
	v_xor_b32_e32 v7, 8, v2
	v_cmp_lt_i32_e32 vcc, v7, v3
	s_waitcnt lgkmcnt(0)
	v_max_f32_e32 v5, v5, v5
	v_max_f32_e32 v4, v4, v5
	v_cndmask_b32_e32 v5, v2, v7, vcc
	v_lshlrev_b32_e32 v9, 2, v5
	ds_bpermute_b32 v7, v9, v4
	v_cmp_eq_u32_e32 vcc, 0, v11
	v_lshlrev_b32_e32 v5, 2, v22
	s_and_saveexec_b64 s[0:1], vcc
	s_cbranch_execz .LBB321_86
; %bb.85:
	s_waitcnt lgkmcnt(0)
	v_max_f32_e32 v7, v7, v7
	v_max_f32_e32 v4, v4, v4
	;; [unrolled: 1-line block ×3, first 2 shown]
	ds_write_b32 v5, v4 offset:256
.LBB321_86:
	s_or_b64 exec, exec, s[0:1]
	v_cmp_gt_u32_e64 s[0:1], 2, v11
	v_mov_b32_e32 v4, 0xff7fffff
	s_waitcnt lgkmcnt(0)
	v_lshlrev_b32_e32 v7, 2, v11
	s_barrier
	s_and_saveexec_b64 s[6:7], s[0:1]
	s_cbranch_execz .LBB321_88
; %bb.87:
	ds_read_b32 v4, v7 offset:256
.LBB321_88:
	s_or_b64 exec, exec, s[6:7]
	v_xor_b32_e32 v14, 1, v2
	v_cmp_lt_i32_e64 s[6:7], v14, v3
	s_sub_i32 s3, s20, s52
	s_lshl_b32 s3, s3, 3
	v_cndmask_b32_e64 v14, v2, v14, s[6:7]
	v_lshlrev_b32_e32 v14, 2, v14
	s_waitcnt lgkmcnt(0)
	ds_bpermute_b32 v15, v14, v4
	v_max_f32_e32 v4, v4, v4
	s_add_i32 s3, s3, s51
	s_min_i32 s43, s3, s33
	s_sub_i32 s3, s43, s51
	s_waitcnt lgkmcnt(0)
	v_max_f32_e32 v15, v15, v15
	v_max_f32_e32 v4, v4, v15
	v_lshlrev_b32_e32 v15, 2, v2
	v_and_b32_e32 v15, 0x100, v15
	ds_bpermute_b32 v4, v15, v4
	v_cmp_gt_i32_e64 s[6:7], s3, v0
	v_mov_b32_e32 v16, 0
	s_and_saveexec_b64 s[12:13], s[6:7]
	s_cbranch_execz .LBB321_92
; %bb.89:
	v_mov_b32_e32 v16, 0x110
	v_lshl_add_u32 v17, v0, 2, v16
	s_mov_b64 s[18:19], 0
	v_mov_b32_e32 v16, 0
	v_mov_b32_e32 v18, v0
.LBB321_90:                             ; =>This Inner Loop Header: Depth=1
	ds_read_b32 v19, v17
	v_add_u32_e32 v18, 0x80, v18
	v_cmp_le_i32_e64 s[10:11], s3, v18
	s_or_b64 s[18:19], s[10:11], s[18:19]
	s_waitcnt lgkmcnt(0)
	v_sub_f32_e32 v19, v19, v4
	v_mul_f32_e32 v19, 0x3fb8aa3b, v19
	v_exp_f32_e32 v19, v19
	ds_write_b32 v17, v19
	v_add_f32_e32 v16, v16, v19
	v_add_u32_e32 v17, 0x200, v17
	s_andn2_b64 exec, exec, s[18:19]
	s_cbranch_execnz .LBB321_90
; %bb.91:
	s_or_b64 exec, exec, s[18:19]
.LBB321_92:
	s_or_b64 exec, exec, s[12:13]
	ds_bpermute_b32 v6, v6, v16
	s_waitcnt lgkmcnt(0)
	v_add_f32_e32 v6, v16, v6
	ds_bpermute_b32 v8, v8, v6
	s_waitcnt lgkmcnt(0)
	v_add_f32_e32 v6, v6, v8
	ds_bpermute_b32 v8, v9, v6
	v_xor_b32_e32 v9, 4, v2
	v_cmp_lt_i32_e64 s[10:11], v9, v3
	s_waitcnt lgkmcnt(0)
	v_add_f32_e32 v6, v6, v8
	v_cndmask_b32_e64 v9, v2, v9, s[10:11]
	v_lshlrev_b32_e32 v9, 2, v9
	ds_bpermute_b32 v8, v9, v6
	v_xor_b32_e32 v9, 2, v2
	v_cmp_lt_i32_e64 s[10:11], v9, v3
	s_waitcnt lgkmcnt(0)
	v_add_f32_e32 v3, v6, v8
	v_cndmask_b32_e64 v2, v2, v9, s[10:11]
	v_lshlrev_b32_e32 v2, 2, v2
	ds_bpermute_b32 v2, v2, v3
	s_waitcnt lgkmcnt(0)
	v_add_f32_e32 v2, v3, v2
	ds_bpermute_b32 v3, v14, v2
	s_waitcnt lgkmcnt(0)
	v_add_f32_e32 v2, v2, v3
	s_and_saveexec_b64 s[10:11], vcc
	s_cbranch_execz .LBB321_94
; %bb.93:
	ds_write_b32 v5, v2 offset:264
.LBB321_94:
	s_or_b64 exec, exec, s[10:11]
	s_waitcnt lgkmcnt(0)
	s_barrier
	s_and_saveexec_b64 s[10:11], s[0:1]
	s_cbranch_execz .LBB321_96
; %bb.95:
	ds_read_b32 v2, v7 offset:264
.LBB321_96:
	s_or_b64 exec, exec, s[10:11]
	s_waitcnt lgkmcnt(0)
	ds_bpermute_b32 v3, v14, v2
	s_waitcnt lgkmcnt(0)
	v_add_f32_e32 v2, v2, v3
	ds_bpermute_b32 v5, v15, v2
	s_and_saveexec_b64 s[0:1], s[6:7]
	s_cbranch_execz .LBB321_109
; %bb.97:
	s_waitcnt lgkmcnt(0)
	v_add_f32_e32 v2, 0x358637bd, v5
	v_div_scale_f32 v3, s[6:7], v2, v2, 1.0
	v_rcp_f32_e32 v6, v3
	v_div_scale_f32 v7, vcc, 1.0, v2, 1.0
	s_movk_i32 s6, 0x7f
	v_fma_f32 v8, -v3, v6, 1.0
	v_fmac_f32_e32 v6, v8, v6
	v_mul_f32_e32 v8, v7, v6
	v_fma_f32 v9, -v3, v8, v7
	v_fmac_f32_e32 v8, v9, v6
	v_fma_f32 v3, -v3, v8, v7
	v_div_fmas_f32 v3, v3, v6, v8
	v_div_fixup_f32 v2, v3, v2, 1.0
	v_xad_u32 v3, v0, -1, s43
	v_subrev_u32_e32 v6, s51, v3
	v_cmp_lt_u32_e32 vcc, s6, v6
	s_mov_b64 s[10:11], -1
	v_mov_b32_e32 v3, v0
	s_and_saveexec_b64 s[6:7], vcc
	s_cbranch_execz .LBB321_106
; %bb.98:
	v_lshrrev_b32_e32 v6, 7, v6
	v_add_u32_e32 v8, -1, v6
	v_lshrrev_b32_e32 v7, 1, v8
	v_mov_b32_e32 v3, v2
	v_add_u32_e32 v7, 1, v7
	v_cmp_lt_u32_e32 vcc, 13, v8
	v_mov_b32_e32 v14, 0
	s_and_saveexec_b64 s[10:11], vcc
	s_cbranch_execz .LBB321_102
; %bb.99:
	v_mov_b32_e32 v9, 0x110
	v_and_b32_e32 v8, -8, v7
	v_lshl_add_u32 v9, v0, 2, v9
	s_mov_b32 s18, 0
	s_mov_b64 s[12:13], 0
.LBB321_100:                            ; =>This Inner Loop Header: Depth=1
	ds_read2st64_b32 v[14:15], v9 offset1:2
	ds_read2st64_b32 v[16:17], v9 offset0:4 offset1:6
	ds_read2st64_b32 v[18:19], v9 offset0:8 offset1:10
	;; [unrolled: 1-line block ×3, first 2 shown]
	v_add_u32_e32 v8, -8, v8
	s_waitcnt lgkmcnt(3)
	v_pk_mul_f32 v[14:15], v[2:3], v[14:15]
	s_waitcnt lgkmcnt(2)
	v_pk_mul_f32 v[16:17], v[2:3], v[16:17]
	ds_write2st64_b32 v9, v14, v15 offset1:2
	ds_write2st64_b32 v9, v16, v17 offset0:4 offset1:6
	ds_read2st64_b32 v[16:17], v9 offset0:16 offset1:18
	s_waitcnt lgkmcnt(4)
	v_pk_mul_f32 v[14:15], v[2:3], v[18:19]
	ds_write2st64_b32 v9, v14, v15 offset0:8 offset1:10
	s_waitcnt lgkmcnt(4)
	v_pk_mul_f32 v[14:15], v[2:3], v[20:21]
	ds_write2st64_b32 v9, v14, v15 offset0:12 offset1:14
	ds_read2st64_b32 v[14:15], v9 offset0:20 offset1:22
	s_waitcnt lgkmcnt(3)
	v_pk_mul_f32 v[16:17], v[2:3], v[16:17]
	ds_read2st64_b32 v[18:19], v9 offset0:24 offset1:26
	ds_write2st64_b32 v9, v16, v17 offset0:16 offset1:18
	ds_read2st64_b32 v[16:17], v9 offset0:28 offset1:30
	s_waitcnt lgkmcnt(3)
	v_pk_mul_f32 v[14:15], v[2:3], v[14:15]
	ds_write2st64_b32 v9, v14, v15 offset0:20 offset1:22
	s_waitcnt lgkmcnt(3)
	v_pk_mul_f32 v[14:15], v[2:3], v[18:19]
	ds_write2st64_b32 v9, v14, v15 offset0:24 offset1:26
	s_waitcnt lgkmcnt(2)
	v_pk_mul_f32 v[14:15], v[2:3], v[16:17]
	s_add_i32 s18, s18, 16
	v_cmp_eq_u32_e32 vcc, 0, v8
	ds_write2st64_b32 v9, v14, v15 offset0:28 offset1:30
	v_add_u32_e32 v9, 0x2000, v9
	s_or_b64 s[12:13], vcc, s[12:13]
	v_mov_b32_e32 v14, s18
	s_andn2_b64 exec, exec, s[12:13]
	s_cbranch_execnz .LBB321_100
; %bb.101:
	s_or_b64 exec, exec, s[12:13]
.LBB321_102:
	s_or_b64 exec, exec, s[10:11]
	v_and_b32_e32 v7, 7, v7
	v_cmp_ne_u32_e32 vcc, 0, v7
	s_and_saveexec_b64 s[10:11], vcc
	s_cbranch_execz .LBB321_105
; %bb.103:
	v_lshlrev_b32_e32 v8, 9, v14
	v_lshlrev_b32_e32 v9, 2, v0
	s_movk_i32 s12, 0x110
	v_add3_u32 v8, v8, v9, s12
	s_mov_b64 s[12:13], 0
.LBB321_104:                            ; =>This Inner Loop Header: Depth=1
	ds_read2st64_b32 v[14:15], v8 offset1:2
	v_add_u32_e32 v7, -1, v7
	v_cmp_eq_u32_e32 vcc, 0, v7
	s_or_b64 s[12:13], vcc, s[12:13]
	s_waitcnt lgkmcnt(0)
	v_pk_mul_f32 v[14:15], v[2:3], v[14:15]
	ds_write2st64_b32 v8, v14, v15 offset1:2
	v_add_u32_e32 v8, 0x400, v8
	s_andn2_b64 exec, exec, s[12:13]
	s_cbranch_execnz .LBB321_104
.LBB321_105:
	s_or_b64 exec, exec, s[10:11]
	v_add_u32_e32 v6, 1, v6
	v_and_b32_e32 v7, 0x3fffffe, v6
	v_cmp_ne_u32_e32 vcc, v6, v7
	v_lshl_add_u32 v3, v7, 7, v0
	s_orn2_b64 s[10:11], vcc, exec
.LBB321_106:
	s_or_b64 exec, exec, s[6:7]
	s_and_b64 exec, exec, s[10:11]
	s_cbranch_execz .LBB321_109
; %bb.107:
	v_mov_b32_e32 v6, 0x110
	v_lshl_add_u32 v6, v3, 2, v6
	s_mov_b64 s[6:7], 0
.LBB321_108:                            ; =>This Inner Loop Header: Depth=1
	ds_read_b32 v7, v6
	v_add_u32_e32 v3, 0x80, v3
	v_cmp_le_i32_e32 vcc, s3, v3
	s_or_b64 s[6:7], vcc, s[6:7]
	s_waitcnt lgkmcnt(0)
	v_mul_f32_e32 v7, v2, v7
	ds_write_b32 v6, v7
	v_add_u32_e32 v6, 0x200, v6
	s_andn2_b64 exec, exec, s[6:7]
	s_cbranch_execnz .LBB321_108
.LBB321_109:
	s_or_b64 exec, exec, s[0:1]
	s_mul_i32 s0, s16, s34
	v_cmp_eq_u32_e32 vcc, 0, v0
	s_mul_i32 s6, s0, s5
	s_waitcnt lgkmcnt(0)
	s_barrier
	s_and_saveexec_b64 s[0:1], vcc
	s_cbranch_execz .LBB321_111
; %bb.110:
	s_ashr_i32 s7, s6, 31
	s_lshl_b64 s[10:11], s[6:7], 2
	s_add_u32 s5, s26, s10
	s_mul_i32 s2, s16, s2
	s_addc_u32 s7, s27, s11
	s_ashr_i32 s3, s2, 31
	s_lshl_b64 s[2:3], s[2:3], 2
	s_add_u32 s18, s5, s2
	s_addc_u32 s7, s7, s3
	s_ashr_i32 s5, s4, 31
	s_lshl_b64 s[12:13], s[4:5], 2
	s_add_u32 s18, s18, s12
	s_addc_u32 s19, s7, s13
	s_add_u32 s5, s24, s10
	s_addc_u32 s7, s25, s11
	;; [unrolled: 2-line block ×3, first 2 shown]
	s_add_u32 s2, s2, s12
	v_mov_b32_e32 v2, 0
	s_addc_u32 s3, s3, s13
	global_store_dword v2, v4, s[18:19]
	global_store_dword v2, v5, s[2:3]
.LBB321_111:
	s_or_b64 exec, exec, s[0:1]
	v_mov_b32_e32 v15, 0
	v_mov_b32_e32 v14, v15
	s_and_saveexec_b64 s[2:3], s[8:9]
	s_cbranch_execz .LBB321_281
; %bb.112:
	s_sub_i32 s5, s49, s21
	s_ashr_i32 s1, s50, 31
	s_add_u32 s0, s40, s50
	s_addc_u32 s1, s41, s1
	s_abs_i32 s7, s22
	v_cvt_f32_u32_e32 v2, s7
	s_sub_i32 s10, 0, s7
	v_lshlrev_b32_e32 v16, 3, v11
	v_mov_b32_e32 v17, 0
	v_rcp_iflag_f32_e32 v2, v2
	s_add_i32 s18, s48, -1
	s_lshl_b64 s[8:9], s[38:39], 2
	v_lshl_add_u64 v[18:19], s[0:1], 0, v[16:17]
	v_mul_f32_e32 v2, 0x4f7ffffe, v2
	v_cvt_u32_f32_e32 v2, v2
	s_add_u32 s0, s36, s8
	s_addc_u32 s1, s37, s9
	v_lshl_add_u64 v[20:21], v[12:13], 2, s[0:1]
	v_mul_lo_u32 v3, s10, v2
	v_mul_hi_u32 v3, v2, v3
	v_add_u32_e32 v16, v2, v3
	v_mov_b32_e32 v2, 0x110
	v_lshl_add_u32 v13, v22, 5, v2
	s_mov_b64 s[8:9], 0
	s_mov_b32 s19, 0x7f800000
	s_movk_i32 s21, 0x7fff
	v_mov_b32_e32 v22, 0
	v_mov_b32_e32 v15, 0
	s_branch .LBB321_115
.LBB321_113:                            ;   in Loop: Header=BB321_115 Depth=1
	s_or_b64 exec, exec, s[0:1]
	v_and_b32_e32 v31, 0xffff0000, v30
	v_and_b32_e32 v30, 0xffff0000, v9
	;; [unrolled: 1-line block ×7, first 2 shown]
	v_pk_add_f32 v[6:7], v[8:9], v[30:31]
	v_and_b32_e32 v9, 0xffff0000, v3
	v_and_b32_e32 v8, 0xffff0000, v27
	;; [unrolled: 1-line block ×7, first 2 shown]
	v_pk_add_f32 v[2:3], v[2:3], v[28:29]
	v_and_b32_e32 v26, 0xffff0000, v26
	v_mov_b32_e32 v14, v3
	v_pk_add_f32 v[2:3], v[2:3], v[14:15]
	v_pk_add_f32 v[8:9], v[26:27], v[8:9]
	v_and_b32_e32 v4, 0xffff0000, v4
	v_pk_add_f32 v[2:3], v[2:3], v[8:9]
	v_mov_b32_e32 v8, v9
	v_pk_add_f32 v[2:3], v[2:3], v[8:9]
	v_pk_add_f32 v[4:5], v[4:5], v[32:33]
	v_mov_b32_e32 v3, v2
	v_pk_add_f32 v[14:15], v[14:15], v[2:3]
	v_add_f32_e32 v2, v4, v5
	v_add_f32_e32 v2, v2, v6
	;; [unrolled: 1-line block ×4, first 2 shown]
.LBB321_114:                            ;   in Loop: Header=BB321_115 Depth=1
	s_or_b64 exec, exec, s[10:11]
	v_add_u32_e32 v12, 2, v12
	v_cmp_le_i32_e32 vcc, s20, v12
	v_lshl_add_u64 v[20:21], v[20:21], 0, 8
	v_add_u32_e32 v1, 16, v1
	s_or_b64 s[8:9], vcc, s[8:9]
	v_add_u32_e32 v13, 64, v13
	s_andn2_b64 exec, exec, s[8:9]
	s_cbranch_execz .LBB321_280
.LBB321_115:                            ; =>This Inner Loop Header: Depth=1
	v_sub_u32_e32 v3, 0, v1
	v_max_i32_e32 v3, v1, v3
	v_mul_hi_u32 v4, v3, s35
	v_mul_lo_u32 v5, v4, s29
	v_sub_u32_e32 v3, v3, v5
	v_add_u32_e32 v5, 1, v4
	v_cmp_le_u32_e32 vcc, s29, v3
	v_ashrrev_i32_e32 v2, 31, v1
	v_xor_b32_e32 v2, s23, v2
	v_cndmask_b32_e32 v4, v4, v5, vcc
	v_subrev_u32_e32 v5, s29, v3
	v_cndmask_b32_e32 v3, v3, v5, vcc
	v_add_u32_e32 v5, 1, v4
	v_cmp_le_u32_e32 vcc, s29, v3
	s_nop 1
	v_cndmask_b32_e32 v3, v4, v5, vcc
	v_xor_b32_e32 v3, v3, v2
	v_sub_u32_e32 v2, v3, v2
	v_add_u32_e32 v3, s42, v2
	v_sub_u32_e32 v5, 0, v3
	v_ashrrev_i32_e32 v4, 31, v3
	v_max_i32_e32 v3, v3, v5
	v_mul_hi_u32 v5, v3, v16
	v_mul_lo_u32 v5, v5, s7
	v_sub_u32_e32 v3, v3, v5
	v_subrev_u32_e32 v5, s7, v3
	v_cmp_le_u32_e32 vcc, s7, v3
	v_cmp_lt_i32_e64 s[0:1], s5, v2
	s_nop 0
	v_cndmask_b32_e32 v3, v3, v5, vcc
	v_subrev_u32_e32 v5, s7, v3
	v_cmp_le_u32_e32 vcc, s7, v3
	s_nop 1
	v_cndmask_b32_e32 v3, v3, v5, vcc
	v_xor_b32_e32 v3, v3, v4
	v_sub_u32_e32 v3, v3, v4
	v_cmp_eq_u32_e32 vcc, 0, v3
	s_or_b64 s[0:1], vcc, s[0:1]
	s_and_saveexec_b64 s[10:11], s[0:1]
	s_cbranch_execz .LBB321_114
; %bb.116:                              ;   in Loop: Header=BB321_115 Depth=1
	global_load_dword v23, v[20:21], off
	ds_read2_b64 v[6:9], v13 offset1:1
	ds_read2_b64 v[2:5], v13 offset0:2 offset1:3
                                        ; implicit-def: $vgpr31
	s_waitcnt lgkmcnt(1)
	v_and_b32_e32 v14, 0x7f800000, v6
	v_cmp_ne_u32_e32 vcc, s19, v14
	s_and_saveexec_b64 s[0:1], vcc
	s_xor_b64 s[0:1], exec, s[0:1]
; %bb.117:                              ;   in Loop: Header=BB321_115 Depth=1
	v_bfe_u32 v14, v6, 16, 1
	v_add3_u32 v31, v6, v14, s21
; %bb.118:                              ;   in Loop: Header=BB321_115 Depth=1
	s_andn2_saveexec_b64 s[0:1], s[0:1]
; %bb.119:                              ;   in Loop: Header=BB321_115 Depth=1
	v_or_b32_e32 v14, 0x10000, v6
	v_cmp_eq_u32_sdwa vcc, v6, v17 src0_sel:WORD_0 src1_sel:DWORD
	s_nop 1
	v_cndmask_b32_e32 v31, v14, v6, vcc
; %bb.120:                              ;   in Loop: Header=BB321_115 Depth=1
	s_or_b64 exec, exec, s[0:1]
	v_and_b32_e32 v6, 0x7f800000, v7
	v_cmp_ne_u32_e32 vcc, s19, v6
                                        ; implicit-def: $vgpr32
	s_and_saveexec_b64 s[0:1], vcc
	s_xor_b64 s[0:1], exec, s[0:1]
; %bb.121:                              ;   in Loop: Header=BB321_115 Depth=1
	v_bfe_u32 v6, v7, 16, 1
	v_add3_u32 v32, v7, v6, s21
; %bb.122:                              ;   in Loop: Header=BB321_115 Depth=1
	s_andn2_saveexec_b64 s[0:1], s[0:1]
; %bb.123:                              ;   in Loop: Header=BB321_115 Depth=1
	v_or_b32_e32 v6, 0x10000, v7
	v_cmp_eq_u32_sdwa vcc, v7, v17 src0_sel:WORD_0 src1_sel:DWORD
	s_nop 1
	v_cndmask_b32_e32 v32, v6, v7, vcc
; %bb.124:                              ;   in Loop: Header=BB321_115 Depth=1
	s_or_b64 exec, exec, s[0:1]
	v_and_b32_e32 v6, 0x7f800000, v8
	v_cmp_ne_u32_e32 vcc, s19, v6
                                        ; implicit-def: $vgpr33
	s_and_saveexec_b64 s[0:1], vcc
	s_xor_b64 s[0:1], exec, s[0:1]
; %bb.125:                              ;   in Loop: Header=BB321_115 Depth=1
	v_bfe_u32 v6, v8, 16, 1
	v_add3_u32 v33, v8, v6, s21
; %bb.126:                              ;   in Loop: Header=BB321_115 Depth=1
	s_andn2_saveexec_b64 s[0:1], s[0:1]
; %bb.127:                              ;   in Loop: Header=BB321_115 Depth=1
	v_or_b32_e32 v6, 0x10000, v8
	v_cmp_eq_u32_sdwa vcc, v8, v17 src0_sel:WORD_0 src1_sel:DWORD
	s_nop 1
	v_cndmask_b32_e32 v33, v6, v8, vcc
; %bb.128:                              ;   in Loop: Header=BB321_115 Depth=1
	s_or_b64 exec, exec, s[0:1]
	v_and_b32_e32 v6, 0x7f800000, v9
	v_cmp_ne_u32_e32 vcc, s19, v6
                                        ; implicit-def: $vgpr34
	s_and_saveexec_b64 s[0:1], vcc
	s_xor_b64 s[0:1], exec, s[0:1]
; %bb.129:                              ;   in Loop: Header=BB321_115 Depth=1
	v_bfe_u32 v6, v9, 16, 1
	v_add3_u32 v34, v9, v6, s21
                                        ; implicit-def: $vgpr6_vgpr7_vgpr8_vgpr9
; %bb.130:                              ;   in Loop: Header=BB321_115 Depth=1
	s_andn2_saveexec_b64 s[0:1], s[0:1]
; %bb.131:                              ;   in Loop: Header=BB321_115 Depth=1
	v_or_b32_e32 v6, 0x10000, v9
	v_cmp_eq_u32_sdwa vcc, v9, v17 src0_sel:WORD_0 src1_sel:DWORD
	s_nop 1
	v_cndmask_b32_e32 v34, v6, v9, vcc
; %bb.132:                              ;   in Loop: Header=BB321_115 Depth=1
	s_or_b64 exec, exec, s[0:1]
	s_waitcnt lgkmcnt(0)
	v_and_b32_e32 v6, 0x7f800000, v2
	v_cmp_ne_u32_e32 vcc, s19, v6
                                        ; implicit-def: $vgpr8
	s_and_saveexec_b64 s[0:1], vcc
	s_xor_b64 s[0:1], exec, s[0:1]
; %bb.133:                              ;   in Loop: Header=BB321_115 Depth=1
	v_bfe_u32 v6, v2, 16, 1
	v_add3_u32 v8, v2, v6, s21
; %bb.134:                              ;   in Loop: Header=BB321_115 Depth=1
	s_andn2_saveexec_b64 s[0:1], s[0:1]
; %bb.135:                              ;   in Loop: Header=BB321_115 Depth=1
	v_or_b32_e32 v6, 0x10000, v2
	v_cmp_eq_u32_sdwa vcc, v2, v17 src0_sel:WORD_0 src1_sel:DWORD
	s_nop 1
	v_cndmask_b32_e32 v8, v6, v2, vcc
; %bb.136:                              ;   in Loop: Header=BB321_115 Depth=1
	s_or_b64 exec, exec, s[0:1]
	v_and_b32_e32 v2, 0x7f800000, v3
	v_cmp_ne_u32_e32 vcc, s19, v2
                                        ; implicit-def: $vgpr9
	s_and_saveexec_b64 s[0:1], vcc
	s_xor_b64 s[0:1], exec, s[0:1]
; %bb.137:                              ;   in Loop: Header=BB321_115 Depth=1
	v_bfe_u32 v2, v3, 16, 1
	v_add3_u32 v9, v3, v2, s21
; %bb.138:                              ;   in Loop: Header=BB321_115 Depth=1
	s_andn2_saveexec_b64 s[0:1], s[0:1]
; %bb.139:                              ;   in Loop: Header=BB321_115 Depth=1
	v_or_b32_e32 v2, 0x10000, v3
	v_cmp_eq_u32_sdwa vcc, v3, v17 src0_sel:WORD_0 src1_sel:DWORD
	s_nop 1
	v_cndmask_b32_e32 v9, v2, v3, vcc
; %bb.140:                              ;   in Loop: Header=BB321_115 Depth=1
	s_or_b64 exec, exec, s[0:1]
	v_and_b32_e32 v2, 0x7f800000, v4
	v_cmp_ne_u32_e32 vcc, s19, v2
                                        ; implicit-def: $vgpr14
	s_and_saveexec_b64 s[0:1], vcc
	s_xor_b64 s[0:1], exec, s[0:1]
; %bb.141:                              ;   in Loop: Header=BB321_115 Depth=1
	v_bfe_u32 v2, v4, 16, 1
	v_add3_u32 v14, v4, v2, s21
; %bb.142:                              ;   in Loop: Header=BB321_115 Depth=1
	s_andn2_saveexec_b64 s[0:1], s[0:1]
; %bb.143:                              ;   in Loop: Header=BB321_115 Depth=1
	v_or_b32_e32 v2, 0x10000, v4
	v_cmp_eq_u32_sdwa vcc, v4, v17 src0_sel:WORD_0 src1_sel:DWORD
	s_nop 1
	v_cndmask_b32_e32 v14, v2, v4, vcc
; %bb.144:                              ;   in Loop: Header=BB321_115 Depth=1
	s_or_b64 exec, exec, s[0:1]
	v_and_b32_e32 v2, 0x7f800000, v5
	v_cmp_ne_u32_e32 vcc, s19, v2
                                        ; implicit-def: $vgpr30
	s_and_saveexec_b64 s[0:1], vcc
	s_xor_b64 s[0:1], exec, s[0:1]
; %bb.145:                              ;   in Loop: Header=BB321_115 Depth=1
	v_bfe_u32 v2, v5, 16, 1
	v_add3_u32 v30, v5, v2, s21
                                        ; implicit-def: $vgpr2_vgpr3_vgpr4_vgpr5
; %bb.146:                              ;   in Loop: Header=BB321_115 Depth=1
	s_andn2_saveexec_b64 s[0:1], s[0:1]
; %bb.147:                              ;   in Loop: Header=BB321_115 Depth=1
	v_or_b32_e32 v2, 0x10000, v5
	v_cmp_eq_u32_sdwa vcc, v5, v17 src0_sel:WORD_0 src1_sel:DWORD
	s_nop 1
	v_cndmask_b32_e32 v30, v2, v5, vcc
; %bb.148:                              ;   in Loop: Header=BB321_115 Depth=1
	s_or_b64 exec, exec, s[0:1]
	s_waitcnt vmcnt(0)
	v_mad_i64_i32 v[2:3], s[0:1], v23, s17, v[18:19]
	global_load_dwordx2 v[4:5], v[2:3], off
	s_load_dword s22, s[14:15], 0x0
	s_waitcnt vmcnt(0)
	v_and_b32_e32 v6, 0xff, v4
	v_cvt_f32_fp8_sdwa v6, v6 src0_sel:BYTE_0
	s_waitcnt lgkmcnt(0)
	v_mul_f32_e32 v7, s22, v6
	v_and_b32_e32 v6, 0x7f800000, v7
	v_cmp_ne_u32_e32 vcc, s19, v6
                                        ; implicit-def: $vgpr6
	s_and_saveexec_b64 s[0:1], vcc
	s_xor_b64 s[0:1], exec, s[0:1]
; %bb.149:                              ;   in Loop: Header=BB321_115 Depth=1
	v_bfe_u32 v6, v7, 16, 1
	v_add3_u32 v6, v7, v6, s21
                                        ; implicit-def: $vgpr7
; %bb.150:                              ;   in Loop: Header=BB321_115 Depth=1
	s_andn2_saveexec_b64 s[0:1], s[0:1]
; %bb.151:                              ;   in Loop: Header=BB321_115 Depth=1
	v_or_b32_e32 v6, 0x10000, v7
	v_cmp_eq_u32_sdwa vcc, v7, v17 src0_sel:WORD_0 src1_sel:DWORD
	s_nop 1
	v_cndmask_b32_e32 v6, v6, v7, vcc
; %bb.152:                              ;   in Loop: Header=BB321_115 Depth=1
	s_or_b64 exec, exec, s[0:1]
	v_bfe_u32 v7, v4, 8, 8
	v_cvt_f32_fp8_sdwa v7, v7 src0_sel:BYTE_0
	s_nop 0
	v_mul_f32_e32 v23, s22, v7
	v_and_b32_e32 v7, 0x7f800000, v23
	v_cmp_ne_u32_e32 vcc, s19, v7
                                        ; implicit-def: $vgpr7
	s_and_saveexec_b64 s[0:1], vcc
	s_xor_b64 s[0:1], exec, s[0:1]
; %bb.153:                              ;   in Loop: Header=BB321_115 Depth=1
	v_bfe_u32 v7, v23, 16, 1
	v_add3_u32 v7, v23, v7, s21
                                        ; implicit-def: $vgpr23
; %bb.154:                              ;   in Loop: Header=BB321_115 Depth=1
	s_andn2_saveexec_b64 s[0:1], s[0:1]
; %bb.155:                              ;   in Loop: Header=BB321_115 Depth=1
	v_or_b32_e32 v7, 0x10000, v23
	v_cmp_eq_u32_sdwa vcc, v23, v17 src0_sel:WORD_0 src1_sel:DWORD
	s_nop 1
	v_cndmask_b32_e32 v7, v7, v23, vcc
; %bb.156:                              ;   in Loop: Header=BB321_115 Depth=1
	s_or_b64 exec, exec, s[0:1]
	v_bfe_u32 v23, v4, 16, 8
	v_cvt_f32_fp8_sdwa v23, v23 src0_sel:BYTE_0
	s_nop 0
	v_mul_f32_e32 v24, s22, v23
	v_and_b32_e32 v23, 0x7f800000, v24
	v_cmp_ne_u32_e32 vcc, s19, v23
                                        ; implicit-def: $vgpr23
	s_and_saveexec_b64 s[0:1], vcc
	s_xor_b64 s[0:1], exec, s[0:1]
; %bb.157:                              ;   in Loop: Header=BB321_115 Depth=1
	v_bfe_u32 v23, v24, 16, 1
	v_add3_u32 v23, v24, v23, s21
                                        ; implicit-def: $vgpr24
; %bb.158:                              ;   in Loop: Header=BB321_115 Depth=1
	s_andn2_saveexec_b64 s[0:1], s[0:1]
; %bb.159:                              ;   in Loop: Header=BB321_115 Depth=1
	v_or_b32_e32 v23, 0x10000, v24
	v_cmp_eq_u32_sdwa vcc, v24, v17 src0_sel:WORD_0 src1_sel:DWORD
	s_nop 1
	v_cndmask_b32_e32 v23, v23, v24, vcc
; %bb.160:                              ;   in Loop: Header=BB321_115 Depth=1
	s_or_b64 exec, exec, s[0:1]
	v_lshrrev_b32_e32 v4, 24, v4
	v_cvt_f32_fp8_sdwa v4, v4 src0_sel:BYTE_0
	s_nop 0
	v_mul_f32_e32 v24, s22, v4
	v_and_b32_e32 v4, 0x7f800000, v24
	v_cmp_ne_u32_e32 vcc, s19, v4
                                        ; implicit-def: $vgpr4
	s_and_saveexec_b64 s[0:1], vcc
	s_xor_b64 s[0:1], exec, s[0:1]
; %bb.161:                              ;   in Loop: Header=BB321_115 Depth=1
	v_bfe_u32 v4, v24, 16, 1
	v_add3_u32 v4, v24, v4, s21
                                        ; implicit-def: $vgpr24
; %bb.162:                              ;   in Loop: Header=BB321_115 Depth=1
	s_andn2_saveexec_b64 s[0:1], s[0:1]
; %bb.163:                              ;   in Loop: Header=BB321_115 Depth=1
	v_or_b32_e32 v4, 0x10000, v24
	v_cmp_eq_u32_sdwa vcc, v24, v17 src0_sel:WORD_0 src1_sel:DWORD
	s_nop 1
	v_cndmask_b32_e32 v4, v4, v24, vcc
; %bb.164:                              ;   in Loop: Header=BB321_115 Depth=1
	s_or_b64 exec, exec, s[0:1]
	v_and_b32_e32 v24, 0xff, v5
	v_cvt_f32_fp8_sdwa v24, v24 src0_sel:BYTE_0
	s_nop 0
	v_mul_f32_e32 v25, s22, v24
	v_and_b32_e32 v24, 0x7f800000, v25
	v_cmp_ne_u32_e32 vcc, s19, v24
                                        ; implicit-def: $vgpr24
	s_and_saveexec_b64 s[0:1], vcc
	s_xor_b64 s[0:1], exec, s[0:1]
; %bb.165:                              ;   in Loop: Header=BB321_115 Depth=1
	v_bfe_u32 v24, v25, 16, 1
	v_add3_u32 v24, v25, v24, s21
                                        ; implicit-def: $vgpr25
; %bb.166:                              ;   in Loop: Header=BB321_115 Depth=1
	s_andn2_saveexec_b64 s[0:1], s[0:1]
; %bb.167:                              ;   in Loop: Header=BB321_115 Depth=1
	v_or_b32_e32 v24, 0x10000, v25
	v_cmp_eq_u32_sdwa vcc, v25, v17 src0_sel:WORD_0 src1_sel:DWORD
	s_nop 1
	v_cndmask_b32_e32 v24, v24, v25, vcc
; %bb.168:                              ;   in Loop: Header=BB321_115 Depth=1
	s_or_b64 exec, exec, s[0:1]
	v_bfe_u32 v25, v5, 8, 8
	v_cvt_f32_fp8_sdwa v25, v25 src0_sel:BYTE_0
	s_nop 0
	v_mul_f32_e32 v26, s22, v25
	v_and_b32_e32 v25, 0x7f800000, v26
	v_cmp_ne_u32_e32 vcc, s19, v25
                                        ; implicit-def: $vgpr25
	s_and_saveexec_b64 s[0:1], vcc
	s_xor_b64 s[0:1], exec, s[0:1]
; %bb.169:                              ;   in Loop: Header=BB321_115 Depth=1
	v_bfe_u32 v25, v26, 16, 1
	v_add3_u32 v25, v26, v25, s21
                                        ; implicit-def: $vgpr26
; %bb.170:                              ;   in Loop: Header=BB321_115 Depth=1
	s_andn2_saveexec_b64 s[0:1], s[0:1]
; %bb.171:                              ;   in Loop: Header=BB321_115 Depth=1
	v_or_b32_e32 v25, 0x10000, v26
	v_cmp_eq_u32_sdwa vcc, v26, v17 src0_sel:WORD_0 src1_sel:DWORD
	s_nop 1
	v_cndmask_b32_e32 v25, v25, v26, vcc
; %bb.172:                              ;   in Loop: Header=BB321_115 Depth=1
	s_or_b64 exec, exec, s[0:1]
	v_bfe_u32 v26, v5, 16, 8
	v_cvt_f32_fp8_sdwa v26, v26 src0_sel:BYTE_0
	s_nop 0
	v_mul_f32_e32 v27, s22, v26
	v_and_b32_e32 v26, 0x7f800000, v27
	v_cmp_ne_u32_e32 vcc, s19, v26
                                        ; implicit-def: $vgpr26
	s_and_saveexec_b64 s[0:1], vcc
	s_xor_b64 s[0:1], exec, s[0:1]
; %bb.173:                              ;   in Loop: Header=BB321_115 Depth=1
	v_bfe_u32 v26, v27, 16, 1
	v_add3_u32 v26, v27, v26, s21
                                        ; implicit-def: $vgpr27
; %bb.174:                              ;   in Loop: Header=BB321_115 Depth=1
	s_andn2_saveexec_b64 s[0:1], s[0:1]
; %bb.175:                              ;   in Loop: Header=BB321_115 Depth=1
	v_or_b32_e32 v26, 0x10000, v27
	v_cmp_eq_u32_sdwa vcc, v27, v17 src0_sel:WORD_0 src1_sel:DWORD
	s_nop 1
	v_cndmask_b32_e32 v26, v26, v27, vcc
; %bb.176:                              ;   in Loop: Header=BB321_115 Depth=1
	s_or_b64 exec, exec, s[0:1]
	v_lshrrev_b32_e32 v5, 24, v5
	v_cvt_f32_fp8_sdwa v5, v5 src0_sel:BYTE_0
	s_nop 0
	v_mul_f32_e32 v5, s22, v5
	v_and_b32_e32 v27, 0x7f800000, v5
	v_cmp_ne_u32_e32 vcc, s19, v27
                                        ; implicit-def: $vgpr27
	s_and_saveexec_b64 s[0:1], vcc
	s_xor_b64 s[0:1], exec, s[0:1]
; %bb.177:                              ;   in Loop: Header=BB321_115 Depth=1
	v_bfe_u32 v27, v5, 16, 1
	v_add3_u32 v27, v5, v27, s21
                                        ; implicit-def: $vgpr5
; %bb.178:                              ;   in Loop: Header=BB321_115 Depth=1
	s_andn2_saveexec_b64 s[0:1], s[0:1]
; %bb.179:                              ;   in Loop: Header=BB321_115 Depth=1
	v_or_b32_e32 v27, 0x10000, v5
	v_cmp_eq_u32_sdwa vcc, v5, v17 src0_sel:WORD_0 src1_sel:DWORD
	s_nop 1
	v_cndmask_b32_e32 v27, v27, v5, vcc
; %bb.180:                              ;   in Loop: Header=BB321_115 Depth=1
	s_or_b64 exec, exec, s[0:1]
	v_cmp_eq_u32_e32 vcc, s18, v12
	v_lshrrev_b32_e32 v37, 16, v25
	v_lshrrev_b32_e32 v36, 16, v24
	v_lshrrev_b32_e32 v35, 16, v4
	v_lshrrev_b32_e32 v40, 16, v23
	v_lshrrev_b32_e32 v5, 16, v7
	v_lshrrev_b32_e32 v4, 16, v6
	v_lshrrev_b32_e32 v38, 16, v26
	v_lshrrev_b32_e32 v39, 16, v27
	v_add_u32_e32 v29, 1, v1
	v_add_u32_e32 v28, 2, v1
	v_add_u32_e32 v27, 3, v1
	v_add_u32_e32 v26, 4, v1
	v_add_u32_e32 v25, 5, v1
	v_add_u32_e32 v24, 6, v1
	v_add_u32_e32 v23, 7, v1
	s_and_saveexec_b64 s[12:13], vcc
	s_cbranch_execz .LBB321_182
; %bb.181:                              ;   in Loop: Header=BB321_115 Depth=1
	v_cmp_gt_i32_e64 s[0:1], s33, v1
	s_nop 1
	v_cndmask_b32_e64 v4, 0, v4, s[0:1]
	v_cmp_gt_i32_e64 s[0:1], s33, v29
	s_nop 1
	v_cndmask_b32_e64 v5, 0, v5, s[0:1]
	;; [unrolled: 3-line block ×8, first 2 shown]
.LBB321_182:                            ;   in Loop: Header=BB321_115 Depth=1
	s_or_b64 exec, exec, s[12:13]
	v_and_b32_e32 v31, 0xffff0000, v31
	v_lshlrev_b32_e32 v4, 16, v4
	v_mul_f32_e32 v6, v31, v4
	v_and_b32_e32 v4, 0x7f800000, v6
	v_cmp_ne_u32_e64 s[0:1], s19, v4
                                        ; implicit-def: $vgpr4
	s_and_saveexec_b64 s[12:13], s[0:1]
	s_xor_b64 s[0:1], exec, s[12:13]
; %bb.183:                              ;   in Loop: Header=BB321_115 Depth=1
	v_bfe_u32 v4, v6, 16, 1
	v_add3_u32 v4, v6, v4, s21
                                        ; implicit-def: $vgpr6
; %bb.184:                              ;   in Loop: Header=BB321_115 Depth=1
	s_andn2_saveexec_b64 s[12:13], s[0:1]
; %bb.185:                              ;   in Loop: Header=BB321_115 Depth=1
	v_or_b32_e32 v4, 0x10000, v6
	v_cmp_eq_u32_sdwa s[0:1], v6, v17 src0_sel:WORD_0 src1_sel:DWORD
	s_nop 1
	v_cndmask_b32_e64 v4, v4, v6, s[0:1]
; %bb.186:                              ;   in Loop: Header=BB321_115 Depth=1
	s_or_b64 exec, exec, s[12:13]
	v_and_b32_e32 v32, 0xffff0000, v32
	v_lshlrev_b32_e32 v5, 16, v5
	v_mul_f32_e32 v6, v32, v5
	v_and_b32_e32 v5, 0x7f800000, v6
	v_cmp_ne_u32_e64 s[0:1], s19, v5
                                        ; implicit-def: $vgpr5
	s_and_saveexec_b64 s[12:13], s[0:1]
	s_xor_b64 s[0:1], exec, s[12:13]
; %bb.187:                              ;   in Loop: Header=BB321_115 Depth=1
	v_bfe_u32 v5, v6, 16, 1
	v_add3_u32 v5, v6, v5, s21
                                        ; implicit-def: $vgpr6
; %bb.188:                              ;   in Loop: Header=BB321_115 Depth=1
	s_andn2_saveexec_b64 s[12:13], s[0:1]
; %bb.189:                              ;   in Loop: Header=BB321_115 Depth=1
	v_or_b32_e32 v5, 0x10000, v6
	v_cmp_eq_u32_sdwa s[0:1], v6, v17 src0_sel:WORD_0 src1_sel:DWORD
	s_nop 1
	v_cndmask_b32_e64 v5, v5, v6, s[0:1]
; %bb.190:                              ;   in Loop: Header=BB321_115 Depth=1
	s_or_b64 exec, exec, s[12:13]
	v_and_b32_e32 v33, 0xffff0000, v33
	v_lshlrev_b32_e32 v6, 16, v40
	v_mul_f32_e32 v7, v33, v6
	v_and_b32_e32 v6, 0x7f800000, v7
	v_cmp_ne_u32_e64 s[0:1], s19, v6
                                        ; implicit-def: $vgpr6
	s_and_saveexec_b64 s[12:13], s[0:1]
	s_xor_b64 s[0:1], exec, s[12:13]
; %bb.191:                              ;   in Loop: Header=BB321_115 Depth=1
	v_bfe_u32 v6, v7, 16, 1
	v_add3_u32 v6, v7, v6, s21
                                        ; implicit-def: $vgpr7
; %bb.192:                              ;   in Loop: Header=BB321_115 Depth=1
	s_andn2_saveexec_b64 s[12:13], s[0:1]
; %bb.193:                              ;   in Loop: Header=BB321_115 Depth=1
	v_or_b32_e32 v6, 0x10000, v7
	v_cmp_eq_u32_sdwa s[0:1], v7, v17 src0_sel:WORD_0 src1_sel:DWORD
	s_nop 1
	v_cndmask_b32_e64 v6, v6, v7, s[0:1]
; %bb.194:                              ;   in Loop: Header=BB321_115 Depth=1
	s_or_b64 exec, exec, s[12:13]
	v_and_b32_e32 v34, 0xffff0000, v34
	v_lshlrev_b32_e32 v7, 16, v35
	v_mul_f32_e32 v35, v34, v7
	v_and_b32_e32 v7, 0x7f800000, v35
	v_cmp_ne_u32_e64 s[0:1], s19, v7
                                        ; implicit-def: $vgpr7
	s_and_saveexec_b64 s[12:13], s[0:1]
	s_xor_b64 s[0:1], exec, s[12:13]
; %bb.195:                              ;   in Loop: Header=BB321_115 Depth=1
	v_bfe_u32 v7, v35, 16, 1
	v_add3_u32 v7, v35, v7, s21
                                        ; implicit-def: $vgpr35
; %bb.196:                              ;   in Loop: Header=BB321_115 Depth=1
	s_andn2_saveexec_b64 s[12:13], s[0:1]
; %bb.197:                              ;   in Loop: Header=BB321_115 Depth=1
	v_or_b32_e32 v7, 0x10000, v35
	v_cmp_eq_u32_sdwa s[0:1], v35, v17 src0_sel:WORD_0 src1_sel:DWORD
	s_nop 1
	v_cndmask_b32_e64 v7, v7, v35, s[0:1]
; %bb.198:                              ;   in Loop: Header=BB321_115 Depth=1
	s_or_b64 exec, exec, s[12:13]
	v_and_b32_e32 v35, 0xffff0000, v8
	v_lshlrev_b32_e32 v8, 16, v36
	v_mul_f32_e32 v36, v35, v8
	v_and_b32_e32 v8, 0x7f800000, v36
	v_cmp_ne_u32_e64 s[0:1], s19, v8
                                        ; implicit-def: $vgpr8
	s_and_saveexec_b64 s[12:13], s[0:1]
	s_xor_b64 s[0:1], exec, s[12:13]
; %bb.199:                              ;   in Loop: Header=BB321_115 Depth=1
	v_bfe_u32 v8, v36, 16, 1
	v_add3_u32 v8, v36, v8, s21
                                        ; implicit-def: $vgpr36
; %bb.200:                              ;   in Loop: Header=BB321_115 Depth=1
	s_andn2_saveexec_b64 s[12:13], s[0:1]
; %bb.201:                              ;   in Loop: Header=BB321_115 Depth=1
	v_or_b32_e32 v8, 0x10000, v36
	v_cmp_eq_u32_sdwa s[0:1], v36, v17 src0_sel:WORD_0 src1_sel:DWORD
	s_nop 1
	v_cndmask_b32_e64 v8, v8, v36, s[0:1]
; %bb.202:                              ;   in Loop: Header=BB321_115 Depth=1
	s_or_b64 exec, exec, s[12:13]
	v_and_b32_e32 v36, 0xffff0000, v9
	v_lshlrev_b32_e32 v9, 16, v37
	v_mul_f32_e32 v37, v36, v9
	v_and_b32_e32 v9, 0x7f800000, v37
	v_cmp_ne_u32_e64 s[0:1], s19, v9
                                        ; implicit-def: $vgpr9
	s_and_saveexec_b64 s[12:13], s[0:1]
	s_xor_b64 s[0:1], exec, s[12:13]
; %bb.203:                              ;   in Loop: Header=BB321_115 Depth=1
	v_bfe_u32 v9, v37, 16, 1
	v_add3_u32 v9, v37, v9, s21
                                        ; implicit-def: $vgpr37
; %bb.204:                              ;   in Loop: Header=BB321_115 Depth=1
	s_andn2_saveexec_b64 s[12:13], s[0:1]
; %bb.205:                              ;   in Loop: Header=BB321_115 Depth=1
	v_or_b32_e32 v9, 0x10000, v37
	v_cmp_eq_u32_sdwa s[0:1], v37, v17 src0_sel:WORD_0 src1_sel:DWORD
	s_nop 1
	v_cndmask_b32_e64 v9, v9, v37, s[0:1]
; %bb.206:                              ;   in Loop: Header=BB321_115 Depth=1
	s_or_b64 exec, exec, s[12:13]
	v_and_b32_e32 v37, 0xffff0000, v14
	v_lshlrev_b32_e32 v14, 16, v38
	v_mul_f32_e32 v38, v37, v14
	v_and_b32_e32 v14, 0x7f800000, v38
	v_cmp_ne_u32_e64 s[0:1], s19, v14
                                        ; implicit-def: $vgpr14
	s_and_saveexec_b64 s[12:13], s[0:1]
	s_xor_b64 s[0:1], exec, s[12:13]
; %bb.207:                              ;   in Loop: Header=BB321_115 Depth=1
	v_bfe_u32 v14, v38, 16, 1
	v_add3_u32 v14, v38, v14, s21
                                        ; implicit-def: $vgpr38
; %bb.208:                              ;   in Loop: Header=BB321_115 Depth=1
	s_andn2_saveexec_b64 s[12:13], s[0:1]
; %bb.209:                              ;   in Loop: Header=BB321_115 Depth=1
	v_or_b32_e32 v14, 0x10000, v38
	v_cmp_eq_u32_sdwa s[0:1], v38, v17 src0_sel:WORD_0 src1_sel:DWORD
	s_nop 1
	v_cndmask_b32_e64 v14, v14, v38, s[0:1]
; %bb.210:                              ;   in Loop: Header=BB321_115 Depth=1
	s_or_b64 exec, exec, s[12:13]
	v_and_b32_e32 v38, 0xffff0000, v30
	v_lshlrev_b32_e32 v30, 16, v39
	v_mul_f32_e32 v39, v38, v30
	v_and_b32_e32 v30, 0x7f800000, v39
	v_cmp_ne_u32_e64 s[0:1], s19, v30
                                        ; implicit-def: $vgpr30
	s_and_saveexec_b64 s[12:13], s[0:1]
	s_xor_b64 s[0:1], exec, s[12:13]
; %bb.211:                              ;   in Loop: Header=BB321_115 Depth=1
	v_bfe_u32 v30, v39, 16, 1
	v_add3_u32 v30, v39, v30, s21
                                        ; implicit-def: $vgpr39
; %bb.212:                              ;   in Loop: Header=BB321_115 Depth=1
	s_andn2_saveexec_b64 s[12:13], s[0:1]
; %bb.213:                              ;   in Loop: Header=BB321_115 Depth=1
	v_or_b32_e32 v30, 0x10000, v39
	v_cmp_eq_u32_sdwa s[0:1], v39, v17 src0_sel:WORD_0 src1_sel:DWORD
	s_nop 1
	v_cndmask_b32_e64 v30, v30, v39, s[0:1]
; %bb.214:                              ;   in Loop: Header=BB321_115 Depth=1
	s_or_b64 exec, exec, s[12:13]
	global_load_dwordx2 v[2:3], v[2:3], off offset:512
	s_waitcnt vmcnt(0)
	v_and_b32_e32 v39, 0xff, v2
	v_cvt_f32_fp8_sdwa v39, v39 src0_sel:BYTE_0
	s_nop 0
	v_mul_f32_e32 v40, s22, v39
	v_and_b32_e32 v39, 0x7f800000, v40
	v_cmp_ne_u32_e64 s[0:1], s19, v39
                                        ; implicit-def: $vgpr39
	s_and_saveexec_b64 s[12:13], s[0:1]
	s_xor_b64 s[0:1], exec, s[12:13]
; %bb.215:                              ;   in Loop: Header=BB321_115 Depth=1
	v_bfe_u32 v39, v40, 16, 1
	v_add3_u32 v39, v40, v39, s21
                                        ; implicit-def: $vgpr40
; %bb.216:                              ;   in Loop: Header=BB321_115 Depth=1
	s_andn2_saveexec_b64 s[12:13], s[0:1]
; %bb.217:                              ;   in Loop: Header=BB321_115 Depth=1
	v_or_b32_e32 v39, 0x10000, v40
	v_cmp_eq_u32_sdwa s[0:1], v40, v17 src0_sel:WORD_0 src1_sel:DWORD
	s_nop 1
	v_cndmask_b32_e64 v39, v39, v40, s[0:1]
; %bb.218:                              ;   in Loop: Header=BB321_115 Depth=1
	s_or_b64 exec, exec, s[12:13]
	v_bfe_u32 v40, v2, 8, 8
	v_cvt_f32_fp8_sdwa v40, v40 src0_sel:BYTE_0
	s_nop 0
	v_mul_f32_e32 v41, s22, v40
	v_and_b32_e32 v40, 0x7f800000, v41
	v_cmp_ne_u32_e64 s[0:1], s19, v40
                                        ; implicit-def: $vgpr40
	s_and_saveexec_b64 s[12:13], s[0:1]
	s_xor_b64 s[0:1], exec, s[12:13]
; %bb.219:                              ;   in Loop: Header=BB321_115 Depth=1
	v_bfe_u32 v40, v41, 16, 1
	v_add3_u32 v40, v41, v40, s21
                                        ; implicit-def: $vgpr41
; %bb.220:                              ;   in Loop: Header=BB321_115 Depth=1
	s_andn2_saveexec_b64 s[12:13], s[0:1]
; %bb.221:                              ;   in Loop: Header=BB321_115 Depth=1
	v_or_b32_e32 v40, 0x10000, v41
	v_cmp_eq_u32_sdwa s[0:1], v41, v17 src0_sel:WORD_0 src1_sel:DWORD
	s_nop 1
	v_cndmask_b32_e64 v40, v40, v41, s[0:1]
; %bb.222:                              ;   in Loop: Header=BB321_115 Depth=1
	s_or_b64 exec, exec, s[12:13]
	v_bfe_u32 v41, v2, 16, 8
	v_cvt_f32_fp8_sdwa v41, v41 src0_sel:BYTE_0
	s_nop 0
	v_mul_f32_e32 v41, s22, v41
	v_and_b32_e32 v42, 0x7f800000, v41
	v_cmp_ne_u32_e64 s[0:1], s19, v42
                                        ; implicit-def: $vgpr42
	s_and_saveexec_b64 s[12:13], s[0:1]
	s_xor_b64 s[0:1], exec, s[12:13]
; %bb.223:                              ;   in Loop: Header=BB321_115 Depth=1
	v_bfe_u32 v42, v41, 16, 1
	v_add3_u32 v42, v41, v42, s21
                                        ; implicit-def: $vgpr41
; %bb.224:                              ;   in Loop: Header=BB321_115 Depth=1
	s_andn2_saveexec_b64 s[12:13], s[0:1]
; %bb.225:                              ;   in Loop: Header=BB321_115 Depth=1
	v_or_b32_e32 v42, 0x10000, v41
	v_cmp_eq_u32_sdwa s[0:1], v41, v17 src0_sel:WORD_0 src1_sel:DWORD
	s_nop 1
	v_cndmask_b32_e64 v42, v42, v41, s[0:1]
; %bb.226:                              ;   in Loop: Header=BB321_115 Depth=1
	s_or_b64 exec, exec, s[12:13]
	v_lshrrev_b32_e32 v2, 24, v2
	v_cvt_f32_fp8_sdwa v2, v2 src0_sel:BYTE_0
	s_nop 0
	v_mul_f32_e32 v41, s22, v2
	v_and_b32_e32 v2, 0x7f800000, v41
	v_cmp_ne_u32_e64 s[0:1], s19, v2
                                        ; implicit-def: $vgpr2
	s_and_saveexec_b64 s[12:13], s[0:1]
	s_xor_b64 s[0:1], exec, s[12:13]
; %bb.227:                              ;   in Loop: Header=BB321_115 Depth=1
	v_bfe_u32 v2, v41, 16, 1
	v_add3_u32 v2, v41, v2, s21
                                        ; implicit-def: $vgpr41
; %bb.228:                              ;   in Loop: Header=BB321_115 Depth=1
	s_andn2_saveexec_b64 s[12:13], s[0:1]
; %bb.229:                              ;   in Loop: Header=BB321_115 Depth=1
	v_or_b32_e32 v2, 0x10000, v41
	v_cmp_eq_u32_sdwa s[0:1], v41, v17 src0_sel:WORD_0 src1_sel:DWORD
	s_nop 1
	v_cndmask_b32_e64 v2, v2, v41, s[0:1]
; %bb.230:                              ;   in Loop: Header=BB321_115 Depth=1
	s_or_b64 exec, exec, s[12:13]
	v_and_b32_e32 v41, 0xff, v3
	v_cvt_f32_fp8_sdwa v41, v41 src0_sel:BYTE_0
	s_nop 0
	v_mul_f32_e32 v41, s22, v41
	v_and_b32_e32 v43, 0x7f800000, v41
	v_cmp_ne_u32_e64 s[0:1], s19, v43
                                        ; implicit-def: $vgpr43
	s_and_saveexec_b64 s[12:13], s[0:1]
	s_xor_b64 s[0:1], exec, s[12:13]
; %bb.231:                              ;   in Loop: Header=BB321_115 Depth=1
	v_bfe_u32 v43, v41, 16, 1
	v_add3_u32 v43, v41, v43, s21
                                        ; implicit-def: $vgpr41
; %bb.232:                              ;   in Loop: Header=BB321_115 Depth=1
	s_andn2_saveexec_b64 s[12:13], s[0:1]
; %bb.233:                              ;   in Loop: Header=BB321_115 Depth=1
	v_or_b32_e32 v43, 0x10000, v41
	v_cmp_eq_u32_sdwa s[0:1], v41, v17 src0_sel:WORD_0 src1_sel:DWORD
	s_nop 1
	v_cndmask_b32_e64 v43, v43, v41, s[0:1]
; %bb.234:                              ;   in Loop: Header=BB321_115 Depth=1
	s_or_b64 exec, exec, s[12:13]
	v_bfe_u32 v41, v3, 8, 8
	v_cvt_f32_fp8_sdwa v41, v41 src0_sel:BYTE_0
	s_nop 0
	v_mul_f32_e32 v44, s22, v41
	v_and_b32_e32 v41, 0x7f800000, v44
	v_cmp_ne_u32_e64 s[0:1], s19, v41
                                        ; implicit-def: $vgpr41
	s_and_saveexec_b64 s[12:13], s[0:1]
	s_xor_b64 s[0:1], exec, s[12:13]
; %bb.235:                              ;   in Loop: Header=BB321_115 Depth=1
	v_bfe_u32 v41, v44, 16, 1
	v_add3_u32 v41, v44, v41, s21
                                        ; implicit-def: $vgpr44
; %bb.236:                              ;   in Loop: Header=BB321_115 Depth=1
	s_andn2_saveexec_b64 s[12:13], s[0:1]
; %bb.237:                              ;   in Loop: Header=BB321_115 Depth=1
	v_or_b32_e32 v41, 0x10000, v44
	v_cmp_eq_u32_sdwa s[0:1], v44, v17 src0_sel:WORD_0 src1_sel:DWORD
	s_nop 1
	v_cndmask_b32_e64 v41, v41, v44, s[0:1]
; %bb.238:                              ;   in Loop: Header=BB321_115 Depth=1
	s_or_b64 exec, exec, s[12:13]
	v_bfe_u32 v44, v3, 16, 8
	v_cvt_f32_fp8_sdwa v44, v44 src0_sel:BYTE_0
	s_nop 0
	v_mul_f32_e32 v44, s22, v44
	v_and_b32_e32 v45, 0x7f800000, v44
	v_cmp_ne_u32_e64 s[0:1], s19, v45
                                        ; implicit-def: $vgpr45
	s_and_saveexec_b64 s[12:13], s[0:1]
	s_xor_b64 s[0:1], exec, s[12:13]
; %bb.239:                              ;   in Loop: Header=BB321_115 Depth=1
	v_bfe_u32 v45, v44, 16, 1
	v_add3_u32 v45, v44, v45, s21
                                        ; implicit-def: $vgpr44
; %bb.240:                              ;   in Loop: Header=BB321_115 Depth=1
	s_andn2_saveexec_b64 s[12:13], s[0:1]
; %bb.241:                              ;   in Loop: Header=BB321_115 Depth=1
	v_or_b32_e32 v45, 0x10000, v44
	v_cmp_eq_u32_sdwa s[0:1], v44, v17 src0_sel:WORD_0 src1_sel:DWORD
	s_nop 1
	v_cndmask_b32_e64 v45, v45, v44, s[0:1]
; %bb.242:                              ;   in Loop: Header=BB321_115 Depth=1
	s_or_b64 exec, exec, s[12:13]
	v_lshrrev_b32_e32 v3, 24, v3
	v_cvt_f32_fp8_sdwa v3, v3 src0_sel:BYTE_0
	s_nop 0
	v_mul_f32_e32 v44, s22, v3
	v_and_b32_e32 v3, 0x7f800000, v44
	v_cmp_ne_u32_e64 s[0:1], s19, v3
                                        ; implicit-def: $vgpr3
	s_and_saveexec_b64 s[12:13], s[0:1]
	s_xor_b64 s[0:1], exec, s[12:13]
; %bb.243:                              ;   in Loop: Header=BB321_115 Depth=1
	v_bfe_u32 v3, v44, 16, 1
	v_add3_u32 v3, v44, v3, s21
                                        ; implicit-def: $vgpr44
; %bb.244:                              ;   in Loop: Header=BB321_115 Depth=1
	s_andn2_saveexec_b64 s[12:13], s[0:1]
; %bb.245:                              ;   in Loop: Header=BB321_115 Depth=1
	v_or_b32_e32 v3, 0x10000, v44
	v_cmp_eq_u32_sdwa s[0:1], v44, v17 src0_sel:WORD_0 src1_sel:DWORD
	s_nop 1
	v_cndmask_b32_e64 v3, v3, v44, s[0:1]
; %bb.246:                              ;   in Loop: Header=BB321_115 Depth=1
	s_or_b64 exec, exec, s[12:13]
	v_lshrrev_b32_e32 v41, 16, v41
	v_lshrrev_b32_e32 v43, 16, v43
	;; [unrolled: 1-line block ×8, first 2 shown]
	s_and_saveexec_b64 s[0:1], vcc
	s_cbranch_execz .LBB321_248
; %bb.247:                              ;   in Loop: Header=BB321_115 Depth=1
	v_cmp_gt_i32_e32 vcc, s33, v1
	s_nop 1
	v_cndmask_b32_e32 v2, 0, v2, vcc
	v_cmp_gt_i32_e32 vcc, s33, v29
	s_nop 1
	v_cndmask_b32_e32 v40, 0, v40, vcc
	;; [unrolled: 3-line block ×8, first 2 shown]
.LBB321_248:                            ;   in Loop: Header=BB321_115 Depth=1
	s_or_b64 exec, exec, s[0:1]
	v_lshlrev_b32_e32 v2, 16, v2
	v_mul_f32_e32 v23, v31, v2
	v_and_b32_e32 v2, 0x7f800000, v23
	v_cmp_ne_u32_e32 vcc, s19, v2
                                        ; implicit-def: $vgpr2
	s_and_saveexec_b64 s[0:1], vcc
	s_xor_b64 s[0:1], exec, s[0:1]
; %bb.249:                              ;   in Loop: Header=BB321_115 Depth=1
	v_bfe_u32 v2, v23, 16, 1
	v_add3_u32 v2, v23, v2, s21
                                        ; implicit-def: $vgpr23
; %bb.250:                              ;   in Loop: Header=BB321_115 Depth=1
	s_andn2_saveexec_b64 s[0:1], s[0:1]
; %bb.251:                              ;   in Loop: Header=BB321_115 Depth=1
	v_or_b32_e32 v2, 0x10000, v23
	v_cmp_eq_u32_sdwa vcc, v23, v17 src0_sel:WORD_0 src1_sel:DWORD
	s_nop 1
	v_cndmask_b32_e32 v2, v2, v23, vcc
; %bb.252:                              ;   in Loop: Header=BB321_115 Depth=1
	s_or_b64 exec, exec, s[0:1]
	v_lshlrev_b32_e32 v23, 16, v40
	v_mul_f32_e32 v24, v32, v23
	v_and_b32_e32 v23, 0x7f800000, v24
	v_cmp_ne_u32_e32 vcc, s19, v23
                                        ; implicit-def: $vgpr23
	s_and_saveexec_b64 s[0:1], vcc
	s_xor_b64 s[0:1], exec, s[0:1]
; %bb.253:                              ;   in Loop: Header=BB321_115 Depth=1
	v_bfe_u32 v23, v24, 16, 1
	v_add3_u32 v23, v24, v23, s21
                                        ; implicit-def: $vgpr24
; %bb.254:                              ;   in Loop: Header=BB321_115 Depth=1
	s_andn2_saveexec_b64 s[0:1], s[0:1]
; %bb.255:                              ;   in Loop: Header=BB321_115 Depth=1
	v_or_b32_e32 v23, 0x10000, v24
	v_cmp_eq_u32_sdwa vcc, v24, v17 src0_sel:WORD_0 src1_sel:DWORD
	s_nop 1
	v_cndmask_b32_e32 v23, v23, v24, vcc
; %bb.256:                              ;   in Loop: Header=BB321_115 Depth=1
	s_or_b64 exec, exec, s[0:1]
	v_lshlrev_b32_e32 v24, 16, v42
	v_mul_f32_e32 v25, v33, v24
	v_and_b32_e32 v24, 0x7f800000, v25
	v_cmp_ne_u32_e32 vcc, s19, v24
                                        ; implicit-def: $vgpr24
	s_and_saveexec_b64 s[0:1], vcc
	s_xor_b64 s[0:1], exec, s[0:1]
; %bb.257:                              ;   in Loop: Header=BB321_115 Depth=1
	v_bfe_u32 v24, v25, 16, 1
	v_add3_u32 v24, v25, v24, s21
                                        ; implicit-def: $vgpr25
; %bb.258:                              ;   in Loop: Header=BB321_115 Depth=1
	s_andn2_saveexec_b64 s[0:1], s[0:1]
; %bb.259:                              ;   in Loop: Header=BB321_115 Depth=1
	v_or_b32_e32 v24, 0x10000, v25
	v_cmp_eq_u32_sdwa vcc, v25, v17 src0_sel:WORD_0 src1_sel:DWORD
	s_nop 1
	v_cndmask_b32_e32 v24, v24, v25, vcc
; %bb.260:                              ;   in Loop: Header=BB321_115 Depth=1
	s_or_b64 exec, exec, s[0:1]
	v_lshlrev_b32_e32 v25, 16, v44
	v_mul_f32_e32 v26, v34, v25
	v_and_b32_e32 v25, 0x7f800000, v26
	v_cmp_ne_u32_e32 vcc, s19, v25
                                        ; implicit-def: $vgpr25
	s_and_saveexec_b64 s[0:1], vcc
	s_xor_b64 s[0:1], exec, s[0:1]
; %bb.261:                              ;   in Loop: Header=BB321_115 Depth=1
	v_bfe_u32 v25, v26, 16, 1
	v_add3_u32 v25, v26, v25, s21
                                        ; implicit-def: $vgpr26
; %bb.262:                              ;   in Loop: Header=BB321_115 Depth=1
	s_andn2_saveexec_b64 s[0:1], s[0:1]
; %bb.263:                              ;   in Loop: Header=BB321_115 Depth=1
	v_or_b32_e32 v25, 0x10000, v26
	v_cmp_eq_u32_sdwa vcc, v26, v17 src0_sel:WORD_0 src1_sel:DWORD
	s_nop 1
	v_cndmask_b32_e32 v25, v25, v26, vcc
; %bb.264:                              ;   in Loop: Header=BB321_115 Depth=1
	s_or_b64 exec, exec, s[0:1]
	v_lshlrev_b32_e32 v26, 16, v43
	v_mul_f32_e32 v27, v35, v26
	v_and_b32_e32 v26, 0x7f800000, v27
	v_cmp_ne_u32_e32 vcc, s19, v26
                                        ; implicit-def: $vgpr26
	s_and_saveexec_b64 s[0:1], vcc
	s_xor_b64 s[0:1], exec, s[0:1]
; %bb.265:                              ;   in Loop: Header=BB321_115 Depth=1
	v_bfe_u32 v26, v27, 16, 1
	v_add3_u32 v26, v27, v26, s21
                                        ; implicit-def: $vgpr27
; %bb.266:                              ;   in Loop: Header=BB321_115 Depth=1
	s_andn2_saveexec_b64 s[0:1], s[0:1]
; %bb.267:                              ;   in Loop: Header=BB321_115 Depth=1
	v_or_b32_e32 v26, 0x10000, v27
	v_cmp_eq_u32_sdwa vcc, v27, v17 src0_sel:WORD_0 src1_sel:DWORD
	s_nop 1
	v_cndmask_b32_e32 v26, v26, v27, vcc
; %bb.268:                              ;   in Loop: Header=BB321_115 Depth=1
	s_or_b64 exec, exec, s[0:1]
	v_lshlrev_b32_e32 v27, 16, v41
	v_mul_f32_e32 v28, v36, v27
	v_and_b32_e32 v27, 0x7f800000, v28
	v_cmp_ne_u32_e32 vcc, s19, v27
                                        ; implicit-def: $vgpr27
	s_and_saveexec_b64 s[0:1], vcc
	s_xor_b64 s[0:1], exec, s[0:1]
; %bb.269:                              ;   in Loop: Header=BB321_115 Depth=1
	v_bfe_u32 v27, v28, 16, 1
	v_add3_u32 v27, v28, v27, s21
                                        ; implicit-def: $vgpr28
; %bb.270:                              ;   in Loop: Header=BB321_115 Depth=1
	s_andn2_saveexec_b64 s[0:1], s[0:1]
; %bb.271:                              ;   in Loop: Header=BB321_115 Depth=1
	v_or_b32_e32 v27, 0x10000, v28
	v_cmp_eq_u32_sdwa vcc, v28, v17 src0_sel:WORD_0 src1_sel:DWORD
	s_nop 1
	v_cndmask_b32_e32 v27, v27, v28, vcc
; %bb.272:                              ;   in Loop: Header=BB321_115 Depth=1
	s_or_b64 exec, exec, s[0:1]
	v_lshlrev_b32_e32 v28, 16, v39
	v_mul_f32_e32 v29, v37, v28
	v_and_b32_e32 v28, 0x7f800000, v29
	v_cmp_ne_u32_e32 vcc, s19, v28
                                        ; implicit-def: $vgpr28
	s_and_saveexec_b64 s[0:1], vcc
	s_xor_b64 s[0:1], exec, s[0:1]
; %bb.273:                              ;   in Loop: Header=BB321_115 Depth=1
	v_bfe_u32 v28, v29, 16, 1
	v_add3_u32 v28, v29, v28, s21
                                        ; implicit-def: $vgpr29
; %bb.274:                              ;   in Loop: Header=BB321_115 Depth=1
	s_andn2_saveexec_b64 s[0:1], s[0:1]
; %bb.275:                              ;   in Loop: Header=BB321_115 Depth=1
	v_or_b32_e32 v28, 0x10000, v29
	v_cmp_eq_u32_sdwa vcc, v29, v17 src0_sel:WORD_0 src1_sel:DWORD
	s_nop 1
	v_cndmask_b32_e32 v28, v28, v29, vcc
; %bb.276:                              ;   in Loop: Header=BB321_115 Depth=1
	s_or_b64 exec, exec, s[0:1]
	v_lshlrev_b32_e32 v3, 16, v3
	v_mul_f32_e32 v29, v38, v3
	v_and_b32_e32 v3, 0x7f800000, v29
	v_cmp_ne_u32_e32 vcc, s19, v3
                                        ; implicit-def: $vgpr3
	s_and_saveexec_b64 s[0:1], vcc
	s_xor_b64 s[0:1], exec, s[0:1]
; %bb.277:                              ;   in Loop: Header=BB321_115 Depth=1
	v_bfe_u32 v3, v29, 16, 1
	v_add3_u32 v3, v29, v3, s21
                                        ; implicit-def: $vgpr29
; %bb.278:                              ;   in Loop: Header=BB321_115 Depth=1
	s_andn2_saveexec_b64 s[0:1], s[0:1]
	s_cbranch_execz .LBB321_113
; %bb.279:                              ;   in Loop: Header=BB321_115 Depth=1
	v_or_b32_e32 v3, 0x10000, v29
	v_cmp_eq_u32_sdwa vcc, v29, v17 src0_sel:WORD_0 src1_sel:DWORD
	s_nop 1
	v_cndmask_b32_e32 v3, v3, v29, vcc
	s_branch .LBB321_113
.LBB321_280:
	s_or_b64 exec, exec, s[8:9]
	v_mov_b32_e32 v14, v22
.LBB321_281:
	s_or_b64 exec, exec, s[2:3]
	v_and_b32_e32 v1, 0x3c0, v0
	v_cmp_eq_u32_e32 vcc, 64, v1
	s_barrier
	s_and_saveexec_b64 s[0:1], vcc
	s_cbranch_execz .LBB321_283
; %bb.282:
	v_mov_b32_e32 v1, 0x110
	v_lshl_add_u32 v2, v0, 2, v1
	v_lshl_add_u32 v1, v11, 2, v1
	ds_write_b32 v1, v14
	ds_write_b32 v2, v15
.LBB321_283:
	s_or_b64 exec, exec, s[0:1]
	v_cmp_gt_u32_e32 vcc, 64, v0
	s_waitcnt lgkmcnt(0)
	s_barrier
	s_and_saveexec_b64 s[0:1], vcc
	s_cbranch_execz .LBB321_285
; %bb.284:
	v_mov_b32_e32 v1, 0x110
	v_lshl_add_u32 v0, v0, 2, v1
	ds_read2st64_b32 v[0:1], v0 offset1:1
	s_waitcnt lgkmcnt(0)
	v_pk_add_f32 v[14:15], v[14:15], v[0:1]
.LBB321_285:
	s_or_b64 exec, exec, s[0:1]
	s_barrier
	s_and_saveexec_b64 s[0:1], vcc
	s_cbranch_execz .LBB321_295
; %bb.286:
	s_mov_b32 s0, 0x7f800000
	v_and_b32_e32 v0, 0x7f800000, v14
	v_cmp_ne_u32_e32 vcc, s0, v0
                                        ; implicit-def: $vgpr0
	s_and_saveexec_b64 s[0:1], vcc
	s_xor_b64 s[0:1], exec, s[0:1]
; %bb.287:
	v_bfe_u32 v0, v14, 16, 1
	s_movk_i32 s2, 0x7fff
	v_add3_u32 v0, v14, v0, s2
; %bb.288:
	s_andn2_saveexec_b64 s[0:1], s[0:1]
; %bb.289:
	v_mov_b32_e32 v0, 0
	v_or_b32_e32 v1, 0x10000, v14
	v_cmp_eq_u32_sdwa vcc, v14, v0 src0_sel:WORD_0 src1_sel:DWORD
	s_nop 1
	v_cndmask_b32_e32 v0, v1, v14, vcc
; %bb.290:
	s_or_b64 exec, exec, s[0:1]
	s_lshl_b32 s0, s6, 7
	s_ashr_i32 s1, s0, 31
	s_lshl_b64 s[0:1], s[0:1], 1
	s_add_u32 s2, s30, s0
	s_mul_i32 s0, s16, s28
	s_addc_u32 s3, s31, s1
	s_ashr_i32 s1, s0, 31
	s_lshl_b64 s[0:1], s[0:1], 1
	s_add_u32 s2, s2, s0
	s_addc_u32 s3, s3, s1
	s_lshl_b32 s0, s4, 7
	s_ashr_i32 s1, s0, 31
	s_lshl_b64 s[0:1], s[0:1], 1
	s_add_u32 s0, s2, s0
	s_addc_u32 s1, s3, s1
	global_store_short_d16_hi v10, v0, s[0:1]
	s_mov_b32 s2, 0x7f800000
	v_and_b32_e32 v0, 0x7f800000, v15
	v_mov_b32_e32 v11, 0
	v_cmp_ne_u32_e32 vcc, s2, v0
                                        ; implicit-def: $vgpr2
	s_and_saveexec_b64 s[2:3], vcc
	s_xor_b64 s[2:3], exec, s[2:3]
; %bb.291:
	v_bfe_u32 v0, v15, 16, 1
	s_movk_i32 s4, 0x7fff
	v_add3_u32 v2, v15, v0, s4
                                        ; implicit-def: $vgpr14_vgpr15
; %bb.292:
	s_or_saveexec_b64 s[2:3], s[2:3]
	v_lshl_add_u64 v[0:1], s[0:1], 0, v[10:11]
	s_xor_b64 exec, exec, s[2:3]
; %bb.293:
	v_mov_b32_e32 v2, 0
	v_or_b32_e32 v3, 0x10000, v15
	v_cmp_eq_u32_sdwa vcc, v15, v2 src0_sel:WORD_0 src1_sel:DWORD
	s_nop 1
	v_cndmask_b32_e32 v2, v3, v15, vcc
; %bb.294:
	s_or_b64 exec, exec, s[2:3]
	global_store_short_d16_hi v[0:1], v2, off offset:128
.LBB321_295:
	s_endpgm
	.section	.rodata,"a",@progbits
	.p2align	6, 0x0
	.amdhsa_kernel _ZN4vllm25paged_attention_v2_kernelI14__hip_bfloat16hLi128ELi8ELi128ELNS_18Fp8KVCacheDataTypeE1ELb1ELi512EEEvPfS3_PT_PKS4_PKT0_SA_ifPKiSC_iPKfiiiSE_SE_iiiii
		.amdhsa_group_segment_fixed_size 272
		.amdhsa_private_segment_fixed_size 0
		.amdhsa_kernarg_size 400
		.amdhsa_user_sgpr_count 2
		.amdhsa_user_sgpr_dispatch_ptr 0
		.amdhsa_user_sgpr_queue_ptr 0
		.amdhsa_user_sgpr_kernarg_segment_ptr 1
		.amdhsa_user_sgpr_dispatch_id 0
		.amdhsa_user_sgpr_kernarg_preload_length 0
		.amdhsa_user_sgpr_kernarg_preload_offset 0
		.amdhsa_user_sgpr_private_segment_size 0
		.amdhsa_uses_dynamic_stack 0
		.amdhsa_enable_private_segment 0
		.amdhsa_system_sgpr_workgroup_id_x 1
		.amdhsa_system_sgpr_workgroup_id_y 1
		.amdhsa_system_sgpr_workgroup_id_z 1
		.amdhsa_system_sgpr_workgroup_info 0
		.amdhsa_system_vgpr_workitem_id 0
		.amdhsa_next_free_vgpr 57
		.amdhsa_next_free_sgpr 59
		.amdhsa_accum_offset 60
		.amdhsa_reserve_vcc 1
		.amdhsa_float_round_mode_32 0
		.amdhsa_float_round_mode_16_64 0
		.amdhsa_float_denorm_mode_32 3
		.amdhsa_float_denorm_mode_16_64 3
		.amdhsa_dx10_clamp 1
		.amdhsa_ieee_mode 1
		.amdhsa_fp16_overflow 0
		.amdhsa_tg_split 0
		.amdhsa_exception_fp_ieee_invalid_op 0
		.amdhsa_exception_fp_denorm_src 0
		.amdhsa_exception_fp_ieee_div_zero 0
		.amdhsa_exception_fp_ieee_overflow 0
		.amdhsa_exception_fp_ieee_underflow 0
		.amdhsa_exception_fp_ieee_inexact 0
		.amdhsa_exception_int_div_zero 0
	.end_amdhsa_kernel
	.section	.text._ZN4vllm25paged_attention_v2_kernelI14__hip_bfloat16hLi128ELi8ELi128ELNS_18Fp8KVCacheDataTypeE1ELb1ELi512EEEvPfS3_PT_PKS4_PKT0_SA_ifPKiSC_iPKfiiiSE_SE_iiiii,"axG",@progbits,_ZN4vllm25paged_attention_v2_kernelI14__hip_bfloat16hLi128ELi8ELi128ELNS_18Fp8KVCacheDataTypeE1ELb1ELi512EEEvPfS3_PT_PKS4_PKT0_SA_ifPKiSC_iPKfiiiSE_SE_iiiii,comdat
.Lfunc_end321:
	.size	_ZN4vllm25paged_attention_v2_kernelI14__hip_bfloat16hLi128ELi8ELi128ELNS_18Fp8KVCacheDataTypeE1ELb1ELi512EEEvPfS3_PT_PKS4_PKT0_SA_ifPKiSC_iPKfiiiSE_SE_iiiii, .Lfunc_end321-_ZN4vllm25paged_attention_v2_kernelI14__hip_bfloat16hLi128ELi8ELi128ELNS_18Fp8KVCacheDataTypeE1ELb1ELi512EEEvPfS3_PT_PKS4_PKT0_SA_ifPKiSC_iPKfiiiSE_SE_iiiii
                                        ; -- End function
	.section	.AMDGPU.csdata,"",@progbits
; Kernel info:
; codeLenInByte = 9944
; NumSgprs: 65
; NumVgprs: 57
; NumAgprs: 0
; TotalNumVgprs: 57
; ScratchSize: 0
; MemoryBound: 0
; FloatMode: 240
; IeeeMode: 1
; LDSByteSize: 272 bytes/workgroup (compile time only)
; SGPRBlocks: 8
; VGPRBlocks: 7
; NumSGPRsForWavesPerEU: 65
; NumVGPRsForWavesPerEU: 57
; AccumOffset: 60
; Occupancy: 8
; WaveLimiterHint : 1
; COMPUTE_PGM_RSRC2:SCRATCH_EN: 0
; COMPUTE_PGM_RSRC2:USER_SGPR: 2
; COMPUTE_PGM_RSRC2:TRAP_HANDLER: 0
; COMPUTE_PGM_RSRC2:TGID_X_EN: 1
; COMPUTE_PGM_RSRC2:TGID_Y_EN: 1
; COMPUTE_PGM_RSRC2:TGID_Z_EN: 1
; COMPUTE_PGM_RSRC2:TIDIG_COMP_CNT: 0
; COMPUTE_PGM_RSRC3_GFX90A:ACCUM_OFFSET: 14
; COMPUTE_PGM_RSRC3_GFX90A:TG_SPLIT: 0
	.section	.text._ZN4vllm25paged_attention_v2_kernelI14__hip_bfloat16hLi192ELi8ELi128ELNS_18Fp8KVCacheDataTypeE1ELb1ELi512EEEvPfS3_PT_PKS4_PKT0_SA_ifPKiSC_iPKfiiiSE_SE_iiiii,"axG",@progbits,_ZN4vllm25paged_attention_v2_kernelI14__hip_bfloat16hLi192ELi8ELi128ELNS_18Fp8KVCacheDataTypeE1ELb1ELi512EEEvPfS3_PT_PKS4_PKT0_SA_ifPKiSC_iPKfiiiSE_SE_iiiii,comdat
	.protected	_ZN4vllm25paged_attention_v2_kernelI14__hip_bfloat16hLi192ELi8ELi128ELNS_18Fp8KVCacheDataTypeE1ELb1ELi512EEEvPfS3_PT_PKS4_PKT0_SA_ifPKiSC_iPKfiiiSE_SE_iiiii ; -- Begin function _ZN4vllm25paged_attention_v2_kernelI14__hip_bfloat16hLi192ELi8ELi128ELNS_18Fp8KVCacheDataTypeE1ELb1ELi512EEEvPfS3_PT_PKS4_PKT0_SA_ifPKiSC_iPKfiiiSE_SE_iiiii
	.globl	_ZN4vllm25paged_attention_v2_kernelI14__hip_bfloat16hLi192ELi8ELi128ELNS_18Fp8KVCacheDataTypeE1ELb1ELi512EEEvPfS3_PT_PKS4_PKT0_SA_ifPKiSC_iPKfiiiSE_SE_iiiii
	.p2align	8
	.type	_ZN4vllm25paged_attention_v2_kernelI14__hip_bfloat16hLi192ELi8ELi128ELNS_18Fp8KVCacheDataTypeE1ELb1ELi512EEEvPfS3_PT_PKS4_PKT0_SA_ifPKiSC_iPKfiiiSE_SE_iiiii,@function
_ZN4vllm25paged_attention_v2_kernelI14__hip_bfloat16hLi192ELi8ELi128ELNS_18Fp8KVCacheDataTypeE1ELb1ELi512EEEvPfS3_PT_PKS4_PKT0_SA_ifPKiSC_iPKfiiiSE_SE_iiiii: ; @_ZN4vllm25paged_attention_v2_kernelI14__hip_bfloat16hLi192ELi8ELi128ELNS_18Fp8KVCacheDataTypeE1ELb1ELi512EEEvPfS3_PT_PKS4_PKT0_SA_ifPKiSC_iPKfiiiSE_SE_iiiii
; %bb.0:
	s_load_dwordx2 s[6:7], s[0:1], 0x40
	s_mov_b32 s38, s3
	s_ashr_i32 s39, s3, 31
	s_lshl_b64 s[8:9], s[38:39], 2
	s_waitcnt lgkmcnt(0)
	s_add_u32 s6, s6, s8
	s_addc_u32 s7, s7, s9
	s_load_dword s39, s[6:7], 0x0
	s_lshl_b32 s51, s4, 9
	s_waitcnt lgkmcnt(0)
	s_cmp_ge_i32 s51, s39
	s_cbranch_scc1 .LBB322_397
; %bb.1:
	s_load_dword s5, s[0:1], 0x90
	s_load_dwordx2 s[44:45], s[0:1], 0x30
	s_waitcnt lgkmcnt(0)
	s_abs_i32 s7, s5
	s_abs_i32 s3, s44
	v_cvt_f32_u32_e32 v1, s3
	s_sub_i32 s8, 0, s3
	s_xor_b32 s6, s5, s44
	s_ashr_i32 s6, s6, 31
	v_rcp_iflag_f32_e32 v1, v1
	s_nop 0
	v_mul_f32_e32 v1, 0x4f7ffffe, v1
	v_cvt_u32_f32_e32 v1, v1
	s_nop 0
	v_readfirstlane_b32 s9, v1
	s_mul_i32 s8, s8, s9
	s_mul_hi_u32 s8, s9, s8
	s_add_i32 s9, s9, s8
	s_mul_hi_u32 s8, s7, s9
	s_mul_i32 s9, s8, s3
	s_sub_i32 s7, s7, s9
	s_add_i32 s10, s8, 1
	s_sub_i32 s9, s7, s3
	s_cmp_ge_u32 s7, s3
	s_cselect_b32 s8, s10, s8
	s_cselect_b32 s7, s9, s7
	s_add_i32 s9, s8, 1
	s_cmp_ge_u32 s7, s3
	s_cselect_b32 s3, s9, s8
	s_xor_b32 s3, s3, s6
	s_sub_i32 s13, s3, s6
	s_abs_i32 s12, s13
	v_cvt_f32_u32_e32 v1, s12
	s_load_dwordx2 s[6:7], s[0:1], 0x50
	s_sub_i32 s3, 0, s12
	s_abs_i32 s14, s2
	v_rcp_iflag_f32_e32 v1, v1
	s_nop 0
	v_mul_f32_e32 v1, 0x4f7ffffe, v1
	v_cvt_u32_f32_e32 v1, v1
	s_nop 0
	v_readfirstlane_b32 s8, v1
	s_mul_i32 s3, s3, s8
	s_mul_hi_u32 s3, s8, s3
	s_add_i32 s8, s8, s3
	s_waitcnt lgkmcnt(0)
	s_cmp_eq_u64 s[6:7], 0
	s_mov_b32 s3, 0
	s_cbranch_scc1 .LBB322_3
; %bb.2:
	s_ashr_i32 s3, s2, 31
	s_lshl_b64 s[10:11], s[2:3], 2
	s_add_u32 s6, s6, s10
	s_addc_u32 s7, s7, s11
	s_load_dword s3, s[6:7], 0x0
.LBB322_3:
	s_load_dwordx4 s[24:27], s[0:1], 0x0
	s_load_dwordx2 s[34:35], s[0:1], 0x10
	s_load_dwordx4 s[20:23], s[0:1], 0x20
	s_load_dwordx2 s[40:41], s[0:1], 0x38
	s_load_dword s33, s[0:1], 0x98
	s_load_dwordx4 s[16:19], s[0:1], 0x58
	s_movk_i32 s6, 0xc0
	s_mul_i32 s36, s2, 0xc0
	s_mul_hi_u32 s15, s14, s8
	v_and_b32_e32 v16, 7, v0
	s_ashr_i32 s37, s36, 31
	v_cmp_gt_u32_e32 vcc, s6, v0
	s_and_saveexec_b64 s[6:7], vcc
	s_cbranch_execz .LBB322_6
; %bb.4:
	s_load_dwordx2 s[8:9], s[0:1], 0x18
	s_waitcnt lgkmcnt(0)
	s_mul_i32 s10, s38, s16
	s_ashr_i32 s11, s10, 31
	s_lshl_b64 s[10:11], s[10:11], 1
	s_lshl_b64 s[28:29], s[36:37], 1
	v_lshrrev_b32_e32 v2, 3, v0
	s_add_u32 s10, s10, s28
	v_lshlrev_b32_e32 v3, 1, v2
	s_addc_u32 s11, s11, s29
	v_mad_u32_u24 v4, v16, 48, v3
	v_lshlrev_b32_e32 v3, 1, v16
	s_add_u32 s8, s8, s10
	v_add_u32_e32 v1, -16, v2
	v_lshl_or_b32 v2, v2, 4, v3
	v_mov_b32_e32 v3, 0
	s_addc_u32 s9, s9, s11
	v_lshl_add_u64 v[2:3], s[8:9], 0, v[2:3]
	s_mov_b64 s[8:9], 0
	s_mov_b64 s[10:11], 0x100
.LBB322_5:                              ; =>This Inner Loop Header: Depth=1
	global_load_ushort v5, v[2:3], off
	v_add_u32_e32 v1, 16, v1
	v_cmp_lt_u32_e32 vcc, 7, v1
	v_lshl_add_u64 v[2:3], v[2:3], 0, s[10:11]
	s_or_b64 s[8:9], vcc, s[8:9]
	s_waitcnt vmcnt(0)
	ds_write_b16 v4, v5
	v_add_u32_e32 v4, 32, v4
	s_andn2_b64 exec, exec, s[8:9]
	s_cbranch_execnz .LBB322_5
.LBB322_6:
	s_or_b64 exec, exec, s[6:7]
	s_ashr_i32 s6, s2, 31
	s_ashr_i32 s7, s13, 31
	s_xor_b32 s6, s6, s7
	s_mul_i32 s7, s15, s12
	s_sub_i32 s7, s14, s7
	s_add_i32 s8, s15, 1
	s_sub_i32 s9, s7, s12
	s_load_dwordx4 s[28:31], s[0:1], 0x78
	s_cmp_ge_u32 s7, s12
	s_cselect_b32 s8, s8, s15
	s_cselect_b32 s7, s9, s7
	s_add_i32 s9, s8, 1
	s_cmp_ge_u32 s7, s12
	s_cselect_b32 s7, s9, s8
	s_load_dword s8, s[0:1], 0x88
	s_waitcnt lgkmcnt(0)
	s_abs_i32 s16, s31
	v_cvt_f32_u32_e32 v1, s16
	s_xor_b32 s7, s7, s6
	s_sub_i32 s50, s7, s6
	s_sub_i32 s6, 0, s16
	v_rcp_iflag_f32_e32 v1, v1
	s_add_i32 s11, s39, -1
	s_abs_i32 s9, s11
	v_mul_f32_e32 v1, 0x4f7ffffe, v1
	v_cvt_u32_f32_e32 v1, v1
	s_barrier
	v_readfirstlane_b32 s37, v1
	s_mul_i32 s6, s6, s37
	s_mul_hi_u32 s6, s37, s6
	s_add_i32 s37, s37, s6
	s_cmp_lt_i32 s8, 0
	s_mul_hi_u32 s10, s9, s37
	s_cbranch_scc0 .LBB322_8
; %bb.7:
	s_mul_i32 s6, s28, s44
	s_add_i32 s6, s50, s6
	s_mul_i32 s6, s6, s8
	s_sub_i32 s44, 1, s6
	s_ashr_i32 s11, s11, 31
	s_ashr_i32 s31, s31, 31
	s_cbranch_execz .LBB322_9
	s_branch .LBB322_10
.LBB322_8:
                                        ; implicit-def: $sgpr44
	s_ashr_i32 s11, s11, 31
	s_ashr_i32 s31, s31, 31
.LBB322_9:
	s_mul_i32 s6, s5, s28
	s_add_i32 s6, s6, s2
	s_mul_i32 s6, s6, s8
	s_add_i32 s44, s6, 1
.LBB322_10:
	s_load_dword s6, s[0:1], 0x48
	s_load_dwordx4 s[12:15], s[0:1], 0x68
	s_mul_i32 s1, s10, s16
	s_sub_i32 s1, s9, s1
	s_xor_b32 s0, s11, s31
	s_waitcnt lgkmcnt(0)
	s_mul_i32 s42, s38, s6
	s_ashr_i32 s43, s42, 31
	s_add_i32 s6, s10, 1
	s_sub_i32 s7, s1, s16
	s_cmp_ge_u32 s1, s16
	s_cselect_b32 s6, s6, s10
	s_cselect_b32 s1, s7, s1
	s_add_i32 s7, s6, 1
	s_cmp_ge_u32 s1, s16
	s_cselect_b32 s1, s7, s6
	s_xor_b32 s1, s1, s0
	s_sub_i32 s49, s1, s0
	s_add_i32 s0, s39, 7
	s_ashr_i32 s1, s0, 31
	s_lshr_b32 s1, s1, 29
	s_add_i32 s0, s0, s1
	s_lshl_b32 s52, s4, 6
	s_ashr_i32 s48, s0, 3
	s_add_i32 s0, s52, 64
	v_lshrrev_b32_e32 v24, 6, v0
	s_min_i32 s28, s0, s48
	v_or_b32_e32 v14, s52, v24
	v_cmp_gt_i32_e64 s[0:1], s28, v14
	v_mov_b32_e32 v27, 0xff7fffff
	s_mul_i32 s50, s50, s18
	v_ashrrev_i32_e32 v15, 31, v14
	v_lshl_add_u32 v1, v24, 3, s51
	v_mbcnt_lo_u32_b32 v25, -1, 0
	s_and_saveexec_b64 s[18:19], s[0:1]
	s_cbranch_execz .LBB322_116
; %bb.11:
	s_sub_i32 s53, s49, s29
	s_ashr_i32 s7, s50, 31
	s_add_u32 s6, s20, s50
	s_addc_u32 s7, s21, s7
	s_abs_i32 s54, s30
	v_cvt_f32_u32_e32 v3, s54
	v_bfe_u32 v26, v0, 3, 3
	v_mov_b32_e32 v17, 0
	v_lshlrev_b32_e32 v2, 4, v26
	v_rcp_iflag_f32_e32 v4, v3
	v_mov_b32_e32 v3, v17
	v_lshl_add_u64 v[18:19], s[6:7], 0, v[2:3]
	s_sub_i32 s8, 0, s54
	v_mul_f32_e32 v2, 0x4f7ffffe, v4
	v_cvt_u32_f32_e32 v2, v2
	v_cmp_eq_u32_e32 vcc, 0, v16
	s_mov_b32 s55, s17
	v_mul_u32_u24_e32 v28, 48, v16
	v_mul_lo_u32 v3, s8, v2
	v_mul_hi_u32 v3, v2, v3
	v_add_u32_e32 v29, v2, v3
	s_lshl_b64 s[8:9], s[42:43], 2
	v_lshlrev_b32_e32 v2, 2, v26
	s_add_u32 s8, s40, s8
	v_lshl_or_b32 v2, v24, 5, v2
	s_addc_u32 s9, s41, s9
	v_add_u32_e32 v31, 0x190, v2
	v_subrev_u32_e32 v2, s39, v26
	v_cmp_neq_f32_e64 s[6:7], s3, 0
	v_lshl_add_u64 v[20:21], v[14:15], 2, s[8:9]
	v_lshl_add_u32 v30, v24, 3, s51
	v_add_u32_e32 v32, 1, v2
	s_mov_b64 s[20:21], 0
	s_mov_b32 s56, 0x7f800000
	s_movk_i32 s57, 0x7fff
	v_mbcnt_hi_u32_b32 v33, -1, v25
	v_mov_b32_e32 v27, 0xff7fffff
	v_mov_b32_e32 v34, v14
	s_branch .LBB322_14
.LBB322_12:                             ;   in Loop: Header=BB322_14 Depth=1
	s_or_b64 exec, exec, s[46:47]
.LBB322_13:                             ;   in Loop: Header=BB322_14 Depth=1
	s_or_b64 exec, exec, s[10:11]
	v_add_u32_e32 v34, 2, v34
	v_cmp_le_i32_e64 s[8:9], s28, v34
	v_lshl_add_u64 v[20:21], v[20:21], 0, 8
	v_add_u32_e32 v30, 16, v30
	s_or_b64 s[20:21], s[8:9], s[20:21]
	v_add_u32_e32 v31, 64, v31
	s_andn2_b64 exec, exec, s[20:21]
	s_cbranch_execz .LBB322_115
.LBB322_14:                             ; =>This Inner Loop Header: Depth=1
	s_waitcnt lgkmcnt(0)
	v_sub_u32_e32 v3, 0, v30
	v_max_i32_e32 v3, v30, v3
	v_mul_hi_u32 v4, v3, s37
	v_mul_lo_u32 v5, v4, s16
	v_sub_u32_e32 v3, v3, v5
	v_add_u32_e32 v5, 1, v4
	v_cmp_le_u32_e64 s[8:9], s16, v3
	v_ashrrev_i32_e32 v2, 31, v30
	v_xor_b32_e32 v2, s31, v2
	v_cndmask_b32_e64 v4, v4, v5, s[8:9]
	v_subrev_u32_e32 v5, s16, v3
	v_cndmask_b32_e64 v3, v3, v5, s[8:9]
	v_add_u32_e32 v5, 1, v4
	v_cmp_le_u32_e64 s[8:9], s16, v3
	s_nop 1
	v_cndmask_b32_e64 v3, v4, v5, s[8:9]
	v_xor_b32_e32 v3, v3, v2
	v_sub_u32_e32 v2, v3, v2
	v_add_u32_e32 v3, s44, v2
	v_sub_u32_e32 v5, 0, v3
	v_ashrrev_i32_e32 v4, 31, v3
	v_max_i32_e32 v3, v3, v5
	v_mul_hi_u32 v5, v3, v29
	v_mul_lo_u32 v5, v5, s54
	v_sub_u32_e32 v3, v3, v5
	v_subrev_u32_e32 v5, s54, v3
	v_cmp_le_u32_e64 s[8:9], s54, v3
	v_cmp_ge_i32_e64 s[10:11], s53, v2
	s_nop 0
	v_cndmask_b32_e64 v3, v3, v5, s[8:9]
	v_subrev_u32_e32 v5, s54, v3
	v_cmp_le_u32_e64 s[8:9], s54, v3
	s_nop 1
	v_cndmask_b32_e64 v3, v3, v5, s[8:9]
	v_xor_b32_e32 v3, v3, v4
	v_sub_u32_e32 v3, v3, v4
	v_cmp_ne_u32_e64 s[8:9], 0, v3
	s_and_b64 s[8:9], s[8:9], s[10:11]
	s_and_b64 s[46:47], vcc, s[8:9]
	s_and_saveexec_b64 s[10:11], s[46:47]
	s_cbranch_execz .LBB322_16
; %bb.15:                               ;   in Loop: Header=BB322_14 Depth=1
	v_mov_b32_e32 v2, 0xff7fffff
	ds_write_b32 v31, v2
.LBB322_16:                             ;   in Loop: Header=BB322_14 Depth=1
	s_or_b64 exec, exec, s[10:11]
	s_xor_b64 s[8:9], s[8:9], -1
	s_and_saveexec_b64 s[10:11], s[8:9]
	s_cbranch_execz .LBB322_13
; %bb.17:                               ;   in Loop: Header=BB322_14 Depth=1
	global_load_dword v2, v[20:21], off
	s_load_dword s58, s[12:13], 0x0
	s_waitcnt vmcnt(0)
	v_mad_i64_i32 v[2:3], s[8:9], v2, s55, v[18:19]
	v_lshl_add_u64 v[22:23], v[2:3], 0, v[16:17]
	global_load_ubyte v2, v[22:23], off
	s_waitcnt vmcnt(0)
	v_cvt_f32_fp8_sdwa v35, v2 src0_sel:BYTE_0
	ds_read_b128 v[10:13], v28
	ds_read_b128 v[6:9], v28 offset:16
	ds_read_b128 v[2:5], v28 offset:32
	s_waitcnt lgkmcnt(0)
	v_mul_f32_e32 v36, s58, v35
	v_and_b32_e32 v35, 0x7f800000, v36
	v_cmp_ne_u32_e64 s[8:9], s56, v35
                                        ; implicit-def: $vgpr35
	s_and_saveexec_b64 s[46:47], s[8:9]
	s_xor_b64 s[8:9], exec, s[46:47]
; %bb.18:                               ;   in Loop: Header=BB322_14 Depth=1
	v_bfe_u32 v35, v36, 16, 1
	v_add3_u32 v35, v36, v35, s57
                                        ; implicit-def: $vgpr36
; %bb.19:                               ;   in Loop: Header=BB322_14 Depth=1
	s_andn2_saveexec_b64 s[46:47], s[8:9]
; %bb.20:                               ;   in Loop: Header=BB322_14 Depth=1
	v_or_b32_e32 v35, 0x10000, v36
	v_cmp_eq_u32_sdwa s[8:9], v36, v17 src0_sel:WORD_0 src1_sel:DWORD
	s_nop 1
	v_cndmask_b32_e64 v35, v35, v36, s[8:9]
; %bb.21:                               ;   in Loop: Header=BB322_14 Depth=1
	s_or_b64 exec, exec, s[46:47]
	global_load_ubyte v36, v[22:23], off offset:8
	s_waitcnt vmcnt(0)
	v_cvt_f32_fp8_sdwa v36, v36 src0_sel:BYTE_0
	s_nop 0
	v_mul_f32_e32 v37, s58, v36
	v_and_b32_e32 v36, 0x7f800000, v37
	v_cmp_ne_u32_e64 s[8:9], s56, v36
                                        ; implicit-def: $vgpr36
	s_and_saveexec_b64 s[46:47], s[8:9]
	s_xor_b64 s[8:9], exec, s[46:47]
; %bb.22:                               ;   in Loop: Header=BB322_14 Depth=1
	v_bfe_u32 v36, v37, 16, 1
	v_add3_u32 v36, v37, v36, s57
                                        ; implicit-def: $vgpr37
; %bb.23:                               ;   in Loop: Header=BB322_14 Depth=1
	s_andn2_saveexec_b64 s[46:47], s[8:9]
; %bb.24:                               ;   in Loop: Header=BB322_14 Depth=1
	v_or_b32_e32 v36, 0x10000, v37
	v_cmp_eq_u32_sdwa s[8:9], v37, v17 src0_sel:WORD_0 src1_sel:DWORD
	s_nop 1
	v_cndmask_b32_e64 v36, v36, v37, s[8:9]
; %bb.25:                               ;   in Loop: Header=BB322_14 Depth=1
	s_or_b64 exec, exec, s[46:47]
	global_load_ubyte v37, v[22:23], off offset:128
	s_waitcnt vmcnt(0)
	v_cvt_f32_fp8_sdwa v37, v37 src0_sel:BYTE_0
	s_nop 0
	v_mul_f32_e32 v38, s58, v37
	v_and_b32_e32 v37, 0x7f800000, v38
	v_cmp_ne_u32_e64 s[8:9], s56, v37
                                        ; implicit-def: $vgpr37
	s_and_saveexec_b64 s[46:47], s[8:9]
	s_xor_b64 s[8:9], exec, s[46:47]
; %bb.26:                               ;   in Loop: Header=BB322_14 Depth=1
	v_bfe_u32 v37, v38, 16, 1
	v_add3_u32 v37, v38, v37, s57
                                        ; implicit-def: $vgpr38
; %bb.27:                               ;   in Loop: Header=BB322_14 Depth=1
	s_andn2_saveexec_b64 s[46:47], s[8:9]
; %bb.28:                               ;   in Loop: Header=BB322_14 Depth=1
	v_or_b32_e32 v37, 0x10000, v38
	v_cmp_eq_u32_sdwa s[8:9], v38, v17 src0_sel:WORD_0 src1_sel:DWORD
	s_nop 1
	v_cndmask_b32_e64 v37, v37, v38, s[8:9]
; %bb.29:                               ;   in Loop: Header=BB322_14 Depth=1
	s_or_b64 exec, exec, s[46:47]
	global_load_ubyte v38, v[22:23], off offset:136
	s_waitcnt vmcnt(0)
	v_cvt_f32_fp8_sdwa v38, v38 src0_sel:BYTE_0
	s_nop 0
	v_mul_f32_e32 v39, s58, v38
	v_and_b32_e32 v38, 0x7f800000, v39
	v_cmp_ne_u32_e64 s[8:9], s56, v38
                                        ; implicit-def: $vgpr38
	s_and_saveexec_b64 s[46:47], s[8:9]
	s_xor_b64 s[8:9], exec, s[46:47]
; %bb.30:                               ;   in Loop: Header=BB322_14 Depth=1
	v_bfe_u32 v38, v39, 16, 1
	v_add3_u32 v38, v39, v38, s57
                                        ; implicit-def: $vgpr39
; %bb.31:                               ;   in Loop: Header=BB322_14 Depth=1
	s_andn2_saveexec_b64 s[46:47], s[8:9]
; %bb.32:                               ;   in Loop: Header=BB322_14 Depth=1
	v_or_b32_e32 v38, 0x10000, v39
	v_cmp_eq_u32_sdwa s[8:9], v39, v17 src0_sel:WORD_0 src1_sel:DWORD
	s_nop 1
	v_cndmask_b32_e64 v38, v38, v39, s[8:9]
; %bb.33:                               ;   in Loop: Header=BB322_14 Depth=1
	s_or_b64 exec, exec, s[46:47]
	global_load_ubyte v39, v[22:23], off offset:256
	s_waitcnt vmcnt(0)
	v_cvt_f32_fp8_sdwa v39, v39 src0_sel:BYTE_0
	s_nop 0
	v_mul_f32_e32 v40, s58, v39
	v_and_b32_e32 v39, 0x7f800000, v40
	v_cmp_ne_u32_e64 s[8:9], s56, v39
                                        ; implicit-def: $vgpr39
	s_and_saveexec_b64 s[46:47], s[8:9]
	s_xor_b64 s[8:9], exec, s[46:47]
; %bb.34:                               ;   in Loop: Header=BB322_14 Depth=1
	v_bfe_u32 v39, v40, 16, 1
	v_add3_u32 v39, v40, v39, s57
                                        ; implicit-def: $vgpr40
; %bb.35:                               ;   in Loop: Header=BB322_14 Depth=1
	s_andn2_saveexec_b64 s[46:47], s[8:9]
; %bb.36:                               ;   in Loop: Header=BB322_14 Depth=1
	v_or_b32_e32 v39, 0x10000, v40
	v_cmp_eq_u32_sdwa s[8:9], v40, v17 src0_sel:WORD_0 src1_sel:DWORD
	s_nop 1
	v_cndmask_b32_e64 v39, v39, v40, s[8:9]
; %bb.37:                               ;   in Loop: Header=BB322_14 Depth=1
	s_or_b64 exec, exec, s[46:47]
	global_load_ubyte v40, v[22:23], off offset:264
	s_waitcnt vmcnt(0)
	v_cvt_f32_fp8_sdwa v40, v40 src0_sel:BYTE_0
	s_nop 0
	v_mul_f32_e32 v41, s58, v40
	v_and_b32_e32 v40, 0x7f800000, v41
	v_cmp_ne_u32_e64 s[8:9], s56, v40
                                        ; implicit-def: $vgpr40
	s_and_saveexec_b64 s[46:47], s[8:9]
	s_xor_b64 s[8:9], exec, s[46:47]
; %bb.38:                               ;   in Loop: Header=BB322_14 Depth=1
	v_bfe_u32 v40, v41, 16, 1
	v_add3_u32 v40, v41, v40, s57
                                        ; implicit-def: $vgpr41
; %bb.39:                               ;   in Loop: Header=BB322_14 Depth=1
	s_andn2_saveexec_b64 s[46:47], s[8:9]
; %bb.40:                               ;   in Loop: Header=BB322_14 Depth=1
	v_or_b32_e32 v40, 0x10000, v41
	v_cmp_eq_u32_sdwa s[8:9], v41, v17 src0_sel:WORD_0 src1_sel:DWORD
	s_nop 1
	v_cndmask_b32_e64 v40, v40, v41, s[8:9]
; %bb.41:                               ;   in Loop: Header=BB322_14 Depth=1
	s_or_b64 exec, exec, s[46:47]
	global_load_ubyte v41, v[22:23], off offset:384
	s_waitcnt vmcnt(0)
	v_cvt_f32_fp8_sdwa v41, v41 src0_sel:BYTE_0
	s_nop 0
	v_mul_f32_e32 v42, s58, v41
	v_and_b32_e32 v41, 0x7f800000, v42
	v_cmp_ne_u32_e64 s[8:9], s56, v41
                                        ; implicit-def: $vgpr41
	s_and_saveexec_b64 s[46:47], s[8:9]
	s_xor_b64 s[8:9], exec, s[46:47]
; %bb.42:                               ;   in Loop: Header=BB322_14 Depth=1
	v_bfe_u32 v41, v42, 16, 1
	v_add3_u32 v41, v42, v41, s57
                                        ; implicit-def: $vgpr42
; %bb.43:                               ;   in Loop: Header=BB322_14 Depth=1
	s_andn2_saveexec_b64 s[46:47], s[8:9]
; %bb.44:                               ;   in Loop: Header=BB322_14 Depth=1
	v_or_b32_e32 v41, 0x10000, v42
	v_cmp_eq_u32_sdwa s[8:9], v42, v17 src0_sel:WORD_0 src1_sel:DWORD
	s_nop 1
	v_cndmask_b32_e64 v41, v41, v42, s[8:9]
; %bb.45:                               ;   in Loop: Header=BB322_14 Depth=1
	s_or_b64 exec, exec, s[46:47]
	global_load_ubyte v42, v[22:23], off offset:392
	s_waitcnt vmcnt(0)
	v_cvt_f32_fp8_sdwa v42, v42 src0_sel:BYTE_0
	s_nop 0
	v_mul_f32_e32 v43, s58, v42
	v_and_b32_e32 v42, 0x7f800000, v43
	v_cmp_ne_u32_e64 s[8:9], s56, v42
                                        ; implicit-def: $vgpr42
	s_and_saveexec_b64 s[46:47], s[8:9]
	s_xor_b64 s[8:9], exec, s[46:47]
; %bb.46:                               ;   in Loop: Header=BB322_14 Depth=1
	v_bfe_u32 v42, v43, 16, 1
	v_add3_u32 v42, v43, v42, s57
                                        ; implicit-def: $vgpr43
; %bb.47:                               ;   in Loop: Header=BB322_14 Depth=1
	s_andn2_saveexec_b64 s[46:47], s[8:9]
; %bb.48:                               ;   in Loop: Header=BB322_14 Depth=1
	v_or_b32_e32 v42, 0x10000, v43
	v_cmp_eq_u32_sdwa s[8:9], v43, v17 src0_sel:WORD_0 src1_sel:DWORD
	s_nop 1
	v_cndmask_b32_e64 v42, v42, v43, s[8:9]
; %bb.49:                               ;   in Loop: Header=BB322_14 Depth=1
	s_or_b64 exec, exec, s[46:47]
	global_load_ubyte v43, v[22:23], off offset:512
	s_waitcnt vmcnt(0)
	v_cvt_f32_fp8_sdwa v43, v43 src0_sel:BYTE_0
	s_nop 0
	v_mul_f32_e32 v44, s58, v43
	v_and_b32_e32 v43, 0x7f800000, v44
	v_cmp_ne_u32_e64 s[8:9], s56, v43
                                        ; implicit-def: $vgpr43
	s_and_saveexec_b64 s[46:47], s[8:9]
	s_xor_b64 s[8:9], exec, s[46:47]
; %bb.50:                               ;   in Loop: Header=BB322_14 Depth=1
	v_bfe_u32 v43, v44, 16, 1
	v_add3_u32 v43, v44, v43, s57
                                        ; implicit-def: $vgpr44
; %bb.51:                               ;   in Loop: Header=BB322_14 Depth=1
	s_andn2_saveexec_b64 s[46:47], s[8:9]
; %bb.52:                               ;   in Loop: Header=BB322_14 Depth=1
	v_or_b32_e32 v43, 0x10000, v44
	v_cmp_eq_u32_sdwa s[8:9], v44, v17 src0_sel:WORD_0 src1_sel:DWORD
	s_nop 1
	v_cndmask_b32_e64 v43, v43, v44, s[8:9]
; %bb.53:                               ;   in Loop: Header=BB322_14 Depth=1
	s_or_b64 exec, exec, s[46:47]
	global_load_ubyte v44, v[22:23], off offset:520
	s_waitcnt vmcnt(0)
	v_cvt_f32_fp8_sdwa v44, v44 src0_sel:BYTE_0
	s_nop 0
	v_mul_f32_e32 v45, s58, v44
	v_and_b32_e32 v44, 0x7f800000, v45
	v_cmp_ne_u32_e64 s[8:9], s56, v44
                                        ; implicit-def: $vgpr44
	s_and_saveexec_b64 s[46:47], s[8:9]
	s_xor_b64 s[8:9], exec, s[46:47]
; %bb.54:                               ;   in Loop: Header=BB322_14 Depth=1
	v_bfe_u32 v44, v45, 16, 1
	v_add3_u32 v44, v45, v44, s57
                                        ; implicit-def: $vgpr45
; %bb.55:                               ;   in Loop: Header=BB322_14 Depth=1
	s_andn2_saveexec_b64 s[46:47], s[8:9]
; %bb.56:                               ;   in Loop: Header=BB322_14 Depth=1
	v_or_b32_e32 v44, 0x10000, v45
	v_cmp_eq_u32_sdwa s[8:9], v45, v17 src0_sel:WORD_0 src1_sel:DWORD
	s_nop 1
	v_cndmask_b32_e64 v44, v44, v45, s[8:9]
; %bb.57:                               ;   in Loop: Header=BB322_14 Depth=1
	s_or_b64 exec, exec, s[46:47]
	global_load_ubyte v45, v[22:23], off offset:640
	s_waitcnt vmcnt(0)
	v_cvt_f32_fp8_sdwa v45, v45 src0_sel:BYTE_0
	s_nop 0
	v_mul_f32_e32 v46, s58, v45
	v_and_b32_e32 v45, 0x7f800000, v46
	v_cmp_ne_u32_e64 s[8:9], s56, v45
                                        ; implicit-def: $vgpr45
	s_and_saveexec_b64 s[46:47], s[8:9]
	s_xor_b64 s[8:9], exec, s[46:47]
; %bb.58:                               ;   in Loop: Header=BB322_14 Depth=1
	v_bfe_u32 v45, v46, 16, 1
	v_add3_u32 v45, v46, v45, s57
                                        ; implicit-def: $vgpr46
; %bb.59:                               ;   in Loop: Header=BB322_14 Depth=1
	s_andn2_saveexec_b64 s[46:47], s[8:9]
; %bb.60:                               ;   in Loop: Header=BB322_14 Depth=1
	v_or_b32_e32 v45, 0x10000, v46
	v_cmp_eq_u32_sdwa s[8:9], v46, v17 src0_sel:WORD_0 src1_sel:DWORD
	s_nop 1
	v_cndmask_b32_e64 v45, v45, v46, s[8:9]
; %bb.61:                               ;   in Loop: Header=BB322_14 Depth=1
	s_or_b64 exec, exec, s[46:47]
	global_load_ubyte v46, v[22:23], off offset:648
	s_waitcnt vmcnt(0)
	v_cvt_f32_fp8_sdwa v46, v46 src0_sel:BYTE_0
	s_nop 0
	v_mul_f32_e32 v47, s58, v46
	v_and_b32_e32 v46, 0x7f800000, v47
	v_cmp_ne_u32_e64 s[8:9], s56, v46
                                        ; implicit-def: $vgpr46
	s_and_saveexec_b64 s[46:47], s[8:9]
	s_xor_b64 s[8:9], exec, s[46:47]
; %bb.62:                               ;   in Loop: Header=BB322_14 Depth=1
	v_bfe_u32 v46, v47, 16, 1
	v_add3_u32 v46, v47, v46, s57
                                        ; implicit-def: $vgpr47
; %bb.63:                               ;   in Loop: Header=BB322_14 Depth=1
	s_andn2_saveexec_b64 s[46:47], s[8:9]
; %bb.64:                               ;   in Loop: Header=BB322_14 Depth=1
	v_or_b32_e32 v46, 0x10000, v47
	v_cmp_eq_u32_sdwa s[8:9], v47, v17 src0_sel:WORD_0 src1_sel:DWORD
	s_nop 1
	v_cndmask_b32_e64 v46, v46, v47, s[8:9]
; %bb.65:                               ;   in Loop: Header=BB322_14 Depth=1
	s_or_b64 exec, exec, s[46:47]
	global_load_ubyte v47, v[22:23], off offset:768
	s_waitcnt vmcnt(0)
	v_cvt_f32_fp8_sdwa v47, v47 src0_sel:BYTE_0
	s_nop 0
	v_mul_f32_e32 v48, s58, v47
	v_and_b32_e32 v47, 0x7f800000, v48
	v_cmp_ne_u32_e64 s[8:9], s56, v47
                                        ; implicit-def: $vgpr47
	s_and_saveexec_b64 s[46:47], s[8:9]
	s_xor_b64 s[8:9], exec, s[46:47]
; %bb.66:                               ;   in Loop: Header=BB322_14 Depth=1
	v_bfe_u32 v47, v48, 16, 1
	v_add3_u32 v47, v48, v47, s57
                                        ; implicit-def: $vgpr48
; %bb.67:                               ;   in Loop: Header=BB322_14 Depth=1
	s_andn2_saveexec_b64 s[46:47], s[8:9]
; %bb.68:                               ;   in Loop: Header=BB322_14 Depth=1
	v_or_b32_e32 v47, 0x10000, v48
	v_cmp_eq_u32_sdwa s[8:9], v48, v17 src0_sel:WORD_0 src1_sel:DWORD
	s_nop 1
	v_cndmask_b32_e64 v47, v47, v48, s[8:9]
; %bb.69:                               ;   in Loop: Header=BB322_14 Depth=1
	s_or_b64 exec, exec, s[46:47]
	global_load_ubyte v48, v[22:23], off offset:776
	s_waitcnt vmcnt(0)
	v_cvt_f32_fp8_sdwa v48, v48 src0_sel:BYTE_0
	s_nop 0
	v_mul_f32_e32 v49, s58, v48
	v_and_b32_e32 v48, 0x7f800000, v49
	v_cmp_ne_u32_e64 s[8:9], s56, v48
                                        ; implicit-def: $vgpr48
	s_and_saveexec_b64 s[46:47], s[8:9]
	s_xor_b64 s[8:9], exec, s[46:47]
; %bb.70:                               ;   in Loop: Header=BB322_14 Depth=1
	v_bfe_u32 v48, v49, 16, 1
	v_add3_u32 v48, v49, v48, s57
                                        ; implicit-def: $vgpr49
; %bb.71:                               ;   in Loop: Header=BB322_14 Depth=1
	s_andn2_saveexec_b64 s[46:47], s[8:9]
; %bb.72:                               ;   in Loop: Header=BB322_14 Depth=1
	v_or_b32_e32 v48, 0x10000, v49
	v_cmp_eq_u32_sdwa s[8:9], v49, v17 src0_sel:WORD_0 src1_sel:DWORD
	s_nop 1
	v_cndmask_b32_e64 v48, v48, v49, s[8:9]
; %bb.73:                               ;   in Loop: Header=BB322_14 Depth=1
	s_or_b64 exec, exec, s[46:47]
	global_load_ubyte v49, v[22:23], off offset:896
	s_waitcnt vmcnt(0)
	v_cvt_f32_fp8_sdwa v49, v49 src0_sel:BYTE_0
	s_nop 0
	v_mul_f32_e32 v50, s58, v49
	v_and_b32_e32 v49, 0x7f800000, v50
	v_cmp_ne_u32_e64 s[8:9], s56, v49
                                        ; implicit-def: $vgpr49
	s_and_saveexec_b64 s[46:47], s[8:9]
	s_xor_b64 s[8:9], exec, s[46:47]
; %bb.74:                               ;   in Loop: Header=BB322_14 Depth=1
	v_bfe_u32 v49, v50, 16, 1
	v_add3_u32 v49, v50, v49, s57
                                        ; implicit-def: $vgpr50
; %bb.75:                               ;   in Loop: Header=BB322_14 Depth=1
	s_andn2_saveexec_b64 s[46:47], s[8:9]
; %bb.76:                               ;   in Loop: Header=BB322_14 Depth=1
	v_or_b32_e32 v49, 0x10000, v50
	v_cmp_eq_u32_sdwa s[8:9], v50, v17 src0_sel:WORD_0 src1_sel:DWORD
	s_nop 1
	v_cndmask_b32_e64 v49, v49, v50, s[8:9]
; %bb.77:                               ;   in Loop: Header=BB322_14 Depth=1
	s_or_b64 exec, exec, s[46:47]
	global_load_ubyte v50, v[22:23], off offset:904
	s_waitcnt vmcnt(0)
	v_cvt_f32_fp8_sdwa v50, v50 src0_sel:BYTE_0
	s_nop 0
	v_mul_f32_e32 v51, s58, v50
	v_and_b32_e32 v50, 0x7f800000, v51
	v_cmp_ne_u32_e64 s[8:9], s56, v50
                                        ; implicit-def: $vgpr50
	s_and_saveexec_b64 s[46:47], s[8:9]
	s_xor_b64 s[8:9], exec, s[46:47]
; %bb.78:                               ;   in Loop: Header=BB322_14 Depth=1
	v_bfe_u32 v50, v51, 16, 1
	v_add3_u32 v50, v51, v50, s57
                                        ; implicit-def: $vgpr51
; %bb.79:                               ;   in Loop: Header=BB322_14 Depth=1
	s_andn2_saveexec_b64 s[46:47], s[8:9]
; %bb.80:                               ;   in Loop: Header=BB322_14 Depth=1
	v_or_b32_e32 v50, 0x10000, v51
	v_cmp_eq_u32_sdwa s[8:9], v51, v17 src0_sel:WORD_0 src1_sel:DWORD
	s_nop 1
	v_cndmask_b32_e64 v50, v50, v51, s[8:9]
; %bb.81:                               ;   in Loop: Header=BB322_14 Depth=1
	s_or_b64 exec, exec, s[46:47]
	global_load_ubyte v51, v[22:23], off offset:1024
	s_waitcnt vmcnt(0)
	v_cvt_f32_fp8_sdwa v51, v51 src0_sel:BYTE_0
	s_nop 0
	v_mul_f32_e32 v52, s58, v51
	v_and_b32_e32 v51, 0x7f800000, v52
	v_cmp_ne_u32_e64 s[8:9], s56, v51
                                        ; implicit-def: $vgpr51
	s_and_saveexec_b64 s[46:47], s[8:9]
	s_xor_b64 s[8:9], exec, s[46:47]
; %bb.82:                               ;   in Loop: Header=BB322_14 Depth=1
	v_bfe_u32 v51, v52, 16, 1
	v_add3_u32 v51, v52, v51, s57
                                        ; implicit-def: $vgpr52
; %bb.83:                               ;   in Loop: Header=BB322_14 Depth=1
	s_andn2_saveexec_b64 s[46:47], s[8:9]
; %bb.84:                               ;   in Loop: Header=BB322_14 Depth=1
	v_or_b32_e32 v51, 0x10000, v52
	v_cmp_eq_u32_sdwa s[8:9], v52, v17 src0_sel:WORD_0 src1_sel:DWORD
	s_nop 1
	v_cndmask_b32_e64 v51, v51, v52, s[8:9]
; %bb.85:                               ;   in Loop: Header=BB322_14 Depth=1
	s_or_b64 exec, exec, s[46:47]
	global_load_ubyte v52, v[22:23], off offset:1032
	s_waitcnt vmcnt(0)
	v_cvt_f32_fp8_sdwa v52, v52 src0_sel:BYTE_0
	s_nop 0
	v_mul_f32_e32 v53, s58, v52
	v_and_b32_e32 v52, 0x7f800000, v53
	v_cmp_ne_u32_e64 s[8:9], s56, v52
                                        ; implicit-def: $vgpr52
	s_and_saveexec_b64 s[46:47], s[8:9]
	s_xor_b64 s[8:9], exec, s[46:47]
; %bb.86:                               ;   in Loop: Header=BB322_14 Depth=1
	v_bfe_u32 v52, v53, 16, 1
	v_add3_u32 v52, v53, v52, s57
                                        ; implicit-def: $vgpr53
; %bb.87:                               ;   in Loop: Header=BB322_14 Depth=1
	s_andn2_saveexec_b64 s[46:47], s[8:9]
; %bb.88:                               ;   in Loop: Header=BB322_14 Depth=1
	v_or_b32_e32 v52, 0x10000, v53
	v_cmp_eq_u32_sdwa s[8:9], v53, v17 src0_sel:WORD_0 src1_sel:DWORD
	s_nop 1
	v_cndmask_b32_e64 v52, v52, v53, s[8:9]
; %bb.89:                               ;   in Loop: Header=BB322_14 Depth=1
	s_or_b64 exec, exec, s[46:47]
	global_load_ubyte v53, v[22:23], off offset:1152
	s_waitcnt vmcnt(0)
	v_cvt_f32_fp8_sdwa v53, v53 src0_sel:BYTE_0
	s_nop 0
	v_mul_f32_e32 v54, s58, v53
	v_and_b32_e32 v53, 0x7f800000, v54
	v_cmp_ne_u32_e64 s[8:9], s56, v53
                                        ; implicit-def: $vgpr53
	s_and_saveexec_b64 s[46:47], s[8:9]
	s_xor_b64 s[8:9], exec, s[46:47]
; %bb.90:                               ;   in Loop: Header=BB322_14 Depth=1
	v_bfe_u32 v53, v54, 16, 1
	v_add3_u32 v53, v54, v53, s57
                                        ; implicit-def: $vgpr54
; %bb.91:                               ;   in Loop: Header=BB322_14 Depth=1
	s_andn2_saveexec_b64 s[46:47], s[8:9]
; %bb.92:                               ;   in Loop: Header=BB322_14 Depth=1
	v_or_b32_e32 v53, 0x10000, v54
	v_cmp_eq_u32_sdwa s[8:9], v54, v17 src0_sel:WORD_0 src1_sel:DWORD
	s_nop 1
	v_cndmask_b32_e64 v53, v53, v54, s[8:9]
; %bb.93:                               ;   in Loop: Header=BB322_14 Depth=1
	s_or_b64 exec, exec, s[46:47]
	global_load_ubyte v54, v[22:23], off offset:1160
	s_waitcnt vmcnt(0)
	v_cvt_f32_fp8_sdwa v54, v54 src0_sel:BYTE_0
	s_nop 0
	v_mul_f32_e32 v55, s58, v54
	v_and_b32_e32 v54, 0x7f800000, v55
	v_cmp_ne_u32_e64 s[8:9], s56, v54
                                        ; implicit-def: $vgpr54
	s_and_saveexec_b64 s[46:47], s[8:9]
	s_xor_b64 s[8:9], exec, s[46:47]
; %bb.94:                               ;   in Loop: Header=BB322_14 Depth=1
	v_bfe_u32 v54, v55, 16, 1
	v_add3_u32 v54, v55, v54, s57
                                        ; implicit-def: $vgpr55
; %bb.95:                               ;   in Loop: Header=BB322_14 Depth=1
	s_andn2_saveexec_b64 s[46:47], s[8:9]
; %bb.96:                               ;   in Loop: Header=BB322_14 Depth=1
	v_or_b32_e32 v54, 0x10000, v55
	v_cmp_eq_u32_sdwa s[8:9], v55, v17 src0_sel:WORD_0 src1_sel:DWORD
	s_nop 1
	v_cndmask_b32_e64 v54, v54, v55, s[8:9]
; %bb.97:                               ;   in Loop: Header=BB322_14 Depth=1
	s_or_b64 exec, exec, s[46:47]
	global_load_ubyte v55, v[22:23], off offset:1280
	s_waitcnt vmcnt(0)
	v_cvt_f32_fp8_sdwa v55, v55 src0_sel:BYTE_0
	s_nop 0
	v_mul_f32_e32 v56, s58, v55
	v_and_b32_e32 v55, 0x7f800000, v56
	v_cmp_ne_u32_e64 s[8:9], s56, v55
                                        ; implicit-def: $vgpr55
	s_and_saveexec_b64 s[46:47], s[8:9]
	s_xor_b64 s[8:9], exec, s[46:47]
; %bb.98:                               ;   in Loop: Header=BB322_14 Depth=1
	v_bfe_u32 v55, v56, 16, 1
	v_add3_u32 v55, v56, v55, s57
                                        ; implicit-def: $vgpr56
; %bb.99:                               ;   in Loop: Header=BB322_14 Depth=1
	s_andn2_saveexec_b64 s[46:47], s[8:9]
; %bb.100:                              ;   in Loop: Header=BB322_14 Depth=1
	v_or_b32_e32 v55, 0x10000, v56
	v_cmp_eq_u32_sdwa s[8:9], v56, v17 src0_sel:WORD_0 src1_sel:DWORD
	s_nop 1
	v_cndmask_b32_e64 v55, v55, v56, s[8:9]
; %bb.101:                              ;   in Loop: Header=BB322_14 Depth=1
	s_or_b64 exec, exec, s[46:47]
	global_load_ubyte v56, v[22:23], off offset:1288
	s_waitcnt vmcnt(0)
	v_cvt_f32_fp8_sdwa v56, v56 src0_sel:BYTE_0
	s_nop 0
	v_mul_f32_e32 v57, s58, v56
	v_and_b32_e32 v56, 0x7f800000, v57
	v_cmp_ne_u32_e64 s[8:9], s56, v56
                                        ; implicit-def: $vgpr56
	s_and_saveexec_b64 s[46:47], s[8:9]
	s_xor_b64 s[8:9], exec, s[46:47]
; %bb.102:                              ;   in Loop: Header=BB322_14 Depth=1
	v_bfe_u32 v56, v57, 16, 1
	v_add3_u32 v56, v57, v56, s57
                                        ; implicit-def: $vgpr57
; %bb.103:                              ;   in Loop: Header=BB322_14 Depth=1
	s_andn2_saveexec_b64 s[46:47], s[8:9]
; %bb.104:                              ;   in Loop: Header=BB322_14 Depth=1
	v_or_b32_e32 v56, 0x10000, v57
	v_cmp_eq_u32_sdwa s[8:9], v57, v17 src0_sel:WORD_0 src1_sel:DWORD
	s_nop 1
	v_cndmask_b32_e64 v56, v56, v57, s[8:9]
; %bb.105:                              ;   in Loop: Header=BB322_14 Depth=1
	s_or_b64 exec, exec, s[46:47]
	global_load_ubyte v57, v[22:23], off offset:1408
	s_waitcnt vmcnt(0)
	v_cvt_f32_fp8_sdwa v57, v57 src0_sel:BYTE_0
	s_nop 0
	v_mul_f32_e32 v58, s58, v57
	v_and_b32_e32 v57, 0x7f800000, v58
	v_cmp_ne_u32_e64 s[8:9], s56, v57
                                        ; implicit-def: $vgpr57
	s_and_saveexec_b64 s[46:47], s[8:9]
	s_xor_b64 s[8:9], exec, s[46:47]
; %bb.106:                              ;   in Loop: Header=BB322_14 Depth=1
	v_bfe_u32 v57, v58, 16, 1
	v_add3_u32 v57, v58, v57, s57
                                        ; implicit-def: $vgpr58
; %bb.107:                              ;   in Loop: Header=BB322_14 Depth=1
	s_andn2_saveexec_b64 s[46:47], s[8:9]
; %bb.108:                              ;   in Loop: Header=BB322_14 Depth=1
	v_or_b32_e32 v57, 0x10000, v58
	v_cmp_eq_u32_sdwa s[8:9], v58, v17 src0_sel:WORD_0 src1_sel:DWORD
	s_nop 1
	v_cndmask_b32_e64 v57, v57, v58, s[8:9]
; %bb.109:                              ;   in Loop: Header=BB322_14 Depth=1
	s_or_b64 exec, exec, s[46:47]
	global_load_ubyte v22, v[22:23], off offset:1416
	s_waitcnt vmcnt(0)
	v_cvt_f32_fp8_sdwa v22, v22 src0_sel:BYTE_0
	s_nop 0
	v_mul_f32_e32 v23, s58, v22
	v_and_b32_e32 v22, 0x7f800000, v23
	v_cmp_ne_u32_e64 s[8:9], s56, v22
                                        ; implicit-def: $vgpr22
	s_and_saveexec_b64 s[46:47], s[8:9]
	s_xor_b64 s[8:9], exec, s[46:47]
; %bb.110:                              ;   in Loop: Header=BB322_14 Depth=1
	v_bfe_u32 v22, v23, 16, 1
	v_add3_u32 v22, v23, v22, s57
                                        ; implicit-def: $vgpr23
; %bb.111:                              ;   in Loop: Header=BB322_14 Depth=1
	s_andn2_saveexec_b64 s[46:47], s[8:9]
; %bb.112:                              ;   in Loop: Header=BB322_14 Depth=1
	v_or_b32_e32 v22, 0x10000, v23
	v_cmp_eq_u32_sdwa s[8:9], v23, v17 src0_sel:WORD_0 src1_sel:DWORD
	s_nop 1
	v_cndmask_b32_e64 v22, v22, v23, s[8:9]
; %bb.113:                              ;   in Loop: Header=BB322_14 Depth=1
	s_or_b64 exec, exec, s[46:47]
	v_and_b32_e32 v23, 0xffff0000, v57
	v_and_b32_e32 v36, 0xffff0000, v36
	v_lshlrev_b32_e32 v57, 16, v10
	v_and_b32_e32 v10, 0xffff0000, v10
	v_and_b32_e32 v35, 0xffff0000, v35
	v_mul_f32_e32 v10, v10, v36
	v_and_b32_e32 v37, 0xffff0000, v37
	v_lshlrev_b32_e32 v58, 16, v11
	v_fmac_f32_e32 v10, v57, v35
	v_and_b32_e32 v38, 0xffff0000, v38
	v_and_b32_e32 v11, 0xffff0000, v11
	v_fmac_f32_e32 v10, v58, v37
	v_and_b32_e32 v39, 0xffff0000, v39
	v_lshlrev_b32_e32 v59, 16, v12
	v_fmac_f32_e32 v10, v11, v38
	v_and_b32_e32 v40, 0xffff0000, v40
	v_and_b32_e32 v12, 0xffff0000, v12
	v_fmac_f32_e32 v10, v59, v39
	;; [unrolled: 6-line block ×9, first 2 shown]
	v_and_b32_e32 v55, 0xffff0000, v55
	v_lshlrev_b32_e32 v67, 16, v4
	v_and_b32_e32 v69, 64, v33
	v_fmac_f32_e32 v10, v3, v54
	v_and_b32_e32 v56, 0xffff0000, v56
	v_and_b32_e32 v4, 0xffff0000, v4
	v_add_u32_e32 v69, 64, v69
	v_xor_b32_e32 v70, 4, v33
	v_fmac_f32_e32 v10, v67, v55
	v_lshlrev_b32_e32 v68, 16, v5
	v_cmp_lt_i32_e64 s[8:9], v70, v69
	v_fmac_f32_e32 v10, v4, v56
	v_and_b32_e32 v5, 0xffff0000, v5
	v_cndmask_b32_e64 v70, v33, v70, s[8:9]
	v_and_b32_e32 v22, 0xffff0000, v22
	v_fmac_f32_e32 v10, v68, v23
	v_lshlrev_b32_e32 v70, 2, v70
	v_fmac_f32_e32 v10, v5, v22
	ds_bpermute_b32 v2, v70, v10
	v_xor_b32_e32 v3, 2, v33
	v_cmp_lt_i32_e64 s[8:9], v3, v69
	v_xor_b32_e32 v4, 1, v33
	s_waitcnt lgkmcnt(0)
	v_add_f32_e32 v2, v10, v2
	v_cndmask_b32_e64 v3, v33, v3, s[8:9]
	v_lshlrev_b32_e32 v3, 2, v3
	ds_bpermute_b32 v3, v3, v2
	v_cmp_lt_i32_e64 s[8:9], v4, v69
	s_waitcnt lgkmcnt(0)
	v_add_f32_e32 v2, v2, v3
	v_cndmask_b32_e64 v4, v33, v4, s[8:9]
	v_lshlrev_b32_e32 v4, 2, v4
	ds_bpermute_b32 v3, v4, v2
	s_and_saveexec_b64 s[46:47], vcc
	s_cbranch_execz .LBB322_12
; %bb.114:                              ;   in Loop: Header=BB322_14 Depth=1
	v_add_u32_e32 v4, v32, v30
	v_cvt_f32_i32_e32 v4, v4
	s_waitcnt lgkmcnt(0)
	v_add_f32_e32 v2, v2, v3
	v_add_u32_e32 v5, v26, v30
	v_cmp_gt_i32_e64 s[8:9], s39, v5
	v_mul_f32_e32 v3, s3, v4
	v_cndmask_b32_e64 v3, 0, v3, s[6:7]
	v_fmac_f32_e32 v3, s45, v2
	v_cndmask_b32_e64 v2, 0, v3, s[8:9]
	ds_write_b32 v31, v2
	v_max_f32_e32 v2, v27, v27
	v_max_f32_e32 v2, v2, v3
	v_cndmask_b32_e64 v27, v27, v2, s[8:9]
	s_branch .LBB322_12
.LBB322_115:
	s_or_b64 exec, exec, s[20:21]
.LBB322_116:
	s_or_b64 exec, exec, s[18:19]
	v_mbcnt_hi_u32_b32 v2, -1, v25
	s_waitcnt lgkmcnt(0)
	v_and_b32_e32 v3, 64, v2
	v_add_u32_e32 v3, 64, v3
	v_xor_b32_e32 v4, 32, v2
	v_cmp_lt_i32_e32 vcc, v4, v3
	v_xor_b32_e32 v7, 16, v2
	v_max_f32_e32 v5, v27, v27
	v_cndmask_b32_e32 v4, v2, v4, vcc
	v_lshlrev_b32_e32 v6, 2, v4
	ds_bpermute_b32 v4, v6, v27
	v_cmp_lt_i32_e32 vcc, v7, v3
	v_and_b32_e32 v20, 63, v0
	s_waitcnt lgkmcnt(0)
	v_max_f32_e32 v4, v4, v4
	v_max_f32_e32 v4, v5, v4
	v_cndmask_b32_e32 v5, v2, v7, vcc
	v_lshlrev_b32_e32 v8, 2, v5
	ds_bpermute_b32 v5, v8, v4
	v_xor_b32_e32 v7, 8, v2
	v_cmp_lt_i32_e32 vcc, v7, v3
	s_waitcnt lgkmcnt(0)
	v_max_f32_e32 v5, v5, v5
	v_max_f32_e32 v4, v4, v5
	v_cndmask_b32_e32 v5, v2, v7, vcc
	v_lshlrev_b32_e32 v9, 2, v5
	ds_bpermute_b32 v7, v9, v4
	v_cmp_eq_u32_e32 vcc, 0, v20
	v_lshlrev_b32_e32 v5, 2, v24
	s_and_saveexec_b64 s[6:7], vcc
	s_cbranch_execz .LBB322_118
; %bb.117:
	s_waitcnt lgkmcnt(0)
	v_max_f32_e32 v7, v7, v7
	v_max_f32_e32 v4, v4, v4
	;; [unrolled: 1-line block ×3, first 2 shown]
	ds_write_b32 v5, v4 offset:384
.LBB322_118:
	s_or_b64 exec, exec, s[6:7]
	v_cmp_gt_u32_e64 s[6:7], 2, v20
	v_mov_b32_e32 v4, 0xff7fffff
	s_waitcnt lgkmcnt(0)
	v_lshlrev_b32_e32 v7, 2, v20
	s_barrier
	s_and_saveexec_b64 s[8:9], s[6:7]
	s_cbranch_execz .LBB322_120
; %bb.119:
	ds_read_b32 v4, v7 offset:384
.LBB322_120:
	s_or_b64 exec, exec, s[8:9]
	v_xor_b32_e32 v10, 1, v2
	v_cmp_lt_i32_e64 s[8:9], v10, v3
	s_sub_i32 s3, s28, s52
	s_lshl_b32 s3, s3, 3
	v_cndmask_b32_e64 v10, v2, v10, s[8:9]
	v_lshlrev_b32_e32 v10, 2, v10
	s_waitcnt lgkmcnt(0)
	ds_bpermute_b32 v11, v10, v4
	v_max_f32_e32 v4, v4, v4
	s_add_i32 s3, s3, s51
	s_min_i32 s20, s3, s39
	s_sub_i32 s3, s20, s51
	s_waitcnt lgkmcnt(0)
	v_max_f32_e32 v11, v11, v11
	v_max_f32_e32 v4, v4, v11
	v_lshlrev_b32_e32 v11, 2, v2
	v_and_b32_e32 v11, 0x100, v11
	ds_bpermute_b32 v4, v11, v4
	v_cmp_gt_i32_e64 s[8:9], s3, v0
	v_mov_b32_e32 v12, 0
	s_and_saveexec_b64 s[12:13], s[8:9]
	s_cbranch_execz .LBB322_124
; %bb.121:
	v_mov_b32_e32 v12, 0x190
	v_lshl_add_u32 v13, v0, 2, v12
	s_mov_b64 s[18:19], 0
	v_mov_b32_e32 v12, 0
	v_mov_b32_e32 v16, v0
.LBB322_122:                            ; =>This Inner Loop Header: Depth=1
	ds_read_b32 v17, v13
	v_add_u32_e32 v16, 0x80, v16
	v_cmp_le_i32_e64 s[10:11], s3, v16
	s_or_b64 s[18:19], s[10:11], s[18:19]
	s_waitcnt lgkmcnt(0)
	v_sub_f32_e32 v17, v17, v4
	v_mul_f32_e32 v17, 0x3fb8aa3b, v17
	v_exp_f32_e32 v17, v17
	ds_write_b32 v13, v17
	v_add_f32_e32 v12, v12, v17
	v_add_u32_e32 v13, 0x200, v13
	s_andn2_b64 exec, exec, s[18:19]
	s_cbranch_execnz .LBB322_122
; %bb.123:
	s_or_b64 exec, exec, s[18:19]
.LBB322_124:
	s_or_b64 exec, exec, s[12:13]
	ds_bpermute_b32 v6, v6, v12
	s_waitcnt lgkmcnt(0)
	v_add_f32_e32 v6, v12, v6
	ds_bpermute_b32 v8, v8, v6
	s_waitcnt lgkmcnt(0)
	v_add_f32_e32 v6, v6, v8
	ds_bpermute_b32 v8, v9, v6
	v_xor_b32_e32 v9, 4, v2
	v_cmp_lt_i32_e64 s[10:11], v9, v3
	s_waitcnt lgkmcnt(0)
	v_add_f32_e32 v6, v6, v8
	v_cndmask_b32_e64 v9, v2, v9, s[10:11]
	v_lshlrev_b32_e32 v9, 2, v9
	ds_bpermute_b32 v8, v9, v6
	v_xor_b32_e32 v9, 2, v2
	v_cmp_lt_i32_e64 s[10:11], v9, v3
	s_waitcnt lgkmcnt(0)
	v_add_f32_e32 v3, v6, v8
	v_cndmask_b32_e64 v2, v2, v9, s[10:11]
	v_lshlrev_b32_e32 v2, 2, v2
	ds_bpermute_b32 v2, v2, v3
	s_waitcnt lgkmcnt(0)
	v_add_f32_e32 v2, v3, v2
	ds_bpermute_b32 v3, v10, v2
	s_waitcnt lgkmcnt(0)
	v_add_f32_e32 v2, v2, v3
	s_and_saveexec_b64 s[10:11], vcc
	s_cbranch_execz .LBB322_126
; %bb.125:
	ds_write_b32 v5, v2 offset:392
.LBB322_126:
	s_or_b64 exec, exec, s[10:11]
	s_waitcnt lgkmcnt(0)
	s_barrier
	s_and_saveexec_b64 s[10:11], s[6:7]
	s_cbranch_execz .LBB322_128
; %bb.127:
	ds_read_b32 v2, v7 offset:392
.LBB322_128:
	s_or_b64 exec, exec, s[10:11]
	s_waitcnt lgkmcnt(0)
	ds_bpermute_b32 v3, v10, v2
	s_waitcnt lgkmcnt(0)
	v_add_f32_e32 v2, v2, v3
	ds_bpermute_b32 v5, v11, v2
	s_and_saveexec_b64 s[6:7], s[8:9]
	s_cbranch_execz .LBB322_141
; %bb.129:
	s_waitcnt lgkmcnt(0)
	v_add_f32_e32 v2, 0x358637bd, v5
	v_div_scale_f32 v3, s[8:9], v2, v2, 1.0
	v_rcp_f32_e32 v6, v3
	v_div_scale_f32 v7, vcc, 1.0, v2, 1.0
	s_movk_i32 s8, 0x7f
	v_fma_f32 v8, -v3, v6, 1.0
	v_fmac_f32_e32 v6, v8, v6
	v_mul_f32_e32 v8, v7, v6
	v_fma_f32 v9, -v3, v8, v7
	v_fmac_f32_e32 v8, v9, v6
	v_fma_f32 v3, -v3, v8, v7
	v_div_fmas_f32 v3, v3, v6, v8
	v_div_fixup_f32 v2, v3, v2, 1.0
	v_xad_u32 v3, v0, -1, s20
	v_subrev_u32_e32 v6, s51, v3
	v_cmp_lt_u32_e32 vcc, s8, v6
	s_mov_b64 s[10:11], -1
	v_mov_b32_e32 v3, v0
	s_and_saveexec_b64 s[8:9], vcc
	s_cbranch_execz .LBB322_138
; %bb.130:
	v_lshrrev_b32_e32 v6, 7, v6
	v_add_u32_e32 v8, -1, v6
	v_lshrrev_b32_e32 v7, 1, v8
	v_mov_b32_e32 v3, v2
	v_add_u32_e32 v7, 1, v7
	v_cmp_lt_u32_e32 vcc, 13, v8
	v_mov_b32_e32 v10, 0
	s_and_saveexec_b64 s[10:11], vcc
	s_cbranch_execz .LBB322_134
; %bb.131:
	v_mov_b32_e32 v9, 0x190
	v_and_b32_e32 v8, -8, v7
	v_lshl_add_u32 v9, v0, 2, v9
	s_mov_b32 s18, 0
	s_mov_b64 s[12:13], 0
.LBB322_132:                            ; =>This Inner Loop Header: Depth=1
	ds_read2st64_b32 v[10:11], v9 offset1:2
	ds_read2st64_b32 v[12:13], v9 offset0:4 offset1:6
	ds_read2st64_b32 v[16:17], v9 offset0:8 offset1:10
	;; [unrolled: 1-line block ×3, first 2 shown]
	v_add_u32_e32 v8, -8, v8
	s_waitcnt lgkmcnt(3)
	v_pk_mul_f32 v[10:11], v[2:3], v[10:11]
	s_waitcnt lgkmcnt(2)
	v_pk_mul_f32 v[12:13], v[2:3], v[12:13]
	ds_write2st64_b32 v9, v10, v11 offset1:2
	ds_write2st64_b32 v9, v12, v13 offset0:4 offset1:6
	ds_read2st64_b32 v[12:13], v9 offset0:16 offset1:18
	s_waitcnt lgkmcnt(4)
	v_pk_mul_f32 v[10:11], v[2:3], v[16:17]
	ds_write2st64_b32 v9, v10, v11 offset0:8 offset1:10
	s_waitcnt lgkmcnt(4)
	v_pk_mul_f32 v[10:11], v[2:3], v[18:19]
	ds_write2st64_b32 v9, v10, v11 offset0:12 offset1:14
	ds_read2st64_b32 v[10:11], v9 offset0:20 offset1:22
	s_waitcnt lgkmcnt(3)
	v_pk_mul_f32 v[12:13], v[2:3], v[12:13]
	ds_read2st64_b32 v[16:17], v9 offset0:24 offset1:26
	ds_write2st64_b32 v9, v12, v13 offset0:16 offset1:18
	ds_read2st64_b32 v[12:13], v9 offset0:28 offset1:30
	s_waitcnt lgkmcnt(3)
	v_pk_mul_f32 v[10:11], v[2:3], v[10:11]
	ds_write2st64_b32 v9, v10, v11 offset0:20 offset1:22
	s_waitcnt lgkmcnt(3)
	v_pk_mul_f32 v[10:11], v[2:3], v[16:17]
	ds_write2st64_b32 v9, v10, v11 offset0:24 offset1:26
	s_waitcnt lgkmcnt(2)
	v_pk_mul_f32 v[10:11], v[2:3], v[12:13]
	s_add_i32 s18, s18, 16
	v_cmp_eq_u32_e32 vcc, 0, v8
	ds_write2st64_b32 v9, v10, v11 offset0:28 offset1:30
	v_add_u32_e32 v9, 0x2000, v9
	s_or_b64 s[12:13], vcc, s[12:13]
	v_mov_b32_e32 v10, s18
	s_andn2_b64 exec, exec, s[12:13]
	s_cbranch_execnz .LBB322_132
; %bb.133:
	s_or_b64 exec, exec, s[12:13]
.LBB322_134:
	s_or_b64 exec, exec, s[10:11]
	v_and_b32_e32 v7, 7, v7
	v_cmp_ne_u32_e32 vcc, 0, v7
	s_and_saveexec_b64 s[10:11], vcc
	s_cbranch_execz .LBB322_137
; %bb.135:
	v_lshlrev_b32_e32 v8, 9, v10
	v_lshlrev_b32_e32 v9, 2, v0
	s_movk_i32 s12, 0x190
	v_add3_u32 v8, v8, v9, s12
	s_mov_b64 s[12:13], 0
.LBB322_136:                            ; =>This Inner Loop Header: Depth=1
	ds_read2st64_b32 v[10:11], v8 offset1:2
	v_add_u32_e32 v7, -1, v7
	v_cmp_eq_u32_e32 vcc, 0, v7
	s_or_b64 s[12:13], vcc, s[12:13]
	s_waitcnt lgkmcnt(0)
	v_pk_mul_f32 v[10:11], v[2:3], v[10:11]
	ds_write2st64_b32 v8, v10, v11 offset1:2
	v_add_u32_e32 v8, 0x400, v8
	s_andn2_b64 exec, exec, s[12:13]
	s_cbranch_execnz .LBB322_136
.LBB322_137:
	s_or_b64 exec, exec, s[10:11]
	v_add_u32_e32 v6, 1, v6
	v_and_b32_e32 v7, 0x3fffffe, v6
	v_cmp_ne_u32_e32 vcc, v6, v7
	v_lshl_add_u32 v3, v7, 7, v0
	s_orn2_b64 s[10:11], vcc, exec
.LBB322_138:
	s_or_b64 exec, exec, s[8:9]
	s_and_b64 exec, exec, s[10:11]
	s_cbranch_execz .LBB322_141
; %bb.139:
	v_mov_b32_e32 v6, 0x190
	v_lshl_add_u32 v6, v3, 2, v6
	s_mov_b64 s[8:9], 0
.LBB322_140:                            ; =>This Inner Loop Header: Depth=1
	ds_read_b32 v7, v6
	v_add_u32_e32 v3, 0x80, v3
	v_cmp_le_i32_e32 vcc, s3, v3
	s_or_b64 s[8:9], vcc, s[8:9]
	s_waitcnt lgkmcnt(0)
	v_mul_f32_e32 v7, v2, v7
	ds_write_b32 v6, v7
	v_add_u32_e32 v6, 0x200, v6
	s_andn2_b64 exec, exec, s[8:9]
	s_cbranch_execnz .LBB322_140
.LBB322_141:
	s_or_b64 exec, exec, s[6:7]
	s_mul_i32 s3, s33, s38
	v_cmp_eq_u32_e32 vcc, 0, v0
	s_mul_i32 s6, s3, s5
	s_waitcnt lgkmcnt(0)
	s_barrier
	s_and_saveexec_b64 s[8:9], vcc
	s_cbranch_execz .LBB322_143
; %bb.142:
	s_ashr_i32 s7, s6, 31
	s_lshl_b64 s[10:11], s[6:7], 2
	s_add_u32 s5, s26, s10
	s_mul_i32 s2, s33, s2
	s_addc_u32 s7, s27, s11
	s_ashr_i32 s3, s2, 31
	s_lshl_b64 s[2:3], s[2:3], 2
	s_add_u32 s18, s5, s2
	s_addc_u32 s7, s7, s3
	s_ashr_i32 s5, s4, 31
	s_lshl_b64 s[12:13], s[4:5], 2
	s_add_u32 s18, s18, s12
	s_addc_u32 s19, s7, s13
	s_add_u32 s5, s24, s10
	s_addc_u32 s7, s25, s11
	;; [unrolled: 2-line block ×3, first 2 shown]
	s_add_u32 s2, s2, s12
	v_mov_b32_e32 v2, 0
	s_addc_u32 s3, s3, s13
	global_store_dword v2, v4, s[18:19]
	global_store_dword v2, v5, s[2:3]
.LBB322_143:
	s_or_b64 exec, exec, s[8:9]
	v_mov_b32_e32 v10, 0
	v_mov_b32_e32 v13, v10
	;; [unrolled: 1-line block ×3, first 2 shown]
	s_and_saveexec_b64 s[2:3], s[0:1]
	s_cbranch_execz .LBB322_379
; %bb.144:
	s_sub_i32 s5, s49, s29
	s_ashr_i32 s1, s50, 31
	s_add_u32 s0, s22, s50
	s_addc_u32 s1, s23, s1
	s_abs_i32 s7, s30
	v_cvt_f32_u32_e32 v2, s7
	s_sub_i32 s10, 0, s7
	v_lshlrev_b32_e32 v10, 3, v20
	v_mov_b32_e32 v11, 0
	v_rcp_iflag_f32_e32 v2, v2
	s_add_i32 s18, s48, -1
	s_lshl_b64 s[8:9], s[42:43], 2
	v_lshl_add_u64 v[16:17], s[0:1], 0, v[10:11]
	v_mul_f32_e32 v2, 0x4f7ffffe, v2
	v_cvt_u32_f32_e32 v2, v2
	s_add_u32 s0, s40, s8
	s_addc_u32 s1, s41, s9
	v_lshl_add_u64 v[18:19], v[14:15], 2, s[0:1]
	v_mul_lo_u32 v3, s10, v2
	v_mul_hi_u32 v3, v2, v3
	v_add_u32_e32 v21, v2, v3
	v_mov_b32_e32 v2, 0x190
	v_lshl_add_u32 v15, v24, 5, v2
	s_mov_b64 s[8:9], 0
	s_mov_b32 s19, 0x7f800000
	s_movk_i32 s20, 0x7fff
	v_mov_b32_e32 v12, 0
	v_mov_b32_e32 v13, 0
	;; [unrolled: 1-line block ×3, first 2 shown]
	s_branch .LBB322_147
.LBB322_145:                            ;   in Loop: Header=BB322_147 Depth=1
	s_or_b64 exec, exec, s[0:1]
	v_and_b32_e32 v37, 0xffff0000, v42
	v_and_b32_e32 v36, 0xffff0000, v5
	;; [unrolled: 1-line block ×8, first 2 shown]
	v_pk_add_f32 v[4:5], v[4:5], v[36:37]
	v_pk_add_f32 v[32:33], v[34:35], v[32:33]
	v_add_f32_e32 v4, v4, v5
	v_add_f32_e32 v4, v4, v32
	;; [unrolled: 1-line block ×4, first 2 shown]
	v_and_b32_e32 v5, 0xffff0000, v25
	v_and_b32_e32 v4, 0xffff0000, v23
	;; [unrolled: 1-line block ×8, first 2 shown]
	v_pk_add_f32 v[6:7], v[6:7], v[24:25]
	v_pk_add_f32 v[4:5], v[22:23], v[4:5]
	v_add_f32_e32 v6, v6, v7
	v_add_f32_e32 v4, v6, v4
	;; [unrolled: 1-line block ×3, first 2 shown]
	v_and_b32_e32 v5, 0xffff0000, v3
	v_and_b32_e32 v9, 0xffff0000, v28
	v_and_b32_e32 v8, 0xffff0000, v26
	v_and_b32_e32 v3, 0xffff0000, v27
	v_and_b32_e32 v2, 0xffff0000, v2
	v_add_f32_e32 v12, v12, v4
	v_and_b32_e32 v4, 0xffff0000, v30
	v_and_b32_e32 v7, 0xffff0000, v31
	;; [unrolled: 1-line block ×3, first 2 shown]
	v_pk_add_f32 v[2:3], v[2:3], v[8:9]
	v_pk_add_f32 v[4:5], v[6:7], v[4:5]
	v_add_f32_e32 v2, v2, v3
	v_add_f32_e32 v2, v2, v4
	v_add_f32_e32 v2, v2, v5
	v_add_f32_e32 v10, v10, v2
.LBB322_146:                            ;   in Loop: Header=BB322_147 Depth=1
	s_or_b64 exec, exec, s[10:11]
	v_add_u32_e32 v14, 2, v14
	v_cmp_le_i32_e32 vcc, s28, v14
	v_lshl_add_u64 v[18:19], v[18:19], 0, 8
	v_add_u32_e32 v1, 16, v1
	s_or_b64 s[8:9], vcc, s[8:9]
	v_add_u32_e32 v15, 64, v15
	s_andn2_b64 exec, exec, s[8:9]
	s_cbranch_execz .LBB322_378
.LBB322_147:                            ; =>This Inner Loop Header: Depth=1
	v_sub_u32_e32 v3, 0, v1
	v_max_i32_e32 v3, v1, v3
	v_mul_hi_u32 v4, v3, s37
	v_mul_lo_u32 v5, v4, s16
	v_sub_u32_e32 v3, v3, v5
	v_add_u32_e32 v5, 1, v4
	v_cmp_le_u32_e32 vcc, s16, v3
	v_ashrrev_i32_e32 v2, 31, v1
	v_xor_b32_e32 v2, s31, v2
	v_cndmask_b32_e32 v4, v4, v5, vcc
	v_subrev_u32_e32 v5, s16, v3
	v_cndmask_b32_e32 v3, v3, v5, vcc
	v_add_u32_e32 v5, 1, v4
	v_cmp_le_u32_e32 vcc, s16, v3
	s_nop 1
	v_cndmask_b32_e32 v3, v4, v5, vcc
	v_xor_b32_e32 v3, v3, v2
	v_sub_u32_e32 v2, v3, v2
	v_add_u32_e32 v3, s44, v2
	v_sub_u32_e32 v5, 0, v3
	v_ashrrev_i32_e32 v4, 31, v3
	v_max_i32_e32 v3, v3, v5
	v_mul_hi_u32 v5, v3, v21
	v_mul_lo_u32 v5, v5, s7
	v_sub_u32_e32 v3, v3, v5
	v_subrev_u32_e32 v5, s7, v3
	v_cmp_le_u32_e32 vcc, s7, v3
	v_cmp_lt_i32_e64 s[0:1], s5, v2
	s_nop 0
	v_cndmask_b32_e32 v3, v3, v5, vcc
	v_subrev_u32_e32 v5, s7, v3
	v_cmp_le_u32_e32 vcc, s7, v3
	s_nop 1
	v_cndmask_b32_e32 v3, v3, v5, vcc
	v_xor_b32_e32 v3, v3, v4
	v_sub_u32_e32 v3, v3, v4
	v_cmp_eq_u32_e32 vcc, 0, v3
	s_or_b64 s[0:1], vcc, s[0:1]
	s_and_saveexec_b64 s[10:11], s[0:1]
	s_cbranch_execz .LBB322_146
; %bb.148:                              ;   in Loop: Header=BB322_147 Depth=1
	global_load_dword v26, v[18:19], off
	ds_read2_b64 v[6:9], v15 offset1:1
	ds_read2_b64 v[2:5], v15 offset0:2 offset1:3
                                        ; implicit-def: $vgpr33
	s_waitcnt lgkmcnt(1)
	v_and_b32_e32 v22, 0x7f800000, v6
	v_cmp_ne_u32_e32 vcc, s19, v22
	s_and_saveexec_b64 s[0:1], vcc
	s_xor_b64 s[0:1], exec, s[0:1]
; %bb.149:                              ;   in Loop: Header=BB322_147 Depth=1
	v_bfe_u32 v22, v6, 16, 1
	v_add3_u32 v33, v6, v22, s20
; %bb.150:                              ;   in Loop: Header=BB322_147 Depth=1
	s_andn2_saveexec_b64 s[0:1], s[0:1]
; %bb.151:                              ;   in Loop: Header=BB322_147 Depth=1
	v_or_b32_e32 v22, 0x10000, v6
	v_cmp_eq_u32_sdwa vcc, v6, v11 src0_sel:WORD_0 src1_sel:DWORD
	s_nop 1
	v_cndmask_b32_e32 v33, v22, v6, vcc
; %bb.152:                              ;   in Loop: Header=BB322_147 Depth=1
	s_or_b64 exec, exec, s[0:1]
	v_and_b32_e32 v6, 0x7f800000, v7
	v_cmp_ne_u32_e32 vcc, s19, v6
                                        ; implicit-def: $vgpr34
	s_and_saveexec_b64 s[0:1], vcc
	s_xor_b64 s[0:1], exec, s[0:1]
; %bb.153:                              ;   in Loop: Header=BB322_147 Depth=1
	v_bfe_u32 v6, v7, 16, 1
	v_add3_u32 v34, v7, v6, s20
; %bb.154:                              ;   in Loop: Header=BB322_147 Depth=1
	s_andn2_saveexec_b64 s[0:1], s[0:1]
; %bb.155:                              ;   in Loop: Header=BB322_147 Depth=1
	v_or_b32_e32 v6, 0x10000, v7
	v_cmp_eq_u32_sdwa vcc, v7, v11 src0_sel:WORD_0 src1_sel:DWORD
	s_nop 1
	v_cndmask_b32_e32 v34, v6, v7, vcc
; %bb.156:                              ;   in Loop: Header=BB322_147 Depth=1
	s_or_b64 exec, exec, s[0:1]
	v_and_b32_e32 v6, 0x7f800000, v8
	v_cmp_ne_u32_e32 vcc, s19, v6
                                        ; implicit-def: $vgpr35
	s_and_saveexec_b64 s[0:1], vcc
	s_xor_b64 s[0:1], exec, s[0:1]
; %bb.157:                              ;   in Loop: Header=BB322_147 Depth=1
	v_bfe_u32 v6, v8, 16, 1
	v_add3_u32 v35, v8, v6, s20
; %bb.158:                              ;   in Loop: Header=BB322_147 Depth=1
	s_andn2_saveexec_b64 s[0:1], s[0:1]
; %bb.159:                              ;   in Loop: Header=BB322_147 Depth=1
	v_or_b32_e32 v6, 0x10000, v8
	v_cmp_eq_u32_sdwa vcc, v8, v11 src0_sel:WORD_0 src1_sel:DWORD
	s_nop 1
	v_cndmask_b32_e32 v35, v6, v8, vcc
; %bb.160:                              ;   in Loop: Header=BB322_147 Depth=1
	s_or_b64 exec, exec, s[0:1]
	v_and_b32_e32 v6, 0x7f800000, v9
	v_cmp_ne_u32_e32 vcc, s19, v6
                                        ; implicit-def: $vgpr36
	s_and_saveexec_b64 s[0:1], vcc
	s_xor_b64 s[0:1], exec, s[0:1]
; %bb.161:                              ;   in Loop: Header=BB322_147 Depth=1
	v_bfe_u32 v6, v9, 16, 1
	v_add3_u32 v36, v9, v6, s20
                                        ; implicit-def: $vgpr6_vgpr7_vgpr8_vgpr9
; %bb.162:                              ;   in Loop: Header=BB322_147 Depth=1
	s_andn2_saveexec_b64 s[0:1], s[0:1]
; %bb.163:                              ;   in Loop: Header=BB322_147 Depth=1
	v_or_b32_e32 v6, 0x10000, v9
	v_cmp_eq_u32_sdwa vcc, v9, v11 src0_sel:WORD_0 src1_sel:DWORD
	s_nop 1
	v_cndmask_b32_e32 v36, v6, v9, vcc
; %bb.164:                              ;   in Loop: Header=BB322_147 Depth=1
	s_or_b64 exec, exec, s[0:1]
	s_waitcnt lgkmcnt(0)
	v_and_b32_e32 v6, 0x7f800000, v2
	v_cmp_ne_u32_e32 vcc, s19, v6
                                        ; implicit-def: $vgpr22
	s_and_saveexec_b64 s[0:1], vcc
	s_xor_b64 s[0:1], exec, s[0:1]
; %bb.165:                              ;   in Loop: Header=BB322_147 Depth=1
	v_bfe_u32 v6, v2, 16, 1
	v_add3_u32 v22, v2, v6, s20
; %bb.166:                              ;   in Loop: Header=BB322_147 Depth=1
	s_andn2_saveexec_b64 s[0:1], s[0:1]
; %bb.167:                              ;   in Loop: Header=BB322_147 Depth=1
	v_or_b32_e32 v6, 0x10000, v2
	v_cmp_eq_u32_sdwa vcc, v2, v11 src0_sel:WORD_0 src1_sel:DWORD
	s_nop 1
	v_cndmask_b32_e32 v22, v6, v2, vcc
; %bb.168:                              ;   in Loop: Header=BB322_147 Depth=1
	s_or_b64 exec, exec, s[0:1]
	v_and_b32_e32 v2, 0x7f800000, v3
	v_cmp_ne_u32_e32 vcc, s19, v2
                                        ; implicit-def: $vgpr23
	s_and_saveexec_b64 s[0:1], vcc
	s_xor_b64 s[0:1], exec, s[0:1]
; %bb.169:                              ;   in Loop: Header=BB322_147 Depth=1
	v_bfe_u32 v2, v3, 16, 1
	v_add3_u32 v23, v3, v2, s20
; %bb.170:                              ;   in Loop: Header=BB322_147 Depth=1
	s_andn2_saveexec_b64 s[0:1], s[0:1]
; %bb.171:                              ;   in Loop: Header=BB322_147 Depth=1
	v_or_b32_e32 v2, 0x10000, v3
	v_cmp_eq_u32_sdwa vcc, v3, v11 src0_sel:WORD_0 src1_sel:DWORD
	s_nop 1
	v_cndmask_b32_e32 v23, v2, v3, vcc
; %bb.172:                              ;   in Loop: Header=BB322_147 Depth=1
	s_or_b64 exec, exec, s[0:1]
	v_and_b32_e32 v2, 0x7f800000, v4
	v_cmp_ne_u32_e32 vcc, s19, v2
                                        ; implicit-def: $vgpr24
	s_and_saveexec_b64 s[0:1], vcc
	s_xor_b64 s[0:1], exec, s[0:1]
; %bb.173:                              ;   in Loop: Header=BB322_147 Depth=1
	v_bfe_u32 v2, v4, 16, 1
	v_add3_u32 v24, v4, v2, s20
; %bb.174:                              ;   in Loop: Header=BB322_147 Depth=1
	s_andn2_saveexec_b64 s[0:1], s[0:1]
; %bb.175:                              ;   in Loop: Header=BB322_147 Depth=1
	v_or_b32_e32 v2, 0x10000, v4
	v_cmp_eq_u32_sdwa vcc, v4, v11 src0_sel:WORD_0 src1_sel:DWORD
	s_nop 1
	v_cndmask_b32_e32 v24, v2, v4, vcc
; %bb.176:                              ;   in Loop: Header=BB322_147 Depth=1
	s_or_b64 exec, exec, s[0:1]
	v_and_b32_e32 v2, 0x7f800000, v5
	v_cmp_ne_u32_e32 vcc, s19, v2
                                        ; implicit-def: $vgpr25
	s_and_saveexec_b64 s[0:1], vcc
	s_xor_b64 s[0:1], exec, s[0:1]
; %bb.177:                              ;   in Loop: Header=BB322_147 Depth=1
	v_bfe_u32 v2, v5, 16, 1
	v_add3_u32 v25, v5, v2, s20
                                        ; implicit-def: $vgpr2_vgpr3_vgpr4_vgpr5
; %bb.178:                              ;   in Loop: Header=BB322_147 Depth=1
	s_andn2_saveexec_b64 s[0:1], s[0:1]
; %bb.179:                              ;   in Loop: Header=BB322_147 Depth=1
	v_or_b32_e32 v2, 0x10000, v5
	v_cmp_eq_u32_sdwa vcc, v5, v11 src0_sel:WORD_0 src1_sel:DWORD
	s_nop 1
	v_cndmask_b32_e32 v25, v2, v5, vcc
; %bb.180:                              ;   in Loop: Header=BB322_147 Depth=1
	s_or_b64 exec, exec, s[0:1]
	s_waitcnt vmcnt(0)
	v_mad_i64_i32 v[2:3], s[0:1], v26, s17, v[16:17]
	global_load_dwordx2 v[4:5], v[2:3], off
	s_load_dword s21, s[14:15], 0x0
	s_waitcnt vmcnt(0)
	v_and_b32_e32 v6, 0xff, v4
	v_cvt_f32_fp8_sdwa v6, v6 src0_sel:BYTE_0
	s_waitcnt lgkmcnt(0)
	v_mul_f32_e32 v7, s21, v6
	v_and_b32_e32 v6, 0x7f800000, v7
	v_cmp_ne_u32_e32 vcc, s19, v6
                                        ; implicit-def: $vgpr6
	s_and_saveexec_b64 s[0:1], vcc
	s_xor_b64 s[0:1], exec, s[0:1]
; %bb.181:                              ;   in Loop: Header=BB322_147 Depth=1
	v_bfe_u32 v6, v7, 16, 1
	v_add3_u32 v6, v7, v6, s20
                                        ; implicit-def: $vgpr7
; %bb.182:                              ;   in Loop: Header=BB322_147 Depth=1
	s_andn2_saveexec_b64 s[0:1], s[0:1]
; %bb.183:                              ;   in Loop: Header=BB322_147 Depth=1
	v_or_b32_e32 v6, 0x10000, v7
	v_cmp_eq_u32_sdwa vcc, v7, v11 src0_sel:WORD_0 src1_sel:DWORD
	s_nop 1
	v_cndmask_b32_e32 v6, v6, v7, vcc
; %bb.184:                              ;   in Loop: Header=BB322_147 Depth=1
	s_or_b64 exec, exec, s[0:1]
	v_bfe_u32 v7, v4, 8, 8
	v_cvt_f32_fp8_sdwa v7, v7 src0_sel:BYTE_0
	s_nop 0
	v_mul_f32_e32 v8, s21, v7
	v_and_b32_e32 v7, 0x7f800000, v8
	v_cmp_ne_u32_e32 vcc, s19, v7
                                        ; implicit-def: $vgpr7
	s_and_saveexec_b64 s[0:1], vcc
	s_xor_b64 s[0:1], exec, s[0:1]
; %bb.185:                              ;   in Loop: Header=BB322_147 Depth=1
	v_bfe_u32 v7, v8, 16, 1
	v_add3_u32 v7, v8, v7, s20
                                        ; implicit-def: $vgpr8
; %bb.186:                              ;   in Loop: Header=BB322_147 Depth=1
	s_andn2_saveexec_b64 s[0:1], s[0:1]
; %bb.187:                              ;   in Loop: Header=BB322_147 Depth=1
	v_or_b32_e32 v7, 0x10000, v8
	v_cmp_eq_u32_sdwa vcc, v8, v11 src0_sel:WORD_0 src1_sel:DWORD
	s_nop 1
	v_cndmask_b32_e32 v7, v7, v8, vcc
; %bb.188:                              ;   in Loop: Header=BB322_147 Depth=1
	s_or_b64 exec, exec, s[0:1]
	v_bfe_u32 v8, v4, 16, 8
	v_cvt_f32_fp8_sdwa v8, v8 src0_sel:BYTE_0
	s_nop 0
	v_mul_f32_e32 v9, s21, v8
	v_and_b32_e32 v8, 0x7f800000, v9
	v_cmp_ne_u32_e32 vcc, s19, v8
                                        ; implicit-def: $vgpr8
	s_and_saveexec_b64 s[0:1], vcc
	s_xor_b64 s[0:1], exec, s[0:1]
; %bb.189:                              ;   in Loop: Header=BB322_147 Depth=1
	v_bfe_u32 v8, v9, 16, 1
	v_add3_u32 v8, v9, v8, s20
                                        ; implicit-def: $vgpr9
; %bb.190:                              ;   in Loop: Header=BB322_147 Depth=1
	s_andn2_saveexec_b64 s[0:1], s[0:1]
; %bb.191:                              ;   in Loop: Header=BB322_147 Depth=1
	v_or_b32_e32 v8, 0x10000, v9
	v_cmp_eq_u32_sdwa vcc, v9, v11 src0_sel:WORD_0 src1_sel:DWORD
	s_nop 1
	v_cndmask_b32_e32 v8, v8, v9, vcc
; %bb.192:                              ;   in Loop: Header=BB322_147 Depth=1
	s_or_b64 exec, exec, s[0:1]
	v_lshrrev_b32_e32 v4, 24, v4
	v_cvt_f32_fp8_sdwa v4, v4 src0_sel:BYTE_0
	s_nop 0
	v_mul_f32_e32 v9, s21, v4
	v_and_b32_e32 v4, 0x7f800000, v9
	v_cmp_ne_u32_e32 vcc, s19, v4
                                        ; implicit-def: $vgpr4
	s_and_saveexec_b64 s[0:1], vcc
	s_xor_b64 s[0:1], exec, s[0:1]
; %bb.193:                              ;   in Loop: Header=BB322_147 Depth=1
	v_bfe_u32 v4, v9, 16, 1
	v_add3_u32 v4, v9, v4, s20
                                        ; implicit-def: $vgpr9
; %bb.194:                              ;   in Loop: Header=BB322_147 Depth=1
	s_andn2_saveexec_b64 s[0:1], s[0:1]
; %bb.195:                              ;   in Loop: Header=BB322_147 Depth=1
	v_or_b32_e32 v4, 0x10000, v9
	v_cmp_eq_u32_sdwa vcc, v9, v11 src0_sel:WORD_0 src1_sel:DWORD
	s_nop 1
	v_cndmask_b32_e32 v4, v4, v9, vcc
; %bb.196:                              ;   in Loop: Header=BB322_147 Depth=1
	s_or_b64 exec, exec, s[0:1]
	v_and_b32_e32 v9, 0xff, v5
	v_cvt_f32_fp8_sdwa v9, v9 src0_sel:BYTE_0
	s_nop 0
	v_mul_f32_e32 v26, s21, v9
	v_and_b32_e32 v9, 0x7f800000, v26
	v_cmp_ne_u32_e32 vcc, s19, v9
                                        ; implicit-def: $vgpr9
	s_and_saveexec_b64 s[0:1], vcc
	s_xor_b64 s[0:1], exec, s[0:1]
; %bb.197:                              ;   in Loop: Header=BB322_147 Depth=1
	v_bfe_u32 v9, v26, 16, 1
	v_add3_u32 v9, v26, v9, s20
                                        ; implicit-def: $vgpr26
; %bb.198:                              ;   in Loop: Header=BB322_147 Depth=1
	s_andn2_saveexec_b64 s[0:1], s[0:1]
; %bb.199:                              ;   in Loop: Header=BB322_147 Depth=1
	v_or_b32_e32 v9, 0x10000, v26
	v_cmp_eq_u32_sdwa vcc, v26, v11 src0_sel:WORD_0 src1_sel:DWORD
	s_nop 1
	v_cndmask_b32_e32 v9, v9, v26, vcc
; %bb.200:                              ;   in Loop: Header=BB322_147 Depth=1
	s_or_b64 exec, exec, s[0:1]
	v_bfe_u32 v26, v5, 8, 8
	v_cvt_f32_fp8_sdwa v26, v26 src0_sel:BYTE_0
	s_nop 0
	v_mul_f32_e32 v27, s21, v26
	v_and_b32_e32 v26, 0x7f800000, v27
	v_cmp_ne_u32_e32 vcc, s19, v26
                                        ; implicit-def: $vgpr26
	s_and_saveexec_b64 s[0:1], vcc
	s_xor_b64 s[0:1], exec, s[0:1]
; %bb.201:                              ;   in Loop: Header=BB322_147 Depth=1
	v_bfe_u32 v26, v27, 16, 1
	v_add3_u32 v26, v27, v26, s20
                                        ; implicit-def: $vgpr27
; %bb.202:                              ;   in Loop: Header=BB322_147 Depth=1
	s_andn2_saveexec_b64 s[0:1], s[0:1]
; %bb.203:                              ;   in Loop: Header=BB322_147 Depth=1
	v_or_b32_e32 v26, 0x10000, v27
	v_cmp_eq_u32_sdwa vcc, v27, v11 src0_sel:WORD_0 src1_sel:DWORD
	s_nop 1
	v_cndmask_b32_e32 v26, v26, v27, vcc
; %bb.204:                              ;   in Loop: Header=BB322_147 Depth=1
	s_or_b64 exec, exec, s[0:1]
	v_bfe_u32 v27, v5, 16, 8
	v_cvt_f32_fp8_sdwa v27, v27 src0_sel:BYTE_0
	s_nop 0
	v_mul_f32_e32 v28, s21, v27
	v_and_b32_e32 v27, 0x7f800000, v28
	v_cmp_ne_u32_e32 vcc, s19, v27
                                        ; implicit-def: $vgpr27
	s_and_saveexec_b64 s[0:1], vcc
	s_xor_b64 s[0:1], exec, s[0:1]
; %bb.205:                              ;   in Loop: Header=BB322_147 Depth=1
	v_bfe_u32 v27, v28, 16, 1
	v_add3_u32 v27, v28, v27, s20
                                        ; implicit-def: $vgpr28
; %bb.206:                              ;   in Loop: Header=BB322_147 Depth=1
	s_andn2_saveexec_b64 s[0:1], s[0:1]
; %bb.207:                              ;   in Loop: Header=BB322_147 Depth=1
	v_or_b32_e32 v27, 0x10000, v28
	v_cmp_eq_u32_sdwa vcc, v28, v11 src0_sel:WORD_0 src1_sel:DWORD
	s_nop 1
	v_cndmask_b32_e32 v27, v27, v28, vcc
; %bb.208:                              ;   in Loop: Header=BB322_147 Depth=1
	s_or_b64 exec, exec, s[0:1]
	v_lshrrev_b32_e32 v5, 24, v5
	v_cvt_f32_fp8_sdwa v5, v5 src0_sel:BYTE_0
	s_nop 0
	v_mul_f32_e32 v5, s21, v5
	v_and_b32_e32 v28, 0x7f800000, v5
	v_cmp_ne_u32_e32 vcc, s19, v28
                                        ; implicit-def: $vgpr28
	s_and_saveexec_b64 s[0:1], vcc
	s_xor_b64 s[0:1], exec, s[0:1]
; %bb.209:                              ;   in Loop: Header=BB322_147 Depth=1
	v_bfe_u32 v28, v5, 16, 1
	v_add3_u32 v28, v5, v28, s20
                                        ; implicit-def: $vgpr5
; %bb.210:                              ;   in Loop: Header=BB322_147 Depth=1
	s_andn2_saveexec_b64 s[0:1], s[0:1]
; %bb.211:                              ;   in Loop: Header=BB322_147 Depth=1
	v_or_b32_e32 v28, 0x10000, v5
	v_cmp_eq_u32_sdwa vcc, v5, v11 src0_sel:WORD_0 src1_sel:DWORD
	s_nop 1
	v_cndmask_b32_e32 v28, v28, v5, vcc
; %bb.212:                              ;   in Loop: Header=BB322_147 Depth=1
	s_or_b64 exec, exec, s[0:1]
	v_cmp_eq_u32_e32 vcc, s18, v14
	v_lshrrev_b32_e32 v39, 16, v26
	v_lshrrev_b32_e32 v38, 16, v9
	;; [unrolled: 1-line block ×8, first 2 shown]
	v_add_u32_e32 v32, 1, v1
	v_add_u32_e32 v31, 2, v1
	;; [unrolled: 1-line block ×7, first 2 shown]
	s_and_saveexec_b64 s[12:13], vcc
	s_cbranch_execz .LBB322_214
; %bb.213:                              ;   in Loop: Header=BB322_147 Depth=1
	v_cmp_gt_i32_e64 s[0:1], s39, v1
	s_nop 1
	v_cndmask_b32_e64 v6, 0, v6, s[0:1]
	v_cmp_gt_i32_e64 s[0:1], s39, v32
	s_nop 1
	v_cndmask_b32_e64 v7, 0, v7, s[0:1]
	;; [unrolled: 3-line block ×8, first 2 shown]
.LBB322_214:                            ;   in Loop: Header=BB322_147 Depth=1
	s_or_b64 exec, exec, s[12:13]
	v_and_b32_e32 v33, 0xffff0000, v33
	v_lshlrev_b32_e32 v6, 16, v6
	v_mul_f32_e32 v37, v33, v6
	v_and_b32_e32 v6, 0x7f800000, v37
	v_cmp_ne_u32_e64 s[0:1], s19, v6
                                        ; implicit-def: $vgpr6
	s_and_saveexec_b64 s[12:13], s[0:1]
	s_xor_b64 s[0:1], exec, s[12:13]
; %bb.215:                              ;   in Loop: Header=BB322_147 Depth=1
	v_bfe_u32 v6, v37, 16, 1
	v_add3_u32 v6, v37, v6, s20
                                        ; implicit-def: $vgpr37
; %bb.216:                              ;   in Loop: Header=BB322_147 Depth=1
	s_andn2_saveexec_b64 s[12:13], s[0:1]
; %bb.217:                              ;   in Loop: Header=BB322_147 Depth=1
	v_or_b32_e32 v6, 0x10000, v37
	v_cmp_eq_u32_sdwa s[0:1], v37, v11 src0_sel:WORD_0 src1_sel:DWORD
	s_nop 1
	v_cndmask_b32_e64 v6, v6, v37, s[0:1]
; %bb.218:                              ;   in Loop: Header=BB322_147 Depth=1
	s_or_b64 exec, exec, s[12:13]
	v_and_b32_e32 v34, 0xffff0000, v34
	v_lshlrev_b32_e32 v7, 16, v7
	v_mul_f32_e32 v37, v34, v7
	v_and_b32_e32 v7, 0x7f800000, v37
	v_cmp_ne_u32_e64 s[0:1], s19, v7
                                        ; implicit-def: $vgpr7
	s_and_saveexec_b64 s[12:13], s[0:1]
	s_xor_b64 s[0:1], exec, s[12:13]
; %bb.219:                              ;   in Loop: Header=BB322_147 Depth=1
	v_bfe_u32 v7, v37, 16, 1
	v_add3_u32 v7, v37, v7, s20
                                        ; implicit-def: $vgpr37
; %bb.220:                              ;   in Loop: Header=BB322_147 Depth=1
	s_andn2_saveexec_b64 s[12:13], s[0:1]
; %bb.221:                              ;   in Loop: Header=BB322_147 Depth=1
	v_or_b32_e32 v7, 0x10000, v37
	v_cmp_eq_u32_sdwa s[0:1], v37, v11 src0_sel:WORD_0 src1_sel:DWORD
	s_nop 1
	v_cndmask_b32_e64 v7, v7, v37, s[0:1]
; %bb.222:                              ;   in Loop: Header=BB322_147 Depth=1
	s_or_b64 exec, exec, s[12:13]
	v_and_b32_e32 v35, 0xffff0000, v35
	v_lshlrev_b32_e32 v8, 16, v8
	v_mul_f32_e32 v37, v35, v8
	v_and_b32_e32 v8, 0x7f800000, v37
	v_cmp_ne_u32_e64 s[0:1], s19, v8
                                        ; implicit-def: $vgpr8
	s_and_saveexec_b64 s[12:13], s[0:1]
	s_xor_b64 s[0:1], exec, s[12:13]
; %bb.223:                              ;   in Loop: Header=BB322_147 Depth=1
	v_bfe_u32 v8, v37, 16, 1
	v_add3_u32 v8, v37, v8, s20
                                        ; implicit-def: $vgpr37
; %bb.224:                              ;   in Loop: Header=BB322_147 Depth=1
	s_andn2_saveexec_b64 s[12:13], s[0:1]
; %bb.225:                              ;   in Loop: Header=BB322_147 Depth=1
	v_or_b32_e32 v8, 0x10000, v37
	v_cmp_eq_u32_sdwa s[0:1], v37, v11 src0_sel:WORD_0 src1_sel:DWORD
	s_nop 1
	v_cndmask_b32_e64 v8, v8, v37, s[0:1]
; %bb.226:                              ;   in Loop: Header=BB322_147 Depth=1
	s_or_b64 exec, exec, s[12:13]
	v_and_b32_e32 v36, 0xffff0000, v36
	v_lshlrev_b32_e32 v9, 16, v9
	v_mul_f32_e32 v37, v36, v9
	v_and_b32_e32 v9, 0x7f800000, v37
	v_cmp_ne_u32_e64 s[0:1], s19, v9
                                        ; implicit-def: $vgpr9
	s_and_saveexec_b64 s[12:13], s[0:1]
	s_xor_b64 s[0:1], exec, s[12:13]
; %bb.227:                              ;   in Loop: Header=BB322_147 Depth=1
	v_bfe_u32 v9, v37, 16, 1
	v_add3_u32 v9, v37, v9, s20
                                        ; implicit-def: $vgpr37
; %bb.228:                              ;   in Loop: Header=BB322_147 Depth=1
	s_andn2_saveexec_b64 s[12:13], s[0:1]
; %bb.229:                              ;   in Loop: Header=BB322_147 Depth=1
	v_or_b32_e32 v9, 0x10000, v37
	v_cmp_eq_u32_sdwa s[0:1], v37, v11 src0_sel:WORD_0 src1_sel:DWORD
	s_nop 1
	v_cndmask_b32_e64 v9, v9, v37, s[0:1]
; %bb.230:                              ;   in Loop: Header=BB322_147 Depth=1
	s_or_b64 exec, exec, s[12:13]
	v_and_b32_e32 v37, 0xffff0000, v22
	v_lshlrev_b32_e32 v22, 16, v38
	v_mul_f32_e32 v38, v37, v22
	v_and_b32_e32 v22, 0x7f800000, v38
	v_cmp_ne_u32_e64 s[0:1], s19, v22
                                        ; implicit-def: $vgpr22
	s_and_saveexec_b64 s[12:13], s[0:1]
	s_xor_b64 s[0:1], exec, s[12:13]
; %bb.231:                              ;   in Loop: Header=BB322_147 Depth=1
	v_bfe_u32 v22, v38, 16, 1
	v_add3_u32 v22, v38, v22, s20
                                        ; implicit-def: $vgpr38
; %bb.232:                              ;   in Loop: Header=BB322_147 Depth=1
	s_andn2_saveexec_b64 s[12:13], s[0:1]
; %bb.233:                              ;   in Loop: Header=BB322_147 Depth=1
	v_or_b32_e32 v22, 0x10000, v38
	v_cmp_eq_u32_sdwa s[0:1], v38, v11 src0_sel:WORD_0 src1_sel:DWORD
	s_nop 1
	v_cndmask_b32_e64 v22, v22, v38, s[0:1]
; %bb.234:                              ;   in Loop: Header=BB322_147 Depth=1
	s_or_b64 exec, exec, s[12:13]
	v_and_b32_e32 v38, 0xffff0000, v23
	v_lshlrev_b32_e32 v23, 16, v39
	v_mul_f32_e32 v39, v38, v23
	v_and_b32_e32 v23, 0x7f800000, v39
	v_cmp_ne_u32_e64 s[0:1], s19, v23
                                        ; implicit-def: $vgpr23
	s_and_saveexec_b64 s[12:13], s[0:1]
	s_xor_b64 s[0:1], exec, s[12:13]
; %bb.235:                              ;   in Loop: Header=BB322_147 Depth=1
	v_bfe_u32 v23, v39, 16, 1
	v_add3_u32 v23, v39, v23, s20
                                        ; implicit-def: $vgpr39
; %bb.236:                              ;   in Loop: Header=BB322_147 Depth=1
	s_andn2_saveexec_b64 s[12:13], s[0:1]
; %bb.237:                              ;   in Loop: Header=BB322_147 Depth=1
	v_or_b32_e32 v23, 0x10000, v39
	v_cmp_eq_u32_sdwa s[0:1], v39, v11 src0_sel:WORD_0 src1_sel:DWORD
	s_nop 1
	v_cndmask_b32_e64 v23, v23, v39, s[0:1]
; %bb.238:                              ;   in Loop: Header=BB322_147 Depth=1
	s_or_b64 exec, exec, s[12:13]
	v_and_b32_e32 v39, 0xffff0000, v24
	v_lshlrev_b32_e32 v5, 16, v5
	v_mul_f32_e32 v5, v39, v5
	v_and_b32_e32 v24, 0x7f800000, v5
	v_cmp_ne_u32_e64 s[0:1], s19, v24
                                        ; implicit-def: $vgpr24
	s_and_saveexec_b64 s[12:13], s[0:1]
	s_xor_b64 s[0:1], exec, s[12:13]
; %bb.239:                              ;   in Loop: Header=BB322_147 Depth=1
	v_bfe_u32 v24, v5, 16, 1
	v_add3_u32 v24, v5, v24, s20
                                        ; implicit-def: $vgpr5
; %bb.240:                              ;   in Loop: Header=BB322_147 Depth=1
	s_andn2_saveexec_b64 s[12:13], s[0:1]
; %bb.241:                              ;   in Loop: Header=BB322_147 Depth=1
	v_or_b32_e32 v24, 0x10000, v5
	v_cmp_eq_u32_sdwa s[0:1], v5, v11 src0_sel:WORD_0 src1_sel:DWORD
	s_nop 1
	v_cndmask_b32_e64 v24, v24, v5, s[0:1]
; %bb.242:                              ;   in Loop: Header=BB322_147 Depth=1
	s_or_b64 exec, exec, s[12:13]
	v_and_b32_e32 v40, 0xffff0000, v25
	v_lshlrev_b32_e32 v4, 16, v4
	v_mul_f32_e32 v4, v40, v4
	v_and_b32_e32 v5, 0x7f800000, v4
	v_cmp_ne_u32_e64 s[0:1], s19, v5
                                        ; implicit-def: $vgpr25
	s_and_saveexec_b64 s[12:13], s[0:1]
	s_xor_b64 s[0:1], exec, s[12:13]
; %bb.243:                              ;   in Loop: Header=BB322_147 Depth=1
	v_bfe_u32 v5, v4, 16, 1
	v_add3_u32 v25, v4, v5, s20
                                        ; implicit-def: $vgpr4
; %bb.244:                              ;   in Loop: Header=BB322_147 Depth=1
	s_andn2_saveexec_b64 s[12:13], s[0:1]
; %bb.245:                              ;   in Loop: Header=BB322_147 Depth=1
	v_or_b32_e32 v5, 0x10000, v4
	v_cmp_eq_u32_sdwa s[0:1], v4, v11 src0_sel:WORD_0 src1_sel:DWORD
	s_nop 1
	v_cndmask_b32_e64 v25, v5, v4, s[0:1]
; %bb.246:                              ;   in Loop: Header=BB322_147 Depth=1
	s_or_b64 exec, exec, s[12:13]
	global_load_dwordx2 v[4:5], v[2:3], off offset:512
	s_waitcnt vmcnt(0)
	v_and_b32_e32 v41, 0xff, v4
	v_cvt_f32_fp8_sdwa v41, v41 src0_sel:BYTE_0
	s_nop 0
	v_mul_f32_e32 v42, s21, v41
	v_and_b32_e32 v41, 0x7f800000, v42
	v_cmp_ne_u32_e64 s[0:1], s19, v41
                                        ; implicit-def: $vgpr41
	s_and_saveexec_b64 s[12:13], s[0:1]
	s_xor_b64 s[0:1], exec, s[12:13]
; %bb.247:                              ;   in Loop: Header=BB322_147 Depth=1
	v_bfe_u32 v41, v42, 16, 1
	v_add3_u32 v41, v42, v41, s20
                                        ; implicit-def: $vgpr42
; %bb.248:                              ;   in Loop: Header=BB322_147 Depth=1
	s_andn2_saveexec_b64 s[12:13], s[0:1]
; %bb.249:                              ;   in Loop: Header=BB322_147 Depth=1
	v_or_b32_e32 v41, 0x10000, v42
	v_cmp_eq_u32_sdwa s[0:1], v42, v11 src0_sel:WORD_0 src1_sel:DWORD
	s_nop 1
	v_cndmask_b32_e64 v41, v41, v42, s[0:1]
; %bb.250:                              ;   in Loop: Header=BB322_147 Depth=1
	s_or_b64 exec, exec, s[12:13]
	v_bfe_u32 v42, v4, 8, 8
	v_cvt_f32_fp8_sdwa v42, v42 src0_sel:BYTE_0
	s_nop 0
	v_mul_f32_e32 v43, s21, v42
	v_and_b32_e32 v42, 0x7f800000, v43
	v_cmp_ne_u32_e64 s[0:1], s19, v42
                                        ; implicit-def: $vgpr42
	s_and_saveexec_b64 s[12:13], s[0:1]
	s_xor_b64 s[0:1], exec, s[12:13]
; %bb.251:                              ;   in Loop: Header=BB322_147 Depth=1
	v_bfe_u32 v42, v43, 16, 1
	v_add3_u32 v42, v43, v42, s20
                                        ; implicit-def: $vgpr43
; %bb.252:                              ;   in Loop: Header=BB322_147 Depth=1
	s_andn2_saveexec_b64 s[12:13], s[0:1]
; %bb.253:                              ;   in Loop: Header=BB322_147 Depth=1
	v_or_b32_e32 v42, 0x10000, v43
	v_cmp_eq_u32_sdwa s[0:1], v43, v11 src0_sel:WORD_0 src1_sel:DWORD
	s_nop 1
	v_cndmask_b32_e64 v42, v42, v43, s[0:1]
; %bb.254:                              ;   in Loop: Header=BB322_147 Depth=1
	s_or_b64 exec, exec, s[12:13]
	v_bfe_u32 v43, v4, 16, 8
	v_cvt_f32_fp8_sdwa v43, v43 src0_sel:BYTE_0
	s_nop 0
	v_mul_f32_e32 v44, s21, v43
	v_and_b32_e32 v43, 0x7f800000, v44
	v_cmp_ne_u32_e64 s[0:1], s19, v43
                                        ; implicit-def: $vgpr43
	s_and_saveexec_b64 s[12:13], s[0:1]
	s_xor_b64 s[0:1], exec, s[12:13]
; %bb.255:                              ;   in Loop: Header=BB322_147 Depth=1
	v_bfe_u32 v43, v44, 16, 1
	v_add3_u32 v43, v44, v43, s20
                                        ; implicit-def: $vgpr44
; %bb.256:                              ;   in Loop: Header=BB322_147 Depth=1
	s_andn2_saveexec_b64 s[12:13], s[0:1]
; %bb.257:                              ;   in Loop: Header=BB322_147 Depth=1
	v_or_b32_e32 v43, 0x10000, v44
	v_cmp_eq_u32_sdwa s[0:1], v44, v11 src0_sel:WORD_0 src1_sel:DWORD
	s_nop 1
	v_cndmask_b32_e64 v43, v43, v44, s[0:1]
; %bb.258:                              ;   in Loop: Header=BB322_147 Depth=1
	s_or_b64 exec, exec, s[12:13]
	v_lshrrev_b32_e32 v4, 24, v4
	v_cvt_f32_fp8_sdwa v4, v4 src0_sel:BYTE_0
	s_nop 0
	v_mul_f32_e32 v44, s21, v4
	v_and_b32_e32 v4, 0x7f800000, v44
	v_cmp_ne_u32_e64 s[0:1], s19, v4
                                        ; implicit-def: $vgpr4
	s_and_saveexec_b64 s[12:13], s[0:1]
	s_xor_b64 s[0:1], exec, s[12:13]
; %bb.259:                              ;   in Loop: Header=BB322_147 Depth=1
	v_bfe_u32 v4, v44, 16, 1
	v_add3_u32 v4, v44, v4, s20
                                        ; implicit-def: $vgpr44
; %bb.260:                              ;   in Loop: Header=BB322_147 Depth=1
	s_andn2_saveexec_b64 s[12:13], s[0:1]
; %bb.261:                              ;   in Loop: Header=BB322_147 Depth=1
	v_or_b32_e32 v4, 0x10000, v44
	v_cmp_eq_u32_sdwa s[0:1], v44, v11 src0_sel:WORD_0 src1_sel:DWORD
	s_nop 1
	v_cndmask_b32_e64 v4, v4, v44, s[0:1]
; %bb.262:                              ;   in Loop: Header=BB322_147 Depth=1
	s_or_b64 exec, exec, s[12:13]
	v_and_b32_e32 v44, 0xff, v5
	v_cvt_f32_fp8_sdwa v44, v44 src0_sel:BYTE_0
	s_nop 0
	v_mul_f32_e32 v44, s21, v44
	v_and_b32_e32 v45, 0x7f800000, v44
	v_cmp_ne_u32_e64 s[0:1], s19, v45
                                        ; implicit-def: $vgpr45
	s_and_saveexec_b64 s[12:13], s[0:1]
	s_xor_b64 s[0:1], exec, s[12:13]
; %bb.263:                              ;   in Loop: Header=BB322_147 Depth=1
	v_bfe_u32 v45, v44, 16, 1
	v_add3_u32 v45, v44, v45, s20
                                        ; implicit-def: $vgpr44
; %bb.264:                              ;   in Loop: Header=BB322_147 Depth=1
	s_andn2_saveexec_b64 s[12:13], s[0:1]
; %bb.265:                              ;   in Loop: Header=BB322_147 Depth=1
	v_or_b32_e32 v45, 0x10000, v44
	v_cmp_eq_u32_sdwa s[0:1], v44, v11 src0_sel:WORD_0 src1_sel:DWORD
	s_nop 1
	v_cndmask_b32_e64 v45, v45, v44, s[0:1]
; %bb.266:                              ;   in Loop: Header=BB322_147 Depth=1
	s_or_b64 exec, exec, s[12:13]
	v_bfe_u32 v44, v5, 8, 8
	v_cvt_f32_fp8_sdwa v44, v44 src0_sel:BYTE_0
	s_nop 0
	v_mul_f32_e32 v46, s21, v44
	v_and_b32_e32 v44, 0x7f800000, v46
	v_cmp_ne_u32_e64 s[0:1], s19, v44
                                        ; implicit-def: $vgpr44
	s_and_saveexec_b64 s[12:13], s[0:1]
	s_xor_b64 s[0:1], exec, s[12:13]
; %bb.267:                              ;   in Loop: Header=BB322_147 Depth=1
	v_bfe_u32 v44, v46, 16, 1
	v_add3_u32 v44, v46, v44, s20
                                        ; implicit-def: $vgpr46
; %bb.268:                              ;   in Loop: Header=BB322_147 Depth=1
	s_andn2_saveexec_b64 s[12:13], s[0:1]
; %bb.269:                              ;   in Loop: Header=BB322_147 Depth=1
	v_or_b32_e32 v44, 0x10000, v46
	v_cmp_eq_u32_sdwa s[0:1], v46, v11 src0_sel:WORD_0 src1_sel:DWORD
	s_nop 1
	v_cndmask_b32_e64 v44, v44, v46, s[0:1]
; %bb.270:                              ;   in Loop: Header=BB322_147 Depth=1
	s_or_b64 exec, exec, s[12:13]
	v_bfe_u32 v46, v5, 16, 8
	v_cvt_f32_fp8_sdwa v46, v46 src0_sel:BYTE_0
	s_nop 0
	v_mul_f32_e32 v47, s21, v46
	v_and_b32_e32 v46, 0x7f800000, v47
	v_cmp_ne_u32_e64 s[0:1], s19, v46
                                        ; implicit-def: $vgpr46
	s_and_saveexec_b64 s[12:13], s[0:1]
	s_xor_b64 s[0:1], exec, s[12:13]
; %bb.271:                              ;   in Loop: Header=BB322_147 Depth=1
	v_bfe_u32 v46, v47, 16, 1
	v_add3_u32 v46, v47, v46, s20
                                        ; implicit-def: $vgpr47
; %bb.272:                              ;   in Loop: Header=BB322_147 Depth=1
	s_andn2_saveexec_b64 s[12:13], s[0:1]
; %bb.273:                              ;   in Loop: Header=BB322_147 Depth=1
	v_or_b32_e32 v46, 0x10000, v47
	v_cmp_eq_u32_sdwa s[0:1], v47, v11 src0_sel:WORD_0 src1_sel:DWORD
	s_nop 1
	v_cndmask_b32_e64 v46, v46, v47, s[0:1]
; %bb.274:                              ;   in Loop: Header=BB322_147 Depth=1
	s_or_b64 exec, exec, s[12:13]
	v_lshrrev_b32_e32 v5, 24, v5
	v_cvt_f32_fp8_sdwa v5, v5 src0_sel:BYTE_0
                                        ; implicit-def: $vgpr49
	s_nop 0
	v_mul_f32_e32 v5, s21, v5
	v_and_b32_e32 v47, 0x7f800000, v5
	v_cmp_ne_u32_e64 s[0:1], s19, v47
	s_and_saveexec_b64 s[12:13], s[0:1]
	s_xor_b64 s[0:1], exec, s[12:13]
; %bb.275:                              ;   in Loop: Header=BB322_147 Depth=1
	v_bfe_u32 v47, v5, 16, 1
	v_add3_u32 v49, v5, v47, s20
                                        ; implicit-def: $vgpr5
; %bb.276:                              ;   in Loop: Header=BB322_147 Depth=1
	s_andn2_saveexec_b64 s[12:13], s[0:1]
; %bb.277:                              ;   in Loop: Header=BB322_147 Depth=1
	v_or_b32_e32 v47, 0x10000, v5
	v_cmp_eq_u32_sdwa s[0:1], v5, v11 src0_sel:WORD_0 src1_sel:DWORD
	s_nop 1
	v_cndmask_b32_e64 v49, v47, v5, s[0:1]
; %bb.278:                              ;   in Loop: Header=BB322_147 Depth=1
	s_or_b64 exec, exec, s[12:13]
	v_lshrrev_b32_e32 v44, 16, v44
	v_lshrrev_b32_e32 v47, 16, v45
	;; [unrolled: 1-line block ×8, first 2 shown]
	s_and_saveexec_b64 s[12:13], vcc
	s_cbranch_execz .LBB322_280
; %bb.279:                              ;   in Loop: Header=BB322_147 Depth=1
	v_cmp_gt_i32_e64 s[0:1], s39, v1
	s_nop 1
	v_cndmask_b32_e64 v4, 0, v4, s[0:1]
	v_cmp_gt_i32_e64 s[0:1], s39, v32
	s_nop 1
	v_cndmask_b32_e64 v5, 0, v5, s[0:1]
	;; [unrolled: 3-line block ×8, first 2 shown]
.LBB322_280:                            ;   in Loop: Header=BB322_147 Depth=1
	s_or_b64 exec, exec, s[12:13]
	v_lshlrev_b32_e32 v4, 16, v4
	v_mul_f32_e32 v41, v33, v4
	v_and_b32_e32 v4, 0x7f800000, v41
	v_cmp_ne_u32_e64 s[0:1], s19, v4
                                        ; implicit-def: $vgpr4
	s_and_saveexec_b64 s[12:13], s[0:1]
	s_xor_b64 s[0:1], exec, s[12:13]
; %bb.281:                              ;   in Loop: Header=BB322_147 Depth=1
	v_bfe_u32 v4, v41, 16, 1
	v_add3_u32 v4, v41, v4, s20
                                        ; implicit-def: $vgpr41
; %bb.282:                              ;   in Loop: Header=BB322_147 Depth=1
	s_andn2_saveexec_b64 s[12:13], s[0:1]
; %bb.283:                              ;   in Loop: Header=BB322_147 Depth=1
	v_or_b32_e32 v4, 0x10000, v41
	v_cmp_eq_u32_sdwa s[0:1], v41, v11 src0_sel:WORD_0 src1_sel:DWORD
	s_nop 1
	v_cndmask_b32_e64 v4, v4, v41, s[0:1]
; %bb.284:                              ;   in Loop: Header=BB322_147 Depth=1
	s_or_b64 exec, exec, s[12:13]
	v_lshlrev_b32_e32 v5, 16, v5
	v_mul_f32_e32 v41, v34, v5
	v_and_b32_e32 v5, 0x7f800000, v41
	v_cmp_ne_u32_e64 s[0:1], s19, v5
                                        ; implicit-def: $vgpr5
	s_and_saveexec_b64 s[12:13], s[0:1]
	s_xor_b64 s[0:1], exec, s[12:13]
; %bb.285:                              ;   in Loop: Header=BB322_147 Depth=1
	v_bfe_u32 v5, v41, 16, 1
	v_add3_u32 v5, v41, v5, s20
                                        ; implicit-def: $vgpr41
; %bb.286:                              ;   in Loop: Header=BB322_147 Depth=1
	s_andn2_saveexec_b64 s[12:13], s[0:1]
; %bb.287:                              ;   in Loop: Header=BB322_147 Depth=1
	v_or_b32_e32 v5, 0x10000, v41
	v_cmp_eq_u32_sdwa s[0:1], v41, v11 src0_sel:WORD_0 src1_sel:DWORD
	s_nop 1
	v_cndmask_b32_e64 v5, v5, v41, s[0:1]
; %bb.288:                              ;   in Loop: Header=BB322_147 Depth=1
	s_or_b64 exec, exec, s[12:13]
	v_lshlrev_b32_e32 v41, 16, v43
	v_mul_f32_e32 v42, v35, v41
	v_and_b32_e32 v41, 0x7f800000, v42
	v_cmp_ne_u32_e64 s[0:1], s19, v41
                                        ; implicit-def: $vgpr41
	s_and_saveexec_b64 s[12:13], s[0:1]
	s_xor_b64 s[0:1], exec, s[12:13]
; %bb.289:                              ;   in Loop: Header=BB322_147 Depth=1
	v_bfe_u32 v41, v42, 16, 1
	v_add3_u32 v41, v42, v41, s20
                                        ; implicit-def: $vgpr42
; %bb.290:                              ;   in Loop: Header=BB322_147 Depth=1
	s_andn2_saveexec_b64 s[12:13], s[0:1]
; %bb.291:                              ;   in Loop: Header=BB322_147 Depth=1
	v_or_b32_e32 v41, 0x10000, v42
	v_cmp_eq_u32_sdwa s[0:1], v42, v11 src0_sel:WORD_0 src1_sel:DWORD
	s_nop 1
	v_cndmask_b32_e64 v41, v41, v42, s[0:1]
; %bb.292:                              ;   in Loop: Header=BB322_147 Depth=1
	s_or_b64 exec, exec, s[12:13]
	v_lshlrev_b32_e32 v42, 16, v48
	v_mul_f32_e32 v43, v36, v42
	v_and_b32_e32 v42, 0x7f800000, v43
	v_cmp_ne_u32_e64 s[0:1], s19, v42
                                        ; implicit-def: $vgpr42
	s_and_saveexec_b64 s[12:13], s[0:1]
	s_xor_b64 s[0:1], exec, s[12:13]
; %bb.293:                              ;   in Loop: Header=BB322_147 Depth=1
	v_bfe_u32 v42, v43, 16, 1
	v_add3_u32 v42, v43, v42, s20
                                        ; implicit-def: $vgpr43
; %bb.294:                              ;   in Loop: Header=BB322_147 Depth=1
	s_andn2_saveexec_b64 s[12:13], s[0:1]
; %bb.295:                              ;   in Loop: Header=BB322_147 Depth=1
	v_or_b32_e32 v42, 0x10000, v43
	v_cmp_eq_u32_sdwa s[0:1], v43, v11 src0_sel:WORD_0 src1_sel:DWORD
	s_nop 1
	v_cndmask_b32_e64 v42, v42, v43, s[0:1]
; %bb.296:                              ;   in Loop: Header=BB322_147 Depth=1
	s_or_b64 exec, exec, s[12:13]
	v_lshlrev_b32_e32 v43, 16, v47
	v_mul_f32_e32 v47, v37, v43
	v_and_b32_e32 v43, 0x7f800000, v47
	v_cmp_ne_u32_e64 s[0:1], s19, v43
                                        ; implicit-def: $vgpr43
	s_and_saveexec_b64 s[12:13], s[0:1]
	s_xor_b64 s[0:1], exec, s[12:13]
; %bb.297:                              ;   in Loop: Header=BB322_147 Depth=1
	v_bfe_u32 v43, v47, 16, 1
	v_add3_u32 v43, v47, v43, s20
                                        ; implicit-def: $vgpr47
; %bb.298:                              ;   in Loop: Header=BB322_147 Depth=1
	s_andn2_saveexec_b64 s[12:13], s[0:1]
; %bb.299:                              ;   in Loop: Header=BB322_147 Depth=1
	v_or_b32_e32 v43, 0x10000, v47
	v_cmp_eq_u32_sdwa s[0:1], v47, v11 src0_sel:WORD_0 src1_sel:DWORD
	s_nop 1
	v_cndmask_b32_e64 v43, v43, v47, s[0:1]
; %bb.300:                              ;   in Loop: Header=BB322_147 Depth=1
	s_or_b64 exec, exec, s[12:13]
	v_lshlrev_b32_e32 v44, 16, v44
	v_mul_f32_e32 v47, v38, v44
	v_and_b32_e32 v44, 0x7f800000, v47
	v_cmp_ne_u32_e64 s[0:1], s19, v44
                                        ; implicit-def: $vgpr44
	s_and_saveexec_b64 s[12:13], s[0:1]
	s_xor_b64 s[0:1], exec, s[12:13]
; %bb.301:                              ;   in Loop: Header=BB322_147 Depth=1
	v_bfe_u32 v44, v47, 16, 1
	v_add3_u32 v44, v47, v44, s20
                                        ; implicit-def: $vgpr47
; %bb.302:                              ;   in Loop: Header=BB322_147 Depth=1
	s_andn2_saveexec_b64 s[12:13], s[0:1]
; %bb.303:                              ;   in Loop: Header=BB322_147 Depth=1
	v_or_b32_e32 v44, 0x10000, v47
	v_cmp_eq_u32_sdwa s[0:1], v47, v11 src0_sel:WORD_0 src1_sel:DWORD
	s_nop 1
	v_cndmask_b32_e64 v44, v44, v47, s[0:1]
; %bb.304:                              ;   in Loop: Header=BB322_147 Depth=1
	s_or_b64 exec, exec, s[12:13]
	v_lshlrev_b32_e32 v45, 16, v45
	v_mul_f32_e32 v47, v39, v45
	v_and_b32_e32 v45, 0x7f800000, v47
	v_cmp_ne_u32_e64 s[0:1], s19, v45
                                        ; implicit-def: $vgpr45
	s_and_saveexec_b64 s[12:13], s[0:1]
	s_xor_b64 s[0:1], exec, s[12:13]
; %bb.305:                              ;   in Loop: Header=BB322_147 Depth=1
	v_bfe_u32 v45, v47, 16, 1
	v_add3_u32 v45, v47, v45, s20
                                        ; implicit-def: $vgpr47
; %bb.306:                              ;   in Loop: Header=BB322_147 Depth=1
	s_andn2_saveexec_b64 s[12:13], s[0:1]
; %bb.307:                              ;   in Loop: Header=BB322_147 Depth=1
	v_or_b32_e32 v45, 0x10000, v47
	v_cmp_eq_u32_sdwa s[0:1], v47, v11 src0_sel:WORD_0 src1_sel:DWORD
	s_nop 1
	v_cndmask_b32_e64 v45, v45, v47, s[0:1]
; %bb.308:                              ;   in Loop: Header=BB322_147 Depth=1
	s_or_b64 exec, exec, s[12:13]
	v_lshlrev_b32_e32 v46, 16, v46
	v_mul_f32_e32 v47, v40, v46
	v_and_b32_e32 v46, 0x7f800000, v47
	v_cmp_ne_u32_e64 s[0:1], s19, v46
                                        ; implicit-def: $vgpr46
	s_and_saveexec_b64 s[12:13], s[0:1]
	s_xor_b64 s[0:1], exec, s[12:13]
; %bb.309:                              ;   in Loop: Header=BB322_147 Depth=1
	v_bfe_u32 v46, v47, 16, 1
	v_add3_u32 v46, v47, v46, s20
                                        ; implicit-def: $vgpr47
; %bb.310:                              ;   in Loop: Header=BB322_147 Depth=1
	s_andn2_saveexec_b64 s[12:13], s[0:1]
; %bb.311:                              ;   in Loop: Header=BB322_147 Depth=1
	v_or_b32_e32 v46, 0x10000, v47
	v_cmp_eq_u32_sdwa s[0:1], v47, v11 src0_sel:WORD_0 src1_sel:DWORD
	s_nop 1
	v_cndmask_b32_e64 v46, v46, v47, s[0:1]
; %bb.312:                              ;   in Loop: Header=BB322_147 Depth=1
	s_or_b64 exec, exec, s[12:13]
	global_load_dwordx2 v[2:3], v[2:3], off offset:1024
	s_waitcnt vmcnt(0)
	v_and_b32_e32 v47, 0xff, v2
	v_cvt_f32_fp8_sdwa v47, v47 src0_sel:BYTE_0
	s_nop 0
	v_mul_f32_e32 v48, s21, v47
	v_and_b32_e32 v47, 0x7f800000, v48
	v_cmp_ne_u32_e64 s[0:1], s19, v47
                                        ; implicit-def: $vgpr47
	s_and_saveexec_b64 s[12:13], s[0:1]
	s_xor_b64 s[0:1], exec, s[12:13]
; %bb.313:                              ;   in Loop: Header=BB322_147 Depth=1
	v_bfe_u32 v47, v48, 16, 1
	v_add3_u32 v47, v48, v47, s20
                                        ; implicit-def: $vgpr48
; %bb.314:                              ;   in Loop: Header=BB322_147 Depth=1
	s_andn2_saveexec_b64 s[12:13], s[0:1]
; %bb.315:                              ;   in Loop: Header=BB322_147 Depth=1
	v_or_b32_e32 v47, 0x10000, v48
	v_cmp_eq_u32_sdwa s[0:1], v48, v11 src0_sel:WORD_0 src1_sel:DWORD
	s_nop 1
	v_cndmask_b32_e64 v47, v47, v48, s[0:1]
; %bb.316:                              ;   in Loop: Header=BB322_147 Depth=1
	s_or_b64 exec, exec, s[12:13]
	v_bfe_u32 v48, v2, 8, 8
	v_cvt_f32_fp8_sdwa v48, v48 src0_sel:BYTE_0
	s_nop 0
	v_mul_f32_e32 v49, s21, v48
	v_and_b32_e32 v48, 0x7f800000, v49
	v_cmp_ne_u32_e64 s[0:1], s19, v48
                                        ; implicit-def: $vgpr48
	s_and_saveexec_b64 s[12:13], s[0:1]
	s_xor_b64 s[0:1], exec, s[12:13]
; %bb.317:                              ;   in Loop: Header=BB322_147 Depth=1
	v_bfe_u32 v48, v49, 16, 1
	v_add3_u32 v48, v49, v48, s20
                                        ; implicit-def: $vgpr49
; %bb.318:                              ;   in Loop: Header=BB322_147 Depth=1
	s_andn2_saveexec_b64 s[12:13], s[0:1]
; %bb.319:                              ;   in Loop: Header=BB322_147 Depth=1
	v_or_b32_e32 v48, 0x10000, v49
	v_cmp_eq_u32_sdwa s[0:1], v49, v11 src0_sel:WORD_0 src1_sel:DWORD
	s_nop 1
	v_cndmask_b32_e64 v48, v48, v49, s[0:1]
; %bb.320:                              ;   in Loop: Header=BB322_147 Depth=1
	s_or_b64 exec, exec, s[12:13]
	v_bfe_u32 v49, v2, 16, 8
	v_cvt_f32_fp8_sdwa v49, v49 src0_sel:BYTE_0
	s_nop 0
	v_mul_f32_e32 v49, s21, v49
	v_and_b32_e32 v50, 0x7f800000, v49
	v_cmp_ne_u32_e64 s[0:1], s19, v50
                                        ; implicit-def: $vgpr50
	s_and_saveexec_b64 s[12:13], s[0:1]
	s_xor_b64 s[0:1], exec, s[12:13]
; %bb.321:                              ;   in Loop: Header=BB322_147 Depth=1
	v_bfe_u32 v50, v49, 16, 1
	v_add3_u32 v50, v49, v50, s20
                                        ; implicit-def: $vgpr49
; %bb.322:                              ;   in Loop: Header=BB322_147 Depth=1
	s_andn2_saveexec_b64 s[12:13], s[0:1]
; %bb.323:                              ;   in Loop: Header=BB322_147 Depth=1
	v_or_b32_e32 v50, 0x10000, v49
	v_cmp_eq_u32_sdwa s[0:1], v49, v11 src0_sel:WORD_0 src1_sel:DWORD
	s_nop 1
	v_cndmask_b32_e64 v50, v50, v49, s[0:1]
; %bb.324:                              ;   in Loop: Header=BB322_147 Depth=1
	s_or_b64 exec, exec, s[12:13]
	v_lshrrev_b32_e32 v2, 24, v2
	v_cvt_f32_fp8_sdwa v2, v2 src0_sel:BYTE_0
	s_nop 0
	v_mul_f32_e32 v49, s21, v2
	v_and_b32_e32 v2, 0x7f800000, v49
	v_cmp_ne_u32_e64 s[0:1], s19, v2
                                        ; implicit-def: $vgpr2
	s_and_saveexec_b64 s[12:13], s[0:1]
	s_xor_b64 s[0:1], exec, s[12:13]
; %bb.325:                              ;   in Loop: Header=BB322_147 Depth=1
	v_bfe_u32 v2, v49, 16, 1
	v_add3_u32 v2, v49, v2, s20
                                        ; implicit-def: $vgpr49
; %bb.326:                              ;   in Loop: Header=BB322_147 Depth=1
	s_andn2_saveexec_b64 s[12:13], s[0:1]
; %bb.327:                              ;   in Loop: Header=BB322_147 Depth=1
	v_or_b32_e32 v2, 0x10000, v49
	v_cmp_eq_u32_sdwa s[0:1], v49, v11 src0_sel:WORD_0 src1_sel:DWORD
	s_nop 1
	v_cndmask_b32_e64 v2, v2, v49, s[0:1]
; %bb.328:                              ;   in Loop: Header=BB322_147 Depth=1
	s_or_b64 exec, exec, s[12:13]
	v_and_b32_e32 v49, 0xff, v3
	v_cvt_f32_fp8_sdwa v49, v49 src0_sel:BYTE_0
	s_nop 0
	v_mul_f32_e32 v49, s21, v49
	v_and_b32_e32 v51, 0x7f800000, v49
	v_cmp_ne_u32_e64 s[0:1], s19, v51
                                        ; implicit-def: $vgpr51
	s_and_saveexec_b64 s[12:13], s[0:1]
	s_xor_b64 s[0:1], exec, s[12:13]
; %bb.329:                              ;   in Loop: Header=BB322_147 Depth=1
	v_bfe_u32 v51, v49, 16, 1
	v_add3_u32 v51, v49, v51, s20
                                        ; implicit-def: $vgpr49
; %bb.330:                              ;   in Loop: Header=BB322_147 Depth=1
	s_andn2_saveexec_b64 s[12:13], s[0:1]
; %bb.331:                              ;   in Loop: Header=BB322_147 Depth=1
	v_or_b32_e32 v51, 0x10000, v49
	v_cmp_eq_u32_sdwa s[0:1], v49, v11 src0_sel:WORD_0 src1_sel:DWORD
	s_nop 1
	v_cndmask_b32_e64 v51, v51, v49, s[0:1]
; %bb.332:                              ;   in Loop: Header=BB322_147 Depth=1
	s_or_b64 exec, exec, s[12:13]
	v_bfe_u32 v49, v3, 8, 8
	v_cvt_f32_fp8_sdwa v49, v49 src0_sel:BYTE_0
	s_nop 0
	v_mul_f32_e32 v52, s21, v49
	v_and_b32_e32 v49, 0x7f800000, v52
	v_cmp_ne_u32_e64 s[0:1], s19, v49
                                        ; implicit-def: $vgpr49
	s_and_saveexec_b64 s[12:13], s[0:1]
	s_xor_b64 s[0:1], exec, s[12:13]
; %bb.333:                              ;   in Loop: Header=BB322_147 Depth=1
	v_bfe_u32 v49, v52, 16, 1
	v_add3_u32 v49, v52, v49, s20
                                        ; implicit-def: $vgpr52
; %bb.334:                              ;   in Loop: Header=BB322_147 Depth=1
	s_andn2_saveexec_b64 s[12:13], s[0:1]
; %bb.335:                              ;   in Loop: Header=BB322_147 Depth=1
	v_or_b32_e32 v49, 0x10000, v52
	v_cmp_eq_u32_sdwa s[0:1], v52, v11 src0_sel:WORD_0 src1_sel:DWORD
	s_nop 1
	v_cndmask_b32_e64 v49, v49, v52, s[0:1]
; %bb.336:                              ;   in Loop: Header=BB322_147 Depth=1
	s_or_b64 exec, exec, s[12:13]
	v_bfe_u32 v52, v3, 16, 8
	v_cvt_f32_fp8_sdwa v52, v52 src0_sel:BYTE_0
	s_nop 0
	v_mul_f32_e32 v52, s21, v52
	v_and_b32_e32 v53, 0x7f800000, v52
	v_cmp_ne_u32_e64 s[0:1], s19, v53
                                        ; implicit-def: $vgpr53
	s_and_saveexec_b64 s[12:13], s[0:1]
	s_xor_b64 s[0:1], exec, s[12:13]
; %bb.337:                              ;   in Loop: Header=BB322_147 Depth=1
	v_bfe_u32 v53, v52, 16, 1
	v_add3_u32 v53, v52, v53, s20
                                        ; implicit-def: $vgpr52
; %bb.338:                              ;   in Loop: Header=BB322_147 Depth=1
	s_andn2_saveexec_b64 s[12:13], s[0:1]
; %bb.339:                              ;   in Loop: Header=BB322_147 Depth=1
	v_or_b32_e32 v53, 0x10000, v52
	v_cmp_eq_u32_sdwa s[0:1], v52, v11 src0_sel:WORD_0 src1_sel:DWORD
	s_nop 1
	v_cndmask_b32_e64 v53, v53, v52, s[0:1]
; %bb.340:                              ;   in Loop: Header=BB322_147 Depth=1
	s_or_b64 exec, exec, s[12:13]
	v_lshrrev_b32_e32 v3, 24, v3
	v_cvt_f32_fp8_sdwa v3, v3 src0_sel:BYTE_0
	s_nop 0
	v_mul_f32_e32 v52, s21, v3
	v_and_b32_e32 v3, 0x7f800000, v52
	v_cmp_ne_u32_e64 s[0:1], s19, v3
                                        ; implicit-def: $vgpr3
	s_and_saveexec_b64 s[12:13], s[0:1]
	s_xor_b64 s[0:1], exec, s[12:13]
; %bb.341:                              ;   in Loop: Header=BB322_147 Depth=1
	v_bfe_u32 v3, v52, 16, 1
	v_add3_u32 v3, v52, v3, s20
                                        ; implicit-def: $vgpr52
; %bb.342:                              ;   in Loop: Header=BB322_147 Depth=1
	s_andn2_saveexec_b64 s[12:13], s[0:1]
; %bb.343:                              ;   in Loop: Header=BB322_147 Depth=1
	v_or_b32_e32 v3, 0x10000, v52
	v_cmp_eq_u32_sdwa s[0:1], v52, v11 src0_sel:WORD_0 src1_sel:DWORD
	s_nop 1
	v_cndmask_b32_e64 v3, v3, v52, s[0:1]
; %bb.344:                              ;   in Loop: Header=BB322_147 Depth=1
	s_or_b64 exec, exec, s[12:13]
	v_lshrrev_b32_e32 v49, 16, v49
	v_lshrrev_b32_e32 v51, 16, v51
	;; [unrolled: 1-line block ×8, first 2 shown]
	s_and_saveexec_b64 s[0:1], vcc
	s_cbranch_execz .LBB322_346
; %bb.345:                              ;   in Loop: Header=BB322_147 Depth=1
	v_cmp_gt_i32_e32 vcc, s39, v1
	s_nop 1
	v_cndmask_b32_e32 v2, 0, v2, vcc
	v_cmp_gt_i32_e32 vcc, s39, v32
	s_nop 1
	v_cndmask_b32_e32 v48, 0, v48, vcc
	;; [unrolled: 3-line block ×8, first 2 shown]
.LBB322_346:                            ;   in Loop: Header=BB322_147 Depth=1
	s_or_b64 exec, exec, s[0:1]
	v_lshlrev_b32_e32 v2, 16, v2
	v_mul_f32_e32 v26, v33, v2
	v_and_b32_e32 v2, 0x7f800000, v26
	v_cmp_ne_u32_e32 vcc, s19, v2
                                        ; implicit-def: $vgpr2
	s_and_saveexec_b64 s[0:1], vcc
	s_xor_b64 s[0:1], exec, s[0:1]
; %bb.347:                              ;   in Loop: Header=BB322_147 Depth=1
	v_bfe_u32 v2, v26, 16, 1
	v_add3_u32 v2, v26, v2, s20
                                        ; implicit-def: $vgpr26
; %bb.348:                              ;   in Loop: Header=BB322_147 Depth=1
	s_andn2_saveexec_b64 s[0:1], s[0:1]
; %bb.349:                              ;   in Loop: Header=BB322_147 Depth=1
	v_or_b32_e32 v2, 0x10000, v26
	v_cmp_eq_u32_sdwa vcc, v26, v11 src0_sel:WORD_0 src1_sel:DWORD
	s_nop 1
	v_cndmask_b32_e32 v2, v2, v26, vcc
; %bb.350:                              ;   in Loop: Header=BB322_147 Depth=1
	s_or_b64 exec, exec, s[0:1]
	v_lshlrev_b32_e32 v26, 16, v48
	v_mul_f32_e32 v27, v34, v26
	v_and_b32_e32 v26, 0x7f800000, v27
	v_cmp_ne_u32_e32 vcc, s19, v26
                                        ; implicit-def: $vgpr26
	s_and_saveexec_b64 s[0:1], vcc
	s_xor_b64 s[0:1], exec, s[0:1]
; %bb.351:                              ;   in Loop: Header=BB322_147 Depth=1
	v_bfe_u32 v26, v27, 16, 1
	v_add3_u32 v26, v27, v26, s20
                                        ; implicit-def: $vgpr27
; %bb.352:                              ;   in Loop: Header=BB322_147 Depth=1
	s_andn2_saveexec_b64 s[0:1], s[0:1]
; %bb.353:                              ;   in Loop: Header=BB322_147 Depth=1
	v_or_b32_e32 v26, 0x10000, v27
	v_cmp_eq_u32_sdwa vcc, v27, v11 src0_sel:WORD_0 src1_sel:DWORD
	s_nop 1
	v_cndmask_b32_e32 v26, v26, v27, vcc
; %bb.354:                              ;   in Loop: Header=BB322_147 Depth=1
	s_or_b64 exec, exec, s[0:1]
	v_lshlrev_b32_e32 v27, 16, v50
	v_mul_f32_e32 v28, v35, v27
	v_and_b32_e32 v27, 0x7f800000, v28
	v_cmp_ne_u32_e32 vcc, s19, v27
                                        ; implicit-def: $vgpr27
	s_and_saveexec_b64 s[0:1], vcc
	s_xor_b64 s[0:1], exec, s[0:1]
; %bb.355:                              ;   in Loop: Header=BB322_147 Depth=1
	v_bfe_u32 v27, v28, 16, 1
	v_add3_u32 v27, v28, v27, s20
                                        ; implicit-def: $vgpr28
; %bb.356:                              ;   in Loop: Header=BB322_147 Depth=1
	s_andn2_saveexec_b64 s[0:1], s[0:1]
; %bb.357:                              ;   in Loop: Header=BB322_147 Depth=1
	v_or_b32_e32 v27, 0x10000, v28
	v_cmp_eq_u32_sdwa vcc, v28, v11 src0_sel:WORD_0 src1_sel:DWORD
	s_nop 1
	v_cndmask_b32_e32 v27, v27, v28, vcc
; %bb.358:                              ;   in Loop: Header=BB322_147 Depth=1
	s_or_b64 exec, exec, s[0:1]
	v_lshlrev_b32_e32 v28, 16, v52
	v_mul_f32_e32 v29, v36, v28
	v_and_b32_e32 v28, 0x7f800000, v29
	v_cmp_ne_u32_e32 vcc, s19, v28
                                        ; implicit-def: $vgpr28
	s_and_saveexec_b64 s[0:1], vcc
	s_xor_b64 s[0:1], exec, s[0:1]
; %bb.359:                              ;   in Loop: Header=BB322_147 Depth=1
	v_bfe_u32 v28, v29, 16, 1
	v_add3_u32 v28, v29, v28, s20
                                        ; implicit-def: $vgpr29
; %bb.360:                              ;   in Loop: Header=BB322_147 Depth=1
	s_andn2_saveexec_b64 s[0:1], s[0:1]
; %bb.361:                              ;   in Loop: Header=BB322_147 Depth=1
	v_or_b32_e32 v28, 0x10000, v29
	v_cmp_eq_u32_sdwa vcc, v29, v11 src0_sel:WORD_0 src1_sel:DWORD
	s_nop 1
	v_cndmask_b32_e32 v28, v28, v29, vcc
; %bb.362:                              ;   in Loop: Header=BB322_147 Depth=1
	s_or_b64 exec, exec, s[0:1]
	v_lshlrev_b32_e32 v29, 16, v51
	v_mul_f32_e32 v30, v37, v29
	v_and_b32_e32 v29, 0x7f800000, v30
	v_cmp_ne_u32_e32 vcc, s19, v29
                                        ; implicit-def: $vgpr29
	s_and_saveexec_b64 s[0:1], vcc
	s_xor_b64 s[0:1], exec, s[0:1]
; %bb.363:                              ;   in Loop: Header=BB322_147 Depth=1
	v_bfe_u32 v29, v30, 16, 1
	v_add3_u32 v29, v30, v29, s20
                                        ; implicit-def: $vgpr30
; %bb.364:                              ;   in Loop: Header=BB322_147 Depth=1
	s_andn2_saveexec_b64 s[0:1], s[0:1]
; %bb.365:                              ;   in Loop: Header=BB322_147 Depth=1
	v_or_b32_e32 v29, 0x10000, v30
	v_cmp_eq_u32_sdwa vcc, v30, v11 src0_sel:WORD_0 src1_sel:DWORD
	s_nop 1
	v_cndmask_b32_e32 v29, v29, v30, vcc
; %bb.366:                              ;   in Loop: Header=BB322_147 Depth=1
	s_or_b64 exec, exec, s[0:1]
	v_lshlrev_b32_e32 v30, 16, v49
	v_mul_f32_e32 v31, v38, v30
	v_and_b32_e32 v30, 0x7f800000, v31
	v_cmp_ne_u32_e32 vcc, s19, v30
                                        ; implicit-def: $vgpr30
	s_and_saveexec_b64 s[0:1], vcc
	s_xor_b64 s[0:1], exec, s[0:1]
; %bb.367:                              ;   in Loop: Header=BB322_147 Depth=1
	v_bfe_u32 v30, v31, 16, 1
	v_add3_u32 v30, v31, v30, s20
                                        ; implicit-def: $vgpr31
; %bb.368:                              ;   in Loop: Header=BB322_147 Depth=1
	s_andn2_saveexec_b64 s[0:1], s[0:1]
; %bb.369:                              ;   in Loop: Header=BB322_147 Depth=1
	v_or_b32_e32 v30, 0x10000, v31
	v_cmp_eq_u32_sdwa vcc, v31, v11 src0_sel:WORD_0 src1_sel:DWORD
	s_nop 1
	v_cndmask_b32_e32 v30, v30, v31, vcc
; %bb.370:                              ;   in Loop: Header=BB322_147 Depth=1
	s_or_b64 exec, exec, s[0:1]
	v_lshlrev_b32_e32 v31, 16, v47
	v_mul_f32_e32 v32, v39, v31
	v_and_b32_e32 v31, 0x7f800000, v32
	v_cmp_ne_u32_e32 vcc, s19, v31
                                        ; implicit-def: $vgpr31
	s_and_saveexec_b64 s[0:1], vcc
	s_xor_b64 s[0:1], exec, s[0:1]
; %bb.371:                              ;   in Loop: Header=BB322_147 Depth=1
	v_bfe_u32 v31, v32, 16, 1
	v_add3_u32 v31, v32, v31, s20
                                        ; implicit-def: $vgpr32
; %bb.372:                              ;   in Loop: Header=BB322_147 Depth=1
	s_andn2_saveexec_b64 s[0:1], s[0:1]
; %bb.373:                              ;   in Loop: Header=BB322_147 Depth=1
	v_or_b32_e32 v31, 0x10000, v32
	v_cmp_eq_u32_sdwa vcc, v32, v11 src0_sel:WORD_0 src1_sel:DWORD
	s_nop 1
	v_cndmask_b32_e32 v31, v31, v32, vcc
; %bb.374:                              ;   in Loop: Header=BB322_147 Depth=1
	s_or_b64 exec, exec, s[0:1]
	v_lshlrev_b32_e32 v3, 16, v3
	v_mul_f32_e32 v32, v40, v3
	v_and_b32_e32 v3, 0x7f800000, v32
	v_cmp_ne_u32_e32 vcc, s19, v3
                                        ; implicit-def: $vgpr3
	s_and_saveexec_b64 s[0:1], vcc
	s_xor_b64 s[0:1], exec, s[0:1]
; %bb.375:                              ;   in Loop: Header=BB322_147 Depth=1
	v_bfe_u32 v3, v32, 16, 1
	v_add3_u32 v3, v32, v3, s20
                                        ; implicit-def: $vgpr32
; %bb.376:                              ;   in Loop: Header=BB322_147 Depth=1
	s_andn2_saveexec_b64 s[0:1], s[0:1]
	s_cbranch_execz .LBB322_145
; %bb.377:                              ;   in Loop: Header=BB322_147 Depth=1
	v_or_b32_e32 v3, 0x10000, v32
	v_cmp_eq_u32_sdwa vcc, v32, v11 src0_sel:WORD_0 src1_sel:DWORD
	s_nop 1
	v_cndmask_b32_e32 v3, v3, v32, vcc
	s_branch .LBB322_145
.LBB322_378:
	s_or_b64 exec, exec, s[8:9]
.LBB322_379:
	s_or_b64 exec, exec, s[2:3]
	v_and_b32_e32 v1, 0x3c0, v0
	v_cmp_eq_u32_e32 vcc, 64, v1
	s_barrier
	s_and_saveexec_b64 s[0:1], vcc
	s_cbranch_execz .LBB322_381
; %bb.380:
	v_mov_b32_e32 v1, 0x190
	v_lshl_add_u32 v2, v20, 2, v1
	v_lshl_add_u32 v1, v0, 2, v1
	ds_write_b32 v2, v12
	ds_write_b32 v1, v13
	ds_write_b32 v2, v10 offset:512
.LBB322_381:
	s_or_b64 exec, exec, s[0:1]
	v_cmp_gt_u32_e32 vcc, 64, v0
	s_waitcnt lgkmcnt(0)
	s_barrier
	s_and_saveexec_b64 s[0:1], vcc
	s_cbranch_execz .LBB322_383
; %bb.382:
	v_mov_b32_e32 v1, 0x190
	v_lshl_add_u32 v1, v0, 2, v1
	ds_read2st64_b32 v[2:3], v1 offset1:1
	ds_read_b32 v1, v1 offset:512
	s_waitcnt lgkmcnt(1)
	v_pk_add_f32 v[12:13], v[12:13], v[2:3]
	s_waitcnt lgkmcnt(0)
	v_add_f32_e32 v10, v10, v1
.LBB322_383:
	s_or_b64 exec, exec, s[0:1]
	s_barrier
	s_and_saveexec_b64 s[0:1], vcc
	s_cbranch_execz .LBB322_397
; %bb.384:
	s_mov_b32 s0, 0x7f800000
	v_and_b32_e32 v1, 0x7f800000, v12
	v_cmp_ne_u32_e32 vcc, s0, v1
                                        ; implicit-def: $vgpr2
	s_and_saveexec_b64 s[0:1], vcc
	s_xor_b64 s[0:1], exec, s[0:1]
; %bb.385:
	v_bfe_u32 v1, v12, 16, 1
	s_movk_i32 s2, 0x7fff
	v_add3_u32 v2, v12, v1, s2
; %bb.386:
	s_andn2_saveexec_b64 s[0:1], s[0:1]
; %bb.387:
	v_mov_b32_e32 v1, 0
	v_or_b32_e32 v2, 0x10000, v12
	v_cmp_eq_u32_sdwa vcc, v12, v1 src0_sel:WORD_0 src1_sel:DWORD
	s_nop 1
	v_cndmask_b32_e32 v2, v2, v12, vcc
; %bb.388:
	s_or_b64 exec, exec, s[0:1]
	s_mul_i32 s0, s6, 0xc0
	s_ashr_i32 s1, s0, 31
	s_lshl_b64 s[0:1], s[0:1], 1
	s_add_u32 s2, s34, s0
	s_mul_i32 s0, s33, s36
	s_addc_u32 s3, s35, s1
	s_ashr_i32 s1, s0, 31
	s_lshl_b64 s[0:1], s[0:1], 1
	s_add_u32 s2, s2, s0
	s_mul_i32 s0, s4, 0xc0
	s_addc_u32 s3, s3, s1
	s_ashr_i32 s1, s0, 31
	s_lshl_b64 s[0:1], s[0:1], 1
	s_add_u32 s0, s2, s0
	s_addc_u32 s1, s3, s1
	v_lshlrev_b32_e32 v0, 1, v0
	global_store_short_d16_hi v0, v2, s[0:1]
	s_mov_b32 s2, 0x7f800000
	v_and_b32_e32 v2, 0x7f800000, v13
	v_mov_b32_e32 v1, 0
	v_cmp_ne_u32_e32 vcc, s2, v2
                                        ; implicit-def: $vgpr2
	s_and_saveexec_b64 s[2:3], vcc
	s_xor_b64 s[2:3], exec, s[2:3]
; %bb.389:
	v_bfe_u32 v2, v13, 16, 1
	s_movk_i32 s4, 0x7fff
	v_add3_u32 v2, v13, v2, s4
; %bb.390:
	s_or_saveexec_b64 s[2:3], s[2:3]
	v_lshl_add_u64 v[0:1], s[0:1], 0, v[0:1]
	s_xor_b64 exec, exec, s[2:3]
; %bb.391:
	v_mov_b32_e32 v2, 0
	v_or_b32_e32 v3, 0x10000, v13
	v_cmp_eq_u32_sdwa vcc, v13, v2 src0_sel:WORD_0 src1_sel:DWORD
	s_nop 1
	v_cndmask_b32_e32 v2, v3, v13, vcc
; %bb.392:
	s_or_b64 exec, exec, s[2:3]
	global_store_short_d16_hi v[0:1], v2, off offset:128
	s_mov_b32 s0, 0x7f800000
	v_and_b32_e32 v2, 0x7f800000, v10
	v_cmp_ne_u32_e32 vcc, s0, v2
                                        ; implicit-def: $vgpr2
	s_and_saveexec_b64 s[0:1], vcc
	s_xor_b64 s[0:1], exec, s[0:1]
; %bb.393:
	v_bfe_u32 v2, v10, 16, 1
	s_movk_i32 s2, 0x7fff
	v_add3_u32 v2, v10, v2, s2
                                        ; implicit-def: $vgpr8_vgpr9_vgpr10
; %bb.394:
	s_andn2_saveexec_b64 s[0:1], s[0:1]
; %bb.395:
	v_mov_b32_e32 v2, 0
	v_or_b32_e32 v3, 0x10000, v10
	v_cmp_eq_u32_sdwa vcc, v10, v2 src0_sel:WORD_0 src1_sel:DWORD
	s_nop 1
	v_cndmask_b32_e32 v2, v3, v10, vcc
; %bb.396:
	s_or_b64 exec, exec, s[0:1]
	global_store_short_d16_hi v[0:1], v2, off offset:256
.LBB322_397:
	s_endpgm
	.section	.rodata,"a",@progbits
	.p2align	6, 0x0
	.amdhsa_kernel _ZN4vllm25paged_attention_v2_kernelI14__hip_bfloat16hLi192ELi8ELi128ELNS_18Fp8KVCacheDataTypeE1ELb1ELi512EEEvPfS3_PT_PKS4_PKT0_SA_ifPKiSC_iPKfiiiSE_SE_iiiii
		.amdhsa_group_segment_fixed_size 400
		.amdhsa_private_segment_fixed_size 0
		.amdhsa_kernarg_size 400
		.amdhsa_user_sgpr_count 2
		.amdhsa_user_sgpr_dispatch_ptr 0
		.amdhsa_user_sgpr_queue_ptr 0
		.amdhsa_user_sgpr_kernarg_segment_ptr 1
		.amdhsa_user_sgpr_dispatch_id 0
		.amdhsa_user_sgpr_kernarg_preload_length 0
		.amdhsa_user_sgpr_kernarg_preload_offset 0
		.amdhsa_user_sgpr_private_segment_size 0
		.amdhsa_uses_dynamic_stack 0
		.amdhsa_enable_private_segment 0
		.amdhsa_system_sgpr_workgroup_id_x 1
		.amdhsa_system_sgpr_workgroup_id_y 1
		.amdhsa_system_sgpr_workgroup_id_z 1
		.amdhsa_system_sgpr_workgroup_info 0
		.amdhsa_system_vgpr_workitem_id 0
		.amdhsa_next_free_vgpr 71
		.amdhsa_next_free_sgpr 59
		.amdhsa_accum_offset 72
		.amdhsa_reserve_vcc 1
		.amdhsa_float_round_mode_32 0
		.amdhsa_float_round_mode_16_64 0
		.amdhsa_float_denorm_mode_32 3
		.amdhsa_float_denorm_mode_16_64 3
		.amdhsa_dx10_clamp 1
		.amdhsa_ieee_mode 1
		.amdhsa_fp16_overflow 0
		.amdhsa_tg_split 0
		.amdhsa_exception_fp_ieee_invalid_op 0
		.amdhsa_exception_fp_denorm_src 0
		.amdhsa_exception_fp_ieee_div_zero 0
		.amdhsa_exception_fp_ieee_overflow 0
		.amdhsa_exception_fp_ieee_underflow 0
		.amdhsa_exception_fp_ieee_inexact 0
		.amdhsa_exception_int_div_zero 0
	.end_amdhsa_kernel
	.section	.text._ZN4vllm25paged_attention_v2_kernelI14__hip_bfloat16hLi192ELi8ELi128ELNS_18Fp8KVCacheDataTypeE1ELb1ELi512EEEvPfS3_PT_PKS4_PKT0_SA_ifPKiSC_iPKfiiiSE_SE_iiiii,"axG",@progbits,_ZN4vllm25paged_attention_v2_kernelI14__hip_bfloat16hLi192ELi8ELi128ELNS_18Fp8KVCacheDataTypeE1ELb1ELi512EEEvPfS3_PT_PKS4_PKT0_SA_ifPKiSC_iPKfiiiSE_SE_iiiii,comdat
.Lfunc_end322:
	.size	_ZN4vllm25paged_attention_v2_kernelI14__hip_bfloat16hLi192ELi8ELi128ELNS_18Fp8KVCacheDataTypeE1ELb1ELi512EEEvPfS3_PT_PKS4_PKT0_SA_ifPKiSC_iPKfiiiSE_SE_iiiii, .Lfunc_end322-_ZN4vllm25paged_attention_v2_kernelI14__hip_bfloat16hLi192ELi8ELi128ELNS_18Fp8KVCacheDataTypeE1ELb1ELi512EEEvPfS3_PT_PKS4_PKT0_SA_ifPKiSC_iPKfiiiSE_SE_iiiii
                                        ; -- End function
	.section	.AMDGPU.csdata,"",@progbits
; Kernel info:
; codeLenInByte = 12864
; NumSgprs: 65
; NumVgprs: 71
; NumAgprs: 0
; TotalNumVgprs: 71
; ScratchSize: 0
; MemoryBound: 0
; FloatMode: 240
; IeeeMode: 1
; LDSByteSize: 400 bytes/workgroup (compile time only)
; SGPRBlocks: 8
; VGPRBlocks: 8
; NumSGPRsForWavesPerEU: 65
; NumVGPRsForWavesPerEU: 71
; AccumOffset: 72
; Occupancy: 7
; WaveLimiterHint : 1
; COMPUTE_PGM_RSRC2:SCRATCH_EN: 0
; COMPUTE_PGM_RSRC2:USER_SGPR: 2
; COMPUTE_PGM_RSRC2:TRAP_HANDLER: 0
; COMPUTE_PGM_RSRC2:TGID_X_EN: 1
; COMPUTE_PGM_RSRC2:TGID_Y_EN: 1
; COMPUTE_PGM_RSRC2:TGID_Z_EN: 1
; COMPUTE_PGM_RSRC2:TIDIG_COMP_CNT: 0
; COMPUTE_PGM_RSRC3_GFX90A:ACCUM_OFFSET: 17
; COMPUTE_PGM_RSRC3_GFX90A:TG_SPLIT: 0
	.section	.text._ZN4vllm25paged_attention_v2_kernelI14__hip_bfloat16hLi256ELi8ELi128ELNS_18Fp8KVCacheDataTypeE1ELb1ELi512EEEvPfS3_PT_PKS4_PKT0_SA_ifPKiSC_iPKfiiiSE_SE_iiiii,"axG",@progbits,_ZN4vllm25paged_attention_v2_kernelI14__hip_bfloat16hLi256ELi8ELi128ELNS_18Fp8KVCacheDataTypeE1ELb1ELi512EEEvPfS3_PT_PKS4_PKT0_SA_ifPKiSC_iPKfiiiSE_SE_iiiii,comdat
	.protected	_ZN4vllm25paged_attention_v2_kernelI14__hip_bfloat16hLi256ELi8ELi128ELNS_18Fp8KVCacheDataTypeE1ELb1ELi512EEEvPfS3_PT_PKS4_PKT0_SA_ifPKiSC_iPKfiiiSE_SE_iiiii ; -- Begin function _ZN4vllm25paged_attention_v2_kernelI14__hip_bfloat16hLi256ELi8ELi128ELNS_18Fp8KVCacheDataTypeE1ELb1ELi512EEEvPfS3_PT_PKS4_PKT0_SA_ifPKiSC_iPKfiiiSE_SE_iiiii
	.globl	_ZN4vllm25paged_attention_v2_kernelI14__hip_bfloat16hLi256ELi8ELi128ELNS_18Fp8KVCacheDataTypeE1ELb1ELi512EEEvPfS3_PT_PKS4_PKT0_SA_ifPKiSC_iPKfiiiSE_SE_iiiii
	.p2align	8
	.type	_ZN4vllm25paged_attention_v2_kernelI14__hip_bfloat16hLi256ELi8ELi128ELNS_18Fp8KVCacheDataTypeE1ELb1ELi512EEEvPfS3_PT_PKS4_PKT0_SA_ifPKiSC_iPKfiiiSE_SE_iiiii,@function
_ZN4vllm25paged_attention_v2_kernelI14__hip_bfloat16hLi256ELi8ELi128ELNS_18Fp8KVCacheDataTypeE1ELb1ELi512EEEvPfS3_PT_PKS4_PKT0_SA_ifPKiSC_iPKfiiiSE_SE_iiiii: ; @_ZN4vllm25paged_attention_v2_kernelI14__hip_bfloat16hLi256ELi8ELi128ELNS_18Fp8KVCacheDataTypeE1ELb1ELi512EEEvPfS3_PT_PKS4_PKT0_SA_ifPKiSC_iPKfiiiSE_SE_iiiii
; %bb.0:
	s_load_dwordx2 s[6:7], s[0:1], 0x40
	s_mov_b32 s40, s3
	s_ashr_i32 s41, s3, 31
	s_lshl_b64 s[8:9], s[40:41], 2
	s_waitcnt lgkmcnt(0)
	s_add_u32 s6, s6, s8
	s_addc_u32 s7, s7, s9
	s_load_dword s41, s[6:7], 0x0
	s_lshl_b32 s51, s4, 9
	s_waitcnt lgkmcnt(0)
	s_cmp_ge_i32 s51, s41
	s_cbranch_scc1 .LBB323_499
; %bb.1:
	s_load_dword s5, s[0:1], 0x90
	s_load_dwordx2 s[44:45], s[0:1], 0x30
	s_waitcnt lgkmcnt(0)
	s_abs_i32 s7, s5
	s_abs_i32 s3, s44
	v_cvt_f32_u32_e32 v1, s3
	s_sub_i32 s8, 0, s3
	s_xor_b32 s6, s5, s44
	s_ashr_i32 s6, s6, 31
	v_rcp_iflag_f32_e32 v1, v1
	s_nop 0
	v_mul_f32_e32 v1, 0x4f7ffffe, v1
	v_cvt_u32_f32_e32 v1, v1
	s_nop 0
	v_readfirstlane_b32 s9, v1
	s_mul_i32 s8, s8, s9
	s_mul_hi_u32 s8, s9, s8
	s_add_i32 s9, s9, s8
	s_mul_hi_u32 s8, s7, s9
	s_mul_i32 s9, s8, s3
	s_sub_i32 s7, s7, s9
	s_add_i32 s10, s8, 1
	s_sub_i32 s9, s7, s3
	s_cmp_ge_u32 s7, s3
	s_cselect_b32 s8, s10, s8
	s_cselect_b32 s7, s9, s7
	s_add_i32 s9, s8, 1
	s_cmp_ge_u32 s7, s3
	s_cselect_b32 s3, s9, s8
	s_xor_b32 s3, s3, s6
	s_sub_i32 s13, s3, s6
	s_abs_i32 s12, s13
	v_cvt_f32_u32_e32 v1, s12
	s_load_dwordx2 s[6:7], s[0:1], 0x50
	s_sub_i32 s3, 0, s12
	s_abs_i32 s14, s2
	v_rcp_iflag_f32_e32 v1, v1
	s_nop 0
	v_mul_f32_e32 v1, 0x4f7ffffe, v1
	v_cvt_u32_f32_e32 v1, v1
	s_nop 0
	v_readfirstlane_b32 s8, v1
	s_mul_i32 s3, s3, s8
	s_mul_hi_u32 s3, s8, s3
	s_add_i32 s8, s8, s3
	s_waitcnt lgkmcnt(0)
	s_cmp_eq_u64 s[6:7], 0
	s_mov_b32 s3, 0
	s_cbranch_scc1 .LBB323_3
; %bb.2:
	s_ashr_i32 s3, s2, 31
	s_lshl_b64 s[10:11], s[2:3], 2
	s_add_u32 s6, s6, s10
	s_addc_u32 s7, s7, s11
	s_load_dword s3, s[6:7], 0x0
.LBB323_3:
	s_load_dwordx4 s[24:27], s[0:1], 0x0
	s_load_dwordx2 s[34:35], s[0:1], 0x10
	s_load_dwordx4 s[20:23], s[0:1], 0x20
	s_load_dwordx2 s[38:39], s[0:1], 0x38
	s_load_dword s33, s[0:1], 0x98
	s_load_dwordx4 s[16:19], s[0:1], 0x58
	s_lshl_b32 s36, s2, 8
	s_movk_i32 s6, 0x100
	s_mul_hi_u32 s15, s14, s8
	v_and_b32_e32 v20, 7, v0
	s_ashr_i32 s37, s36, 31
	v_cmp_gt_u32_e32 vcc, s6, v0
	s_and_saveexec_b64 s[6:7], vcc
	s_cbranch_execz .LBB323_6
; %bb.4:
	s_load_dwordx2 s[8:9], s[0:1], 0x18
	s_waitcnt lgkmcnt(0)
	s_mul_i32 s10, s40, s16
	s_ashr_i32 s11, s10, 31
	s_lshl_b64 s[10:11], s[10:11], 1
	s_lshl_b64 s[28:29], s[36:37], 1
	v_lshrrev_b32_e32 v2, 3, v0
	s_add_u32 s10, s10, s28
	v_lshlrev_b32_e32 v3, 1, v2
	s_addc_u32 s11, s11, s29
	v_lshl_add_u32 v4, v20, 6, v3
	v_lshlrev_b32_e32 v3, 1, v20
	s_add_u32 s8, s8, s10
	v_add_u32_e32 v1, -16, v2
	v_lshl_or_b32 v2, v2, 4, v3
	v_mov_b32_e32 v3, 0
	s_addc_u32 s9, s9, s11
	v_lshl_add_u64 v[2:3], s[8:9], 0, v[2:3]
	s_mov_b64 s[8:9], 0
	s_mov_b64 s[10:11], 0x100
.LBB323_5:                              ; =>This Inner Loop Header: Depth=1
	global_load_ushort v5, v[2:3], off
	v_add_co_u32_e32 v1, vcc, 16, v1
	s_xor_b64 s[28:29], vcc, -1
	s_and_b64 s[28:29], exec, s[28:29]
	v_lshl_add_u64 v[2:3], v[2:3], 0, s[10:11]
	s_or_b64 s[8:9], s[28:29], s[8:9]
	s_waitcnt vmcnt(0)
	ds_write_b16 v4, v5
	v_add_u32_e32 v4, 32, v4
	s_andn2_b64 exec, exec, s[8:9]
	s_cbranch_execnz .LBB323_5
.LBB323_6:
	s_or_b64 exec, exec, s[6:7]
	s_ashr_i32 s6, s2, 31
	s_ashr_i32 s7, s13, 31
	s_xor_b32 s6, s6, s7
	s_mul_i32 s7, s15, s12
	s_sub_i32 s7, s14, s7
	s_add_i32 s8, s15, 1
	s_sub_i32 s9, s7, s12
	s_load_dwordx4 s[28:31], s[0:1], 0x78
	s_cmp_ge_u32 s7, s12
	s_cselect_b32 s8, s8, s15
	s_cselect_b32 s7, s9, s7
	s_add_i32 s9, s8, 1
	s_cmp_ge_u32 s7, s12
	s_cselect_b32 s7, s9, s8
	s_load_dword s8, s[0:1], 0x88
	s_waitcnt lgkmcnt(0)
	s_abs_i32 s16, s31
	v_cvt_f32_u32_e32 v1, s16
	s_xor_b32 s7, s7, s6
	s_sub_i32 s50, s7, s6
	s_sub_i32 s6, 0, s16
	v_rcp_iflag_f32_e32 v1, v1
	s_add_i32 s11, s41, -1
	s_abs_i32 s9, s11
	v_mul_f32_e32 v1, 0x4f7ffffe, v1
	v_cvt_u32_f32_e32 v1, v1
	s_barrier
	v_readfirstlane_b32 s37, v1
	s_mul_i32 s6, s6, s37
	s_mul_hi_u32 s6, s37, s6
	s_add_i32 s37, s37, s6
	s_cmp_lt_i32 s8, 0
	s_mul_hi_u32 s10, s9, s37
	s_cbranch_scc0 .LBB323_8
; %bb.7:
	s_mul_i32 s6, s28, s44
	s_add_i32 s6, s50, s6
	s_mul_i32 s6, s6, s8
	s_sub_i32 s44, 1, s6
	s_ashr_i32 s11, s11, 31
	s_ashr_i32 s31, s31, 31
	s_cbranch_execz .LBB323_9
	s_branch .LBB323_10
.LBB323_8:
                                        ; implicit-def: $sgpr44
	s_ashr_i32 s11, s11, 31
	s_ashr_i32 s31, s31, 31
.LBB323_9:
	s_mul_i32 s6, s5, s28
	s_add_i32 s6, s6, s2
	s_mul_i32 s6, s6, s8
	s_add_i32 s44, s6, 1
.LBB323_10:
	s_load_dword s6, s[0:1], 0x48
	s_load_dwordx4 s[12:15], s[0:1], 0x68
	s_mul_i32 s1, s10, s16
	s_sub_i32 s1, s9, s1
	s_xor_b32 s0, s11, s31
	s_waitcnt lgkmcnt(0)
	s_mul_i32 s42, s40, s6
	s_ashr_i32 s43, s42, 31
	s_add_i32 s6, s10, 1
	s_sub_i32 s7, s1, s16
	s_cmp_ge_u32 s1, s16
	s_cselect_b32 s6, s6, s10
	s_cselect_b32 s1, s7, s1
	s_add_i32 s7, s6, 1
	s_cmp_ge_u32 s1, s16
	s_cselect_b32 s1, s7, s6
	s_xor_b32 s1, s1, s0
	s_sub_i32 s49, s1, s0
	s_add_i32 s0, s41, 7
	s_ashr_i32 s1, s0, 31
	s_lshr_b32 s1, s1, 29
	s_add_i32 s0, s0, s1
	s_lshl_b32 s52, s4, 6
	s_ashr_i32 s48, s0, 3
	s_add_i32 s0, s52, 64
	v_lshrrev_b32_e32 v28, 6, v0
	s_min_i32 s28, s0, s48
	v_or_b32_e32 v18, s52, v28
	v_cmp_gt_i32_e64 s[0:1], s28, v18
	v_mov_b32_e32 v31, 0xff7fffff
	s_mul_i32 s50, s50, s18
	v_ashrrev_i32_e32 v19, 31, v18
	v_lshl_add_u32 v1, v28, 3, s51
	v_mbcnt_lo_u32_b32 v29, -1, 0
	s_and_saveexec_b64 s[18:19], s[0:1]
	s_cbranch_execz .LBB323_148
; %bb.11:
	s_sub_i32 s53, s49, s29
	s_ashr_i32 s7, s50, 31
	s_add_u32 s6, s20, s50
	s_addc_u32 s7, s21, s7
	s_abs_i32 s54, s30
	v_cvt_f32_u32_e32 v3, s54
	v_bfe_u32 v30, v0, 3, 3
	v_mov_b32_e32 v21, 0
	v_lshlrev_b32_e32 v2, 4, v30
	v_rcp_iflag_f32_e32 v4, v3
	v_mov_b32_e32 v3, v21
	v_lshl_add_u64 v[22:23], s[6:7], 0, v[2:3]
	s_sub_i32 s8, 0, s54
	v_mul_f32_e32 v2, 0x4f7ffffe, v4
	v_cvt_u32_f32_e32 v2, v2
	v_cmp_eq_u32_e32 vcc, 0, v20
	s_mov_b32 s55, s17
	v_lshlrev_b32_e32 v32, 6, v20
	v_mul_lo_u32 v3, s8, v2
	v_mul_hi_u32 v3, v2, v3
	v_add_u32_e32 v33, v2, v3
	s_lshl_b64 s[8:9], s[42:43], 2
	v_lshlrev_b32_e32 v2, 2, v30
	s_add_u32 s8, s38, s8
	v_lshl_or_b32 v2, v28, 5, v2
	s_addc_u32 s9, s39, s9
	v_add_u32_e32 v35, 0x210, v2
	v_subrev_u32_e32 v2, s41, v30
	v_cmp_neq_f32_e64 s[6:7], s3, 0
	v_lshl_add_u64 v[24:25], v[18:19], 2, s[8:9]
	v_lshl_add_u32 v34, v28, 3, s51
	v_add_u32_e32 v36, 1, v2
	s_mov_b64 s[20:21], 0
	v_mov_b32_e32 v37, 0xff7fffff
	s_mov_b32 s56, 0x7f800000
	s_movk_i32 s57, 0x7fff
	v_mbcnt_hi_u32_b32 v38, -1, v29
	v_mov_b32_e32 v31, 0xff7fffff
	v_mov_b32_e32 v39, v18
	s_branch .LBB323_14
.LBB323_12:                             ;   in Loop: Header=BB323_14 Depth=1
	s_or_b64 exec, exec, s[46:47]
.LBB323_13:                             ;   in Loop: Header=BB323_14 Depth=1
	s_or_b64 exec, exec, s[10:11]
	v_add_u32_e32 v39, 2, v39
	v_cmp_le_i32_e64 s[8:9], s28, v39
	v_lshl_add_u64 v[24:25], v[24:25], 0, 8
	v_add_u32_e32 v34, 16, v34
	s_or_b64 s[20:21], s[8:9], s[20:21]
	v_add_u32_e32 v35, 64, v35
	s_andn2_b64 exec, exec, s[20:21]
	s_cbranch_execz .LBB323_147
.LBB323_14:                             ; =>This Inner Loop Header: Depth=1
	s_waitcnt lgkmcnt(0)
	v_sub_u32_e32 v3, 0, v34
	v_max_i32_e32 v3, v34, v3
	v_mul_hi_u32 v4, v3, s37
	v_mul_lo_u32 v5, v4, s16
	v_sub_u32_e32 v3, v3, v5
	v_add_u32_e32 v5, 1, v4
	v_cmp_le_u32_e64 s[8:9], s16, v3
	v_ashrrev_i32_e32 v2, 31, v34
	v_xor_b32_e32 v2, s31, v2
	v_cndmask_b32_e64 v4, v4, v5, s[8:9]
	v_subrev_u32_e32 v5, s16, v3
	v_cndmask_b32_e64 v3, v3, v5, s[8:9]
	v_add_u32_e32 v5, 1, v4
	v_cmp_le_u32_e64 s[8:9], s16, v3
	s_nop 1
	v_cndmask_b32_e64 v3, v4, v5, s[8:9]
	v_xor_b32_e32 v3, v3, v2
	v_sub_u32_e32 v2, v3, v2
	v_add_u32_e32 v3, s44, v2
	v_sub_u32_e32 v5, 0, v3
	v_ashrrev_i32_e32 v4, 31, v3
	v_max_i32_e32 v3, v3, v5
	v_mul_hi_u32 v5, v3, v33
	v_mul_lo_u32 v5, v5, s54
	v_sub_u32_e32 v3, v3, v5
	v_subrev_u32_e32 v5, s54, v3
	v_cmp_le_u32_e64 s[8:9], s54, v3
	v_cmp_ge_i32_e64 s[10:11], s53, v2
	s_nop 0
	v_cndmask_b32_e64 v3, v3, v5, s[8:9]
	v_subrev_u32_e32 v5, s54, v3
	v_cmp_le_u32_e64 s[8:9], s54, v3
	s_nop 1
	v_cndmask_b32_e64 v3, v3, v5, s[8:9]
	v_xor_b32_e32 v3, v3, v4
	v_sub_u32_e32 v3, v3, v4
	v_cmp_ne_u32_e64 s[8:9], 0, v3
	s_and_b64 s[8:9], s[8:9], s[10:11]
	s_and_b64 s[46:47], vcc, s[8:9]
	s_and_saveexec_b64 s[10:11], s[46:47]
	s_cbranch_execz .LBB323_16
; %bb.15:                               ;   in Loop: Header=BB323_14 Depth=1
	ds_write_b32 v35, v37
.LBB323_16:                             ;   in Loop: Header=BB323_14 Depth=1
	s_or_b64 exec, exec, s[10:11]
	s_xor_b64 s[8:9], s[8:9], -1
	s_and_saveexec_b64 s[10:11], s[8:9]
	s_cbranch_execz .LBB323_13
; %bb.17:                               ;   in Loop: Header=BB323_14 Depth=1
	global_load_dword v2, v[24:25], off
	s_waitcnt vmcnt(0)
	v_mad_i64_i32 v[2:3], s[8:9], v2, s55, v[22:23]
	v_lshl_add_u64 v[26:27], v[2:3], 0, v[20:21]
	global_load_ubyte v2, v[26:27], off
	ds_read_b128 v[14:17], v32
	ds_read_b128 v[10:13], v32 offset:16
	s_load_dword s58, s[12:13], 0x0
	s_waitcnt vmcnt(0)
	v_cvt_f32_fp8_sdwa v40, v2 src0_sel:BYTE_0
	ds_read_b128 v[6:9], v32 offset:32
	ds_read_b128 v[2:5], v32 offset:48
	s_waitcnt lgkmcnt(0)
	v_mul_f32_e32 v41, s58, v40
	v_and_b32_e32 v40, 0x7f800000, v41
	v_cmp_ne_u32_e64 s[8:9], s56, v40
                                        ; implicit-def: $vgpr40
	s_and_saveexec_b64 s[46:47], s[8:9]
	s_xor_b64 s[8:9], exec, s[46:47]
; %bb.18:                               ;   in Loop: Header=BB323_14 Depth=1
	v_bfe_u32 v40, v41, 16, 1
	v_add3_u32 v40, v41, v40, s57
                                        ; implicit-def: $vgpr41
; %bb.19:                               ;   in Loop: Header=BB323_14 Depth=1
	s_andn2_saveexec_b64 s[46:47], s[8:9]
; %bb.20:                               ;   in Loop: Header=BB323_14 Depth=1
	v_or_b32_e32 v40, 0x10000, v41
	v_cmp_eq_u32_sdwa s[8:9], v41, v21 src0_sel:WORD_0 src1_sel:DWORD
	s_nop 1
	v_cndmask_b32_e64 v40, v40, v41, s[8:9]
; %bb.21:                               ;   in Loop: Header=BB323_14 Depth=1
	s_or_b64 exec, exec, s[46:47]
	global_load_ubyte v41, v[26:27], off offset:8
	s_waitcnt vmcnt(0)
	v_cvt_f32_fp8_sdwa v41, v41 src0_sel:BYTE_0
	s_nop 0
	v_mul_f32_e32 v42, s58, v41
	v_and_b32_e32 v41, 0x7f800000, v42
	v_cmp_ne_u32_e64 s[8:9], s56, v41
                                        ; implicit-def: $vgpr41
	s_and_saveexec_b64 s[46:47], s[8:9]
	s_xor_b64 s[8:9], exec, s[46:47]
; %bb.22:                               ;   in Loop: Header=BB323_14 Depth=1
	v_bfe_u32 v41, v42, 16, 1
	v_add3_u32 v41, v42, v41, s57
                                        ; implicit-def: $vgpr42
; %bb.23:                               ;   in Loop: Header=BB323_14 Depth=1
	s_andn2_saveexec_b64 s[46:47], s[8:9]
; %bb.24:                               ;   in Loop: Header=BB323_14 Depth=1
	v_or_b32_e32 v41, 0x10000, v42
	v_cmp_eq_u32_sdwa s[8:9], v42, v21 src0_sel:WORD_0 src1_sel:DWORD
	s_nop 1
	v_cndmask_b32_e64 v41, v41, v42, s[8:9]
; %bb.25:                               ;   in Loop: Header=BB323_14 Depth=1
	s_or_b64 exec, exec, s[46:47]
	global_load_ubyte v42, v[26:27], off offset:128
	s_waitcnt vmcnt(0)
	v_cvt_f32_fp8_sdwa v42, v42 src0_sel:BYTE_0
	s_nop 0
	v_mul_f32_e32 v43, s58, v42
	v_and_b32_e32 v42, 0x7f800000, v43
	v_cmp_ne_u32_e64 s[8:9], s56, v42
                                        ; implicit-def: $vgpr42
	s_and_saveexec_b64 s[46:47], s[8:9]
	s_xor_b64 s[8:9], exec, s[46:47]
; %bb.26:                               ;   in Loop: Header=BB323_14 Depth=1
	v_bfe_u32 v42, v43, 16, 1
	v_add3_u32 v42, v43, v42, s57
                                        ; implicit-def: $vgpr43
; %bb.27:                               ;   in Loop: Header=BB323_14 Depth=1
	s_andn2_saveexec_b64 s[46:47], s[8:9]
; %bb.28:                               ;   in Loop: Header=BB323_14 Depth=1
	v_or_b32_e32 v42, 0x10000, v43
	v_cmp_eq_u32_sdwa s[8:9], v43, v21 src0_sel:WORD_0 src1_sel:DWORD
	s_nop 1
	v_cndmask_b32_e64 v42, v42, v43, s[8:9]
; %bb.29:                               ;   in Loop: Header=BB323_14 Depth=1
	s_or_b64 exec, exec, s[46:47]
	global_load_ubyte v43, v[26:27], off offset:136
	s_waitcnt vmcnt(0)
	v_cvt_f32_fp8_sdwa v43, v43 src0_sel:BYTE_0
	s_nop 0
	v_mul_f32_e32 v44, s58, v43
	v_and_b32_e32 v43, 0x7f800000, v44
	v_cmp_ne_u32_e64 s[8:9], s56, v43
                                        ; implicit-def: $vgpr43
	s_and_saveexec_b64 s[46:47], s[8:9]
	s_xor_b64 s[8:9], exec, s[46:47]
; %bb.30:                               ;   in Loop: Header=BB323_14 Depth=1
	v_bfe_u32 v43, v44, 16, 1
	v_add3_u32 v43, v44, v43, s57
                                        ; implicit-def: $vgpr44
; %bb.31:                               ;   in Loop: Header=BB323_14 Depth=1
	s_andn2_saveexec_b64 s[46:47], s[8:9]
; %bb.32:                               ;   in Loop: Header=BB323_14 Depth=1
	v_or_b32_e32 v43, 0x10000, v44
	v_cmp_eq_u32_sdwa s[8:9], v44, v21 src0_sel:WORD_0 src1_sel:DWORD
	s_nop 1
	v_cndmask_b32_e64 v43, v43, v44, s[8:9]
; %bb.33:                               ;   in Loop: Header=BB323_14 Depth=1
	s_or_b64 exec, exec, s[46:47]
	global_load_ubyte v44, v[26:27], off offset:256
	s_waitcnt vmcnt(0)
	v_cvt_f32_fp8_sdwa v44, v44 src0_sel:BYTE_0
	s_nop 0
	v_mul_f32_e32 v45, s58, v44
	v_and_b32_e32 v44, 0x7f800000, v45
	v_cmp_ne_u32_e64 s[8:9], s56, v44
                                        ; implicit-def: $vgpr44
	s_and_saveexec_b64 s[46:47], s[8:9]
	s_xor_b64 s[8:9], exec, s[46:47]
; %bb.34:                               ;   in Loop: Header=BB323_14 Depth=1
	v_bfe_u32 v44, v45, 16, 1
	v_add3_u32 v44, v45, v44, s57
                                        ; implicit-def: $vgpr45
; %bb.35:                               ;   in Loop: Header=BB323_14 Depth=1
	s_andn2_saveexec_b64 s[46:47], s[8:9]
; %bb.36:                               ;   in Loop: Header=BB323_14 Depth=1
	v_or_b32_e32 v44, 0x10000, v45
	v_cmp_eq_u32_sdwa s[8:9], v45, v21 src0_sel:WORD_0 src1_sel:DWORD
	s_nop 1
	v_cndmask_b32_e64 v44, v44, v45, s[8:9]
; %bb.37:                               ;   in Loop: Header=BB323_14 Depth=1
	s_or_b64 exec, exec, s[46:47]
	global_load_ubyte v45, v[26:27], off offset:264
	s_waitcnt vmcnt(0)
	v_cvt_f32_fp8_sdwa v45, v45 src0_sel:BYTE_0
	s_nop 0
	v_mul_f32_e32 v46, s58, v45
	v_and_b32_e32 v45, 0x7f800000, v46
	v_cmp_ne_u32_e64 s[8:9], s56, v45
                                        ; implicit-def: $vgpr45
	s_and_saveexec_b64 s[46:47], s[8:9]
	s_xor_b64 s[8:9], exec, s[46:47]
; %bb.38:                               ;   in Loop: Header=BB323_14 Depth=1
	v_bfe_u32 v45, v46, 16, 1
	v_add3_u32 v45, v46, v45, s57
                                        ; implicit-def: $vgpr46
; %bb.39:                               ;   in Loop: Header=BB323_14 Depth=1
	s_andn2_saveexec_b64 s[46:47], s[8:9]
; %bb.40:                               ;   in Loop: Header=BB323_14 Depth=1
	v_or_b32_e32 v45, 0x10000, v46
	v_cmp_eq_u32_sdwa s[8:9], v46, v21 src0_sel:WORD_0 src1_sel:DWORD
	s_nop 1
	v_cndmask_b32_e64 v45, v45, v46, s[8:9]
; %bb.41:                               ;   in Loop: Header=BB323_14 Depth=1
	s_or_b64 exec, exec, s[46:47]
	global_load_ubyte v46, v[26:27], off offset:384
	s_waitcnt vmcnt(0)
	v_cvt_f32_fp8_sdwa v46, v46 src0_sel:BYTE_0
	s_nop 0
	v_mul_f32_e32 v47, s58, v46
	v_and_b32_e32 v46, 0x7f800000, v47
	v_cmp_ne_u32_e64 s[8:9], s56, v46
                                        ; implicit-def: $vgpr46
	s_and_saveexec_b64 s[46:47], s[8:9]
	s_xor_b64 s[8:9], exec, s[46:47]
; %bb.42:                               ;   in Loop: Header=BB323_14 Depth=1
	v_bfe_u32 v46, v47, 16, 1
	v_add3_u32 v46, v47, v46, s57
                                        ; implicit-def: $vgpr47
; %bb.43:                               ;   in Loop: Header=BB323_14 Depth=1
	s_andn2_saveexec_b64 s[46:47], s[8:9]
; %bb.44:                               ;   in Loop: Header=BB323_14 Depth=1
	v_or_b32_e32 v46, 0x10000, v47
	v_cmp_eq_u32_sdwa s[8:9], v47, v21 src0_sel:WORD_0 src1_sel:DWORD
	s_nop 1
	v_cndmask_b32_e64 v46, v46, v47, s[8:9]
; %bb.45:                               ;   in Loop: Header=BB323_14 Depth=1
	s_or_b64 exec, exec, s[46:47]
	global_load_ubyte v47, v[26:27], off offset:392
	s_waitcnt vmcnt(0)
	v_cvt_f32_fp8_sdwa v47, v47 src0_sel:BYTE_0
	s_nop 0
	v_mul_f32_e32 v48, s58, v47
	v_and_b32_e32 v47, 0x7f800000, v48
	v_cmp_ne_u32_e64 s[8:9], s56, v47
                                        ; implicit-def: $vgpr47
	s_and_saveexec_b64 s[46:47], s[8:9]
	s_xor_b64 s[8:9], exec, s[46:47]
; %bb.46:                               ;   in Loop: Header=BB323_14 Depth=1
	v_bfe_u32 v47, v48, 16, 1
	v_add3_u32 v47, v48, v47, s57
                                        ; implicit-def: $vgpr48
; %bb.47:                               ;   in Loop: Header=BB323_14 Depth=1
	s_andn2_saveexec_b64 s[46:47], s[8:9]
; %bb.48:                               ;   in Loop: Header=BB323_14 Depth=1
	v_or_b32_e32 v47, 0x10000, v48
	v_cmp_eq_u32_sdwa s[8:9], v48, v21 src0_sel:WORD_0 src1_sel:DWORD
	s_nop 1
	v_cndmask_b32_e64 v47, v47, v48, s[8:9]
; %bb.49:                               ;   in Loop: Header=BB323_14 Depth=1
	s_or_b64 exec, exec, s[46:47]
	global_load_ubyte v48, v[26:27], off offset:512
	s_waitcnt vmcnt(0)
	v_cvt_f32_fp8_sdwa v48, v48 src0_sel:BYTE_0
	s_nop 0
	v_mul_f32_e32 v49, s58, v48
	v_and_b32_e32 v48, 0x7f800000, v49
	v_cmp_ne_u32_e64 s[8:9], s56, v48
                                        ; implicit-def: $vgpr48
	s_and_saveexec_b64 s[46:47], s[8:9]
	s_xor_b64 s[8:9], exec, s[46:47]
; %bb.50:                               ;   in Loop: Header=BB323_14 Depth=1
	v_bfe_u32 v48, v49, 16, 1
	v_add3_u32 v48, v49, v48, s57
                                        ; implicit-def: $vgpr49
; %bb.51:                               ;   in Loop: Header=BB323_14 Depth=1
	s_andn2_saveexec_b64 s[46:47], s[8:9]
; %bb.52:                               ;   in Loop: Header=BB323_14 Depth=1
	v_or_b32_e32 v48, 0x10000, v49
	v_cmp_eq_u32_sdwa s[8:9], v49, v21 src0_sel:WORD_0 src1_sel:DWORD
	s_nop 1
	v_cndmask_b32_e64 v48, v48, v49, s[8:9]
; %bb.53:                               ;   in Loop: Header=BB323_14 Depth=1
	s_or_b64 exec, exec, s[46:47]
	global_load_ubyte v49, v[26:27], off offset:520
	s_waitcnt vmcnt(0)
	v_cvt_f32_fp8_sdwa v49, v49 src0_sel:BYTE_0
	s_nop 0
	v_mul_f32_e32 v50, s58, v49
	v_and_b32_e32 v49, 0x7f800000, v50
	v_cmp_ne_u32_e64 s[8:9], s56, v49
                                        ; implicit-def: $vgpr49
	s_and_saveexec_b64 s[46:47], s[8:9]
	s_xor_b64 s[8:9], exec, s[46:47]
; %bb.54:                               ;   in Loop: Header=BB323_14 Depth=1
	v_bfe_u32 v49, v50, 16, 1
	v_add3_u32 v49, v50, v49, s57
                                        ; implicit-def: $vgpr50
; %bb.55:                               ;   in Loop: Header=BB323_14 Depth=1
	s_andn2_saveexec_b64 s[46:47], s[8:9]
; %bb.56:                               ;   in Loop: Header=BB323_14 Depth=1
	v_or_b32_e32 v49, 0x10000, v50
	v_cmp_eq_u32_sdwa s[8:9], v50, v21 src0_sel:WORD_0 src1_sel:DWORD
	s_nop 1
	v_cndmask_b32_e64 v49, v49, v50, s[8:9]
; %bb.57:                               ;   in Loop: Header=BB323_14 Depth=1
	s_or_b64 exec, exec, s[46:47]
	global_load_ubyte v50, v[26:27], off offset:640
	s_waitcnt vmcnt(0)
	v_cvt_f32_fp8_sdwa v50, v50 src0_sel:BYTE_0
	s_nop 0
	v_mul_f32_e32 v51, s58, v50
	v_and_b32_e32 v50, 0x7f800000, v51
	v_cmp_ne_u32_e64 s[8:9], s56, v50
                                        ; implicit-def: $vgpr50
	s_and_saveexec_b64 s[46:47], s[8:9]
	s_xor_b64 s[8:9], exec, s[46:47]
; %bb.58:                               ;   in Loop: Header=BB323_14 Depth=1
	v_bfe_u32 v50, v51, 16, 1
	v_add3_u32 v50, v51, v50, s57
                                        ; implicit-def: $vgpr51
; %bb.59:                               ;   in Loop: Header=BB323_14 Depth=1
	s_andn2_saveexec_b64 s[46:47], s[8:9]
; %bb.60:                               ;   in Loop: Header=BB323_14 Depth=1
	v_or_b32_e32 v50, 0x10000, v51
	v_cmp_eq_u32_sdwa s[8:9], v51, v21 src0_sel:WORD_0 src1_sel:DWORD
	s_nop 1
	v_cndmask_b32_e64 v50, v50, v51, s[8:9]
; %bb.61:                               ;   in Loop: Header=BB323_14 Depth=1
	s_or_b64 exec, exec, s[46:47]
	global_load_ubyte v51, v[26:27], off offset:648
	s_waitcnt vmcnt(0)
	v_cvt_f32_fp8_sdwa v51, v51 src0_sel:BYTE_0
	s_nop 0
	v_mul_f32_e32 v52, s58, v51
	v_and_b32_e32 v51, 0x7f800000, v52
	v_cmp_ne_u32_e64 s[8:9], s56, v51
                                        ; implicit-def: $vgpr51
	s_and_saveexec_b64 s[46:47], s[8:9]
	s_xor_b64 s[8:9], exec, s[46:47]
; %bb.62:                               ;   in Loop: Header=BB323_14 Depth=1
	v_bfe_u32 v51, v52, 16, 1
	v_add3_u32 v51, v52, v51, s57
                                        ; implicit-def: $vgpr52
; %bb.63:                               ;   in Loop: Header=BB323_14 Depth=1
	s_andn2_saveexec_b64 s[46:47], s[8:9]
; %bb.64:                               ;   in Loop: Header=BB323_14 Depth=1
	v_or_b32_e32 v51, 0x10000, v52
	v_cmp_eq_u32_sdwa s[8:9], v52, v21 src0_sel:WORD_0 src1_sel:DWORD
	s_nop 1
	v_cndmask_b32_e64 v51, v51, v52, s[8:9]
; %bb.65:                               ;   in Loop: Header=BB323_14 Depth=1
	s_or_b64 exec, exec, s[46:47]
	global_load_ubyte v52, v[26:27], off offset:768
	s_waitcnt vmcnt(0)
	v_cvt_f32_fp8_sdwa v52, v52 src0_sel:BYTE_0
	s_nop 0
	v_mul_f32_e32 v53, s58, v52
	v_and_b32_e32 v52, 0x7f800000, v53
	v_cmp_ne_u32_e64 s[8:9], s56, v52
                                        ; implicit-def: $vgpr52
	s_and_saveexec_b64 s[46:47], s[8:9]
	s_xor_b64 s[8:9], exec, s[46:47]
; %bb.66:                               ;   in Loop: Header=BB323_14 Depth=1
	v_bfe_u32 v52, v53, 16, 1
	v_add3_u32 v52, v53, v52, s57
                                        ; implicit-def: $vgpr53
; %bb.67:                               ;   in Loop: Header=BB323_14 Depth=1
	s_andn2_saveexec_b64 s[46:47], s[8:9]
; %bb.68:                               ;   in Loop: Header=BB323_14 Depth=1
	v_or_b32_e32 v52, 0x10000, v53
	v_cmp_eq_u32_sdwa s[8:9], v53, v21 src0_sel:WORD_0 src1_sel:DWORD
	s_nop 1
	v_cndmask_b32_e64 v52, v52, v53, s[8:9]
; %bb.69:                               ;   in Loop: Header=BB323_14 Depth=1
	s_or_b64 exec, exec, s[46:47]
	global_load_ubyte v53, v[26:27], off offset:776
	s_waitcnt vmcnt(0)
	v_cvt_f32_fp8_sdwa v53, v53 src0_sel:BYTE_0
	s_nop 0
	v_mul_f32_e32 v54, s58, v53
	v_and_b32_e32 v53, 0x7f800000, v54
	v_cmp_ne_u32_e64 s[8:9], s56, v53
                                        ; implicit-def: $vgpr53
	s_and_saveexec_b64 s[46:47], s[8:9]
	s_xor_b64 s[8:9], exec, s[46:47]
; %bb.70:                               ;   in Loop: Header=BB323_14 Depth=1
	v_bfe_u32 v53, v54, 16, 1
	v_add3_u32 v53, v54, v53, s57
                                        ; implicit-def: $vgpr54
; %bb.71:                               ;   in Loop: Header=BB323_14 Depth=1
	s_andn2_saveexec_b64 s[46:47], s[8:9]
; %bb.72:                               ;   in Loop: Header=BB323_14 Depth=1
	v_or_b32_e32 v53, 0x10000, v54
	v_cmp_eq_u32_sdwa s[8:9], v54, v21 src0_sel:WORD_0 src1_sel:DWORD
	s_nop 1
	v_cndmask_b32_e64 v53, v53, v54, s[8:9]
; %bb.73:                               ;   in Loop: Header=BB323_14 Depth=1
	s_or_b64 exec, exec, s[46:47]
	global_load_ubyte v54, v[26:27], off offset:896
	s_waitcnt vmcnt(0)
	v_cvt_f32_fp8_sdwa v54, v54 src0_sel:BYTE_0
	s_nop 0
	v_mul_f32_e32 v55, s58, v54
	v_and_b32_e32 v54, 0x7f800000, v55
	v_cmp_ne_u32_e64 s[8:9], s56, v54
                                        ; implicit-def: $vgpr54
	s_and_saveexec_b64 s[46:47], s[8:9]
	s_xor_b64 s[8:9], exec, s[46:47]
; %bb.74:                               ;   in Loop: Header=BB323_14 Depth=1
	v_bfe_u32 v54, v55, 16, 1
	v_add3_u32 v54, v55, v54, s57
                                        ; implicit-def: $vgpr55
; %bb.75:                               ;   in Loop: Header=BB323_14 Depth=1
	s_andn2_saveexec_b64 s[46:47], s[8:9]
; %bb.76:                               ;   in Loop: Header=BB323_14 Depth=1
	v_or_b32_e32 v54, 0x10000, v55
	v_cmp_eq_u32_sdwa s[8:9], v55, v21 src0_sel:WORD_0 src1_sel:DWORD
	s_nop 1
	v_cndmask_b32_e64 v54, v54, v55, s[8:9]
; %bb.77:                               ;   in Loop: Header=BB323_14 Depth=1
	s_or_b64 exec, exec, s[46:47]
	global_load_ubyte v55, v[26:27], off offset:904
	s_waitcnt vmcnt(0)
	v_cvt_f32_fp8_sdwa v55, v55 src0_sel:BYTE_0
	s_nop 0
	v_mul_f32_e32 v56, s58, v55
	v_and_b32_e32 v55, 0x7f800000, v56
	v_cmp_ne_u32_e64 s[8:9], s56, v55
                                        ; implicit-def: $vgpr55
	s_and_saveexec_b64 s[46:47], s[8:9]
	s_xor_b64 s[8:9], exec, s[46:47]
; %bb.78:                               ;   in Loop: Header=BB323_14 Depth=1
	v_bfe_u32 v55, v56, 16, 1
	v_add3_u32 v55, v56, v55, s57
                                        ; implicit-def: $vgpr56
; %bb.79:                               ;   in Loop: Header=BB323_14 Depth=1
	s_andn2_saveexec_b64 s[46:47], s[8:9]
; %bb.80:                               ;   in Loop: Header=BB323_14 Depth=1
	v_or_b32_e32 v55, 0x10000, v56
	v_cmp_eq_u32_sdwa s[8:9], v56, v21 src0_sel:WORD_0 src1_sel:DWORD
	s_nop 1
	v_cndmask_b32_e64 v55, v55, v56, s[8:9]
; %bb.81:                               ;   in Loop: Header=BB323_14 Depth=1
	s_or_b64 exec, exec, s[46:47]
	global_load_ubyte v56, v[26:27], off offset:1024
	s_waitcnt vmcnt(0)
	v_cvt_f32_fp8_sdwa v56, v56 src0_sel:BYTE_0
	s_nop 0
	v_mul_f32_e32 v57, s58, v56
	v_and_b32_e32 v56, 0x7f800000, v57
	v_cmp_ne_u32_e64 s[8:9], s56, v56
                                        ; implicit-def: $vgpr56
	s_and_saveexec_b64 s[46:47], s[8:9]
	s_xor_b64 s[8:9], exec, s[46:47]
; %bb.82:                               ;   in Loop: Header=BB323_14 Depth=1
	v_bfe_u32 v56, v57, 16, 1
	v_add3_u32 v56, v57, v56, s57
                                        ; implicit-def: $vgpr57
; %bb.83:                               ;   in Loop: Header=BB323_14 Depth=1
	s_andn2_saveexec_b64 s[46:47], s[8:9]
; %bb.84:                               ;   in Loop: Header=BB323_14 Depth=1
	v_or_b32_e32 v56, 0x10000, v57
	v_cmp_eq_u32_sdwa s[8:9], v57, v21 src0_sel:WORD_0 src1_sel:DWORD
	s_nop 1
	v_cndmask_b32_e64 v56, v56, v57, s[8:9]
; %bb.85:                               ;   in Loop: Header=BB323_14 Depth=1
	s_or_b64 exec, exec, s[46:47]
	global_load_ubyte v57, v[26:27], off offset:1032
	s_waitcnt vmcnt(0)
	v_cvt_f32_fp8_sdwa v57, v57 src0_sel:BYTE_0
	s_nop 0
	v_mul_f32_e32 v58, s58, v57
	v_and_b32_e32 v57, 0x7f800000, v58
	v_cmp_ne_u32_e64 s[8:9], s56, v57
                                        ; implicit-def: $vgpr57
	s_and_saveexec_b64 s[46:47], s[8:9]
	s_xor_b64 s[8:9], exec, s[46:47]
; %bb.86:                               ;   in Loop: Header=BB323_14 Depth=1
	v_bfe_u32 v57, v58, 16, 1
	v_add3_u32 v57, v58, v57, s57
                                        ; implicit-def: $vgpr58
; %bb.87:                               ;   in Loop: Header=BB323_14 Depth=1
	s_andn2_saveexec_b64 s[46:47], s[8:9]
; %bb.88:                               ;   in Loop: Header=BB323_14 Depth=1
	v_or_b32_e32 v57, 0x10000, v58
	v_cmp_eq_u32_sdwa s[8:9], v58, v21 src0_sel:WORD_0 src1_sel:DWORD
	s_nop 1
	v_cndmask_b32_e64 v57, v57, v58, s[8:9]
; %bb.89:                               ;   in Loop: Header=BB323_14 Depth=1
	s_or_b64 exec, exec, s[46:47]
	global_load_ubyte v58, v[26:27], off offset:1152
	s_waitcnt vmcnt(0)
	v_cvt_f32_fp8_sdwa v58, v58 src0_sel:BYTE_0
	s_nop 0
	v_mul_f32_e32 v59, s58, v58
	v_and_b32_e32 v58, 0x7f800000, v59
	v_cmp_ne_u32_e64 s[8:9], s56, v58
                                        ; implicit-def: $vgpr58
	s_and_saveexec_b64 s[46:47], s[8:9]
	s_xor_b64 s[8:9], exec, s[46:47]
; %bb.90:                               ;   in Loop: Header=BB323_14 Depth=1
	v_bfe_u32 v58, v59, 16, 1
	v_add3_u32 v58, v59, v58, s57
                                        ; implicit-def: $vgpr59
; %bb.91:                               ;   in Loop: Header=BB323_14 Depth=1
	s_andn2_saveexec_b64 s[46:47], s[8:9]
; %bb.92:                               ;   in Loop: Header=BB323_14 Depth=1
	v_or_b32_e32 v58, 0x10000, v59
	v_cmp_eq_u32_sdwa s[8:9], v59, v21 src0_sel:WORD_0 src1_sel:DWORD
	s_nop 1
	v_cndmask_b32_e64 v58, v58, v59, s[8:9]
; %bb.93:                               ;   in Loop: Header=BB323_14 Depth=1
	s_or_b64 exec, exec, s[46:47]
	global_load_ubyte v59, v[26:27], off offset:1160
	s_waitcnt vmcnt(0)
	v_cvt_f32_fp8_sdwa v59, v59 src0_sel:BYTE_0
	s_nop 0
	v_mul_f32_e32 v60, s58, v59
	v_and_b32_e32 v59, 0x7f800000, v60
	v_cmp_ne_u32_e64 s[8:9], s56, v59
                                        ; implicit-def: $vgpr59
	s_and_saveexec_b64 s[46:47], s[8:9]
	s_xor_b64 s[8:9], exec, s[46:47]
; %bb.94:                               ;   in Loop: Header=BB323_14 Depth=1
	v_bfe_u32 v59, v60, 16, 1
	v_add3_u32 v59, v60, v59, s57
                                        ; implicit-def: $vgpr60
; %bb.95:                               ;   in Loop: Header=BB323_14 Depth=1
	s_andn2_saveexec_b64 s[46:47], s[8:9]
; %bb.96:                               ;   in Loop: Header=BB323_14 Depth=1
	v_or_b32_e32 v59, 0x10000, v60
	v_cmp_eq_u32_sdwa s[8:9], v60, v21 src0_sel:WORD_0 src1_sel:DWORD
	s_nop 1
	v_cndmask_b32_e64 v59, v59, v60, s[8:9]
; %bb.97:                               ;   in Loop: Header=BB323_14 Depth=1
	s_or_b64 exec, exec, s[46:47]
	global_load_ubyte v60, v[26:27], off offset:1280
	s_waitcnt vmcnt(0)
	v_cvt_f32_fp8_sdwa v60, v60 src0_sel:BYTE_0
	s_nop 0
	v_mul_f32_e32 v61, s58, v60
	v_and_b32_e32 v60, 0x7f800000, v61
	v_cmp_ne_u32_e64 s[8:9], s56, v60
                                        ; implicit-def: $vgpr60
	s_and_saveexec_b64 s[46:47], s[8:9]
	s_xor_b64 s[8:9], exec, s[46:47]
; %bb.98:                               ;   in Loop: Header=BB323_14 Depth=1
	v_bfe_u32 v60, v61, 16, 1
	v_add3_u32 v60, v61, v60, s57
                                        ; implicit-def: $vgpr61
; %bb.99:                               ;   in Loop: Header=BB323_14 Depth=1
	s_andn2_saveexec_b64 s[46:47], s[8:9]
; %bb.100:                              ;   in Loop: Header=BB323_14 Depth=1
	v_or_b32_e32 v60, 0x10000, v61
	v_cmp_eq_u32_sdwa s[8:9], v61, v21 src0_sel:WORD_0 src1_sel:DWORD
	s_nop 1
	v_cndmask_b32_e64 v60, v60, v61, s[8:9]
; %bb.101:                              ;   in Loop: Header=BB323_14 Depth=1
	s_or_b64 exec, exec, s[46:47]
	global_load_ubyte v61, v[26:27], off offset:1288
	s_waitcnt vmcnt(0)
	v_cvt_f32_fp8_sdwa v61, v61 src0_sel:BYTE_0
	s_nop 0
	v_mul_f32_e32 v62, s58, v61
	v_and_b32_e32 v61, 0x7f800000, v62
	v_cmp_ne_u32_e64 s[8:9], s56, v61
                                        ; implicit-def: $vgpr61
	s_and_saveexec_b64 s[46:47], s[8:9]
	s_xor_b64 s[8:9], exec, s[46:47]
; %bb.102:                              ;   in Loop: Header=BB323_14 Depth=1
	v_bfe_u32 v61, v62, 16, 1
	v_add3_u32 v61, v62, v61, s57
                                        ; implicit-def: $vgpr62
; %bb.103:                              ;   in Loop: Header=BB323_14 Depth=1
	s_andn2_saveexec_b64 s[46:47], s[8:9]
; %bb.104:                              ;   in Loop: Header=BB323_14 Depth=1
	v_or_b32_e32 v61, 0x10000, v62
	v_cmp_eq_u32_sdwa s[8:9], v62, v21 src0_sel:WORD_0 src1_sel:DWORD
	s_nop 1
	v_cndmask_b32_e64 v61, v61, v62, s[8:9]
; %bb.105:                              ;   in Loop: Header=BB323_14 Depth=1
	s_or_b64 exec, exec, s[46:47]
	global_load_ubyte v62, v[26:27], off offset:1408
	s_waitcnt vmcnt(0)
	v_cvt_f32_fp8_sdwa v62, v62 src0_sel:BYTE_0
	s_nop 0
	v_mul_f32_e32 v63, s58, v62
	v_and_b32_e32 v62, 0x7f800000, v63
	v_cmp_ne_u32_e64 s[8:9], s56, v62
                                        ; implicit-def: $vgpr62
	s_and_saveexec_b64 s[46:47], s[8:9]
	s_xor_b64 s[8:9], exec, s[46:47]
; %bb.106:                              ;   in Loop: Header=BB323_14 Depth=1
	v_bfe_u32 v62, v63, 16, 1
	v_add3_u32 v62, v63, v62, s57
                                        ; implicit-def: $vgpr63
; %bb.107:                              ;   in Loop: Header=BB323_14 Depth=1
	s_andn2_saveexec_b64 s[46:47], s[8:9]
; %bb.108:                              ;   in Loop: Header=BB323_14 Depth=1
	v_or_b32_e32 v62, 0x10000, v63
	v_cmp_eq_u32_sdwa s[8:9], v63, v21 src0_sel:WORD_0 src1_sel:DWORD
	s_nop 1
	v_cndmask_b32_e64 v62, v62, v63, s[8:9]
; %bb.109:                              ;   in Loop: Header=BB323_14 Depth=1
	s_or_b64 exec, exec, s[46:47]
	global_load_ubyte v63, v[26:27], off offset:1416
	s_waitcnt vmcnt(0)
	v_cvt_f32_fp8_sdwa v63, v63 src0_sel:BYTE_0
	s_nop 0
	v_mul_f32_e32 v64, s58, v63
	v_and_b32_e32 v63, 0x7f800000, v64
	v_cmp_ne_u32_e64 s[8:9], s56, v63
                                        ; implicit-def: $vgpr63
	s_and_saveexec_b64 s[46:47], s[8:9]
	s_xor_b64 s[8:9], exec, s[46:47]
; %bb.110:                              ;   in Loop: Header=BB323_14 Depth=1
	v_bfe_u32 v63, v64, 16, 1
	v_add3_u32 v63, v64, v63, s57
                                        ; implicit-def: $vgpr64
; %bb.111:                              ;   in Loop: Header=BB323_14 Depth=1
	s_andn2_saveexec_b64 s[46:47], s[8:9]
; %bb.112:                              ;   in Loop: Header=BB323_14 Depth=1
	v_or_b32_e32 v63, 0x10000, v64
	v_cmp_eq_u32_sdwa s[8:9], v64, v21 src0_sel:WORD_0 src1_sel:DWORD
	s_nop 1
	v_cndmask_b32_e64 v63, v63, v64, s[8:9]
; %bb.113:                              ;   in Loop: Header=BB323_14 Depth=1
	s_or_b64 exec, exec, s[46:47]
	global_load_ubyte v64, v[26:27], off offset:1536
	s_waitcnt vmcnt(0)
	v_cvt_f32_fp8_sdwa v64, v64 src0_sel:BYTE_0
	s_nop 0
	v_mul_f32_e32 v65, s58, v64
	v_and_b32_e32 v64, 0x7f800000, v65
	v_cmp_ne_u32_e64 s[8:9], s56, v64
                                        ; implicit-def: $vgpr64
	s_and_saveexec_b64 s[46:47], s[8:9]
	s_xor_b64 s[8:9], exec, s[46:47]
; %bb.114:                              ;   in Loop: Header=BB323_14 Depth=1
	v_bfe_u32 v64, v65, 16, 1
	v_add3_u32 v64, v65, v64, s57
                                        ; implicit-def: $vgpr65
; %bb.115:                              ;   in Loop: Header=BB323_14 Depth=1
	s_andn2_saveexec_b64 s[46:47], s[8:9]
; %bb.116:                              ;   in Loop: Header=BB323_14 Depth=1
	v_or_b32_e32 v64, 0x10000, v65
	v_cmp_eq_u32_sdwa s[8:9], v65, v21 src0_sel:WORD_0 src1_sel:DWORD
	s_nop 1
	v_cndmask_b32_e64 v64, v64, v65, s[8:9]
; %bb.117:                              ;   in Loop: Header=BB323_14 Depth=1
	s_or_b64 exec, exec, s[46:47]
	global_load_ubyte v65, v[26:27], off offset:1544
	s_waitcnt vmcnt(0)
	v_cvt_f32_fp8_sdwa v65, v65 src0_sel:BYTE_0
	s_nop 0
	v_mul_f32_e32 v66, s58, v65
	v_and_b32_e32 v65, 0x7f800000, v66
	v_cmp_ne_u32_e64 s[8:9], s56, v65
                                        ; implicit-def: $vgpr65
	s_and_saveexec_b64 s[46:47], s[8:9]
	s_xor_b64 s[8:9], exec, s[46:47]
; %bb.118:                              ;   in Loop: Header=BB323_14 Depth=1
	v_bfe_u32 v65, v66, 16, 1
	v_add3_u32 v65, v66, v65, s57
                                        ; implicit-def: $vgpr66
; %bb.119:                              ;   in Loop: Header=BB323_14 Depth=1
	s_andn2_saveexec_b64 s[46:47], s[8:9]
; %bb.120:                              ;   in Loop: Header=BB323_14 Depth=1
	v_or_b32_e32 v65, 0x10000, v66
	v_cmp_eq_u32_sdwa s[8:9], v66, v21 src0_sel:WORD_0 src1_sel:DWORD
	s_nop 1
	v_cndmask_b32_e64 v65, v65, v66, s[8:9]
; %bb.121:                              ;   in Loop: Header=BB323_14 Depth=1
	s_or_b64 exec, exec, s[46:47]
	global_load_ubyte v66, v[26:27], off offset:1664
	s_waitcnt vmcnt(0)
	v_cvt_f32_fp8_sdwa v66, v66 src0_sel:BYTE_0
	s_nop 0
	v_mul_f32_e32 v67, s58, v66
	v_and_b32_e32 v66, 0x7f800000, v67
	v_cmp_ne_u32_e64 s[8:9], s56, v66
                                        ; implicit-def: $vgpr66
	s_and_saveexec_b64 s[46:47], s[8:9]
	s_xor_b64 s[8:9], exec, s[46:47]
; %bb.122:                              ;   in Loop: Header=BB323_14 Depth=1
	v_bfe_u32 v66, v67, 16, 1
	v_add3_u32 v66, v67, v66, s57
                                        ; implicit-def: $vgpr67
; %bb.123:                              ;   in Loop: Header=BB323_14 Depth=1
	s_andn2_saveexec_b64 s[46:47], s[8:9]
; %bb.124:                              ;   in Loop: Header=BB323_14 Depth=1
	v_or_b32_e32 v66, 0x10000, v67
	v_cmp_eq_u32_sdwa s[8:9], v67, v21 src0_sel:WORD_0 src1_sel:DWORD
	s_nop 1
	v_cndmask_b32_e64 v66, v66, v67, s[8:9]
; %bb.125:                              ;   in Loop: Header=BB323_14 Depth=1
	s_or_b64 exec, exec, s[46:47]
	global_load_ubyte v67, v[26:27], off offset:1672
	s_waitcnt vmcnt(0)
	v_cvt_f32_fp8_sdwa v67, v67 src0_sel:BYTE_0
	s_nop 0
	v_mul_f32_e32 v68, s58, v67
	v_and_b32_e32 v67, 0x7f800000, v68
	v_cmp_ne_u32_e64 s[8:9], s56, v67
                                        ; implicit-def: $vgpr67
	s_and_saveexec_b64 s[46:47], s[8:9]
	s_xor_b64 s[8:9], exec, s[46:47]
; %bb.126:                              ;   in Loop: Header=BB323_14 Depth=1
	v_bfe_u32 v67, v68, 16, 1
	v_add3_u32 v67, v68, v67, s57
                                        ; implicit-def: $vgpr68
; %bb.127:                              ;   in Loop: Header=BB323_14 Depth=1
	s_andn2_saveexec_b64 s[46:47], s[8:9]
; %bb.128:                              ;   in Loop: Header=BB323_14 Depth=1
	v_or_b32_e32 v67, 0x10000, v68
	v_cmp_eq_u32_sdwa s[8:9], v68, v21 src0_sel:WORD_0 src1_sel:DWORD
	s_nop 1
	v_cndmask_b32_e64 v67, v67, v68, s[8:9]
; %bb.129:                              ;   in Loop: Header=BB323_14 Depth=1
	s_or_b64 exec, exec, s[46:47]
	global_load_ubyte v68, v[26:27], off offset:1792
	s_waitcnt vmcnt(0)
	v_cvt_f32_fp8_sdwa v68, v68 src0_sel:BYTE_0
	s_nop 0
	v_mul_f32_e32 v69, s58, v68
	v_and_b32_e32 v68, 0x7f800000, v69
	v_cmp_ne_u32_e64 s[8:9], s56, v68
                                        ; implicit-def: $vgpr68
	s_and_saveexec_b64 s[46:47], s[8:9]
	s_xor_b64 s[8:9], exec, s[46:47]
; %bb.130:                              ;   in Loop: Header=BB323_14 Depth=1
	v_bfe_u32 v68, v69, 16, 1
	v_add3_u32 v68, v69, v68, s57
                                        ; implicit-def: $vgpr69
; %bb.131:                              ;   in Loop: Header=BB323_14 Depth=1
	s_andn2_saveexec_b64 s[46:47], s[8:9]
; %bb.132:                              ;   in Loop: Header=BB323_14 Depth=1
	v_or_b32_e32 v68, 0x10000, v69
	v_cmp_eq_u32_sdwa s[8:9], v69, v21 src0_sel:WORD_0 src1_sel:DWORD
	s_nop 1
	v_cndmask_b32_e64 v68, v68, v69, s[8:9]
; %bb.133:                              ;   in Loop: Header=BB323_14 Depth=1
	s_or_b64 exec, exec, s[46:47]
	global_load_ubyte v69, v[26:27], off offset:1800
	s_waitcnt vmcnt(0)
	v_cvt_f32_fp8_sdwa v69, v69 src0_sel:BYTE_0
	s_nop 0
	v_mul_f32_e32 v70, s58, v69
	v_and_b32_e32 v69, 0x7f800000, v70
	v_cmp_ne_u32_e64 s[8:9], s56, v69
                                        ; implicit-def: $vgpr69
	s_and_saveexec_b64 s[46:47], s[8:9]
	s_xor_b64 s[8:9], exec, s[46:47]
; %bb.134:                              ;   in Loop: Header=BB323_14 Depth=1
	v_bfe_u32 v69, v70, 16, 1
	v_add3_u32 v69, v70, v69, s57
                                        ; implicit-def: $vgpr70
; %bb.135:                              ;   in Loop: Header=BB323_14 Depth=1
	s_andn2_saveexec_b64 s[46:47], s[8:9]
; %bb.136:                              ;   in Loop: Header=BB323_14 Depth=1
	v_or_b32_e32 v69, 0x10000, v70
	v_cmp_eq_u32_sdwa s[8:9], v70, v21 src0_sel:WORD_0 src1_sel:DWORD
	s_nop 1
	v_cndmask_b32_e64 v69, v69, v70, s[8:9]
; %bb.137:                              ;   in Loop: Header=BB323_14 Depth=1
	s_or_b64 exec, exec, s[46:47]
	global_load_ubyte v70, v[26:27], off offset:1920
	s_waitcnt vmcnt(0)
	v_cvt_f32_fp8_sdwa v70, v70 src0_sel:BYTE_0
	s_nop 0
	v_mul_f32_e32 v71, s58, v70
	v_and_b32_e32 v70, 0x7f800000, v71
	v_cmp_ne_u32_e64 s[8:9], s56, v70
                                        ; implicit-def: $vgpr70
	s_and_saveexec_b64 s[46:47], s[8:9]
	s_xor_b64 s[8:9], exec, s[46:47]
; %bb.138:                              ;   in Loop: Header=BB323_14 Depth=1
	v_bfe_u32 v70, v71, 16, 1
	v_add3_u32 v70, v71, v70, s57
                                        ; implicit-def: $vgpr71
; %bb.139:                              ;   in Loop: Header=BB323_14 Depth=1
	s_andn2_saveexec_b64 s[46:47], s[8:9]
; %bb.140:                              ;   in Loop: Header=BB323_14 Depth=1
	v_or_b32_e32 v70, 0x10000, v71
	v_cmp_eq_u32_sdwa s[8:9], v71, v21 src0_sel:WORD_0 src1_sel:DWORD
	s_nop 1
	v_cndmask_b32_e64 v70, v70, v71, s[8:9]
; %bb.141:                              ;   in Loop: Header=BB323_14 Depth=1
	s_or_b64 exec, exec, s[46:47]
	global_load_ubyte v26, v[26:27], off offset:1928
	s_waitcnt vmcnt(0)
	v_cvt_f32_fp8_sdwa v26, v26 src0_sel:BYTE_0
	s_nop 0
	v_mul_f32_e32 v27, s58, v26
	v_and_b32_e32 v26, 0x7f800000, v27
	v_cmp_ne_u32_e64 s[8:9], s56, v26
                                        ; implicit-def: $vgpr26
	s_and_saveexec_b64 s[46:47], s[8:9]
	s_xor_b64 s[8:9], exec, s[46:47]
; %bb.142:                              ;   in Loop: Header=BB323_14 Depth=1
	v_bfe_u32 v26, v27, 16, 1
	v_add3_u32 v26, v27, v26, s57
                                        ; implicit-def: $vgpr27
; %bb.143:                              ;   in Loop: Header=BB323_14 Depth=1
	s_andn2_saveexec_b64 s[46:47], s[8:9]
; %bb.144:                              ;   in Loop: Header=BB323_14 Depth=1
	v_or_b32_e32 v26, 0x10000, v27
	v_cmp_eq_u32_sdwa s[8:9], v27, v21 src0_sel:WORD_0 src1_sel:DWORD
	s_nop 1
	v_cndmask_b32_e64 v26, v26, v27, s[8:9]
; %bb.145:                              ;   in Loop: Header=BB323_14 Depth=1
	s_or_b64 exec, exec, s[46:47]
	v_and_b32_e32 v27, 0xffff0000, v70
	v_and_b32_e32 v41, 0xffff0000, v41
	v_lshlrev_b32_e32 v70, 16, v14
	v_and_b32_e32 v14, 0xffff0000, v14
	v_and_b32_e32 v40, 0xffff0000, v40
	v_mul_f32_e32 v14, v14, v41
	v_and_b32_e32 v42, 0xffff0000, v42
	v_lshlrev_b32_e32 v71, 16, v15
	v_fmac_f32_e32 v14, v70, v40
	v_and_b32_e32 v43, 0xffff0000, v43
	v_and_b32_e32 v15, 0xffff0000, v15
	v_fmac_f32_e32 v14, v71, v42
	v_and_b32_e32 v44, 0xffff0000, v44
	v_lshlrev_b32_e32 v72, 16, v16
	v_fmac_f32_e32 v14, v15, v43
	v_and_b32_e32 v45, 0xffff0000, v45
	v_and_b32_e32 v16, 0xffff0000, v16
	v_fmac_f32_e32 v14, v72, v44
	;; [unrolled: 6-line block ×13, first 2 shown]
	v_and_b32_e32 v68, 0xffff0000, v68
	v_lshlrev_b32_e32 v84, 16, v4
	v_and_b32_e32 v86, 64, v38
	v_fmac_f32_e32 v14, v3, v67
	v_and_b32_e32 v69, 0xffff0000, v69
	v_and_b32_e32 v4, 0xffff0000, v4
	v_add_u32_e32 v86, 64, v86
	v_xor_b32_e32 v87, 4, v38
	v_fmac_f32_e32 v14, v84, v68
	v_lshlrev_b32_e32 v85, 16, v5
	v_cmp_lt_i32_e64 s[8:9], v87, v86
	v_fmac_f32_e32 v14, v4, v69
	v_and_b32_e32 v5, 0xffff0000, v5
	v_cndmask_b32_e64 v87, v38, v87, s[8:9]
	v_and_b32_e32 v26, 0xffff0000, v26
	v_fmac_f32_e32 v14, v85, v27
	v_lshlrev_b32_e32 v87, 2, v87
	v_fmac_f32_e32 v14, v5, v26
	ds_bpermute_b32 v2, v87, v14
	v_xor_b32_e32 v3, 2, v38
	v_cmp_lt_i32_e64 s[8:9], v3, v86
	v_xor_b32_e32 v4, 1, v38
	s_waitcnt lgkmcnt(0)
	v_add_f32_e32 v2, v14, v2
	v_cndmask_b32_e64 v3, v38, v3, s[8:9]
	v_lshlrev_b32_e32 v3, 2, v3
	ds_bpermute_b32 v3, v3, v2
	v_cmp_lt_i32_e64 s[8:9], v4, v86
	s_waitcnt lgkmcnt(0)
	v_add_f32_e32 v2, v2, v3
	v_cndmask_b32_e64 v4, v38, v4, s[8:9]
	v_lshlrev_b32_e32 v4, 2, v4
	ds_bpermute_b32 v3, v4, v2
	s_and_saveexec_b64 s[46:47], vcc
	s_cbranch_execz .LBB323_12
; %bb.146:                              ;   in Loop: Header=BB323_14 Depth=1
	v_add_u32_e32 v4, v36, v34
	v_cvt_f32_i32_e32 v4, v4
	s_waitcnt lgkmcnt(0)
	v_add_f32_e32 v2, v2, v3
	v_add_u32_e32 v5, v30, v34
	v_cmp_gt_i32_e64 s[8:9], s41, v5
	v_mul_f32_e32 v3, s3, v4
	v_cndmask_b32_e64 v3, 0, v3, s[6:7]
	v_fmac_f32_e32 v3, s45, v2
	v_cndmask_b32_e64 v2, 0, v3, s[8:9]
	ds_write_b32 v35, v2
	v_max_f32_e32 v2, v31, v31
	v_max_f32_e32 v2, v2, v3
	v_cndmask_b32_e64 v31, v31, v2, s[8:9]
	s_branch .LBB323_12
.LBB323_147:
	s_or_b64 exec, exec, s[20:21]
.LBB323_148:
	s_or_b64 exec, exec, s[18:19]
	v_mbcnt_hi_u32_b32 v2, -1, v29
	s_waitcnt lgkmcnt(0)
	v_and_b32_e32 v3, 64, v2
	v_add_u32_e32 v3, 64, v3
	v_xor_b32_e32 v4, 32, v2
	v_cmp_lt_i32_e32 vcc, v4, v3
	v_xor_b32_e32 v7, 16, v2
	v_max_f32_e32 v5, v31, v31
	v_cndmask_b32_e32 v4, v2, v4, vcc
	v_lshlrev_b32_e32 v6, 2, v4
	ds_bpermute_b32 v4, v6, v31
	v_cmp_lt_i32_e32 vcc, v7, v3
	v_and_b32_e32 v22, 63, v0
	s_waitcnt lgkmcnt(0)
	v_max_f32_e32 v4, v4, v4
	v_max_f32_e32 v4, v5, v4
	v_cndmask_b32_e32 v5, v2, v7, vcc
	v_lshlrev_b32_e32 v8, 2, v5
	ds_bpermute_b32 v5, v8, v4
	v_xor_b32_e32 v7, 8, v2
	v_cmp_lt_i32_e32 vcc, v7, v3
	s_waitcnt lgkmcnt(0)
	v_max_f32_e32 v5, v5, v5
	v_max_f32_e32 v4, v4, v5
	v_cndmask_b32_e32 v5, v2, v7, vcc
	v_lshlrev_b32_e32 v9, 2, v5
	ds_bpermute_b32 v7, v9, v4
	v_cmp_eq_u32_e32 vcc, 0, v22
	v_lshlrev_b32_e32 v5, 2, v28
	s_and_saveexec_b64 s[6:7], vcc
	s_cbranch_execz .LBB323_150
; %bb.149:
	s_waitcnt lgkmcnt(0)
	v_max_f32_e32 v7, v7, v7
	v_max_f32_e32 v4, v4, v4
	;; [unrolled: 1-line block ×3, first 2 shown]
	ds_write_b32 v5, v4 offset:512
.LBB323_150:
	s_or_b64 exec, exec, s[6:7]
	v_cmp_gt_u32_e64 s[6:7], 2, v22
	v_mov_b32_e32 v4, 0xff7fffff
	s_waitcnt lgkmcnt(0)
	v_lshlrev_b32_e32 v7, 2, v22
	s_barrier
	s_and_saveexec_b64 s[8:9], s[6:7]
	s_cbranch_execz .LBB323_152
; %bb.151:
	ds_read_b32 v4, v7 offset:512
.LBB323_152:
	s_or_b64 exec, exec, s[8:9]
	v_xor_b32_e32 v10, 1, v2
	v_cmp_lt_i32_e64 s[8:9], v10, v3
	s_sub_i32 s3, s28, s52
	s_lshl_b32 s3, s3, 3
	v_cndmask_b32_e64 v10, v2, v10, s[8:9]
	v_lshlrev_b32_e32 v10, 2, v10
	s_waitcnt lgkmcnt(0)
	ds_bpermute_b32 v11, v10, v4
	v_max_f32_e32 v4, v4, v4
	s_add_i32 s3, s3, s51
	s_min_i32 s20, s3, s41
	s_sub_i32 s3, s20, s51
	s_waitcnt lgkmcnt(0)
	v_max_f32_e32 v11, v11, v11
	v_max_f32_e32 v4, v4, v11
	v_lshlrev_b32_e32 v11, 2, v2
	v_and_b32_e32 v11, 0x100, v11
	ds_bpermute_b32 v4, v11, v4
	v_cmp_gt_i32_e64 s[8:9], s3, v0
	v_mov_b32_e32 v12, 0
	s_and_saveexec_b64 s[12:13], s[8:9]
	s_cbranch_execz .LBB323_156
; %bb.153:
	v_mov_b32_e32 v12, 0x210
	v_lshl_add_u32 v13, v0, 2, v12
	s_mov_b64 s[18:19], 0
	v_mov_b32_e32 v12, 0
	v_mov_b32_e32 v14, v0
.LBB323_154:                            ; =>This Inner Loop Header: Depth=1
	ds_read_b32 v15, v13
	v_add_u32_e32 v14, 0x80, v14
	v_cmp_le_i32_e64 s[10:11], s3, v14
	s_or_b64 s[18:19], s[10:11], s[18:19]
	s_waitcnt lgkmcnt(0)
	v_sub_f32_e32 v15, v15, v4
	v_mul_f32_e32 v15, 0x3fb8aa3b, v15
	v_exp_f32_e32 v15, v15
	ds_write_b32 v13, v15
	v_add_f32_e32 v12, v12, v15
	v_add_u32_e32 v13, 0x200, v13
	s_andn2_b64 exec, exec, s[18:19]
	s_cbranch_execnz .LBB323_154
; %bb.155:
	s_or_b64 exec, exec, s[18:19]
.LBB323_156:
	s_or_b64 exec, exec, s[12:13]
	ds_bpermute_b32 v6, v6, v12
	s_waitcnt lgkmcnt(0)
	v_add_f32_e32 v6, v12, v6
	ds_bpermute_b32 v8, v8, v6
	s_waitcnt lgkmcnt(0)
	v_add_f32_e32 v6, v6, v8
	ds_bpermute_b32 v8, v9, v6
	v_xor_b32_e32 v9, 4, v2
	v_cmp_lt_i32_e64 s[10:11], v9, v3
	s_waitcnt lgkmcnt(0)
	v_add_f32_e32 v6, v6, v8
	v_cndmask_b32_e64 v9, v2, v9, s[10:11]
	v_lshlrev_b32_e32 v9, 2, v9
	ds_bpermute_b32 v8, v9, v6
	v_xor_b32_e32 v9, 2, v2
	v_cmp_lt_i32_e64 s[10:11], v9, v3
	s_waitcnt lgkmcnt(0)
	v_add_f32_e32 v3, v6, v8
	v_cndmask_b32_e64 v2, v2, v9, s[10:11]
	v_lshlrev_b32_e32 v2, 2, v2
	ds_bpermute_b32 v2, v2, v3
	s_waitcnt lgkmcnt(0)
	v_add_f32_e32 v2, v3, v2
	ds_bpermute_b32 v3, v10, v2
	s_waitcnt lgkmcnt(0)
	v_add_f32_e32 v2, v2, v3
	s_and_saveexec_b64 s[10:11], vcc
	s_cbranch_execz .LBB323_158
; %bb.157:
	ds_write_b32 v5, v2 offset:520
.LBB323_158:
	s_or_b64 exec, exec, s[10:11]
	s_waitcnt lgkmcnt(0)
	s_barrier
	s_and_saveexec_b64 s[10:11], s[6:7]
	s_cbranch_execz .LBB323_160
; %bb.159:
	ds_read_b32 v2, v7 offset:520
.LBB323_160:
	s_or_b64 exec, exec, s[10:11]
	s_waitcnt lgkmcnt(0)
	ds_bpermute_b32 v3, v10, v2
	s_waitcnt lgkmcnt(0)
	v_add_f32_e32 v2, v2, v3
	ds_bpermute_b32 v5, v11, v2
	s_and_saveexec_b64 s[6:7], s[8:9]
	s_cbranch_execz .LBB323_173
; %bb.161:
	s_waitcnt lgkmcnt(0)
	v_add_f32_e32 v2, 0x358637bd, v5
	v_div_scale_f32 v3, s[8:9], v2, v2, 1.0
	v_rcp_f32_e32 v6, v3
	v_div_scale_f32 v7, vcc, 1.0, v2, 1.0
	s_movk_i32 s8, 0x7f
	v_fma_f32 v8, -v3, v6, 1.0
	v_fmac_f32_e32 v6, v8, v6
	v_mul_f32_e32 v8, v7, v6
	v_fma_f32 v9, -v3, v8, v7
	v_fmac_f32_e32 v8, v9, v6
	v_fma_f32 v3, -v3, v8, v7
	v_div_fmas_f32 v3, v3, v6, v8
	v_div_fixup_f32 v2, v3, v2, 1.0
	v_xad_u32 v3, v0, -1, s20
	v_subrev_u32_e32 v6, s51, v3
	v_cmp_lt_u32_e32 vcc, s8, v6
	s_mov_b64 s[10:11], -1
	v_mov_b32_e32 v3, v0
	s_and_saveexec_b64 s[8:9], vcc
	s_cbranch_execz .LBB323_170
; %bb.162:
	v_lshrrev_b32_e32 v6, 7, v6
	v_add_u32_e32 v8, -1, v6
	v_lshrrev_b32_e32 v7, 1, v8
	v_mov_b32_e32 v3, v2
	v_add_u32_e32 v7, 1, v7
	v_cmp_lt_u32_e32 vcc, 13, v8
	v_mov_b32_e32 v10, 0
	s_and_saveexec_b64 s[10:11], vcc
	s_cbranch_execz .LBB323_166
; %bb.163:
	v_mov_b32_e32 v9, 0x210
	v_and_b32_e32 v8, -8, v7
	v_lshl_add_u32 v9, v0, 2, v9
	s_mov_b32 s18, 0
	s_mov_b64 s[12:13], 0
.LBB323_164:                            ; =>This Inner Loop Header: Depth=1
	ds_read2st64_b32 v[10:11], v9 offset1:2
	ds_read2st64_b32 v[12:13], v9 offset0:4 offset1:6
	ds_read2st64_b32 v[14:15], v9 offset0:8 offset1:10
	;; [unrolled: 1-line block ×3, first 2 shown]
	v_add_u32_e32 v8, -8, v8
	s_waitcnt lgkmcnt(3)
	v_pk_mul_f32 v[10:11], v[2:3], v[10:11]
	s_waitcnt lgkmcnt(2)
	v_pk_mul_f32 v[12:13], v[2:3], v[12:13]
	ds_write2st64_b32 v9, v10, v11 offset1:2
	ds_write2st64_b32 v9, v12, v13 offset0:4 offset1:6
	ds_read2st64_b32 v[12:13], v9 offset0:16 offset1:18
	s_waitcnt lgkmcnt(4)
	v_pk_mul_f32 v[10:11], v[2:3], v[14:15]
	ds_write2st64_b32 v9, v10, v11 offset0:8 offset1:10
	s_waitcnt lgkmcnt(4)
	v_pk_mul_f32 v[10:11], v[2:3], v[16:17]
	ds_write2st64_b32 v9, v10, v11 offset0:12 offset1:14
	ds_read2st64_b32 v[10:11], v9 offset0:20 offset1:22
	s_waitcnt lgkmcnt(3)
	v_pk_mul_f32 v[12:13], v[2:3], v[12:13]
	ds_read2st64_b32 v[14:15], v9 offset0:24 offset1:26
	ds_write2st64_b32 v9, v12, v13 offset0:16 offset1:18
	ds_read2st64_b32 v[12:13], v9 offset0:28 offset1:30
	s_waitcnt lgkmcnt(3)
	v_pk_mul_f32 v[10:11], v[2:3], v[10:11]
	ds_write2st64_b32 v9, v10, v11 offset0:20 offset1:22
	s_waitcnt lgkmcnt(3)
	v_pk_mul_f32 v[10:11], v[2:3], v[14:15]
	ds_write2st64_b32 v9, v10, v11 offset0:24 offset1:26
	s_waitcnt lgkmcnt(2)
	v_pk_mul_f32 v[10:11], v[2:3], v[12:13]
	s_add_i32 s18, s18, 16
	v_cmp_eq_u32_e32 vcc, 0, v8
	ds_write2st64_b32 v9, v10, v11 offset0:28 offset1:30
	v_add_u32_e32 v9, 0x2000, v9
	s_or_b64 s[12:13], vcc, s[12:13]
	v_mov_b32_e32 v10, s18
	s_andn2_b64 exec, exec, s[12:13]
	s_cbranch_execnz .LBB323_164
; %bb.165:
	s_or_b64 exec, exec, s[12:13]
.LBB323_166:
	s_or_b64 exec, exec, s[10:11]
	v_and_b32_e32 v7, 7, v7
	v_cmp_ne_u32_e32 vcc, 0, v7
	s_and_saveexec_b64 s[10:11], vcc
	s_cbranch_execz .LBB323_169
; %bb.167:
	v_lshlrev_b32_e32 v8, 9, v10
	v_lshlrev_b32_e32 v9, 2, v0
	s_movk_i32 s12, 0x210
	v_add3_u32 v8, v8, v9, s12
	s_mov_b64 s[12:13], 0
.LBB323_168:                            ; =>This Inner Loop Header: Depth=1
	ds_read2st64_b32 v[10:11], v8 offset1:2
	v_add_u32_e32 v7, -1, v7
	v_cmp_eq_u32_e32 vcc, 0, v7
	s_or_b64 s[12:13], vcc, s[12:13]
	s_waitcnt lgkmcnt(0)
	v_pk_mul_f32 v[10:11], v[2:3], v[10:11]
	ds_write2st64_b32 v8, v10, v11 offset1:2
	v_add_u32_e32 v8, 0x400, v8
	s_andn2_b64 exec, exec, s[12:13]
	s_cbranch_execnz .LBB323_168
.LBB323_169:
	s_or_b64 exec, exec, s[10:11]
	v_add_u32_e32 v6, 1, v6
	v_and_b32_e32 v7, 0x3fffffe, v6
	v_cmp_ne_u32_e32 vcc, v6, v7
	v_lshl_add_u32 v3, v7, 7, v0
	s_orn2_b64 s[10:11], vcc, exec
.LBB323_170:
	s_or_b64 exec, exec, s[8:9]
	s_and_b64 exec, exec, s[10:11]
	s_cbranch_execz .LBB323_173
; %bb.171:
	v_mov_b32_e32 v6, 0x210
	v_lshl_add_u32 v6, v3, 2, v6
	s_mov_b64 s[8:9], 0
.LBB323_172:                            ; =>This Inner Loop Header: Depth=1
	ds_read_b32 v7, v6
	v_add_u32_e32 v3, 0x80, v3
	v_cmp_le_i32_e32 vcc, s3, v3
	s_or_b64 s[8:9], vcc, s[8:9]
	s_waitcnt lgkmcnt(0)
	v_mul_f32_e32 v7, v2, v7
	ds_write_b32 v6, v7
	v_add_u32_e32 v6, 0x200, v6
	s_andn2_b64 exec, exec, s[8:9]
	s_cbranch_execnz .LBB323_172
.LBB323_173:
	s_or_b64 exec, exec, s[6:7]
	s_mul_i32 s3, s33, s40
	s_mov_b32 s8, 0
	v_cmp_eq_u32_e32 vcc, 0, v0
	s_mul_i32 s6, s3, s5
	s_waitcnt lgkmcnt(0)
	s_barrier
	s_and_saveexec_b64 s[10:11], vcc
	s_cbranch_execz .LBB323_175
; %bb.174:
	s_ashr_i32 s7, s6, 31
	s_lshl_b64 s[12:13], s[6:7], 2
	s_add_u32 s5, s26, s12
	s_mul_i32 s2, s33, s2
	s_addc_u32 s7, s27, s13
	s_ashr_i32 s3, s2, 31
	s_lshl_b64 s[2:3], s[2:3], 2
	s_add_u32 s9, s5, s2
	s_addc_u32 s7, s7, s3
	s_ashr_i32 s5, s4, 31
	s_lshl_b64 s[18:19], s[4:5], 2
	s_add_u32 s20, s9, s18
	s_addc_u32 s21, s7, s19
	s_add_u32 s5, s24, s12
	s_addc_u32 s7, s25, s13
	s_add_u32 s2, s5, s2
	s_addc_u32 s3, s7, s3
	s_add_u32 s2, s2, s18
	v_mov_b32_e32 v2, 0
	s_addc_u32 s3, s3, s19
	global_store_dword v2, v4, s[20:21]
	global_store_dword v2, v5, s[2:3]
.LBB323_175:
	s_or_b64 exec, exec, s[10:11]
	s_mov_b32 s9, s8
	s_mov_b32 s10, s8
	;; [unrolled: 1-line block ×3, first 2 shown]
	v_mov_b64_e32 v[2:3], s[8:9]
	v_mov_b64_e32 v[4:5], s[10:11]
	s_and_saveexec_b64 s[2:3], s[0:1]
	s_cbranch_execz .LBB323_477
; %bb.176:
	s_sub_i32 s5, s49, s29
	s_ashr_i32 s1, s50, 31
	s_add_u32 s0, s22, s50
	s_addc_u32 s1, s23, s1
	s_abs_i32 s7, s30
	v_cvt_f32_u32_e32 v2, s7
	v_lshlrev_b32_e32 v14, 3, v22
	v_mov_b32_e32 v15, 0
	s_sub_i32 s8, 0, s7
	v_rcp_iflag_f32_e32 v2, v2
	s_add_i32 s18, s48, -1
	v_lshl_add_u64 v[16:17], s[0:1], 0, v[14:15]
	s_lshl_b64 s[0:1], s[42:43], 2
	v_mul_f32_e32 v2, 0x4f7ffffe, v2
	v_cvt_u32_f32_e32 v2, v2
	s_mov_b32 s20, 0
	s_add_u32 s0, s38, s0
	s_addc_u32 s1, s39, s1
	v_mul_lo_u32 v3, s8, v2
	v_mul_hi_u32 v3, v2, v3
	v_add_u32_e32 v14, v2, v3
	v_mov_b32_e32 v2, 0x210
	s_mov_b32 s21, s20
	v_lshl_add_u64 v[20:21], v[18:19], 2, s[0:1]
	v_lshl_add_u32 v19, v28, 5, v2
	s_mov_b32 s22, s20
	s_mov_b32 s23, s20
	v_mov_b64_e32 v[2:3], s[20:21]
	s_mov_b64 s[8:9], 0
	v_mov_b64_e32 v[4:5], s[22:23]
	s_mov_b32 s19, 0x7f800000
	s_movk_i32 s20, 0x7fff
	s_branch .LBB323_179
.LBB323_177:                            ;   in Loop: Header=BB323_179 Depth=1
	s_or_b64 exec, exec, s[0:1]
	v_and_b32_e32 v35, 0xffff0000, v13
	v_and_b32_e32 v34, 0xffff0000, v11
	;; [unrolled: 1-line block ×8, first 2 shown]
	v_pk_add_f32 v[10:11], v[10:11], v[34:35]
	v_pk_add_f32 v[12:13], v[24:25], v[32:33]
	v_add_f32_e32 v10, v10, v11
	v_add_f32_e32 v10, v10, v12
	v_add_f32_e32 v10, v10, v13
	v_and_b32_e32 v25, 0xffff0000, v45
	v_and_b32_e32 v24, 0xffff0000, v43
	v_and_b32_e32 v33, 0xffff0000, v44
	v_and_b32_e32 v32, 0xffff0000, v42
	v_add_f32_e32 v2, v2, v10
	v_and_b32_e32 v11, 0xffff0000, v49
	v_and_b32_e32 v10, 0xffff0000, v47
	v_and_b32_e32 v13, 0xffff0000, v48
	v_and_b32_e32 v12, 0xffff0000, v46
	v_pk_add_f32 v[24:25], v[32:33], v[24:25]
	v_pk_add_f32 v[10:11], v[12:13], v[10:11]
	v_add_f32_e32 v12, v24, v25
	v_add_f32_e32 v10, v12, v10
	v_add_f32_e32 v10, v10, v11
	v_and_b32_e32 v25, 0xffff0000, v51
	v_and_b32_e32 v24, 0xffff0000, v9
	v_and_b32_e32 v9, 0xffff0000, v50
	v_and_b32_e32 v8, 0xffff0000, v8
	v_add_f32_e32 v3, v3, v10
	v_and_b32_e32 v11, 0xffff0000, v55
	v_and_b32_e32 v10, 0xffff0000, v53
	v_and_b32_e32 v13, 0xffff0000, v54
	v_and_b32_e32 v12, 0xffff0000, v52
	;; [unrolled: 14-line block ×3, first 2 shown]
	v_pk_add_f32 v[6:7], v[6:7], v[12:13]
	v_pk_add_f32 v[8:9], v[10:11], v[8:9]
	v_add_f32_e32 v6, v6, v7
	v_add_f32_e32 v6, v6, v8
	;; [unrolled: 1-line block ×4, first 2 shown]
.LBB323_178:                            ;   in Loop: Header=BB323_179 Depth=1
	s_or_b64 exec, exec, s[10:11]
	v_add_u32_e32 v18, 2, v18
	v_cmp_le_i32_e32 vcc, s28, v18
	v_lshl_add_u64 v[20:21], v[20:21], 0, 8
	v_add_u32_e32 v1, 16, v1
	s_or_b64 s[8:9], vcc, s[8:9]
	v_add_u32_e32 v19, 64, v19
	s_andn2_b64 exec, exec, s[8:9]
	s_cbranch_execz .LBB323_476
.LBB323_179:                            ; =>This Inner Loop Header: Depth=1
	v_sub_u32_e32 v7, 0, v1
	v_max_i32_e32 v7, v1, v7
	v_mul_hi_u32 v8, v7, s37
	v_mul_lo_u32 v9, v8, s16
	v_sub_u32_e32 v7, v7, v9
	v_add_u32_e32 v9, 1, v8
	v_cmp_le_u32_e32 vcc, s16, v7
	v_ashrrev_i32_e32 v6, 31, v1
	v_xor_b32_e32 v6, s31, v6
	v_cndmask_b32_e32 v8, v8, v9, vcc
	v_subrev_u32_e32 v9, s16, v7
	v_cndmask_b32_e32 v7, v7, v9, vcc
	v_add_u32_e32 v9, 1, v8
	v_cmp_le_u32_e32 vcc, s16, v7
	s_nop 1
	v_cndmask_b32_e32 v7, v8, v9, vcc
	v_xor_b32_e32 v7, v7, v6
	v_sub_u32_e32 v6, v7, v6
	v_add_u32_e32 v7, s44, v6
	v_sub_u32_e32 v9, 0, v7
	v_ashrrev_i32_e32 v8, 31, v7
	v_max_i32_e32 v7, v7, v9
	v_mul_hi_u32 v9, v7, v14
	v_mul_lo_u32 v9, v9, s7
	v_sub_u32_e32 v7, v7, v9
	v_subrev_u32_e32 v9, s7, v7
	v_cmp_le_u32_e32 vcc, s7, v7
	v_cmp_lt_i32_e64 s[0:1], s5, v6
	s_nop 0
	v_cndmask_b32_e32 v7, v7, v9, vcc
	v_subrev_u32_e32 v9, s7, v7
	v_cmp_le_u32_e32 vcc, s7, v7
	s_nop 1
	v_cndmask_b32_e32 v7, v7, v9, vcc
	v_xor_b32_e32 v7, v7, v8
	v_sub_u32_e32 v7, v7, v8
	v_cmp_eq_u32_e32 vcc, 0, v7
	s_or_b64 s[0:1], vcc, s[0:1]
	s_and_saveexec_b64 s[10:11], s[0:1]
	s_cbranch_execz .LBB323_178
; %bb.180:                              ;   in Loop: Header=BB323_179 Depth=1
	global_load_dword v26, v[20:21], off
	ds_read2_b64 v[10:13], v19 offset1:1
	ds_read2_b64 v[6:9], v19 offset0:2 offset1:3
                                        ; implicit-def: $vgpr34
	s_waitcnt lgkmcnt(1)
	v_and_b32_e32 v23, 0x7f800000, v10
	v_cmp_ne_u32_e32 vcc, s19, v23
	s_and_saveexec_b64 s[0:1], vcc
	s_xor_b64 s[0:1], exec, s[0:1]
; %bb.181:                              ;   in Loop: Header=BB323_179 Depth=1
	v_bfe_u32 v23, v10, 16, 1
	v_add3_u32 v34, v10, v23, s20
; %bb.182:                              ;   in Loop: Header=BB323_179 Depth=1
	s_andn2_saveexec_b64 s[0:1], s[0:1]
; %bb.183:                              ;   in Loop: Header=BB323_179 Depth=1
	v_or_b32_e32 v23, 0x10000, v10
	v_cmp_eq_u32_sdwa vcc, v10, v15 src0_sel:WORD_0 src1_sel:DWORD
	s_nop 1
	v_cndmask_b32_e32 v34, v23, v10, vcc
; %bb.184:                              ;   in Loop: Header=BB323_179 Depth=1
	s_or_b64 exec, exec, s[0:1]
	v_and_b32_e32 v10, 0x7f800000, v11
	v_cmp_ne_u32_e32 vcc, s19, v10
                                        ; implicit-def: $vgpr35
	s_and_saveexec_b64 s[0:1], vcc
	s_xor_b64 s[0:1], exec, s[0:1]
; %bb.185:                              ;   in Loop: Header=BB323_179 Depth=1
	v_bfe_u32 v10, v11, 16, 1
	v_add3_u32 v35, v11, v10, s20
; %bb.186:                              ;   in Loop: Header=BB323_179 Depth=1
	s_andn2_saveexec_b64 s[0:1], s[0:1]
; %bb.187:                              ;   in Loop: Header=BB323_179 Depth=1
	v_or_b32_e32 v10, 0x10000, v11
	v_cmp_eq_u32_sdwa vcc, v11, v15 src0_sel:WORD_0 src1_sel:DWORD
	s_nop 1
	v_cndmask_b32_e32 v35, v10, v11, vcc
; %bb.188:                              ;   in Loop: Header=BB323_179 Depth=1
	s_or_b64 exec, exec, s[0:1]
	v_and_b32_e32 v10, 0x7f800000, v12
	v_cmp_ne_u32_e32 vcc, s19, v10
                                        ; implicit-def: $vgpr36
	s_and_saveexec_b64 s[0:1], vcc
	s_xor_b64 s[0:1], exec, s[0:1]
; %bb.189:                              ;   in Loop: Header=BB323_179 Depth=1
	v_bfe_u32 v10, v12, 16, 1
	v_add3_u32 v36, v12, v10, s20
; %bb.190:                              ;   in Loop: Header=BB323_179 Depth=1
	s_andn2_saveexec_b64 s[0:1], s[0:1]
; %bb.191:                              ;   in Loop: Header=BB323_179 Depth=1
	v_or_b32_e32 v10, 0x10000, v12
	v_cmp_eq_u32_sdwa vcc, v12, v15 src0_sel:WORD_0 src1_sel:DWORD
	s_nop 1
	v_cndmask_b32_e32 v36, v10, v12, vcc
; %bb.192:                              ;   in Loop: Header=BB323_179 Depth=1
	s_or_b64 exec, exec, s[0:1]
	v_and_b32_e32 v10, 0x7f800000, v13
	v_cmp_ne_u32_e32 vcc, s19, v10
                                        ; implicit-def: $vgpr37
	s_and_saveexec_b64 s[0:1], vcc
	s_xor_b64 s[0:1], exec, s[0:1]
; %bb.193:                              ;   in Loop: Header=BB323_179 Depth=1
	v_bfe_u32 v10, v13, 16, 1
	v_add3_u32 v37, v13, v10, s20
                                        ; implicit-def: $vgpr10_vgpr11_vgpr12_vgpr13
; %bb.194:                              ;   in Loop: Header=BB323_179 Depth=1
	s_andn2_saveexec_b64 s[0:1], s[0:1]
; %bb.195:                              ;   in Loop: Header=BB323_179 Depth=1
	v_or_b32_e32 v10, 0x10000, v13
	v_cmp_eq_u32_sdwa vcc, v13, v15 src0_sel:WORD_0 src1_sel:DWORD
	s_nop 1
	v_cndmask_b32_e32 v37, v10, v13, vcc
; %bb.196:                              ;   in Loop: Header=BB323_179 Depth=1
	s_or_b64 exec, exec, s[0:1]
	s_waitcnt lgkmcnt(0)
	v_and_b32_e32 v10, 0x7f800000, v6
	v_cmp_ne_u32_e32 vcc, s19, v10
                                        ; implicit-def: $vgpr23
	s_and_saveexec_b64 s[0:1], vcc
	s_xor_b64 s[0:1], exec, s[0:1]
; %bb.197:                              ;   in Loop: Header=BB323_179 Depth=1
	v_bfe_u32 v10, v6, 16, 1
	v_add3_u32 v23, v6, v10, s20
; %bb.198:                              ;   in Loop: Header=BB323_179 Depth=1
	s_andn2_saveexec_b64 s[0:1], s[0:1]
; %bb.199:                              ;   in Loop: Header=BB323_179 Depth=1
	v_or_b32_e32 v10, 0x10000, v6
	v_cmp_eq_u32_sdwa vcc, v6, v15 src0_sel:WORD_0 src1_sel:DWORD
	s_nop 1
	v_cndmask_b32_e32 v23, v10, v6, vcc
; %bb.200:                              ;   in Loop: Header=BB323_179 Depth=1
	s_or_b64 exec, exec, s[0:1]
	v_and_b32_e32 v6, 0x7f800000, v7
	v_cmp_ne_u32_e32 vcc, s19, v6
                                        ; implicit-def: $vgpr24
	s_and_saveexec_b64 s[0:1], vcc
	s_xor_b64 s[0:1], exec, s[0:1]
; %bb.201:                              ;   in Loop: Header=BB323_179 Depth=1
	v_bfe_u32 v6, v7, 16, 1
	v_add3_u32 v24, v7, v6, s20
; %bb.202:                              ;   in Loop: Header=BB323_179 Depth=1
	s_andn2_saveexec_b64 s[0:1], s[0:1]
; %bb.203:                              ;   in Loop: Header=BB323_179 Depth=1
	v_or_b32_e32 v6, 0x10000, v7
	v_cmp_eq_u32_sdwa vcc, v7, v15 src0_sel:WORD_0 src1_sel:DWORD
	s_nop 1
	v_cndmask_b32_e32 v24, v6, v7, vcc
; %bb.204:                              ;   in Loop: Header=BB323_179 Depth=1
	s_or_b64 exec, exec, s[0:1]
	v_and_b32_e32 v6, 0x7f800000, v8
	v_cmp_ne_u32_e32 vcc, s19, v6
                                        ; implicit-def: $vgpr25
	s_and_saveexec_b64 s[0:1], vcc
	s_xor_b64 s[0:1], exec, s[0:1]
; %bb.205:                              ;   in Loop: Header=BB323_179 Depth=1
	v_bfe_u32 v6, v8, 16, 1
	v_add3_u32 v25, v8, v6, s20
; %bb.206:                              ;   in Loop: Header=BB323_179 Depth=1
	s_andn2_saveexec_b64 s[0:1], s[0:1]
; %bb.207:                              ;   in Loop: Header=BB323_179 Depth=1
	v_or_b32_e32 v6, 0x10000, v8
	v_cmp_eq_u32_sdwa vcc, v8, v15 src0_sel:WORD_0 src1_sel:DWORD
	s_nop 1
	v_cndmask_b32_e32 v25, v6, v8, vcc
; %bb.208:                              ;   in Loop: Header=BB323_179 Depth=1
	s_or_b64 exec, exec, s[0:1]
	v_and_b32_e32 v6, 0x7f800000, v9
	v_cmp_ne_u32_e32 vcc, s19, v6
                                        ; implicit-def: $vgpr33
	s_and_saveexec_b64 s[0:1], vcc
	s_xor_b64 s[0:1], exec, s[0:1]
; %bb.209:                              ;   in Loop: Header=BB323_179 Depth=1
	v_bfe_u32 v6, v9, 16, 1
	v_add3_u32 v33, v9, v6, s20
                                        ; implicit-def: $vgpr6_vgpr7_vgpr8_vgpr9
; %bb.210:                              ;   in Loop: Header=BB323_179 Depth=1
	s_andn2_saveexec_b64 s[0:1], s[0:1]
; %bb.211:                              ;   in Loop: Header=BB323_179 Depth=1
	v_or_b32_e32 v6, 0x10000, v9
	v_cmp_eq_u32_sdwa vcc, v9, v15 src0_sel:WORD_0 src1_sel:DWORD
	s_nop 1
	v_cndmask_b32_e32 v33, v6, v9, vcc
; %bb.212:                              ;   in Loop: Header=BB323_179 Depth=1
	s_or_b64 exec, exec, s[0:1]
	s_waitcnt vmcnt(0)
	v_mad_i64_i32 v[6:7], s[0:1], v26, s17, v[16:17]
	global_load_dwordx2 v[8:9], v[6:7], off
	s_load_dword s21, s[14:15], 0x0
	s_waitcnt vmcnt(0)
	v_and_b32_e32 v10, 0xff, v8
	v_cvt_f32_fp8_sdwa v10, v10 src0_sel:BYTE_0
	s_waitcnt lgkmcnt(0)
	v_mul_f32_e32 v11, s21, v10
	v_and_b32_e32 v10, 0x7f800000, v11
	v_cmp_ne_u32_e32 vcc, s19, v10
                                        ; implicit-def: $vgpr10
	s_and_saveexec_b64 s[0:1], vcc
	s_xor_b64 s[0:1], exec, s[0:1]
; %bb.213:                              ;   in Loop: Header=BB323_179 Depth=1
	v_bfe_u32 v10, v11, 16, 1
	v_add3_u32 v10, v11, v10, s20
                                        ; implicit-def: $vgpr11
; %bb.214:                              ;   in Loop: Header=BB323_179 Depth=1
	s_andn2_saveexec_b64 s[0:1], s[0:1]
; %bb.215:                              ;   in Loop: Header=BB323_179 Depth=1
	v_or_b32_e32 v10, 0x10000, v11
	v_cmp_eq_u32_sdwa vcc, v11, v15 src0_sel:WORD_0 src1_sel:DWORD
	s_nop 1
	v_cndmask_b32_e32 v10, v10, v11, vcc
; %bb.216:                              ;   in Loop: Header=BB323_179 Depth=1
	s_or_b64 exec, exec, s[0:1]
	v_bfe_u32 v11, v8, 8, 8
	v_cvt_f32_fp8_sdwa v11, v11 src0_sel:BYTE_0
	s_nop 0
	v_mul_f32_e32 v12, s21, v11
	v_and_b32_e32 v11, 0x7f800000, v12
	v_cmp_ne_u32_e32 vcc, s19, v11
                                        ; implicit-def: $vgpr11
	s_and_saveexec_b64 s[0:1], vcc
	s_xor_b64 s[0:1], exec, s[0:1]
; %bb.217:                              ;   in Loop: Header=BB323_179 Depth=1
	v_bfe_u32 v11, v12, 16, 1
	v_add3_u32 v11, v12, v11, s20
                                        ; implicit-def: $vgpr12
; %bb.218:                              ;   in Loop: Header=BB323_179 Depth=1
	s_andn2_saveexec_b64 s[0:1], s[0:1]
; %bb.219:                              ;   in Loop: Header=BB323_179 Depth=1
	v_or_b32_e32 v11, 0x10000, v12
	v_cmp_eq_u32_sdwa vcc, v12, v15 src0_sel:WORD_0 src1_sel:DWORD
	s_nop 1
	v_cndmask_b32_e32 v11, v11, v12, vcc
; %bb.220:                              ;   in Loop: Header=BB323_179 Depth=1
	s_or_b64 exec, exec, s[0:1]
	v_bfe_u32 v12, v8, 16, 8
	v_cvt_f32_fp8_sdwa v12, v12 src0_sel:BYTE_0
	s_nop 0
	v_mul_f32_e32 v13, s21, v12
	v_and_b32_e32 v12, 0x7f800000, v13
	v_cmp_ne_u32_e32 vcc, s19, v12
                                        ; implicit-def: $vgpr12
	s_and_saveexec_b64 s[0:1], vcc
	s_xor_b64 s[0:1], exec, s[0:1]
; %bb.221:                              ;   in Loop: Header=BB323_179 Depth=1
	v_bfe_u32 v12, v13, 16, 1
	v_add3_u32 v12, v13, v12, s20
                                        ; implicit-def: $vgpr13
; %bb.222:                              ;   in Loop: Header=BB323_179 Depth=1
	s_andn2_saveexec_b64 s[0:1], s[0:1]
; %bb.223:                              ;   in Loop: Header=BB323_179 Depth=1
	v_or_b32_e32 v12, 0x10000, v13
	v_cmp_eq_u32_sdwa vcc, v13, v15 src0_sel:WORD_0 src1_sel:DWORD
	s_nop 1
	v_cndmask_b32_e32 v12, v12, v13, vcc
; %bb.224:                              ;   in Loop: Header=BB323_179 Depth=1
	s_or_b64 exec, exec, s[0:1]
	v_lshrrev_b32_e32 v8, 24, v8
	v_cvt_f32_fp8_sdwa v8, v8 src0_sel:BYTE_0
	s_nop 0
	v_mul_f32_e32 v13, s21, v8
	v_and_b32_e32 v8, 0x7f800000, v13
	v_cmp_ne_u32_e32 vcc, s19, v8
                                        ; implicit-def: $vgpr8
	s_and_saveexec_b64 s[0:1], vcc
	s_xor_b64 s[0:1], exec, s[0:1]
; %bb.225:                              ;   in Loop: Header=BB323_179 Depth=1
	v_bfe_u32 v8, v13, 16, 1
	v_add3_u32 v8, v13, v8, s20
                                        ; implicit-def: $vgpr13
; %bb.226:                              ;   in Loop: Header=BB323_179 Depth=1
	s_andn2_saveexec_b64 s[0:1], s[0:1]
; %bb.227:                              ;   in Loop: Header=BB323_179 Depth=1
	v_or_b32_e32 v8, 0x10000, v13
	v_cmp_eq_u32_sdwa vcc, v13, v15 src0_sel:WORD_0 src1_sel:DWORD
	s_nop 1
	v_cndmask_b32_e32 v8, v8, v13, vcc
; %bb.228:                              ;   in Loop: Header=BB323_179 Depth=1
	s_or_b64 exec, exec, s[0:1]
	v_and_b32_e32 v13, 0xff, v9
	v_cvt_f32_fp8_sdwa v13, v13 src0_sel:BYTE_0
	s_nop 0
	v_mul_f32_e32 v26, s21, v13
	v_and_b32_e32 v13, 0x7f800000, v26
	v_cmp_ne_u32_e32 vcc, s19, v13
                                        ; implicit-def: $vgpr13
	s_and_saveexec_b64 s[0:1], vcc
	s_xor_b64 s[0:1], exec, s[0:1]
; %bb.229:                              ;   in Loop: Header=BB323_179 Depth=1
	v_bfe_u32 v13, v26, 16, 1
	v_add3_u32 v13, v26, v13, s20
                                        ; implicit-def: $vgpr26
; %bb.230:                              ;   in Loop: Header=BB323_179 Depth=1
	s_andn2_saveexec_b64 s[0:1], s[0:1]
; %bb.231:                              ;   in Loop: Header=BB323_179 Depth=1
	v_or_b32_e32 v13, 0x10000, v26
	v_cmp_eq_u32_sdwa vcc, v26, v15 src0_sel:WORD_0 src1_sel:DWORD
	s_nop 1
	v_cndmask_b32_e32 v13, v13, v26, vcc
; %bb.232:                              ;   in Loop: Header=BB323_179 Depth=1
	s_or_b64 exec, exec, s[0:1]
	v_bfe_u32 v26, v9, 8, 8
	v_cvt_f32_fp8_sdwa v26, v26 src0_sel:BYTE_0
	s_nop 0
	v_mul_f32_e32 v27, s21, v26
	v_and_b32_e32 v26, 0x7f800000, v27
	v_cmp_ne_u32_e32 vcc, s19, v26
                                        ; implicit-def: $vgpr26
	s_and_saveexec_b64 s[0:1], vcc
	s_xor_b64 s[0:1], exec, s[0:1]
; %bb.233:                              ;   in Loop: Header=BB323_179 Depth=1
	v_bfe_u32 v26, v27, 16, 1
	v_add3_u32 v26, v27, v26, s20
                                        ; implicit-def: $vgpr27
; %bb.234:                              ;   in Loop: Header=BB323_179 Depth=1
	s_andn2_saveexec_b64 s[0:1], s[0:1]
; %bb.235:                              ;   in Loop: Header=BB323_179 Depth=1
	v_or_b32_e32 v26, 0x10000, v27
	v_cmp_eq_u32_sdwa vcc, v27, v15 src0_sel:WORD_0 src1_sel:DWORD
	s_nop 1
	v_cndmask_b32_e32 v26, v26, v27, vcc
; %bb.236:                              ;   in Loop: Header=BB323_179 Depth=1
	s_or_b64 exec, exec, s[0:1]
	v_bfe_u32 v27, v9, 16, 8
	v_cvt_f32_fp8_sdwa v27, v27 src0_sel:BYTE_0
	s_nop 0
	v_mul_f32_e32 v28, s21, v27
	v_and_b32_e32 v27, 0x7f800000, v28
	v_cmp_ne_u32_e32 vcc, s19, v27
                                        ; implicit-def: $vgpr27
	s_and_saveexec_b64 s[0:1], vcc
	s_xor_b64 s[0:1], exec, s[0:1]
; %bb.237:                              ;   in Loop: Header=BB323_179 Depth=1
	v_bfe_u32 v27, v28, 16, 1
	v_add3_u32 v27, v28, v27, s20
                                        ; implicit-def: $vgpr28
; %bb.238:                              ;   in Loop: Header=BB323_179 Depth=1
	s_andn2_saveexec_b64 s[0:1], s[0:1]
; %bb.239:                              ;   in Loop: Header=BB323_179 Depth=1
	v_or_b32_e32 v27, 0x10000, v28
	v_cmp_eq_u32_sdwa vcc, v28, v15 src0_sel:WORD_0 src1_sel:DWORD
	s_nop 1
	v_cndmask_b32_e32 v27, v27, v28, vcc
; %bb.240:                              ;   in Loop: Header=BB323_179 Depth=1
	s_or_b64 exec, exec, s[0:1]
	v_lshrrev_b32_e32 v9, 24, v9
	v_cvt_f32_fp8_sdwa v9, v9 src0_sel:BYTE_0
	s_nop 0
	v_mul_f32_e32 v9, s21, v9
	v_and_b32_e32 v28, 0x7f800000, v9
	v_cmp_ne_u32_e32 vcc, s19, v28
                                        ; implicit-def: $vgpr28
	s_and_saveexec_b64 s[0:1], vcc
	s_xor_b64 s[0:1], exec, s[0:1]
; %bb.241:                              ;   in Loop: Header=BB323_179 Depth=1
	v_bfe_u32 v28, v9, 16, 1
	v_add3_u32 v28, v9, v28, s20
                                        ; implicit-def: $vgpr9
; %bb.242:                              ;   in Loop: Header=BB323_179 Depth=1
	s_andn2_saveexec_b64 s[0:1], s[0:1]
; %bb.243:                              ;   in Loop: Header=BB323_179 Depth=1
	v_or_b32_e32 v28, 0x10000, v9
	v_cmp_eq_u32_sdwa vcc, v9, v15 src0_sel:WORD_0 src1_sel:DWORD
	s_nop 1
	v_cndmask_b32_e32 v28, v28, v9, vcc
; %bb.244:                              ;   in Loop: Header=BB323_179 Depth=1
	s_or_b64 exec, exec, s[0:1]
	v_cmp_eq_u32_e32 vcc, s18, v18
	v_lshrrev_b32_e32 v40, 16, v26
	v_lshrrev_b32_e32 v39, 16, v13
	;; [unrolled: 1-line block ×8, first 2 shown]
	v_add_u32_e32 v32, 1, v1
	v_add_u32_e32 v31, 2, v1
	;; [unrolled: 1-line block ×7, first 2 shown]
	s_and_saveexec_b64 s[12:13], vcc
	s_cbranch_execz .LBB323_246
; %bb.245:                              ;   in Loop: Header=BB323_179 Depth=1
	v_cmp_gt_i32_e64 s[0:1], s41, v1
	s_nop 1
	v_cndmask_b32_e64 v10, 0, v10, s[0:1]
	v_cmp_gt_i32_e64 s[0:1], s41, v32
	s_nop 1
	v_cndmask_b32_e64 v11, 0, v11, s[0:1]
	;; [unrolled: 3-line block ×8, first 2 shown]
.LBB323_246:                            ;   in Loop: Header=BB323_179 Depth=1
	s_or_b64 exec, exec, s[12:13]
	v_and_b32_e32 v34, 0xffff0000, v34
	v_lshlrev_b32_e32 v10, 16, v10
	v_mul_f32_e32 v38, v34, v10
	v_and_b32_e32 v10, 0x7f800000, v38
	v_cmp_ne_u32_e64 s[0:1], s19, v10
                                        ; implicit-def: $vgpr10
	s_and_saveexec_b64 s[12:13], s[0:1]
	s_xor_b64 s[0:1], exec, s[12:13]
; %bb.247:                              ;   in Loop: Header=BB323_179 Depth=1
	v_bfe_u32 v10, v38, 16, 1
	v_add3_u32 v10, v38, v10, s20
                                        ; implicit-def: $vgpr38
; %bb.248:                              ;   in Loop: Header=BB323_179 Depth=1
	s_andn2_saveexec_b64 s[12:13], s[0:1]
; %bb.249:                              ;   in Loop: Header=BB323_179 Depth=1
	v_or_b32_e32 v10, 0x10000, v38
	v_cmp_eq_u32_sdwa s[0:1], v38, v15 src0_sel:WORD_0 src1_sel:DWORD
	s_nop 1
	v_cndmask_b32_e64 v10, v10, v38, s[0:1]
; %bb.250:                              ;   in Loop: Header=BB323_179 Depth=1
	s_or_b64 exec, exec, s[12:13]
	v_and_b32_e32 v35, 0xffff0000, v35
	v_lshlrev_b32_e32 v11, 16, v11
	v_mul_f32_e32 v38, v35, v11
	v_and_b32_e32 v11, 0x7f800000, v38
	v_cmp_ne_u32_e64 s[0:1], s19, v11
                                        ; implicit-def: $vgpr11
	s_and_saveexec_b64 s[12:13], s[0:1]
	s_xor_b64 s[0:1], exec, s[12:13]
; %bb.251:                              ;   in Loop: Header=BB323_179 Depth=1
	v_bfe_u32 v11, v38, 16, 1
	v_add3_u32 v11, v38, v11, s20
                                        ; implicit-def: $vgpr38
; %bb.252:                              ;   in Loop: Header=BB323_179 Depth=1
	s_andn2_saveexec_b64 s[12:13], s[0:1]
; %bb.253:                              ;   in Loop: Header=BB323_179 Depth=1
	v_or_b32_e32 v11, 0x10000, v38
	v_cmp_eq_u32_sdwa s[0:1], v38, v15 src0_sel:WORD_0 src1_sel:DWORD
	s_nop 1
	v_cndmask_b32_e64 v11, v11, v38, s[0:1]
; %bb.254:                              ;   in Loop: Header=BB323_179 Depth=1
	s_or_b64 exec, exec, s[12:13]
	v_and_b32_e32 v36, 0xffff0000, v36
	v_lshlrev_b32_e32 v12, 16, v12
	v_mul_f32_e32 v38, v36, v12
	v_and_b32_e32 v12, 0x7f800000, v38
	v_cmp_ne_u32_e64 s[0:1], s19, v12
                                        ; implicit-def: $vgpr12
	s_and_saveexec_b64 s[12:13], s[0:1]
	s_xor_b64 s[0:1], exec, s[12:13]
; %bb.255:                              ;   in Loop: Header=BB323_179 Depth=1
	v_bfe_u32 v12, v38, 16, 1
	v_add3_u32 v12, v38, v12, s20
                                        ; implicit-def: $vgpr38
; %bb.256:                              ;   in Loop: Header=BB323_179 Depth=1
	s_andn2_saveexec_b64 s[12:13], s[0:1]
; %bb.257:                              ;   in Loop: Header=BB323_179 Depth=1
	v_or_b32_e32 v12, 0x10000, v38
	v_cmp_eq_u32_sdwa s[0:1], v38, v15 src0_sel:WORD_0 src1_sel:DWORD
	s_nop 1
	v_cndmask_b32_e64 v12, v12, v38, s[0:1]
; %bb.258:                              ;   in Loop: Header=BB323_179 Depth=1
	s_or_b64 exec, exec, s[12:13]
	v_and_b32_e32 v37, 0xffff0000, v37
	v_lshlrev_b32_e32 v13, 16, v13
	v_mul_f32_e32 v38, v37, v13
	v_and_b32_e32 v13, 0x7f800000, v38
	v_cmp_ne_u32_e64 s[0:1], s19, v13
                                        ; implicit-def: $vgpr13
	s_and_saveexec_b64 s[12:13], s[0:1]
	s_xor_b64 s[0:1], exec, s[12:13]
; %bb.259:                              ;   in Loop: Header=BB323_179 Depth=1
	v_bfe_u32 v13, v38, 16, 1
	v_add3_u32 v13, v38, v13, s20
                                        ; implicit-def: $vgpr38
; %bb.260:                              ;   in Loop: Header=BB323_179 Depth=1
	s_andn2_saveexec_b64 s[12:13], s[0:1]
; %bb.261:                              ;   in Loop: Header=BB323_179 Depth=1
	v_or_b32_e32 v13, 0x10000, v38
	v_cmp_eq_u32_sdwa s[0:1], v38, v15 src0_sel:WORD_0 src1_sel:DWORD
	s_nop 1
	v_cndmask_b32_e64 v13, v13, v38, s[0:1]
; %bb.262:                              ;   in Loop: Header=BB323_179 Depth=1
	s_or_b64 exec, exec, s[12:13]
	v_and_b32_e32 v38, 0xffff0000, v23
	v_lshlrev_b32_e32 v23, 16, v39
	v_mul_f32_e32 v39, v38, v23
	v_and_b32_e32 v23, 0x7f800000, v39
	v_cmp_ne_u32_e64 s[0:1], s19, v23
                                        ; implicit-def: $vgpr23
	s_and_saveexec_b64 s[12:13], s[0:1]
	s_xor_b64 s[0:1], exec, s[12:13]
; %bb.263:                              ;   in Loop: Header=BB323_179 Depth=1
	v_bfe_u32 v23, v39, 16, 1
	v_add3_u32 v23, v39, v23, s20
                                        ; implicit-def: $vgpr39
; %bb.264:                              ;   in Loop: Header=BB323_179 Depth=1
	s_andn2_saveexec_b64 s[12:13], s[0:1]
; %bb.265:                              ;   in Loop: Header=BB323_179 Depth=1
	v_or_b32_e32 v23, 0x10000, v39
	v_cmp_eq_u32_sdwa s[0:1], v39, v15 src0_sel:WORD_0 src1_sel:DWORD
	s_nop 1
	v_cndmask_b32_e64 v23, v23, v39, s[0:1]
; %bb.266:                              ;   in Loop: Header=BB323_179 Depth=1
	s_or_b64 exec, exec, s[12:13]
	v_and_b32_e32 v39, 0xffff0000, v24
	v_lshlrev_b32_e32 v24, 16, v40
	v_mul_f32_e32 v40, v39, v24
	v_and_b32_e32 v24, 0x7f800000, v40
	v_cmp_ne_u32_e64 s[0:1], s19, v24
                                        ; implicit-def: $vgpr24
	s_and_saveexec_b64 s[12:13], s[0:1]
	s_xor_b64 s[0:1], exec, s[12:13]
; %bb.267:                              ;   in Loop: Header=BB323_179 Depth=1
	v_bfe_u32 v24, v40, 16, 1
	v_add3_u32 v24, v40, v24, s20
                                        ; implicit-def: $vgpr40
; %bb.268:                              ;   in Loop: Header=BB323_179 Depth=1
	s_andn2_saveexec_b64 s[12:13], s[0:1]
; %bb.269:                              ;   in Loop: Header=BB323_179 Depth=1
	v_or_b32_e32 v24, 0x10000, v40
	v_cmp_eq_u32_sdwa s[0:1], v40, v15 src0_sel:WORD_0 src1_sel:DWORD
	s_nop 1
	v_cndmask_b32_e64 v24, v24, v40, s[0:1]
; %bb.270:                              ;   in Loop: Header=BB323_179 Depth=1
	s_or_b64 exec, exec, s[12:13]
	v_and_b32_e32 v40, 0xffff0000, v25
	v_lshlrev_b32_e32 v9, 16, v9
	v_mul_f32_e32 v9, v40, v9
	v_and_b32_e32 v25, 0x7f800000, v9
	v_cmp_ne_u32_e64 s[0:1], s19, v25
                                        ; implicit-def: $vgpr25
	s_and_saveexec_b64 s[12:13], s[0:1]
	s_xor_b64 s[0:1], exec, s[12:13]
; %bb.271:                              ;   in Loop: Header=BB323_179 Depth=1
	v_bfe_u32 v25, v9, 16, 1
	v_add3_u32 v25, v9, v25, s20
                                        ; implicit-def: $vgpr9
; %bb.272:                              ;   in Loop: Header=BB323_179 Depth=1
	s_andn2_saveexec_b64 s[12:13], s[0:1]
; %bb.273:                              ;   in Loop: Header=BB323_179 Depth=1
	v_or_b32_e32 v25, 0x10000, v9
	v_cmp_eq_u32_sdwa s[0:1], v9, v15 src0_sel:WORD_0 src1_sel:DWORD
	s_nop 1
	v_cndmask_b32_e64 v25, v25, v9, s[0:1]
; %bb.274:                              ;   in Loop: Header=BB323_179 Depth=1
	s_or_b64 exec, exec, s[12:13]
	v_and_b32_e32 v41, 0xffff0000, v33
	v_lshlrev_b32_e32 v8, 16, v8
	v_mul_f32_e32 v8, v41, v8
	v_and_b32_e32 v9, 0x7f800000, v8
	v_cmp_ne_u32_e64 s[0:1], s19, v9
                                        ; implicit-def: $vgpr33
	s_and_saveexec_b64 s[12:13], s[0:1]
	s_xor_b64 s[0:1], exec, s[12:13]
; %bb.275:                              ;   in Loop: Header=BB323_179 Depth=1
	v_bfe_u32 v9, v8, 16, 1
	v_add3_u32 v33, v8, v9, s20
                                        ; implicit-def: $vgpr8
; %bb.276:                              ;   in Loop: Header=BB323_179 Depth=1
	s_andn2_saveexec_b64 s[12:13], s[0:1]
; %bb.277:                              ;   in Loop: Header=BB323_179 Depth=1
	v_or_b32_e32 v9, 0x10000, v8
	v_cmp_eq_u32_sdwa s[0:1], v8, v15 src0_sel:WORD_0 src1_sel:DWORD
	s_nop 1
	v_cndmask_b32_e64 v33, v9, v8, s[0:1]
; %bb.278:                              ;   in Loop: Header=BB323_179 Depth=1
	s_or_b64 exec, exec, s[12:13]
	global_load_dwordx2 v[8:9], v[6:7], off offset:512
	s_waitcnt vmcnt(0)
	v_and_b32_e32 v42, 0xff, v8
	v_cvt_f32_fp8_sdwa v42, v42 src0_sel:BYTE_0
	s_nop 0
	v_mul_f32_e32 v43, s21, v42
	v_and_b32_e32 v42, 0x7f800000, v43
	v_cmp_ne_u32_e64 s[0:1], s19, v42
                                        ; implicit-def: $vgpr42
	s_and_saveexec_b64 s[12:13], s[0:1]
	s_xor_b64 s[0:1], exec, s[12:13]
; %bb.279:                              ;   in Loop: Header=BB323_179 Depth=1
	v_bfe_u32 v42, v43, 16, 1
	v_add3_u32 v42, v43, v42, s20
                                        ; implicit-def: $vgpr43
; %bb.280:                              ;   in Loop: Header=BB323_179 Depth=1
	s_andn2_saveexec_b64 s[12:13], s[0:1]
; %bb.281:                              ;   in Loop: Header=BB323_179 Depth=1
	v_or_b32_e32 v42, 0x10000, v43
	v_cmp_eq_u32_sdwa s[0:1], v43, v15 src0_sel:WORD_0 src1_sel:DWORD
	s_nop 1
	v_cndmask_b32_e64 v42, v42, v43, s[0:1]
; %bb.282:                              ;   in Loop: Header=BB323_179 Depth=1
	s_or_b64 exec, exec, s[12:13]
	v_bfe_u32 v43, v8, 8, 8
	v_cvt_f32_fp8_sdwa v43, v43 src0_sel:BYTE_0
	s_nop 0
	v_mul_f32_e32 v44, s21, v43
	v_and_b32_e32 v43, 0x7f800000, v44
	v_cmp_ne_u32_e64 s[0:1], s19, v43
                                        ; implicit-def: $vgpr43
	s_and_saveexec_b64 s[12:13], s[0:1]
	s_xor_b64 s[0:1], exec, s[12:13]
; %bb.283:                              ;   in Loop: Header=BB323_179 Depth=1
	v_bfe_u32 v43, v44, 16, 1
	v_add3_u32 v43, v44, v43, s20
                                        ; implicit-def: $vgpr44
; %bb.284:                              ;   in Loop: Header=BB323_179 Depth=1
	s_andn2_saveexec_b64 s[12:13], s[0:1]
; %bb.285:                              ;   in Loop: Header=BB323_179 Depth=1
	v_or_b32_e32 v43, 0x10000, v44
	v_cmp_eq_u32_sdwa s[0:1], v44, v15 src0_sel:WORD_0 src1_sel:DWORD
	s_nop 1
	v_cndmask_b32_e64 v43, v43, v44, s[0:1]
; %bb.286:                              ;   in Loop: Header=BB323_179 Depth=1
	s_or_b64 exec, exec, s[12:13]
	v_bfe_u32 v44, v8, 16, 8
	v_cvt_f32_fp8_sdwa v44, v44 src0_sel:BYTE_0
	s_nop 0
	v_mul_f32_e32 v45, s21, v44
	v_and_b32_e32 v44, 0x7f800000, v45
	v_cmp_ne_u32_e64 s[0:1], s19, v44
                                        ; implicit-def: $vgpr44
	s_and_saveexec_b64 s[12:13], s[0:1]
	s_xor_b64 s[0:1], exec, s[12:13]
; %bb.287:                              ;   in Loop: Header=BB323_179 Depth=1
	v_bfe_u32 v44, v45, 16, 1
	v_add3_u32 v44, v45, v44, s20
                                        ; implicit-def: $vgpr45
; %bb.288:                              ;   in Loop: Header=BB323_179 Depth=1
	s_andn2_saveexec_b64 s[12:13], s[0:1]
; %bb.289:                              ;   in Loop: Header=BB323_179 Depth=1
	v_or_b32_e32 v44, 0x10000, v45
	v_cmp_eq_u32_sdwa s[0:1], v45, v15 src0_sel:WORD_0 src1_sel:DWORD
	s_nop 1
	v_cndmask_b32_e64 v44, v44, v45, s[0:1]
; %bb.290:                              ;   in Loop: Header=BB323_179 Depth=1
	s_or_b64 exec, exec, s[12:13]
	v_lshrrev_b32_e32 v8, 24, v8
	v_cvt_f32_fp8_sdwa v8, v8 src0_sel:BYTE_0
	s_nop 0
	v_mul_f32_e32 v45, s21, v8
	v_and_b32_e32 v8, 0x7f800000, v45
	v_cmp_ne_u32_e64 s[0:1], s19, v8
                                        ; implicit-def: $vgpr8
	s_and_saveexec_b64 s[12:13], s[0:1]
	s_xor_b64 s[0:1], exec, s[12:13]
; %bb.291:                              ;   in Loop: Header=BB323_179 Depth=1
	v_bfe_u32 v8, v45, 16, 1
	v_add3_u32 v8, v45, v8, s20
                                        ; implicit-def: $vgpr45
; %bb.292:                              ;   in Loop: Header=BB323_179 Depth=1
	s_andn2_saveexec_b64 s[12:13], s[0:1]
; %bb.293:                              ;   in Loop: Header=BB323_179 Depth=1
	v_or_b32_e32 v8, 0x10000, v45
	v_cmp_eq_u32_sdwa s[0:1], v45, v15 src0_sel:WORD_0 src1_sel:DWORD
	s_nop 1
	v_cndmask_b32_e64 v8, v8, v45, s[0:1]
; %bb.294:                              ;   in Loop: Header=BB323_179 Depth=1
	s_or_b64 exec, exec, s[12:13]
	v_and_b32_e32 v45, 0xff, v9
	v_cvt_f32_fp8_sdwa v45, v45 src0_sel:BYTE_0
	s_nop 0
	v_mul_f32_e32 v46, s21, v45
	v_and_b32_e32 v45, 0x7f800000, v46
	v_cmp_ne_u32_e64 s[0:1], s19, v45
                                        ; implicit-def: $vgpr45
	s_and_saveexec_b64 s[12:13], s[0:1]
	s_xor_b64 s[0:1], exec, s[12:13]
; %bb.295:                              ;   in Loop: Header=BB323_179 Depth=1
	v_bfe_u32 v45, v46, 16, 1
	v_add3_u32 v45, v46, v45, s20
                                        ; implicit-def: $vgpr46
; %bb.296:                              ;   in Loop: Header=BB323_179 Depth=1
	s_andn2_saveexec_b64 s[12:13], s[0:1]
; %bb.297:                              ;   in Loop: Header=BB323_179 Depth=1
	v_or_b32_e32 v45, 0x10000, v46
	v_cmp_eq_u32_sdwa s[0:1], v46, v15 src0_sel:WORD_0 src1_sel:DWORD
	s_nop 1
	v_cndmask_b32_e64 v45, v45, v46, s[0:1]
; %bb.298:                              ;   in Loop: Header=BB323_179 Depth=1
	s_or_b64 exec, exec, s[12:13]
	v_bfe_u32 v46, v9, 8, 8
	v_cvt_f32_fp8_sdwa v46, v46 src0_sel:BYTE_0
	s_nop 0
	v_mul_f32_e32 v47, s21, v46
	v_and_b32_e32 v46, 0x7f800000, v47
	v_cmp_ne_u32_e64 s[0:1], s19, v46
                                        ; implicit-def: $vgpr46
	s_and_saveexec_b64 s[12:13], s[0:1]
	s_xor_b64 s[0:1], exec, s[12:13]
; %bb.299:                              ;   in Loop: Header=BB323_179 Depth=1
	v_bfe_u32 v46, v47, 16, 1
	v_add3_u32 v46, v47, v46, s20
                                        ; implicit-def: $vgpr47
; %bb.300:                              ;   in Loop: Header=BB323_179 Depth=1
	s_andn2_saveexec_b64 s[12:13], s[0:1]
; %bb.301:                              ;   in Loop: Header=BB323_179 Depth=1
	v_or_b32_e32 v46, 0x10000, v47
	v_cmp_eq_u32_sdwa s[0:1], v47, v15 src0_sel:WORD_0 src1_sel:DWORD
	s_nop 1
	v_cndmask_b32_e64 v46, v46, v47, s[0:1]
; %bb.302:                              ;   in Loop: Header=BB323_179 Depth=1
	s_or_b64 exec, exec, s[12:13]
	v_bfe_u32 v47, v9, 16, 8
	v_cvt_f32_fp8_sdwa v47, v47 src0_sel:BYTE_0
	s_nop 0
	v_mul_f32_e32 v47, s21, v47
	v_and_b32_e32 v48, 0x7f800000, v47
	v_cmp_ne_u32_e64 s[0:1], s19, v48
                                        ; implicit-def: $vgpr48
	s_and_saveexec_b64 s[12:13], s[0:1]
	s_xor_b64 s[0:1], exec, s[12:13]
; %bb.303:                              ;   in Loop: Header=BB323_179 Depth=1
	v_bfe_u32 v48, v47, 16, 1
	v_add3_u32 v48, v47, v48, s20
                                        ; implicit-def: $vgpr47
; %bb.304:                              ;   in Loop: Header=BB323_179 Depth=1
	s_andn2_saveexec_b64 s[12:13], s[0:1]
; %bb.305:                              ;   in Loop: Header=BB323_179 Depth=1
	v_or_b32_e32 v48, 0x10000, v47
	v_cmp_eq_u32_sdwa s[0:1], v47, v15 src0_sel:WORD_0 src1_sel:DWORD
	s_nop 1
	v_cndmask_b32_e64 v48, v48, v47, s[0:1]
; %bb.306:                              ;   in Loop: Header=BB323_179 Depth=1
	s_or_b64 exec, exec, s[12:13]
	v_lshrrev_b32_e32 v9, 24, v9
	v_cvt_f32_fp8_sdwa v9, v9 src0_sel:BYTE_0
                                        ; implicit-def: $vgpr49
	s_nop 0
	v_mul_f32_e32 v9, s21, v9
	v_and_b32_e32 v47, 0x7f800000, v9
	v_cmp_ne_u32_e64 s[0:1], s19, v47
	s_and_saveexec_b64 s[12:13], s[0:1]
	s_xor_b64 s[0:1], exec, s[12:13]
; %bb.307:                              ;   in Loop: Header=BB323_179 Depth=1
	v_bfe_u32 v47, v9, 16, 1
	v_add3_u32 v49, v9, v47, s20
                                        ; implicit-def: $vgpr9
; %bb.308:                              ;   in Loop: Header=BB323_179 Depth=1
	s_andn2_saveexec_b64 s[12:13], s[0:1]
; %bb.309:                              ;   in Loop: Header=BB323_179 Depth=1
	v_or_b32_e32 v47, 0x10000, v9
	v_cmp_eq_u32_sdwa s[0:1], v9, v15 src0_sel:WORD_0 src1_sel:DWORD
	s_nop 1
	v_cndmask_b32_e64 v49, v47, v9, s[0:1]
; %bb.310:                              ;   in Loop: Header=BB323_179 Depth=1
	s_or_b64 exec, exec, s[12:13]
	v_lshrrev_b32_e32 v47, 16, v46
	v_lshrrev_b32_e32 v46, 16, v45
	;; [unrolled: 1-line block ×8, first 2 shown]
	s_and_saveexec_b64 s[12:13], vcc
	s_cbranch_execz .LBB323_312
; %bb.311:                              ;   in Loop: Header=BB323_179 Depth=1
	v_cmp_gt_i32_e64 s[0:1], s41, v1
	s_nop 1
	v_cndmask_b32_e64 v42, 0, v42, s[0:1]
	v_cmp_gt_i32_e64 s[0:1], s41, v32
	s_nop 1
	v_cndmask_b32_e64 v43, 0, v43, s[0:1]
	;; [unrolled: 3-line block ×8, first 2 shown]
.LBB323_312:                            ;   in Loop: Header=BB323_179 Depth=1
	s_or_b64 exec, exec, s[12:13]
	v_lshlrev_b32_e32 v42, 16, v42
	v_mul_f32_e32 v48, v34, v42
	v_and_b32_e32 v42, 0x7f800000, v48
	v_cmp_ne_u32_e64 s[0:1], s19, v42
                                        ; implicit-def: $vgpr42
	s_and_saveexec_b64 s[12:13], s[0:1]
	s_xor_b64 s[0:1], exec, s[12:13]
; %bb.313:                              ;   in Loop: Header=BB323_179 Depth=1
	v_bfe_u32 v42, v48, 16, 1
	v_add3_u32 v42, v48, v42, s20
                                        ; implicit-def: $vgpr48
; %bb.314:                              ;   in Loop: Header=BB323_179 Depth=1
	s_andn2_saveexec_b64 s[12:13], s[0:1]
; %bb.315:                              ;   in Loop: Header=BB323_179 Depth=1
	v_or_b32_e32 v42, 0x10000, v48
	v_cmp_eq_u32_sdwa s[0:1], v48, v15 src0_sel:WORD_0 src1_sel:DWORD
	s_nop 1
	v_cndmask_b32_e64 v42, v42, v48, s[0:1]
; %bb.316:                              ;   in Loop: Header=BB323_179 Depth=1
	s_or_b64 exec, exec, s[12:13]
	v_lshlrev_b32_e32 v43, 16, v43
	v_mul_f32_e32 v48, v35, v43
	v_and_b32_e32 v43, 0x7f800000, v48
	v_cmp_ne_u32_e64 s[0:1], s19, v43
                                        ; implicit-def: $vgpr43
	s_and_saveexec_b64 s[12:13], s[0:1]
	s_xor_b64 s[0:1], exec, s[12:13]
; %bb.317:                              ;   in Loop: Header=BB323_179 Depth=1
	v_bfe_u32 v43, v48, 16, 1
	v_add3_u32 v43, v48, v43, s20
                                        ; implicit-def: $vgpr48
; %bb.318:                              ;   in Loop: Header=BB323_179 Depth=1
	s_andn2_saveexec_b64 s[12:13], s[0:1]
; %bb.319:                              ;   in Loop: Header=BB323_179 Depth=1
	v_or_b32_e32 v43, 0x10000, v48
	v_cmp_eq_u32_sdwa s[0:1], v48, v15 src0_sel:WORD_0 src1_sel:DWORD
	s_nop 1
	v_cndmask_b32_e64 v43, v43, v48, s[0:1]
; %bb.320:                              ;   in Loop: Header=BB323_179 Depth=1
	s_or_b64 exec, exec, s[12:13]
	v_lshlrev_b32_e32 v44, 16, v44
	v_mul_f32_e32 v48, v36, v44
	v_and_b32_e32 v44, 0x7f800000, v48
	v_cmp_ne_u32_e64 s[0:1], s19, v44
                                        ; implicit-def: $vgpr44
	s_and_saveexec_b64 s[12:13], s[0:1]
	s_xor_b64 s[0:1], exec, s[12:13]
; %bb.321:                              ;   in Loop: Header=BB323_179 Depth=1
	v_bfe_u32 v44, v48, 16, 1
	v_add3_u32 v44, v48, v44, s20
                                        ; implicit-def: $vgpr48
; %bb.322:                              ;   in Loop: Header=BB323_179 Depth=1
	s_andn2_saveexec_b64 s[12:13], s[0:1]
; %bb.323:                              ;   in Loop: Header=BB323_179 Depth=1
	v_or_b32_e32 v44, 0x10000, v48
	v_cmp_eq_u32_sdwa s[0:1], v48, v15 src0_sel:WORD_0 src1_sel:DWORD
	s_nop 1
	v_cndmask_b32_e64 v44, v44, v48, s[0:1]
; %bb.324:                              ;   in Loop: Header=BB323_179 Depth=1
	s_or_b64 exec, exec, s[12:13]
	v_lshlrev_b32_e32 v45, 16, v45
	v_mul_f32_e32 v48, v37, v45
	v_and_b32_e32 v45, 0x7f800000, v48
	v_cmp_ne_u32_e64 s[0:1], s19, v45
                                        ; implicit-def: $vgpr45
	s_and_saveexec_b64 s[12:13], s[0:1]
	s_xor_b64 s[0:1], exec, s[12:13]
; %bb.325:                              ;   in Loop: Header=BB323_179 Depth=1
	v_bfe_u32 v45, v48, 16, 1
	v_add3_u32 v45, v48, v45, s20
                                        ; implicit-def: $vgpr48
; %bb.326:                              ;   in Loop: Header=BB323_179 Depth=1
	s_andn2_saveexec_b64 s[12:13], s[0:1]
; %bb.327:                              ;   in Loop: Header=BB323_179 Depth=1
	v_or_b32_e32 v45, 0x10000, v48
	v_cmp_eq_u32_sdwa s[0:1], v48, v15 src0_sel:WORD_0 src1_sel:DWORD
	s_nop 1
	v_cndmask_b32_e64 v45, v45, v48, s[0:1]
; %bb.328:                              ;   in Loop: Header=BB323_179 Depth=1
	s_or_b64 exec, exec, s[12:13]
	v_lshlrev_b32_e32 v46, 16, v46
	v_mul_f32_e32 v48, v38, v46
	v_and_b32_e32 v46, 0x7f800000, v48
	v_cmp_ne_u32_e64 s[0:1], s19, v46
                                        ; implicit-def: $vgpr46
	s_and_saveexec_b64 s[12:13], s[0:1]
	s_xor_b64 s[0:1], exec, s[12:13]
; %bb.329:                              ;   in Loop: Header=BB323_179 Depth=1
	v_bfe_u32 v46, v48, 16, 1
	v_add3_u32 v46, v48, v46, s20
                                        ; implicit-def: $vgpr48
; %bb.330:                              ;   in Loop: Header=BB323_179 Depth=1
	s_andn2_saveexec_b64 s[12:13], s[0:1]
; %bb.331:                              ;   in Loop: Header=BB323_179 Depth=1
	v_or_b32_e32 v46, 0x10000, v48
	v_cmp_eq_u32_sdwa s[0:1], v48, v15 src0_sel:WORD_0 src1_sel:DWORD
	s_nop 1
	v_cndmask_b32_e64 v46, v46, v48, s[0:1]
; %bb.332:                              ;   in Loop: Header=BB323_179 Depth=1
	s_or_b64 exec, exec, s[12:13]
	v_lshlrev_b32_e32 v47, 16, v47
	v_mul_f32_e32 v48, v39, v47
	v_and_b32_e32 v47, 0x7f800000, v48
	v_cmp_ne_u32_e64 s[0:1], s19, v47
                                        ; implicit-def: $vgpr47
	s_and_saveexec_b64 s[12:13], s[0:1]
	s_xor_b64 s[0:1], exec, s[12:13]
; %bb.333:                              ;   in Loop: Header=BB323_179 Depth=1
	v_bfe_u32 v47, v48, 16, 1
	v_add3_u32 v47, v48, v47, s20
                                        ; implicit-def: $vgpr48
; %bb.334:                              ;   in Loop: Header=BB323_179 Depth=1
	s_andn2_saveexec_b64 s[12:13], s[0:1]
; %bb.335:                              ;   in Loop: Header=BB323_179 Depth=1
	v_or_b32_e32 v47, 0x10000, v48
	v_cmp_eq_u32_sdwa s[0:1], v48, v15 src0_sel:WORD_0 src1_sel:DWORD
	s_nop 1
	v_cndmask_b32_e64 v47, v47, v48, s[0:1]
; %bb.336:                              ;   in Loop: Header=BB323_179 Depth=1
	s_or_b64 exec, exec, s[12:13]
	v_lshlrev_b32_e32 v9, 16, v9
	v_mul_f32_e32 v9, v40, v9
	v_and_b32_e32 v48, 0x7f800000, v9
	v_cmp_ne_u32_e64 s[0:1], s19, v48
                                        ; implicit-def: $vgpr48
	s_and_saveexec_b64 s[12:13], s[0:1]
	s_xor_b64 s[0:1], exec, s[12:13]
; %bb.337:                              ;   in Loop: Header=BB323_179 Depth=1
	v_bfe_u32 v48, v9, 16, 1
	v_add3_u32 v48, v9, v48, s20
                                        ; implicit-def: $vgpr9
; %bb.338:                              ;   in Loop: Header=BB323_179 Depth=1
	s_andn2_saveexec_b64 s[12:13], s[0:1]
; %bb.339:                              ;   in Loop: Header=BB323_179 Depth=1
	v_or_b32_e32 v48, 0x10000, v9
	v_cmp_eq_u32_sdwa s[0:1], v9, v15 src0_sel:WORD_0 src1_sel:DWORD
	s_nop 1
	v_cndmask_b32_e64 v48, v48, v9, s[0:1]
; %bb.340:                              ;   in Loop: Header=BB323_179 Depth=1
	s_or_b64 exec, exec, s[12:13]
	v_lshlrev_b32_e32 v8, 16, v8
	v_mul_f32_e32 v8, v41, v8
	v_and_b32_e32 v9, 0x7f800000, v8
	v_cmp_ne_u32_e64 s[0:1], s19, v9
                                        ; implicit-def: $vgpr49
	s_and_saveexec_b64 s[12:13], s[0:1]
	s_xor_b64 s[0:1], exec, s[12:13]
; %bb.341:                              ;   in Loop: Header=BB323_179 Depth=1
	v_bfe_u32 v9, v8, 16, 1
	v_add3_u32 v49, v8, v9, s20
                                        ; implicit-def: $vgpr8
; %bb.342:                              ;   in Loop: Header=BB323_179 Depth=1
	s_andn2_saveexec_b64 s[12:13], s[0:1]
; %bb.343:                              ;   in Loop: Header=BB323_179 Depth=1
	v_or_b32_e32 v9, 0x10000, v8
	v_cmp_eq_u32_sdwa s[0:1], v8, v15 src0_sel:WORD_0 src1_sel:DWORD
	s_nop 1
	v_cndmask_b32_e64 v49, v9, v8, s[0:1]
; %bb.344:                              ;   in Loop: Header=BB323_179 Depth=1
	s_or_b64 exec, exec, s[12:13]
	global_load_dwordx2 v[8:9], v[6:7], off offset:1024
	s_waitcnt vmcnt(0)
	v_and_b32_e32 v50, 0xff, v8
	v_cvt_f32_fp8_sdwa v50, v50 src0_sel:BYTE_0
	s_nop 0
	v_mul_f32_e32 v51, s21, v50
	v_and_b32_e32 v50, 0x7f800000, v51
	v_cmp_ne_u32_e64 s[0:1], s19, v50
                                        ; implicit-def: $vgpr50
	s_and_saveexec_b64 s[12:13], s[0:1]
	s_xor_b64 s[0:1], exec, s[12:13]
; %bb.345:                              ;   in Loop: Header=BB323_179 Depth=1
	v_bfe_u32 v50, v51, 16, 1
	v_add3_u32 v50, v51, v50, s20
                                        ; implicit-def: $vgpr51
; %bb.346:                              ;   in Loop: Header=BB323_179 Depth=1
	s_andn2_saveexec_b64 s[12:13], s[0:1]
; %bb.347:                              ;   in Loop: Header=BB323_179 Depth=1
	v_or_b32_e32 v50, 0x10000, v51
	v_cmp_eq_u32_sdwa s[0:1], v51, v15 src0_sel:WORD_0 src1_sel:DWORD
	s_nop 1
	v_cndmask_b32_e64 v50, v50, v51, s[0:1]
; %bb.348:                              ;   in Loop: Header=BB323_179 Depth=1
	s_or_b64 exec, exec, s[12:13]
	v_bfe_u32 v51, v8, 8, 8
	v_cvt_f32_fp8_sdwa v51, v51 src0_sel:BYTE_0
	s_nop 0
	v_mul_f32_e32 v52, s21, v51
	v_and_b32_e32 v51, 0x7f800000, v52
	v_cmp_ne_u32_e64 s[0:1], s19, v51
                                        ; implicit-def: $vgpr51
	s_and_saveexec_b64 s[12:13], s[0:1]
	s_xor_b64 s[0:1], exec, s[12:13]
; %bb.349:                              ;   in Loop: Header=BB323_179 Depth=1
	v_bfe_u32 v51, v52, 16, 1
	v_add3_u32 v51, v52, v51, s20
                                        ; implicit-def: $vgpr52
; %bb.350:                              ;   in Loop: Header=BB323_179 Depth=1
	s_andn2_saveexec_b64 s[12:13], s[0:1]
; %bb.351:                              ;   in Loop: Header=BB323_179 Depth=1
	v_or_b32_e32 v51, 0x10000, v52
	v_cmp_eq_u32_sdwa s[0:1], v52, v15 src0_sel:WORD_0 src1_sel:DWORD
	s_nop 1
	v_cndmask_b32_e64 v51, v51, v52, s[0:1]
; %bb.352:                              ;   in Loop: Header=BB323_179 Depth=1
	s_or_b64 exec, exec, s[12:13]
	v_bfe_u32 v52, v8, 16, 8
	v_cvt_f32_fp8_sdwa v52, v52 src0_sel:BYTE_0
	s_nop 0
	v_mul_f32_e32 v53, s21, v52
	v_and_b32_e32 v52, 0x7f800000, v53
	v_cmp_ne_u32_e64 s[0:1], s19, v52
                                        ; implicit-def: $vgpr52
	s_and_saveexec_b64 s[12:13], s[0:1]
	s_xor_b64 s[0:1], exec, s[12:13]
; %bb.353:                              ;   in Loop: Header=BB323_179 Depth=1
	v_bfe_u32 v52, v53, 16, 1
	v_add3_u32 v52, v53, v52, s20
                                        ; implicit-def: $vgpr53
; %bb.354:                              ;   in Loop: Header=BB323_179 Depth=1
	s_andn2_saveexec_b64 s[12:13], s[0:1]
; %bb.355:                              ;   in Loop: Header=BB323_179 Depth=1
	v_or_b32_e32 v52, 0x10000, v53
	v_cmp_eq_u32_sdwa s[0:1], v53, v15 src0_sel:WORD_0 src1_sel:DWORD
	s_nop 1
	v_cndmask_b32_e64 v52, v52, v53, s[0:1]
; %bb.356:                              ;   in Loop: Header=BB323_179 Depth=1
	s_or_b64 exec, exec, s[12:13]
	v_lshrrev_b32_e32 v8, 24, v8
	v_cvt_f32_fp8_sdwa v8, v8 src0_sel:BYTE_0
	s_nop 0
	v_mul_f32_e32 v53, s21, v8
	v_and_b32_e32 v8, 0x7f800000, v53
	v_cmp_ne_u32_e64 s[0:1], s19, v8
                                        ; implicit-def: $vgpr8
	s_and_saveexec_b64 s[12:13], s[0:1]
	s_xor_b64 s[0:1], exec, s[12:13]
; %bb.357:                              ;   in Loop: Header=BB323_179 Depth=1
	v_bfe_u32 v8, v53, 16, 1
	v_add3_u32 v8, v53, v8, s20
                                        ; implicit-def: $vgpr53
; %bb.358:                              ;   in Loop: Header=BB323_179 Depth=1
	s_andn2_saveexec_b64 s[12:13], s[0:1]
; %bb.359:                              ;   in Loop: Header=BB323_179 Depth=1
	v_or_b32_e32 v8, 0x10000, v53
	v_cmp_eq_u32_sdwa s[0:1], v53, v15 src0_sel:WORD_0 src1_sel:DWORD
	s_nop 1
	v_cndmask_b32_e64 v8, v8, v53, s[0:1]
; %bb.360:                              ;   in Loop: Header=BB323_179 Depth=1
	s_or_b64 exec, exec, s[12:13]
	v_and_b32_e32 v53, 0xff, v9
	v_cvt_f32_fp8_sdwa v53, v53 src0_sel:BYTE_0
	s_nop 0
	v_mul_f32_e32 v53, s21, v53
	v_and_b32_e32 v54, 0x7f800000, v53
	v_cmp_ne_u32_e64 s[0:1], s19, v54
                                        ; implicit-def: $vgpr54
	s_and_saveexec_b64 s[12:13], s[0:1]
	s_xor_b64 s[0:1], exec, s[12:13]
; %bb.361:                              ;   in Loop: Header=BB323_179 Depth=1
	v_bfe_u32 v54, v53, 16, 1
	v_add3_u32 v54, v53, v54, s20
                                        ; implicit-def: $vgpr53
; %bb.362:                              ;   in Loop: Header=BB323_179 Depth=1
	s_andn2_saveexec_b64 s[12:13], s[0:1]
; %bb.363:                              ;   in Loop: Header=BB323_179 Depth=1
	v_or_b32_e32 v54, 0x10000, v53
	v_cmp_eq_u32_sdwa s[0:1], v53, v15 src0_sel:WORD_0 src1_sel:DWORD
	s_nop 1
	v_cndmask_b32_e64 v54, v54, v53, s[0:1]
; %bb.364:                              ;   in Loop: Header=BB323_179 Depth=1
	s_or_b64 exec, exec, s[12:13]
	v_bfe_u32 v53, v9, 8, 8
	v_cvt_f32_fp8_sdwa v53, v53 src0_sel:BYTE_0
	s_nop 0
	v_mul_f32_e32 v55, s21, v53
	v_and_b32_e32 v53, 0x7f800000, v55
	v_cmp_ne_u32_e64 s[0:1], s19, v53
                                        ; implicit-def: $vgpr53
	s_and_saveexec_b64 s[12:13], s[0:1]
	s_xor_b64 s[0:1], exec, s[12:13]
; %bb.365:                              ;   in Loop: Header=BB323_179 Depth=1
	v_bfe_u32 v53, v55, 16, 1
	v_add3_u32 v53, v55, v53, s20
                                        ; implicit-def: $vgpr55
; %bb.366:                              ;   in Loop: Header=BB323_179 Depth=1
	s_andn2_saveexec_b64 s[12:13], s[0:1]
; %bb.367:                              ;   in Loop: Header=BB323_179 Depth=1
	v_or_b32_e32 v53, 0x10000, v55
	v_cmp_eq_u32_sdwa s[0:1], v55, v15 src0_sel:WORD_0 src1_sel:DWORD
	s_nop 1
	v_cndmask_b32_e64 v53, v53, v55, s[0:1]
; %bb.368:                              ;   in Loop: Header=BB323_179 Depth=1
	s_or_b64 exec, exec, s[12:13]
	v_bfe_u32 v55, v9, 16, 8
	v_cvt_f32_fp8_sdwa v55, v55 src0_sel:BYTE_0
	s_nop 0
	v_mul_f32_e32 v56, s21, v55
	v_and_b32_e32 v55, 0x7f800000, v56
	v_cmp_ne_u32_e64 s[0:1], s19, v55
                                        ; implicit-def: $vgpr55
	s_and_saveexec_b64 s[12:13], s[0:1]
	s_xor_b64 s[0:1], exec, s[12:13]
; %bb.369:                              ;   in Loop: Header=BB323_179 Depth=1
	v_bfe_u32 v55, v56, 16, 1
	v_add3_u32 v55, v56, v55, s20
                                        ; implicit-def: $vgpr56
; %bb.370:                              ;   in Loop: Header=BB323_179 Depth=1
	s_andn2_saveexec_b64 s[12:13], s[0:1]
; %bb.371:                              ;   in Loop: Header=BB323_179 Depth=1
	v_or_b32_e32 v55, 0x10000, v56
	v_cmp_eq_u32_sdwa s[0:1], v56, v15 src0_sel:WORD_0 src1_sel:DWORD
	s_nop 1
	v_cndmask_b32_e64 v55, v55, v56, s[0:1]
; %bb.372:                              ;   in Loop: Header=BB323_179 Depth=1
	s_or_b64 exec, exec, s[12:13]
	v_lshrrev_b32_e32 v9, 24, v9
	v_cvt_f32_fp8_sdwa v9, v9 src0_sel:BYTE_0
                                        ; implicit-def: $vgpr58
	s_nop 0
	v_mul_f32_e32 v9, s21, v9
	v_and_b32_e32 v56, 0x7f800000, v9
	v_cmp_ne_u32_e64 s[0:1], s19, v56
	s_and_saveexec_b64 s[12:13], s[0:1]
	s_xor_b64 s[0:1], exec, s[12:13]
; %bb.373:                              ;   in Loop: Header=BB323_179 Depth=1
	v_bfe_u32 v56, v9, 16, 1
	v_add3_u32 v58, v9, v56, s20
                                        ; implicit-def: $vgpr9
; %bb.374:                              ;   in Loop: Header=BB323_179 Depth=1
	s_andn2_saveexec_b64 s[12:13], s[0:1]
; %bb.375:                              ;   in Loop: Header=BB323_179 Depth=1
	v_or_b32_e32 v56, 0x10000, v9
	v_cmp_eq_u32_sdwa s[0:1], v9, v15 src0_sel:WORD_0 src1_sel:DWORD
	s_nop 1
	v_cndmask_b32_e64 v58, v56, v9, s[0:1]
; %bb.376:                              ;   in Loop: Header=BB323_179 Depth=1
	s_or_b64 exec, exec, s[12:13]
	v_lshrrev_b32_e32 v53, 16, v53
	v_lshrrev_b32_e32 v56, 16, v54
	v_lshrrev_b32_e32 v57, 16, v8
	v_lshrrev_b32_e32 v52, 16, v52
	v_lshrrev_b32_e32 v9, 16, v51
	v_lshrrev_b32_e32 v8, 16, v50
	v_lshrrev_b32_e32 v54, 16, v55
	v_lshrrev_b32_e32 v55, 16, v58
	s_and_saveexec_b64 s[12:13], vcc
	s_cbranch_execz .LBB323_378
; %bb.377:                              ;   in Loop: Header=BB323_179 Depth=1
	v_cmp_gt_i32_e64 s[0:1], s41, v1
	s_nop 1
	v_cndmask_b32_e64 v8, 0, v8, s[0:1]
	v_cmp_gt_i32_e64 s[0:1], s41, v32
	s_nop 1
	v_cndmask_b32_e64 v9, 0, v9, s[0:1]
	;; [unrolled: 3-line block ×8, first 2 shown]
.LBB323_378:                            ;   in Loop: Header=BB323_179 Depth=1
	s_or_b64 exec, exec, s[12:13]
	v_lshlrev_b32_e32 v8, 16, v8
	v_mul_f32_e32 v50, v34, v8
	v_and_b32_e32 v8, 0x7f800000, v50
	v_cmp_ne_u32_e64 s[0:1], s19, v8
                                        ; implicit-def: $vgpr8
	s_and_saveexec_b64 s[12:13], s[0:1]
	s_xor_b64 s[0:1], exec, s[12:13]
; %bb.379:                              ;   in Loop: Header=BB323_179 Depth=1
	v_bfe_u32 v8, v50, 16, 1
	v_add3_u32 v8, v50, v8, s20
                                        ; implicit-def: $vgpr50
; %bb.380:                              ;   in Loop: Header=BB323_179 Depth=1
	s_andn2_saveexec_b64 s[12:13], s[0:1]
; %bb.381:                              ;   in Loop: Header=BB323_179 Depth=1
	v_or_b32_e32 v8, 0x10000, v50
	v_cmp_eq_u32_sdwa s[0:1], v50, v15 src0_sel:WORD_0 src1_sel:DWORD
	s_nop 1
	v_cndmask_b32_e64 v8, v8, v50, s[0:1]
; %bb.382:                              ;   in Loop: Header=BB323_179 Depth=1
	s_or_b64 exec, exec, s[12:13]
	v_lshlrev_b32_e32 v9, 16, v9
	v_mul_f32_e32 v50, v35, v9
	v_and_b32_e32 v9, 0x7f800000, v50
	v_cmp_ne_u32_e64 s[0:1], s19, v9
                                        ; implicit-def: $vgpr9
	s_and_saveexec_b64 s[12:13], s[0:1]
	s_xor_b64 s[0:1], exec, s[12:13]
; %bb.383:                              ;   in Loop: Header=BB323_179 Depth=1
	v_bfe_u32 v9, v50, 16, 1
	v_add3_u32 v9, v50, v9, s20
                                        ; implicit-def: $vgpr50
; %bb.384:                              ;   in Loop: Header=BB323_179 Depth=1
	s_andn2_saveexec_b64 s[12:13], s[0:1]
; %bb.385:                              ;   in Loop: Header=BB323_179 Depth=1
	v_or_b32_e32 v9, 0x10000, v50
	v_cmp_eq_u32_sdwa s[0:1], v50, v15 src0_sel:WORD_0 src1_sel:DWORD
	s_nop 1
	v_cndmask_b32_e64 v9, v9, v50, s[0:1]
; %bb.386:                              ;   in Loop: Header=BB323_179 Depth=1
	s_or_b64 exec, exec, s[12:13]
	v_lshlrev_b32_e32 v50, 16, v52
	v_mul_f32_e32 v51, v36, v50
	v_and_b32_e32 v50, 0x7f800000, v51
	v_cmp_ne_u32_e64 s[0:1], s19, v50
                                        ; implicit-def: $vgpr50
	s_and_saveexec_b64 s[12:13], s[0:1]
	s_xor_b64 s[0:1], exec, s[12:13]
; %bb.387:                              ;   in Loop: Header=BB323_179 Depth=1
	v_bfe_u32 v50, v51, 16, 1
	v_add3_u32 v50, v51, v50, s20
                                        ; implicit-def: $vgpr51
; %bb.388:                              ;   in Loop: Header=BB323_179 Depth=1
	s_andn2_saveexec_b64 s[12:13], s[0:1]
; %bb.389:                              ;   in Loop: Header=BB323_179 Depth=1
	v_or_b32_e32 v50, 0x10000, v51
	v_cmp_eq_u32_sdwa s[0:1], v51, v15 src0_sel:WORD_0 src1_sel:DWORD
	s_nop 1
	v_cndmask_b32_e64 v50, v50, v51, s[0:1]
; %bb.390:                              ;   in Loop: Header=BB323_179 Depth=1
	s_or_b64 exec, exec, s[12:13]
	v_lshlrev_b32_e32 v51, 16, v57
	v_mul_f32_e32 v52, v37, v51
	v_and_b32_e32 v51, 0x7f800000, v52
	v_cmp_ne_u32_e64 s[0:1], s19, v51
                                        ; implicit-def: $vgpr51
	s_and_saveexec_b64 s[12:13], s[0:1]
	s_xor_b64 s[0:1], exec, s[12:13]
; %bb.391:                              ;   in Loop: Header=BB323_179 Depth=1
	v_bfe_u32 v51, v52, 16, 1
	v_add3_u32 v51, v52, v51, s20
                                        ; implicit-def: $vgpr52
; %bb.392:                              ;   in Loop: Header=BB323_179 Depth=1
	s_andn2_saveexec_b64 s[12:13], s[0:1]
; %bb.393:                              ;   in Loop: Header=BB323_179 Depth=1
	v_or_b32_e32 v51, 0x10000, v52
	v_cmp_eq_u32_sdwa s[0:1], v52, v15 src0_sel:WORD_0 src1_sel:DWORD
	s_nop 1
	v_cndmask_b32_e64 v51, v51, v52, s[0:1]
; %bb.394:                              ;   in Loop: Header=BB323_179 Depth=1
	s_or_b64 exec, exec, s[12:13]
	v_lshlrev_b32_e32 v52, 16, v56
	v_mul_f32_e32 v56, v38, v52
	v_and_b32_e32 v52, 0x7f800000, v56
	v_cmp_ne_u32_e64 s[0:1], s19, v52
                                        ; implicit-def: $vgpr52
	s_and_saveexec_b64 s[12:13], s[0:1]
	s_xor_b64 s[0:1], exec, s[12:13]
; %bb.395:                              ;   in Loop: Header=BB323_179 Depth=1
	v_bfe_u32 v52, v56, 16, 1
	v_add3_u32 v52, v56, v52, s20
                                        ; implicit-def: $vgpr56
; %bb.396:                              ;   in Loop: Header=BB323_179 Depth=1
	s_andn2_saveexec_b64 s[12:13], s[0:1]
; %bb.397:                              ;   in Loop: Header=BB323_179 Depth=1
	v_or_b32_e32 v52, 0x10000, v56
	v_cmp_eq_u32_sdwa s[0:1], v56, v15 src0_sel:WORD_0 src1_sel:DWORD
	s_nop 1
	v_cndmask_b32_e64 v52, v52, v56, s[0:1]
; %bb.398:                              ;   in Loop: Header=BB323_179 Depth=1
	s_or_b64 exec, exec, s[12:13]
	v_lshlrev_b32_e32 v53, 16, v53
	v_mul_f32_e32 v56, v39, v53
	v_and_b32_e32 v53, 0x7f800000, v56
	v_cmp_ne_u32_e64 s[0:1], s19, v53
                                        ; implicit-def: $vgpr53
	s_and_saveexec_b64 s[12:13], s[0:1]
	s_xor_b64 s[0:1], exec, s[12:13]
; %bb.399:                              ;   in Loop: Header=BB323_179 Depth=1
	v_bfe_u32 v53, v56, 16, 1
	v_add3_u32 v53, v56, v53, s20
                                        ; implicit-def: $vgpr56
; %bb.400:                              ;   in Loop: Header=BB323_179 Depth=1
	s_andn2_saveexec_b64 s[12:13], s[0:1]
; %bb.401:                              ;   in Loop: Header=BB323_179 Depth=1
	v_or_b32_e32 v53, 0x10000, v56
	v_cmp_eq_u32_sdwa s[0:1], v56, v15 src0_sel:WORD_0 src1_sel:DWORD
	s_nop 1
	v_cndmask_b32_e64 v53, v53, v56, s[0:1]
; %bb.402:                              ;   in Loop: Header=BB323_179 Depth=1
	s_or_b64 exec, exec, s[12:13]
	v_lshlrev_b32_e32 v54, 16, v54
	v_mul_f32_e32 v56, v40, v54
	v_and_b32_e32 v54, 0x7f800000, v56
	v_cmp_ne_u32_e64 s[0:1], s19, v54
                                        ; implicit-def: $vgpr54
	s_and_saveexec_b64 s[12:13], s[0:1]
	s_xor_b64 s[0:1], exec, s[12:13]
; %bb.403:                              ;   in Loop: Header=BB323_179 Depth=1
	v_bfe_u32 v54, v56, 16, 1
	v_add3_u32 v54, v56, v54, s20
                                        ; implicit-def: $vgpr56
; %bb.404:                              ;   in Loop: Header=BB323_179 Depth=1
	s_andn2_saveexec_b64 s[12:13], s[0:1]
; %bb.405:                              ;   in Loop: Header=BB323_179 Depth=1
	v_or_b32_e32 v54, 0x10000, v56
	v_cmp_eq_u32_sdwa s[0:1], v56, v15 src0_sel:WORD_0 src1_sel:DWORD
	s_nop 1
	v_cndmask_b32_e64 v54, v54, v56, s[0:1]
; %bb.406:                              ;   in Loop: Header=BB323_179 Depth=1
	s_or_b64 exec, exec, s[12:13]
	v_lshlrev_b32_e32 v55, 16, v55
	v_mul_f32_e32 v56, v41, v55
	v_and_b32_e32 v55, 0x7f800000, v56
	v_cmp_ne_u32_e64 s[0:1], s19, v55
                                        ; implicit-def: $vgpr55
	s_and_saveexec_b64 s[12:13], s[0:1]
	s_xor_b64 s[0:1], exec, s[12:13]
; %bb.407:                              ;   in Loop: Header=BB323_179 Depth=1
	v_bfe_u32 v55, v56, 16, 1
	v_add3_u32 v55, v56, v55, s20
                                        ; implicit-def: $vgpr56
; %bb.408:                              ;   in Loop: Header=BB323_179 Depth=1
	s_andn2_saveexec_b64 s[12:13], s[0:1]
; %bb.409:                              ;   in Loop: Header=BB323_179 Depth=1
	v_or_b32_e32 v55, 0x10000, v56
	v_cmp_eq_u32_sdwa s[0:1], v56, v15 src0_sel:WORD_0 src1_sel:DWORD
	s_nop 1
	v_cndmask_b32_e64 v55, v55, v56, s[0:1]
; %bb.410:                              ;   in Loop: Header=BB323_179 Depth=1
	s_or_b64 exec, exec, s[12:13]
	global_load_dwordx2 v[6:7], v[6:7], off offset:1536
	s_waitcnt vmcnt(0)
	v_and_b32_e32 v56, 0xff, v6
	v_cvt_f32_fp8_sdwa v56, v56 src0_sel:BYTE_0
	s_nop 0
	v_mul_f32_e32 v57, s21, v56
	v_and_b32_e32 v56, 0x7f800000, v57
	v_cmp_ne_u32_e64 s[0:1], s19, v56
                                        ; implicit-def: $vgpr56
	s_and_saveexec_b64 s[12:13], s[0:1]
	s_xor_b64 s[0:1], exec, s[12:13]
; %bb.411:                              ;   in Loop: Header=BB323_179 Depth=1
	v_bfe_u32 v56, v57, 16, 1
	v_add3_u32 v56, v57, v56, s20
                                        ; implicit-def: $vgpr57
; %bb.412:                              ;   in Loop: Header=BB323_179 Depth=1
	s_andn2_saveexec_b64 s[12:13], s[0:1]
; %bb.413:                              ;   in Loop: Header=BB323_179 Depth=1
	v_or_b32_e32 v56, 0x10000, v57
	v_cmp_eq_u32_sdwa s[0:1], v57, v15 src0_sel:WORD_0 src1_sel:DWORD
	s_nop 1
	v_cndmask_b32_e64 v56, v56, v57, s[0:1]
; %bb.414:                              ;   in Loop: Header=BB323_179 Depth=1
	s_or_b64 exec, exec, s[12:13]
	v_bfe_u32 v57, v6, 8, 8
	v_cvt_f32_fp8_sdwa v57, v57 src0_sel:BYTE_0
	s_nop 0
	v_mul_f32_e32 v58, s21, v57
	v_and_b32_e32 v57, 0x7f800000, v58
	v_cmp_ne_u32_e64 s[0:1], s19, v57
                                        ; implicit-def: $vgpr57
	s_and_saveexec_b64 s[12:13], s[0:1]
	s_xor_b64 s[0:1], exec, s[12:13]
; %bb.415:                              ;   in Loop: Header=BB323_179 Depth=1
	v_bfe_u32 v57, v58, 16, 1
	v_add3_u32 v57, v58, v57, s20
                                        ; implicit-def: $vgpr58
; %bb.416:                              ;   in Loop: Header=BB323_179 Depth=1
	s_andn2_saveexec_b64 s[12:13], s[0:1]
; %bb.417:                              ;   in Loop: Header=BB323_179 Depth=1
	v_or_b32_e32 v57, 0x10000, v58
	v_cmp_eq_u32_sdwa s[0:1], v58, v15 src0_sel:WORD_0 src1_sel:DWORD
	s_nop 1
	v_cndmask_b32_e64 v57, v57, v58, s[0:1]
; %bb.418:                              ;   in Loop: Header=BB323_179 Depth=1
	s_or_b64 exec, exec, s[12:13]
	v_bfe_u32 v58, v6, 16, 8
	v_cvt_f32_fp8_sdwa v58, v58 src0_sel:BYTE_0
	s_nop 0
	v_mul_f32_e32 v58, s21, v58
	v_and_b32_e32 v59, 0x7f800000, v58
	v_cmp_ne_u32_e64 s[0:1], s19, v59
                                        ; implicit-def: $vgpr59
	s_and_saveexec_b64 s[12:13], s[0:1]
	s_xor_b64 s[0:1], exec, s[12:13]
; %bb.419:                              ;   in Loop: Header=BB323_179 Depth=1
	v_bfe_u32 v59, v58, 16, 1
	v_add3_u32 v59, v58, v59, s20
                                        ; implicit-def: $vgpr58
; %bb.420:                              ;   in Loop: Header=BB323_179 Depth=1
	s_andn2_saveexec_b64 s[12:13], s[0:1]
; %bb.421:                              ;   in Loop: Header=BB323_179 Depth=1
	v_or_b32_e32 v59, 0x10000, v58
	v_cmp_eq_u32_sdwa s[0:1], v58, v15 src0_sel:WORD_0 src1_sel:DWORD
	s_nop 1
	v_cndmask_b32_e64 v59, v59, v58, s[0:1]
; %bb.422:                              ;   in Loop: Header=BB323_179 Depth=1
	s_or_b64 exec, exec, s[12:13]
	v_lshrrev_b32_e32 v6, 24, v6
	v_cvt_f32_fp8_sdwa v6, v6 src0_sel:BYTE_0
	s_nop 0
	v_mul_f32_e32 v58, s21, v6
	v_and_b32_e32 v6, 0x7f800000, v58
	v_cmp_ne_u32_e64 s[0:1], s19, v6
                                        ; implicit-def: $vgpr6
	s_and_saveexec_b64 s[12:13], s[0:1]
	s_xor_b64 s[0:1], exec, s[12:13]
; %bb.423:                              ;   in Loop: Header=BB323_179 Depth=1
	v_bfe_u32 v6, v58, 16, 1
	v_add3_u32 v6, v58, v6, s20
                                        ; implicit-def: $vgpr58
; %bb.424:                              ;   in Loop: Header=BB323_179 Depth=1
	s_andn2_saveexec_b64 s[12:13], s[0:1]
; %bb.425:                              ;   in Loop: Header=BB323_179 Depth=1
	v_or_b32_e32 v6, 0x10000, v58
	v_cmp_eq_u32_sdwa s[0:1], v58, v15 src0_sel:WORD_0 src1_sel:DWORD
	s_nop 1
	v_cndmask_b32_e64 v6, v6, v58, s[0:1]
; %bb.426:                              ;   in Loop: Header=BB323_179 Depth=1
	s_or_b64 exec, exec, s[12:13]
	v_and_b32_e32 v58, 0xff, v7
	v_cvt_f32_fp8_sdwa v58, v58 src0_sel:BYTE_0
	s_nop 0
	v_mul_f32_e32 v58, s21, v58
	v_and_b32_e32 v60, 0x7f800000, v58
	v_cmp_ne_u32_e64 s[0:1], s19, v60
                                        ; implicit-def: $vgpr60
	s_and_saveexec_b64 s[12:13], s[0:1]
	s_xor_b64 s[0:1], exec, s[12:13]
; %bb.427:                              ;   in Loop: Header=BB323_179 Depth=1
	v_bfe_u32 v60, v58, 16, 1
	v_add3_u32 v60, v58, v60, s20
                                        ; implicit-def: $vgpr58
; %bb.428:                              ;   in Loop: Header=BB323_179 Depth=1
	s_andn2_saveexec_b64 s[12:13], s[0:1]
; %bb.429:                              ;   in Loop: Header=BB323_179 Depth=1
	v_or_b32_e32 v60, 0x10000, v58
	v_cmp_eq_u32_sdwa s[0:1], v58, v15 src0_sel:WORD_0 src1_sel:DWORD
	s_nop 1
	v_cndmask_b32_e64 v60, v60, v58, s[0:1]
; %bb.430:                              ;   in Loop: Header=BB323_179 Depth=1
	s_or_b64 exec, exec, s[12:13]
	v_bfe_u32 v58, v7, 8, 8
	v_cvt_f32_fp8_sdwa v58, v58 src0_sel:BYTE_0
	s_nop 0
	v_mul_f32_e32 v61, s21, v58
	v_and_b32_e32 v58, 0x7f800000, v61
	v_cmp_ne_u32_e64 s[0:1], s19, v58
                                        ; implicit-def: $vgpr58
	s_and_saveexec_b64 s[12:13], s[0:1]
	s_xor_b64 s[0:1], exec, s[12:13]
; %bb.431:                              ;   in Loop: Header=BB323_179 Depth=1
	v_bfe_u32 v58, v61, 16, 1
	v_add3_u32 v58, v61, v58, s20
                                        ; implicit-def: $vgpr61
; %bb.432:                              ;   in Loop: Header=BB323_179 Depth=1
	s_andn2_saveexec_b64 s[12:13], s[0:1]
; %bb.433:                              ;   in Loop: Header=BB323_179 Depth=1
	v_or_b32_e32 v58, 0x10000, v61
	v_cmp_eq_u32_sdwa s[0:1], v61, v15 src0_sel:WORD_0 src1_sel:DWORD
	s_nop 1
	v_cndmask_b32_e64 v58, v58, v61, s[0:1]
; %bb.434:                              ;   in Loop: Header=BB323_179 Depth=1
	s_or_b64 exec, exec, s[12:13]
	v_bfe_u32 v61, v7, 16, 8
	v_cvt_f32_fp8_sdwa v61, v61 src0_sel:BYTE_0
	s_nop 0
	v_mul_f32_e32 v61, s21, v61
	v_and_b32_e32 v62, 0x7f800000, v61
	v_cmp_ne_u32_e64 s[0:1], s19, v62
                                        ; implicit-def: $vgpr62
	s_and_saveexec_b64 s[12:13], s[0:1]
	s_xor_b64 s[0:1], exec, s[12:13]
; %bb.435:                              ;   in Loop: Header=BB323_179 Depth=1
	v_bfe_u32 v62, v61, 16, 1
	v_add3_u32 v62, v61, v62, s20
                                        ; implicit-def: $vgpr61
; %bb.436:                              ;   in Loop: Header=BB323_179 Depth=1
	s_andn2_saveexec_b64 s[12:13], s[0:1]
; %bb.437:                              ;   in Loop: Header=BB323_179 Depth=1
	v_or_b32_e32 v62, 0x10000, v61
	v_cmp_eq_u32_sdwa s[0:1], v61, v15 src0_sel:WORD_0 src1_sel:DWORD
	s_nop 1
	v_cndmask_b32_e64 v62, v62, v61, s[0:1]
; %bb.438:                              ;   in Loop: Header=BB323_179 Depth=1
	s_or_b64 exec, exec, s[12:13]
	v_lshrrev_b32_e32 v7, 24, v7
	v_cvt_f32_fp8_sdwa v7, v7 src0_sel:BYTE_0
                                        ; implicit-def: $vgpr63
	s_nop 0
	v_mul_f32_e32 v7, s21, v7
	v_and_b32_e32 v61, 0x7f800000, v7
	v_cmp_ne_u32_e64 s[0:1], s19, v61
	s_and_saveexec_b64 s[12:13], s[0:1]
	s_xor_b64 s[0:1], exec, s[12:13]
; %bb.439:                              ;   in Loop: Header=BB323_179 Depth=1
	v_bfe_u32 v61, v7, 16, 1
	v_add3_u32 v63, v7, v61, s20
                                        ; implicit-def: $vgpr7
; %bb.440:                              ;   in Loop: Header=BB323_179 Depth=1
	s_andn2_saveexec_b64 s[12:13], s[0:1]
; %bb.441:                              ;   in Loop: Header=BB323_179 Depth=1
	v_or_b32_e32 v61, 0x10000, v7
	v_cmp_eq_u32_sdwa s[0:1], v7, v15 src0_sel:WORD_0 src1_sel:DWORD
	s_nop 1
	v_cndmask_b32_e64 v63, v61, v7, s[0:1]
; %bb.442:                              ;   in Loop: Header=BB323_179 Depth=1
	s_or_b64 exec, exec, s[12:13]
	v_lshrrev_b32_e32 v58, 16, v58
	v_lshrrev_b32_e32 v60, 16, v60
	;; [unrolled: 1-line block ×8, first 2 shown]
	s_and_saveexec_b64 s[0:1], vcc
	s_cbranch_execz .LBB323_444
; %bb.443:                              ;   in Loop: Header=BB323_179 Depth=1
	v_cmp_gt_i32_e32 vcc, s41, v1
	s_nop 1
	v_cndmask_b32_e32 v6, 0, v6, vcc
	v_cmp_gt_i32_e32 vcc, s41, v32
	s_nop 1
	v_cndmask_b32_e32 v7, 0, v7, vcc
	;; [unrolled: 3-line block ×8, first 2 shown]
.LBB323_444:                            ;   in Loop: Header=BB323_179 Depth=1
	s_or_b64 exec, exec, s[0:1]
	v_lshlrev_b32_e32 v6, 16, v6
	v_mul_f32_e32 v26, v34, v6
	v_and_b32_e32 v6, 0x7f800000, v26
	v_cmp_ne_u32_e32 vcc, s19, v6
                                        ; implicit-def: $vgpr6
	s_and_saveexec_b64 s[0:1], vcc
	s_xor_b64 s[0:1], exec, s[0:1]
; %bb.445:                              ;   in Loop: Header=BB323_179 Depth=1
	v_bfe_u32 v6, v26, 16, 1
	v_add3_u32 v6, v26, v6, s20
                                        ; implicit-def: $vgpr26
; %bb.446:                              ;   in Loop: Header=BB323_179 Depth=1
	s_andn2_saveexec_b64 s[0:1], s[0:1]
; %bb.447:                              ;   in Loop: Header=BB323_179 Depth=1
	v_or_b32_e32 v6, 0x10000, v26
	v_cmp_eq_u32_sdwa vcc, v26, v15 src0_sel:WORD_0 src1_sel:DWORD
	s_nop 1
	v_cndmask_b32_e32 v6, v6, v26, vcc
; %bb.448:                              ;   in Loop: Header=BB323_179 Depth=1
	s_or_b64 exec, exec, s[0:1]
	v_lshlrev_b32_e32 v7, 16, v7
	v_mul_f32_e32 v26, v35, v7
	v_and_b32_e32 v7, 0x7f800000, v26
	v_cmp_ne_u32_e32 vcc, s19, v7
                                        ; implicit-def: $vgpr7
	s_and_saveexec_b64 s[0:1], vcc
	s_xor_b64 s[0:1], exec, s[0:1]
; %bb.449:                              ;   in Loop: Header=BB323_179 Depth=1
	v_bfe_u32 v7, v26, 16, 1
	v_add3_u32 v7, v26, v7, s20
                                        ; implicit-def: $vgpr26
; %bb.450:                              ;   in Loop: Header=BB323_179 Depth=1
	s_andn2_saveexec_b64 s[0:1], s[0:1]
; %bb.451:                              ;   in Loop: Header=BB323_179 Depth=1
	v_or_b32_e32 v7, 0x10000, v26
	v_cmp_eq_u32_sdwa vcc, v26, v15 src0_sel:WORD_0 src1_sel:DWORD
	s_nop 1
	v_cndmask_b32_e32 v7, v7, v26, vcc
; %bb.452:                              ;   in Loop: Header=BB323_179 Depth=1
	s_or_b64 exec, exec, s[0:1]
	v_lshlrev_b32_e32 v26, 16, v59
	v_mul_f32_e32 v27, v36, v26
	v_and_b32_e32 v26, 0x7f800000, v27
	v_cmp_ne_u32_e32 vcc, s19, v26
                                        ; implicit-def: $vgpr26
	s_and_saveexec_b64 s[0:1], vcc
	s_xor_b64 s[0:1], exec, s[0:1]
; %bb.453:                              ;   in Loop: Header=BB323_179 Depth=1
	v_bfe_u32 v26, v27, 16, 1
	v_add3_u32 v26, v27, v26, s20
                                        ; implicit-def: $vgpr27
; %bb.454:                              ;   in Loop: Header=BB323_179 Depth=1
	s_andn2_saveexec_b64 s[0:1], s[0:1]
; %bb.455:                              ;   in Loop: Header=BB323_179 Depth=1
	v_or_b32_e32 v26, 0x10000, v27
	v_cmp_eq_u32_sdwa vcc, v27, v15 src0_sel:WORD_0 src1_sel:DWORD
	s_nop 1
	v_cndmask_b32_e32 v26, v26, v27, vcc
; %bb.456:                              ;   in Loop: Header=BB323_179 Depth=1
	s_or_b64 exec, exec, s[0:1]
	v_lshlrev_b32_e32 v27, 16, v61
	v_mul_f32_e32 v28, v37, v27
	v_and_b32_e32 v27, 0x7f800000, v28
	v_cmp_ne_u32_e32 vcc, s19, v27
                                        ; implicit-def: $vgpr27
	s_and_saveexec_b64 s[0:1], vcc
	s_xor_b64 s[0:1], exec, s[0:1]
; %bb.457:                              ;   in Loop: Header=BB323_179 Depth=1
	v_bfe_u32 v27, v28, 16, 1
	v_add3_u32 v27, v28, v27, s20
                                        ; implicit-def: $vgpr28
; %bb.458:                              ;   in Loop: Header=BB323_179 Depth=1
	s_andn2_saveexec_b64 s[0:1], s[0:1]
; %bb.459:                              ;   in Loop: Header=BB323_179 Depth=1
	v_or_b32_e32 v27, 0x10000, v28
	v_cmp_eq_u32_sdwa vcc, v28, v15 src0_sel:WORD_0 src1_sel:DWORD
	s_nop 1
	v_cndmask_b32_e32 v27, v27, v28, vcc
; %bb.460:                              ;   in Loop: Header=BB323_179 Depth=1
	s_or_b64 exec, exec, s[0:1]
	v_lshlrev_b32_e32 v28, 16, v60
	v_mul_f32_e32 v29, v38, v28
	v_and_b32_e32 v28, 0x7f800000, v29
	v_cmp_ne_u32_e32 vcc, s19, v28
                                        ; implicit-def: $vgpr28
	s_and_saveexec_b64 s[0:1], vcc
	s_xor_b64 s[0:1], exec, s[0:1]
; %bb.461:                              ;   in Loop: Header=BB323_179 Depth=1
	v_bfe_u32 v28, v29, 16, 1
	v_add3_u32 v28, v29, v28, s20
                                        ; implicit-def: $vgpr29
; %bb.462:                              ;   in Loop: Header=BB323_179 Depth=1
	s_andn2_saveexec_b64 s[0:1], s[0:1]
; %bb.463:                              ;   in Loop: Header=BB323_179 Depth=1
	v_or_b32_e32 v28, 0x10000, v29
	v_cmp_eq_u32_sdwa vcc, v29, v15 src0_sel:WORD_0 src1_sel:DWORD
	s_nop 1
	v_cndmask_b32_e32 v28, v28, v29, vcc
; %bb.464:                              ;   in Loop: Header=BB323_179 Depth=1
	s_or_b64 exec, exec, s[0:1]
	v_lshlrev_b32_e32 v29, 16, v58
	v_mul_f32_e32 v30, v39, v29
	v_and_b32_e32 v29, 0x7f800000, v30
	v_cmp_ne_u32_e32 vcc, s19, v29
                                        ; implicit-def: $vgpr29
	s_and_saveexec_b64 s[0:1], vcc
	s_xor_b64 s[0:1], exec, s[0:1]
; %bb.465:                              ;   in Loop: Header=BB323_179 Depth=1
	v_bfe_u32 v29, v30, 16, 1
	v_add3_u32 v29, v30, v29, s20
                                        ; implicit-def: $vgpr30
; %bb.466:                              ;   in Loop: Header=BB323_179 Depth=1
	s_andn2_saveexec_b64 s[0:1], s[0:1]
; %bb.467:                              ;   in Loop: Header=BB323_179 Depth=1
	v_or_b32_e32 v29, 0x10000, v30
	v_cmp_eq_u32_sdwa vcc, v30, v15 src0_sel:WORD_0 src1_sel:DWORD
	s_nop 1
	v_cndmask_b32_e32 v29, v29, v30, vcc
; %bb.468:                              ;   in Loop: Header=BB323_179 Depth=1
	s_or_b64 exec, exec, s[0:1]
	v_lshlrev_b32_e32 v30, 16, v57
	v_mul_f32_e32 v31, v40, v30
	v_and_b32_e32 v30, 0x7f800000, v31
	v_cmp_ne_u32_e32 vcc, s19, v30
                                        ; implicit-def: $vgpr30
	s_and_saveexec_b64 s[0:1], vcc
	s_xor_b64 s[0:1], exec, s[0:1]
; %bb.469:                              ;   in Loop: Header=BB323_179 Depth=1
	v_bfe_u32 v30, v31, 16, 1
	v_add3_u32 v30, v31, v30, s20
                                        ; implicit-def: $vgpr31
; %bb.470:                              ;   in Loop: Header=BB323_179 Depth=1
	s_andn2_saveexec_b64 s[0:1], s[0:1]
; %bb.471:                              ;   in Loop: Header=BB323_179 Depth=1
	v_or_b32_e32 v30, 0x10000, v31
	v_cmp_eq_u32_sdwa vcc, v31, v15 src0_sel:WORD_0 src1_sel:DWORD
	s_nop 1
	v_cndmask_b32_e32 v30, v30, v31, vcc
; %bb.472:                              ;   in Loop: Header=BB323_179 Depth=1
	s_or_b64 exec, exec, s[0:1]
	v_lshlrev_b32_e32 v31, 16, v56
	v_mul_f32_e32 v32, v41, v31
	v_and_b32_e32 v31, 0x7f800000, v32
	v_cmp_ne_u32_e32 vcc, s19, v31
                                        ; implicit-def: $vgpr31
	s_and_saveexec_b64 s[0:1], vcc
	s_xor_b64 s[0:1], exec, s[0:1]
; %bb.473:                              ;   in Loop: Header=BB323_179 Depth=1
	v_bfe_u32 v31, v32, 16, 1
	v_add3_u32 v31, v32, v31, s20
                                        ; implicit-def: $vgpr32
; %bb.474:                              ;   in Loop: Header=BB323_179 Depth=1
	s_andn2_saveexec_b64 s[0:1], s[0:1]
	s_cbranch_execz .LBB323_177
; %bb.475:                              ;   in Loop: Header=BB323_179 Depth=1
	v_or_b32_e32 v31, 0x10000, v32
	v_cmp_eq_u32_sdwa vcc, v32, v15 src0_sel:WORD_0 src1_sel:DWORD
	s_nop 1
	v_cndmask_b32_e32 v31, v31, v32, vcc
	s_branch .LBB323_177
.LBB323_476:
	s_or_b64 exec, exec, s[8:9]
.LBB323_477:
	s_or_b64 exec, exec, s[2:3]
	v_and_b32_e32 v1, 0x3c0, v0
	v_cmp_eq_u32_e32 vcc, 64, v1
	s_barrier
	s_and_saveexec_b64 s[0:1], vcc
	s_cbranch_execz .LBB323_479
; %bb.478:
	v_lshlrev_b32_e32 v1, 2, v0
	v_mov_b32_e32 v7, 0x210
	v_or_b32_e32 v6, 0x300, v1
	v_lshl_add_u32 v7, v22, 2, v7
	v_add_u32_e32 v6, 0x210, v6
	v_add_u32_e32 v1, 0x210, v1
	ds_write_b32 v7, v2
	ds_write_b32 v1, v3
	ds_write_b32 v7, v4 offset:512
	ds_write_b32 v6, v5
.LBB323_479:
	s_or_b64 exec, exec, s[0:1]
	v_cmp_gt_u32_e32 vcc, 64, v0
	s_waitcnt lgkmcnt(0)
	s_barrier
	s_and_saveexec_b64 s[0:1], vcc
	s_cbranch_execz .LBB323_481
; %bb.480:
	v_mov_b32_e32 v1, 0x210
	v_lshl_add_u32 v1, v0, 2, v1
	ds_read2st64_b32 v[6:7], v1 offset0:2 offset1:3
	ds_read2st64_b32 v[8:9], v1 offset1:1
	s_waitcnt lgkmcnt(1)
	v_pk_add_f32 v[4:5], v[4:5], v[6:7]
	s_waitcnt lgkmcnt(0)
	v_pk_add_f32 v[2:3], v[2:3], v[8:9]
.LBB323_481:
	s_or_b64 exec, exec, s[0:1]
	s_barrier
	s_and_saveexec_b64 s[0:1], vcc
	s_cbranch_execz .LBB323_499
; %bb.482:
	s_mov_b32 s0, 0x7f800000
	v_and_b32_e32 v1, 0x7f800000, v2
	v_cmp_ne_u32_e32 vcc, s0, v1
                                        ; implicit-def: $vgpr6
	s_and_saveexec_b64 s[0:1], vcc
	s_xor_b64 s[0:1], exec, s[0:1]
; %bb.483:
	v_bfe_u32 v1, v2, 16, 1
	s_movk_i32 s2, 0x7fff
	v_add3_u32 v6, v2, v1, s2
; %bb.484:
	s_andn2_saveexec_b64 s[0:1], s[0:1]
; %bb.485:
	v_mov_b32_e32 v1, 0
	v_or_b32_e32 v6, 0x10000, v2
	v_cmp_eq_u32_sdwa vcc, v2, v1 src0_sel:WORD_0 src1_sel:DWORD
	s_nop 1
	v_cndmask_b32_e32 v6, v6, v2, vcc
; %bb.486:
	s_or_b64 exec, exec, s[0:1]
	s_lshl_b32 s0, s6, 8
	s_ashr_i32 s1, s0, 31
	s_lshl_b64 s[0:1], s[0:1], 1
	s_add_u32 s2, s34, s0
	s_mul_i32 s0, s33, s36
	s_addc_u32 s3, s35, s1
	s_ashr_i32 s1, s0, 31
	s_lshl_b64 s[0:1], s[0:1], 1
	s_add_u32 s2, s2, s0
	s_addc_u32 s3, s3, s1
	s_lshl_b32 s0, s4, 8
	s_ashr_i32 s1, s0, 31
	s_lshl_b64 s[0:1], s[0:1], 1
	s_add_u32 s0, s2, s0
	s_mov_b32 s2, 0x7f800000
	v_and_b32_e32 v2, 0x7f800000, v3
	s_addc_u32 s1, s3, s1
	v_lshlrev_b32_e32 v0, 1, v0
	v_mov_b32_e32 v1, 0
	v_cmp_ne_u32_e32 vcc, s2, v2
	global_store_short_d16_hi v0, v6, s[0:1]
                                        ; implicit-def: $vgpr2
	s_and_saveexec_b64 s[2:3], vcc
	s_xor_b64 s[2:3], exec, s[2:3]
; %bb.487:
	v_bfe_u32 v2, v3, 16, 1
	s_movk_i32 s4, 0x7fff
	v_add3_u32 v2, v3, v2, s4
; %bb.488:
	s_or_saveexec_b64 s[2:3], s[2:3]
	v_lshl_add_u64 v[0:1], s[0:1], 0, v[0:1]
	s_xor_b64 exec, exec, s[2:3]
; %bb.489:
	v_mov_b32_e32 v2, 0
	v_or_b32_e32 v6, 0x10000, v3
	v_cmp_eq_u32_sdwa vcc, v3, v2 src0_sel:WORD_0 src1_sel:DWORD
	s_nop 1
	v_cndmask_b32_e32 v2, v6, v3, vcc
; %bb.490:
	s_or_b64 exec, exec, s[2:3]
	global_store_short_d16_hi v[0:1], v2, off offset:128
	s_mov_b32 s0, 0x7f800000
	v_and_b32_e32 v2, 0x7f800000, v4
	v_cmp_ne_u32_e32 vcc, s0, v2
                                        ; implicit-def: $vgpr2
	s_and_saveexec_b64 s[0:1], vcc
	s_xor_b64 s[0:1], exec, s[0:1]
; %bb.491:
	v_bfe_u32 v2, v4, 16, 1
	s_movk_i32 s2, 0x7fff
	v_add3_u32 v2, v4, v2, s2
; %bb.492:
	s_andn2_saveexec_b64 s[0:1], s[0:1]
; %bb.493:
	v_mov_b32_e32 v2, 0
	v_or_b32_e32 v3, 0x10000, v4
	v_cmp_eq_u32_sdwa vcc, v4, v2 src0_sel:WORD_0 src1_sel:DWORD
	s_nop 1
	v_cndmask_b32_e32 v2, v3, v4, vcc
; %bb.494:
	s_or_b64 exec, exec, s[0:1]
	global_store_short_d16_hi v[0:1], v2, off offset:256
	s_mov_b32 s0, 0x7f800000
	v_and_b32_e32 v2, 0x7f800000, v5
	v_cmp_ne_u32_e32 vcc, s0, v2
                                        ; implicit-def: $vgpr6
	s_and_saveexec_b64 s[0:1], vcc
	s_xor_b64 s[0:1], exec, s[0:1]
; %bb.495:
	v_bfe_u32 v2, v5, 16, 1
	s_movk_i32 s2, 0x7fff
	v_add3_u32 v6, v5, v2, s2
                                        ; implicit-def: $vgpr2_vgpr3_vgpr4_vgpr5
; %bb.496:
	s_andn2_saveexec_b64 s[0:1], s[0:1]
; %bb.497:
	v_mov_b32_e32 v2, 0
	v_or_b32_e32 v3, 0x10000, v5
	v_cmp_eq_u32_sdwa vcc, v5, v2 src0_sel:WORD_0 src1_sel:DWORD
	s_nop 1
	v_cndmask_b32_e32 v6, v3, v5, vcc
; %bb.498:
	s_or_b64 exec, exec, s[0:1]
	global_store_short_d16_hi v[0:1], v6, off offset:384
.LBB323_499:
	s_endpgm
	.section	.rodata,"a",@progbits
	.p2align	6, 0x0
	.amdhsa_kernel _ZN4vllm25paged_attention_v2_kernelI14__hip_bfloat16hLi256ELi8ELi128ELNS_18Fp8KVCacheDataTypeE1ELb1ELi512EEEvPfS3_PT_PKS4_PKT0_SA_ifPKiSC_iPKfiiiSE_SE_iiiii
		.amdhsa_group_segment_fixed_size 528
		.amdhsa_private_segment_fixed_size 0
		.amdhsa_kernarg_size 400
		.amdhsa_user_sgpr_count 2
		.amdhsa_user_sgpr_dispatch_ptr 0
		.amdhsa_user_sgpr_queue_ptr 0
		.amdhsa_user_sgpr_kernarg_segment_ptr 1
		.amdhsa_user_sgpr_dispatch_id 0
		.amdhsa_user_sgpr_kernarg_preload_length 0
		.amdhsa_user_sgpr_kernarg_preload_offset 0
		.amdhsa_user_sgpr_private_segment_size 0
		.amdhsa_uses_dynamic_stack 0
		.amdhsa_enable_private_segment 0
		.amdhsa_system_sgpr_workgroup_id_x 1
		.amdhsa_system_sgpr_workgroup_id_y 1
		.amdhsa_system_sgpr_workgroup_id_z 1
		.amdhsa_system_sgpr_workgroup_info 0
		.amdhsa_system_vgpr_workitem_id 0
		.amdhsa_next_free_vgpr 88
		.amdhsa_next_free_sgpr 59
		.amdhsa_accum_offset 88
		.amdhsa_reserve_vcc 1
		.amdhsa_float_round_mode_32 0
		.amdhsa_float_round_mode_16_64 0
		.amdhsa_float_denorm_mode_32 3
		.amdhsa_float_denorm_mode_16_64 3
		.amdhsa_dx10_clamp 1
		.amdhsa_ieee_mode 1
		.amdhsa_fp16_overflow 0
		.amdhsa_tg_split 0
		.amdhsa_exception_fp_ieee_invalid_op 0
		.amdhsa_exception_fp_denorm_src 0
		.amdhsa_exception_fp_ieee_div_zero 0
		.amdhsa_exception_fp_ieee_overflow 0
		.amdhsa_exception_fp_ieee_underflow 0
		.amdhsa_exception_fp_ieee_inexact 0
		.amdhsa_exception_int_div_zero 0
	.end_amdhsa_kernel
	.section	.text._ZN4vllm25paged_attention_v2_kernelI14__hip_bfloat16hLi256ELi8ELi128ELNS_18Fp8KVCacheDataTypeE1ELb1ELi512EEEvPfS3_PT_PKS4_PKT0_SA_ifPKiSC_iPKfiiiSE_SE_iiiii,"axG",@progbits,_ZN4vllm25paged_attention_v2_kernelI14__hip_bfloat16hLi256ELi8ELi128ELNS_18Fp8KVCacheDataTypeE1ELb1ELi512EEEvPfS3_PT_PKS4_PKT0_SA_ifPKiSC_iPKfiiiSE_SE_iiiii,comdat
.Lfunc_end323:
	.size	_ZN4vllm25paged_attention_v2_kernelI14__hip_bfloat16hLi256ELi8ELi128ELNS_18Fp8KVCacheDataTypeE1ELb1ELi512EEEvPfS3_PT_PKS4_PKT0_SA_ifPKiSC_iPKfiiiSE_SE_iiiii, .Lfunc_end323-_ZN4vllm25paged_attention_v2_kernelI14__hip_bfloat16hLi256ELi8ELi128ELNS_18Fp8KVCacheDataTypeE1ELb1ELi512EEEvPfS3_PT_PKS4_PKT0_SA_ifPKiSC_iPKfiiiSE_SE_iiiii
                                        ; -- End function
	.section	.AMDGPU.csdata,"",@progbits
; Kernel info:
; codeLenInByte = 15764
; NumSgprs: 65
; NumVgprs: 88
; NumAgprs: 0
; TotalNumVgprs: 88
; ScratchSize: 0
; MemoryBound: 0
; FloatMode: 240
; IeeeMode: 1
; LDSByteSize: 528 bytes/workgroup (compile time only)
; SGPRBlocks: 8
; VGPRBlocks: 10
; NumSGPRsForWavesPerEU: 65
; NumVGPRsForWavesPerEU: 88
; AccumOffset: 88
; Occupancy: 5
; WaveLimiterHint : 1
; COMPUTE_PGM_RSRC2:SCRATCH_EN: 0
; COMPUTE_PGM_RSRC2:USER_SGPR: 2
; COMPUTE_PGM_RSRC2:TRAP_HANDLER: 0
; COMPUTE_PGM_RSRC2:TGID_X_EN: 1
; COMPUTE_PGM_RSRC2:TGID_Y_EN: 1
; COMPUTE_PGM_RSRC2:TGID_Z_EN: 1
; COMPUTE_PGM_RSRC2:TIDIG_COMP_CNT: 0
; COMPUTE_PGM_RSRC3_GFX90A:ACCUM_OFFSET: 21
; COMPUTE_PGM_RSRC3_GFX90A:TG_SPLIT: 0
	.section	.text._ZN4vllm25paged_attention_v2_kernelI14__hip_bfloat16hLi32ELi8ELi128ELNS_18Fp8KVCacheDataTypeE1ELb0ELi512EEEvPfS3_PT_PKS4_PKT0_SA_ifPKiSC_iPKfiiiSE_SE_iiiii,"axG",@progbits,_ZN4vllm25paged_attention_v2_kernelI14__hip_bfloat16hLi32ELi8ELi128ELNS_18Fp8KVCacheDataTypeE1ELb0ELi512EEEvPfS3_PT_PKS4_PKT0_SA_ifPKiSC_iPKfiiiSE_SE_iiiii,comdat
	.protected	_ZN4vllm25paged_attention_v2_kernelI14__hip_bfloat16hLi32ELi8ELi128ELNS_18Fp8KVCacheDataTypeE1ELb0ELi512EEEvPfS3_PT_PKS4_PKT0_SA_ifPKiSC_iPKfiiiSE_SE_iiiii ; -- Begin function _ZN4vllm25paged_attention_v2_kernelI14__hip_bfloat16hLi32ELi8ELi128ELNS_18Fp8KVCacheDataTypeE1ELb0ELi512EEEvPfS3_PT_PKS4_PKT0_SA_ifPKiSC_iPKfiiiSE_SE_iiiii
	.globl	_ZN4vllm25paged_attention_v2_kernelI14__hip_bfloat16hLi32ELi8ELi128ELNS_18Fp8KVCacheDataTypeE1ELb0ELi512EEEvPfS3_PT_PKS4_PKT0_SA_ifPKiSC_iPKfiiiSE_SE_iiiii
	.p2align	8
	.type	_ZN4vllm25paged_attention_v2_kernelI14__hip_bfloat16hLi32ELi8ELi128ELNS_18Fp8KVCacheDataTypeE1ELb0ELi512EEEvPfS3_PT_PKS4_PKT0_SA_ifPKiSC_iPKfiiiSE_SE_iiiii,@function
_ZN4vllm25paged_attention_v2_kernelI14__hip_bfloat16hLi32ELi8ELi128ELNS_18Fp8KVCacheDataTypeE1ELb0ELi512EEEvPfS3_PT_PKS4_PKT0_SA_ifPKiSC_iPKfiiiSE_SE_iiiii: ; @_ZN4vllm25paged_attention_v2_kernelI14__hip_bfloat16hLi32ELi8ELi128ELNS_18Fp8KVCacheDataTypeE1ELb0ELi512EEEvPfS3_PT_PKS4_PKT0_SA_ifPKiSC_iPKfiiiSE_SE_iiiii
; %bb.0:
	s_load_dwordx2 s[6:7], s[0:1], 0x40
	s_mov_b32 s28, s3
	s_ashr_i32 s29, s3, 31
	s_lshl_b64 s[8:9], s[28:29], 2
	s_waitcnt lgkmcnt(0)
	s_add_u32 s6, s6, s8
	s_addc_u32 s7, s7, s9
	s_load_dword s29, s[6:7], 0x0
	s_lshl_b32 s33, s4, 9
	s_waitcnt lgkmcnt(0)
	s_cmp_ge_i32 s33, s29
	s_cbranch_scc1 .LBB324_170
; %bb.1:
	s_load_dword s5, s[0:1], 0x90
	s_load_dwordx2 s[10:11], s[0:1], 0x30
	s_waitcnt lgkmcnt(0)
	s_abs_i32 s7, s5
	s_abs_i32 s3, s10
	v_cvt_f32_u32_e32 v1, s3
	s_sub_i32 s8, 0, s3
	s_xor_b32 s6, s5, s10
	s_ashr_i32 s6, s6, 31
	v_rcp_iflag_f32_e32 v1, v1
	s_nop 0
	v_mul_f32_e32 v1, 0x4f7ffffe, v1
	v_cvt_u32_f32_e32 v1, v1
	s_nop 0
	v_readfirstlane_b32 s9, v1
	s_mul_i32 s8, s8, s9
	s_mul_hi_u32 s8, s9, s8
	s_add_i32 s9, s9, s8
	s_mul_hi_u32 s8, s7, s9
	s_mul_i32 s9, s8, s3
	s_sub_i32 s7, s7, s9
	s_add_i32 s10, s8, 1
	s_sub_i32 s9, s7, s3
	s_cmp_ge_u32 s7, s3
	s_cselect_b32 s8, s10, s8
	s_cselect_b32 s7, s9, s7
	s_add_i32 s9, s8, 1
	s_cmp_ge_u32 s7, s3
	s_cselect_b32 s3, s9, s8
	s_xor_b32 s3, s3, s6
	s_sub_i32 s14, s3, s6
	s_abs_i32 s8, s14
	v_cvt_f32_u32_e32 v1, s8
	s_load_dwordx2 s[6:7], s[0:1], 0x50
	s_sub_i32 s3, 0, s8
	s_abs_i32 s9, s2
	v_rcp_iflag_f32_e32 v1, v1
	s_mov_b32 s10, 0
	v_mul_f32_e32 v1, 0x4f7ffffe, v1
	v_cvt_u32_f32_e32 v1, v1
	s_nop 0
	v_readfirstlane_b32 s12, v1
	s_mul_i32 s3, s3, s12
	s_mul_hi_u32 s3, s12, s3
	s_add_i32 s12, s12, s3
	s_waitcnt lgkmcnt(0)
	s_cmp_eq_u64 s[6:7], 0
	s_mul_hi_u32 s12, s9, s12
	s_cbranch_scc1 .LBB324_3
; %bb.2:
	s_ashr_i32 s3, s2, 31
	s_lshl_b64 s[16:17], s[2:3], 2
	s_add_u32 s6, s6, s16
	s_addc_u32 s7, s7, s17
	s_load_dword s10, s[6:7], 0x0
.LBB324_3:
	s_load_dwordx4 s[16:19], s[0:1], 0x58
	s_ashr_i32 s13, s2, 31
	s_ashr_i32 s14, s14, 31
	v_and_b32_e32 v2, 7, v0
	s_lshl_b32 s24, s2, 5
	v_cmp_gt_u32_e32 vcc, 32, v0
	s_and_saveexec_b64 s[6:7], vcc
	s_cbranch_execz .LBB324_5
; %bb.4:
	s_load_dwordx2 s[20:21], s[0:1], 0x18
	s_waitcnt lgkmcnt(0)
	s_mul_i32 s22, s28, s16
	s_ashr_i32 s23, s22, 31
	s_lshl_b64 s[22:23], s[22:23], 1
	v_lshlrev_b32_e32 v1, 1, v0
	s_add_u32 s3, s20, s22
	s_addc_u32 s15, s21, s23
	s_ashr_i32 s25, s24, 31
	s_lshl_b64 s[20:21], s[24:25], 1
	s_add_u32 s20, s3, s20
	s_addc_u32 s21, s15, s21
	global_load_ushort v1, v1, s[20:21]
	v_lshrrev_b32_e32 v3, 2, v0
	v_and_b32_e32 v3, 0xfe, v3
	v_lshl_add_u32 v3, v2, 3, v3
	s_waitcnt vmcnt(0)
	ds_write_b16 v3, v1
.LBB324_5:
	s_or_b64 exec, exec, s[6:7]
	s_add_i32 s3, s29, 7
	s_ashr_i32 s6, s3, 31
	s_lshr_b32 s6, s6, 29
	s_add_i32 s3, s3, s6
	s_ashr_i32 s40, s3, 3
	s_lshl_b32 s3, s4, 6
	s_mul_i32 s7, s12, s8
	s_add_i32 s6, s3, 64
	s_sub_i32 s7, s9, s7
	s_min_i32 s25, s6, s40
	s_xor_b32 s6, s13, s14
	s_add_i32 s9, s12, 1
	s_sub_i32 s13, s7, s8
	s_cmp_ge_u32 s7, s8
	s_cselect_b32 s9, s9, s12
	s_cselect_b32 s7, s13, s7
	s_add_i32 s12, s9, 1
	s_cmp_ge_u32 s7, s8
	s_load_dwordx2 s[30:31], s[0:1], 0x38
	s_load_dword s8, s[0:1], 0x48
	v_lshrrev_b32_e32 v16, 6, v0
	s_cselect_b32 s7, s12, s9
	s_xor_b32 s7, s7, s6
	v_or_b32_e32 v10, s3, v16
	s_waitcnt lgkmcnt(0)
	s_mul_i32 s34, s28, s8
	s_sub_i32 s41, s7, s6
	s_ashr_i32 s35, s34, 31
	v_cmp_gt_i32_e64 s[8:9], s25, v10
	v_cmp_le_i32_e32 vcc, s25, v10
	v_mbcnt_lo_u32_b32 v6, -1, 0
	s_barrier
	s_waitcnt lgkmcnt(0)
                                        ; implicit-def: $sgpr19
                                        ; implicit-def: $vgpr12
                                        ; implicit-def: $vgpr13
	s_and_saveexec_b64 s[6:7], vcc
	s_xor_b64 s[6:7], exec, s[6:7]
; %bb.6:
	v_mbcnt_hi_u32_b32 v12, -1, v6
	v_and_b32_e32 v1, 64, v12
	v_add_u32_e32 v13, 64, v1
	s_mov_b32 s19, 0xff7fffff
                                        ; implicit-def: $vgpr2
                                        ; implicit-def: $vgpr6
; %bb.7:
	s_or_saveexec_b64 s[38:39], s[6:7]
	s_load_dwordx4 s[20:23], s[0:1], 0x0
	s_load_dwordx2 s[26:27], s[0:1], 0x10
	s_load_dword s16, s[0:1], 0x98
	s_load_dwordx2 s[36:37], s[0:1], 0x28
	s_load_dwordx4 s[12:15], s[0:1], 0x68
	v_mov_b32_e32 v19, s19
	s_mul_i32 s41, s41, s18
	v_ashrrev_i32_e32 v11, 31, v10
	v_lshlrev_b32_e32 v17, 3, v16
	s_xor_b64 exec, exec, s[38:39]
	s_cbranch_execz .LBB324_29
; %bb.8:
	v_mbcnt_hi_u32_b32 v12, -1, v6
	v_and_b32_e32 v6, 64, v12
	v_add_u32_e32 v13, 64, v6
	v_xor_b32_e32 v6, 4, v12
	s_load_dwordx2 s[0:1], s[0:1], 0x20
	v_cmp_lt_i32_e32 vcc, v6, v13
	s_ashr_i32 s6, s41, 31
	v_lshlrev_b32_e32 v1, 3, v2
	v_cndmask_b32_e32 v6, v12, v6, vcc
	v_lshlrev_b32_e32 v20, 2, v6
	v_xor_b32_e32 v6, 2, v12
	v_cmp_lt_i32_e32 vcc, v6, v13
	v_bfe_u32 v7, v0, 3, 3
	s_waitcnt lgkmcnt(0)
	s_add_u32 s0, s0, s41
	v_cndmask_b32_e32 v6, v12, v6, vcc
	ds_read_b64 v[8:9], v1
	v_mov_b32_e32 v3, 0
	v_lshlrev_b32_e32 v21, 2, v6
	v_xor_b32_e32 v6, 1, v12
	s_addc_u32 s1, s1, s6
	v_lshlrev_b32_e32 v4, 4, v7
	v_mov_b32_e32 v5, v3
	v_cmp_lt_i32_e32 vcc, v6, v13
	s_load_dword s43, s[12:13], 0x0
	v_lshl_add_u64 v[4:5], s[0:1], 0, v[4:5]
	v_cndmask_b32_e32 v6, v12, v6, vcc
	s_sub_i32 s44, 1, s29
	s_lshl_b64 s[0:1], s[34:35], 2
	v_lshlrev_b32_e32 v22, 2, v6
	v_lshlrev_b32_e32 v6, 2, v7
	s_add_u32 s0, s30, s0
	v_lshl_or_b32 v6, v16, 5, v6
	s_addc_u32 s1, s31, s1
	s_mov_b32 s42, s17
	s_waitcnt lgkmcnt(0)
	v_lshlrev_b32_e32 v1, 16, v8
	v_and_b32_e32 v14, 0xffff0000, v8
	v_lshlrev_b32_e32 v15, 16, v9
	v_and_b32_e32 v18, 0xffff0000, v9
	v_cmp_eq_u32_e32 vcc, 0, v2
	v_cmp_neq_f32_e64 s[6:7], s10, 0
	v_add3_u32 v23, s33, v17, v7
	v_add_u32_e32 v24, 0x50, v6
	v_lshl_add_u64 v[6:7], v[10:11], 2, s[0:1]
	s_mov_b64 s[12:13], 0
	v_mov_b32_e32 v19, 0xff7fffff
	s_mov_b32 s45, 0x7f800000
	s_movk_i32 s46, 0x7fff
	v_mov_b32_e32 v25, v10
	s_branch .LBB324_10
.LBB324_9:                              ;   in Loop: Header=BB324_10 Depth=1
	s_or_b64 exec, exec, s[18:19]
	v_add_u32_e32 v25, 2, v25
	v_cmp_le_i32_e64 s[0:1], s25, v25
	v_add_u32_e32 v23, 16, v23
	v_add_u32_e32 v24, 64, v24
	s_or_b64 s[12:13], s[0:1], s[12:13]
	v_lshl_add_u64 v[6:7], v[6:7], 0, 8
	s_andn2_b64 exec, exec, s[12:13]
	s_cbranch_execz .LBB324_28
.LBB324_10:                             ; =>This Inner Loop Header: Depth=1
	global_load_dword v8, v[6:7], off
	s_waitcnt vmcnt(0) lgkmcnt(0)
	v_mad_i64_i32 v[8:9], s[0:1], v8, s42, v[4:5]
	v_lshl_add_u64 v[8:9], v[8:9], 0, v[2:3]
	global_load_ubyte v26, v[8:9], off
	s_waitcnt vmcnt(0)
	v_cvt_f32_fp8_sdwa v26, v26 src0_sel:BYTE_0
	s_nop 0
	v_mul_f32_e32 v27, s43, v26
	v_and_b32_e32 v26, 0x7f800000, v27
	v_cmp_ne_u32_e64 s[0:1], s45, v26
                                        ; implicit-def: $vgpr26
	s_and_saveexec_b64 s[18:19], s[0:1]
	s_xor_b64 s[0:1], exec, s[18:19]
; %bb.11:                               ;   in Loop: Header=BB324_10 Depth=1
	v_bfe_u32 v26, v27, 16, 1
	v_add3_u32 v26, v27, v26, s46
                                        ; implicit-def: $vgpr27
; %bb.12:                               ;   in Loop: Header=BB324_10 Depth=1
	s_andn2_saveexec_b64 s[18:19], s[0:1]
; %bb.13:                               ;   in Loop: Header=BB324_10 Depth=1
	v_or_b32_e32 v26, 0x10000, v27
	v_cmp_eq_u32_sdwa s[0:1], v27, v3 src0_sel:WORD_0 src1_sel:DWORD
	s_nop 1
	v_cndmask_b32_e64 v26, v26, v27, s[0:1]
; %bb.14:                               ;   in Loop: Header=BB324_10 Depth=1
	s_or_b64 exec, exec, s[18:19]
	global_load_ubyte v27, v[8:9], off offset:8
	s_waitcnt vmcnt(0)
	v_cvt_f32_fp8_sdwa v27, v27 src0_sel:BYTE_0
	s_nop 0
	v_mul_f32_e32 v28, s43, v27
	v_and_b32_e32 v27, 0x7f800000, v28
	v_cmp_ne_u32_e64 s[0:1], s45, v27
                                        ; implicit-def: $vgpr27
	s_and_saveexec_b64 s[18:19], s[0:1]
	s_xor_b64 s[0:1], exec, s[18:19]
; %bb.15:                               ;   in Loop: Header=BB324_10 Depth=1
	v_bfe_u32 v27, v28, 16, 1
	v_add3_u32 v27, v28, v27, s46
                                        ; implicit-def: $vgpr28
; %bb.16:                               ;   in Loop: Header=BB324_10 Depth=1
	s_andn2_saveexec_b64 s[18:19], s[0:1]
; %bb.17:                               ;   in Loop: Header=BB324_10 Depth=1
	v_or_b32_e32 v27, 0x10000, v28
	v_cmp_eq_u32_sdwa s[0:1], v28, v3 src0_sel:WORD_0 src1_sel:DWORD
	s_nop 1
	v_cndmask_b32_e64 v27, v27, v28, s[0:1]
; %bb.18:                               ;   in Loop: Header=BB324_10 Depth=1
	s_or_b64 exec, exec, s[18:19]
	global_load_ubyte v28, v[8:9], off offset:128
	s_waitcnt vmcnt(0)
	v_cvt_f32_fp8_sdwa v28, v28 src0_sel:BYTE_0
	s_nop 0
	v_mul_f32_e32 v29, s43, v28
	v_and_b32_e32 v28, 0x7f800000, v29
	v_cmp_ne_u32_e64 s[0:1], s45, v28
                                        ; implicit-def: $vgpr28
	s_and_saveexec_b64 s[18:19], s[0:1]
	s_xor_b64 s[0:1], exec, s[18:19]
; %bb.19:                               ;   in Loop: Header=BB324_10 Depth=1
	v_bfe_u32 v28, v29, 16, 1
	v_add3_u32 v28, v29, v28, s46
                                        ; implicit-def: $vgpr29
; %bb.20:                               ;   in Loop: Header=BB324_10 Depth=1
	s_andn2_saveexec_b64 s[18:19], s[0:1]
; %bb.21:                               ;   in Loop: Header=BB324_10 Depth=1
	v_or_b32_e32 v28, 0x10000, v29
	v_cmp_eq_u32_sdwa s[0:1], v29, v3 src0_sel:WORD_0 src1_sel:DWORD
	s_nop 1
	v_cndmask_b32_e64 v28, v28, v29, s[0:1]
; %bb.22:                               ;   in Loop: Header=BB324_10 Depth=1
	s_or_b64 exec, exec, s[18:19]
	global_load_ubyte v8, v[8:9], off offset:136
	s_waitcnt vmcnt(0)
	v_cvt_f32_fp8_sdwa v8, v8 src0_sel:BYTE_0
	s_nop 0
	v_mul_f32_e32 v9, s43, v8
	v_and_b32_e32 v8, 0x7f800000, v9
	v_cmp_ne_u32_e64 s[0:1], s45, v8
                                        ; implicit-def: $vgpr8
	s_and_saveexec_b64 s[18:19], s[0:1]
	s_xor_b64 s[0:1], exec, s[18:19]
; %bb.23:                               ;   in Loop: Header=BB324_10 Depth=1
	v_bfe_u32 v8, v9, 16, 1
	v_add3_u32 v8, v9, v8, s46
                                        ; implicit-def: $vgpr9
; %bb.24:                               ;   in Loop: Header=BB324_10 Depth=1
	s_andn2_saveexec_b64 s[18:19], s[0:1]
; %bb.25:                               ;   in Loop: Header=BB324_10 Depth=1
	v_or_b32_e32 v8, 0x10000, v9
	v_cmp_eq_u32_sdwa s[0:1], v9, v3 src0_sel:WORD_0 src1_sel:DWORD
	s_nop 1
	v_cndmask_b32_e64 v8, v8, v9, s[0:1]
; %bb.26:                               ;   in Loop: Header=BB324_10 Depth=1
	s_or_b64 exec, exec, s[18:19]
	v_and_b32_e32 v27, 0xffff0000, v27
	v_and_b32_e32 v26, 0xffff0000, v26
	v_mul_f32_e32 v27, v14, v27
	v_and_b32_e32 v9, 0xffff0000, v28
	v_fmac_f32_e32 v27, v1, v26
	v_and_b32_e32 v8, 0xffff0000, v8
	v_fmac_f32_e32 v27, v15, v9
	v_fmac_f32_e32 v27, v18, v8
	ds_bpermute_b32 v8, v20, v27
	s_waitcnt lgkmcnt(0)
	v_add_f32_e32 v8, v27, v8
	ds_bpermute_b32 v9, v21, v8
	s_waitcnt lgkmcnt(0)
	v_add_f32_e32 v8, v8, v9
	ds_bpermute_b32 v9, v22, v8
	s_and_saveexec_b64 s[18:19], vcc
	s_cbranch_execz .LBB324_9
; %bb.27:                               ;   in Loop: Header=BB324_10 Depth=1
	v_add_u32_e32 v26, s44, v23
	v_cvt_f32_i32_e32 v26, v26
	s_waitcnt lgkmcnt(0)
	v_add_f32_e32 v8, v8, v9
	v_cmp_gt_i32_e64 s[0:1], s29, v23
	v_max_f32_e32 v9, v19, v19
	v_mul_f32_e32 v26, s10, v26
	v_cndmask_b32_e64 v26, 0, v26, s[6:7]
	v_fmac_f32_e32 v26, s11, v8
	v_cndmask_b32_e64 v8, 0, v26, s[0:1]
	ds_write_b32 v24, v8
	v_max_f32_e32 v8, v9, v26
	v_cndmask_b32_e64 v19, v19, v8, s[0:1]
	s_branch .LBB324_9
.LBB324_28:
	s_or_b64 exec, exec, s[12:13]
.LBB324_29:
	s_or_b64 exec, exec, s[38:39]
	v_xor_b32_e32 v1, 32, v12
	v_cmp_lt_i32_e32 vcc, v1, v13
	v_xor_b32_e32 v4, 16, v12
	v_max_f32_e32 v2, v19, v19
	v_cndmask_b32_e32 v1, v12, v1, vcc
	v_lshlrev_b32_e32 v3, 2, v1
	ds_bpermute_b32 v1, v3, v19
	v_cmp_lt_i32_e32 vcc, v4, v13
	v_xor_b32_e32 v5, 8, v12
	s_waitcnt lgkmcnt(0)
	v_max_f32_e32 v1, v1, v1
	v_max_f32_e32 v1, v2, v1
	v_cndmask_b32_e32 v2, v12, v4, vcc
	v_lshlrev_b32_e32 v6, 2, v2
	ds_bpermute_b32 v2, v6, v1
	v_cmp_lt_i32_e32 vcc, v5, v13
	s_waitcnt lgkmcnt(0)
	v_max_f32_e32 v2, v2, v2
	v_max_f32_e32 v4, v1, v2
	v_cndmask_b32_e32 v1, v12, v5, vcc
	v_lshlrev_b32_e32 v7, 2, v1
	ds_bpermute_b32 v5, v7, v4
	v_and_b32_e32 v1, 63, v0
	v_cmp_eq_u32_e32 vcc, 0, v1
	v_lshlrev_b32_e32 v2, 2, v16
	s_and_saveexec_b64 s[0:1], vcc
	s_cbranch_execz .LBB324_31
; %bb.30:
	s_waitcnt lgkmcnt(0)
	v_max_f32_e32 v5, v5, v5
	v_max_f32_e32 v4, v4, v4
	;; [unrolled: 1-line block ×3, first 2 shown]
	ds_write_b32 v2, v4 offset:64
.LBB324_31:
	s_or_b64 exec, exec, s[0:1]
	v_cmp_gt_u32_e64 s[0:1], 2, v1
	v_mov_b32_e32 v4, 0xff7fffff
	s_waitcnt lgkmcnt(0)
	v_lshlrev_b32_e32 v5, 2, v1
	s_barrier
	s_and_saveexec_b64 s[6:7], s[0:1]
	s_cbranch_execz .LBB324_33
; %bb.32:
	ds_read_b32 v4, v5 offset:64
.LBB324_33:
	s_or_b64 exec, exec, s[6:7]
	v_xor_b32_e32 v8, 1, v12
	v_cmp_lt_i32_e64 s[6:7], v8, v13
	s_sub_i32 s3, s25, s3
	s_lshl_b32 s3, s3, 3
	v_cndmask_b32_e64 v8, v12, v8, s[6:7]
	v_lshlrev_b32_e32 v8, 2, v8
	s_waitcnt lgkmcnt(0)
	ds_bpermute_b32 v9, v8, v4
	v_max_f32_e32 v4, v4, v4
	s_add_i32 s3, s3, s33
	s_min_i32 s38, s3, s29
	s_sub_i32 s3, s38, s33
	s_waitcnt lgkmcnt(0)
	v_max_f32_e32 v9, v9, v9
	v_max_f32_e32 v4, v4, v9
	v_lshlrev_b32_e32 v9, 2, v12
	v_and_b32_e32 v9, 0xffffff00, v9
	ds_bpermute_b32 v4, v9, v4
	v_cmp_gt_i32_e64 s[6:7], s3, v0
	v_mov_b32_e32 v14, 0
	s_and_saveexec_b64 s[12:13], s[6:7]
	s_cbranch_execz .LBB324_37
; %bb.34:
	v_mov_b32_e32 v14, 0x50
	v_lshl_add_u32 v15, v0, 2, v14
	s_mov_b64 s[18:19], 0
	v_mov_b32_e32 v14, 0
	v_mov_b32_e32 v18, v0
.LBB324_35:                             ; =>This Inner Loop Header: Depth=1
	ds_read_b32 v19, v15
	v_add_u32_e32 v18, 0x80, v18
	v_cmp_le_i32_e64 s[10:11], s3, v18
	s_or_b64 s[18:19], s[10:11], s[18:19]
	s_waitcnt lgkmcnt(0)
	v_sub_f32_e32 v19, v19, v4
	v_mul_f32_e32 v19, 0x3fb8aa3b, v19
	v_exp_f32_e32 v19, v19
	ds_write_b32 v15, v19
	v_add_f32_e32 v14, v14, v19
	v_add_u32_e32 v15, 0x200, v15
	s_andn2_b64 exec, exec, s[18:19]
	s_cbranch_execnz .LBB324_35
; %bb.36:
	s_or_b64 exec, exec, s[18:19]
.LBB324_37:
	s_or_b64 exec, exec, s[12:13]
	ds_bpermute_b32 v3, v3, v14
	s_waitcnt lgkmcnt(0)
	v_add_f32_e32 v3, v14, v3
	ds_bpermute_b32 v6, v6, v3
	s_waitcnt lgkmcnt(0)
	v_add_f32_e32 v3, v3, v6
	ds_bpermute_b32 v6, v7, v3
	v_xor_b32_e32 v7, 4, v12
	v_cmp_lt_i32_e64 s[10:11], v7, v13
	s_waitcnt lgkmcnt(0)
	v_add_f32_e32 v3, v3, v6
	v_cndmask_b32_e64 v7, v12, v7, s[10:11]
	v_lshlrev_b32_e32 v7, 2, v7
	ds_bpermute_b32 v6, v7, v3
	v_xor_b32_e32 v7, 2, v12
	v_cmp_lt_i32_e64 s[10:11], v7, v13
	s_waitcnt lgkmcnt(0)
	v_add_f32_e32 v3, v3, v6
	v_cndmask_b32_e64 v7, v12, v7, s[10:11]
	v_lshlrev_b32_e32 v6, 2, v7
	ds_bpermute_b32 v6, v6, v3
	s_waitcnt lgkmcnt(0)
	v_add_f32_e32 v3, v3, v6
	ds_bpermute_b32 v6, v8, v3
	s_waitcnt lgkmcnt(0)
	v_add_f32_e32 v3, v3, v6
	s_and_saveexec_b64 s[10:11], vcc
	s_cbranch_execz .LBB324_39
; %bb.38:
	ds_write_b32 v2, v3 offset:72
.LBB324_39:
	s_or_b64 exec, exec, s[10:11]
	s_waitcnt lgkmcnt(0)
	s_barrier
	s_and_saveexec_b64 s[10:11], s[0:1]
	s_cbranch_execz .LBB324_41
; %bb.40:
	ds_read_b32 v3, v5 offset:72
.LBB324_41:
	s_or_b64 exec, exec, s[10:11]
	s_waitcnt lgkmcnt(0)
	ds_bpermute_b32 v2, v8, v3
	s_waitcnt lgkmcnt(0)
	v_add_f32_e32 v2, v3, v2
	ds_bpermute_b32 v5, v9, v2
	s_and_saveexec_b64 s[0:1], s[6:7]
	s_cbranch_execz .LBB324_54
; %bb.42:
	s_waitcnt lgkmcnt(0)
	v_add_f32_e32 v2, 0x358637bd, v5
	v_div_scale_f32 v3, s[6:7], v2, v2, 1.0
	v_rcp_f32_e32 v6, v3
	v_div_scale_f32 v7, vcc, 1.0, v2, 1.0
	s_movk_i32 s6, 0x7f
	v_fma_f32 v8, -v3, v6, 1.0
	v_fmac_f32_e32 v6, v8, v6
	v_mul_f32_e32 v8, v7, v6
	v_fma_f32 v9, -v3, v8, v7
	v_fmac_f32_e32 v8, v9, v6
	v_fma_f32 v3, -v3, v8, v7
	v_div_fmas_f32 v3, v3, v6, v8
	v_div_fixup_f32 v2, v3, v2, 1.0
	v_xad_u32 v3, v0, -1, s38
	v_subrev_u32_e32 v6, s33, v3
	v_cmp_lt_u32_e32 vcc, s6, v6
	s_mov_b64 s[10:11], -1
	v_mov_b32_e32 v3, v0
	s_and_saveexec_b64 s[6:7], vcc
	s_cbranch_execz .LBB324_51
; %bb.43:
	v_lshrrev_b32_e32 v6, 7, v6
	v_add_u32_e32 v8, -1, v6
	v_lshrrev_b32_e32 v7, 1, v8
	v_mov_b32_e32 v3, v2
	v_add_u32_e32 v7, 1, v7
	v_cmp_lt_u32_e32 vcc, 13, v8
	v_mov_b32_e32 v12, 0
	s_and_saveexec_b64 s[10:11], vcc
	s_cbranch_execz .LBB324_47
; %bb.44:
	v_mov_b32_e32 v9, 0x50
	v_and_b32_e32 v8, -8, v7
	v_lshl_add_u32 v9, v0, 2, v9
	s_mov_b32 s18, 0
	s_mov_b64 s[12:13], 0
.LBB324_45:                             ; =>This Inner Loop Header: Depth=1
	ds_read2st64_b32 v[12:13], v9 offset1:2
	ds_read2st64_b32 v[14:15], v9 offset0:4 offset1:6
	ds_read2st64_b32 v[18:19], v9 offset0:8 offset1:10
	;; [unrolled: 1-line block ×3, first 2 shown]
	v_add_u32_e32 v8, -8, v8
	s_waitcnt lgkmcnt(3)
	v_pk_mul_f32 v[12:13], v[2:3], v[12:13]
	s_waitcnt lgkmcnt(2)
	v_pk_mul_f32 v[14:15], v[2:3], v[14:15]
	ds_write2st64_b32 v9, v12, v13 offset1:2
	ds_write2st64_b32 v9, v14, v15 offset0:4 offset1:6
	ds_read2st64_b32 v[14:15], v9 offset0:16 offset1:18
	s_waitcnt lgkmcnt(4)
	v_pk_mul_f32 v[12:13], v[2:3], v[18:19]
	ds_write2st64_b32 v9, v12, v13 offset0:8 offset1:10
	s_waitcnt lgkmcnt(4)
	v_pk_mul_f32 v[12:13], v[2:3], v[20:21]
	ds_write2st64_b32 v9, v12, v13 offset0:12 offset1:14
	ds_read2st64_b32 v[12:13], v9 offset0:20 offset1:22
	s_waitcnt lgkmcnt(3)
	v_pk_mul_f32 v[14:15], v[2:3], v[14:15]
	ds_read2st64_b32 v[18:19], v9 offset0:24 offset1:26
	ds_write2st64_b32 v9, v14, v15 offset0:16 offset1:18
	ds_read2st64_b32 v[14:15], v9 offset0:28 offset1:30
	s_waitcnt lgkmcnt(3)
	v_pk_mul_f32 v[12:13], v[2:3], v[12:13]
	ds_write2st64_b32 v9, v12, v13 offset0:20 offset1:22
	s_waitcnt lgkmcnt(3)
	v_pk_mul_f32 v[12:13], v[2:3], v[18:19]
	ds_write2st64_b32 v9, v12, v13 offset0:24 offset1:26
	s_waitcnt lgkmcnt(2)
	v_pk_mul_f32 v[12:13], v[2:3], v[14:15]
	s_add_i32 s18, s18, 16
	v_cmp_eq_u32_e32 vcc, 0, v8
	ds_write2st64_b32 v9, v12, v13 offset0:28 offset1:30
	v_add_u32_e32 v9, 0x2000, v9
	s_or_b64 s[12:13], vcc, s[12:13]
	v_mov_b32_e32 v12, s18
	s_andn2_b64 exec, exec, s[12:13]
	s_cbranch_execnz .LBB324_45
; %bb.46:
	s_or_b64 exec, exec, s[12:13]
.LBB324_47:
	s_or_b64 exec, exec, s[10:11]
	v_and_b32_e32 v7, 7, v7
	v_cmp_ne_u32_e32 vcc, 0, v7
	s_and_saveexec_b64 s[10:11], vcc
	s_cbranch_execz .LBB324_50
; %bb.48:
	v_lshlrev_b32_e32 v8, 9, v12
	v_lshlrev_b32_e32 v9, 2, v0
	s_movk_i32 s12, 0x50
	v_add3_u32 v8, v8, v9, s12
	s_mov_b64 s[12:13], 0
.LBB324_49:                             ; =>This Inner Loop Header: Depth=1
	ds_read2st64_b32 v[12:13], v8 offset1:2
	v_add_u32_e32 v7, -1, v7
	v_cmp_eq_u32_e32 vcc, 0, v7
	s_or_b64 s[12:13], vcc, s[12:13]
	s_waitcnt lgkmcnt(0)
	v_pk_mul_f32 v[12:13], v[2:3], v[12:13]
	ds_write2st64_b32 v8, v12, v13 offset1:2
	v_add_u32_e32 v8, 0x400, v8
	s_andn2_b64 exec, exec, s[12:13]
	s_cbranch_execnz .LBB324_49
.LBB324_50:
	s_or_b64 exec, exec, s[10:11]
	v_add_u32_e32 v6, 1, v6
	v_and_b32_e32 v7, 0x3fffffe, v6
	v_cmp_ne_u32_e32 vcc, v6, v7
	v_lshl_add_u32 v3, v7, 7, v0
	s_orn2_b64 s[10:11], vcc, exec
.LBB324_51:
	s_or_b64 exec, exec, s[6:7]
	s_and_b64 exec, exec, s[10:11]
	s_cbranch_execz .LBB324_54
; %bb.52:
	v_mov_b32_e32 v6, 0x50
	v_lshl_add_u32 v6, v3, 2, v6
	s_mov_b64 s[6:7], 0
.LBB324_53:                             ; =>This Inner Loop Header: Depth=1
	ds_read_b32 v7, v6
	v_add_u32_e32 v3, 0x80, v3
	v_cmp_le_i32_e32 vcc, s3, v3
	s_or_b64 s[6:7], vcc, s[6:7]
	s_waitcnt lgkmcnt(0)
	v_mul_f32_e32 v7, v2, v7
	ds_write_b32 v6, v7
	v_add_u32_e32 v6, 0x200, v6
	s_andn2_b64 exec, exec, s[6:7]
	s_cbranch_execnz .LBB324_53
.LBB324_54:
	s_or_b64 exec, exec, s[0:1]
	s_mul_i32 s0, s16, s28
	v_cmp_eq_u32_e32 vcc, 0, v0
	s_mul_i32 s6, s0, s5
	s_waitcnt lgkmcnt(0)
	s_barrier
	s_and_saveexec_b64 s[0:1], vcc
	s_cbranch_execz .LBB324_56
; %bb.55:
	s_ashr_i32 s7, s6, 31
	s_lshl_b64 s[10:11], s[6:7], 2
	s_add_u32 s5, s22, s10
	s_mul_i32 s2, s16, s2
	s_addc_u32 s7, s23, s11
	s_ashr_i32 s3, s2, 31
	s_lshl_b64 s[2:3], s[2:3], 2
	s_add_u32 s18, s5, s2
	s_addc_u32 s7, s7, s3
	s_ashr_i32 s5, s4, 31
	s_lshl_b64 s[12:13], s[4:5], 2
	s_add_u32 s18, s18, s12
	s_addc_u32 s19, s7, s13
	s_add_u32 s5, s20, s10
	s_addc_u32 s7, s21, s11
	;; [unrolled: 2-line block ×3, first 2 shown]
	s_add_u32 s2, s2, s12
	v_mov_b32_e32 v2, 0
	s_addc_u32 s3, s3, s13
	global_store_dword v2, v4, s[18:19]
	global_store_dword v2, v5, s[2:3]
.LBB324_56:
	s_or_b64 exec, exec, s[0:1]
	v_mov_b32_e32 v12, 0
	s_and_saveexec_b64 s[2:3], s[8:9]
	s_cbranch_execz .LBB324_160
; %bb.57:
	s_ashr_i32 s1, s41, 31
	s_add_u32 s0, s36, s41
	s_addc_u32 s1, s37, s1
	v_lshlrev_b32_e32 v12, 3, v1
	v_mov_b32_e32 v13, 0
	v_lshl_add_u64 v[14:15], s[0:1], 0, v[12:13]
	s_add_i32 s7, s40, -1
	s_lshl_b64 s[0:1], s[34:35], 2
	s_add_u32 s0, s30, s0
	v_mov_b32_e32 v2, 0x50
	s_addc_u32 s1, s31, s1
	v_cmp_gt_u32_e32 vcc, 32, v1
	s_mov_b32 s5, s17
	v_add3_u32 v18, s33, v17, 7
	v_lshl_add_u32 v19, v16, 5, v2
	v_lshl_add_u64 v[16:17], v[10:11], 2, s[0:1]
	s_mov_b64 s[8:9], 0
	s_mov_b32 s17, 0x7f800000
	s_movk_i32 s18, 0x7fff
	v_mov_b32_e32 v12, 0
	s_branch .LBB324_60
.LBB324_58:                             ;   in Loop: Header=BB324_60 Depth=1
	s_or_b64 exec, exec, s[12:13]
	v_and_b32_e32 v7, 0xffff0000, v6
	v_and_b32_e32 v6, 0xffff0000, v8
	;; [unrolled: 1-line block ×8, first 2 shown]
	v_pk_add_f32 v[2:3], v[4:5], v[8:9]
	v_pk_add_f32 v[4:5], v[22:23], v[6:7]
	v_add_f32_e32 v2, v2, v3
	v_add_f32_e32 v2, v2, v4
	;; [unrolled: 1-line block ×4, first 2 shown]
.LBB324_59:                             ;   in Loop: Header=BB324_60 Depth=1
	s_or_b64 exec, exec, s[10:11]
	v_add_u32_e32 v10, 2, v10
	v_cmp_le_i32_e64 s[0:1], s25, v10
	v_add_u32_e32 v18, 16, v18
	v_add_u32_e32 v19, 64, v19
	s_or_b64 s[8:9], s[0:1], s[8:9]
	v_lshl_add_u64 v[16:17], v[16:17], 0, 8
	s_andn2_b64 exec, exec, s[8:9]
	s_cbranch_execz .LBB324_159
.LBB324_60:                             ; =>This Inner Loop Header: Depth=1
	global_load_dword v23, v[16:17], off
	ds_read2_b64 v[6:9], v19 offset1:1
	ds_read2_b64 v[2:5], v19 offset0:2 offset1:3
                                        ; implicit-def: $vgpr22
	s_waitcnt lgkmcnt(1)
	v_and_b32_e32 v11, 0x7f800000, v6
	v_cmp_ne_u32_e64 s[0:1], s17, v11
	s_and_saveexec_b64 s[10:11], s[0:1]
	s_xor_b64 s[0:1], exec, s[10:11]
; %bb.61:                               ;   in Loop: Header=BB324_60 Depth=1
	v_bfe_u32 v11, v6, 16, 1
	v_add3_u32 v22, v6, v11, s18
; %bb.62:                               ;   in Loop: Header=BB324_60 Depth=1
	s_andn2_saveexec_b64 s[10:11], s[0:1]
; %bb.63:                               ;   in Loop: Header=BB324_60 Depth=1
	v_or_b32_e32 v11, 0x10000, v6
	v_cmp_eq_u32_sdwa s[0:1], v6, v13 src0_sel:WORD_0 src1_sel:DWORD
	s_nop 1
	v_cndmask_b32_e64 v22, v11, v6, s[0:1]
; %bb.64:                               ;   in Loop: Header=BB324_60 Depth=1
	s_or_b64 exec, exec, s[10:11]
	v_and_b32_e32 v6, 0x7f800000, v7
	v_cmp_ne_u32_e64 s[0:1], s17, v6
                                        ; implicit-def: $vgpr21
	s_and_saveexec_b64 s[10:11], s[0:1]
	s_xor_b64 s[0:1], exec, s[10:11]
; %bb.65:                               ;   in Loop: Header=BB324_60 Depth=1
	v_bfe_u32 v6, v7, 16, 1
	v_add3_u32 v21, v7, v6, s18
; %bb.66:                               ;   in Loop: Header=BB324_60 Depth=1
	s_andn2_saveexec_b64 s[10:11], s[0:1]
; %bb.67:                               ;   in Loop: Header=BB324_60 Depth=1
	v_or_b32_e32 v6, 0x10000, v7
	v_cmp_eq_u32_sdwa s[0:1], v7, v13 src0_sel:WORD_0 src1_sel:DWORD
	s_nop 1
	v_cndmask_b32_e64 v21, v6, v7, s[0:1]
; %bb.68:                               ;   in Loop: Header=BB324_60 Depth=1
	s_or_b64 exec, exec, s[10:11]
	v_and_b32_e32 v6, 0x7f800000, v8
	v_cmp_ne_u32_e64 s[0:1], s17, v6
                                        ; implicit-def: $vgpr20
	s_and_saveexec_b64 s[10:11], s[0:1]
	s_xor_b64 s[0:1], exec, s[10:11]
; %bb.69:                               ;   in Loop: Header=BB324_60 Depth=1
	v_bfe_u32 v6, v8, 16, 1
	v_add3_u32 v20, v8, v6, s18
; %bb.70:                               ;   in Loop: Header=BB324_60 Depth=1
	s_andn2_saveexec_b64 s[10:11], s[0:1]
; %bb.71:                               ;   in Loop: Header=BB324_60 Depth=1
	v_or_b32_e32 v6, 0x10000, v8
	v_cmp_eq_u32_sdwa s[0:1], v8, v13 src0_sel:WORD_0 src1_sel:DWORD
	s_nop 1
	v_cndmask_b32_e64 v20, v6, v8, s[0:1]
; %bb.72:                               ;   in Loop: Header=BB324_60 Depth=1
	s_or_b64 exec, exec, s[10:11]
	v_and_b32_e32 v6, 0x7f800000, v9
	v_cmp_ne_u32_e64 s[0:1], s17, v6
                                        ; implicit-def: $vgpr11
	s_and_saveexec_b64 s[10:11], s[0:1]
	s_xor_b64 s[0:1], exec, s[10:11]
; %bb.73:                               ;   in Loop: Header=BB324_60 Depth=1
	v_bfe_u32 v6, v9, 16, 1
	v_add3_u32 v11, v9, v6, s18
                                        ; implicit-def: $vgpr6_vgpr7_vgpr8_vgpr9
; %bb.74:                               ;   in Loop: Header=BB324_60 Depth=1
	s_andn2_saveexec_b64 s[10:11], s[0:1]
; %bb.75:                               ;   in Loop: Header=BB324_60 Depth=1
	v_or_b32_e32 v6, 0x10000, v9
	v_cmp_eq_u32_sdwa s[0:1], v9, v13 src0_sel:WORD_0 src1_sel:DWORD
	s_nop 1
	v_cndmask_b32_e64 v11, v6, v9, s[0:1]
; %bb.76:                               ;   in Loop: Header=BB324_60 Depth=1
	s_or_b64 exec, exec, s[10:11]
	s_waitcnt lgkmcnt(0)
	v_and_b32_e32 v6, 0x7f800000, v2
	v_cmp_ne_u32_e64 s[0:1], s17, v6
                                        ; implicit-def: $vgpr9
	s_and_saveexec_b64 s[10:11], s[0:1]
	s_xor_b64 s[0:1], exec, s[10:11]
; %bb.77:                               ;   in Loop: Header=BB324_60 Depth=1
	v_bfe_u32 v6, v2, 16, 1
	v_add3_u32 v9, v2, v6, s18
; %bb.78:                               ;   in Loop: Header=BB324_60 Depth=1
	s_andn2_saveexec_b64 s[10:11], s[0:1]
; %bb.79:                               ;   in Loop: Header=BB324_60 Depth=1
	v_or_b32_e32 v6, 0x10000, v2
	v_cmp_eq_u32_sdwa s[0:1], v2, v13 src0_sel:WORD_0 src1_sel:DWORD
	s_nop 1
	v_cndmask_b32_e64 v9, v6, v2, s[0:1]
; %bb.80:                               ;   in Loop: Header=BB324_60 Depth=1
	s_or_b64 exec, exec, s[10:11]
	v_and_b32_e32 v2, 0x7f800000, v3
	v_cmp_ne_u32_e64 s[0:1], s17, v2
                                        ; implicit-def: $vgpr8
	s_and_saveexec_b64 s[10:11], s[0:1]
	s_xor_b64 s[0:1], exec, s[10:11]
; %bb.81:                               ;   in Loop: Header=BB324_60 Depth=1
	v_bfe_u32 v2, v3, 16, 1
	v_add3_u32 v8, v3, v2, s18
; %bb.82:                               ;   in Loop: Header=BB324_60 Depth=1
	s_andn2_saveexec_b64 s[10:11], s[0:1]
; %bb.83:                               ;   in Loop: Header=BB324_60 Depth=1
	v_or_b32_e32 v2, 0x10000, v3
	v_cmp_eq_u32_sdwa s[0:1], v3, v13 src0_sel:WORD_0 src1_sel:DWORD
	s_nop 1
	v_cndmask_b32_e64 v8, v2, v3, s[0:1]
; %bb.84:                               ;   in Loop: Header=BB324_60 Depth=1
	s_or_b64 exec, exec, s[10:11]
	v_and_b32_e32 v2, 0x7f800000, v4
	v_cmp_ne_u32_e64 s[0:1], s17, v2
                                        ; implicit-def: $vgpr7
	s_and_saveexec_b64 s[10:11], s[0:1]
	s_xor_b64 s[0:1], exec, s[10:11]
; %bb.85:                               ;   in Loop: Header=BB324_60 Depth=1
	v_bfe_u32 v2, v4, 16, 1
	v_add3_u32 v7, v4, v2, s18
; %bb.86:                               ;   in Loop: Header=BB324_60 Depth=1
	s_andn2_saveexec_b64 s[10:11], s[0:1]
; %bb.87:                               ;   in Loop: Header=BB324_60 Depth=1
	v_or_b32_e32 v2, 0x10000, v4
	v_cmp_eq_u32_sdwa s[0:1], v4, v13 src0_sel:WORD_0 src1_sel:DWORD
	s_nop 1
	v_cndmask_b32_e64 v7, v2, v4, s[0:1]
; %bb.88:                               ;   in Loop: Header=BB324_60 Depth=1
	s_or_b64 exec, exec, s[10:11]
	v_and_b32_e32 v2, 0x7f800000, v5
	v_cmp_ne_u32_e64 s[0:1], s17, v2
                                        ; implicit-def: $vgpr6
	s_and_saveexec_b64 s[10:11], s[0:1]
	s_xor_b64 s[0:1], exec, s[10:11]
	s_cbranch_execnz .LBB324_91
; %bb.89:                               ;   in Loop: Header=BB324_60 Depth=1
	s_andn2_saveexec_b64 s[10:11], s[0:1]
	s_cbranch_execnz .LBB324_92
.LBB324_90:                             ;   in Loop: Header=BB324_60 Depth=1
	s_or_b64 exec, exec, s[10:11]
	s_and_saveexec_b64 s[10:11], vcc
	s_cbranch_execz .LBB324_59
	s_branch .LBB324_93
.LBB324_91:                             ;   in Loop: Header=BB324_60 Depth=1
	v_bfe_u32 v2, v5, 16, 1
	v_add3_u32 v6, v5, v2, s18
                                        ; implicit-def: $vgpr2_vgpr3_vgpr4_vgpr5
	s_andn2_saveexec_b64 s[10:11], s[0:1]
	s_cbranch_execz .LBB324_90
.LBB324_92:                             ;   in Loop: Header=BB324_60 Depth=1
	v_or_b32_e32 v2, 0x10000, v5
	v_cmp_eq_u32_sdwa s[0:1], v5, v13 src0_sel:WORD_0 src1_sel:DWORD
	s_nop 1
	v_cndmask_b32_e64 v6, v2, v5, s[0:1]
	s_or_b64 exec, exec, s[10:11]
	s_and_saveexec_b64 s[10:11], vcc
	s_cbranch_execz .LBB324_59
.LBB324_93:                             ;   in Loop: Header=BB324_60 Depth=1
	s_waitcnt vmcnt(0)
	v_mad_i64_i32 v[2:3], s[0:1], v23, s5, v[14:15]
	global_load_dwordx2 v[2:3], v[2:3], off
	s_load_dword s19, s[14:15], 0x0
	s_waitcnt vmcnt(0)
	v_and_b32_e32 v4, 0xff, v2
	v_cvt_f32_fp8_sdwa v4, v4 src0_sel:BYTE_0
	s_waitcnt lgkmcnt(0)
	v_mul_f32_e32 v5, s19, v4
	v_and_b32_e32 v4, 0x7f800000, v5
	v_cmp_ne_u32_e64 s[0:1], s17, v4
                                        ; implicit-def: $vgpr4
	s_and_saveexec_b64 s[12:13], s[0:1]
	s_xor_b64 s[0:1], exec, s[12:13]
; %bb.94:                               ;   in Loop: Header=BB324_60 Depth=1
	v_bfe_u32 v4, v5, 16, 1
	v_add3_u32 v4, v5, v4, s18
                                        ; implicit-def: $vgpr5
; %bb.95:                               ;   in Loop: Header=BB324_60 Depth=1
	s_andn2_saveexec_b64 s[12:13], s[0:1]
; %bb.96:                               ;   in Loop: Header=BB324_60 Depth=1
	v_or_b32_e32 v4, 0x10000, v5
	v_cmp_eq_u32_sdwa s[0:1], v5, v13 src0_sel:WORD_0 src1_sel:DWORD
	s_nop 1
	v_cndmask_b32_e64 v4, v4, v5, s[0:1]
; %bb.97:                               ;   in Loop: Header=BB324_60 Depth=1
	s_or_b64 exec, exec, s[12:13]
	v_bfe_u32 v5, v2, 8, 8
	v_cvt_f32_fp8_sdwa v5, v5 src0_sel:BYTE_0
	s_nop 0
	v_mul_f32_e32 v23, s19, v5
	v_and_b32_e32 v5, 0x7f800000, v23
	v_cmp_ne_u32_e64 s[0:1], s17, v5
                                        ; implicit-def: $vgpr5
	s_and_saveexec_b64 s[12:13], s[0:1]
	s_xor_b64 s[0:1], exec, s[12:13]
; %bb.98:                               ;   in Loop: Header=BB324_60 Depth=1
	v_bfe_u32 v5, v23, 16, 1
	v_add3_u32 v5, v23, v5, s18
                                        ; implicit-def: $vgpr23
; %bb.99:                               ;   in Loop: Header=BB324_60 Depth=1
	s_andn2_saveexec_b64 s[12:13], s[0:1]
; %bb.100:                              ;   in Loop: Header=BB324_60 Depth=1
	v_or_b32_e32 v5, 0x10000, v23
	v_cmp_eq_u32_sdwa s[0:1], v23, v13 src0_sel:WORD_0 src1_sel:DWORD
	s_nop 1
	v_cndmask_b32_e64 v5, v5, v23, s[0:1]
; %bb.101:                              ;   in Loop: Header=BB324_60 Depth=1
	s_or_b64 exec, exec, s[12:13]
	v_bfe_u32 v23, v2, 16, 8
	v_cvt_f32_fp8_sdwa v23, v23 src0_sel:BYTE_0
                                        ; implicit-def: $vgpr25
	s_nop 0
	v_mul_f32_e32 v23, s19, v23
	v_and_b32_e32 v24, 0x7f800000, v23
	v_cmp_ne_u32_e64 s[0:1], s17, v24
	s_and_saveexec_b64 s[12:13], s[0:1]
	s_xor_b64 s[0:1], exec, s[12:13]
; %bb.102:                              ;   in Loop: Header=BB324_60 Depth=1
	v_bfe_u32 v24, v23, 16, 1
	v_add3_u32 v25, v23, v24, s18
                                        ; implicit-def: $vgpr23
; %bb.103:                              ;   in Loop: Header=BB324_60 Depth=1
	s_andn2_saveexec_b64 s[12:13], s[0:1]
; %bb.104:                              ;   in Loop: Header=BB324_60 Depth=1
	v_or_b32_e32 v24, 0x10000, v23
	v_cmp_eq_u32_sdwa s[0:1], v23, v13 src0_sel:WORD_0 src1_sel:DWORD
	s_nop 1
	v_cndmask_b32_e64 v25, v24, v23, s[0:1]
; %bb.105:                              ;   in Loop: Header=BB324_60 Depth=1
	s_or_b64 exec, exec, s[12:13]
	v_lshrrev_b32_e32 v2, 24, v2
	v_cvt_f32_fp8_sdwa v2, v2 src0_sel:BYTE_0
	s_nop 0
	v_mul_f32_e32 v23, s19, v2
	v_and_b32_e32 v2, 0x7f800000, v23
	v_cmp_ne_u32_e64 s[0:1], s17, v2
                                        ; implicit-def: $vgpr2
	s_and_saveexec_b64 s[12:13], s[0:1]
	s_xor_b64 s[0:1], exec, s[12:13]
; %bb.106:                              ;   in Loop: Header=BB324_60 Depth=1
	v_bfe_u32 v2, v23, 16, 1
	v_add3_u32 v2, v23, v2, s18
                                        ; implicit-def: $vgpr23
; %bb.107:                              ;   in Loop: Header=BB324_60 Depth=1
	s_andn2_saveexec_b64 s[12:13], s[0:1]
; %bb.108:                              ;   in Loop: Header=BB324_60 Depth=1
	v_or_b32_e32 v2, 0x10000, v23
	v_cmp_eq_u32_sdwa s[0:1], v23, v13 src0_sel:WORD_0 src1_sel:DWORD
	s_nop 1
	v_cndmask_b32_e64 v2, v2, v23, s[0:1]
; %bb.109:                              ;   in Loop: Header=BB324_60 Depth=1
	s_or_b64 exec, exec, s[12:13]
	v_and_b32_e32 v23, 0xff, v3
	v_cvt_f32_fp8_sdwa v23, v23 src0_sel:BYTE_0
	s_nop 0
	v_mul_f32_e32 v23, s19, v23
	v_and_b32_e32 v24, 0x7f800000, v23
	v_cmp_ne_u32_e64 s[0:1], s17, v24
                                        ; implicit-def: $vgpr24
	s_and_saveexec_b64 s[12:13], s[0:1]
	s_xor_b64 s[0:1], exec, s[12:13]
; %bb.110:                              ;   in Loop: Header=BB324_60 Depth=1
	v_bfe_u32 v24, v23, 16, 1
	v_add3_u32 v24, v23, v24, s18
                                        ; implicit-def: $vgpr23
; %bb.111:                              ;   in Loop: Header=BB324_60 Depth=1
	s_andn2_saveexec_b64 s[12:13], s[0:1]
; %bb.112:                              ;   in Loop: Header=BB324_60 Depth=1
	v_or_b32_e32 v24, 0x10000, v23
	v_cmp_eq_u32_sdwa s[0:1], v23, v13 src0_sel:WORD_0 src1_sel:DWORD
	s_nop 1
	v_cndmask_b32_e64 v24, v24, v23, s[0:1]
; %bb.113:                              ;   in Loop: Header=BB324_60 Depth=1
	s_or_b64 exec, exec, s[12:13]
	v_bfe_u32 v23, v3, 8, 8
	v_cvt_f32_fp8_sdwa v23, v23 src0_sel:BYTE_0
	s_nop 0
	v_mul_f32_e32 v26, s19, v23
	v_and_b32_e32 v23, 0x7f800000, v26
	v_cmp_ne_u32_e64 s[0:1], s17, v23
                                        ; implicit-def: $vgpr23
	s_and_saveexec_b64 s[12:13], s[0:1]
	s_xor_b64 s[0:1], exec, s[12:13]
; %bb.114:                              ;   in Loop: Header=BB324_60 Depth=1
	v_bfe_u32 v23, v26, 16, 1
	v_add3_u32 v23, v26, v23, s18
                                        ; implicit-def: $vgpr26
; %bb.115:                              ;   in Loop: Header=BB324_60 Depth=1
	s_andn2_saveexec_b64 s[12:13], s[0:1]
; %bb.116:                              ;   in Loop: Header=BB324_60 Depth=1
	v_or_b32_e32 v23, 0x10000, v26
	v_cmp_eq_u32_sdwa s[0:1], v26, v13 src0_sel:WORD_0 src1_sel:DWORD
	s_nop 1
	v_cndmask_b32_e64 v23, v23, v26, s[0:1]
; %bb.117:                              ;   in Loop: Header=BB324_60 Depth=1
	s_or_b64 exec, exec, s[12:13]
	v_bfe_u32 v26, v3, 16, 8
	v_cvt_f32_fp8_sdwa v26, v26 src0_sel:BYTE_0
	s_nop 0
	v_mul_f32_e32 v26, s19, v26
	v_and_b32_e32 v27, 0x7f800000, v26
	v_cmp_ne_u32_e64 s[0:1], s17, v27
                                        ; implicit-def: $vgpr27
	s_and_saveexec_b64 s[12:13], s[0:1]
	s_xor_b64 s[0:1], exec, s[12:13]
; %bb.118:                              ;   in Loop: Header=BB324_60 Depth=1
	v_bfe_u32 v27, v26, 16, 1
	v_add3_u32 v27, v26, v27, s18
                                        ; implicit-def: $vgpr26
; %bb.119:                              ;   in Loop: Header=BB324_60 Depth=1
	s_andn2_saveexec_b64 s[12:13], s[0:1]
; %bb.120:                              ;   in Loop: Header=BB324_60 Depth=1
	v_or_b32_e32 v27, 0x10000, v26
	v_cmp_eq_u32_sdwa s[0:1], v26, v13 src0_sel:WORD_0 src1_sel:DWORD
	s_nop 1
	v_cndmask_b32_e64 v27, v27, v26, s[0:1]
; %bb.121:                              ;   in Loop: Header=BB324_60 Depth=1
	s_or_b64 exec, exec, s[12:13]
	v_lshrrev_b32_e32 v3, 24, v3
	v_cvt_f32_fp8_sdwa v3, v3 src0_sel:BYTE_0
                                        ; implicit-def: $vgpr28
	s_nop 0
	v_mul_f32_e32 v3, s19, v3
	v_and_b32_e32 v26, 0x7f800000, v3
	v_cmp_ne_u32_e64 s[0:1], s17, v26
	s_and_saveexec_b64 s[12:13], s[0:1]
	s_xor_b64 s[0:1], exec, s[12:13]
; %bb.122:                              ;   in Loop: Header=BB324_60 Depth=1
	v_bfe_u32 v26, v3, 16, 1
	v_add3_u32 v28, v3, v26, s18
                                        ; implicit-def: $vgpr3
; %bb.123:                              ;   in Loop: Header=BB324_60 Depth=1
	s_andn2_saveexec_b64 s[12:13], s[0:1]
; %bb.124:                              ;   in Loop: Header=BB324_60 Depth=1
	v_or_b32_e32 v26, 0x10000, v3
	v_cmp_eq_u32_sdwa s[0:1], v3, v13 src0_sel:WORD_0 src1_sel:DWORD
	s_nop 1
	v_cndmask_b32_e64 v28, v26, v3, s[0:1]
; %bb.125:                              ;   in Loop: Header=BB324_60 Depth=1
	s_or_b64 exec, exec, s[12:13]
	v_lshrrev_b32_e32 v23, 16, v23
	v_lshrrev_b32_e32 v24, 16, v24
	;; [unrolled: 1-line block ×8, first 2 shown]
	v_cmp_eq_u32_e64 s[0:1], s7, v10
	s_and_saveexec_b64 s[12:13], s[0:1]
	s_cbranch_execz .LBB324_127
; %bb.126:                              ;   in Loop: Header=BB324_60 Depth=1
	v_add_u32_e32 v27, -7, v18
	v_cmp_gt_i32_e64 s[0:1], s29, v27
	v_add_u32_e32 v27, -6, v18
	s_nop 0
	v_cndmask_b32_e64 v3, 0, v3, s[0:1]
	v_cmp_gt_i32_e64 s[0:1], s29, v27
	v_add_u32_e32 v27, -5, v18
	s_nop 0
	v_cndmask_b32_e64 v5, 0, v5, s[0:1]
	;; [unrolled: 4-line block ×6, first 2 shown]
	v_cmp_gt_i32_e64 s[0:1], s29, v27
	s_nop 1
	v_cndmask_b32_e64 v4, 0, v4, s[0:1]
	v_cmp_gt_i32_e64 s[0:1], s29, v18
	s_nop 1
	v_cndmask_b32_e64 v2, 0, v2, s[0:1]
.LBB324_127:                            ;   in Loop: Header=BB324_60 Depth=1
	s_or_b64 exec, exec, s[12:13]
	v_and_b32_e32 v22, 0xffff0000, v22
	v_lshlrev_b32_e32 v3, 16, v3
	v_mul_f32_e32 v22, v22, v3
	v_and_b32_e32 v3, 0x7f800000, v22
	v_cmp_ne_u32_e64 s[0:1], s17, v3
                                        ; implicit-def: $vgpr3
	s_and_saveexec_b64 s[12:13], s[0:1]
	s_xor_b64 s[0:1], exec, s[12:13]
; %bb.128:                              ;   in Loop: Header=BB324_60 Depth=1
	v_bfe_u32 v3, v22, 16, 1
	v_add3_u32 v3, v22, v3, s18
                                        ; implicit-def: $vgpr22
; %bb.129:                              ;   in Loop: Header=BB324_60 Depth=1
	s_andn2_saveexec_b64 s[12:13], s[0:1]
; %bb.130:                              ;   in Loop: Header=BB324_60 Depth=1
	v_or_b32_e32 v3, 0x10000, v22
	v_cmp_eq_u32_sdwa s[0:1], v22, v13 src0_sel:WORD_0 src1_sel:DWORD
	s_nop 1
	v_cndmask_b32_e64 v3, v3, v22, s[0:1]
; %bb.131:                              ;   in Loop: Header=BB324_60 Depth=1
	s_or_b64 exec, exec, s[12:13]
	v_and_b32_e32 v21, 0xffff0000, v21
	v_lshlrev_b32_e32 v5, 16, v5
	v_mul_f32_e32 v21, v21, v5
	v_and_b32_e32 v5, 0x7f800000, v21
	v_cmp_ne_u32_e64 s[0:1], s17, v5
                                        ; implicit-def: $vgpr5
	s_and_saveexec_b64 s[12:13], s[0:1]
	s_xor_b64 s[0:1], exec, s[12:13]
; %bb.132:                              ;   in Loop: Header=BB324_60 Depth=1
	v_bfe_u32 v5, v21, 16, 1
	v_add3_u32 v5, v21, v5, s18
                                        ; implicit-def: $vgpr21
; %bb.133:                              ;   in Loop: Header=BB324_60 Depth=1
	s_andn2_saveexec_b64 s[12:13], s[0:1]
; %bb.134:                              ;   in Loop: Header=BB324_60 Depth=1
	v_or_b32_e32 v5, 0x10000, v21
	v_cmp_eq_u32_sdwa s[0:1], v21, v13 src0_sel:WORD_0 src1_sel:DWORD
	s_nop 1
	v_cndmask_b32_e64 v5, v5, v21, s[0:1]
; %bb.135:                              ;   in Loop: Header=BB324_60 Depth=1
	s_or_b64 exec, exec, s[12:13]
	v_and_b32_e32 v20, 0xffff0000, v20
	v_lshlrev_b32_e32 v21, 16, v25
	v_mul_f32_e32 v21, v20, v21
	v_and_b32_e32 v20, 0x7f800000, v21
	v_cmp_ne_u32_e64 s[0:1], s17, v20
                                        ; implicit-def: $vgpr20
	s_and_saveexec_b64 s[12:13], s[0:1]
	s_xor_b64 s[0:1], exec, s[12:13]
; %bb.136:                              ;   in Loop: Header=BB324_60 Depth=1
	v_bfe_u32 v20, v21, 16, 1
	v_add3_u32 v20, v21, v20, s18
                                        ; implicit-def: $vgpr21
; %bb.137:                              ;   in Loop: Header=BB324_60 Depth=1
	s_andn2_saveexec_b64 s[12:13], s[0:1]
; %bb.138:                              ;   in Loop: Header=BB324_60 Depth=1
	v_or_b32_e32 v20, 0x10000, v21
	v_cmp_eq_u32_sdwa s[0:1], v21, v13 src0_sel:WORD_0 src1_sel:DWORD
	s_nop 1
	v_cndmask_b32_e64 v20, v20, v21, s[0:1]
; %bb.139:                              ;   in Loop: Header=BB324_60 Depth=1
	s_or_b64 exec, exec, s[12:13]
	v_and_b32_e32 v11, 0xffff0000, v11
	v_lshlrev_b32_e32 v21, 16, v26
	v_mul_f32_e32 v21, v11, v21
	v_and_b32_e32 v11, 0x7f800000, v21
	v_cmp_ne_u32_e64 s[0:1], s17, v11
                                        ; implicit-def: $vgpr11
	s_and_saveexec_b64 s[12:13], s[0:1]
	s_xor_b64 s[0:1], exec, s[12:13]
; %bb.140:                              ;   in Loop: Header=BB324_60 Depth=1
	v_bfe_u32 v11, v21, 16, 1
	v_add3_u32 v11, v21, v11, s18
                                        ; implicit-def: $vgpr21
; %bb.141:                              ;   in Loop: Header=BB324_60 Depth=1
	s_andn2_saveexec_b64 s[12:13], s[0:1]
; %bb.142:                              ;   in Loop: Header=BB324_60 Depth=1
	v_or_b32_e32 v11, 0x10000, v21
	v_cmp_eq_u32_sdwa s[0:1], v21, v13 src0_sel:WORD_0 src1_sel:DWORD
	s_nop 1
	v_cndmask_b32_e64 v11, v11, v21, s[0:1]
; %bb.143:                              ;   in Loop: Header=BB324_60 Depth=1
	s_or_b64 exec, exec, s[12:13]
	v_and_b32_e32 v9, 0xffff0000, v9
	v_lshlrev_b32_e32 v21, 16, v24
	v_mul_f32_e32 v21, v9, v21
	v_and_b32_e32 v9, 0x7f800000, v21
	v_cmp_ne_u32_e64 s[0:1], s17, v9
                                        ; implicit-def: $vgpr9
	s_and_saveexec_b64 s[12:13], s[0:1]
	s_xor_b64 s[0:1], exec, s[12:13]
; %bb.144:                              ;   in Loop: Header=BB324_60 Depth=1
	v_bfe_u32 v9, v21, 16, 1
	v_add3_u32 v9, v21, v9, s18
                                        ; implicit-def: $vgpr21
; %bb.145:                              ;   in Loop: Header=BB324_60 Depth=1
	s_andn2_saveexec_b64 s[12:13], s[0:1]
; %bb.146:                              ;   in Loop: Header=BB324_60 Depth=1
	v_or_b32_e32 v9, 0x10000, v21
	v_cmp_eq_u32_sdwa s[0:1], v21, v13 src0_sel:WORD_0 src1_sel:DWORD
	s_nop 1
	v_cndmask_b32_e64 v9, v9, v21, s[0:1]
; %bb.147:                              ;   in Loop: Header=BB324_60 Depth=1
	s_or_b64 exec, exec, s[12:13]
	v_and_b32_e32 v8, 0xffff0000, v8
	v_lshlrev_b32_e32 v21, 16, v23
	v_mul_f32_e32 v21, v8, v21
	v_and_b32_e32 v8, 0x7f800000, v21
	v_cmp_ne_u32_e64 s[0:1], s17, v8
                                        ; implicit-def: $vgpr8
	s_and_saveexec_b64 s[12:13], s[0:1]
	s_xor_b64 s[0:1], exec, s[12:13]
; %bb.148:                              ;   in Loop: Header=BB324_60 Depth=1
	v_bfe_u32 v8, v21, 16, 1
	v_add3_u32 v8, v21, v8, s18
                                        ; implicit-def: $vgpr21
; %bb.149:                              ;   in Loop: Header=BB324_60 Depth=1
	s_andn2_saveexec_b64 s[12:13], s[0:1]
; %bb.150:                              ;   in Loop: Header=BB324_60 Depth=1
	v_or_b32_e32 v8, 0x10000, v21
	v_cmp_eq_u32_sdwa s[0:1], v21, v13 src0_sel:WORD_0 src1_sel:DWORD
	s_nop 1
	v_cndmask_b32_e64 v8, v8, v21, s[0:1]
; %bb.151:                              ;   in Loop: Header=BB324_60 Depth=1
	s_or_b64 exec, exec, s[12:13]
	v_and_b32_e32 v7, 0xffff0000, v7
	v_lshlrev_b32_e32 v4, 16, v4
	v_mul_f32_e32 v7, v7, v4
	v_and_b32_e32 v4, 0x7f800000, v7
	v_cmp_ne_u32_e64 s[0:1], s17, v4
                                        ; implicit-def: $vgpr4
	s_and_saveexec_b64 s[12:13], s[0:1]
	s_xor_b64 s[0:1], exec, s[12:13]
; %bb.152:                              ;   in Loop: Header=BB324_60 Depth=1
	v_bfe_u32 v4, v7, 16, 1
	v_add3_u32 v4, v7, v4, s18
                                        ; implicit-def: $vgpr7
; %bb.153:                              ;   in Loop: Header=BB324_60 Depth=1
	s_andn2_saveexec_b64 s[12:13], s[0:1]
; %bb.154:                              ;   in Loop: Header=BB324_60 Depth=1
	v_or_b32_e32 v4, 0x10000, v7
	v_cmp_eq_u32_sdwa s[0:1], v7, v13 src0_sel:WORD_0 src1_sel:DWORD
	s_nop 1
	v_cndmask_b32_e64 v4, v4, v7, s[0:1]
; %bb.155:                              ;   in Loop: Header=BB324_60 Depth=1
	s_or_b64 exec, exec, s[12:13]
	v_and_b32_e32 v6, 0xffff0000, v6
	v_lshlrev_b32_e32 v2, 16, v2
	v_mul_f32_e32 v2, v6, v2
	v_and_b32_e32 v6, 0x7f800000, v2
	v_cmp_ne_u32_e64 s[0:1], s17, v6
                                        ; implicit-def: $vgpr6
	s_and_saveexec_b64 s[12:13], s[0:1]
	s_xor_b64 s[0:1], exec, s[12:13]
; %bb.156:                              ;   in Loop: Header=BB324_60 Depth=1
	v_bfe_u32 v6, v2, 16, 1
	v_add3_u32 v6, v2, v6, s18
                                        ; implicit-def: $vgpr2
; %bb.157:                              ;   in Loop: Header=BB324_60 Depth=1
	s_andn2_saveexec_b64 s[12:13], s[0:1]
	s_cbranch_execz .LBB324_58
; %bb.158:                              ;   in Loop: Header=BB324_60 Depth=1
	v_or_b32_e32 v6, 0x10000, v2
	v_cmp_eq_u32_sdwa s[0:1], v2, v13 src0_sel:WORD_0 src1_sel:DWORD
	s_nop 1
	v_cndmask_b32_e64 v6, v6, v2, s[0:1]
	s_branch .LBB324_58
.LBB324_159:
	s_or_b64 exec, exec, s[8:9]
.LBB324_160:
	s_or_b64 exec, exec, s[2:3]
	v_and_b32_e32 v2, 0x3c0, v0
	v_cmp_eq_u32_e64 s[0:1], 64, v2
	v_cmp_gt_u32_e32 vcc, 32, v1
	s_and_b64 s[2:3], s[0:1], vcc
	s_barrier
	s_and_saveexec_b64 s[0:1], s[2:3]
	s_cbranch_execz .LBB324_162
; %bb.161:
	v_mov_b32_e32 v2, 0x50
	v_lshl_add_u32 v2, v1, 2, v2
	ds_write_b32 v2, v12
.LBB324_162:
	s_or_b64 exec, exec, s[0:1]
	v_cmp_gt_u32_e64 s[0:1], 64, v0
	s_and_b64 s[0:1], s[0:1], vcc
	s_waitcnt lgkmcnt(0)
	s_barrier
	s_and_saveexec_b64 s[2:3], s[0:1]
	s_cbranch_execz .LBB324_164
; %bb.163:
	v_mov_b32_e32 v0, 0x50
	v_lshl_add_u32 v0, v1, 2, v0
	ds_read_b32 v0, v0
	s_waitcnt lgkmcnt(0)
	v_add_f32_e32 v12, v12, v0
.LBB324_164:
	s_or_b64 exec, exec, s[2:3]
	s_barrier
	s_and_saveexec_b64 s[2:3], s[0:1]
	s_cbranch_execz .LBB324_170
; %bb.165:
	s_mov_b32 s0, 0x7f800000
	v_and_b32_e32 v0, 0x7f800000, v12
	v_cmp_ne_u32_e32 vcc, s0, v0
                                        ; implicit-def: $vgpr0
	s_and_saveexec_b64 s[0:1], vcc
	s_xor_b64 s[0:1], exec, s[0:1]
; %bb.166:
	v_bfe_u32 v0, v12, 16, 1
	s_movk_i32 s2, 0x7fff
	v_add3_u32 v0, v12, v0, s2
                                        ; implicit-def: $vgpr12
; %bb.167:
	s_andn2_saveexec_b64 s[0:1], s[0:1]
; %bb.168:
	v_mov_b32_e32 v0, 0
	v_or_b32_e32 v2, 0x10000, v12
	v_cmp_eq_u32_sdwa vcc, v12, v0 src0_sel:WORD_0 src1_sel:DWORD
	s_nop 1
	v_cndmask_b32_e32 v0, v2, v12, vcc
; %bb.169:
	s_or_b64 exec, exec, s[0:1]
	s_lshl_b32 s0, s6, 5
	s_ashr_i32 s1, s0, 31
	s_lshl_b64 s[0:1], s[0:1], 1
	s_add_u32 s2, s26, s0
	s_mul_i32 s0, s16, s24
	s_addc_u32 s3, s27, s1
	s_ashr_i32 s1, s0, 31
	s_lshl_b64 s[0:1], s[0:1], 1
	s_add_u32 s2, s2, s0
	s_addc_u32 s3, s3, s1
	s_lshl_b32 s0, s4, 5
	s_ashr_i32 s1, s0, 31
	s_lshl_b64 s[0:1], s[0:1], 1
	s_add_u32 s0, s2, s0
	s_addc_u32 s1, s3, s1
	v_lshlrev_b32_e32 v1, 1, v1
	global_store_short_d16_hi v1, v0, s[0:1]
.LBB324_170:
	s_endpgm
	.section	.rodata,"a",@progbits
	.p2align	6, 0x0
	.amdhsa_kernel _ZN4vllm25paged_attention_v2_kernelI14__hip_bfloat16hLi32ELi8ELi128ELNS_18Fp8KVCacheDataTypeE1ELb0ELi512EEEvPfS3_PT_PKS4_PKT0_SA_ifPKiSC_iPKfiiiSE_SE_iiiii
		.amdhsa_group_segment_fixed_size 80
		.amdhsa_private_segment_fixed_size 0
		.amdhsa_kernarg_size 400
		.amdhsa_user_sgpr_count 2
		.amdhsa_user_sgpr_dispatch_ptr 0
		.amdhsa_user_sgpr_queue_ptr 0
		.amdhsa_user_sgpr_kernarg_segment_ptr 1
		.amdhsa_user_sgpr_dispatch_id 0
		.amdhsa_user_sgpr_kernarg_preload_length 0
		.amdhsa_user_sgpr_kernarg_preload_offset 0
		.amdhsa_user_sgpr_private_segment_size 0
		.amdhsa_uses_dynamic_stack 0
		.amdhsa_enable_private_segment 0
		.amdhsa_system_sgpr_workgroup_id_x 1
		.amdhsa_system_sgpr_workgroup_id_y 1
		.amdhsa_system_sgpr_workgroup_id_z 1
		.amdhsa_system_sgpr_workgroup_info 0
		.amdhsa_system_vgpr_workitem_id 0
		.amdhsa_next_free_vgpr 30
		.amdhsa_next_free_sgpr 47
		.amdhsa_accum_offset 32
		.amdhsa_reserve_vcc 1
		.amdhsa_float_round_mode_32 0
		.amdhsa_float_round_mode_16_64 0
		.amdhsa_float_denorm_mode_32 3
		.amdhsa_float_denorm_mode_16_64 3
		.amdhsa_dx10_clamp 1
		.amdhsa_ieee_mode 1
		.amdhsa_fp16_overflow 0
		.amdhsa_tg_split 0
		.amdhsa_exception_fp_ieee_invalid_op 0
		.amdhsa_exception_fp_denorm_src 0
		.amdhsa_exception_fp_ieee_div_zero 0
		.amdhsa_exception_fp_ieee_overflow 0
		.amdhsa_exception_fp_ieee_underflow 0
		.amdhsa_exception_fp_ieee_inexact 0
		.amdhsa_exception_int_div_zero 0
	.end_amdhsa_kernel
	.section	.text._ZN4vllm25paged_attention_v2_kernelI14__hip_bfloat16hLi32ELi8ELi128ELNS_18Fp8KVCacheDataTypeE1ELb0ELi512EEEvPfS3_PT_PKS4_PKT0_SA_ifPKiSC_iPKfiiiSE_SE_iiiii,"axG",@progbits,_ZN4vllm25paged_attention_v2_kernelI14__hip_bfloat16hLi32ELi8ELi128ELNS_18Fp8KVCacheDataTypeE1ELb0ELi512EEEvPfS3_PT_PKS4_PKT0_SA_ifPKiSC_iPKfiiiSE_SE_iiiii,comdat
.Lfunc_end324:
	.size	_ZN4vllm25paged_attention_v2_kernelI14__hip_bfloat16hLi32ELi8ELi128ELNS_18Fp8KVCacheDataTypeE1ELb0ELi512EEEvPfS3_PT_PKS4_PKT0_SA_ifPKiSC_iPKfiiiSE_SE_iiiii, .Lfunc_end324-_ZN4vllm25paged_attention_v2_kernelI14__hip_bfloat16hLi32ELi8ELi128ELNS_18Fp8KVCacheDataTypeE1ELb0ELi512EEEvPfS3_PT_PKS4_PKT0_SA_ifPKiSC_iPKfiiiSE_SE_iiiii
                                        ; -- End function
	.section	.AMDGPU.csdata,"",@progbits
; Kernel info:
; codeLenInByte = 6112
; NumSgprs: 53
; NumVgprs: 30
; NumAgprs: 0
; TotalNumVgprs: 30
; ScratchSize: 0
; MemoryBound: 0
; FloatMode: 240
; IeeeMode: 1
; LDSByteSize: 80 bytes/workgroup (compile time only)
; SGPRBlocks: 6
; VGPRBlocks: 3
; NumSGPRsForWavesPerEU: 53
; NumVGPRsForWavesPerEU: 30
; AccumOffset: 32
; Occupancy: 8
; WaveLimiterHint : 1
; COMPUTE_PGM_RSRC2:SCRATCH_EN: 0
; COMPUTE_PGM_RSRC2:USER_SGPR: 2
; COMPUTE_PGM_RSRC2:TRAP_HANDLER: 0
; COMPUTE_PGM_RSRC2:TGID_X_EN: 1
; COMPUTE_PGM_RSRC2:TGID_Y_EN: 1
; COMPUTE_PGM_RSRC2:TGID_Z_EN: 1
; COMPUTE_PGM_RSRC2:TIDIG_COMP_CNT: 0
; COMPUTE_PGM_RSRC3_GFX90A:ACCUM_OFFSET: 7
; COMPUTE_PGM_RSRC3_GFX90A:TG_SPLIT: 0
	.section	.text._ZN4vllm25paged_attention_v2_kernelI14__hip_bfloat16hLi64ELi8ELi128ELNS_18Fp8KVCacheDataTypeE1ELb0ELi512EEEvPfS3_PT_PKS4_PKT0_SA_ifPKiSC_iPKfiiiSE_SE_iiiii,"axG",@progbits,_ZN4vllm25paged_attention_v2_kernelI14__hip_bfloat16hLi64ELi8ELi128ELNS_18Fp8KVCacheDataTypeE1ELb0ELi512EEEvPfS3_PT_PKS4_PKT0_SA_ifPKiSC_iPKfiiiSE_SE_iiiii,comdat
	.protected	_ZN4vllm25paged_attention_v2_kernelI14__hip_bfloat16hLi64ELi8ELi128ELNS_18Fp8KVCacheDataTypeE1ELb0ELi512EEEvPfS3_PT_PKS4_PKT0_SA_ifPKiSC_iPKfiiiSE_SE_iiiii ; -- Begin function _ZN4vllm25paged_attention_v2_kernelI14__hip_bfloat16hLi64ELi8ELi128ELNS_18Fp8KVCacheDataTypeE1ELb0ELi512EEEvPfS3_PT_PKS4_PKT0_SA_ifPKiSC_iPKfiiiSE_SE_iiiii
	.globl	_ZN4vllm25paged_attention_v2_kernelI14__hip_bfloat16hLi64ELi8ELi128ELNS_18Fp8KVCacheDataTypeE1ELb0ELi512EEEvPfS3_PT_PKS4_PKT0_SA_ifPKiSC_iPKfiiiSE_SE_iiiii
	.p2align	8
	.type	_ZN4vllm25paged_attention_v2_kernelI14__hip_bfloat16hLi64ELi8ELi128ELNS_18Fp8KVCacheDataTypeE1ELb0ELi512EEEvPfS3_PT_PKS4_PKT0_SA_ifPKiSC_iPKfiiiSE_SE_iiiii,@function
_ZN4vllm25paged_attention_v2_kernelI14__hip_bfloat16hLi64ELi8ELi128ELNS_18Fp8KVCacheDataTypeE1ELb0ELi512EEEvPfS3_PT_PKS4_PKT0_SA_ifPKiSC_iPKfiiiSE_SE_iiiii: ; @_ZN4vllm25paged_attention_v2_kernelI14__hip_bfloat16hLi64ELi8ELi128ELNS_18Fp8KVCacheDataTypeE1ELb0ELi512EEEvPfS3_PT_PKS4_PKT0_SA_ifPKiSC_iPKfiiiSE_SE_iiiii
; %bb.0:
	s_load_dwordx2 s[6:7], s[0:1], 0x40
	s_mov_b32 s28, s3
	s_ashr_i32 s29, s3, 31
	s_lshl_b64 s[8:9], s[28:29], 2
	s_waitcnt lgkmcnt(0)
	s_add_u32 s6, s6, s8
	s_addc_u32 s7, s7, s9
	s_load_dword s29, s[6:7], 0x0
	s_lshl_b32 s42, s4, 9
	s_waitcnt lgkmcnt(0)
	s_cmp_ge_i32 s42, s29
	s_cbranch_scc1 .LBB325_184
; %bb.1:
	s_load_dword s5, s[0:1], 0x90
	s_load_dwordx2 s[38:39], s[0:1], 0x30
	s_waitcnt lgkmcnt(0)
	s_abs_i32 s7, s5
	s_abs_i32 s3, s38
	v_cvt_f32_u32_e32 v1, s3
	s_sub_i32 s8, 0, s3
	s_xor_b32 s6, s5, s38
	s_ashr_i32 s6, s6, 31
	v_rcp_iflag_f32_e32 v1, v1
	s_nop 0
	v_mul_f32_e32 v1, 0x4f7ffffe, v1
	v_cvt_u32_f32_e32 v1, v1
	s_nop 0
	v_readfirstlane_b32 s9, v1
	s_mul_i32 s8, s8, s9
	s_mul_hi_u32 s8, s9, s8
	s_add_i32 s9, s9, s8
	s_mul_hi_u32 s8, s7, s9
	s_mul_i32 s9, s8, s3
	s_sub_i32 s7, s7, s9
	s_add_i32 s10, s8, 1
	s_sub_i32 s9, s7, s3
	s_cmp_ge_u32 s7, s3
	s_cselect_b32 s8, s10, s8
	s_cselect_b32 s7, s9, s7
	s_add_i32 s9, s8, 1
	s_cmp_ge_u32 s7, s3
	s_cselect_b32 s3, s9, s8
	s_xor_b32 s3, s3, s6
	s_sub_i32 s10, s3, s6
	s_abs_i32 s8, s10
	v_cvt_f32_u32_e32 v1, s8
	s_load_dwordx2 s[6:7], s[0:1], 0x50
	s_sub_i32 s11, 0, s8
	s_abs_i32 s9, s2
	v_rcp_iflag_f32_e32 v1, v1
	s_mov_b32 s3, 0
	v_mul_f32_e32 v1, 0x4f7ffffe, v1
	v_cvt_u32_f32_e32 v1, v1
	s_nop 0
	v_readfirstlane_b32 s12, v1
	s_mul_i32 s11, s11, s12
	s_mul_hi_u32 s11, s12, s11
	s_add_i32 s12, s12, s11
	s_waitcnt lgkmcnt(0)
	s_cmp_eq_u64 s[6:7], 0
	s_mul_hi_u32 s12, s9, s12
	s_cbranch_scc1 .LBB325_3
; %bb.2:
	s_ashr_i32 s3, s2, 31
	s_lshl_b64 s[14:15], s[2:3], 2
	s_add_u32 s6, s6, s14
	s_addc_u32 s7, s7, s15
	s_load_dword s3, s[6:7], 0x0
.LBB325_3:
	s_load_dwordx4 s[16:19], s[0:1], 0x58
	s_ashr_i32 s13, s2, 31
	s_ashr_i32 s14, s10, 31
	v_and_b32_e32 v2, 7, v0
	s_lshl_b32 s24, s2, 6
	v_cmp_gt_u32_e64 s[10:11], 64, v0
	s_and_saveexec_b64 s[6:7], s[10:11]
	s_cbranch_execz .LBB325_5
; %bb.4:
	s_load_dwordx2 s[20:21], s[0:1], 0x18
	s_waitcnt lgkmcnt(0)
	s_mul_i32 s22, s28, s16
	s_ashr_i32 s23, s22, 31
	s_lshl_b64 s[22:23], s[22:23], 1
	v_lshlrev_b32_e32 v1, 1, v0
	s_add_u32 s15, s20, s22
	s_addc_u32 s16, s21, s23
	s_ashr_i32 s25, s24, 31
	s_lshl_b64 s[20:21], s[24:25], 1
	s_add_u32 s20, s15, s20
	s_addc_u32 s21, s16, s21
	global_load_ushort v1, v1, s[20:21]
	v_lshrrev_b32_e32 v3, 2, v0
	v_and_b32_e32 v3, 0xfe, v3
	v_lshl_add_u32 v3, v2, 4, v3
	s_waitcnt vmcnt(0)
	ds_write_b16 v3, v1
.LBB325_5:
	s_or_b64 exec, exec, s[6:7]
	s_add_i32 s6, s29, 7
	s_ashr_i32 s7, s6, 31
	s_lshr_b32 s7, s7, 29
	s_add_i32 s6, s6, s7
	s_waitcnt lgkmcnt(0)
	s_lshl_b32 s16, s4, 6
	s_mul_i32 s7, s12, s8
	s_ashr_i32 s43, s6, 3
	s_add_i32 s6, s16, 64
	s_sub_i32 s7, s9, s7
	s_min_i32 s33, s6, s43
	s_xor_b32 s6, s13, s14
	s_add_i32 s9, s12, 1
	s_sub_i32 s13, s7, s8
	s_cmp_ge_u32 s7, s8
	s_cselect_b32 s9, s9, s12
	s_cselect_b32 s7, s13, s7
	s_add_i32 s12, s9, 1
	s_cmp_ge_u32 s7, s8
	s_load_dwordx2 s[30:31], s[0:1], 0x38
	s_load_dword s8, s[0:1], 0x48
	v_lshrrev_b32_e32 v16, 6, v0
	s_cselect_b32 s7, s12, s9
	s_xor_b32 s7, s7, s6
	v_or_b32_e32 v10, s16, v16
	s_waitcnt lgkmcnt(0)
	s_mul_i32 s34, s28, s8
	s_sub_i32 s44, s7, s6
	s_ashr_i32 s35, s34, 31
	v_cmp_gt_i32_e64 s[6:7], s33, v10
	v_cmp_le_i32_e32 vcc, s33, v10
	v_mbcnt_lo_u32_b32 v6, -1, 0
	s_barrier
	s_waitcnt lgkmcnt(0)
                                        ; implicit-def: $sgpr19
                                        ; implicit-def: $vgpr12
                                        ; implicit-def: $vgpr13
	s_and_saveexec_b64 s[8:9], vcc
	s_xor_b64 s[8:9], exec, s[8:9]
; %bb.6:
	v_mbcnt_hi_u32_b32 v12, -1, v6
	v_and_b32_e32 v1, 64, v12
	v_add_u32_e32 v13, 64, v1
	s_mov_b32 s19, 0xff7fffff
                                        ; implicit-def: $vgpr2
                                        ; implicit-def: $vgpr6
; %bb.7:
	s_or_saveexec_b64 s[40:41], s[8:9]
	s_load_dwordx4 s[20:23], s[0:1], 0x0
	s_load_dwordx2 s[26:27], s[0:1], 0x10
	s_load_dword s25, s[0:1], 0x98
	s_load_dwordx2 s[36:37], s[0:1], 0x28
	s_load_dwordx4 s[12:15], s[0:1], 0x68
	v_mov_b32_e32 v23, s19
	s_mul_i32 s44, s44, s18
	v_ashrrev_i32_e32 v11, 31, v10
	v_lshlrev_b32_e32 v17, 3, v16
	s_xor_b64 exec, exec, s[40:41]
	s_cbranch_execz .LBB325_45
; %bb.8:
	v_mbcnt_hi_u32_b32 v12, -1, v6
	v_and_b32_e32 v6, 64, v12
	v_add_u32_e32 v13, 64, v6
	v_xor_b32_e32 v6, 4, v12
	s_load_dwordx2 s[0:1], s[0:1], 0x20
	v_cmp_lt_i32_e32 vcc, v6, v13
	s_ashr_i32 s8, s44, 31
	v_lshlrev_b32_e32 v1, 4, v2
	v_cndmask_b32_e32 v6, v12, v6, vcc
	v_lshlrev_b32_e32 v24, 2, v6
	v_xor_b32_e32 v6, 2, v12
	v_cmp_lt_i32_e32 vcc, v6, v13
	v_bfe_u32 v7, v0, 3, 3
	s_waitcnt lgkmcnt(0)
	s_add_u32 s0, s0, s44
	v_cndmask_b32_e32 v6, v12, v6, vcc
	ds_read_b128 v[20:23], v1
	v_mov_b32_e32 v3, 0
	v_lshlrev_b32_e32 v25, 2, v6
	v_xor_b32_e32 v6, 1, v12
	s_addc_u32 s1, s1, s8
	v_lshlrev_b32_e32 v4, 4, v7
	v_mov_b32_e32 v5, v3
	v_cmp_lt_i32_e32 vcc, v6, v13
	s_load_dword s45, s[12:13], 0x0
	v_lshl_add_u64 v[4:5], s[0:1], 0, v[4:5]
	v_cndmask_b32_e32 v6, v12, v6, vcc
	s_sub_i32 s46, 1, s29
	s_lshl_b64 s[0:1], s[34:35], 2
	v_lshlrev_b32_e32 v26, 2, v6
	v_lshlrev_b32_e32 v6, 2, v7
	s_add_u32 s0, s30, s0
	v_lshl_or_b32 v6, v16, 5, v6
	s_addc_u32 s1, s31, s1
	s_mov_b32 s38, s17
	s_waitcnt lgkmcnt(0)
	v_lshlrev_b32_e32 v1, 16, v20
	v_and_b32_e32 v14, 0xffff0000, v20
	v_lshlrev_b32_e32 v15, 16, v21
	v_and_b32_e32 v18, 0xffff0000, v21
	v_lshlrev_b32_e32 v19, 16, v22
	v_and_b32_e32 v20, 0xffff0000, v22
	v_lshlrev_b32_e32 v21, 16, v23
	v_and_b32_e32 v22, 0xffff0000, v23
	v_cmp_eq_u32_e32 vcc, 0, v2
	v_cmp_neq_f32_e64 s[8:9], s3, 0
	v_add3_u32 v27, s42, v17, v7
	v_add_u32_e32 v28, 0x90, v6
	v_lshl_add_u64 v[6:7], v[10:11], 2, s[0:1]
	s_mov_b64 s[12:13], 0
	v_mov_b32_e32 v23, 0xff7fffff
	s_mov_b32 s47, 0x7f800000
	s_movk_i32 s48, 0x7fff
	v_mov_b32_e32 v29, v10
	s_branch .LBB325_10
.LBB325_9:                              ;   in Loop: Header=BB325_10 Depth=1
	s_or_b64 exec, exec, s[18:19]
	v_add_u32_e32 v29, 2, v29
	v_cmp_le_i32_e64 s[0:1], s33, v29
	v_add_u32_e32 v27, 16, v27
	v_add_u32_e32 v28, 64, v28
	s_or_b64 s[12:13], s[0:1], s[12:13]
	v_lshl_add_u64 v[6:7], v[6:7], 0, 8
	s_andn2_b64 exec, exec, s[12:13]
	s_cbranch_execz .LBB325_44
.LBB325_10:                             ; =>This Inner Loop Header: Depth=1
	global_load_dword v8, v[6:7], off
	s_waitcnt vmcnt(0) lgkmcnt(0)
	v_mad_i64_i32 v[8:9], s[0:1], v8, s38, v[4:5]
	v_lshl_add_u64 v[8:9], v[8:9], 0, v[2:3]
	global_load_ubyte v30, v[8:9], off
	s_waitcnt vmcnt(0)
	v_cvt_f32_fp8_sdwa v30, v30 src0_sel:BYTE_0
	s_nop 0
	v_mul_f32_e32 v31, s45, v30
	v_and_b32_e32 v30, 0x7f800000, v31
	v_cmp_ne_u32_e64 s[0:1], s47, v30
                                        ; implicit-def: $vgpr30
	s_and_saveexec_b64 s[18:19], s[0:1]
	s_xor_b64 s[0:1], exec, s[18:19]
; %bb.11:                               ;   in Loop: Header=BB325_10 Depth=1
	v_bfe_u32 v30, v31, 16, 1
	v_add3_u32 v30, v31, v30, s48
                                        ; implicit-def: $vgpr31
; %bb.12:                               ;   in Loop: Header=BB325_10 Depth=1
	s_andn2_saveexec_b64 s[18:19], s[0:1]
; %bb.13:                               ;   in Loop: Header=BB325_10 Depth=1
	v_or_b32_e32 v30, 0x10000, v31
	v_cmp_eq_u32_sdwa s[0:1], v31, v3 src0_sel:WORD_0 src1_sel:DWORD
	s_nop 1
	v_cndmask_b32_e64 v30, v30, v31, s[0:1]
; %bb.14:                               ;   in Loop: Header=BB325_10 Depth=1
	s_or_b64 exec, exec, s[18:19]
	global_load_ubyte v31, v[8:9], off offset:8
	s_waitcnt vmcnt(0)
	v_cvt_f32_fp8_sdwa v31, v31 src0_sel:BYTE_0
	s_nop 0
	v_mul_f32_e32 v32, s45, v31
	v_and_b32_e32 v31, 0x7f800000, v32
	v_cmp_ne_u32_e64 s[0:1], s47, v31
                                        ; implicit-def: $vgpr31
	s_and_saveexec_b64 s[18:19], s[0:1]
	s_xor_b64 s[0:1], exec, s[18:19]
; %bb.15:                               ;   in Loop: Header=BB325_10 Depth=1
	v_bfe_u32 v31, v32, 16, 1
	v_add3_u32 v31, v32, v31, s48
                                        ; implicit-def: $vgpr32
; %bb.16:                               ;   in Loop: Header=BB325_10 Depth=1
	s_andn2_saveexec_b64 s[18:19], s[0:1]
; %bb.17:                               ;   in Loop: Header=BB325_10 Depth=1
	v_or_b32_e32 v31, 0x10000, v32
	v_cmp_eq_u32_sdwa s[0:1], v32, v3 src0_sel:WORD_0 src1_sel:DWORD
	s_nop 1
	v_cndmask_b32_e64 v31, v31, v32, s[0:1]
; %bb.18:                               ;   in Loop: Header=BB325_10 Depth=1
	s_or_b64 exec, exec, s[18:19]
	global_load_ubyte v32, v[8:9], off offset:128
	s_waitcnt vmcnt(0)
	v_cvt_f32_fp8_sdwa v32, v32 src0_sel:BYTE_0
	s_nop 0
	v_mul_f32_e32 v33, s45, v32
	v_and_b32_e32 v32, 0x7f800000, v33
	v_cmp_ne_u32_e64 s[0:1], s47, v32
                                        ; implicit-def: $vgpr32
	s_and_saveexec_b64 s[18:19], s[0:1]
	s_xor_b64 s[0:1], exec, s[18:19]
; %bb.19:                               ;   in Loop: Header=BB325_10 Depth=1
	v_bfe_u32 v32, v33, 16, 1
	v_add3_u32 v32, v33, v32, s48
                                        ; implicit-def: $vgpr33
; %bb.20:                               ;   in Loop: Header=BB325_10 Depth=1
	s_andn2_saveexec_b64 s[18:19], s[0:1]
; %bb.21:                               ;   in Loop: Header=BB325_10 Depth=1
	v_or_b32_e32 v32, 0x10000, v33
	v_cmp_eq_u32_sdwa s[0:1], v33, v3 src0_sel:WORD_0 src1_sel:DWORD
	s_nop 1
	v_cndmask_b32_e64 v32, v32, v33, s[0:1]
; %bb.22:                               ;   in Loop: Header=BB325_10 Depth=1
	s_or_b64 exec, exec, s[18:19]
	global_load_ubyte v33, v[8:9], off offset:136
	s_waitcnt vmcnt(0)
	v_cvt_f32_fp8_sdwa v33, v33 src0_sel:BYTE_0
	s_nop 0
	v_mul_f32_e32 v34, s45, v33
	v_and_b32_e32 v33, 0x7f800000, v34
	v_cmp_ne_u32_e64 s[0:1], s47, v33
                                        ; implicit-def: $vgpr33
	s_and_saveexec_b64 s[18:19], s[0:1]
	s_xor_b64 s[0:1], exec, s[18:19]
; %bb.23:                               ;   in Loop: Header=BB325_10 Depth=1
	v_bfe_u32 v33, v34, 16, 1
	v_add3_u32 v33, v34, v33, s48
                                        ; implicit-def: $vgpr34
; %bb.24:                               ;   in Loop: Header=BB325_10 Depth=1
	s_andn2_saveexec_b64 s[18:19], s[0:1]
; %bb.25:                               ;   in Loop: Header=BB325_10 Depth=1
	v_or_b32_e32 v33, 0x10000, v34
	v_cmp_eq_u32_sdwa s[0:1], v34, v3 src0_sel:WORD_0 src1_sel:DWORD
	s_nop 1
	v_cndmask_b32_e64 v33, v33, v34, s[0:1]
; %bb.26:                               ;   in Loop: Header=BB325_10 Depth=1
	s_or_b64 exec, exec, s[18:19]
	global_load_ubyte v34, v[8:9], off offset:256
	s_waitcnt vmcnt(0)
	v_cvt_f32_fp8_sdwa v34, v34 src0_sel:BYTE_0
	s_nop 0
	v_mul_f32_e32 v35, s45, v34
	v_and_b32_e32 v34, 0x7f800000, v35
	v_cmp_ne_u32_e64 s[0:1], s47, v34
                                        ; implicit-def: $vgpr34
	s_and_saveexec_b64 s[18:19], s[0:1]
	s_xor_b64 s[0:1], exec, s[18:19]
; %bb.27:                               ;   in Loop: Header=BB325_10 Depth=1
	v_bfe_u32 v34, v35, 16, 1
	v_add3_u32 v34, v35, v34, s48
                                        ; implicit-def: $vgpr35
; %bb.28:                               ;   in Loop: Header=BB325_10 Depth=1
	s_andn2_saveexec_b64 s[18:19], s[0:1]
; %bb.29:                               ;   in Loop: Header=BB325_10 Depth=1
	v_or_b32_e32 v34, 0x10000, v35
	v_cmp_eq_u32_sdwa s[0:1], v35, v3 src0_sel:WORD_0 src1_sel:DWORD
	s_nop 1
	v_cndmask_b32_e64 v34, v34, v35, s[0:1]
; %bb.30:                               ;   in Loop: Header=BB325_10 Depth=1
	s_or_b64 exec, exec, s[18:19]
	global_load_ubyte v35, v[8:9], off offset:264
	s_waitcnt vmcnt(0)
	v_cvt_f32_fp8_sdwa v35, v35 src0_sel:BYTE_0
	s_nop 0
	v_mul_f32_e32 v36, s45, v35
	v_and_b32_e32 v35, 0x7f800000, v36
	v_cmp_ne_u32_e64 s[0:1], s47, v35
                                        ; implicit-def: $vgpr35
	s_and_saveexec_b64 s[18:19], s[0:1]
	s_xor_b64 s[0:1], exec, s[18:19]
; %bb.31:                               ;   in Loop: Header=BB325_10 Depth=1
	v_bfe_u32 v35, v36, 16, 1
	v_add3_u32 v35, v36, v35, s48
                                        ; implicit-def: $vgpr36
; %bb.32:                               ;   in Loop: Header=BB325_10 Depth=1
	s_andn2_saveexec_b64 s[18:19], s[0:1]
; %bb.33:                               ;   in Loop: Header=BB325_10 Depth=1
	v_or_b32_e32 v35, 0x10000, v36
	v_cmp_eq_u32_sdwa s[0:1], v36, v3 src0_sel:WORD_0 src1_sel:DWORD
	s_nop 1
	v_cndmask_b32_e64 v35, v35, v36, s[0:1]
; %bb.34:                               ;   in Loop: Header=BB325_10 Depth=1
	s_or_b64 exec, exec, s[18:19]
	global_load_ubyte v36, v[8:9], off offset:384
	s_waitcnt vmcnt(0)
	v_cvt_f32_fp8_sdwa v36, v36 src0_sel:BYTE_0
	s_nop 0
	v_mul_f32_e32 v37, s45, v36
	v_and_b32_e32 v36, 0x7f800000, v37
	v_cmp_ne_u32_e64 s[0:1], s47, v36
                                        ; implicit-def: $vgpr36
	s_and_saveexec_b64 s[18:19], s[0:1]
	s_xor_b64 s[0:1], exec, s[18:19]
; %bb.35:                               ;   in Loop: Header=BB325_10 Depth=1
	v_bfe_u32 v36, v37, 16, 1
	v_add3_u32 v36, v37, v36, s48
                                        ; implicit-def: $vgpr37
; %bb.36:                               ;   in Loop: Header=BB325_10 Depth=1
	s_andn2_saveexec_b64 s[18:19], s[0:1]
; %bb.37:                               ;   in Loop: Header=BB325_10 Depth=1
	v_or_b32_e32 v36, 0x10000, v37
	v_cmp_eq_u32_sdwa s[0:1], v37, v3 src0_sel:WORD_0 src1_sel:DWORD
	s_nop 1
	v_cndmask_b32_e64 v36, v36, v37, s[0:1]
; %bb.38:                               ;   in Loop: Header=BB325_10 Depth=1
	s_or_b64 exec, exec, s[18:19]
	global_load_ubyte v8, v[8:9], off offset:392
	s_waitcnt vmcnt(0)
	v_cvt_f32_fp8_sdwa v8, v8 src0_sel:BYTE_0
	s_nop 0
	v_mul_f32_e32 v9, s45, v8
	v_and_b32_e32 v8, 0x7f800000, v9
	v_cmp_ne_u32_e64 s[0:1], s47, v8
                                        ; implicit-def: $vgpr8
	s_and_saveexec_b64 s[18:19], s[0:1]
	s_xor_b64 s[0:1], exec, s[18:19]
; %bb.39:                               ;   in Loop: Header=BB325_10 Depth=1
	v_bfe_u32 v8, v9, 16, 1
	v_add3_u32 v8, v9, v8, s48
                                        ; implicit-def: $vgpr9
; %bb.40:                               ;   in Loop: Header=BB325_10 Depth=1
	s_andn2_saveexec_b64 s[18:19], s[0:1]
; %bb.41:                               ;   in Loop: Header=BB325_10 Depth=1
	v_or_b32_e32 v8, 0x10000, v9
	v_cmp_eq_u32_sdwa s[0:1], v9, v3 src0_sel:WORD_0 src1_sel:DWORD
	s_nop 1
	v_cndmask_b32_e64 v8, v8, v9, s[0:1]
; %bb.42:                               ;   in Loop: Header=BB325_10 Depth=1
	s_or_b64 exec, exec, s[18:19]
	v_and_b32_e32 v31, 0xffff0000, v31
	v_and_b32_e32 v30, 0xffff0000, v30
	v_mul_f32_e32 v31, v14, v31
	v_and_b32_e32 v32, 0xffff0000, v32
	v_fmac_f32_e32 v31, v1, v30
	v_and_b32_e32 v33, 0xffff0000, v33
	v_fmac_f32_e32 v31, v15, v32
	;; [unrolled: 2-line block ×6, first 2 shown]
	v_fmac_f32_e32 v31, v22, v8
	ds_bpermute_b32 v8, v24, v31
	s_waitcnt lgkmcnt(0)
	v_add_f32_e32 v8, v31, v8
	ds_bpermute_b32 v9, v25, v8
	s_waitcnt lgkmcnt(0)
	v_add_f32_e32 v8, v8, v9
	ds_bpermute_b32 v9, v26, v8
	s_and_saveexec_b64 s[18:19], vcc
	s_cbranch_execz .LBB325_9
; %bb.43:                               ;   in Loop: Header=BB325_10 Depth=1
	v_add_u32_e32 v30, s46, v27
	v_cvt_f32_i32_e32 v30, v30
	s_waitcnt lgkmcnt(0)
	v_add_f32_e32 v8, v8, v9
	v_cmp_gt_i32_e64 s[0:1], s29, v27
	v_max_f32_e32 v9, v23, v23
	v_mul_f32_e32 v30, s3, v30
	v_cndmask_b32_e64 v30, 0, v30, s[8:9]
	v_fmac_f32_e32 v30, s39, v8
	v_cndmask_b32_e64 v8, 0, v30, s[0:1]
	ds_write_b32 v28, v8
	v_max_f32_e32 v8, v9, v30
	v_cndmask_b32_e64 v23, v23, v8, s[0:1]
	s_branch .LBB325_9
.LBB325_44:
	s_or_b64 exec, exec, s[12:13]
.LBB325_45:
	s_or_b64 exec, exec, s[40:41]
	v_xor_b32_e32 v1, 32, v12
	v_cmp_lt_i32_e32 vcc, v1, v13
	v_xor_b32_e32 v4, 16, v12
	v_max_f32_e32 v2, v23, v23
	v_cndmask_b32_e32 v1, v12, v1, vcc
	v_lshlrev_b32_e32 v3, 2, v1
	ds_bpermute_b32 v1, v3, v23
	v_cmp_lt_i32_e32 vcc, v4, v13
	v_xor_b32_e32 v5, 8, v12
	s_waitcnt lgkmcnt(0)
	v_max_f32_e32 v1, v1, v1
	v_max_f32_e32 v1, v2, v1
	v_cndmask_b32_e32 v2, v12, v4, vcc
	v_lshlrev_b32_e32 v6, 2, v2
	ds_bpermute_b32 v2, v6, v1
	v_cmp_lt_i32_e32 vcc, v5, v13
	s_waitcnt lgkmcnt(0)
	v_max_f32_e32 v2, v2, v2
	v_max_f32_e32 v4, v1, v2
	v_cndmask_b32_e32 v1, v12, v5, vcc
	v_lshlrev_b32_e32 v7, 2, v1
	ds_bpermute_b32 v5, v7, v4
	v_and_b32_e32 v1, 63, v0
	v_cmp_eq_u32_e32 vcc, 0, v1
	v_lshlrev_b32_e32 v2, 2, v16
	s_and_saveexec_b64 s[0:1], vcc
	s_cbranch_execz .LBB325_47
; %bb.46:
	s_waitcnt lgkmcnt(0)
	v_max_f32_e32 v5, v5, v5
	v_max_f32_e32 v4, v4, v4
	;; [unrolled: 1-line block ×3, first 2 shown]
	ds_write_b32 v2, v4 offset:128
.LBB325_47:
	s_or_b64 exec, exec, s[0:1]
	v_cmp_gt_u32_e64 s[0:1], 2, v1
	v_mov_b32_e32 v4, 0xff7fffff
	s_waitcnt lgkmcnt(0)
	v_lshlrev_b32_e32 v5, 2, v1
	s_barrier
	s_and_saveexec_b64 s[8:9], s[0:1]
	s_cbranch_execz .LBB325_49
; %bb.48:
	ds_read_b32 v4, v5 offset:128
.LBB325_49:
	s_or_b64 exec, exec, s[8:9]
	v_xor_b32_e32 v8, 1, v12
	v_cmp_lt_i32_e64 s[8:9], v8, v13
	s_sub_i32 s3, s33, s16
	s_lshl_b32 s3, s3, 3
	v_cndmask_b32_e64 v8, v12, v8, s[8:9]
	v_lshlrev_b32_e32 v8, 2, v8
	s_waitcnt lgkmcnt(0)
	ds_bpermute_b32 v9, v8, v4
	v_max_f32_e32 v4, v4, v4
	s_add_i32 s3, s3, s42
	s_min_i32 s40, s3, s29
	s_sub_i32 s3, s40, s42
	s_waitcnt lgkmcnt(0)
	v_max_f32_e32 v9, v9, v9
	v_max_f32_e32 v4, v4, v9
	v_lshlrev_b32_e32 v9, 2, v12
	v_and_b32_e32 v9, 0xffffff00, v9
	ds_bpermute_b32 v4, v9, v4
	v_cmp_gt_i32_e64 s[8:9], s3, v0
	v_mov_b32_e32 v14, 0
	s_and_saveexec_b64 s[18:19], s[8:9]
	s_cbranch_execz .LBB325_53
; %bb.50:
	v_mov_b32_e32 v14, 0x90
	v_lshl_add_u32 v15, v0, 2, v14
	s_mov_b64 s[38:39], 0
	v_mov_b32_e32 v14, 0
	v_mov_b32_e32 v18, v0
.LBB325_51:                             ; =>This Inner Loop Header: Depth=1
	ds_read_b32 v19, v15
	v_add_u32_e32 v18, 0x80, v18
	v_cmp_le_i32_e64 s[12:13], s3, v18
	s_or_b64 s[38:39], s[12:13], s[38:39]
	s_waitcnt lgkmcnt(0)
	v_sub_f32_e32 v19, v19, v4
	v_mul_f32_e32 v19, 0x3fb8aa3b, v19
	v_exp_f32_e32 v19, v19
	ds_write_b32 v15, v19
	v_add_f32_e32 v14, v14, v19
	v_add_u32_e32 v15, 0x200, v15
	s_andn2_b64 exec, exec, s[38:39]
	s_cbranch_execnz .LBB325_51
; %bb.52:
	s_or_b64 exec, exec, s[38:39]
.LBB325_53:
	s_or_b64 exec, exec, s[18:19]
	ds_bpermute_b32 v3, v3, v14
	s_waitcnt lgkmcnt(0)
	v_add_f32_e32 v3, v14, v3
	ds_bpermute_b32 v6, v6, v3
	s_waitcnt lgkmcnt(0)
	v_add_f32_e32 v3, v3, v6
	ds_bpermute_b32 v6, v7, v3
	v_xor_b32_e32 v7, 4, v12
	v_cmp_lt_i32_e64 s[12:13], v7, v13
	s_waitcnt lgkmcnt(0)
	v_add_f32_e32 v3, v3, v6
	v_cndmask_b32_e64 v7, v12, v7, s[12:13]
	v_lshlrev_b32_e32 v7, 2, v7
	ds_bpermute_b32 v6, v7, v3
	v_xor_b32_e32 v7, 2, v12
	v_cmp_lt_i32_e64 s[12:13], v7, v13
	s_waitcnt lgkmcnt(0)
	v_add_f32_e32 v3, v3, v6
	v_cndmask_b32_e64 v7, v12, v7, s[12:13]
	v_lshlrev_b32_e32 v6, 2, v7
	ds_bpermute_b32 v6, v6, v3
	s_waitcnt lgkmcnt(0)
	v_add_f32_e32 v3, v3, v6
	ds_bpermute_b32 v6, v8, v3
	s_waitcnt lgkmcnt(0)
	v_add_f32_e32 v3, v3, v6
	s_and_saveexec_b64 s[12:13], vcc
	s_cbranch_execz .LBB325_55
; %bb.54:
	ds_write_b32 v2, v3 offset:136
.LBB325_55:
	s_or_b64 exec, exec, s[12:13]
	s_waitcnt lgkmcnt(0)
	s_barrier
	s_and_saveexec_b64 s[12:13], s[0:1]
	s_cbranch_execz .LBB325_57
; %bb.56:
	ds_read_b32 v3, v5 offset:136
.LBB325_57:
	s_or_b64 exec, exec, s[12:13]
	s_waitcnt lgkmcnt(0)
	ds_bpermute_b32 v2, v8, v3
	s_waitcnt lgkmcnt(0)
	v_add_f32_e32 v2, v3, v2
	ds_bpermute_b32 v5, v9, v2
	s_and_saveexec_b64 s[0:1], s[8:9]
	s_cbranch_execz .LBB325_70
; %bb.58:
	s_waitcnt lgkmcnt(0)
	v_add_f32_e32 v2, 0x358637bd, v5
	v_div_scale_f32 v3, s[8:9], v2, v2, 1.0
	v_rcp_f32_e32 v6, v3
	v_div_scale_f32 v7, vcc, 1.0, v2, 1.0
	s_movk_i32 s8, 0x7f
	v_fma_f32 v8, -v3, v6, 1.0
	v_fmac_f32_e32 v6, v8, v6
	v_mul_f32_e32 v8, v7, v6
	v_fma_f32 v9, -v3, v8, v7
	v_fmac_f32_e32 v8, v9, v6
	v_fma_f32 v3, -v3, v8, v7
	v_div_fmas_f32 v3, v3, v6, v8
	v_div_fixup_f32 v2, v3, v2, 1.0
	v_xad_u32 v3, v0, -1, s40
	v_subrev_u32_e32 v6, s42, v3
	v_cmp_lt_u32_e32 vcc, s8, v6
	s_mov_b64 s[12:13], -1
	v_mov_b32_e32 v3, v0
	s_and_saveexec_b64 s[8:9], vcc
	s_cbranch_execz .LBB325_67
; %bb.59:
	v_lshrrev_b32_e32 v6, 7, v6
	v_add_u32_e32 v8, -1, v6
	v_lshrrev_b32_e32 v7, 1, v8
	v_mov_b32_e32 v3, v2
	v_add_u32_e32 v7, 1, v7
	v_cmp_lt_u32_e32 vcc, 13, v8
	v_mov_b32_e32 v12, 0
	s_and_saveexec_b64 s[12:13], vcc
	s_cbranch_execz .LBB325_63
; %bb.60:
	v_mov_b32_e32 v9, 0x90
	v_and_b32_e32 v8, -8, v7
	v_lshl_add_u32 v9, v0, 2, v9
	s_mov_b32 s38, 0
	s_mov_b64 s[18:19], 0
.LBB325_61:                             ; =>This Inner Loop Header: Depth=1
	ds_read2st64_b32 v[12:13], v9 offset1:2
	ds_read2st64_b32 v[14:15], v9 offset0:4 offset1:6
	ds_read2st64_b32 v[18:19], v9 offset0:8 offset1:10
	;; [unrolled: 1-line block ×3, first 2 shown]
	v_add_u32_e32 v8, -8, v8
	s_waitcnt lgkmcnt(3)
	v_pk_mul_f32 v[12:13], v[2:3], v[12:13]
	s_waitcnt lgkmcnt(2)
	v_pk_mul_f32 v[14:15], v[2:3], v[14:15]
	ds_write2st64_b32 v9, v12, v13 offset1:2
	ds_write2st64_b32 v9, v14, v15 offset0:4 offset1:6
	ds_read2st64_b32 v[14:15], v9 offset0:16 offset1:18
	s_waitcnt lgkmcnt(4)
	v_pk_mul_f32 v[12:13], v[2:3], v[18:19]
	ds_write2st64_b32 v9, v12, v13 offset0:8 offset1:10
	s_waitcnt lgkmcnt(4)
	v_pk_mul_f32 v[12:13], v[2:3], v[20:21]
	ds_write2st64_b32 v9, v12, v13 offset0:12 offset1:14
	ds_read2st64_b32 v[12:13], v9 offset0:20 offset1:22
	s_waitcnt lgkmcnt(3)
	v_pk_mul_f32 v[14:15], v[2:3], v[14:15]
	ds_read2st64_b32 v[18:19], v9 offset0:24 offset1:26
	ds_write2st64_b32 v9, v14, v15 offset0:16 offset1:18
	ds_read2st64_b32 v[14:15], v9 offset0:28 offset1:30
	s_waitcnt lgkmcnt(3)
	v_pk_mul_f32 v[12:13], v[2:3], v[12:13]
	ds_write2st64_b32 v9, v12, v13 offset0:20 offset1:22
	s_waitcnt lgkmcnt(3)
	v_pk_mul_f32 v[12:13], v[2:3], v[18:19]
	ds_write2st64_b32 v9, v12, v13 offset0:24 offset1:26
	s_waitcnt lgkmcnt(2)
	v_pk_mul_f32 v[12:13], v[2:3], v[14:15]
	s_add_i32 s38, s38, 16
	v_cmp_eq_u32_e32 vcc, 0, v8
	ds_write2st64_b32 v9, v12, v13 offset0:28 offset1:30
	v_add_u32_e32 v9, 0x2000, v9
	s_or_b64 s[18:19], vcc, s[18:19]
	v_mov_b32_e32 v12, s38
	s_andn2_b64 exec, exec, s[18:19]
	s_cbranch_execnz .LBB325_61
; %bb.62:
	s_or_b64 exec, exec, s[18:19]
.LBB325_63:
	s_or_b64 exec, exec, s[12:13]
	v_and_b32_e32 v7, 7, v7
	v_cmp_ne_u32_e32 vcc, 0, v7
	s_and_saveexec_b64 s[12:13], vcc
	s_cbranch_execz .LBB325_66
; %bb.64:
	v_lshlrev_b32_e32 v8, 9, v12
	v_lshlrev_b32_e32 v9, 2, v0
	s_movk_i32 s18, 0x90
	v_add3_u32 v8, v8, v9, s18
	s_mov_b64 s[18:19], 0
.LBB325_65:                             ; =>This Inner Loop Header: Depth=1
	ds_read2st64_b32 v[12:13], v8 offset1:2
	v_add_u32_e32 v7, -1, v7
	v_cmp_eq_u32_e32 vcc, 0, v7
	s_or_b64 s[18:19], vcc, s[18:19]
	s_waitcnt lgkmcnt(0)
	v_pk_mul_f32 v[12:13], v[2:3], v[12:13]
	ds_write2st64_b32 v8, v12, v13 offset1:2
	v_add_u32_e32 v8, 0x400, v8
	s_andn2_b64 exec, exec, s[18:19]
	s_cbranch_execnz .LBB325_65
.LBB325_66:
	s_or_b64 exec, exec, s[12:13]
	v_add_u32_e32 v6, 1, v6
	v_and_b32_e32 v7, 0x3fffffe, v6
	v_cmp_ne_u32_e32 vcc, v6, v7
	v_lshl_add_u32 v3, v7, 7, v0
	s_orn2_b64 s[12:13], vcc, exec
.LBB325_67:
	s_or_b64 exec, exec, s[8:9]
	s_and_b64 exec, exec, s[12:13]
	s_cbranch_execz .LBB325_70
; %bb.68:
	v_mov_b32_e32 v6, 0x90
	v_lshl_add_u32 v6, v3, 2, v6
	s_mov_b64 s[8:9], 0
.LBB325_69:                             ; =>This Inner Loop Header: Depth=1
	ds_read_b32 v7, v6
	v_add_u32_e32 v3, 0x80, v3
	v_cmp_le_i32_e32 vcc, s3, v3
	s_or_b64 s[8:9], vcc, s[8:9]
	s_waitcnt lgkmcnt(0)
	v_mul_f32_e32 v7, v2, v7
	ds_write_b32 v6, v7
	v_add_u32_e32 v6, 0x200, v6
	s_andn2_b64 exec, exec, s[8:9]
	s_cbranch_execnz .LBB325_69
.LBB325_70:
	s_or_b64 exec, exec, s[0:1]
	s_mul_i32 s0, s25, s28
	v_cmp_eq_u32_e32 vcc, 0, v0
	s_mul_i32 s0, s0, s5
	s_waitcnt lgkmcnt(0)
	s_barrier
	s_and_saveexec_b64 s[8:9], vcc
	s_cbranch_execz .LBB325_72
; %bb.71:
	s_ashr_i32 s1, s0, 31
	s_lshl_b64 s[12:13], s[0:1], 2
	s_add_u32 s1, s22, s12
	s_mul_i32 s2, s25, s2
	s_addc_u32 s5, s23, s13
	s_ashr_i32 s3, s2, 31
	s_lshl_b64 s[2:3], s[2:3], 2
	s_add_u32 s1, s1, s2
	s_addc_u32 s19, s5, s3
	s_ashr_i32 s5, s4, 31
	s_lshl_b64 s[4:5], s[4:5], 2
	s_add_u32 s18, s1, s4
	s_addc_u32 s19, s19, s5
	s_add_u32 s1, s20, s12
	s_addc_u32 s12, s21, s13
	;; [unrolled: 2-line block ×3, first 2 shown]
	s_add_u32 s2, s1, s4
	v_mov_b32_e32 v2, 0
	s_addc_u32 s3, s3, s5
	global_store_dword v2, v4, s[18:19]
	global_store_dword v2, v5, s[2:3]
.LBB325_72:
	s_or_b64 exec, exec, s[8:9]
	v_mov_b32_e32 v12, 0
	s_and_saveexec_b64 s[2:3], s[6:7]
	s_cbranch_execz .LBB325_174
; %bb.73:
	s_ashr_i32 s5, s44, 31
	s_add_u32 s4, s36, s44
	s_addc_u32 s5, s37, s5
	v_lshlrev_b32_e32 v12, 3, v1
	v_mov_b32_e32 v13, 0
	s_load_dword s8, s[14:15], 0x0
	v_lshl_add_u64 v[14:15], s[4:5], 0, v[12:13]
	s_add_i32 s43, s43, -1
	s_lshl_b64 s[4:5], s[34:35], 2
	s_add_u32 s4, s30, s4
	v_mov_b32_e32 v2, 0x90
	s_addc_u32 s5, s31, s5
	s_mov_b32 s1, s17
	v_add3_u32 v18, s42, v17, 7
	v_lshl_add_u32 v19, v16, 5, v2
	v_lshl_add_u64 v[16:17], v[10:11], 2, s[4:5]
	s_mov_b64 s[4:5], 0
	s_mov_b32 s9, 0x7f800000
	s_movk_i32 s12, 0x7fff
	v_mov_b32_e32 v12, 0
	s_branch .LBB325_75
.LBB325_74:                             ;   in Loop: Header=BB325_75 Depth=1
	s_or_b64 exec, exec, s[6:7]
	v_and_b32_e32 v7, 0xffff0000, v6
	v_and_b32_e32 v6, 0xffff0000, v8
	;; [unrolled: 1-line block ×8, first 2 shown]
	v_pk_add_f32 v[2:3], v[4:5], v[8:9]
	v_pk_add_f32 v[4:5], v[22:23], v[6:7]
	v_add_f32_e32 v2, v2, v3
	v_add_f32_e32 v2, v2, v4
	v_add_u32_e32 v10, 2, v10
	v_add_f32_e32 v2, v2, v5
	v_cmp_le_i32_e32 vcc, s33, v10
	v_add_f32_e32 v12, v12, v2
	v_add_u32_e32 v18, 16, v18
	v_add_u32_e32 v19, 64, v19
	s_or_b64 s[4:5], vcc, s[4:5]
	v_lshl_add_u64 v[16:17], v[16:17], 0, 8
	s_andn2_b64 exec, exec, s[4:5]
	s_cbranch_execz .LBB325_173
.LBB325_75:                             ; =>This Inner Loop Header: Depth=1
	global_load_dword v23, v[16:17], off
	ds_read2_b64 v[6:9], v19 offset1:1
	ds_read2_b64 v[2:5], v19 offset0:2 offset1:3
                                        ; implicit-def: $vgpr22
	s_waitcnt lgkmcnt(0)
	v_and_b32_e32 v11, 0x7f800000, v6
	v_cmp_ne_u32_e32 vcc, s9, v11
	s_and_saveexec_b64 s[6:7], vcc
	s_xor_b64 s[6:7], exec, s[6:7]
; %bb.76:                               ;   in Loop: Header=BB325_75 Depth=1
	v_bfe_u32 v11, v6, 16, 1
	v_add3_u32 v22, v6, v11, s12
; %bb.77:                               ;   in Loop: Header=BB325_75 Depth=1
	s_andn2_saveexec_b64 s[6:7], s[6:7]
; %bb.78:                               ;   in Loop: Header=BB325_75 Depth=1
	v_or_b32_e32 v11, 0x10000, v6
	v_cmp_eq_u32_sdwa vcc, v6, v13 src0_sel:WORD_0 src1_sel:DWORD
	s_nop 1
	v_cndmask_b32_e32 v22, v11, v6, vcc
; %bb.79:                               ;   in Loop: Header=BB325_75 Depth=1
	s_or_b64 exec, exec, s[6:7]
	v_and_b32_e32 v6, 0x7f800000, v7
	v_cmp_ne_u32_e32 vcc, s9, v6
                                        ; implicit-def: $vgpr21
	s_and_saveexec_b64 s[6:7], vcc
	s_xor_b64 s[6:7], exec, s[6:7]
; %bb.80:                               ;   in Loop: Header=BB325_75 Depth=1
	v_bfe_u32 v6, v7, 16, 1
	v_add3_u32 v21, v7, v6, s12
; %bb.81:                               ;   in Loop: Header=BB325_75 Depth=1
	s_andn2_saveexec_b64 s[6:7], s[6:7]
; %bb.82:                               ;   in Loop: Header=BB325_75 Depth=1
	v_or_b32_e32 v6, 0x10000, v7
	v_cmp_eq_u32_sdwa vcc, v7, v13 src0_sel:WORD_0 src1_sel:DWORD
	s_nop 1
	v_cndmask_b32_e32 v21, v6, v7, vcc
; %bb.83:                               ;   in Loop: Header=BB325_75 Depth=1
	s_or_b64 exec, exec, s[6:7]
	v_and_b32_e32 v6, 0x7f800000, v8
	v_cmp_ne_u32_e32 vcc, s9, v6
                                        ; implicit-def: $vgpr20
	s_and_saveexec_b64 s[6:7], vcc
	s_xor_b64 s[6:7], exec, s[6:7]
; %bb.84:                               ;   in Loop: Header=BB325_75 Depth=1
	v_bfe_u32 v6, v8, 16, 1
	v_add3_u32 v20, v8, v6, s12
; %bb.85:                               ;   in Loop: Header=BB325_75 Depth=1
	s_andn2_saveexec_b64 s[6:7], s[6:7]
; %bb.86:                               ;   in Loop: Header=BB325_75 Depth=1
	v_or_b32_e32 v6, 0x10000, v8
	v_cmp_eq_u32_sdwa vcc, v8, v13 src0_sel:WORD_0 src1_sel:DWORD
	s_nop 1
	v_cndmask_b32_e32 v20, v6, v8, vcc
; %bb.87:                               ;   in Loop: Header=BB325_75 Depth=1
	s_or_b64 exec, exec, s[6:7]
	v_and_b32_e32 v6, 0x7f800000, v9
	v_cmp_ne_u32_e32 vcc, s9, v6
                                        ; implicit-def: $vgpr11
	s_and_saveexec_b64 s[6:7], vcc
	s_xor_b64 s[6:7], exec, s[6:7]
; %bb.88:                               ;   in Loop: Header=BB325_75 Depth=1
	v_bfe_u32 v6, v9, 16, 1
	v_add3_u32 v11, v9, v6, s12
                                        ; implicit-def: $vgpr6_vgpr7_vgpr8_vgpr9
; %bb.89:                               ;   in Loop: Header=BB325_75 Depth=1
	s_andn2_saveexec_b64 s[6:7], s[6:7]
; %bb.90:                               ;   in Loop: Header=BB325_75 Depth=1
	v_or_b32_e32 v6, 0x10000, v9
	v_cmp_eq_u32_sdwa vcc, v9, v13 src0_sel:WORD_0 src1_sel:DWORD
	s_nop 1
	v_cndmask_b32_e32 v11, v6, v9, vcc
; %bb.91:                               ;   in Loop: Header=BB325_75 Depth=1
	s_or_b64 exec, exec, s[6:7]
	v_and_b32_e32 v6, 0x7f800000, v2
	v_cmp_ne_u32_e32 vcc, s9, v6
                                        ; implicit-def: $vgpr9
	s_and_saveexec_b64 s[6:7], vcc
	s_xor_b64 s[6:7], exec, s[6:7]
; %bb.92:                               ;   in Loop: Header=BB325_75 Depth=1
	v_bfe_u32 v6, v2, 16, 1
	v_add3_u32 v9, v2, v6, s12
; %bb.93:                               ;   in Loop: Header=BB325_75 Depth=1
	s_andn2_saveexec_b64 s[6:7], s[6:7]
; %bb.94:                               ;   in Loop: Header=BB325_75 Depth=1
	v_or_b32_e32 v6, 0x10000, v2
	v_cmp_eq_u32_sdwa vcc, v2, v13 src0_sel:WORD_0 src1_sel:DWORD
	s_nop 1
	v_cndmask_b32_e32 v9, v6, v2, vcc
; %bb.95:                               ;   in Loop: Header=BB325_75 Depth=1
	s_or_b64 exec, exec, s[6:7]
	v_and_b32_e32 v2, 0x7f800000, v3
	v_cmp_ne_u32_e32 vcc, s9, v2
                                        ; implicit-def: $vgpr8
	s_and_saveexec_b64 s[6:7], vcc
	s_xor_b64 s[6:7], exec, s[6:7]
; %bb.96:                               ;   in Loop: Header=BB325_75 Depth=1
	v_bfe_u32 v2, v3, 16, 1
	v_add3_u32 v8, v3, v2, s12
; %bb.97:                               ;   in Loop: Header=BB325_75 Depth=1
	s_andn2_saveexec_b64 s[6:7], s[6:7]
; %bb.98:                               ;   in Loop: Header=BB325_75 Depth=1
	v_or_b32_e32 v2, 0x10000, v3
	v_cmp_eq_u32_sdwa vcc, v3, v13 src0_sel:WORD_0 src1_sel:DWORD
	s_nop 1
	v_cndmask_b32_e32 v8, v2, v3, vcc
; %bb.99:                               ;   in Loop: Header=BB325_75 Depth=1
	s_or_b64 exec, exec, s[6:7]
	v_and_b32_e32 v2, 0x7f800000, v4
	v_cmp_ne_u32_e32 vcc, s9, v2
                                        ; implicit-def: $vgpr7
	s_and_saveexec_b64 s[6:7], vcc
	s_xor_b64 s[6:7], exec, s[6:7]
; %bb.100:                              ;   in Loop: Header=BB325_75 Depth=1
	v_bfe_u32 v2, v4, 16, 1
	v_add3_u32 v7, v4, v2, s12
; %bb.101:                              ;   in Loop: Header=BB325_75 Depth=1
	s_andn2_saveexec_b64 s[6:7], s[6:7]
; %bb.102:                              ;   in Loop: Header=BB325_75 Depth=1
	v_or_b32_e32 v2, 0x10000, v4
	v_cmp_eq_u32_sdwa vcc, v4, v13 src0_sel:WORD_0 src1_sel:DWORD
	s_nop 1
	v_cndmask_b32_e32 v7, v2, v4, vcc
; %bb.103:                              ;   in Loop: Header=BB325_75 Depth=1
	s_or_b64 exec, exec, s[6:7]
	v_and_b32_e32 v2, 0x7f800000, v5
	v_cmp_ne_u32_e32 vcc, s9, v2
                                        ; implicit-def: $vgpr6
	s_and_saveexec_b64 s[6:7], vcc
	s_xor_b64 s[6:7], exec, s[6:7]
; %bb.104:                              ;   in Loop: Header=BB325_75 Depth=1
	v_bfe_u32 v2, v5, 16, 1
	v_add3_u32 v6, v5, v2, s12
                                        ; implicit-def: $vgpr2_vgpr3_vgpr4_vgpr5
; %bb.105:                              ;   in Loop: Header=BB325_75 Depth=1
	s_andn2_saveexec_b64 s[6:7], s[6:7]
; %bb.106:                              ;   in Loop: Header=BB325_75 Depth=1
	v_or_b32_e32 v2, 0x10000, v5
	v_cmp_eq_u32_sdwa vcc, v5, v13 src0_sel:WORD_0 src1_sel:DWORD
	s_nop 1
	v_cndmask_b32_e32 v6, v2, v5, vcc
; %bb.107:                              ;   in Loop: Header=BB325_75 Depth=1
	s_or_b64 exec, exec, s[6:7]
	s_waitcnt vmcnt(0)
	v_mad_i64_i32 v[2:3], s[6:7], v23, s1, v[14:15]
	global_load_dwordx2 v[2:3], v[2:3], off
	s_waitcnt vmcnt(0)
	v_and_b32_e32 v4, 0xff, v2
	v_cvt_f32_fp8_sdwa v4, v4 src0_sel:BYTE_0
	s_nop 0
	v_mul_f32_e32 v5, s8, v4
	v_and_b32_e32 v4, 0x7f800000, v5
	v_cmp_ne_u32_e32 vcc, s9, v4
                                        ; implicit-def: $vgpr4
	s_and_saveexec_b64 s[6:7], vcc
	s_xor_b64 s[6:7], exec, s[6:7]
; %bb.108:                              ;   in Loop: Header=BB325_75 Depth=1
	v_bfe_u32 v4, v5, 16, 1
	v_add3_u32 v4, v5, v4, s12
                                        ; implicit-def: $vgpr5
; %bb.109:                              ;   in Loop: Header=BB325_75 Depth=1
	s_andn2_saveexec_b64 s[6:7], s[6:7]
; %bb.110:                              ;   in Loop: Header=BB325_75 Depth=1
	v_or_b32_e32 v4, 0x10000, v5
	v_cmp_eq_u32_sdwa vcc, v5, v13 src0_sel:WORD_0 src1_sel:DWORD
	s_nop 1
	v_cndmask_b32_e32 v4, v4, v5, vcc
; %bb.111:                              ;   in Loop: Header=BB325_75 Depth=1
	s_or_b64 exec, exec, s[6:7]
	v_bfe_u32 v5, v2, 8, 8
	v_cvt_f32_fp8_sdwa v5, v5 src0_sel:BYTE_0
	s_nop 0
	v_mul_f32_e32 v23, s8, v5
	v_and_b32_e32 v5, 0x7f800000, v23
	v_cmp_ne_u32_e32 vcc, s9, v5
                                        ; implicit-def: $vgpr5
	s_and_saveexec_b64 s[6:7], vcc
	s_xor_b64 s[6:7], exec, s[6:7]
; %bb.112:                              ;   in Loop: Header=BB325_75 Depth=1
	v_bfe_u32 v5, v23, 16, 1
	v_add3_u32 v5, v23, v5, s12
                                        ; implicit-def: $vgpr23
; %bb.113:                              ;   in Loop: Header=BB325_75 Depth=1
	s_andn2_saveexec_b64 s[6:7], s[6:7]
; %bb.114:                              ;   in Loop: Header=BB325_75 Depth=1
	v_or_b32_e32 v5, 0x10000, v23
	v_cmp_eq_u32_sdwa vcc, v23, v13 src0_sel:WORD_0 src1_sel:DWORD
	s_nop 1
	v_cndmask_b32_e32 v5, v5, v23, vcc
; %bb.115:                              ;   in Loop: Header=BB325_75 Depth=1
	s_or_b64 exec, exec, s[6:7]
	v_bfe_u32 v23, v2, 16, 8
	v_cvt_f32_fp8_sdwa v23, v23 src0_sel:BYTE_0
                                        ; implicit-def: $vgpr25
	s_nop 0
	v_mul_f32_e32 v23, s8, v23
	v_and_b32_e32 v24, 0x7f800000, v23
	v_cmp_ne_u32_e32 vcc, s9, v24
	s_and_saveexec_b64 s[6:7], vcc
	s_xor_b64 s[6:7], exec, s[6:7]
; %bb.116:                              ;   in Loop: Header=BB325_75 Depth=1
	v_bfe_u32 v24, v23, 16, 1
	v_add3_u32 v25, v23, v24, s12
                                        ; implicit-def: $vgpr23
; %bb.117:                              ;   in Loop: Header=BB325_75 Depth=1
	s_andn2_saveexec_b64 s[6:7], s[6:7]
; %bb.118:                              ;   in Loop: Header=BB325_75 Depth=1
	v_or_b32_e32 v24, 0x10000, v23
	v_cmp_eq_u32_sdwa vcc, v23, v13 src0_sel:WORD_0 src1_sel:DWORD
	s_nop 1
	v_cndmask_b32_e32 v25, v24, v23, vcc
; %bb.119:                              ;   in Loop: Header=BB325_75 Depth=1
	s_or_b64 exec, exec, s[6:7]
	v_lshrrev_b32_e32 v2, 24, v2
	v_cvt_f32_fp8_sdwa v2, v2 src0_sel:BYTE_0
	s_nop 0
	v_mul_f32_e32 v23, s8, v2
	v_and_b32_e32 v2, 0x7f800000, v23
	v_cmp_ne_u32_e32 vcc, s9, v2
                                        ; implicit-def: $vgpr2
	s_and_saveexec_b64 s[6:7], vcc
	s_xor_b64 s[6:7], exec, s[6:7]
; %bb.120:                              ;   in Loop: Header=BB325_75 Depth=1
	v_bfe_u32 v2, v23, 16, 1
	v_add3_u32 v2, v23, v2, s12
                                        ; implicit-def: $vgpr23
; %bb.121:                              ;   in Loop: Header=BB325_75 Depth=1
	s_andn2_saveexec_b64 s[6:7], s[6:7]
; %bb.122:                              ;   in Loop: Header=BB325_75 Depth=1
	v_or_b32_e32 v2, 0x10000, v23
	v_cmp_eq_u32_sdwa vcc, v23, v13 src0_sel:WORD_0 src1_sel:DWORD
	s_nop 1
	v_cndmask_b32_e32 v2, v2, v23, vcc
; %bb.123:                              ;   in Loop: Header=BB325_75 Depth=1
	s_or_b64 exec, exec, s[6:7]
	v_and_b32_e32 v23, 0xff, v3
	v_cvt_f32_fp8_sdwa v23, v23 src0_sel:BYTE_0
	s_nop 0
	v_mul_f32_e32 v23, s8, v23
	v_and_b32_e32 v24, 0x7f800000, v23
	v_cmp_ne_u32_e32 vcc, s9, v24
                                        ; implicit-def: $vgpr24
	s_and_saveexec_b64 s[6:7], vcc
	s_xor_b64 s[6:7], exec, s[6:7]
; %bb.124:                              ;   in Loop: Header=BB325_75 Depth=1
	v_bfe_u32 v24, v23, 16, 1
	v_add3_u32 v24, v23, v24, s12
                                        ; implicit-def: $vgpr23
; %bb.125:                              ;   in Loop: Header=BB325_75 Depth=1
	s_andn2_saveexec_b64 s[6:7], s[6:7]
; %bb.126:                              ;   in Loop: Header=BB325_75 Depth=1
	v_or_b32_e32 v24, 0x10000, v23
	v_cmp_eq_u32_sdwa vcc, v23, v13 src0_sel:WORD_0 src1_sel:DWORD
	s_nop 1
	v_cndmask_b32_e32 v24, v24, v23, vcc
; %bb.127:                              ;   in Loop: Header=BB325_75 Depth=1
	s_or_b64 exec, exec, s[6:7]
	v_bfe_u32 v23, v3, 8, 8
	v_cvt_f32_fp8_sdwa v23, v23 src0_sel:BYTE_0
	s_nop 0
	v_mul_f32_e32 v26, s8, v23
	v_and_b32_e32 v23, 0x7f800000, v26
	v_cmp_ne_u32_e32 vcc, s9, v23
                                        ; implicit-def: $vgpr23
	s_and_saveexec_b64 s[6:7], vcc
	s_xor_b64 s[6:7], exec, s[6:7]
; %bb.128:                              ;   in Loop: Header=BB325_75 Depth=1
	v_bfe_u32 v23, v26, 16, 1
	v_add3_u32 v23, v26, v23, s12
                                        ; implicit-def: $vgpr26
; %bb.129:                              ;   in Loop: Header=BB325_75 Depth=1
	s_andn2_saveexec_b64 s[6:7], s[6:7]
; %bb.130:                              ;   in Loop: Header=BB325_75 Depth=1
	v_or_b32_e32 v23, 0x10000, v26
	v_cmp_eq_u32_sdwa vcc, v26, v13 src0_sel:WORD_0 src1_sel:DWORD
	s_nop 1
	v_cndmask_b32_e32 v23, v23, v26, vcc
; %bb.131:                              ;   in Loop: Header=BB325_75 Depth=1
	s_or_b64 exec, exec, s[6:7]
	v_bfe_u32 v26, v3, 16, 8
	v_cvt_f32_fp8_sdwa v26, v26 src0_sel:BYTE_0
	s_nop 0
	v_mul_f32_e32 v26, s8, v26
	v_and_b32_e32 v27, 0x7f800000, v26
	v_cmp_ne_u32_e32 vcc, s9, v27
                                        ; implicit-def: $vgpr27
	s_and_saveexec_b64 s[6:7], vcc
	s_xor_b64 s[6:7], exec, s[6:7]
; %bb.132:                              ;   in Loop: Header=BB325_75 Depth=1
	v_bfe_u32 v27, v26, 16, 1
	v_add3_u32 v27, v26, v27, s12
                                        ; implicit-def: $vgpr26
; %bb.133:                              ;   in Loop: Header=BB325_75 Depth=1
	s_andn2_saveexec_b64 s[6:7], s[6:7]
; %bb.134:                              ;   in Loop: Header=BB325_75 Depth=1
	v_or_b32_e32 v27, 0x10000, v26
	v_cmp_eq_u32_sdwa vcc, v26, v13 src0_sel:WORD_0 src1_sel:DWORD
	s_nop 1
	v_cndmask_b32_e32 v27, v27, v26, vcc
; %bb.135:                              ;   in Loop: Header=BB325_75 Depth=1
	s_or_b64 exec, exec, s[6:7]
	v_lshrrev_b32_e32 v3, 24, v3
	v_cvt_f32_fp8_sdwa v3, v3 src0_sel:BYTE_0
                                        ; implicit-def: $vgpr28
	s_nop 0
	v_mul_f32_e32 v3, s8, v3
	v_and_b32_e32 v26, 0x7f800000, v3
	v_cmp_ne_u32_e32 vcc, s9, v26
	s_and_saveexec_b64 s[6:7], vcc
	s_xor_b64 s[6:7], exec, s[6:7]
; %bb.136:                              ;   in Loop: Header=BB325_75 Depth=1
	v_bfe_u32 v26, v3, 16, 1
	v_add3_u32 v28, v3, v26, s12
                                        ; implicit-def: $vgpr3
; %bb.137:                              ;   in Loop: Header=BB325_75 Depth=1
	s_andn2_saveexec_b64 s[6:7], s[6:7]
; %bb.138:                              ;   in Loop: Header=BB325_75 Depth=1
	v_or_b32_e32 v26, 0x10000, v3
	v_cmp_eq_u32_sdwa vcc, v3, v13 src0_sel:WORD_0 src1_sel:DWORD
	s_nop 1
	v_cndmask_b32_e32 v28, v26, v3, vcc
; %bb.139:                              ;   in Loop: Header=BB325_75 Depth=1
	s_or_b64 exec, exec, s[6:7]
	v_lshrrev_b32_e32 v23, 16, v23
	v_lshrrev_b32_e32 v24, 16, v24
	;; [unrolled: 1-line block ×8, first 2 shown]
	v_cmp_eq_u32_e32 vcc, s43, v10
	s_and_saveexec_b64 s[6:7], vcc
	s_cbranch_execz .LBB325_141
; %bb.140:                              ;   in Loop: Header=BB325_75 Depth=1
	v_add_u32_e32 v27, -7, v18
	v_cmp_gt_i32_e32 vcc, s29, v27
	v_add_u32_e32 v27, -6, v18
	s_nop 0
	v_cndmask_b32_e32 v3, 0, v3, vcc
	v_cmp_gt_i32_e32 vcc, s29, v27
	v_add_u32_e32 v27, -5, v18
	s_nop 0
	v_cndmask_b32_e32 v5, 0, v5, vcc
	;; [unrolled: 4-line block ×6, first 2 shown]
	v_cmp_gt_i32_e32 vcc, s29, v27
	s_nop 1
	v_cndmask_b32_e32 v4, 0, v4, vcc
	v_cmp_gt_i32_e32 vcc, s29, v18
	s_nop 1
	v_cndmask_b32_e32 v2, 0, v2, vcc
.LBB325_141:                            ;   in Loop: Header=BB325_75 Depth=1
	s_or_b64 exec, exec, s[6:7]
	v_and_b32_e32 v22, 0xffff0000, v22
	v_lshlrev_b32_e32 v3, 16, v3
	v_mul_f32_e32 v22, v22, v3
	v_and_b32_e32 v3, 0x7f800000, v22
	v_cmp_ne_u32_e32 vcc, s9, v3
                                        ; implicit-def: $vgpr3
	s_and_saveexec_b64 s[6:7], vcc
	s_xor_b64 s[6:7], exec, s[6:7]
; %bb.142:                              ;   in Loop: Header=BB325_75 Depth=1
	v_bfe_u32 v3, v22, 16, 1
	v_add3_u32 v3, v22, v3, s12
                                        ; implicit-def: $vgpr22
; %bb.143:                              ;   in Loop: Header=BB325_75 Depth=1
	s_andn2_saveexec_b64 s[6:7], s[6:7]
; %bb.144:                              ;   in Loop: Header=BB325_75 Depth=1
	v_or_b32_e32 v3, 0x10000, v22
	v_cmp_eq_u32_sdwa vcc, v22, v13 src0_sel:WORD_0 src1_sel:DWORD
	s_nop 1
	v_cndmask_b32_e32 v3, v3, v22, vcc
; %bb.145:                              ;   in Loop: Header=BB325_75 Depth=1
	s_or_b64 exec, exec, s[6:7]
	v_and_b32_e32 v21, 0xffff0000, v21
	v_lshlrev_b32_e32 v5, 16, v5
	v_mul_f32_e32 v21, v21, v5
	v_and_b32_e32 v5, 0x7f800000, v21
	v_cmp_ne_u32_e32 vcc, s9, v5
                                        ; implicit-def: $vgpr5
	s_and_saveexec_b64 s[6:7], vcc
	s_xor_b64 s[6:7], exec, s[6:7]
; %bb.146:                              ;   in Loop: Header=BB325_75 Depth=1
	v_bfe_u32 v5, v21, 16, 1
	v_add3_u32 v5, v21, v5, s12
                                        ; implicit-def: $vgpr21
; %bb.147:                              ;   in Loop: Header=BB325_75 Depth=1
	s_andn2_saveexec_b64 s[6:7], s[6:7]
; %bb.148:                              ;   in Loop: Header=BB325_75 Depth=1
	v_or_b32_e32 v5, 0x10000, v21
	v_cmp_eq_u32_sdwa vcc, v21, v13 src0_sel:WORD_0 src1_sel:DWORD
	s_nop 1
	v_cndmask_b32_e32 v5, v5, v21, vcc
; %bb.149:                              ;   in Loop: Header=BB325_75 Depth=1
	s_or_b64 exec, exec, s[6:7]
	v_and_b32_e32 v20, 0xffff0000, v20
	v_lshlrev_b32_e32 v21, 16, v25
	v_mul_f32_e32 v21, v20, v21
	v_and_b32_e32 v20, 0x7f800000, v21
	v_cmp_ne_u32_e32 vcc, s9, v20
                                        ; implicit-def: $vgpr20
	s_and_saveexec_b64 s[6:7], vcc
	s_xor_b64 s[6:7], exec, s[6:7]
; %bb.150:                              ;   in Loop: Header=BB325_75 Depth=1
	v_bfe_u32 v20, v21, 16, 1
	v_add3_u32 v20, v21, v20, s12
                                        ; implicit-def: $vgpr21
; %bb.151:                              ;   in Loop: Header=BB325_75 Depth=1
	s_andn2_saveexec_b64 s[6:7], s[6:7]
; %bb.152:                              ;   in Loop: Header=BB325_75 Depth=1
	v_or_b32_e32 v20, 0x10000, v21
	v_cmp_eq_u32_sdwa vcc, v21, v13 src0_sel:WORD_0 src1_sel:DWORD
	s_nop 1
	v_cndmask_b32_e32 v20, v20, v21, vcc
; %bb.153:                              ;   in Loop: Header=BB325_75 Depth=1
	s_or_b64 exec, exec, s[6:7]
	v_and_b32_e32 v11, 0xffff0000, v11
	v_lshlrev_b32_e32 v21, 16, v26
	v_mul_f32_e32 v21, v11, v21
	v_and_b32_e32 v11, 0x7f800000, v21
	v_cmp_ne_u32_e32 vcc, s9, v11
                                        ; implicit-def: $vgpr11
	s_and_saveexec_b64 s[6:7], vcc
	s_xor_b64 s[6:7], exec, s[6:7]
; %bb.154:                              ;   in Loop: Header=BB325_75 Depth=1
	v_bfe_u32 v11, v21, 16, 1
	v_add3_u32 v11, v21, v11, s12
                                        ; implicit-def: $vgpr21
; %bb.155:                              ;   in Loop: Header=BB325_75 Depth=1
	s_andn2_saveexec_b64 s[6:7], s[6:7]
; %bb.156:                              ;   in Loop: Header=BB325_75 Depth=1
	v_or_b32_e32 v11, 0x10000, v21
	v_cmp_eq_u32_sdwa vcc, v21, v13 src0_sel:WORD_0 src1_sel:DWORD
	s_nop 1
	v_cndmask_b32_e32 v11, v11, v21, vcc
; %bb.157:                              ;   in Loop: Header=BB325_75 Depth=1
	s_or_b64 exec, exec, s[6:7]
	v_and_b32_e32 v9, 0xffff0000, v9
	v_lshlrev_b32_e32 v21, 16, v24
	v_mul_f32_e32 v21, v9, v21
	v_and_b32_e32 v9, 0x7f800000, v21
	v_cmp_ne_u32_e32 vcc, s9, v9
                                        ; implicit-def: $vgpr9
	s_and_saveexec_b64 s[6:7], vcc
	s_xor_b64 s[6:7], exec, s[6:7]
; %bb.158:                              ;   in Loop: Header=BB325_75 Depth=1
	v_bfe_u32 v9, v21, 16, 1
	v_add3_u32 v9, v21, v9, s12
                                        ; implicit-def: $vgpr21
; %bb.159:                              ;   in Loop: Header=BB325_75 Depth=1
	s_andn2_saveexec_b64 s[6:7], s[6:7]
; %bb.160:                              ;   in Loop: Header=BB325_75 Depth=1
	v_or_b32_e32 v9, 0x10000, v21
	v_cmp_eq_u32_sdwa vcc, v21, v13 src0_sel:WORD_0 src1_sel:DWORD
	s_nop 1
	v_cndmask_b32_e32 v9, v9, v21, vcc
; %bb.161:                              ;   in Loop: Header=BB325_75 Depth=1
	s_or_b64 exec, exec, s[6:7]
	v_and_b32_e32 v8, 0xffff0000, v8
	v_lshlrev_b32_e32 v21, 16, v23
	v_mul_f32_e32 v21, v8, v21
	v_and_b32_e32 v8, 0x7f800000, v21
	v_cmp_ne_u32_e32 vcc, s9, v8
                                        ; implicit-def: $vgpr8
	s_and_saveexec_b64 s[6:7], vcc
	s_xor_b64 s[6:7], exec, s[6:7]
; %bb.162:                              ;   in Loop: Header=BB325_75 Depth=1
	v_bfe_u32 v8, v21, 16, 1
	v_add3_u32 v8, v21, v8, s12
                                        ; implicit-def: $vgpr21
; %bb.163:                              ;   in Loop: Header=BB325_75 Depth=1
	s_andn2_saveexec_b64 s[6:7], s[6:7]
; %bb.164:                              ;   in Loop: Header=BB325_75 Depth=1
	v_or_b32_e32 v8, 0x10000, v21
	v_cmp_eq_u32_sdwa vcc, v21, v13 src0_sel:WORD_0 src1_sel:DWORD
	s_nop 1
	v_cndmask_b32_e32 v8, v8, v21, vcc
; %bb.165:                              ;   in Loop: Header=BB325_75 Depth=1
	s_or_b64 exec, exec, s[6:7]
	v_and_b32_e32 v7, 0xffff0000, v7
	v_lshlrev_b32_e32 v4, 16, v4
	v_mul_f32_e32 v7, v7, v4
	v_and_b32_e32 v4, 0x7f800000, v7
	v_cmp_ne_u32_e32 vcc, s9, v4
                                        ; implicit-def: $vgpr4
	s_and_saveexec_b64 s[6:7], vcc
	s_xor_b64 s[6:7], exec, s[6:7]
; %bb.166:                              ;   in Loop: Header=BB325_75 Depth=1
	v_bfe_u32 v4, v7, 16, 1
	v_add3_u32 v4, v7, v4, s12
                                        ; implicit-def: $vgpr7
; %bb.167:                              ;   in Loop: Header=BB325_75 Depth=1
	s_andn2_saveexec_b64 s[6:7], s[6:7]
; %bb.168:                              ;   in Loop: Header=BB325_75 Depth=1
	v_or_b32_e32 v4, 0x10000, v7
	v_cmp_eq_u32_sdwa vcc, v7, v13 src0_sel:WORD_0 src1_sel:DWORD
	s_nop 1
	v_cndmask_b32_e32 v4, v4, v7, vcc
; %bb.169:                              ;   in Loop: Header=BB325_75 Depth=1
	s_or_b64 exec, exec, s[6:7]
	v_and_b32_e32 v6, 0xffff0000, v6
	v_lshlrev_b32_e32 v2, 16, v2
	v_mul_f32_e32 v2, v6, v2
	v_and_b32_e32 v6, 0x7f800000, v2
	v_cmp_ne_u32_e32 vcc, s9, v6
                                        ; implicit-def: $vgpr6
	s_and_saveexec_b64 s[6:7], vcc
	s_xor_b64 s[6:7], exec, s[6:7]
; %bb.170:                              ;   in Loop: Header=BB325_75 Depth=1
	v_bfe_u32 v6, v2, 16, 1
	v_add3_u32 v6, v2, v6, s12
                                        ; implicit-def: $vgpr2
; %bb.171:                              ;   in Loop: Header=BB325_75 Depth=1
	s_andn2_saveexec_b64 s[6:7], s[6:7]
	s_cbranch_execz .LBB325_74
; %bb.172:                              ;   in Loop: Header=BB325_75 Depth=1
	v_or_b32_e32 v6, 0x10000, v2
	v_cmp_eq_u32_sdwa vcc, v2, v13 src0_sel:WORD_0 src1_sel:DWORD
	s_nop 1
	v_cndmask_b32_e32 v6, v6, v2, vcc
	s_branch .LBB325_74
.LBB325_173:
	s_or_b64 exec, exec, s[4:5]
.LBB325_174:
	s_or_b64 exec, exec, s[2:3]
	v_and_b32_e32 v0, 0x3c0, v0
	v_cmp_eq_u32_e32 vcc, 64, v0
	s_barrier
	s_and_saveexec_b64 s[2:3], vcc
	s_cbranch_execz .LBB325_176
; %bb.175:
	v_mov_b32_e32 v0, 0x90
	v_lshl_add_u32 v0, v1, 2, v0
	ds_write_b32 v0, v12
.LBB325_176:
	s_or_b64 exec, exec, s[2:3]
	s_waitcnt lgkmcnt(0)
	s_barrier
	s_and_saveexec_b64 s[2:3], s[10:11]
	s_cbranch_execz .LBB325_178
; %bb.177:
	v_mov_b32_e32 v0, 0x90
	v_lshl_add_u32 v0, v1, 2, v0
	ds_read_b32 v0, v0
	s_waitcnt lgkmcnt(0)
	v_add_f32_e32 v12, v12, v0
.LBB325_178:
	s_or_b64 exec, exec, s[2:3]
	s_barrier
	s_and_saveexec_b64 s[2:3], s[10:11]
	s_cbranch_execz .LBB325_184
; %bb.179:
	s_mov_b32 s1, 0x7f800000
	v_and_b32_e32 v0, 0x7f800000, v12
	v_cmp_ne_u32_e32 vcc, s1, v0
                                        ; implicit-def: $vgpr0
	s_and_saveexec_b64 s[2:3], vcc
	s_xor_b64 s[2:3], exec, s[2:3]
; %bb.180:
	v_bfe_u32 v0, v12, 16, 1
	s_movk_i32 s1, 0x7fff
	v_add3_u32 v0, v12, v0, s1
                                        ; implicit-def: $vgpr12
; %bb.181:
	s_andn2_saveexec_b64 s[2:3], s[2:3]
; %bb.182:
	v_mov_b32_e32 v0, 0
	v_or_b32_e32 v2, 0x10000, v12
	v_cmp_eq_u32_sdwa vcc, v12, v0 src0_sel:WORD_0 src1_sel:DWORD
	s_nop 1
	v_cndmask_b32_e32 v0, v2, v12, vcc
; %bb.183:
	s_or_b64 exec, exec, s[2:3]
	s_lshl_b32 s0, s0, 6
	s_ashr_i32 s1, s0, 31
	s_lshl_b64 s[0:1], s[0:1], 1
	s_add_u32 s2, s26, s0
	s_mul_i32 s0, s25, s24
	s_addc_u32 s3, s27, s1
	s_ashr_i32 s1, s0, 31
	s_lshl_b64 s[0:1], s[0:1], 1
	s_add_u32 s2, s2, s0
	s_addc_u32 s3, s3, s1
	s_ashr_i32 s17, s16, 31
	s_lshl_b64 s[0:1], s[16:17], 1
	s_add_u32 s0, s2, s0
	s_addc_u32 s1, s3, s1
	v_lshlrev_b32_e32 v1, 1, v1
	global_store_short_d16_hi v1, v0, s[0:1]
.LBB325_184:
	s_endpgm
	.section	.rodata,"a",@progbits
	.p2align	6, 0x0
	.amdhsa_kernel _ZN4vllm25paged_attention_v2_kernelI14__hip_bfloat16hLi64ELi8ELi128ELNS_18Fp8KVCacheDataTypeE1ELb0ELi512EEEvPfS3_PT_PKS4_PKT0_SA_ifPKiSC_iPKfiiiSE_SE_iiiii
		.amdhsa_group_segment_fixed_size 144
		.amdhsa_private_segment_fixed_size 0
		.amdhsa_kernarg_size 400
		.amdhsa_user_sgpr_count 2
		.amdhsa_user_sgpr_dispatch_ptr 0
		.amdhsa_user_sgpr_queue_ptr 0
		.amdhsa_user_sgpr_kernarg_segment_ptr 1
		.amdhsa_user_sgpr_dispatch_id 0
		.amdhsa_user_sgpr_kernarg_preload_length 0
		.amdhsa_user_sgpr_kernarg_preload_offset 0
		.amdhsa_user_sgpr_private_segment_size 0
		.amdhsa_uses_dynamic_stack 0
		.amdhsa_enable_private_segment 0
		.amdhsa_system_sgpr_workgroup_id_x 1
		.amdhsa_system_sgpr_workgroup_id_y 1
		.amdhsa_system_sgpr_workgroup_id_z 1
		.amdhsa_system_sgpr_workgroup_info 0
		.amdhsa_system_vgpr_workitem_id 0
		.amdhsa_next_free_vgpr 38
		.amdhsa_next_free_sgpr 49
		.amdhsa_accum_offset 40
		.amdhsa_reserve_vcc 1
		.amdhsa_float_round_mode_32 0
		.amdhsa_float_round_mode_16_64 0
		.amdhsa_float_denorm_mode_32 3
		.amdhsa_float_denorm_mode_16_64 3
		.amdhsa_dx10_clamp 1
		.amdhsa_ieee_mode 1
		.amdhsa_fp16_overflow 0
		.amdhsa_tg_split 0
		.amdhsa_exception_fp_ieee_invalid_op 0
		.amdhsa_exception_fp_denorm_src 0
		.amdhsa_exception_fp_ieee_div_zero 0
		.amdhsa_exception_fp_ieee_overflow 0
		.amdhsa_exception_fp_ieee_underflow 0
		.amdhsa_exception_fp_ieee_inexact 0
		.amdhsa_exception_int_div_zero 0
	.end_amdhsa_kernel
	.section	.text._ZN4vllm25paged_attention_v2_kernelI14__hip_bfloat16hLi64ELi8ELi128ELNS_18Fp8KVCacheDataTypeE1ELb0ELi512EEEvPfS3_PT_PKS4_PKT0_SA_ifPKiSC_iPKfiiiSE_SE_iiiii,"axG",@progbits,_ZN4vllm25paged_attention_v2_kernelI14__hip_bfloat16hLi64ELi8ELi128ELNS_18Fp8KVCacheDataTypeE1ELb0ELi512EEEvPfS3_PT_PKS4_PKT0_SA_ifPKiSC_iPKfiiiSE_SE_iiiii,comdat
.Lfunc_end325:
	.size	_ZN4vllm25paged_attention_v2_kernelI14__hip_bfloat16hLi64ELi8ELi128ELNS_18Fp8KVCacheDataTypeE1ELb0ELi512EEEvPfS3_PT_PKS4_PKT0_SA_ifPKiSC_iPKfiiiSE_SE_iiiii, .Lfunc_end325-_ZN4vllm25paged_attention_v2_kernelI14__hip_bfloat16hLi64ELi8ELi128ELNS_18Fp8KVCacheDataTypeE1ELb0ELi512EEEvPfS3_PT_PKS4_PKT0_SA_ifPKiSC_iPKfiiiSE_SE_iiiii
                                        ; -- End function
	.section	.AMDGPU.csdata,"",@progbits
; Kernel info:
; codeLenInByte = 6264
; NumSgprs: 55
; NumVgprs: 38
; NumAgprs: 0
; TotalNumVgprs: 38
; ScratchSize: 0
; MemoryBound: 0
; FloatMode: 240
; IeeeMode: 1
; LDSByteSize: 144 bytes/workgroup (compile time only)
; SGPRBlocks: 6
; VGPRBlocks: 4
; NumSGPRsForWavesPerEU: 55
; NumVGPRsForWavesPerEU: 38
; AccumOffset: 40
; Occupancy: 8
; WaveLimiterHint : 1
; COMPUTE_PGM_RSRC2:SCRATCH_EN: 0
; COMPUTE_PGM_RSRC2:USER_SGPR: 2
; COMPUTE_PGM_RSRC2:TRAP_HANDLER: 0
; COMPUTE_PGM_RSRC2:TGID_X_EN: 1
; COMPUTE_PGM_RSRC2:TGID_Y_EN: 1
; COMPUTE_PGM_RSRC2:TGID_Z_EN: 1
; COMPUTE_PGM_RSRC2:TIDIG_COMP_CNT: 0
; COMPUTE_PGM_RSRC3_GFX90A:ACCUM_OFFSET: 9
; COMPUTE_PGM_RSRC3_GFX90A:TG_SPLIT: 0
	.section	.text._ZN4vllm25paged_attention_v2_kernelI14__hip_bfloat16hLi80ELi8ELi128ELNS_18Fp8KVCacheDataTypeE1ELb0ELi512EEEvPfS3_PT_PKS4_PKT0_SA_ifPKiSC_iPKfiiiSE_SE_iiiii,"axG",@progbits,_ZN4vllm25paged_attention_v2_kernelI14__hip_bfloat16hLi80ELi8ELi128ELNS_18Fp8KVCacheDataTypeE1ELb0ELi512EEEvPfS3_PT_PKS4_PKT0_SA_ifPKiSC_iPKfiiiSE_SE_iiiii,comdat
	.protected	_ZN4vllm25paged_attention_v2_kernelI14__hip_bfloat16hLi80ELi8ELi128ELNS_18Fp8KVCacheDataTypeE1ELb0ELi512EEEvPfS3_PT_PKS4_PKT0_SA_ifPKiSC_iPKfiiiSE_SE_iiiii ; -- Begin function _ZN4vllm25paged_attention_v2_kernelI14__hip_bfloat16hLi80ELi8ELi128ELNS_18Fp8KVCacheDataTypeE1ELb0ELi512EEEvPfS3_PT_PKS4_PKT0_SA_ifPKiSC_iPKfiiiSE_SE_iiiii
	.globl	_ZN4vllm25paged_attention_v2_kernelI14__hip_bfloat16hLi80ELi8ELi128ELNS_18Fp8KVCacheDataTypeE1ELb0ELi512EEEvPfS3_PT_PKS4_PKT0_SA_ifPKiSC_iPKfiiiSE_SE_iiiii
	.p2align	8
	.type	_ZN4vllm25paged_attention_v2_kernelI14__hip_bfloat16hLi80ELi8ELi128ELNS_18Fp8KVCacheDataTypeE1ELb0ELi512EEEvPfS3_PT_PKS4_PKT0_SA_ifPKiSC_iPKfiiiSE_SE_iiiii,@function
_ZN4vllm25paged_attention_v2_kernelI14__hip_bfloat16hLi80ELi8ELi128ELNS_18Fp8KVCacheDataTypeE1ELb0ELi512EEEvPfS3_PT_PKS4_PKT0_SA_ifPKiSC_iPKfiiiSE_SE_iiiii: ; @_ZN4vllm25paged_attention_v2_kernelI14__hip_bfloat16hLi80ELi8ELi128ELNS_18Fp8KVCacheDataTypeE1ELb0ELi512EEEvPfS3_PT_PKS4_PKT0_SA_ifPKiSC_iPKfiiiSE_SE_iiiii
; %bb.0:
	s_load_dwordx2 s[6:7], s[0:1], 0x40
	s_mov_b32 s28, s3
	s_ashr_i32 s29, s3, 31
	s_lshl_b64 s[8:9], s[28:29], 2
	s_waitcnt lgkmcnt(0)
	s_add_u32 s6, s6, s8
	s_addc_u32 s7, s7, s9
	s_load_dword s29, s[6:7], 0x0
	s_lshl_b32 s42, s4, 9
	s_waitcnt lgkmcnt(0)
	s_cmp_ge_i32 s42, s29
	s_cbranch_scc1 .LBB326_268
; %bb.1:
	s_load_dword s5, s[0:1], 0x90
	s_load_dwordx2 s[38:39], s[0:1], 0x30
	s_mov_b32 s43, 0
	s_waitcnt lgkmcnt(0)
	s_abs_i32 s7, s5
	s_abs_i32 s3, s38
	v_cvt_f32_u32_e32 v1, s3
	s_sub_i32 s8, 0, s3
	s_xor_b32 s6, s5, s38
	s_ashr_i32 s6, s6, 31
	v_rcp_iflag_f32_e32 v1, v1
	s_nop 0
	v_mul_f32_e32 v1, 0x4f7ffffe, v1
	v_cvt_u32_f32_e32 v1, v1
	s_nop 0
	v_readfirstlane_b32 s9, v1
	s_mul_i32 s8, s8, s9
	s_mul_hi_u32 s8, s9, s8
	s_add_i32 s9, s9, s8
	s_mul_hi_u32 s8, s7, s9
	s_mul_i32 s9, s8, s3
	s_sub_i32 s7, s7, s9
	s_add_i32 s10, s8, 1
	s_sub_i32 s9, s7, s3
	s_cmp_ge_u32 s7, s3
	s_cselect_b32 s8, s10, s8
	s_cselect_b32 s7, s9, s7
	s_add_i32 s9, s8, 1
	s_cmp_ge_u32 s7, s3
	s_cselect_b32 s3, s9, s8
	s_xor_b32 s3, s3, s6
	s_sub_i32 s10, s3, s6
	s_abs_i32 s8, s10
	v_cvt_f32_u32_e32 v1, s8
	s_load_dwordx2 s[6:7], s[0:1], 0x50
	s_sub_i32 s3, 0, s8
	s_abs_i32 s9, s2
	v_rcp_iflag_f32_e32 v1, v1
	s_nop 0
	v_mul_f32_e32 v1, 0x4f7ffffe, v1
	v_cvt_u32_f32_e32 v1, v1
	s_nop 0
	v_readfirstlane_b32 s11, v1
	s_mul_i32 s3, s3, s11
	s_mul_hi_u32 s3, s11, s3
	s_add_i32 s11, s11, s3
	s_waitcnt lgkmcnt(0)
	s_cmp_eq_u64 s[6:7], 0
	s_mul_hi_u32 s12, s9, s11
	s_cbranch_scc1 .LBB326_3
; %bb.2:
	s_ashr_i32 s3, s2, 31
	s_lshl_b64 s[14:15], s[2:3], 2
	s_add_u32 s6, s6, s14
	s_addc_u32 s7, s7, s15
	s_load_dword s43, s[6:7], 0x0
.LBB326_3:
	s_load_dwordx4 s[16:19], s[0:1], 0x58
	s_movk_i32 s3, 0x50
	s_ashr_i32 s13, s2, 31
	s_ashr_i32 s14, s10, 31
	v_and_b32_e32 v2, 7, v0
	s_mul_i32 s24, s2, 0x50
	v_cmp_gt_u32_e64 s[10:11], s3, v0
	v_lshlrev_b32_e32 v10, 1, v0
	s_and_saveexec_b64 s[6:7], s[10:11]
	s_cbranch_execz .LBB326_5
; %bb.4:
	s_load_dwordx2 s[20:21], s[0:1], 0x18
	s_waitcnt lgkmcnt(0)
	s_mul_i32 s22, s28, s16
	s_ashr_i32 s23, s22, 31
	s_lshl_b64 s[22:23], s[22:23], 1
	v_lshrrev_b32_e32 v3, 2, v0
	s_add_u32 s3, s20, s22
	s_addc_u32 s15, s21, s23
	s_ashr_i32 s25, s24, 31
	s_lshl_b64 s[20:21], s[24:25], 1
	s_add_u32 s20, s3, s20
	s_addc_u32 s21, s15, s21
	global_load_ushort v1, v10, s[20:21]
	v_and_b32_e32 v3, 0xfe, v3
	v_mad_u32_u24 v3, v2, 20, v3
	s_waitcnt vmcnt(0)
	ds_write_b16 v3, v1
.LBB326_5:
	s_or_b64 exec, exec, s[6:7]
	s_add_i32 s3, s29, 7
	s_ashr_i32 s6, s3, 31
	s_lshr_b32 s6, s6, 29
	s_add_i32 s3, s3, s6
	s_lshl_b32 s38, s4, 6
	s_mul_i32 s7, s12, s8
	s_ashr_i32 s3, s3, 3
	s_add_i32 s6, s38, 64
	s_sub_i32 s7, s9, s7
	s_min_i32 s33, s6, s3
	s_xor_b32 s6, s13, s14
	s_add_i32 s9, s12, 1
	s_sub_i32 s13, s7, s8
	s_cmp_ge_u32 s7, s8
	s_cselect_b32 s9, s9, s12
	s_cselect_b32 s7, s13, s7
	s_add_i32 s12, s9, 1
	s_cmp_ge_u32 s7, s8
	s_load_dwordx2 s[30:31], s[0:1], 0x38
	s_load_dword s8, s[0:1], 0x48
	v_lshrrev_b32_e32 v14, 6, v0
	s_cselect_b32 s7, s12, s9
	s_xor_b32 s7, s7, s6
	v_or_b32_e32 v12, s38, v14
	s_waitcnt lgkmcnt(0)
	s_mul_i32 s34, s28, s8
	s_sub_i32 s16, s7, s6
	s_ashr_i32 s35, s34, 31
	v_cmp_gt_i32_e64 s[6:7], s33, v12
	v_cmp_le_i32_e32 vcc, s33, v12
	v_mbcnt_lo_u32_b32 v6, -1, 0
	s_barrier
	s_waitcnt lgkmcnt(0)
                                        ; implicit-def: $sgpr19
                                        ; implicit-def: $vgpr15
                                        ; implicit-def: $vgpr16
	s_and_saveexec_b64 s[8:9], vcc
	s_xor_b64 s[8:9], exec, s[8:9]
; %bb.6:
	v_mbcnt_hi_u32_b32 v15, -1, v6
	v_and_b32_e32 v1, 64, v15
	v_add_u32_e32 v16, 64, v1
	s_mov_b32 s19, 0xff7fffff
                                        ; implicit-def: $vgpr2
                                        ; implicit-def: $vgpr6
; %bb.7:
	s_or_saveexec_b64 s[40:41], s[8:9]
	s_load_dwordx4 s[20:23], s[0:1], 0x0
	s_load_dwordx2 s[26:27], s[0:1], 0x10
	s_load_dword s25, s[0:1], 0x98
	s_load_dwordx2 s[36:37], s[0:1], 0x28
	s_load_dwordx4 s[12:15], s[0:1], 0x68
	v_mov_b32_e32 v26, s19
	s_mul_i32 s16, s16, s18
	v_ashrrev_i32_e32 v13, 31, v12
	v_lshlrev_b32_e32 v11, 3, v14
	s_xor_b64 exec, exec, s[40:41]
	s_cbranch_execz .LBB326_53
; %bb.8:
	v_mul_u32_u24_e32 v1, 20, v2
	ds_read2_b32 v[8:9], v1 offset1:1
	ds_read2_b32 v[22:23], v1 offset0:2 offset1:3
	ds_read_b32 v15, v1 offset:16
	s_load_dwordx2 s[0:1], s[0:1], 0x20
	s_ashr_i32 s8, s16, 31
	v_bfe_u32 v7, v0, 3, 3
	v_mov_b32_e32 v3, 0
	s_waitcnt lgkmcnt(0)
	v_lshlrev_b32_e32 v24, 16, v15
	v_and_b32_e32 v25, 0xffff0000, v15
	v_mbcnt_hi_u32_b32 v15, -1, v6
	v_and_b32_e32 v6, 64, v15
	v_add_u32_e32 v16, 64, v6
	v_xor_b32_e32 v6, 4, v15
	v_cmp_lt_i32_e32 vcc, v6, v16
	s_add_u32 s0, s0, s16
	v_lshlrev_b32_e32 v4, 4, v7
	v_cndmask_b32_e32 v6, v15, v6, vcc
	v_lshlrev_b32_e32 v27, 2, v6
	v_xor_b32_e32 v6, 2, v15
	v_cmp_lt_i32_e32 vcc, v6, v16
	s_addc_u32 s1, s1, s8
	v_mov_b32_e32 v5, v3
	v_cndmask_b32_e32 v6, v15, v6, vcc
	v_lshlrev_b32_e32 v28, 2, v6
	v_xor_b32_e32 v6, 1, v15
	v_cmp_lt_i32_e32 vcc, v6, v16
	s_load_dword s45, s[12:13], 0x0
	v_lshl_add_u64 v[4:5], s[0:1], 0, v[4:5]
	v_cndmask_b32_e32 v6, v15, v6, vcc
	s_sub_i32 s46, 1, s29
	s_lshl_b64 s[0:1], s[34:35], 2
	v_lshlrev_b32_e32 v29, 2, v6
	v_lshlrev_b32_e32 v6, 2, v7
	s_add_u32 s0, s30, s0
	v_lshl_or_b32 v6, v14, 5, v6
	s_addc_u32 s1, s31, s1
	s_mov_b32 s44, s17
	v_lshlrev_b32_e32 v1, 16, v8
	v_and_b32_e32 v17, 0xffff0000, v8
	v_lshlrev_b32_e32 v18, 16, v9
	v_and_b32_e32 v19, 0xffff0000, v9
	;; [unrolled: 2-line block ×4, first 2 shown]
	v_cmp_eq_u32_e32 vcc, 0, v2
	v_cmp_neq_f32_e64 s[8:9], s43, 0
	v_add3_u32 v30, s42, v11, v7
	v_add_u32_e32 v31, 0xb0, v6
	v_lshl_add_u64 v[6:7], v[12:13], 2, s[0:1]
	s_mov_b64 s[12:13], 0
	v_mov_b32_e32 v26, 0xff7fffff
	s_mov_b32 s47, 0x7f800000
	s_movk_i32 s48, 0x7fff
	v_mov_b32_e32 v32, v12
	s_branch .LBB326_10
.LBB326_9:                              ;   in Loop: Header=BB326_10 Depth=1
	s_or_b64 exec, exec, s[18:19]
	v_add_u32_e32 v32, 2, v32
	v_cmp_le_i32_e64 s[0:1], s33, v32
	v_add_u32_e32 v30, 16, v30
	v_add_u32_e32 v31, 64, v31
	s_or_b64 s[12:13], s[0:1], s[12:13]
	v_lshl_add_u64 v[6:7], v[6:7], 0, 8
	s_andn2_b64 exec, exec, s[12:13]
	s_cbranch_execz .LBB326_52
.LBB326_10:                             ; =>This Inner Loop Header: Depth=1
	global_load_dword v8, v[6:7], off
	s_waitcnt vmcnt(0) lgkmcnt(0)
	v_mad_i64_i32 v[8:9], s[0:1], v8, s44, v[4:5]
	v_lshl_add_u64 v[8:9], v[8:9], 0, v[2:3]
	global_load_ubyte v33, v[8:9], off
	s_waitcnt vmcnt(0)
	v_cvt_f32_fp8_sdwa v33, v33 src0_sel:BYTE_0
	s_waitcnt lgkmcnt(0)
	v_mul_f32_e32 v34, s45, v33
	v_and_b32_e32 v33, 0x7f800000, v34
	v_cmp_ne_u32_e64 s[0:1], s47, v33
                                        ; implicit-def: $vgpr33
	s_and_saveexec_b64 s[18:19], s[0:1]
	s_xor_b64 s[0:1], exec, s[18:19]
; %bb.11:                               ;   in Loop: Header=BB326_10 Depth=1
	v_bfe_u32 v33, v34, 16, 1
	v_add3_u32 v33, v34, v33, s48
                                        ; implicit-def: $vgpr34
; %bb.12:                               ;   in Loop: Header=BB326_10 Depth=1
	s_andn2_saveexec_b64 s[18:19], s[0:1]
; %bb.13:                               ;   in Loop: Header=BB326_10 Depth=1
	v_or_b32_e32 v33, 0x10000, v34
	v_cmp_eq_u32_sdwa s[0:1], v34, v3 src0_sel:WORD_0 src1_sel:DWORD
	s_nop 1
	v_cndmask_b32_e64 v33, v33, v34, s[0:1]
; %bb.14:                               ;   in Loop: Header=BB326_10 Depth=1
	s_or_b64 exec, exec, s[18:19]
	global_load_ubyte v34, v[8:9], off offset:8
	s_waitcnt vmcnt(0)
	v_cvt_f32_fp8_sdwa v34, v34 src0_sel:BYTE_0
	s_nop 0
	v_mul_f32_e32 v35, s45, v34
	v_and_b32_e32 v34, 0x7f800000, v35
	v_cmp_ne_u32_e64 s[0:1], s47, v34
                                        ; implicit-def: $vgpr34
	s_and_saveexec_b64 s[18:19], s[0:1]
	s_xor_b64 s[0:1], exec, s[18:19]
; %bb.15:                               ;   in Loop: Header=BB326_10 Depth=1
	v_bfe_u32 v34, v35, 16, 1
	v_add3_u32 v34, v35, v34, s48
                                        ; implicit-def: $vgpr35
; %bb.16:                               ;   in Loop: Header=BB326_10 Depth=1
	s_andn2_saveexec_b64 s[18:19], s[0:1]
; %bb.17:                               ;   in Loop: Header=BB326_10 Depth=1
	v_or_b32_e32 v34, 0x10000, v35
	v_cmp_eq_u32_sdwa s[0:1], v35, v3 src0_sel:WORD_0 src1_sel:DWORD
	s_nop 1
	v_cndmask_b32_e64 v34, v34, v35, s[0:1]
; %bb.18:                               ;   in Loop: Header=BB326_10 Depth=1
	s_or_b64 exec, exec, s[18:19]
	global_load_ubyte v35, v[8:9], off offset:128
	s_waitcnt vmcnt(0)
	v_cvt_f32_fp8_sdwa v35, v35 src0_sel:BYTE_0
	s_nop 0
	v_mul_f32_e32 v36, s45, v35
	v_and_b32_e32 v35, 0x7f800000, v36
	v_cmp_ne_u32_e64 s[0:1], s47, v35
                                        ; implicit-def: $vgpr35
	s_and_saveexec_b64 s[18:19], s[0:1]
	s_xor_b64 s[0:1], exec, s[18:19]
; %bb.19:                               ;   in Loop: Header=BB326_10 Depth=1
	v_bfe_u32 v35, v36, 16, 1
	v_add3_u32 v35, v36, v35, s48
                                        ; implicit-def: $vgpr36
; %bb.20:                               ;   in Loop: Header=BB326_10 Depth=1
	s_andn2_saveexec_b64 s[18:19], s[0:1]
; %bb.21:                               ;   in Loop: Header=BB326_10 Depth=1
	v_or_b32_e32 v35, 0x10000, v36
	v_cmp_eq_u32_sdwa s[0:1], v36, v3 src0_sel:WORD_0 src1_sel:DWORD
	s_nop 1
	v_cndmask_b32_e64 v35, v35, v36, s[0:1]
; %bb.22:                               ;   in Loop: Header=BB326_10 Depth=1
	s_or_b64 exec, exec, s[18:19]
	global_load_ubyte v36, v[8:9], off offset:136
	s_waitcnt vmcnt(0)
	v_cvt_f32_fp8_sdwa v36, v36 src0_sel:BYTE_0
	s_nop 0
	v_mul_f32_e32 v37, s45, v36
	v_and_b32_e32 v36, 0x7f800000, v37
	v_cmp_ne_u32_e64 s[0:1], s47, v36
                                        ; implicit-def: $vgpr36
	s_and_saveexec_b64 s[18:19], s[0:1]
	s_xor_b64 s[0:1], exec, s[18:19]
; %bb.23:                               ;   in Loop: Header=BB326_10 Depth=1
	v_bfe_u32 v36, v37, 16, 1
	v_add3_u32 v36, v37, v36, s48
                                        ; implicit-def: $vgpr37
; %bb.24:                               ;   in Loop: Header=BB326_10 Depth=1
	s_andn2_saveexec_b64 s[18:19], s[0:1]
; %bb.25:                               ;   in Loop: Header=BB326_10 Depth=1
	v_or_b32_e32 v36, 0x10000, v37
	v_cmp_eq_u32_sdwa s[0:1], v37, v3 src0_sel:WORD_0 src1_sel:DWORD
	s_nop 1
	v_cndmask_b32_e64 v36, v36, v37, s[0:1]
; %bb.26:                               ;   in Loop: Header=BB326_10 Depth=1
	s_or_b64 exec, exec, s[18:19]
	global_load_ubyte v37, v[8:9], off offset:256
	s_waitcnt vmcnt(0)
	v_cvt_f32_fp8_sdwa v37, v37 src0_sel:BYTE_0
	s_nop 0
	v_mul_f32_e32 v38, s45, v37
	v_and_b32_e32 v37, 0x7f800000, v38
	v_cmp_ne_u32_e64 s[0:1], s47, v37
                                        ; implicit-def: $vgpr37
	s_and_saveexec_b64 s[18:19], s[0:1]
	s_xor_b64 s[0:1], exec, s[18:19]
; %bb.27:                               ;   in Loop: Header=BB326_10 Depth=1
	v_bfe_u32 v37, v38, 16, 1
	v_add3_u32 v37, v38, v37, s48
                                        ; implicit-def: $vgpr38
; %bb.28:                               ;   in Loop: Header=BB326_10 Depth=1
	s_andn2_saveexec_b64 s[18:19], s[0:1]
; %bb.29:                               ;   in Loop: Header=BB326_10 Depth=1
	v_or_b32_e32 v37, 0x10000, v38
	v_cmp_eq_u32_sdwa s[0:1], v38, v3 src0_sel:WORD_0 src1_sel:DWORD
	s_nop 1
	v_cndmask_b32_e64 v37, v37, v38, s[0:1]
; %bb.30:                               ;   in Loop: Header=BB326_10 Depth=1
	s_or_b64 exec, exec, s[18:19]
	global_load_ubyte v38, v[8:9], off offset:264
	s_waitcnt vmcnt(0)
	v_cvt_f32_fp8_sdwa v38, v38 src0_sel:BYTE_0
	s_nop 0
	v_mul_f32_e32 v39, s45, v38
	v_and_b32_e32 v38, 0x7f800000, v39
	v_cmp_ne_u32_e64 s[0:1], s47, v38
                                        ; implicit-def: $vgpr38
	s_and_saveexec_b64 s[18:19], s[0:1]
	s_xor_b64 s[0:1], exec, s[18:19]
; %bb.31:                               ;   in Loop: Header=BB326_10 Depth=1
	v_bfe_u32 v38, v39, 16, 1
	v_add3_u32 v38, v39, v38, s48
                                        ; implicit-def: $vgpr39
; %bb.32:                               ;   in Loop: Header=BB326_10 Depth=1
	s_andn2_saveexec_b64 s[18:19], s[0:1]
; %bb.33:                               ;   in Loop: Header=BB326_10 Depth=1
	v_or_b32_e32 v38, 0x10000, v39
	v_cmp_eq_u32_sdwa s[0:1], v39, v3 src0_sel:WORD_0 src1_sel:DWORD
	s_nop 1
	v_cndmask_b32_e64 v38, v38, v39, s[0:1]
; %bb.34:                               ;   in Loop: Header=BB326_10 Depth=1
	s_or_b64 exec, exec, s[18:19]
	global_load_ubyte v39, v[8:9], off offset:384
	s_waitcnt vmcnt(0)
	v_cvt_f32_fp8_sdwa v39, v39 src0_sel:BYTE_0
	s_nop 0
	v_mul_f32_e32 v40, s45, v39
	v_and_b32_e32 v39, 0x7f800000, v40
	v_cmp_ne_u32_e64 s[0:1], s47, v39
                                        ; implicit-def: $vgpr39
	s_and_saveexec_b64 s[18:19], s[0:1]
	s_xor_b64 s[0:1], exec, s[18:19]
; %bb.35:                               ;   in Loop: Header=BB326_10 Depth=1
	v_bfe_u32 v39, v40, 16, 1
	v_add3_u32 v39, v40, v39, s48
                                        ; implicit-def: $vgpr40
; %bb.36:                               ;   in Loop: Header=BB326_10 Depth=1
	s_andn2_saveexec_b64 s[18:19], s[0:1]
; %bb.37:                               ;   in Loop: Header=BB326_10 Depth=1
	v_or_b32_e32 v39, 0x10000, v40
	v_cmp_eq_u32_sdwa s[0:1], v40, v3 src0_sel:WORD_0 src1_sel:DWORD
	s_nop 1
	v_cndmask_b32_e64 v39, v39, v40, s[0:1]
; %bb.38:                               ;   in Loop: Header=BB326_10 Depth=1
	s_or_b64 exec, exec, s[18:19]
	global_load_ubyte v40, v[8:9], off offset:392
	s_waitcnt vmcnt(0)
	v_cvt_f32_fp8_sdwa v40, v40 src0_sel:BYTE_0
	s_nop 0
	v_mul_f32_e32 v41, s45, v40
	v_and_b32_e32 v40, 0x7f800000, v41
	v_cmp_ne_u32_e64 s[0:1], s47, v40
                                        ; implicit-def: $vgpr40
	s_and_saveexec_b64 s[18:19], s[0:1]
	s_xor_b64 s[0:1], exec, s[18:19]
; %bb.39:                               ;   in Loop: Header=BB326_10 Depth=1
	v_bfe_u32 v40, v41, 16, 1
	v_add3_u32 v40, v41, v40, s48
                                        ; implicit-def: $vgpr41
; %bb.40:                               ;   in Loop: Header=BB326_10 Depth=1
	s_andn2_saveexec_b64 s[18:19], s[0:1]
; %bb.41:                               ;   in Loop: Header=BB326_10 Depth=1
	v_or_b32_e32 v40, 0x10000, v41
	v_cmp_eq_u32_sdwa s[0:1], v41, v3 src0_sel:WORD_0 src1_sel:DWORD
	s_nop 1
	v_cndmask_b32_e64 v40, v40, v41, s[0:1]
; %bb.42:                               ;   in Loop: Header=BB326_10 Depth=1
	s_or_b64 exec, exec, s[18:19]
	global_load_ubyte v41, v[8:9], off offset:512
	s_waitcnt vmcnt(0)
	v_cvt_f32_fp8_sdwa v41, v41 src0_sel:BYTE_0
	s_nop 0
	v_mul_f32_e32 v42, s45, v41
	v_and_b32_e32 v41, 0x7f800000, v42
	v_cmp_ne_u32_e64 s[0:1], s47, v41
                                        ; implicit-def: $vgpr41
	s_and_saveexec_b64 s[18:19], s[0:1]
	s_xor_b64 s[0:1], exec, s[18:19]
; %bb.43:                               ;   in Loop: Header=BB326_10 Depth=1
	v_bfe_u32 v41, v42, 16, 1
	v_add3_u32 v41, v42, v41, s48
                                        ; implicit-def: $vgpr42
; %bb.44:                               ;   in Loop: Header=BB326_10 Depth=1
	s_andn2_saveexec_b64 s[18:19], s[0:1]
; %bb.45:                               ;   in Loop: Header=BB326_10 Depth=1
	v_or_b32_e32 v41, 0x10000, v42
	v_cmp_eq_u32_sdwa s[0:1], v42, v3 src0_sel:WORD_0 src1_sel:DWORD
	s_nop 1
	v_cndmask_b32_e64 v41, v41, v42, s[0:1]
; %bb.46:                               ;   in Loop: Header=BB326_10 Depth=1
	s_or_b64 exec, exec, s[18:19]
	global_load_ubyte v8, v[8:9], off offset:520
	s_waitcnt vmcnt(0)
	v_cvt_f32_fp8_sdwa v8, v8 src0_sel:BYTE_0
	s_nop 0
	v_mul_f32_e32 v9, s45, v8
	v_and_b32_e32 v8, 0x7f800000, v9
	v_cmp_ne_u32_e64 s[0:1], s47, v8
                                        ; implicit-def: $vgpr8
	s_and_saveexec_b64 s[18:19], s[0:1]
	s_xor_b64 s[0:1], exec, s[18:19]
; %bb.47:                               ;   in Loop: Header=BB326_10 Depth=1
	v_bfe_u32 v8, v9, 16, 1
	v_add3_u32 v8, v9, v8, s48
                                        ; implicit-def: $vgpr9
; %bb.48:                               ;   in Loop: Header=BB326_10 Depth=1
	s_andn2_saveexec_b64 s[18:19], s[0:1]
; %bb.49:                               ;   in Loop: Header=BB326_10 Depth=1
	v_or_b32_e32 v8, 0x10000, v9
	v_cmp_eq_u32_sdwa s[0:1], v9, v3 src0_sel:WORD_0 src1_sel:DWORD
	s_nop 1
	v_cndmask_b32_e64 v8, v8, v9, s[0:1]
; %bb.50:                               ;   in Loop: Header=BB326_10 Depth=1
	s_or_b64 exec, exec, s[18:19]
	v_and_b32_e32 v34, 0xffff0000, v34
	v_and_b32_e32 v33, 0xffff0000, v33
	v_mul_f32_e32 v34, v17, v34
	v_and_b32_e32 v35, 0xffff0000, v35
	v_fmac_f32_e32 v34, v1, v33
	v_and_b32_e32 v36, 0xffff0000, v36
	v_fmac_f32_e32 v34, v18, v35
	;; [unrolled: 2-line block ×8, first 2 shown]
	v_fmac_f32_e32 v34, v25, v8
	ds_bpermute_b32 v8, v27, v34
	s_waitcnt lgkmcnt(0)
	v_add_f32_e32 v8, v34, v8
	ds_bpermute_b32 v9, v28, v8
	s_waitcnt lgkmcnt(0)
	v_add_f32_e32 v8, v8, v9
	ds_bpermute_b32 v9, v29, v8
	s_and_saveexec_b64 s[18:19], vcc
	s_cbranch_execz .LBB326_9
; %bb.51:                               ;   in Loop: Header=BB326_10 Depth=1
	v_add_u32_e32 v33, s46, v30
	v_cvt_f32_i32_e32 v33, v33
	s_waitcnt lgkmcnt(0)
	v_add_f32_e32 v8, v8, v9
	v_cmp_gt_i32_e64 s[0:1], s29, v30
	v_max_f32_e32 v9, v26, v26
	v_mul_f32_e32 v33, s43, v33
	v_cndmask_b32_e64 v33, 0, v33, s[8:9]
	v_fmac_f32_e32 v33, s39, v8
	v_cndmask_b32_e64 v8, 0, v33, s[0:1]
	ds_write_b32 v31, v8
	v_max_f32_e32 v8, v9, v33
	v_cndmask_b32_e64 v26, v26, v8, s[0:1]
	s_branch .LBB326_9
.LBB326_52:
	s_or_b64 exec, exec, s[12:13]
.LBB326_53:
	s_or_b64 exec, exec, s[40:41]
	v_xor_b32_e32 v1, 32, v15
	v_cmp_lt_i32_e32 vcc, v1, v16
	v_xor_b32_e32 v4, 16, v15
	v_max_f32_e32 v2, v26, v26
	v_cndmask_b32_e32 v1, v15, v1, vcc
	v_lshlrev_b32_e32 v3, 2, v1
	ds_bpermute_b32 v1, v3, v26
	v_cmp_lt_i32_e32 vcc, v4, v16
	v_xor_b32_e32 v5, 8, v15
	s_waitcnt lgkmcnt(0)
	v_max_f32_e32 v1, v1, v1
	v_max_f32_e32 v1, v2, v1
	v_cndmask_b32_e32 v2, v15, v4, vcc
	v_lshlrev_b32_e32 v6, 2, v2
	ds_bpermute_b32 v2, v6, v1
	v_cmp_lt_i32_e32 vcc, v5, v16
	s_waitcnt lgkmcnt(0)
	v_max_f32_e32 v2, v2, v2
	v_max_f32_e32 v4, v1, v2
	v_cndmask_b32_e32 v1, v15, v5, vcc
	v_lshlrev_b32_e32 v7, 2, v1
	ds_bpermute_b32 v5, v7, v4
	v_and_b32_e32 v1, 63, v0
	v_cmp_eq_u32_e32 vcc, 0, v1
	v_lshlrev_b32_e32 v2, 2, v14
	s_and_saveexec_b64 s[0:1], vcc
	s_cbranch_execz .LBB326_55
; %bb.54:
	s_waitcnt lgkmcnt(0)
	v_max_f32_e32 v5, v5, v5
	v_max_f32_e32 v4, v4, v4
	;; [unrolled: 1-line block ×3, first 2 shown]
	ds_write_b32 v2, v4 offset:160
.LBB326_55:
	s_or_b64 exec, exec, s[0:1]
	v_cmp_gt_u32_e64 s[0:1], 2, v1
	v_mov_b32_e32 v4, 0xff7fffff
	s_waitcnt lgkmcnt(0)
	v_lshlrev_b32_e32 v5, 2, v1
	s_barrier
	s_and_saveexec_b64 s[8:9], s[0:1]
	s_cbranch_execz .LBB326_57
; %bb.56:
	ds_read_b32 v4, v5 offset:160
.LBB326_57:
	s_or_b64 exec, exec, s[8:9]
	v_xor_b32_e32 v8, 1, v15
	v_cmp_lt_i32_e64 s[8:9], v8, v16
	v_mov_b32_e32 v17, 0
	s_nop 0
	v_cndmask_b32_e64 v8, v15, v8, s[8:9]
	v_lshlrev_b32_e32 v8, 2, v8
	s_waitcnt lgkmcnt(0)
	ds_bpermute_b32 v9, v8, v4
	v_max_f32_e32 v4, v4, v4
	s_sub_i32 s8, s33, s38
	s_lshl_b32 s8, s8, 3
	s_add_i32 s8, s8, s42
	s_waitcnt lgkmcnt(0)
	v_max_f32_e32 v9, v9, v9
	v_max_f32_e32 v4, v4, v9
	v_lshlrev_b32_e32 v9, 2, v15
	v_and_b32_e32 v9, 0xffffff00, v9
	ds_bpermute_b32 v4, v9, v4
	s_min_i32 s41, s8, s29
	s_sub_i32 s40, s41, s42
	v_cmp_gt_i32_e64 s[8:9], s40, v0
	s_and_saveexec_b64 s[18:19], s[8:9]
	s_cbranch_execz .LBB326_61
; %bb.58:
	v_mov_b32_e32 v17, 0xb0
	v_lshl_add_u32 v18, v0, 2, v17
	s_mov_b64 s[38:39], 0
	v_mov_b32_e32 v17, 0
	v_mov_b32_e32 v19, v0
.LBB326_59:                             ; =>This Inner Loop Header: Depth=1
	ds_read_b32 v20, v18
	v_add_u32_e32 v19, 0x80, v19
	v_cmp_le_i32_e64 s[12:13], s40, v19
	s_or_b64 s[38:39], s[12:13], s[38:39]
	s_waitcnt lgkmcnt(0)
	v_sub_f32_e32 v20, v20, v4
	v_mul_f32_e32 v20, 0x3fb8aa3b, v20
	v_exp_f32_e32 v20, v20
	ds_write_b32 v18, v20
	v_add_f32_e32 v17, v17, v20
	v_add_u32_e32 v18, 0x200, v18
	s_andn2_b64 exec, exec, s[38:39]
	s_cbranch_execnz .LBB326_59
; %bb.60:
	s_or_b64 exec, exec, s[38:39]
.LBB326_61:
	s_or_b64 exec, exec, s[18:19]
	ds_bpermute_b32 v3, v3, v17
	s_waitcnt lgkmcnt(0)
	v_add_f32_e32 v3, v17, v3
	ds_bpermute_b32 v6, v6, v3
	s_waitcnt lgkmcnt(0)
	v_add_f32_e32 v3, v3, v6
	ds_bpermute_b32 v6, v7, v3
	v_xor_b32_e32 v7, 4, v15
	v_cmp_lt_i32_e64 s[12:13], v7, v16
	s_waitcnt lgkmcnt(0)
	v_add_f32_e32 v3, v3, v6
	v_cndmask_b32_e64 v7, v15, v7, s[12:13]
	v_lshlrev_b32_e32 v7, 2, v7
	ds_bpermute_b32 v6, v7, v3
	v_xor_b32_e32 v7, 2, v15
	v_cmp_lt_i32_e64 s[12:13], v7, v16
	s_waitcnt lgkmcnt(0)
	v_add_f32_e32 v3, v3, v6
	v_cndmask_b32_e64 v7, v15, v7, s[12:13]
	v_lshlrev_b32_e32 v6, 2, v7
	ds_bpermute_b32 v6, v6, v3
	s_waitcnt lgkmcnt(0)
	v_add_f32_e32 v3, v3, v6
	ds_bpermute_b32 v6, v8, v3
	s_waitcnt lgkmcnt(0)
	v_add_f32_e32 v3, v3, v6
	s_and_saveexec_b64 s[12:13], vcc
	s_cbranch_execz .LBB326_63
; %bb.62:
	ds_write_b32 v2, v3 offset:168
.LBB326_63:
	s_or_b64 exec, exec, s[12:13]
	s_waitcnt lgkmcnt(0)
	s_barrier
	s_and_saveexec_b64 s[12:13], s[0:1]
	s_cbranch_execz .LBB326_65
; %bb.64:
	ds_read_b32 v3, v5 offset:168
.LBB326_65:
	s_or_b64 exec, exec, s[12:13]
	s_waitcnt lgkmcnt(0)
	ds_bpermute_b32 v2, v8, v3
	s_waitcnt lgkmcnt(0)
	v_add_f32_e32 v2, v3, v2
	ds_bpermute_b32 v5, v9, v2
	s_and_saveexec_b64 s[0:1], s[8:9]
	s_cbranch_execz .LBB326_78
; %bb.66:
	s_waitcnt lgkmcnt(0)
	v_add_f32_e32 v2, 0x358637bd, v5
	v_div_scale_f32 v3, s[8:9], v2, v2, 1.0
	v_rcp_f32_e32 v6, v3
	v_div_scale_f32 v7, vcc, 1.0, v2, 1.0
	s_movk_i32 s8, 0x7f
	v_fma_f32 v8, -v3, v6, 1.0
	v_fmac_f32_e32 v6, v8, v6
	v_mul_f32_e32 v8, v7, v6
	v_fma_f32 v9, -v3, v8, v7
	v_fmac_f32_e32 v8, v9, v6
	v_fma_f32 v3, -v3, v8, v7
	v_div_fmas_f32 v3, v3, v6, v8
	v_div_fixup_f32 v2, v3, v2, 1.0
	v_xad_u32 v3, v0, -1, s41
	v_subrev_u32_e32 v6, s42, v3
	v_cmp_lt_u32_e32 vcc, s8, v6
	s_mov_b64 s[12:13], -1
	v_mov_b32_e32 v3, v0
	s_and_saveexec_b64 s[8:9], vcc
	s_cbranch_execz .LBB326_75
; %bb.67:
	v_lshrrev_b32_e32 v6, 7, v6
	v_add_u32_e32 v8, -1, v6
	v_lshrrev_b32_e32 v7, 1, v8
	v_mov_b32_e32 v3, v2
	v_add_u32_e32 v7, 1, v7
	v_cmp_lt_u32_e32 vcc, 13, v8
	v_mov_b32_e32 v15, 0
	s_and_saveexec_b64 s[12:13], vcc
	s_cbranch_execz .LBB326_71
; %bb.68:
	v_mov_b32_e32 v9, 0xb0
	v_and_b32_e32 v8, -8, v7
	v_lshl_add_u32 v9, v0, 2, v9
	s_mov_b32 s38, 0
	s_mov_b64 s[18:19], 0
.LBB326_69:                             ; =>This Inner Loop Header: Depth=1
	ds_read2st64_b32 v[16:17], v9 offset1:2
	ds_read2st64_b32 v[18:19], v9 offset0:4 offset1:6
	ds_read2st64_b32 v[20:21], v9 offset0:8 offset1:10
	;; [unrolled: 1-line block ×3, first 2 shown]
	v_add_u32_e32 v8, -8, v8
	s_waitcnt lgkmcnt(3)
	v_pk_mul_f32 v[16:17], v[2:3], v[16:17]
	s_waitcnt lgkmcnt(2)
	v_pk_mul_f32 v[18:19], v[2:3], v[18:19]
	ds_write2st64_b32 v9, v16, v17 offset1:2
	ds_write2st64_b32 v9, v18, v19 offset0:4 offset1:6
	ds_read2st64_b32 v[18:19], v9 offset0:16 offset1:18
	s_waitcnt lgkmcnt(4)
	v_pk_mul_f32 v[16:17], v[2:3], v[20:21]
	ds_write2st64_b32 v9, v16, v17 offset0:8 offset1:10
	s_waitcnt lgkmcnt(4)
	v_pk_mul_f32 v[16:17], v[2:3], v[22:23]
	ds_write2st64_b32 v9, v16, v17 offset0:12 offset1:14
	ds_read2st64_b32 v[16:17], v9 offset0:20 offset1:22
	s_waitcnt lgkmcnt(3)
	v_pk_mul_f32 v[18:19], v[2:3], v[18:19]
	ds_read2st64_b32 v[20:21], v9 offset0:24 offset1:26
	ds_write2st64_b32 v9, v18, v19 offset0:16 offset1:18
	ds_read2st64_b32 v[18:19], v9 offset0:28 offset1:30
	s_waitcnt lgkmcnt(3)
	v_pk_mul_f32 v[16:17], v[2:3], v[16:17]
	ds_write2st64_b32 v9, v16, v17 offset0:20 offset1:22
	s_waitcnt lgkmcnt(3)
	v_pk_mul_f32 v[16:17], v[2:3], v[20:21]
	ds_write2st64_b32 v9, v16, v17 offset0:24 offset1:26
	s_waitcnt lgkmcnt(2)
	v_pk_mul_f32 v[16:17], v[2:3], v[18:19]
	s_add_i32 s38, s38, 16
	v_cmp_eq_u32_e32 vcc, 0, v8
	ds_write2st64_b32 v9, v16, v17 offset0:28 offset1:30
	v_add_u32_e32 v9, 0x2000, v9
	s_or_b64 s[18:19], vcc, s[18:19]
	v_mov_b32_e32 v15, s38
	s_andn2_b64 exec, exec, s[18:19]
	s_cbranch_execnz .LBB326_69
; %bb.70:
	s_or_b64 exec, exec, s[18:19]
.LBB326_71:
	s_or_b64 exec, exec, s[12:13]
	v_and_b32_e32 v7, 7, v7
	v_cmp_ne_u32_e32 vcc, 0, v7
	s_and_saveexec_b64 s[12:13], vcc
	s_cbranch_execz .LBB326_74
; %bb.72:
	v_lshlrev_b32_e32 v8, 9, v15
	v_lshlrev_b32_e32 v9, 2, v0
	s_movk_i32 s18, 0xb0
	v_add3_u32 v8, v8, v9, s18
	s_mov_b64 s[18:19], 0
.LBB326_73:                             ; =>This Inner Loop Header: Depth=1
	ds_read2st64_b32 v[16:17], v8 offset1:2
	v_add_u32_e32 v7, -1, v7
	v_cmp_eq_u32_e32 vcc, 0, v7
	s_or_b64 s[18:19], vcc, s[18:19]
	s_waitcnt lgkmcnt(0)
	v_pk_mul_f32 v[16:17], v[2:3], v[16:17]
	ds_write2st64_b32 v8, v16, v17 offset1:2
	v_add_u32_e32 v8, 0x400, v8
	s_andn2_b64 exec, exec, s[18:19]
	s_cbranch_execnz .LBB326_73
.LBB326_74:
	s_or_b64 exec, exec, s[12:13]
	v_add_u32_e32 v6, 1, v6
	v_and_b32_e32 v7, 0x3fffffe, v6
	v_cmp_ne_u32_e32 vcc, v6, v7
	v_lshl_add_u32 v3, v7, 7, v0
	s_orn2_b64 s[12:13], vcc, exec
.LBB326_75:
	s_or_b64 exec, exec, s[8:9]
	s_and_b64 exec, exec, s[12:13]
	s_cbranch_execz .LBB326_78
; %bb.76:
	v_mov_b32_e32 v6, 0xb0
	v_lshl_add_u32 v6, v3, 2, v6
	s_mov_b64 s[8:9], 0
.LBB326_77:                             ; =>This Inner Loop Header: Depth=1
	ds_read_b32 v7, v6
	v_add_u32_e32 v3, 0x80, v3
	v_cmp_le_i32_e32 vcc, s40, v3
	s_or_b64 s[8:9], vcc, s[8:9]
	s_waitcnt lgkmcnt(0)
	v_mul_f32_e32 v7, v2, v7
	ds_write_b32 v6, v7
	v_add_u32_e32 v6, 0x200, v6
	s_andn2_b64 exec, exec, s[8:9]
	s_cbranch_execnz .LBB326_77
.LBB326_78:
	s_or_b64 exec, exec, s[0:1]
	s_mul_i32 s0, s25, s28
	v_cmp_eq_u32_e32 vcc, 0, v0
	s_mul_i32 s8, s0, s5
	s_waitcnt lgkmcnt(0)
	s_barrier
	s_and_saveexec_b64 s[0:1], vcc
	s_cbranch_execz .LBB326_80
; %bb.79:
	s_ashr_i32 s9, s8, 31
	s_lshl_b64 s[12:13], s[8:9], 2
	s_add_u32 s5, s22, s12
	s_mul_i32 s18, s25, s2
	s_addc_u32 s9, s23, s13
	s_ashr_i32 s19, s18, 31
	s_lshl_b64 s[18:19], s[18:19], 2
	s_add_u32 s2, s5, s18
	s_addc_u32 s9, s9, s19
	s_ashr_i32 s5, s4, 31
	s_lshl_b64 s[22:23], s[4:5], 2
	s_add_u32 s38, s2, s22
	s_addc_u32 s39, s9, s23
	s_add_u32 s2, s20, s12
	s_addc_u32 s5, s21, s13
	s_add_u32 s2, s2, s18
	s_addc_u32 s5, s5, s19
	s_add_u32 s12, s2, s22
	v_mov_b32_e32 v2, 0
	s_addc_u32 s13, s5, s23
	global_store_dword v2, v4, s[38:39]
	global_store_dword v2, v5, s[12:13]
.LBB326_80:
	s_or_b64 exec, exec, s[0:1]
	v_mov_b32_e32 v15, 0
	v_mov_b32_e32 v2, v15
	s_and_saveexec_b64 s[12:13], s[6:7]
	s_cbranch_execz .LBB326_250
; %bb.81:
	s_ashr_i32 s0, s16, 31
	s_add_u32 s6, s36, s16
	s_addc_u32 s7, s37, s0
	s_load_dword s20, s[14:15], 0x0
	v_or_b32_e32 v2, 64, v1
	s_movk_i32 s0, 0x50
	s_add_i32 s9, s3, -1
	v_cmp_gt_u32_e32 vcc, s0, v2
	s_lshl_b64 s[0:1], s[34:35], 2
	s_add_u32 s0, s30, s0
	v_mov_b32_e32 v17, 0
	v_lshlrev_b32_e32 v18, 3, v2
	v_mov_b32_e32 v2, 0xb0
	s_addc_u32 s1, s31, s1
	s_mov_b32 s5, s17
	v_lshlrev_b32_e32 v16, 3, v1
	v_mov_b32_e32 v19, v17
	v_add3_u32 v11, s42, v11, 7
	v_lshl_add_u32 v22, v14, 5, v2
	v_lshl_add_u64 v[20:21], v[12:13], 2, s[0:1]
	s_mov_b64 s[14:15], 0
	s_mov_b32 s21, 0x7f800000
	s_movk_i32 s22, 0x7fff
	v_mov_b32_e32 v14, v17
	v_mov_b32_e32 v15, v17
	s_branch .LBB326_84
.LBB326_82:                             ;   in Loop: Header=BB326_84 Depth=1
	s_or_b64 exec, exec, s[2:3]
	v_and_b32_e32 v27, 0xffff0000, v5
	v_and_b32_e32 v26, 0xffff0000, v9
	;; [unrolled: 1-line block ×6, first 2 shown]
	v_pk_add_f32 v[4:5], v[4:5], v[8:9]
	v_and_b32_e32 v25, 0xffff0000, v23
	v_and_b32_e32 v24, 0xffff0000, v13
	v_mov_b32_e32 v6, v5
	v_pk_add_f32 v[4:5], v[4:5], v[6:7]
	v_pk_add_f32 v[6:7], v[26:27], v[24:25]
	s_nop 0
	v_pk_add_f32 v[4:5], v[4:5], v[6:7]
	v_mov_b32_e32 v6, v7
	v_pk_add_f32 v[4:5], v[4:5], v[6:7]
	s_nop 0
	v_mov_b32_e32 v3, v4
	v_pk_add_f32 v[14:15], v[14:15], v[2:3]
.LBB326_83:                             ;   in Loop: Header=BB326_84 Depth=1
	s_or_b64 exec, exec, s[16:17]
	v_add_u32_e32 v12, 2, v12
	v_cmp_le_i32_e64 s[0:1], s33, v12
	v_add_u32_e32 v11, 16, v11
	v_add_u32_e32 v22, 64, v22
	v_lshl_add_u64 v[20:21], v[20:21], 0, 8
	s_or_b64 s[14:15], s[0:1], s[14:15]
	v_mov_b32_e32 v14, v2
	s_andn2_b64 exec, exec, s[14:15]
	s_cbranch_execz .LBB326_249
.LBB326_84:                             ; =>This Inner Loop Header: Depth=1
	global_load_dword v30, v[20:21], off
	ds_read2_b64 v[6:9], v22 offset1:1
	ds_read2_b64 v[2:5], v22 offset0:2 offset1:3
                                        ; implicit-def: $vgpr29
	s_waitcnt lgkmcnt(0)
	v_and_b32_e32 v13, 0x7f800000, v6
	v_cmp_ne_u32_e64 s[0:1], s21, v13
	s_and_saveexec_b64 s[2:3], s[0:1]
	s_xor_b64 s[0:1], exec, s[2:3]
; %bb.85:                               ;   in Loop: Header=BB326_84 Depth=1
	v_bfe_u32 v13, v6, 16, 1
	v_add3_u32 v29, v6, v13, s22
; %bb.86:                               ;   in Loop: Header=BB326_84 Depth=1
	s_andn2_saveexec_b64 s[2:3], s[0:1]
; %bb.87:                               ;   in Loop: Header=BB326_84 Depth=1
	v_or_b32_e32 v13, 0x10000, v6
	v_cmp_eq_u32_sdwa s[0:1], v6, v17 src0_sel:WORD_0 src1_sel:DWORD
	s_nop 1
	v_cndmask_b32_e64 v29, v13, v6, s[0:1]
; %bb.88:                               ;   in Loop: Header=BB326_84 Depth=1
	s_or_b64 exec, exec, s[2:3]
	v_and_b32_e32 v6, 0x7f800000, v7
	v_cmp_ne_u32_e64 s[0:1], s21, v6
                                        ; implicit-def: $vgpr28
	s_and_saveexec_b64 s[2:3], s[0:1]
	s_xor_b64 s[0:1], exec, s[2:3]
; %bb.89:                               ;   in Loop: Header=BB326_84 Depth=1
	v_bfe_u32 v6, v7, 16, 1
	v_add3_u32 v28, v7, v6, s22
; %bb.90:                               ;   in Loop: Header=BB326_84 Depth=1
	s_andn2_saveexec_b64 s[2:3], s[0:1]
; %bb.91:                               ;   in Loop: Header=BB326_84 Depth=1
	v_or_b32_e32 v6, 0x10000, v7
	v_cmp_eq_u32_sdwa s[0:1], v7, v17 src0_sel:WORD_0 src1_sel:DWORD
	s_nop 1
	v_cndmask_b32_e64 v28, v6, v7, s[0:1]
; %bb.92:                               ;   in Loop: Header=BB326_84 Depth=1
	s_or_b64 exec, exec, s[2:3]
	v_and_b32_e32 v6, 0x7f800000, v8
	v_cmp_ne_u32_e64 s[0:1], s21, v6
                                        ; implicit-def: $vgpr27
	s_and_saveexec_b64 s[2:3], s[0:1]
	s_xor_b64 s[0:1], exec, s[2:3]
; %bb.93:                               ;   in Loop: Header=BB326_84 Depth=1
	v_bfe_u32 v6, v8, 16, 1
	v_add3_u32 v27, v8, v6, s22
; %bb.94:                               ;   in Loop: Header=BB326_84 Depth=1
	s_andn2_saveexec_b64 s[2:3], s[0:1]
; %bb.95:                               ;   in Loop: Header=BB326_84 Depth=1
	v_or_b32_e32 v6, 0x10000, v8
	v_cmp_eq_u32_sdwa s[0:1], v8, v17 src0_sel:WORD_0 src1_sel:DWORD
	s_nop 1
	v_cndmask_b32_e64 v27, v6, v8, s[0:1]
; %bb.96:                               ;   in Loop: Header=BB326_84 Depth=1
	s_or_b64 exec, exec, s[2:3]
	v_and_b32_e32 v6, 0x7f800000, v9
	v_cmp_ne_u32_e64 s[0:1], s21, v6
                                        ; implicit-def: $vgpr13
	s_and_saveexec_b64 s[2:3], s[0:1]
	s_xor_b64 s[0:1], exec, s[2:3]
; %bb.97:                               ;   in Loop: Header=BB326_84 Depth=1
	v_bfe_u32 v6, v9, 16, 1
	v_add3_u32 v13, v9, v6, s22
                                        ; implicit-def: $vgpr6_vgpr7_vgpr8_vgpr9
; %bb.98:                               ;   in Loop: Header=BB326_84 Depth=1
	s_andn2_saveexec_b64 s[2:3], s[0:1]
; %bb.99:                               ;   in Loop: Header=BB326_84 Depth=1
	v_or_b32_e32 v6, 0x10000, v9
	v_cmp_eq_u32_sdwa s[0:1], v9, v17 src0_sel:WORD_0 src1_sel:DWORD
	s_nop 1
	v_cndmask_b32_e64 v13, v6, v9, s[0:1]
; %bb.100:                              ;   in Loop: Header=BB326_84 Depth=1
	s_or_b64 exec, exec, s[2:3]
	v_and_b32_e32 v6, 0x7f800000, v2
	v_cmp_ne_u32_e64 s[0:1], s21, v6
                                        ; implicit-def: $vgpr23
	s_and_saveexec_b64 s[2:3], s[0:1]
	s_xor_b64 s[0:1], exec, s[2:3]
; %bb.101:                              ;   in Loop: Header=BB326_84 Depth=1
	v_bfe_u32 v6, v2, 16, 1
	v_add3_u32 v23, v2, v6, s22
; %bb.102:                              ;   in Loop: Header=BB326_84 Depth=1
	s_andn2_saveexec_b64 s[2:3], s[0:1]
; %bb.103:                              ;   in Loop: Header=BB326_84 Depth=1
	v_or_b32_e32 v6, 0x10000, v2
	v_cmp_eq_u32_sdwa s[0:1], v2, v17 src0_sel:WORD_0 src1_sel:DWORD
	s_nop 1
	v_cndmask_b32_e64 v23, v6, v2, s[0:1]
; %bb.104:                              ;   in Loop: Header=BB326_84 Depth=1
	s_or_b64 exec, exec, s[2:3]
	v_and_b32_e32 v2, 0x7f800000, v3
	v_cmp_ne_u32_e64 s[0:1], s21, v2
                                        ; implicit-def: $vgpr24
	s_and_saveexec_b64 s[2:3], s[0:1]
	s_xor_b64 s[0:1], exec, s[2:3]
; %bb.105:                              ;   in Loop: Header=BB326_84 Depth=1
	v_bfe_u32 v2, v3, 16, 1
	v_add3_u32 v24, v3, v2, s22
; %bb.106:                              ;   in Loop: Header=BB326_84 Depth=1
	s_andn2_saveexec_b64 s[2:3], s[0:1]
; %bb.107:                              ;   in Loop: Header=BB326_84 Depth=1
	v_or_b32_e32 v2, 0x10000, v3
	v_cmp_eq_u32_sdwa s[0:1], v3, v17 src0_sel:WORD_0 src1_sel:DWORD
	s_nop 1
	v_cndmask_b32_e64 v24, v2, v3, s[0:1]
; %bb.108:                              ;   in Loop: Header=BB326_84 Depth=1
	s_or_b64 exec, exec, s[2:3]
	v_and_b32_e32 v2, 0x7f800000, v4
	v_cmp_ne_u32_e64 s[0:1], s21, v2
                                        ; implicit-def: $vgpr25
	s_and_saveexec_b64 s[2:3], s[0:1]
	s_xor_b64 s[0:1], exec, s[2:3]
; %bb.109:                              ;   in Loop: Header=BB326_84 Depth=1
	v_bfe_u32 v2, v4, 16, 1
	v_add3_u32 v25, v4, v2, s22
; %bb.110:                              ;   in Loop: Header=BB326_84 Depth=1
	s_andn2_saveexec_b64 s[2:3], s[0:1]
; %bb.111:                              ;   in Loop: Header=BB326_84 Depth=1
	v_or_b32_e32 v2, 0x10000, v4
	v_cmp_eq_u32_sdwa s[0:1], v4, v17 src0_sel:WORD_0 src1_sel:DWORD
	s_nop 1
	v_cndmask_b32_e64 v25, v2, v4, s[0:1]
; %bb.112:                              ;   in Loop: Header=BB326_84 Depth=1
	s_or_b64 exec, exec, s[2:3]
	v_and_b32_e32 v2, 0x7f800000, v5
	v_cmp_ne_u32_e64 s[0:1], s21, v2
                                        ; implicit-def: $vgpr26
	s_and_saveexec_b64 s[2:3], s[0:1]
	s_xor_b64 s[0:1], exec, s[2:3]
; %bb.113:                              ;   in Loop: Header=BB326_84 Depth=1
	v_bfe_u32 v2, v5, 16, 1
	v_add3_u32 v26, v5, v2, s22
                                        ; implicit-def: $vgpr2_vgpr3_vgpr4_vgpr5
; %bb.114:                              ;   in Loop: Header=BB326_84 Depth=1
	s_andn2_saveexec_b64 s[2:3], s[0:1]
; %bb.115:                              ;   in Loop: Header=BB326_84 Depth=1
	v_or_b32_e32 v2, 0x10000, v5
	v_cmp_eq_u32_sdwa s[0:1], v5, v17 src0_sel:WORD_0 src1_sel:DWORD
	s_nop 1
	v_cndmask_b32_e64 v26, v2, v5, s[0:1]
; %bb.116:                              ;   in Loop: Header=BB326_84 Depth=1
	s_or_b64 exec, exec, s[2:3]
	v_mov_b64_e32 v[2:3], s[6:7]
	s_waitcnt vmcnt(0)
	v_mad_i64_i32 v[4:5], s[0:1], v30, s5, v[2:3]
	v_lshl_add_u64 v[2:3], v[4:5], 0, v[16:17]
	global_load_dwordx2 v[2:3], v[2:3], off
	s_waitcnt vmcnt(0)
	v_and_b32_e32 v6, 0xff, v2
	v_cvt_f32_fp8_sdwa v6, v6 src0_sel:BYTE_0
	s_nop 0
	v_mul_f32_e32 v6, s20, v6
	v_and_b32_e32 v7, 0x7f800000, v6
	v_cmp_ne_u32_e64 s[0:1], s21, v7
                                        ; implicit-def: $vgpr7
	s_and_saveexec_b64 s[2:3], s[0:1]
	s_xor_b64 s[0:1], exec, s[2:3]
; %bb.117:                              ;   in Loop: Header=BB326_84 Depth=1
	v_bfe_u32 v7, v6, 16, 1
	v_add3_u32 v7, v6, v7, s22
                                        ; implicit-def: $vgpr6
; %bb.118:                              ;   in Loop: Header=BB326_84 Depth=1
	s_andn2_saveexec_b64 s[2:3], s[0:1]
; %bb.119:                              ;   in Loop: Header=BB326_84 Depth=1
	v_or_b32_e32 v7, 0x10000, v6
	v_cmp_eq_u32_sdwa s[0:1], v6, v17 src0_sel:WORD_0 src1_sel:DWORD
	s_nop 1
	v_cndmask_b32_e64 v7, v7, v6, s[0:1]
; %bb.120:                              ;   in Loop: Header=BB326_84 Depth=1
	s_or_b64 exec, exec, s[2:3]
	v_bfe_u32 v6, v2, 8, 8
	v_cvt_f32_fp8_sdwa v6, v6 src0_sel:BYTE_0
	s_nop 0
	v_mul_f32_e32 v6, s20, v6
	v_and_b32_e32 v8, 0x7f800000, v6
	v_cmp_ne_u32_e64 s[0:1], s21, v8
                                        ; implicit-def: $vgpr8
	s_and_saveexec_b64 s[2:3], s[0:1]
	s_xor_b64 s[0:1], exec, s[2:3]
; %bb.121:                              ;   in Loop: Header=BB326_84 Depth=1
	v_bfe_u32 v8, v6, 16, 1
	v_add3_u32 v8, v6, v8, s22
                                        ; implicit-def: $vgpr6
; %bb.122:                              ;   in Loop: Header=BB326_84 Depth=1
	s_andn2_saveexec_b64 s[2:3], s[0:1]
; %bb.123:                              ;   in Loop: Header=BB326_84 Depth=1
	v_or_b32_e32 v8, 0x10000, v6
	v_cmp_eq_u32_sdwa s[0:1], v6, v17 src0_sel:WORD_0 src1_sel:DWORD
	s_nop 1
	v_cndmask_b32_e64 v8, v8, v6, s[0:1]
; %bb.124:                              ;   in Loop: Header=BB326_84 Depth=1
	s_or_b64 exec, exec, s[2:3]
	v_bfe_u32 v6, v2, 16, 8
	v_cvt_f32_fp8_sdwa v6, v6 src0_sel:BYTE_0
	s_nop 0
	v_mul_f32_e32 v6, s20, v6
	v_and_b32_e32 v9, 0x7f800000, v6
	v_cmp_ne_u32_e64 s[0:1], s21, v9
                                        ; implicit-def: $vgpr9
	s_and_saveexec_b64 s[2:3], s[0:1]
	s_xor_b64 s[0:1], exec, s[2:3]
; %bb.125:                              ;   in Loop: Header=BB326_84 Depth=1
	v_bfe_u32 v9, v6, 16, 1
	v_add3_u32 v9, v6, v9, s22
                                        ; implicit-def: $vgpr6
; %bb.126:                              ;   in Loop: Header=BB326_84 Depth=1
	s_andn2_saveexec_b64 s[2:3], s[0:1]
; %bb.127:                              ;   in Loop: Header=BB326_84 Depth=1
	v_or_b32_e32 v9, 0x10000, v6
	v_cmp_eq_u32_sdwa s[0:1], v6, v17 src0_sel:WORD_0 src1_sel:DWORD
	s_nop 1
	v_cndmask_b32_e64 v9, v9, v6, s[0:1]
; %bb.128:                              ;   in Loop: Header=BB326_84 Depth=1
	s_or_b64 exec, exec, s[2:3]
	v_lshrrev_b32_e32 v2, 24, v2
	v_cvt_f32_fp8_sdwa v2, v2 src0_sel:BYTE_0
	s_nop 0
	v_mul_f32_e32 v6, s20, v2
	v_and_b32_e32 v2, 0x7f800000, v6
	v_cmp_ne_u32_e64 s[0:1], s21, v2
                                        ; implicit-def: $vgpr2
	s_and_saveexec_b64 s[2:3], s[0:1]
	s_xor_b64 s[0:1], exec, s[2:3]
; %bb.129:                              ;   in Loop: Header=BB326_84 Depth=1
	v_bfe_u32 v2, v6, 16, 1
	v_add3_u32 v2, v6, v2, s22
                                        ; implicit-def: $vgpr6
; %bb.130:                              ;   in Loop: Header=BB326_84 Depth=1
	s_andn2_saveexec_b64 s[2:3], s[0:1]
; %bb.131:                              ;   in Loop: Header=BB326_84 Depth=1
	v_or_b32_e32 v2, 0x10000, v6
	v_cmp_eq_u32_sdwa s[0:1], v6, v17 src0_sel:WORD_0 src1_sel:DWORD
	s_nop 1
	v_cndmask_b32_e64 v2, v2, v6, s[0:1]
; %bb.132:                              ;   in Loop: Header=BB326_84 Depth=1
	s_or_b64 exec, exec, s[2:3]
	v_and_b32_e32 v6, 0xff, v3
	v_cvt_f32_fp8_sdwa v6, v6 src0_sel:BYTE_0
	s_nop 0
	v_mul_f32_e32 v6, s20, v6
	v_and_b32_e32 v30, 0x7f800000, v6
	v_cmp_ne_u32_e64 s[0:1], s21, v30
                                        ; implicit-def: $vgpr30
	s_and_saveexec_b64 s[2:3], s[0:1]
	s_xor_b64 s[0:1], exec, s[2:3]
; %bb.133:                              ;   in Loop: Header=BB326_84 Depth=1
	v_bfe_u32 v30, v6, 16, 1
	v_add3_u32 v30, v6, v30, s22
                                        ; implicit-def: $vgpr6
; %bb.134:                              ;   in Loop: Header=BB326_84 Depth=1
	s_andn2_saveexec_b64 s[2:3], s[0:1]
; %bb.135:                              ;   in Loop: Header=BB326_84 Depth=1
	v_or_b32_e32 v30, 0x10000, v6
	v_cmp_eq_u32_sdwa s[0:1], v6, v17 src0_sel:WORD_0 src1_sel:DWORD
	s_nop 1
	v_cndmask_b32_e64 v30, v30, v6, s[0:1]
; %bb.136:                              ;   in Loop: Header=BB326_84 Depth=1
	s_or_b64 exec, exec, s[2:3]
	v_bfe_u32 v6, v3, 8, 8
	v_cvt_f32_fp8_sdwa v6, v6 src0_sel:BYTE_0
	s_nop 0
	v_mul_f32_e32 v6, s20, v6
	v_and_b32_e32 v31, 0x7f800000, v6
	v_cmp_ne_u32_e64 s[0:1], s21, v31
                                        ; implicit-def: $vgpr31
	s_and_saveexec_b64 s[2:3], s[0:1]
	s_xor_b64 s[0:1], exec, s[2:3]
; %bb.137:                              ;   in Loop: Header=BB326_84 Depth=1
	v_bfe_u32 v31, v6, 16, 1
	v_add3_u32 v31, v6, v31, s22
                                        ; implicit-def: $vgpr6
; %bb.138:                              ;   in Loop: Header=BB326_84 Depth=1
	s_andn2_saveexec_b64 s[2:3], s[0:1]
; %bb.139:                              ;   in Loop: Header=BB326_84 Depth=1
	v_or_b32_e32 v31, 0x10000, v6
	v_cmp_eq_u32_sdwa s[0:1], v6, v17 src0_sel:WORD_0 src1_sel:DWORD
	s_nop 1
	v_cndmask_b32_e64 v31, v31, v6, s[0:1]
; %bb.140:                              ;   in Loop: Header=BB326_84 Depth=1
	s_or_b64 exec, exec, s[2:3]
	v_bfe_u32 v6, v3, 16, 8
	v_cvt_f32_fp8_sdwa v6, v6 src0_sel:BYTE_0
                                        ; implicit-def: $vgpr35
	s_nop 0
	v_mul_f32_e32 v6, s20, v6
	v_and_b32_e32 v32, 0x7f800000, v6
	v_cmp_ne_u32_e64 s[0:1], s21, v32
	s_and_saveexec_b64 s[2:3], s[0:1]
	s_xor_b64 s[0:1], exec, s[2:3]
; %bb.141:                              ;   in Loop: Header=BB326_84 Depth=1
	v_bfe_u32 v32, v6, 16, 1
	v_add3_u32 v35, v6, v32, s22
                                        ; implicit-def: $vgpr6
; %bb.142:                              ;   in Loop: Header=BB326_84 Depth=1
	s_andn2_saveexec_b64 s[2:3], s[0:1]
; %bb.143:                              ;   in Loop: Header=BB326_84 Depth=1
	v_or_b32_e32 v32, 0x10000, v6
	v_cmp_eq_u32_sdwa s[0:1], v6, v17 src0_sel:WORD_0 src1_sel:DWORD
	s_nop 1
	v_cndmask_b32_e64 v35, v32, v6, s[0:1]
; %bb.144:                              ;   in Loop: Header=BB326_84 Depth=1
	s_or_b64 exec, exec, s[2:3]
	v_lshrrev_b32_e32 v3, 24, v3
	v_cvt_f32_fp8_sdwa v3, v3 src0_sel:BYTE_0
                                        ; implicit-def: $vgpr36
	s_nop 0
	v_mul_f32_e32 v3, s20, v3
	v_and_b32_e32 v6, 0x7f800000, v3
	v_cmp_ne_u32_e64 s[0:1], s21, v6
	s_and_saveexec_b64 s[2:3], s[0:1]
	s_xor_b64 s[0:1], exec, s[2:3]
; %bb.145:                              ;   in Loop: Header=BB326_84 Depth=1
	v_bfe_u32 v6, v3, 16, 1
	v_add3_u32 v36, v3, v6, s22
                                        ; implicit-def: $vgpr3
; %bb.146:                              ;   in Loop: Header=BB326_84 Depth=1
	s_andn2_saveexec_b64 s[2:3], s[0:1]
; %bb.147:                              ;   in Loop: Header=BB326_84 Depth=1
	v_or_b32_e32 v6, 0x10000, v3
	v_cmp_eq_u32_sdwa s[0:1], v3, v17 src0_sel:WORD_0 src1_sel:DWORD
	s_nop 1
	v_cndmask_b32_e64 v36, v6, v3, s[0:1]
; %bb.148:                              ;   in Loop: Header=BB326_84 Depth=1
	s_or_b64 exec, exec, s[2:3]
	v_cmp_eq_u32_e64 s[2:3], s9, v12
	v_add_u32_e32 v6, -7, v11
	v_lshrrev_b32_e32 v31, 16, v31
	v_lshrrev_b32_e32 v32, 16, v30
	;; [unrolled: 1-line block ×8, first 2 shown]
	s_and_saveexec_b64 s[16:17], s[2:3]
	s_cbranch_execz .LBB326_150
; %bb.149:                              ;   in Loop: Header=BB326_84 Depth=1
	v_cmp_gt_i32_e64 s[0:1], s29, v6
	v_add_u32_e32 v7, -6, v11
	s_nop 0
	v_cndmask_b32_e64 v3, 0, v3, s[0:1]
	v_cmp_gt_i32_e64 s[0:1], s29, v7
	v_add_u32_e32 v7, -5, v11
	s_nop 0
	v_cndmask_b32_e64 v9, 0, v9, s[0:1]
	;; [unrolled: 4-line block ×6, first 2 shown]
	v_cmp_gt_i32_e64 s[0:1], s29, v7
	s_nop 1
	v_cndmask_b32_e64 v30, 0, v30, s[0:1]
	v_cmp_gt_i32_e64 s[0:1], s29, v11
	s_nop 1
	v_cndmask_b32_e64 v2, 0, v2, s[0:1]
.LBB326_150:                            ;   in Loop: Header=BB326_84 Depth=1
	s_or_b64 exec, exec, s[16:17]
	v_and_b32_e32 v7, 0xffff0000, v29
	v_lshlrev_b32_e32 v3, 16, v3
	v_mul_f32_e32 v8, v7, v3
	v_and_b32_e32 v3, 0x7f800000, v8
	v_cmp_ne_u32_e64 s[0:1], s21, v3
                                        ; implicit-def: $vgpr3
	s_and_saveexec_b64 s[16:17], s[0:1]
	s_xor_b64 s[0:1], exec, s[16:17]
; %bb.151:                              ;   in Loop: Header=BB326_84 Depth=1
	v_bfe_u32 v3, v8, 16, 1
	v_add3_u32 v3, v8, v3, s22
                                        ; implicit-def: $vgpr8
; %bb.152:                              ;   in Loop: Header=BB326_84 Depth=1
	s_andn2_saveexec_b64 s[16:17], s[0:1]
; %bb.153:                              ;   in Loop: Header=BB326_84 Depth=1
	v_or_b32_e32 v3, 0x10000, v8
	v_cmp_eq_u32_sdwa s[0:1], v8, v17 src0_sel:WORD_0 src1_sel:DWORD
	s_nop 1
	v_cndmask_b32_e64 v3, v3, v8, s[0:1]
; %bb.154:                              ;   in Loop: Header=BB326_84 Depth=1
	s_or_b64 exec, exec, s[16:17]
	v_and_b32_e32 v8, 0xffff0000, v28
	v_lshlrev_b32_e32 v9, 16, v9
	v_mul_f32_e32 v9, v8, v9
	v_and_b32_e32 v28, 0x7f800000, v9
	v_cmp_ne_u32_e64 s[0:1], s21, v28
                                        ; implicit-def: $vgpr28
	s_and_saveexec_b64 s[16:17], s[0:1]
	s_xor_b64 s[0:1], exec, s[16:17]
; %bb.155:                              ;   in Loop: Header=BB326_84 Depth=1
	v_bfe_u32 v28, v9, 16, 1
	v_add3_u32 v28, v9, v28, s22
                                        ; implicit-def: $vgpr9
; %bb.156:                              ;   in Loop: Header=BB326_84 Depth=1
	s_andn2_saveexec_b64 s[16:17], s[0:1]
; %bb.157:                              ;   in Loop: Header=BB326_84 Depth=1
	v_or_b32_e32 v28, 0x10000, v9
	v_cmp_eq_u32_sdwa s[0:1], v9, v17 src0_sel:WORD_0 src1_sel:DWORD
	s_nop 1
	v_cndmask_b32_e64 v28, v28, v9, s[0:1]
; %bb.158:                              ;   in Loop: Header=BB326_84 Depth=1
	s_or_b64 exec, exec, s[16:17]
	v_and_b32_e32 v9, 0xffff0000, v27
	v_lshlrev_b32_e32 v27, 16, v34
	v_mul_f32_e32 v29, v9, v27
	v_and_b32_e32 v27, 0x7f800000, v29
	v_cmp_ne_u32_e64 s[0:1], s21, v27
                                        ; implicit-def: $vgpr27
	s_and_saveexec_b64 s[16:17], s[0:1]
	s_xor_b64 s[0:1], exec, s[16:17]
; %bb.159:                              ;   in Loop: Header=BB326_84 Depth=1
	v_bfe_u32 v27, v29, 16, 1
	v_add3_u32 v27, v29, v27, s22
                                        ; implicit-def: $vgpr29
; %bb.160:                              ;   in Loop: Header=BB326_84 Depth=1
	s_andn2_saveexec_b64 s[16:17], s[0:1]
; %bb.161:                              ;   in Loop: Header=BB326_84 Depth=1
	v_or_b32_e32 v27, 0x10000, v29
	v_cmp_eq_u32_sdwa s[0:1], v29, v17 src0_sel:WORD_0 src1_sel:DWORD
	s_nop 1
	v_cndmask_b32_e64 v27, v27, v29, s[0:1]
; %bb.162:                              ;   in Loop: Header=BB326_84 Depth=1
	s_or_b64 exec, exec, s[16:17]
	v_and_b32_e32 v13, 0xffff0000, v13
	v_lshlrev_b32_e32 v29, 16, v33
	v_mul_f32_e32 v33, v13, v29
	v_and_b32_e32 v29, 0x7f800000, v33
	v_cmp_ne_u32_e64 s[0:1], s21, v29
                                        ; implicit-def: $vgpr29
	s_and_saveexec_b64 s[16:17], s[0:1]
	s_xor_b64 s[0:1], exec, s[16:17]
; %bb.163:                              ;   in Loop: Header=BB326_84 Depth=1
	v_bfe_u32 v29, v33, 16, 1
	v_add3_u32 v29, v33, v29, s22
                                        ; implicit-def: $vgpr33
; %bb.164:                              ;   in Loop: Header=BB326_84 Depth=1
	s_andn2_saveexec_b64 s[16:17], s[0:1]
; %bb.165:                              ;   in Loop: Header=BB326_84 Depth=1
	v_or_b32_e32 v29, 0x10000, v33
	v_cmp_eq_u32_sdwa s[0:1], v33, v17 src0_sel:WORD_0 src1_sel:DWORD
	s_nop 1
	v_cndmask_b32_e64 v29, v29, v33, s[0:1]
; %bb.166:                              ;   in Loop: Header=BB326_84 Depth=1
	s_or_b64 exec, exec, s[16:17]
	v_and_b32_e32 v23, 0xffff0000, v23
	v_lshlrev_b32_e32 v32, 16, v32
	v_mul_f32_e32 v33, v23, v32
	v_and_b32_e32 v32, 0x7f800000, v33
	v_cmp_ne_u32_e64 s[0:1], s21, v32
                                        ; implicit-def: $vgpr32
	s_and_saveexec_b64 s[16:17], s[0:1]
	s_xor_b64 s[0:1], exec, s[16:17]
; %bb.167:                              ;   in Loop: Header=BB326_84 Depth=1
	v_bfe_u32 v32, v33, 16, 1
	v_add3_u32 v32, v33, v32, s22
                                        ; implicit-def: $vgpr33
; %bb.168:                              ;   in Loop: Header=BB326_84 Depth=1
	s_andn2_saveexec_b64 s[16:17], s[0:1]
; %bb.169:                              ;   in Loop: Header=BB326_84 Depth=1
	v_or_b32_e32 v32, 0x10000, v33
	v_cmp_eq_u32_sdwa s[0:1], v33, v17 src0_sel:WORD_0 src1_sel:DWORD
	s_nop 1
	v_cndmask_b32_e64 v32, v32, v33, s[0:1]
; %bb.170:                              ;   in Loop: Header=BB326_84 Depth=1
	s_or_b64 exec, exec, s[16:17]
	v_and_b32_e32 v24, 0xffff0000, v24
	v_lshlrev_b32_e32 v31, 16, v31
	v_mul_f32_e32 v33, v24, v31
	v_and_b32_e32 v31, 0x7f800000, v33
	v_cmp_ne_u32_e64 s[0:1], s21, v31
                                        ; implicit-def: $vgpr31
	s_and_saveexec_b64 s[16:17], s[0:1]
	s_xor_b64 s[0:1], exec, s[16:17]
; %bb.171:                              ;   in Loop: Header=BB326_84 Depth=1
	v_bfe_u32 v31, v33, 16, 1
	v_add3_u32 v31, v33, v31, s22
                                        ; implicit-def: $vgpr33
; %bb.172:                              ;   in Loop: Header=BB326_84 Depth=1
	s_andn2_saveexec_b64 s[16:17], s[0:1]
; %bb.173:                              ;   in Loop: Header=BB326_84 Depth=1
	v_or_b32_e32 v31, 0x10000, v33
	v_cmp_eq_u32_sdwa s[0:1], v33, v17 src0_sel:WORD_0 src1_sel:DWORD
	s_nop 1
	v_cndmask_b32_e64 v31, v31, v33, s[0:1]
; %bb.174:                              ;   in Loop: Header=BB326_84 Depth=1
	s_or_b64 exec, exec, s[16:17]
	v_and_b32_e32 v25, 0xffff0000, v25
	v_lshlrev_b32_e32 v30, 16, v30
	v_mul_f32_e32 v33, v25, v30
	v_and_b32_e32 v30, 0x7f800000, v33
	v_cmp_ne_u32_e64 s[0:1], s21, v30
                                        ; implicit-def: $vgpr30
	s_and_saveexec_b64 s[16:17], s[0:1]
	s_xor_b64 s[0:1], exec, s[16:17]
; %bb.175:                              ;   in Loop: Header=BB326_84 Depth=1
	v_bfe_u32 v30, v33, 16, 1
	v_add3_u32 v30, v33, v30, s22
                                        ; implicit-def: $vgpr33
; %bb.176:                              ;   in Loop: Header=BB326_84 Depth=1
	s_andn2_saveexec_b64 s[16:17], s[0:1]
; %bb.177:                              ;   in Loop: Header=BB326_84 Depth=1
	v_or_b32_e32 v30, 0x10000, v33
	v_cmp_eq_u32_sdwa s[0:1], v33, v17 src0_sel:WORD_0 src1_sel:DWORD
	s_nop 1
	v_cndmask_b32_e64 v30, v30, v33, s[0:1]
; %bb.178:                              ;   in Loop: Header=BB326_84 Depth=1
	s_or_b64 exec, exec, s[16:17]
	v_and_b32_e32 v26, 0xffff0000, v26
	v_lshlrev_b32_e32 v2, 16, v2
	v_mul_f32_e32 v2, v26, v2
	v_and_b32_e32 v33, 0x7f800000, v2
	v_cmp_ne_u32_e64 s[0:1], s21, v33
                                        ; implicit-def: $vgpr33
	s_and_saveexec_b64 s[16:17], s[0:1]
	s_xor_b64 s[0:1], exec, s[16:17]
; %bb.179:                              ;   in Loop: Header=BB326_84 Depth=1
	v_bfe_u32 v33, v2, 16, 1
	v_add3_u32 v33, v2, v33, s22
                                        ; implicit-def: $vgpr2
; %bb.180:                              ;   in Loop: Header=BB326_84 Depth=1
	s_andn2_saveexec_b64 s[16:17], s[0:1]
; %bb.181:                              ;   in Loop: Header=BB326_84 Depth=1
	v_or_b32_e32 v33, 0x10000, v2
	v_cmp_eq_u32_sdwa s[0:1], v2, v17 src0_sel:WORD_0 src1_sel:DWORD
	s_nop 1
	v_cndmask_b32_e64 v33, v33, v2, s[0:1]
; %bb.182:                              ;   in Loop: Header=BB326_84 Depth=1
	s_or_b64 exec, exec, s[16:17]
	v_and_b32_e32 v35, 0xffff0000, v33
	v_and_b32_e32 v34, 0xffff0000, v31
	;; [unrolled: 1-line block ×8, first 2 shown]
	v_pk_add_f32 v[2:3], v[32:33], v[28:29]
	s_nop 0
	v_mov_b32_e32 v28, v3
	v_pk_add_f32 v[2:3], v[2:3], v[28:29]
	v_pk_add_f32 v[28:29], v[30:31], v[34:35]
	s_nop 0
	v_pk_add_f32 v[2:3], v[2:3], v[28:29]
	v_mov_b32_e32 v28, v29
	v_pk_add_f32 v[2:3], v[2:3], v[28:29]
	s_nop 0
	v_pk_add_f32 v[2:3], v[14:15], v[2:3]
	s_and_saveexec_b64 s[16:17], vcc
	s_cbranch_execz .LBB326_83
; %bb.183:                              ;   in Loop: Header=BB326_84 Depth=1
	v_lshl_add_u64 v[4:5], v[4:5], 0, v[18:19]
	global_load_dwordx2 v[4:5], v[4:5], off
	s_waitcnt vmcnt(0)
	v_and_b32_e32 v3, 0xff, v4
	v_cvt_f32_fp8_sdwa v3, v3 src0_sel:BYTE_0
	s_nop 0
	v_mul_f32_e32 v27, s20, v3
	v_and_b32_e32 v3, 0x7f800000, v27
	v_cmp_ne_u32_e64 s[0:1], s21, v3
                                        ; implicit-def: $vgpr3
	s_and_saveexec_b64 s[18:19], s[0:1]
	s_xor_b64 s[0:1], exec, s[18:19]
; %bb.184:                              ;   in Loop: Header=BB326_84 Depth=1
	v_bfe_u32 v3, v27, 16, 1
	v_add3_u32 v3, v27, v3, s22
                                        ; implicit-def: $vgpr27
; %bb.185:                              ;   in Loop: Header=BB326_84 Depth=1
	s_andn2_saveexec_b64 s[18:19], s[0:1]
; %bb.186:                              ;   in Loop: Header=BB326_84 Depth=1
	v_or_b32_e32 v3, 0x10000, v27
	v_cmp_eq_u32_sdwa s[0:1], v27, v17 src0_sel:WORD_0 src1_sel:DWORD
	s_nop 1
	v_cndmask_b32_e64 v3, v3, v27, s[0:1]
; %bb.187:                              ;   in Loop: Header=BB326_84 Depth=1
	s_or_b64 exec, exec, s[18:19]
	v_bfe_u32 v27, v4, 8, 8
	v_cvt_f32_fp8_sdwa v27, v27 src0_sel:BYTE_0
	s_nop 0
	v_mul_f32_e32 v28, s20, v27
	v_and_b32_e32 v27, 0x7f800000, v28
	v_cmp_ne_u32_e64 s[0:1], s21, v27
                                        ; implicit-def: $vgpr27
	s_and_saveexec_b64 s[18:19], s[0:1]
	s_xor_b64 s[0:1], exec, s[18:19]
; %bb.188:                              ;   in Loop: Header=BB326_84 Depth=1
	v_bfe_u32 v27, v28, 16, 1
	v_add3_u32 v27, v28, v27, s22
                                        ; implicit-def: $vgpr28
; %bb.189:                              ;   in Loop: Header=BB326_84 Depth=1
	s_andn2_saveexec_b64 s[18:19], s[0:1]
; %bb.190:                              ;   in Loop: Header=BB326_84 Depth=1
	v_or_b32_e32 v27, 0x10000, v28
	v_cmp_eq_u32_sdwa s[0:1], v28, v17 src0_sel:WORD_0 src1_sel:DWORD
	s_nop 1
	v_cndmask_b32_e64 v27, v27, v28, s[0:1]
; %bb.191:                              ;   in Loop: Header=BB326_84 Depth=1
	s_or_b64 exec, exec, s[18:19]
	v_bfe_u32 v28, v4, 16, 8
	v_cvt_f32_fp8_sdwa v28, v28 src0_sel:BYTE_0
	s_nop 0
	v_mul_f32_e32 v28, s20, v28
	v_and_b32_e32 v29, 0x7f800000, v28
	v_cmp_ne_u32_e64 s[0:1], s21, v29
                                        ; implicit-def: $vgpr29
	s_and_saveexec_b64 s[18:19], s[0:1]
	s_xor_b64 s[0:1], exec, s[18:19]
; %bb.192:                              ;   in Loop: Header=BB326_84 Depth=1
	v_bfe_u32 v29, v28, 16, 1
	v_add3_u32 v29, v28, v29, s22
                                        ; implicit-def: $vgpr28
; %bb.193:                              ;   in Loop: Header=BB326_84 Depth=1
	s_andn2_saveexec_b64 s[18:19], s[0:1]
; %bb.194:                              ;   in Loop: Header=BB326_84 Depth=1
	v_or_b32_e32 v29, 0x10000, v28
	v_cmp_eq_u32_sdwa s[0:1], v28, v17 src0_sel:WORD_0 src1_sel:DWORD
	s_nop 1
	v_cndmask_b32_e64 v29, v29, v28, s[0:1]
; %bb.195:                              ;   in Loop: Header=BB326_84 Depth=1
	s_or_b64 exec, exec, s[18:19]
	v_lshrrev_b32_e32 v4, 24, v4
	v_cvt_f32_fp8_sdwa v4, v4 src0_sel:BYTE_0
	s_nop 0
	v_mul_f32_e32 v28, s20, v4
	v_and_b32_e32 v4, 0x7f800000, v28
	v_cmp_ne_u32_e64 s[0:1], s21, v4
                                        ; implicit-def: $vgpr4
	s_and_saveexec_b64 s[18:19], s[0:1]
	s_xor_b64 s[0:1], exec, s[18:19]
; %bb.196:                              ;   in Loop: Header=BB326_84 Depth=1
	v_bfe_u32 v4, v28, 16, 1
	v_add3_u32 v4, v28, v4, s22
                                        ; implicit-def: $vgpr28
; %bb.197:                              ;   in Loop: Header=BB326_84 Depth=1
	s_andn2_saveexec_b64 s[18:19], s[0:1]
; %bb.198:                              ;   in Loop: Header=BB326_84 Depth=1
	v_or_b32_e32 v4, 0x10000, v28
	v_cmp_eq_u32_sdwa s[0:1], v28, v17 src0_sel:WORD_0 src1_sel:DWORD
	s_nop 1
	v_cndmask_b32_e64 v4, v4, v28, s[0:1]
; %bb.199:                              ;   in Loop: Header=BB326_84 Depth=1
	s_or_b64 exec, exec, s[18:19]
	v_and_b32_e32 v28, 0xff, v5
	v_cvt_f32_fp8_sdwa v28, v28 src0_sel:BYTE_0
	s_nop 0
	v_mul_f32_e32 v28, s20, v28
	v_and_b32_e32 v30, 0x7f800000, v28
	v_cmp_ne_u32_e64 s[0:1], s21, v30
                                        ; implicit-def: $vgpr30
	s_and_saveexec_b64 s[18:19], s[0:1]
	s_xor_b64 s[0:1], exec, s[18:19]
; %bb.200:                              ;   in Loop: Header=BB326_84 Depth=1
	v_bfe_u32 v30, v28, 16, 1
	v_add3_u32 v30, v28, v30, s22
                                        ; implicit-def: $vgpr28
; %bb.201:                              ;   in Loop: Header=BB326_84 Depth=1
	s_andn2_saveexec_b64 s[18:19], s[0:1]
; %bb.202:                              ;   in Loop: Header=BB326_84 Depth=1
	v_or_b32_e32 v30, 0x10000, v28
	v_cmp_eq_u32_sdwa s[0:1], v28, v17 src0_sel:WORD_0 src1_sel:DWORD
	s_nop 1
	v_cndmask_b32_e64 v30, v30, v28, s[0:1]
; %bb.203:                              ;   in Loop: Header=BB326_84 Depth=1
	s_or_b64 exec, exec, s[18:19]
	v_bfe_u32 v28, v5, 8, 8
	v_cvt_f32_fp8_sdwa v28, v28 src0_sel:BYTE_0
	s_nop 0
	v_mul_f32_e32 v31, s20, v28
	v_and_b32_e32 v28, 0x7f800000, v31
	v_cmp_ne_u32_e64 s[0:1], s21, v28
                                        ; implicit-def: $vgpr28
	s_and_saveexec_b64 s[18:19], s[0:1]
	s_xor_b64 s[0:1], exec, s[18:19]
; %bb.204:                              ;   in Loop: Header=BB326_84 Depth=1
	v_bfe_u32 v28, v31, 16, 1
	v_add3_u32 v28, v31, v28, s22
                                        ; implicit-def: $vgpr31
; %bb.205:                              ;   in Loop: Header=BB326_84 Depth=1
	s_andn2_saveexec_b64 s[18:19], s[0:1]
; %bb.206:                              ;   in Loop: Header=BB326_84 Depth=1
	v_or_b32_e32 v28, 0x10000, v31
	v_cmp_eq_u32_sdwa s[0:1], v31, v17 src0_sel:WORD_0 src1_sel:DWORD
	s_nop 1
	v_cndmask_b32_e64 v28, v28, v31, s[0:1]
; %bb.207:                              ;   in Loop: Header=BB326_84 Depth=1
	s_or_b64 exec, exec, s[18:19]
	v_bfe_u32 v31, v5, 16, 8
	v_cvt_f32_fp8_sdwa v31, v31 src0_sel:BYTE_0
	s_nop 0
	v_mul_f32_e32 v31, s20, v31
	v_and_b32_e32 v32, 0x7f800000, v31
	v_cmp_ne_u32_e64 s[0:1], s21, v32
                                        ; implicit-def: $vgpr32
	s_and_saveexec_b64 s[18:19], s[0:1]
	s_xor_b64 s[0:1], exec, s[18:19]
; %bb.208:                              ;   in Loop: Header=BB326_84 Depth=1
	v_bfe_u32 v32, v31, 16, 1
	v_add3_u32 v32, v31, v32, s22
                                        ; implicit-def: $vgpr31
; %bb.209:                              ;   in Loop: Header=BB326_84 Depth=1
	s_andn2_saveexec_b64 s[18:19], s[0:1]
; %bb.210:                              ;   in Loop: Header=BB326_84 Depth=1
	v_or_b32_e32 v32, 0x10000, v31
	v_cmp_eq_u32_sdwa s[0:1], v31, v17 src0_sel:WORD_0 src1_sel:DWORD
	s_nop 1
	v_cndmask_b32_e64 v32, v32, v31, s[0:1]
; %bb.211:                              ;   in Loop: Header=BB326_84 Depth=1
	s_or_b64 exec, exec, s[18:19]
	v_lshrrev_b32_e32 v5, 24, v5
	v_cvt_f32_fp8_sdwa v5, v5 src0_sel:BYTE_0
                                        ; implicit-def: $vgpr33
	s_nop 0
	v_mul_f32_e32 v5, s20, v5
	v_and_b32_e32 v31, 0x7f800000, v5
	v_cmp_ne_u32_e64 s[0:1], s21, v31
	s_and_saveexec_b64 s[18:19], s[0:1]
	s_xor_b64 s[0:1], exec, s[18:19]
; %bb.212:                              ;   in Loop: Header=BB326_84 Depth=1
	v_bfe_u32 v31, v5, 16, 1
	v_add3_u32 v33, v5, v31, s22
                                        ; implicit-def: $vgpr5
; %bb.213:                              ;   in Loop: Header=BB326_84 Depth=1
	s_andn2_saveexec_b64 s[18:19], s[0:1]
; %bb.214:                              ;   in Loop: Header=BB326_84 Depth=1
	v_or_b32_e32 v31, 0x10000, v5
	v_cmp_eq_u32_sdwa s[0:1], v5, v17 src0_sel:WORD_0 src1_sel:DWORD
	s_nop 1
	v_cndmask_b32_e64 v33, v31, v5, s[0:1]
; %bb.215:                              ;   in Loop: Header=BB326_84 Depth=1
	s_or_b64 exec, exec, s[18:19]
	v_lshrrev_b32_e32 v28, 16, v28
	v_lshrrev_b32_e32 v30, 16, v30
	;; [unrolled: 1-line block ×8, first 2 shown]
	s_and_saveexec_b64 s[18:19], s[2:3]
	s_cbranch_execz .LBB326_217
; %bb.216:                              ;   in Loop: Header=BB326_84 Depth=1
	v_cmp_gt_i32_e64 s[0:1], s29, v6
	v_add_u32_e32 v6, -6, v11
	s_nop 0
	v_cndmask_b32_e64 v4, 0, v4, s[0:1]
	v_cmp_gt_i32_e64 s[0:1], s29, v6
	v_add_u32_e32 v6, -5, v11
	s_nop 0
	v_cndmask_b32_e64 v27, 0, v27, s[0:1]
	;; [unrolled: 4-line block ×6, first 2 shown]
	v_cmp_gt_i32_e64 s[0:1], s29, v6
	s_nop 1
	v_cndmask_b32_e64 v5, 0, v5, s[0:1]
	v_cmp_gt_i32_e64 s[0:1], s29, v11
	s_nop 1
	v_cndmask_b32_e64 v3, 0, v3, s[0:1]
.LBB326_217:                            ;   in Loop: Header=BB326_84 Depth=1
	s_or_b64 exec, exec, s[18:19]
	v_lshlrev_b32_e32 v4, 16, v4
	v_mul_f32_e32 v6, v7, v4
	v_and_b32_e32 v4, 0x7f800000, v6
	v_cmp_ne_u32_e64 s[0:1], s21, v4
                                        ; implicit-def: $vgpr4
	s_and_saveexec_b64 s[2:3], s[0:1]
	s_xor_b64 s[0:1], exec, s[2:3]
; %bb.218:                              ;   in Loop: Header=BB326_84 Depth=1
	v_bfe_u32 v4, v6, 16, 1
	v_add3_u32 v4, v6, v4, s22
                                        ; implicit-def: $vgpr6
; %bb.219:                              ;   in Loop: Header=BB326_84 Depth=1
	s_andn2_saveexec_b64 s[2:3], s[0:1]
; %bb.220:                              ;   in Loop: Header=BB326_84 Depth=1
	v_or_b32_e32 v4, 0x10000, v6
	v_cmp_eq_u32_sdwa s[0:1], v6, v17 src0_sel:WORD_0 src1_sel:DWORD
	s_nop 1
	v_cndmask_b32_e64 v4, v4, v6, s[0:1]
; %bb.221:                              ;   in Loop: Header=BB326_84 Depth=1
	s_or_b64 exec, exec, s[2:3]
	v_lshlrev_b32_e32 v6, 16, v27
	v_mul_f32_e32 v7, v8, v6
	v_and_b32_e32 v6, 0x7f800000, v7
	v_cmp_ne_u32_e64 s[0:1], s21, v6
                                        ; implicit-def: $vgpr6
	s_and_saveexec_b64 s[2:3], s[0:1]
	s_xor_b64 s[0:1], exec, s[2:3]
; %bb.222:                              ;   in Loop: Header=BB326_84 Depth=1
	v_bfe_u32 v6, v7, 16, 1
	v_add3_u32 v6, v7, v6, s22
                                        ; implicit-def: $vgpr7
; %bb.223:                              ;   in Loop: Header=BB326_84 Depth=1
	s_andn2_saveexec_b64 s[2:3], s[0:1]
; %bb.224:                              ;   in Loop: Header=BB326_84 Depth=1
	v_or_b32_e32 v6, 0x10000, v7
	v_cmp_eq_u32_sdwa s[0:1], v7, v17 src0_sel:WORD_0 src1_sel:DWORD
	s_nop 1
	v_cndmask_b32_e64 v6, v6, v7, s[0:1]
; %bb.225:                              ;   in Loop: Header=BB326_84 Depth=1
	s_or_b64 exec, exec, s[2:3]
	v_lshlrev_b32_e32 v7, 16, v29
	v_mul_f32_e32 v8, v9, v7
	v_and_b32_e32 v7, 0x7f800000, v8
	v_cmp_ne_u32_e64 s[0:1], s21, v7
                                        ; implicit-def: $vgpr7
	s_and_saveexec_b64 s[2:3], s[0:1]
	s_xor_b64 s[0:1], exec, s[2:3]
; %bb.226:                              ;   in Loop: Header=BB326_84 Depth=1
	v_bfe_u32 v7, v8, 16, 1
	v_add3_u32 v7, v8, v7, s22
                                        ; implicit-def: $vgpr8
; %bb.227:                              ;   in Loop: Header=BB326_84 Depth=1
	s_andn2_saveexec_b64 s[2:3], s[0:1]
; %bb.228:                              ;   in Loop: Header=BB326_84 Depth=1
	v_or_b32_e32 v7, 0x10000, v8
	v_cmp_eq_u32_sdwa s[0:1], v8, v17 src0_sel:WORD_0 src1_sel:DWORD
	s_nop 1
	v_cndmask_b32_e64 v7, v7, v8, s[0:1]
; %bb.229:                              ;   in Loop: Header=BB326_84 Depth=1
	s_or_b64 exec, exec, s[2:3]
	v_lshlrev_b32_e32 v8, 16, v31
	v_mul_f32_e32 v9, v13, v8
	v_and_b32_e32 v8, 0x7f800000, v9
	v_cmp_ne_u32_e64 s[0:1], s21, v8
                                        ; implicit-def: $vgpr8
	s_and_saveexec_b64 s[2:3], s[0:1]
	s_xor_b64 s[0:1], exec, s[2:3]
; %bb.230:                              ;   in Loop: Header=BB326_84 Depth=1
	v_bfe_u32 v8, v9, 16, 1
	v_add3_u32 v8, v9, v8, s22
                                        ; implicit-def: $vgpr9
; %bb.231:                              ;   in Loop: Header=BB326_84 Depth=1
	s_andn2_saveexec_b64 s[2:3], s[0:1]
; %bb.232:                              ;   in Loop: Header=BB326_84 Depth=1
	v_or_b32_e32 v8, 0x10000, v9
	v_cmp_eq_u32_sdwa s[0:1], v9, v17 src0_sel:WORD_0 src1_sel:DWORD
	s_nop 1
	v_cndmask_b32_e64 v8, v8, v9, s[0:1]
; %bb.233:                              ;   in Loop: Header=BB326_84 Depth=1
	s_or_b64 exec, exec, s[2:3]
	v_lshlrev_b32_e32 v9, 16, v30
	v_mul_f32_e32 v13, v23, v9
	v_and_b32_e32 v9, 0x7f800000, v13
	v_cmp_ne_u32_e64 s[0:1], s21, v9
                                        ; implicit-def: $vgpr9
	s_and_saveexec_b64 s[2:3], s[0:1]
	s_xor_b64 s[0:1], exec, s[2:3]
; %bb.234:                              ;   in Loop: Header=BB326_84 Depth=1
	v_bfe_u32 v9, v13, 16, 1
	v_add3_u32 v9, v13, v9, s22
                                        ; implicit-def: $vgpr13
; %bb.235:                              ;   in Loop: Header=BB326_84 Depth=1
	s_andn2_saveexec_b64 s[2:3], s[0:1]
; %bb.236:                              ;   in Loop: Header=BB326_84 Depth=1
	v_or_b32_e32 v9, 0x10000, v13
	v_cmp_eq_u32_sdwa s[0:1], v13, v17 src0_sel:WORD_0 src1_sel:DWORD
	s_nop 1
	v_cndmask_b32_e64 v9, v9, v13, s[0:1]
; %bb.237:                              ;   in Loop: Header=BB326_84 Depth=1
	s_or_b64 exec, exec, s[2:3]
	v_lshlrev_b32_e32 v13, 16, v28
	v_mul_f32_e32 v23, v24, v13
	v_and_b32_e32 v13, 0x7f800000, v23
	v_cmp_ne_u32_e64 s[0:1], s21, v13
                                        ; implicit-def: $vgpr13
	s_and_saveexec_b64 s[2:3], s[0:1]
	s_xor_b64 s[0:1], exec, s[2:3]
; %bb.238:                              ;   in Loop: Header=BB326_84 Depth=1
	v_bfe_u32 v13, v23, 16, 1
	v_add3_u32 v13, v23, v13, s22
                                        ; implicit-def: $vgpr23
; %bb.239:                              ;   in Loop: Header=BB326_84 Depth=1
	s_andn2_saveexec_b64 s[2:3], s[0:1]
; %bb.240:                              ;   in Loop: Header=BB326_84 Depth=1
	v_or_b32_e32 v13, 0x10000, v23
	v_cmp_eq_u32_sdwa s[0:1], v23, v17 src0_sel:WORD_0 src1_sel:DWORD
	s_nop 1
	v_cndmask_b32_e64 v13, v13, v23, s[0:1]
; %bb.241:                              ;   in Loop: Header=BB326_84 Depth=1
	s_or_b64 exec, exec, s[2:3]
	v_lshlrev_b32_e32 v5, 16, v5
	v_mul_f32_e32 v23, v25, v5
	v_and_b32_e32 v5, 0x7f800000, v23
	v_cmp_ne_u32_e64 s[0:1], s21, v5
                                        ; implicit-def: $vgpr5
	s_and_saveexec_b64 s[2:3], s[0:1]
	s_xor_b64 s[0:1], exec, s[2:3]
; %bb.242:                              ;   in Loop: Header=BB326_84 Depth=1
	v_bfe_u32 v5, v23, 16, 1
	v_add3_u32 v5, v23, v5, s22
                                        ; implicit-def: $vgpr23
; %bb.243:                              ;   in Loop: Header=BB326_84 Depth=1
	s_andn2_saveexec_b64 s[2:3], s[0:1]
; %bb.244:                              ;   in Loop: Header=BB326_84 Depth=1
	v_or_b32_e32 v5, 0x10000, v23
	v_cmp_eq_u32_sdwa s[0:1], v23, v17 src0_sel:WORD_0 src1_sel:DWORD
	s_nop 1
	v_cndmask_b32_e64 v5, v5, v23, s[0:1]
; %bb.245:                              ;   in Loop: Header=BB326_84 Depth=1
	s_or_b64 exec, exec, s[2:3]
	v_lshlrev_b32_e32 v3, 16, v3
	v_mul_f32_e32 v3, v26, v3
	v_and_b32_e32 v23, 0x7f800000, v3
	v_cmp_ne_u32_e64 s[0:1], s21, v23
                                        ; implicit-def: $vgpr23
	s_and_saveexec_b64 s[2:3], s[0:1]
	s_xor_b64 s[0:1], exec, s[2:3]
; %bb.246:                              ;   in Loop: Header=BB326_84 Depth=1
	v_bfe_u32 v23, v3, 16, 1
	v_add3_u32 v23, v3, v23, s22
                                        ; implicit-def: $vgpr3
; %bb.247:                              ;   in Loop: Header=BB326_84 Depth=1
	s_andn2_saveexec_b64 s[2:3], s[0:1]
	s_cbranch_execz .LBB326_82
; %bb.248:                              ;   in Loop: Header=BB326_84 Depth=1
	v_or_b32_e32 v23, 0x10000, v3
	v_cmp_eq_u32_sdwa s[0:1], v3, v17 src0_sel:WORD_0 src1_sel:DWORD
	s_nop 1
	v_cndmask_b32_e64 v23, v23, v3, s[0:1]
	s_branch .LBB326_82
.LBB326_249:
	s_or_b64 exec, exec, s[14:15]
.LBB326_250:
	s_or_b64 exec, exec, s[12:13]
	v_and_b32_e32 v3, 0x3c0, v0
	v_cmp_eq_u32_e32 vcc, 64, v3
	s_barrier
	s_and_saveexec_b64 s[0:1], vcc
	s_cbranch_execz .LBB326_253
; %bb.251:
	v_mov_b32_e32 v3, 0xb0
	v_lshl_add_u32 v1, v1, 2, v3
	ds_write_b32 v1, v2
	s_and_b64 exec, exec, s[10:11]
	s_cbranch_execz .LBB326_253
; %bb.252:
	v_lshl_add_u32 v1, v0, 2, v3
	ds_write_b32 v1, v15
.LBB326_253:
	s_or_b64 exec, exec, s[0:1]
	v_cmp_gt_u32_e32 vcc, 64, v0
	v_or_b32_e32 v1, 64, v0
	s_waitcnt lgkmcnt(0)
	s_barrier
	s_and_saveexec_b64 s[2:3], vcc
	s_cbranch_execz .LBB326_257
; %bb.254:
	v_mov_b32_e32 v3, 0xb0
	v_lshl_add_u32 v3, v0, 2, v3
	ds_read_b32 v0, v3
	s_movk_i32 s0, 0x50
	v_cmp_gt_u32_e64 s[0:1], s0, v1
	s_and_saveexec_b64 s[6:7], s[0:1]
	s_cbranch_execz .LBB326_256
; %bb.255:
	ds_read_b32 v3, v3 offset:256
	s_waitcnt lgkmcnt(0)
	v_add_f32_e32 v15, v15, v3
.LBB326_256:
	s_or_b64 exec, exec, s[6:7]
	s_waitcnt lgkmcnt(0)
	v_add_f32_e32 v2, v2, v0
.LBB326_257:
	s_or_b64 exec, exec, s[2:3]
	s_barrier
	s_and_saveexec_b64 s[0:1], vcc
	s_cbranch_execz .LBB326_268
; %bb.258:
	s_mov_b32 s0, 0x7f800000
	v_and_b32_e32 v0, 0x7f800000, v2
	v_cmp_ne_u32_e32 vcc, s0, v0
                                        ; implicit-def: $vgpr0
	s_and_saveexec_b64 s[0:1], vcc
	s_xor_b64 s[0:1], exec, s[0:1]
; %bb.259:
	v_bfe_u32 v0, v2, 16, 1
	s_movk_i32 s2, 0x7fff
	v_add3_u32 v0, v2, v0, s2
                                        ; implicit-def: $vgpr2
; %bb.260:
	s_andn2_saveexec_b64 s[0:1], s[0:1]
; %bb.261:
	v_mov_b32_e32 v0, 0
	v_or_b32_e32 v3, 0x10000, v2
	v_cmp_eq_u32_sdwa vcc, v2, v0 src0_sel:WORD_0 src1_sel:DWORD
	s_nop 1
	v_cndmask_b32_e32 v0, v3, v2, vcc
; %bb.262:
	s_or_b64 exec, exec, s[0:1]
	s_mul_i32 s0, s8, 0x50
	s_ashr_i32 s1, s0, 31
	s_lshl_b64 s[0:1], s[0:1], 1
	s_add_u32 s3, s26, s0
	s_mul_i32 s0, s25, s24
	s_addc_u32 s5, s27, s1
	s_ashr_i32 s1, s0, 31
	s_lshl_b64 s[0:1], s[0:1], 1
	s_add_u32 s3, s3, s0
	s_mul_i32 s0, s4, 0x50
	s_addc_u32 s5, s5, s1
	s_ashr_i32 s1, s0, 31
	s_lshl_b64 s[0:1], s[0:1], 1
	s_movk_i32 s2, 0x50
	s_add_u32 s0, s3, s0
	s_addc_u32 s1, s5, s1
	v_cmp_gt_u32_e32 vcc, s2, v1
	global_store_short_d16_hi v10, v0, s[0:1]
	s_and_b64 exec, exec, vcc
	s_cbranch_execz .LBB326_268
; %bb.263:
	s_mov_b32 s2, 0x7f800000
	v_and_b32_e32 v0, 0x7f800000, v15
	v_mov_b32_e32 v11, 0
	v_cmp_ne_u32_e32 vcc, s2, v0
                                        ; implicit-def: $vgpr2
	s_and_saveexec_b64 s[2:3], vcc
	s_xor_b64 s[2:3], exec, s[2:3]
; %bb.264:
	v_bfe_u32 v0, v15, 16, 1
	s_movk_i32 s4, 0x7fff
	v_add3_u32 v2, v15, v0, s4
                                        ; implicit-def: $vgpr15
; %bb.265:
	s_or_saveexec_b64 s[2:3], s[2:3]
	v_lshl_add_u64 v[0:1], s[0:1], 0, v[10:11]
	s_xor_b64 exec, exec, s[2:3]
; %bb.266:
	v_mov_b32_e32 v2, 0
	v_or_b32_e32 v3, 0x10000, v15
	v_cmp_eq_u32_sdwa vcc, v15, v2 src0_sel:WORD_0 src1_sel:DWORD
	s_nop 1
	v_cndmask_b32_e32 v2, v3, v15, vcc
; %bb.267:
	s_or_b64 exec, exec, s[2:3]
	global_store_short_d16_hi v[0:1], v2, off offset:128
.LBB326_268:
	s_endpgm
	.section	.rodata,"a",@progbits
	.p2align	6, 0x0
	.amdhsa_kernel _ZN4vllm25paged_attention_v2_kernelI14__hip_bfloat16hLi80ELi8ELi128ELNS_18Fp8KVCacheDataTypeE1ELb0ELi512EEEvPfS3_PT_PKS4_PKT0_SA_ifPKiSC_iPKfiiiSE_SE_iiiii
		.amdhsa_group_segment_fixed_size 176
		.amdhsa_private_segment_fixed_size 0
		.amdhsa_kernarg_size 400
		.amdhsa_user_sgpr_count 2
		.amdhsa_user_sgpr_dispatch_ptr 0
		.amdhsa_user_sgpr_queue_ptr 0
		.amdhsa_user_sgpr_kernarg_segment_ptr 1
		.amdhsa_user_sgpr_dispatch_id 0
		.amdhsa_user_sgpr_kernarg_preload_length 0
		.amdhsa_user_sgpr_kernarg_preload_offset 0
		.amdhsa_user_sgpr_private_segment_size 0
		.amdhsa_uses_dynamic_stack 0
		.amdhsa_enable_private_segment 0
		.amdhsa_system_sgpr_workgroup_id_x 1
		.amdhsa_system_sgpr_workgroup_id_y 1
		.amdhsa_system_sgpr_workgroup_id_z 1
		.amdhsa_system_sgpr_workgroup_info 0
		.amdhsa_system_vgpr_workitem_id 0
		.amdhsa_next_free_vgpr 43
		.amdhsa_next_free_sgpr 49
		.amdhsa_accum_offset 44
		.amdhsa_reserve_vcc 1
		.amdhsa_float_round_mode_32 0
		.amdhsa_float_round_mode_16_64 0
		.amdhsa_float_denorm_mode_32 3
		.amdhsa_float_denorm_mode_16_64 3
		.amdhsa_dx10_clamp 1
		.amdhsa_ieee_mode 1
		.amdhsa_fp16_overflow 0
		.amdhsa_tg_split 0
		.amdhsa_exception_fp_ieee_invalid_op 0
		.amdhsa_exception_fp_denorm_src 0
		.amdhsa_exception_fp_ieee_div_zero 0
		.amdhsa_exception_fp_ieee_overflow 0
		.amdhsa_exception_fp_ieee_underflow 0
		.amdhsa_exception_fp_ieee_inexact 0
		.amdhsa_exception_int_div_zero 0
	.end_amdhsa_kernel
	.section	.text._ZN4vllm25paged_attention_v2_kernelI14__hip_bfloat16hLi80ELi8ELi128ELNS_18Fp8KVCacheDataTypeE1ELb0ELi512EEEvPfS3_PT_PKS4_PKT0_SA_ifPKiSC_iPKfiiiSE_SE_iiiii,"axG",@progbits,_ZN4vllm25paged_attention_v2_kernelI14__hip_bfloat16hLi80ELi8ELi128ELNS_18Fp8KVCacheDataTypeE1ELb0ELi512EEEvPfS3_PT_PKS4_PKT0_SA_ifPKiSC_iPKfiiiSE_SE_iiiii,comdat
.Lfunc_end326:
	.size	_ZN4vllm25paged_attention_v2_kernelI14__hip_bfloat16hLi80ELi8ELi128ELNS_18Fp8KVCacheDataTypeE1ELb0ELi512EEEvPfS3_PT_PKS4_PKT0_SA_ifPKiSC_iPKfiiiSE_SE_iiiii, .Lfunc_end326-_ZN4vllm25paged_attention_v2_kernelI14__hip_bfloat16hLi80ELi8ELi128ELNS_18Fp8KVCacheDataTypeE1ELb0ELi512EEEvPfS3_PT_PKS4_PKT0_SA_ifPKiSC_iPKfiiiSE_SE_iiiii
                                        ; -- End function
	.section	.AMDGPU.csdata,"",@progbits
; Kernel info:
; codeLenInByte = 8928
; NumSgprs: 55
; NumVgprs: 43
; NumAgprs: 0
; TotalNumVgprs: 43
; ScratchSize: 0
; MemoryBound: 0
; FloatMode: 240
; IeeeMode: 1
; LDSByteSize: 176 bytes/workgroup (compile time only)
; SGPRBlocks: 6
; VGPRBlocks: 5
; NumSGPRsForWavesPerEU: 55
; NumVGPRsForWavesPerEU: 43
; AccumOffset: 44
; Occupancy: 8
; WaveLimiterHint : 1
; COMPUTE_PGM_RSRC2:SCRATCH_EN: 0
; COMPUTE_PGM_RSRC2:USER_SGPR: 2
; COMPUTE_PGM_RSRC2:TRAP_HANDLER: 0
; COMPUTE_PGM_RSRC2:TGID_X_EN: 1
; COMPUTE_PGM_RSRC2:TGID_Y_EN: 1
; COMPUTE_PGM_RSRC2:TGID_Z_EN: 1
; COMPUTE_PGM_RSRC2:TIDIG_COMP_CNT: 0
; COMPUTE_PGM_RSRC3_GFX90A:ACCUM_OFFSET: 10
; COMPUTE_PGM_RSRC3_GFX90A:TG_SPLIT: 0
	.section	.text._ZN4vllm25paged_attention_v2_kernelI14__hip_bfloat16hLi96ELi8ELi128ELNS_18Fp8KVCacheDataTypeE1ELb0ELi512EEEvPfS3_PT_PKS4_PKT0_SA_ifPKiSC_iPKfiiiSE_SE_iiiii,"axG",@progbits,_ZN4vllm25paged_attention_v2_kernelI14__hip_bfloat16hLi96ELi8ELi128ELNS_18Fp8KVCacheDataTypeE1ELb0ELi512EEEvPfS3_PT_PKS4_PKT0_SA_ifPKiSC_iPKfiiiSE_SE_iiiii,comdat
	.protected	_ZN4vllm25paged_attention_v2_kernelI14__hip_bfloat16hLi96ELi8ELi128ELNS_18Fp8KVCacheDataTypeE1ELb0ELi512EEEvPfS3_PT_PKS4_PKT0_SA_ifPKiSC_iPKfiiiSE_SE_iiiii ; -- Begin function _ZN4vllm25paged_attention_v2_kernelI14__hip_bfloat16hLi96ELi8ELi128ELNS_18Fp8KVCacheDataTypeE1ELb0ELi512EEEvPfS3_PT_PKS4_PKT0_SA_ifPKiSC_iPKfiiiSE_SE_iiiii
	.globl	_ZN4vllm25paged_attention_v2_kernelI14__hip_bfloat16hLi96ELi8ELi128ELNS_18Fp8KVCacheDataTypeE1ELb0ELi512EEEvPfS3_PT_PKS4_PKT0_SA_ifPKiSC_iPKfiiiSE_SE_iiiii
	.p2align	8
	.type	_ZN4vllm25paged_attention_v2_kernelI14__hip_bfloat16hLi96ELi8ELi128ELNS_18Fp8KVCacheDataTypeE1ELb0ELi512EEEvPfS3_PT_PKS4_PKT0_SA_ifPKiSC_iPKfiiiSE_SE_iiiii,@function
_ZN4vllm25paged_attention_v2_kernelI14__hip_bfloat16hLi96ELi8ELi128ELNS_18Fp8KVCacheDataTypeE1ELb0ELi512EEEvPfS3_PT_PKS4_PKT0_SA_ifPKiSC_iPKfiiiSE_SE_iiiii: ; @_ZN4vllm25paged_attention_v2_kernelI14__hip_bfloat16hLi96ELi8ELi128ELNS_18Fp8KVCacheDataTypeE1ELb0ELi512EEEvPfS3_PT_PKS4_PKT0_SA_ifPKiSC_iPKfiiiSE_SE_iiiii
; %bb.0:
	s_load_dwordx2 s[6:7], s[0:1], 0x40
	s_mov_b32 s28, s3
	s_ashr_i32 s29, s3, 31
	s_lshl_b64 s[8:9], s[28:29], 2
	s_waitcnt lgkmcnt(0)
	s_add_u32 s6, s6, s8
	s_addc_u32 s7, s7, s9
	s_load_dword s29, s[6:7], 0x0
	s_lshl_b32 s42, s4, 9
	s_waitcnt lgkmcnt(0)
	s_cmp_ge_i32 s42, s29
	s_cbranch_scc1 .LBB327_276
; %bb.1:
	s_load_dword s5, s[0:1], 0x90
	s_load_dwordx2 s[38:39], s[0:1], 0x30
	s_mov_b32 s43, 0
	s_waitcnt lgkmcnt(0)
	s_abs_i32 s7, s5
	s_abs_i32 s3, s38
	v_cvt_f32_u32_e32 v1, s3
	s_sub_i32 s8, 0, s3
	s_xor_b32 s6, s5, s38
	s_ashr_i32 s6, s6, 31
	v_rcp_iflag_f32_e32 v1, v1
	s_nop 0
	v_mul_f32_e32 v1, 0x4f7ffffe, v1
	v_cvt_u32_f32_e32 v1, v1
	s_nop 0
	v_readfirstlane_b32 s9, v1
	s_mul_i32 s8, s8, s9
	s_mul_hi_u32 s8, s9, s8
	s_add_i32 s9, s9, s8
	s_mul_hi_u32 s8, s7, s9
	s_mul_i32 s9, s8, s3
	s_sub_i32 s7, s7, s9
	s_add_i32 s10, s8, 1
	s_sub_i32 s9, s7, s3
	s_cmp_ge_u32 s7, s3
	s_cselect_b32 s8, s10, s8
	s_cselect_b32 s7, s9, s7
	s_add_i32 s9, s8, 1
	s_cmp_ge_u32 s7, s3
	s_cselect_b32 s3, s9, s8
	s_xor_b32 s3, s3, s6
	s_sub_i32 s10, s3, s6
	s_abs_i32 s8, s10
	v_cvt_f32_u32_e32 v1, s8
	s_load_dwordx2 s[6:7], s[0:1], 0x50
	s_sub_i32 s3, 0, s8
	s_abs_i32 s9, s2
	v_rcp_iflag_f32_e32 v1, v1
	s_nop 0
	v_mul_f32_e32 v1, 0x4f7ffffe, v1
	v_cvt_u32_f32_e32 v1, v1
	s_nop 0
	v_readfirstlane_b32 s11, v1
	s_mul_i32 s3, s3, s11
	s_mul_hi_u32 s3, s11, s3
	s_add_i32 s11, s11, s3
	s_waitcnt lgkmcnt(0)
	s_cmp_eq_u64 s[6:7], 0
	s_mul_hi_u32 s12, s9, s11
	s_cbranch_scc1 .LBB327_3
; %bb.2:
	s_ashr_i32 s3, s2, 31
	s_lshl_b64 s[14:15], s[2:3], 2
	s_add_u32 s6, s6, s14
	s_addc_u32 s7, s7, s15
	s_load_dword s43, s[6:7], 0x0
.LBB327_3:
	s_load_dwordx4 s[16:19], s[0:1], 0x58
	s_movk_i32 s3, 0x60
	s_ashr_i32 s13, s2, 31
	s_ashr_i32 s14, s10, 31
	v_and_b32_e32 v2, 7, v0
	s_mul_i32 s24, s2, 0x60
	v_cmp_gt_u32_e64 s[10:11], s3, v0
	v_lshlrev_b32_e32 v10, 1, v0
	s_and_saveexec_b64 s[6:7], s[10:11]
	s_cbranch_execz .LBB327_5
; %bb.4:
	s_load_dwordx2 s[20:21], s[0:1], 0x18
	s_waitcnt lgkmcnt(0)
	s_mul_i32 s22, s28, s16
	s_ashr_i32 s23, s22, 31
	s_lshl_b64 s[22:23], s[22:23], 1
	v_lshrrev_b32_e32 v3, 2, v0
	s_add_u32 s3, s20, s22
	s_addc_u32 s15, s21, s23
	s_ashr_i32 s25, s24, 31
	s_lshl_b64 s[20:21], s[24:25], 1
	s_add_u32 s20, s3, s20
	s_addc_u32 s21, s15, s21
	global_load_ushort v1, v10, s[20:21]
	v_and_b32_e32 v3, 0xfe, v3
	v_mad_u32_u24 v3, v2, 24, v3
	s_waitcnt vmcnt(0)
	ds_write_b16 v3, v1
.LBB327_5:
	s_or_b64 exec, exec, s[6:7]
	s_add_i32 s3, s29, 7
	s_ashr_i32 s6, s3, 31
	s_lshr_b32 s6, s6, 29
	s_add_i32 s3, s3, s6
	s_lshl_b32 s38, s4, 6
	s_mul_i32 s7, s12, s8
	s_ashr_i32 s3, s3, 3
	s_add_i32 s6, s38, 64
	s_sub_i32 s7, s9, s7
	s_min_i32 s33, s6, s3
	s_xor_b32 s6, s13, s14
	s_add_i32 s9, s12, 1
	s_sub_i32 s13, s7, s8
	s_cmp_ge_u32 s7, s8
	s_cselect_b32 s9, s9, s12
	s_cselect_b32 s7, s13, s7
	s_add_i32 s12, s9, 1
	s_cmp_ge_u32 s7, s8
	s_load_dwordx2 s[30:31], s[0:1], 0x38
	s_load_dword s8, s[0:1], 0x48
	v_lshrrev_b32_e32 v14, 6, v0
	s_cselect_b32 s7, s12, s9
	s_xor_b32 s7, s7, s6
	v_or_b32_e32 v12, s38, v14
	s_waitcnt lgkmcnt(0)
	s_mul_i32 s34, s28, s8
	s_sub_i32 s16, s7, s6
	s_ashr_i32 s35, s34, 31
	v_cmp_gt_i32_e64 s[6:7], s33, v12
	v_cmp_le_i32_e32 vcc, s33, v12
	v_mbcnt_lo_u32_b32 v6, -1, 0
	s_barrier
	s_waitcnt lgkmcnt(0)
                                        ; implicit-def: $sgpr19
                                        ; implicit-def: $vgpr15
                                        ; implicit-def: $vgpr16
	s_and_saveexec_b64 s[8:9], vcc
	s_xor_b64 s[8:9], exec, s[8:9]
; %bb.6:
	v_mbcnt_hi_u32_b32 v15, -1, v6
	v_and_b32_e32 v1, 64, v15
	v_add_u32_e32 v16, 64, v1
	s_mov_b32 s19, 0xff7fffff
                                        ; implicit-def: $vgpr2
                                        ; implicit-def: $vgpr6
; %bb.7:
	s_or_saveexec_b64 s[40:41], s[8:9]
	s_load_dwordx4 s[20:23], s[0:1], 0x0
	s_load_dwordx2 s[26:27], s[0:1], 0x10
	s_load_dword s25, s[0:1], 0x98
	s_load_dwordx2 s[36:37], s[0:1], 0x28
	s_load_dwordx4 s[12:15], s[0:1], 0x68
	v_mov_b32_e32 v28, s19
	s_mul_i32 s16, s16, s18
	v_ashrrev_i32_e32 v13, 31, v12
	v_lshlrev_b32_e32 v11, 3, v14
	s_xor_b64 exec, exec, s[40:41]
	s_cbranch_execz .LBB327_61
; %bb.8:
	v_mbcnt_hi_u32_b32 v15, -1, v6
	v_and_b32_e32 v6, 64, v15
	v_add_u32_e32 v16, 64, v6
	v_xor_b32_e32 v6, 4, v15
	s_load_dwordx2 s[0:1], s[0:1], 0x20
	v_cmp_lt_i32_e32 vcc, v6, v16
	s_ashr_i32 s8, s16, 31
	v_mul_u32_u24_e32 v1, 24, v2
	v_cndmask_b32_e32 v6, v15, v6, vcc
	v_lshlrev_b32_e32 v29, 2, v6
	v_xor_b32_e32 v6, 2, v15
	v_cmp_lt_i32_e32 vcc, v6, v16
	v_bfe_u32 v7, v0, 3, 3
	s_waitcnt lgkmcnt(0)
	s_add_u32 s0, s0, s16
	v_cndmask_b32_e32 v6, v15, v6, vcc
	ds_read2_b64 v[20:23], v1 offset1:1
	ds_read_b64 v[8:9], v1 offset:16
	v_mov_b32_e32 v3, 0
	v_lshlrev_b32_e32 v30, 2, v6
	v_xor_b32_e32 v6, 1, v15
	v_lshlrev_b32_e32 v4, 4, v7
	s_addc_u32 s1, s1, s8
	v_mov_b32_e32 v5, v3
	v_cmp_lt_i32_e32 vcc, v6, v16
	s_load_dword s45, s[12:13], 0x0
	v_lshl_add_u64 v[4:5], s[0:1], 0, v[4:5]
	v_cndmask_b32_e32 v6, v15, v6, vcc
	s_sub_i32 s46, 1, s29
	s_lshl_b64 s[0:1], s[34:35], 2
	v_lshlrev_b32_e32 v31, 2, v6
	v_lshlrev_b32_e32 v6, 2, v7
	s_add_u32 s0, s30, s0
	v_lshl_or_b32 v6, v14, 5, v6
	s_addc_u32 s1, s31, s1
	s_mov_b32 s44, s17
	s_waitcnt lgkmcnt(0)
	v_lshlrev_b32_e32 v1, 16, v20
	v_and_b32_e32 v17, 0xffff0000, v20
	v_lshlrev_b32_e32 v18, 16, v21
	v_and_b32_e32 v19, 0xffff0000, v21
	v_lshlrev_b32_e32 v20, 16, v22
	v_and_b32_e32 v21, 0xffff0000, v22
	v_lshlrev_b32_e32 v22, 16, v23
	v_and_b32_e32 v23, 0xffff0000, v23
	v_lshlrev_b32_e32 v24, 16, v8
	v_and_b32_e32 v25, 0xffff0000, v8
	v_lshlrev_b32_e32 v26, 16, v9
	v_and_b32_e32 v27, 0xffff0000, v9
	v_cmp_eq_u32_e32 vcc, 0, v2
	v_cmp_neq_f32_e64 s[8:9], s43, 0
	v_add3_u32 v32, s42, v11, v7
	v_add_u32_e32 v33, 0xd0, v6
	v_lshl_add_u64 v[6:7], v[12:13], 2, s[0:1]
	s_mov_b64 s[12:13], 0
	v_mov_b32_e32 v28, 0xff7fffff
	s_mov_b32 s47, 0x7f800000
	s_movk_i32 s48, 0x7fff
	v_mov_b32_e32 v34, v12
	s_branch .LBB327_10
.LBB327_9:                              ;   in Loop: Header=BB327_10 Depth=1
	s_or_b64 exec, exec, s[18:19]
	v_add_u32_e32 v34, 2, v34
	v_cmp_le_i32_e64 s[0:1], s33, v34
	v_add_u32_e32 v32, 16, v32
	v_add_u32_e32 v33, 64, v33
	s_or_b64 s[12:13], s[0:1], s[12:13]
	v_lshl_add_u64 v[6:7], v[6:7], 0, 8
	s_andn2_b64 exec, exec, s[12:13]
	s_cbranch_execz .LBB327_60
.LBB327_10:                             ; =>This Inner Loop Header: Depth=1
	global_load_dword v8, v[6:7], off
	s_waitcnt vmcnt(0) lgkmcnt(0)
	v_mad_i64_i32 v[8:9], s[0:1], v8, s44, v[4:5]
	v_lshl_add_u64 v[8:9], v[8:9], 0, v[2:3]
	global_load_ubyte v35, v[8:9], off
	s_waitcnt vmcnt(0)
	v_cvt_f32_fp8_sdwa v35, v35 src0_sel:BYTE_0
	s_nop 0
	v_mul_f32_e32 v36, s45, v35
	v_and_b32_e32 v35, 0x7f800000, v36
	v_cmp_ne_u32_e64 s[0:1], s47, v35
                                        ; implicit-def: $vgpr35
	s_and_saveexec_b64 s[18:19], s[0:1]
	s_xor_b64 s[0:1], exec, s[18:19]
; %bb.11:                               ;   in Loop: Header=BB327_10 Depth=1
	v_bfe_u32 v35, v36, 16, 1
	v_add3_u32 v35, v36, v35, s48
                                        ; implicit-def: $vgpr36
; %bb.12:                               ;   in Loop: Header=BB327_10 Depth=1
	s_andn2_saveexec_b64 s[18:19], s[0:1]
; %bb.13:                               ;   in Loop: Header=BB327_10 Depth=1
	v_or_b32_e32 v35, 0x10000, v36
	v_cmp_eq_u32_sdwa s[0:1], v36, v3 src0_sel:WORD_0 src1_sel:DWORD
	s_nop 1
	v_cndmask_b32_e64 v35, v35, v36, s[0:1]
; %bb.14:                               ;   in Loop: Header=BB327_10 Depth=1
	s_or_b64 exec, exec, s[18:19]
	global_load_ubyte v36, v[8:9], off offset:8
	s_waitcnt vmcnt(0)
	v_cvt_f32_fp8_sdwa v36, v36 src0_sel:BYTE_0
	s_nop 0
	v_mul_f32_e32 v37, s45, v36
	v_and_b32_e32 v36, 0x7f800000, v37
	v_cmp_ne_u32_e64 s[0:1], s47, v36
                                        ; implicit-def: $vgpr36
	s_and_saveexec_b64 s[18:19], s[0:1]
	s_xor_b64 s[0:1], exec, s[18:19]
; %bb.15:                               ;   in Loop: Header=BB327_10 Depth=1
	v_bfe_u32 v36, v37, 16, 1
	v_add3_u32 v36, v37, v36, s48
                                        ; implicit-def: $vgpr37
; %bb.16:                               ;   in Loop: Header=BB327_10 Depth=1
	s_andn2_saveexec_b64 s[18:19], s[0:1]
; %bb.17:                               ;   in Loop: Header=BB327_10 Depth=1
	v_or_b32_e32 v36, 0x10000, v37
	v_cmp_eq_u32_sdwa s[0:1], v37, v3 src0_sel:WORD_0 src1_sel:DWORD
	s_nop 1
	v_cndmask_b32_e64 v36, v36, v37, s[0:1]
; %bb.18:                               ;   in Loop: Header=BB327_10 Depth=1
	s_or_b64 exec, exec, s[18:19]
	global_load_ubyte v37, v[8:9], off offset:128
	s_waitcnt vmcnt(0)
	v_cvt_f32_fp8_sdwa v37, v37 src0_sel:BYTE_0
	s_nop 0
	v_mul_f32_e32 v38, s45, v37
	v_and_b32_e32 v37, 0x7f800000, v38
	v_cmp_ne_u32_e64 s[0:1], s47, v37
                                        ; implicit-def: $vgpr37
	s_and_saveexec_b64 s[18:19], s[0:1]
	s_xor_b64 s[0:1], exec, s[18:19]
; %bb.19:                               ;   in Loop: Header=BB327_10 Depth=1
	v_bfe_u32 v37, v38, 16, 1
	v_add3_u32 v37, v38, v37, s48
                                        ; implicit-def: $vgpr38
; %bb.20:                               ;   in Loop: Header=BB327_10 Depth=1
	s_andn2_saveexec_b64 s[18:19], s[0:1]
; %bb.21:                               ;   in Loop: Header=BB327_10 Depth=1
	v_or_b32_e32 v37, 0x10000, v38
	v_cmp_eq_u32_sdwa s[0:1], v38, v3 src0_sel:WORD_0 src1_sel:DWORD
	s_nop 1
	v_cndmask_b32_e64 v37, v37, v38, s[0:1]
; %bb.22:                               ;   in Loop: Header=BB327_10 Depth=1
	s_or_b64 exec, exec, s[18:19]
	global_load_ubyte v38, v[8:9], off offset:136
	s_waitcnt vmcnt(0)
	v_cvt_f32_fp8_sdwa v38, v38 src0_sel:BYTE_0
	s_nop 0
	v_mul_f32_e32 v39, s45, v38
	v_and_b32_e32 v38, 0x7f800000, v39
	v_cmp_ne_u32_e64 s[0:1], s47, v38
                                        ; implicit-def: $vgpr38
	s_and_saveexec_b64 s[18:19], s[0:1]
	s_xor_b64 s[0:1], exec, s[18:19]
; %bb.23:                               ;   in Loop: Header=BB327_10 Depth=1
	v_bfe_u32 v38, v39, 16, 1
	v_add3_u32 v38, v39, v38, s48
                                        ; implicit-def: $vgpr39
; %bb.24:                               ;   in Loop: Header=BB327_10 Depth=1
	s_andn2_saveexec_b64 s[18:19], s[0:1]
; %bb.25:                               ;   in Loop: Header=BB327_10 Depth=1
	v_or_b32_e32 v38, 0x10000, v39
	v_cmp_eq_u32_sdwa s[0:1], v39, v3 src0_sel:WORD_0 src1_sel:DWORD
	s_nop 1
	v_cndmask_b32_e64 v38, v38, v39, s[0:1]
; %bb.26:                               ;   in Loop: Header=BB327_10 Depth=1
	s_or_b64 exec, exec, s[18:19]
	global_load_ubyte v39, v[8:9], off offset:256
	s_waitcnt vmcnt(0)
	v_cvt_f32_fp8_sdwa v39, v39 src0_sel:BYTE_0
	s_nop 0
	v_mul_f32_e32 v40, s45, v39
	v_and_b32_e32 v39, 0x7f800000, v40
	v_cmp_ne_u32_e64 s[0:1], s47, v39
                                        ; implicit-def: $vgpr39
	s_and_saveexec_b64 s[18:19], s[0:1]
	s_xor_b64 s[0:1], exec, s[18:19]
; %bb.27:                               ;   in Loop: Header=BB327_10 Depth=1
	v_bfe_u32 v39, v40, 16, 1
	v_add3_u32 v39, v40, v39, s48
                                        ; implicit-def: $vgpr40
; %bb.28:                               ;   in Loop: Header=BB327_10 Depth=1
	s_andn2_saveexec_b64 s[18:19], s[0:1]
; %bb.29:                               ;   in Loop: Header=BB327_10 Depth=1
	v_or_b32_e32 v39, 0x10000, v40
	v_cmp_eq_u32_sdwa s[0:1], v40, v3 src0_sel:WORD_0 src1_sel:DWORD
	s_nop 1
	v_cndmask_b32_e64 v39, v39, v40, s[0:1]
; %bb.30:                               ;   in Loop: Header=BB327_10 Depth=1
	s_or_b64 exec, exec, s[18:19]
	global_load_ubyte v40, v[8:9], off offset:264
	s_waitcnt vmcnt(0)
	v_cvt_f32_fp8_sdwa v40, v40 src0_sel:BYTE_0
	s_nop 0
	v_mul_f32_e32 v41, s45, v40
	v_and_b32_e32 v40, 0x7f800000, v41
	v_cmp_ne_u32_e64 s[0:1], s47, v40
                                        ; implicit-def: $vgpr40
	s_and_saveexec_b64 s[18:19], s[0:1]
	s_xor_b64 s[0:1], exec, s[18:19]
; %bb.31:                               ;   in Loop: Header=BB327_10 Depth=1
	v_bfe_u32 v40, v41, 16, 1
	v_add3_u32 v40, v41, v40, s48
                                        ; implicit-def: $vgpr41
; %bb.32:                               ;   in Loop: Header=BB327_10 Depth=1
	s_andn2_saveexec_b64 s[18:19], s[0:1]
; %bb.33:                               ;   in Loop: Header=BB327_10 Depth=1
	v_or_b32_e32 v40, 0x10000, v41
	v_cmp_eq_u32_sdwa s[0:1], v41, v3 src0_sel:WORD_0 src1_sel:DWORD
	s_nop 1
	v_cndmask_b32_e64 v40, v40, v41, s[0:1]
; %bb.34:                               ;   in Loop: Header=BB327_10 Depth=1
	s_or_b64 exec, exec, s[18:19]
	global_load_ubyte v41, v[8:9], off offset:384
	s_waitcnt vmcnt(0)
	v_cvt_f32_fp8_sdwa v41, v41 src0_sel:BYTE_0
	s_nop 0
	v_mul_f32_e32 v42, s45, v41
	v_and_b32_e32 v41, 0x7f800000, v42
	v_cmp_ne_u32_e64 s[0:1], s47, v41
                                        ; implicit-def: $vgpr41
	s_and_saveexec_b64 s[18:19], s[0:1]
	s_xor_b64 s[0:1], exec, s[18:19]
; %bb.35:                               ;   in Loop: Header=BB327_10 Depth=1
	v_bfe_u32 v41, v42, 16, 1
	v_add3_u32 v41, v42, v41, s48
                                        ; implicit-def: $vgpr42
; %bb.36:                               ;   in Loop: Header=BB327_10 Depth=1
	s_andn2_saveexec_b64 s[18:19], s[0:1]
; %bb.37:                               ;   in Loop: Header=BB327_10 Depth=1
	v_or_b32_e32 v41, 0x10000, v42
	v_cmp_eq_u32_sdwa s[0:1], v42, v3 src0_sel:WORD_0 src1_sel:DWORD
	s_nop 1
	v_cndmask_b32_e64 v41, v41, v42, s[0:1]
; %bb.38:                               ;   in Loop: Header=BB327_10 Depth=1
	s_or_b64 exec, exec, s[18:19]
	global_load_ubyte v42, v[8:9], off offset:392
	s_waitcnt vmcnt(0)
	v_cvt_f32_fp8_sdwa v42, v42 src0_sel:BYTE_0
	s_nop 0
	v_mul_f32_e32 v43, s45, v42
	v_and_b32_e32 v42, 0x7f800000, v43
	v_cmp_ne_u32_e64 s[0:1], s47, v42
                                        ; implicit-def: $vgpr42
	s_and_saveexec_b64 s[18:19], s[0:1]
	s_xor_b64 s[0:1], exec, s[18:19]
; %bb.39:                               ;   in Loop: Header=BB327_10 Depth=1
	v_bfe_u32 v42, v43, 16, 1
	v_add3_u32 v42, v43, v42, s48
                                        ; implicit-def: $vgpr43
; %bb.40:                               ;   in Loop: Header=BB327_10 Depth=1
	s_andn2_saveexec_b64 s[18:19], s[0:1]
; %bb.41:                               ;   in Loop: Header=BB327_10 Depth=1
	v_or_b32_e32 v42, 0x10000, v43
	v_cmp_eq_u32_sdwa s[0:1], v43, v3 src0_sel:WORD_0 src1_sel:DWORD
	s_nop 1
	v_cndmask_b32_e64 v42, v42, v43, s[0:1]
; %bb.42:                               ;   in Loop: Header=BB327_10 Depth=1
	s_or_b64 exec, exec, s[18:19]
	global_load_ubyte v43, v[8:9], off offset:512
	s_waitcnt vmcnt(0)
	v_cvt_f32_fp8_sdwa v43, v43 src0_sel:BYTE_0
	s_nop 0
	v_mul_f32_e32 v44, s45, v43
	v_and_b32_e32 v43, 0x7f800000, v44
	v_cmp_ne_u32_e64 s[0:1], s47, v43
                                        ; implicit-def: $vgpr43
	s_and_saveexec_b64 s[18:19], s[0:1]
	s_xor_b64 s[0:1], exec, s[18:19]
; %bb.43:                               ;   in Loop: Header=BB327_10 Depth=1
	v_bfe_u32 v43, v44, 16, 1
	v_add3_u32 v43, v44, v43, s48
                                        ; implicit-def: $vgpr44
; %bb.44:                               ;   in Loop: Header=BB327_10 Depth=1
	s_andn2_saveexec_b64 s[18:19], s[0:1]
; %bb.45:                               ;   in Loop: Header=BB327_10 Depth=1
	v_or_b32_e32 v43, 0x10000, v44
	v_cmp_eq_u32_sdwa s[0:1], v44, v3 src0_sel:WORD_0 src1_sel:DWORD
	s_nop 1
	v_cndmask_b32_e64 v43, v43, v44, s[0:1]
; %bb.46:                               ;   in Loop: Header=BB327_10 Depth=1
	s_or_b64 exec, exec, s[18:19]
	global_load_ubyte v44, v[8:9], off offset:520
	s_waitcnt vmcnt(0)
	v_cvt_f32_fp8_sdwa v44, v44 src0_sel:BYTE_0
	s_nop 0
	v_mul_f32_e32 v45, s45, v44
	v_and_b32_e32 v44, 0x7f800000, v45
	v_cmp_ne_u32_e64 s[0:1], s47, v44
                                        ; implicit-def: $vgpr44
	s_and_saveexec_b64 s[18:19], s[0:1]
	s_xor_b64 s[0:1], exec, s[18:19]
; %bb.47:                               ;   in Loop: Header=BB327_10 Depth=1
	v_bfe_u32 v44, v45, 16, 1
	v_add3_u32 v44, v45, v44, s48
                                        ; implicit-def: $vgpr45
; %bb.48:                               ;   in Loop: Header=BB327_10 Depth=1
	s_andn2_saveexec_b64 s[18:19], s[0:1]
; %bb.49:                               ;   in Loop: Header=BB327_10 Depth=1
	v_or_b32_e32 v44, 0x10000, v45
	v_cmp_eq_u32_sdwa s[0:1], v45, v3 src0_sel:WORD_0 src1_sel:DWORD
	s_nop 1
	v_cndmask_b32_e64 v44, v44, v45, s[0:1]
; %bb.50:                               ;   in Loop: Header=BB327_10 Depth=1
	s_or_b64 exec, exec, s[18:19]
	global_load_ubyte v45, v[8:9], off offset:640
	s_waitcnt vmcnt(0)
	v_cvt_f32_fp8_sdwa v45, v45 src0_sel:BYTE_0
	s_nop 0
	v_mul_f32_e32 v46, s45, v45
	v_and_b32_e32 v45, 0x7f800000, v46
	v_cmp_ne_u32_e64 s[0:1], s47, v45
                                        ; implicit-def: $vgpr45
	s_and_saveexec_b64 s[18:19], s[0:1]
	s_xor_b64 s[0:1], exec, s[18:19]
; %bb.51:                               ;   in Loop: Header=BB327_10 Depth=1
	v_bfe_u32 v45, v46, 16, 1
	v_add3_u32 v45, v46, v45, s48
                                        ; implicit-def: $vgpr46
; %bb.52:                               ;   in Loop: Header=BB327_10 Depth=1
	s_andn2_saveexec_b64 s[18:19], s[0:1]
; %bb.53:                               ;   in Loop: Header=BB327_10 Depth=1
	v_or_b32_e32 v45, 0x10000, v46
	v_cmp_eq_u32_sdwa s[0:1], v46, v3 src0_sel:WORD_0 src1_sel:DWORD
	s_nop 1
	v_cndmask_b32_e64 v45, v45, v46, s[0:1]
; %bb.54:                               ;   in Loop: Header=BB327_10 Depth=1
	s_or_b64 exec, exec, s[18:19]
	global_load_ubyte v8, v[8:9], off offset:648
	s_waitcnt vmcnt(0)
	v_cvt_f32_fp8_sdwa v8, v8 src0_sel:BYTE_0
	s_nop 0
	v_mul_f32_e32 v9, s45, v8
	v_and_b32_e32 v8, 0x7f800000, v9
	v_cmp_ne_u32_e64 s[0:1], s47, v8
                                        ; implicit-def: $vgpr8
	s_and_saveexec_b64 s[18:19], s[0:1]
	s_xor_b64 s[0:1], exec, s[18:19]
; %bb.55:                               ;   in Loop: Header=BB327_10 Depth=1
	v_bfe_u32 v8, v9, 16, 1
	v_add3_u32 v8, v9, v8, s48
                                        ; implicit-def: $vgpr9
; %bb.56:                               ;   in Loop: Header=BB327_10 Depth=1
	s_andn2_saveexec_b64 s[18:19], s[0:1]
; %bb.57:                               ;   in Loop: Header=BB327_10 Depth=1
	v_or_b32_e32 v8, 0x10000, v9
	v_cmp_eq_u32_sdwa s[0:1], v9, v3 src0_sel:WORD_0 src1_sel:DWORD
	s_nop 1
	v_cndmask_b32_e64 v8, v8, v9, s[0:1]
; %bb.58:                               ;   in Loop: Header=BB327_10 Depth=1
	s_or_b64 exec, exec, s[18:19]
	v_and_b32_e32 v36, 0xffff0000, v36
	v_and_b32_e32 v35, 0xffff0000, v35
	v_mul_f32_e32 v36, v17, v36
	v_and_b32_e32 v37, 0xffff0000, v37
	v_fmac_f32_e32 v36, v1, v35
	v_and_b32_e32 v38, 0xffff0000, v38
	v_fmac_f32_e32 v36, v18, v37
	v_and_b32_e32 v39, 0xffff0000, v39
	v_fmac_f32_e32 v36, v19, v38
	v_and_b32_e32 v40, 0xffff0000, v40
	v_fmac_f32_e32 v36, v20, v39
	v_and_b32_e32 v41, 0xffff0000, v41
	v_fmac_f32_e32 v36, v21, v40
	v_and_b32_e32 v42, 0xffff0000, v42
	v_fmac_f32_e32 v36, v22, v41
	v_and_b32_e32 v43, 0xffff0000, v43
	v_fmac_f32_e32 v36, v23, v42
	v_and_b32_e32 v44, 0xffff0000, v44
	v_fmac_f32_e32 v36, v24, v43
	v_and_b32_e32 v9, 0xffff0000, v45
	v_fmac_f32_e32 v36, v25, v44
	v_and_b32_e32 v8, 0xffff0000, v8
	v_fmac_f32_e32 v36, v26, v9
	v_fmac_f32_e32 v36, v27, v8
	ds_bpermute_b32 v8, v29, v36
	s_waitcnt lgkmcnt(0)
	v_add_f32_e32 v8, v36, v8
	ds_bpermute_b32 v9, v30, v8
	s_waitcnt lgkmcnt(0)
	v_add_f32_e32 v8, v8, v9
	ds_bpermute_b32 v9, v31, v8
	s_and_saveexec_b64 s[18:19], vcc
	s_cbranch_execz .LBB327_9
; %bb.59:                               ;   in Loop: Header=BB327_10 Depth=1
	v_add_u32_e32 v35, s46, v32
	v_cvt_f32_i32_e32 v35, v35
	s_waitcnt lgkmcnt(0)
	v_add_f32_e32 v8, v8, v9
	v_cmp_gt_i32_e64 s[0:1], s29, v32
	v_max_f32_e32 v9, v28, v28
	v_mul_f32_e32 v35, s43, v35
	v_cndmask_b32_e64 v35, 0, v35, s[8:9]
	v_fmac_f32_e32 v35, s39, v8
	v_cndmask_b32_e64 v8, 0, v35, s[0:1]
	ds_write_b32 v33, v8
	v_max_f32_e32 v8, v9, v35
	v_cndmask_b32_e64 v28, v28, v8, s[0:1]
	s_branch .LBB327_9
.LBB327_60:
	s_or_b64 exec, exec, s[12:13]
.LBB327_61:
	s_or_b64 exec, exec, s[40:41]
	v_xor_b32_e32 v1, 32, v15
	v_cmp_lt_i32_e32 vcc, v1, v16
	v_xor_b32_e32 v4, 16, v15
	v_max_f32_e32 v2, v28, v28
	v_cndmask_b32_e32 v1, v15, v1, vcc
	v_lshlrev_b32_e32 v3, 2, v1
	ds_bpermute_b32 v1, v3, v28
	v_cmp_lt_i32_e32 vcc, v4, v16
	v_xor_b32_e32 v5, 8, v15
	s_waitcnt lgkmcnt(0)
	v_max_f32_e32 v1, v1, v1
	v_max_f32_e32 v1, v2, v1
	v_cndmask_b32_e32 v2, v15, v4, vcc
	v_lshlrev_b32_e32 v6, 2, v2
	ds_bpermute_b32 v2, v6, v1
	v_cmp_lt_i32_e32 vcc, v5, v16
	s_waitcnt lgkmcnt(0)
	v_max_f32_e32 v2, v2, v2
	v_max_f32_e32 v4, v1, v2
	v_cndmask_b32_e32 v1, v15, v5, vcc
	v_lshlrev_b32_e32 v7, 2, v1
	ds_bpermute_b32 v5, v7, v4
	v_and_b32_e32 v1, 63, v0
	v_cmp_eq_u32_e32 vcc, 0, v1
	v_lshlrev_b32_e32 v2, 2, v14
	s_and_saveexec_b64 s[0:1], vcc
	s_cbranch_execz .LBB327_63
; %bb.62:
	s_waitcnt lgkmcnt(0)
	v_max_f32_e32 v5, v5, v5
	v_max_f32_e32 v4, v4, v4
	;; [unrolled: 1-line block ×3, first 2 shown]
	ds_write_b32 v2, v4 offset:192
.LBB327_63:
	s_or_b64 exec, exec, s[0:1]
	v_cmp_gt_u32_e64 s[0:1], 2, v1
	v_mov_b32_e32 v4, 0xff7fffff
	s_waitcnt lgkmcnt(0)
	v_lshlrev_b32_e32 v5, 2, v1
	s_barrier
	s_and_saveexec_b64 s[8:9], s[0:1]
	s_cbranch_execz .LBB327_65
; %bb.64:
	ds_read_b32 v4, v5 offset:192
.LBB327_65:
	s_or_b64 exec, exec, s[8:9]
	v_xor_b32_e32 v8, 1, v15
	v_cmp_lt_i32_e64 s[8:9], v8, v16
	v_mov_b32_e32 v17, 0
	s_nop 0
	v_cndmask_b32_e64 v8, v15, v8, s[8:9]
	v_lshlrev_b32_e32 v8, 2, v8
	s_waitcnt lgkmcnt(0)
	ds_bpermute_b32 v9, v8, v4
	v_max_f32_e32 v4, v4, v4
	s_sub_i32 s8, s33, s38
	s_lshl_b32 s8, s8, 3
	s_add_i32 s8, s8, s42
	s_waitcnt lgkmcnt(0)
	v_max_f32_e32 v9, v9, v9
	v_max_f32_e32 v4, v4, v9
	v_lshlrev_b32_e32 v9, 2, v15
	v_and_b32_e32 v9, 0xffffff00, v9
	ds_bpermute_b32 v4, v9, v4
	s_min_i32 s41, s8, s29
	s_sub_i32 s40, s41, s42
	v_cmp_gt_i32_e64 s[8:9], s40, v0
	s_and_saveexec_b64 s[18:19], s[8:9]
	s_cbranch_execz .LBB327_69
; %bb.66:
	v_mov_b32_e32 v17, 0xd0
	v_lshl_add_u32 v18, v0, 2, v17
	s_mov_b64 s[38:39], 0
	v_mov_b32_e32 v17, 0
	v_mov_b32_e32 v19, v0
.LBB327_67:                             ; =>This Inner Loop Header: Depth=1
	ds_read_b32 v20, v18
	v_add_u32_e32 v19, 0x80, v19
	v_cmp_le_i32_e64 s[12:13], s40, v19
	s_or_b64 s[38:39], s[12:13], s[38:39]
	s_waitcnt lgkmcnt(0)
	v_sub_f32_e32 v20, v20, v4
	v_mul_f32_e32 v20, 0x3fb8aa3b, v20
	v_exp_f32_e32 v20, v20
	ds_write_b32 v18, v20
	v_add_f32_e32 v17, v17, v20
	v_add_u32_e32 v18, 0x200, v18
	s_andn2_b64 exec, exec, s[38:39]
	s_cbranch_execnz .LBB327_67
; %bb.68:
	s_or_b64 exec, exec, s[38:39]
.LBB327_69:
	s_or_b64 exec, exec, s[18:19]
	ds_bpermute_b32 v3, v3, v17
	s_waitcnt lgkmcnt(0)
	v_add_f32_e32 v3, v17, v3
	ds_bpermute_b32 v6, v6, v3
	s_waitcnt lgkmcnt(0)
	v_add_f32_e32 v3, v3, v6
	ds_bpermute_b32 v6, v7, v3
	v_xor_b32_e32 v7, 4, v15
	v_cmp_lt_i32_e64 s[12:13], v7, v16
	s_waitcnt lgkmcnt(0)
	v_add_f32_e32 v3, v3, v6
	v_cndmask_b32_e64 v7, v15, v7, s[12:13]
	v_lshlrev_b32_e32 v7, 2, v7
	ds_bpermute_b32 v6, v7, v3
	v_xor_b32_e32 v7, 2, v15
	v_cmp_lt_i32_e64 s[12:13], v7, v16
	s_waitcnt lgkmcnt(0)
	v_add_f32_e32 v3, v3, v6
	v_cndmask_b32_e64 v7, v15, v7, s[12:13]
	v_lshlrev_b32_e32 v6, 2, v7
	ds_bpermute_b32 v6, v6, v3
	s_waitcnt lgkmcnt(0)
	v_add_f32_e32 v3, v3, v6
	ds_bpermute_b32 v6, v8, v3
	s_waitcnt lgkmcnt(0)
	v_add_f32_e32 v3, v3, v6
	s_and_saveexec_b64 s[12:13], vcc
	s_cbranch_execz .LBB327_71
; %bb.70:
	ds_write_b32 v2, v3 offset:200
.LBB327_71:
	s_or_b64 exec, exec, s[12:13]
	s_waitcnt lgkmcnt(0)
	s_barrier
	s_and_saveexec_b64 s[12:13], s[0:1]
	s_cbranch_execz .LBB327_73
; %bb.72:
	ds_read_b32 v3, v5 offset:200
.LBB327_73:
	s_or_b64 exec, exec, s[12:13]
	s_waitcnt lgkmcnt(0)
	ds_bpermute_b32 v2, v8, v3
	s_waitcnt lgkmcnt(0)
	v_add_f32_e32 v2, v3, v2
	ds_bpermute_b32 v5, v9, v2
	s_and_saveexec_b64 s[0:1], s[8:9]
	s_cbranch_execz .LBB327_86
; %bb.74:
	s_waitcnt lgkmcnt(0)
	v_add_f32_e32 v2, 0x358637bd, v5
	v_div_scale_f32 v3, s[8:9], v2, v2, 1.0
	v_rcp_f32_e32 v6, v3
	v_div_scale_f32 v7, vcc, 1.0, v2, 1.0
	s_movk_i32 s8, 0x7f
	v_fma_f32 v8, -v3, v6, 1.0
	v_fmac_f32_e32 v6, v8, v6
	v_mul_f32_e32 v8, v7, v6
	v_fma_f32 v9, -v3, v8, v7
	v_fmac_f32_e32 v8, v9, v6
	v_fma_f32 v3, -v3, v8, v7
	v_div_fmas_f32 v3, v3, v6, v8
	v_div_fixup_f32 v2, v3, v2, 1.0
	v_xad_u32 v3, v0, -1, s41
	v_subrev_u32_e32 v6, s42, v3
	v_cmp_lt_u32_e32 vcc, s8, v6
	s_mov_b64 s[12:13], -1
	v_mov_b32_e32 v3, v0
	s_and_saveexec_b64 s[8:9], vcc
	s_cbranch_execz .LBB327_83
; %bb.75:
	v_lshrrev_b32_e32 v6, 7, v6
	v_add_u32_e32 v8, -1, v6
	v_lshrrev_b32_e32 v7, 1, v8
	v_mov_b32_e32 v3, v2
	v_add_u32_e32 v7, 1, v7
	v_cmp_lt_u32_e32 vcc, 13, v8
	v_mov_b32_e32 v15, 0
	s_and_saveexec_b64 s[12:13], vcc
	s_cbranch_execz .LBB327_79
; %bb.76:
	v_mov_b32_e32 v9, 0xd0
	v_and_b32_e32 v8, -8, v7
	v_lshl_add_u32 v9, v0, 2, v9
	s_mov_b32 s38, 0
	s_mov_b64 s[18:19], 0
.LBB327_77:                             ; =>This Inner Loop Header: Depth=1
	ds_read2st64_b32 v[16:17], v9 offset1:2
	ds_read2st64_b32 v[18:19], v9 offset0:4 offset1:6
	ds_read2st64_b32 v[20:21], v9 offset0:8 offset1:10
	;; [unrolled: 1-line block ×3, first 2 shown]
	v_add_u32_e32 v8, -8, v8
	s_waitcnt lgkmcnt(3)
	v_pk_mul_f32 v[16:17], v[2:3], v[16:17]
	s_waitcnt lgkmcnt(2)
	v_pk_mul_f32 v[18:19], v[2:3], v[18:19]
	ds_write2st64_b32 v9, v16, v17 offset1:2
	ds_write2st64_b32 v9, v18, v19 offset0:4 offset1:6
	ds_read2st64_b32 v[18:19], v9 offset0:16 offset1:18
	s_waitcnt lgkmcnt(4)
	v_pk_mul_f32 v[16:17], v[2:3], v[20:21]
	ds_write2st64_b32 v9, v16, v17 offset0:8 offset1:10
	s_waitcnt lgkmcnt(4)
	v_pk_mul_f32 v[16:17], v[2:3], v[22:23]
	ds_write2st64_b32 v9, v16, v17 offset0:12 offset1:14
	ds_read2st64_b32 v[16:17], v9 offset0:20 offset1:22
	s_waitcnt lgkmcnt(3)
	v_pk_mul_f32 v[18:19], v[2:3], v[18:19]
	ds_read2st64_b32 v[20:21], v9 offset0:24 offset1:26
	ds_write2st64_b32 v9, v18, v19 offset0:16 offset1:18
	ds_read2st64_b32 v[18:19], v9 offset0:28 offset1:30
	s_waitcnt lgkmcnt(3)
	v_pk_mul_f32 v[16:17], v[2:3], v[16:17]
	ds_write2st64_b32 v9, v16, v17 offset0:20 offset1:22
	s_waitcnt lgkmcnt(3)
	v_pk_mul_f32 v[16:17], v[2:3], v[20:21]
	ds_write2st64_b32 v9, v16, v17 offset0:24 offset1:26
	s_waitcnt lgkmcnt(2)
	v_pk_mul_f32 v[16:17], v[2:3], v[18:19]
	s_add_i32 s38, s38, 16
	v_cmp_eq_u32_e32 vcc, 0, v8
	ds_write2st64_b32 v9, v16, v17 offset0:28 offset1:30
	v_add_u32_e32 v9, 0x2000, v9
	s_or_b64 s[18:19], vcc, s[18:19]
	v_mov_b32_e32 v15, s38
	s_andn2_b64 exec, exec, s[18:19]
	s_cbranch_execnz .LBB327_77
; %bb.78:
	s_or_b64 exec, exec, s[18:19]
.LBB327_79:
	s_or_b64 exec, exec, s[12:13]
	v_and_b32_e32 v7, 7, v7
	v_cmp_ne_u32_e32 vcc, 0, v7
	s_and_saveexec_b64 s[12:13], vcc
	s_cbranch_execz .LBB327_82
; %bb.80:
	v_lshlrev_b32_e32 v8, 9, v15
	v_lshlrev_b32_e32 v9, 2, v0
	s_movk_i32 s18, 0xd0
	v_add3_u32 v8, v8, v9, s18
	s_mov_b64 s[18:19], 0
.LBB327_81:                             ; =>This Inner Loop Header: Depth=1
	ds_read2st64_b32 v[16:17], v8 offset1:2
	v_add_u32_e32 v7, -1, v7
	v_cmp_eq_u32_e32 vcc, 0, v7
	s_or_b64 s[18:19], vcc, s[18:19]
	s_waitcnt lgkmcnt(0)
	v_pk_mul_f32 v[16:17], v[2:3], v[16:17]
	ds_write2st64_b32 v8, v16, v17 offset1:2
	v_add_u32_e32 v8, 0x400, v8
	s_andn2_b64 exec, exec, s[18:19]
	s_cbranch_execnz .LBB327_81
.LBB327_82:
	s_or_b64 exec, exec, s[12:13]
	v_add_u32_e32 v6, 1, v6
	v_and_b32_e32 v7, 0x3fffffe, v6
	v_cmp_ne_u32_e32 vcc, v6, v7
	v_lshl_add_u32 v3, v7, 7, v0
	s_orn2_b64 s[12:13], vcc, exec
.LBB327_83:
	s_or_b64 exec, exec, s[8:9]
	s_and_b64 exec, exec, s[12:13]
	s_cbranch_execz .LBB327_86
; %bb.84:
	v_mov_b32_e32 v6, 0xd0
	v_lshl_add_u32 v6, v3, 2, v6
	s_mov_b64 s[8:9], 0
.LBB327_85:                             ; =>This Inner Loop Header: Depth=1
	ds_read_b32 v7, v6
	v_add_u32_e32 v3, 0x80, v3
	v_cmp_le_i32_e32 vcc, s40, v3
	s_or_b64 s[8:9], vcc, s[8:9]
	s_waitcnt lgkmcnt(0)
	v_mul_f32_e32 v7, v2, v7
	ds_write_b32 v6, v7
	v_add_u32_e32 v6, 0x200, v6
	s_andn2_b64 exec, exec, s[8:9]
	s_cbranch_execnz .LBB327_85
.LBB327_86:
	s_or_b64 exec, exec, s[0:1]
	s_mul_i32 s0, s25, s28
	v_cmp_eq_u32_e32 vcc, 0, v0
	s_mul_i32 s8, s0, s5
	s_waitcnt lgkmcnt(0)
	s_barrier
	s_and_saveexec_b64 s[0:1], vcc
	s_cbranch_execz .LBB327_88
; %bb.87:
	s_ashr_i32 s9, s8, 31
	s_lshl_b64 s[12:13], s[8:9], 2
	s_add_u32 s5, s22, s12
	s_mul_i32 s18, s25, s2
	s_addc_u32 s9, s23, s13
	s_ashr_i32 s19, s18, 31
	s_lshl_b64 s[18:19], s[18:19], 2
	s_add_u32 s2, s5, s18
	s_addc_u32 s9, s9, s19
	s_ashr_i32 s5, s4, 31
	s_lshl_b64 s[22:23], s[4:5], 2
	s_add_u32 s38, s2, s22
	s_addc_u32 s39, s9, s23
	s_add_u32 s2, s20, s12
	s_addc_u32 s5, s21, s13
	;; [unrolled: 2-line block ×3, first 2 shown]
	s_add_u32 s12, s2, s22
	v_mov_b32_e32 v2, 0
	s_addc_u32 s13, s5, s23
	global_store_dword v2, v4, s[38:39]
	global_store_dword v2, v5, s[12:13]
.LBB327_88:
	s_or_b64 exec, exec, s[0:1]
	v_mov_b32_e32 v15, 0
	v_mov_b32_e32 v2, v15
	s_and_saveexec_b64 s[12:13], s[6:7]
	s_cbranch_execz .LBB327_258
; %bb.89:
	s_ashr_i32 s0, s16, 31
	s_add_u32 s6, s36, s16
	s_addc_u32 s7, s37, s0
	s_load_dword s20, s[14:15], 0x0
	v_or_b32_e32 v2, 64, v1
	s_movk_i32 s0, 0x60
	s_add_i32 s9, s3, -1
	v_cmp_gt_u32_e32 vcc, s0, v2
	s_lshl_b64 s[0:1], s[34:35], 2
	s_add_u32 s0, s30, s0
	v_mov_b32_e32 v17, 0
	v_lshlrev_b32_e32 v18, 3, v2
	v_mov_b32_e32 v2, 0xd0
	s_addc_u32 s1, s31, s1
	s_mov_b32 s5, s17
	v_lshlrev_b32_e32 v16, 3, v1
	v_mov_b32_e32 v19, v17
	v_add3_u32 v11, s42, v11, 7
	v_lshl_add_u32 v22, v14, 5, v2
	v_lshl_add_u64 v[20:21], v[12:13], 2, s[0:1]
	s_mov_b64 s[14:15], 0
	s_mov_b32 s21, 0x7f800000
	s_movk_i32 s22, 0x7fff
	v_mov_b32_e32 v14, v17
	v_mov_b32_e32 v15, v17
	s_branch .LBB327_92
.LBB327_90:                             ;   in Loop: Header=BB327_92 Depth=1
	s_or_b64 exec, exec, s[2:3]
	v_and_b32_e32 v27, 0xffff0000, v5
	v_and_b32_e32 v26, 0xffff0000, v9
	;; [unrolled: 1-line block ×6, first 2 shown]
	v_pk_add_f32 v[4:5], v[4:5], v[8:9]
	v_and_b32_e32 v25, 0xffff0000, v23
	v_and_b32_e32 v24, 0xffff0000, v13
	v_mov_b32_e32 v6, v5
	v_pk_add_f32 v[4:5], v[4:5], v[6:7]
	v_pk_add_f32 v[6:7], v[26:27], v[24:25]
	s_nop 0
	v_pk_add_f32 v[4:5], v[4:5], v[6:7]
	v_mov_b32_e32 v6, v7
	v_pk_add_f32 v[4:5], v[4:5], v[6:7]
	s_nop 0
	v_mov_b32_e32 v3, v4
	v_pk_add_f32 v[14:15], v[14:15], v[2:3]
.LBB327_91:                             ;   in Loop: Header=BB327_92 Depth=1
	s_or_b64 exec, exec, s[16:17]
	v_add_u32_e32 v12, 2, v12
	v_cmp_le_i32_e64 s[0:1], s33, v12
	v_add_u32_e32 v11, 16, v11
	v_add_u32_e32 v22, 64, v22
	v_lshl_add_u64 v[20:21], v[20:21], 0, 8
	s_or_b64 s[14:15], s[0:1], s[14:15]
	v_mov_b32_e32 v14, v2
	s_andn2_b64 exec, exec, s[14:15]
	s_cbranch_execz .LBB327_257
.LBB327_92:                             ; =>This Inner Loop Header: Depth=1
	global_load_dword v30, v[20:21], off
	ds_read2_b64 v[6:9], v22 offset1:1
	ds_read2_b64 v[2:5], v22 offset0:2 offset1:3
                                        ; implicit-def: $vgpr29
	s_waitcnt lgkmcnt(0)
	v_and_b32_e32 v13, 0x7f800000, v6
	v_cmp_ne_u32_e64 s[0:1], s21, v13
	s_and_saveexec_b64 s[2:3], s[0:1]
	s_xor_b64 s[0:1], exec, s[2:3]
; %bb.93:                               ;   in Loop: Header=BB327_92 Depth=1
	v_bfe_u32 v13, v6, 16, 1
	v_add3_u32 v29, v6, v13, s22
; %bb.94:                               ;   in Loop: Header=BB327_92 Depth=1
	s_andn2_saveexec_b64 s[2:3], s[0:1]
; %bb.95:                               ;   in Loop: Header=BB327_92 Depth=1
	v_or_b32_e32 v13, 0x10000, v6
	v_cmp_eq_u32_sdwa s[0:1], v6, v17 src0_sel:WORD_0 src1_sel:DWORD
	s_nop 1
	v_cndmask_b32_e64 v29, v13, v6, s[0:1]
; %bb.96:                               ;   in Loop: Header=BB327_92 Depth=1
	s_or_b64 exec, exec, s[2:3]
	v_and_b32_e32 v6, 0x7f800000, v7
	v_cmp_ne_u32_e64 s[0:1], s21, v6
                                        ; implicit-def: $vgpr28
	s_and_saveexec_b64 s[2:3], s[0:1]
	s_xor_b64 s[0:1], exec, s[2:3]
; %bb.97:                               ;   in Loop: Header=BB327_92 Depth=1
	v_bfe_u32 v6, v7, 16, 1
	v_add3_u32 v28, v7, v6, s22
; %bb.98:                               ;   in Loop: Header=BB327_92 Depth=1
	s_andn2_saveexec_b64 s[2:3], s[0:1]
; %bb.99:                               ;   in Loop: Header=BB327_92 Depth=1
	v_or_b32_e32 v6, 0x10000, v7
	v_cmp_eq_u32_sdwa s[0:1], v7, v17 src0_sel:WORD_0 src1_sel:DWORD
	s_nop 1
	v_cndmask_b32_e64 v28, v6, v7, s[0:1]
; %bb.100:                              ;   in Loop: Header=BB327_92 Depth=1
	s_or_b64 exec, exec, s[2:3]
	v_and_b32_e32 v6, 0x7f800000, v8
	v_cmp_ne_u32_e64 s[0:1], s21, v6
                                        ; implicit-def: $vgpr27
	s_and_saveexec_b64 s[2:3], s[0:1]
	s_xor_b64 s[0:1], exec, s[2:3]
; %bb.101:                              ;   in Loop: Header=BB327_92 Depth=1
	v_bfe_u32 v6, v8, 16, 1
	v_add3_u32 v27, v8, v6, s22
; %bb.102:                              ;   in Loop: Header=BB327_92 Depth=1
	s_andn2_saveexec_b64 s[2:3], s[0:1]
; %bb.103:                              ;   in Loop: Header=BB327_92 Depth=1
	v_or_b32_e32 v6, 0x10000, v8
	v_cmp_eq_u32_sdwa s[0:1], v8, v17 src0_sel:WORD_0 src1_sel:DWORD
	s_nop 1
	v_cndmask_b32_e64 v27, v6, v8, s[0:1]
; %bb.104:                              ;   in Loop: Header=BB327_92 Depth=1
	s_or_b64 exec, exec, s[2:3]
	v_and_b32_e32 v6, 0x7f800000, v9
	v_cmp_ne_u32_e64 s[0:1], s21, v6
                                        ; implicit-def: $vgpr13
	s_and_saveexec_b64 s[2:3], s[0:1]
	s_xor_b64 s[0:1], exec, s[2:3]
; %bb.105:                              ;   in Loop: Header=BB327_92 Depth=1
	v_bfe_u32 v6, v9, 16, 1
	v_add3_u32 v13, v9, v6, s22
                                        ; implicit-def: $vgpr6_vgpr7_vgpr8_vgpr9
; %bb.106:                              ;   in Loop: Header=BB327_92 Depth=1
	s_andn2_saveexec_b64 s[2:3], s[0:1]
; %bb.107:                              ;   in Loop: Header=BB327_92 Depth=1
	v_or_b32_e32 v6, 0x10000, v9
	v_cmp_eq_u32_sdwa s[0:1], v9, v17 src0_sel:WORD_0 src1_sel:DWORD
	s_nop 1
	v_cndmask_b32_e64 v13, v6, v9, s[0:1]
; %bb.108:                              ;   in Loop: Header=BB327_92 Depth=1
	s_or_b64 exec, exec, s[2:3]
	v_and_b32_e32 v6, 0x7f800000, v2
	v_cmp_ne_u32_e64 s[0:1], s21, v6
                                        ; implicit-def: $vgpr23
	s_and_saveexec_b64 s[2:3], s[0:1]
	s_xor_b64 s[0:1], exec, s[2:3]
; %bb.109:                              ;   in Loop: Header=BB327_92 Depth=1
	v_bfe_u32 v6, v2, 16, 1
	v_add3_u32 v23, v2, v6, s22
; %bb.110:                              ;   in Loop: Header=BB327_92 Depth=1
	s_andn2_saveexec_b64 s[2:3], s[0:1]
; %bb.111:                              ;   in Loop: Header=BB327_92 Depth=1
	v_or_b32_e32 v6, 0x10000, v2
	v_cmp_eq_u32_sdwa s[0:1], v2, v17 src0_sel:WORD_0 src1_sel:DWORD
	s_nop 1
	v_cndmask_b32_e64 v23, v6, v2, s[0:1]
; %bb.112:                              ;   in Loop: Header=BB327_92 Depth=1
	s_or_b64 exec, exec, s[2:3]
	v_and_b32_e32 v2, 0x7f800000, v3
	v_cmp_ne_u32_e64 s[0:1], s21, v2
                                        ; implicit-def: $vgpr24
	s_and_saveexec_b64 s[2:3], s[0:1]
	s_xor_b64 s[0:1], exec, s[2:3]
; %bb.113:                              ;   in Loop: Header=BB327_92 Depth=1
	v_bfe_u32 v2, v3, 16, 1
	v_add3_u32 v24, v3, v2, s22
; %bb.114:                              ;   in Loop: Header=BB327_92 Depth=1
	s_andn2_saveexec_b64 s[2:3], s[0:1]
; %bb.115:                              ;   in Loop: Header=BB327_92 Depth=1
	v_or_b32_e32 v2, 0x10000, v3
	v_cmp_eq_u32_sdwa s[0:1], v3, v17 src0_sel:WORD_0 src1_sel:DWORD
	s_nop 1
	v_cndmask_b32_e64 v24, v2, v3, s[0:1]
; %bb.116:                              ;   in Loop: Header=BB327_92 Depth=1
	s_or_b64 exec, exec, s[2:3]
	v_and_b32_e32 v2, 0x7f800000, v4
	v_cmp_ne_u32_e64 s[0:1], s21, v2
                                        ; implicit-def: $vgpr25
	s_and_saveexec_b64 s[2:3], s[0:1]
	s_xor_b64 s[0:1], exec, s[2:3]
; %bb.117:                              ;   in Loop: Header=BB327_92 Depth=1
	v_bfe_u32 v2, v4, 16, 1
	v_add3_u32 v25, v4, v2, s22
; %bb.118:                              ;   in Loop: Header=BB327_92 Depth=1
	s_andn2_saveexec_b64 s[2:3], s[0:1]
; %bb.119:                              ;   in Loop: Header=BB327_92 Depth=1
	v_or_b32_e32 v2, 0x10000, v4
	v_cmp_eq_u32_sdwa s[0:1], v4, v17 src0_sel:WORD_0 src1_sel:DWORD
	s_nop 1
	v_cndmask_b32_e64 v25, v2, v4, s[0:1]
; %bb.120:                              ;   in Loop: Header=BB327_92 Depth=1
	s_or_b64 exec, exec, s[2:3]
	v_and_b32_e32 v2, 0x7f800000, v5
	v_cmp_ne_u32_e64 s[0:1], s21, v2
                                        ; implicit-def: $vgpr26
	s_and_saveexec_b64 s[2:3], s[0:1]
	s_xor_b64 s[0:1], exec, s[2:3]
; %bb.121:                              ;   in Loop: Header=BB327_92 Depth=1
	v_bfe_u32 v2, v5, 16, 1
	v_add3_u32 v26, v5, v2, s22
                                        ; implicit-def: $vgpr2_vgpr3_vgpr4_vgpr5
; %bb.122:                              ;   in Loop: Header=BB327_92 Depth=1
	s_andn2_saveexec_b64 s[2:3], s[0:1]
; %bb.123:                              ;   in Loop: Header=BB327_92 Depth=1
	v_or_b32_e32 v2, 0x10000, v5
	v_cmp_eq_u32_sdwa s[0:1], v5, v17 src0_sel:WORD_0 src1_sel:DWORD
	s_nop 1
	v_cndmask_b32_e64 v26, v2, v5, s[0:1]
; %bb.124:                              ;   in Loop: Header=BB327_92 Depth=1
	s_or_b64 exec, exec, s[2:3]
	v_mov_b64_e32 v[2:3], s[6:7]
	s_waitcnt vmcnt(0)
	v_mad_i64_i32 v[4:5], s[0:1], v30, s5, v[2:3]
	v_lshl_add_u64 v[2:3], v[4:5], 0, v[16:17]
	global_load_dwordx2 v[2:3], v[2:3], off
	s_waitcnt vmcnt(0)
	v_and_b32_e32 v6, 0xff, v2
	v_cvt_f32_fp8_sdwa v6, v6 src0_sel:BYTE_0
	s_nop 0
	v_mul_f32_e32 v6, s20, v6
	v_and_b32_e32 v7, 0x7f800000, v6
	v_cmp_ne_u32_e64 s[0:1], s21, v7
                                        ; implicit-def: $vgpr7
	s_and_saveexec_b64 s[2:3], s[0:1]
	s_xor_b64 s[0:1], exec, s[2:3]
; %bb.125:                              ;   in Loop: Header=BB327_92 Depth=1
	v_bfe_u32 v7, v6, 16, 1
	v_add3_u32 v7, v6, v7, s22
                                        ; implicit-def: $vgpr6
; %bb.126:                              ;   in Loop: Header=BB327_92 Depth=1
	s_andn2_saveexec_b64 s[2:3], s[0:1]
; %bb.127:                              ;   in Loop: Header=BB327_92 Depth=1
	v_or_b32_e32 v7, 0x10000, v6
	v_cmp_eq_u32_sdwa s[0:1], v6, v17 src0_sel:WORD_0 src1_sel:DWORD
	s_nop 1
	v_cndmask_b32_e64 v7, v7, v6, s[0:1]
; %bb.128:                              ;   in Loop: Header=BB327_92 Depth=1
	s_or_b64 exec, exec, s[2:3]
	v_bfe_u32 v6, v2, 8, 8
	v_cvt_f32_fp8_sdwa v6, v6 src0_sel:BYTE_0
	s_nop 0
	v_mul_f32_e32 v6, s20, v6
	v_and_b32_e32 v8, 0x7f800000, v6
	v_cmp_ne_u32_e64 s[0:1], s21, v8
                                        ; implicit-def: $vgpr8
	s_and_saveexec_b64 s[2:3], s[0:1]
	s_xor_b64 s[0:1], exec, s[2:3]
; %bb.129:                              ;   in Loop: Header=BB327_92 Depth=1
	v_bfe_u32 v8, v6, 16, 1
	v_add3_u32 v8, v6, v8, s22
                                        ; implicit-def: $vgpr6
; %bb.130:                              ;   in Loop: Header=BB327_92 Depth=1
	s_andn2_saveexec_b64 s[2:3], s[0:1]
; %bb.131:                              ;   in Loop: Header=BB327_92 Depth=1
	v_or_b32_e32 v8, 0x10000, v6
	v_cmp_eq_u32_sdwa s[0:1], v6, v17 src0_sel:WORD_0 src1_sel:DWORD
	s_nop 1
	v_cndmask_b32_e64 v8, v8, v6, s[0:1]
; %bb.132:                              ;   in Loop: Header=BB327_92 Depth=1
	s_or_b64 exec, exec, s[2:3]
	v_bfe_u32 v6, v2, 16, 8
	v_cvt_f32_fp8_sdwa v6, v6 src0_sel:BYTE_0
	s_nop 0
	v_mul_f32_e32 v6, s20, v6
	v_and_b32_e32 v9, 0x7f800000, v6
	v_cmp_ne_u32_e64 s[0:1], s21, v9
                                        ; implicit-def: $vgpr9
	s_and_saveexec_b64 s[2:3], s[0:1]
	s_xor_b64 s[0:1], exec, s[2:3]
; %bb.133:                              ;   in Loop: Header=BB327_92 Depth=1
	v_bfe_u32 v9, v6, 16, 1
	v_add3_u32 v9, v6, v9, s22
                                        ; implicit-def: $vgpr6
; %bb.134:                              ;   in Loop: Header=BB327_92 Depth=1
	s_andn2_saveexec_b64 s[2:3], s[0:1]
; %bb.135:                              ;   in Loop: Header=BB327_92 Depth=1
	v_or_b32_e32 v9, 0x10000, v6
	v_cmp_eq_u32_sdwa s[0:1], v6, v17 src0_sel:WORD_0 src1_sel:DWORD
	s_nop 1
	v_cndmask_b32_e64 v9, v9, v6, s[0:1]
; %bb.136:                              ;   in Loop: Header=BB327_92 Depth=1
	s_or_b64 exec, exec, s[2:3]
	v_lshrrev_b32_e32 v2, 24, v2
	v_cvt_f32_fp8_sdwa v2, v2 src0_sel:BYTE_0
	s_nop 0
	v_mul_f32_e32 v6, s20, v2
	v_and_b32_e32 v2, 0x7f800000, v6
	v_cmp_ne_u32_e64 s[0:1], s21, v2
                                        ; implicit-def: $vgpr2
	s_and_saveexec_b64 s[2:3], s[0:1]
	s_xor_b64 s[0:1], exec, s[2:3]
; %bb.137:                              ;   in Loop: Header=BB327_92 Depth=1
	v_bfe_u32 v2, v6, 16, 1
	v_add3_u32 v2, v6, v2, s22
                                        ; implicit-def: $vgpr6
; %bb.138:                              ;   in Loop: Header=BB327_92 Depth=1
	s_andn2_saveexec_b64 s[2:3], s[0:1]
; %bb.139:                              ;   in Loop: Header=BB327_92 Depth=1
	v_or_b32_e32 v2, 0x10000, v6
	v_cmp_eq_u32_sdwa s[0:1], v6, v17 src0_sel:WORD_0 src1_sel:DWORD
	s_nop 1
	v_cndmask_b32_e64 v2, v2, v6, s[0:1]
; %bb.140:                              ;   in Loop: Header=BB327_92 Depth=1
	s_or_b64 exec, exec, s[2:3]
	v_and_b32_e32 v6, 0xff, v3
	v_cvt_f32_fp8_sdwa v6, v6 src0_sel:BYTE_0
	s_nop 0
	v_mul_f32_e32 v6, s20, v6
	v_and_b32_e32 v30, 0x7f800000, v6
	v_cmp_ne_u32_e64 s[0:1], s21, v30
                                        ; implicit-def: $vgpr30
	s_and_saveexec_b64 s[2:3], s[0:1]
	s_xor_b64 s[0:1], exec, s[2:3]
; %bb.141:                              ;   in Loop: Header=BB327_92 Depth=1
	v_bfe_u32 v30, v6, 16, 1
	v_add3_u32 v30, v6, v30, s22
                                        ; implicit-def: $vgpr6
; %bb.142:                              ;   in Loop: Header=BB327_92 Depth=1
	s_andn2_saveexec_b64 s[2:3], s[0:1]
; %bb.143:                              ;   in Loop: Header=BB327_92 Depth=1
	v_or_b32_e32 v30, 0x10000, v6
	v_cmp_eq_u32_sdwa s[0:1], v6, v17 src0_sel:WORD_0 src1_sel:DWORD
	s_nop 1
	v_cndmask_b32_e64 v30, v30, v6, s[0:1]
; %bb.144:                              ;   in Loop: Header=BB327_92 Depth=1
	s_or_b64 exec, exec, s[2:3]
	v_bfe_u32 v6, v3, 8, 8
	v_cvt_f32_fp8_sdwa v6, v6 src0_sel:BYTE_0
	s_nop 0
	v_mul_f32_e32 v6, s20, v6
	v_and_b32_e32 v31, 0x7f800000, v6
	v_cmp_ne_u32_e64 s[0:1], s21, v31
                                        ; implicit-def: $vgpr31
	s_and_saveexec_b64 s[2:3], s[0:1]
	s_xor_b64 s[0:1], exec, s[2:3]
; %bb.145:                              ;   in Loop: Header=BB327_92 Depth=1
	v_bfe_u32 v31, v6, 16, 1
	v_add3_u32 v31, v6, v31, s22
                                        ; implicit-def: $vgpr6
; %bb.146:                              ;   in Loop: Header=BB327_92 Depth=1
	s_andn2_saveexec_b64 s[2:3], s[0:1]
; %bb.147:                              ;   in Loop: Header=BB327_92 Depth=1
	v_or_b32_e32 v31, 0x10000, v6
	v_cmp_eq_u32_sdwa s[0:1], v6, v17 src0_sel:WORD_0 src1_sel:DWORD
	s_nop 1
	v_cndmask_b32_e64 v31, v31, v6, s[0:1]
; %bb.148:                              ;   in Loop: Header=BB327_92 Depth=1
	s_or_b64 exec, exec, s[2:3]
	v_bfe_u32 v6, v3, 16, 8
	v_cvt_f32_fp8_sdwa v6, v6 src0_sel:BYTE_0
                                        ; implicit-def: $vgpr35
	s_nop 0
	v_mul_f32_e32 v6, s20, v6
	v_and_b32_e32 v32, 0x7f800000, v6
	v_cmp_ne_u32_e64 s[0:1], s21, v32
	s_and_saveexec_b64 s[2:3], s[0:1]
	s_xor_b64 s[0:1], exec, s[2:3]
; %bb.149:                              ;   in Loop: Header=BB327_92 Depth=1
	v_bfe_u32 v32, v6, 16, 1
	v_add3_u32 v35, v6, v32, s22
                                        ; implicit-def: $vgpr6
; %bb.150:                              ;   in Loop: Header=BB327_92 Depth=1
	s_andn2_saveexec_b64 s[2:3], s[0:1]
; %bb.151:                              ;   in Loop: Header=BB327_92 Depth=1
	v_or_b32_e32 v32, 0x10000, v6
	v_cmp_eq_u32_sdwa s[0:1], v6, v17 src0_sel:WORD_0 src1_sel:DWORD
	s_nop 1
	v_cndmask_b32_e64 v35, v32, v6, s[0:1]
; %bb.152:                              ;   in Loop: Header=BB327_92 Depth=1
	s_or_b64 exec, exec, s[2:3]
	v_lshrrev_b32_e32 v3, 24, v3
	v_cvt_f32_fp8_sdwa v3, v3 src0_sel:BYTE_0
                                        ; implicit-def: $vgpr36
	s_nop 0
	v_mul_f32_e32 v3, s20, v3
	v_and_b32_e32 v6, 0x7f800000, v3
	v_cmp_ne_u32_e64 s[0:1], s21, v6
	s_and_saveexec_b64 s[2:3], s[0:1]
	s_xor_b64 s[0:1], exec, s[2:3]
; %bb.153:                              ;   in Loop: Header=BB327_92 Depth=1
	v_bfe_u32 v6, v3, 16, 1
	v_add3_u32 v36, v3, v6, s22
                                        ; implicit-def: $vgpr3
; %bb.154:                              ;   in Loop: Header=BB327_92 Depth=1
	s_andn2_saveexec_b64 s[2:3], s[0:1]
; %bb.155:                              ;   in Loop: Header=BB327_92 Depth=1
	v_or_b32_e32 v6, 0x10000, v3
	v_cmp_eq_u32_sdwa s[0:1], v3, v17 src0_sel:WORD_0 src1_sel:DWORD
	s_nop 1
	v_cndmask_b32_e64 v36, v6, v3, s[0:1]
; %bb.156:                              ;   in Loop: Header=BB327_92 Depth=1
	s_or_b64 exec, exec, s[2:3]
	v_cmp_eq_u32_e64 s[2:3], s9, v12
	v_add_u32_e32 v6, -7, v11
	v_lshrrev_b32_e32 v31, 16, v31
	v_lshrrev_b32_e32 v32, 16, v30
	v_lshrrev_b32_e32 v33, 16, v2
	v_lshrrev_b32_e32 v34, 16, v9
	v_lshrrev_b32_e32 v9, 16, v8
	v_lshrrev_b32_e32 v3, 16, v7
	v_lshrrev_b32_e32 v30, 16, v35
	v_lshrrev_b32_e32 v2, 16, v36
	s_and_saveexec_b64 s[16:17], s[2:3]
	s_cbranch_execz .LBB327_158
; %bb.157:                              ;   in Loop: Header=BB327_92 Depth=1
	v_cmp_gt_i32_e64 s[0:1], s29, v6
	v_add_u32_e32 v7, -6, v11
	s_nop 0
	v_cndmask_b32_e64 v3, 0, v3, s[0:1]
	v_cmp_gt_i32_e64 s[0:1], s29, v7
	v_add_u32_e32 v7, -5, v11
	s_nop 0
	v_cndmask_b32_e64 v9, 0, v9, s[0:1]
	;; [unrolled: 4-line block ×6, first 2 shown]
	v_cmp_gt_i32_e64 s[0:1], s29, v7
	s_nop 1
	v_cndmask_b32_e64 v30, 0, v30, s[0:1]
	v_cmp_gt_i32_e64 s[0:1], s29, v11
	s_nop 1
	v_cndmask_b32_e64 v2, 0, v2, s[0:1]
.LBB327_158:                            ;   in Loop: Header=BB327_92 Depth=1
	s_or_b64 exec, exec, s[16:17]
	v_and_b32_e32 v7, 0xffff0000, v29
	v_lshlrev_b32_e32 v3, 16, v3
	v_mul_f32_e32 v8, v7, v3
	v_and_b32_e32 v3, 0x7f800000, v8
	v_cmp_ne_u32_e64 s[0:1], s21, v3
                                        ; implicit-def: $vgpr3
	s_and_saveexec_b64 s[16:17], s[0:1]
	s_xor_b64 s[0:1], exec, s[16:17]
; %bb.159:                              ;   in Loop: Header=BB327_92 Depth=1
	v_bfe_u32 v3, v8, 16, 1
	v_add3_u32 v3, v8, v3, s22
                                        ; implicit-def: $vgpr8
; %bb.160:                              ;   in Loop: Header=BB327_92 Depth=1
	s_andn2_saveexec_b64 s[16:17], s[0:1]
; %bb.161:                              ;   in Loop: Header=BB327_92 Depth=1
	v_or_b32_e32 v3, 0x10000, v8
	v_cmp_eq_u32_sdwa s[0:1], v8, v17 src0_sel:WORD_0 src1_sel:DWORD
	s_nop 1
	v_cndmask_b32_e64 v3, v3, v8, s[0:1]
; %bb.162:                              ;   in Loop: Header=BB327_92 Depth=1
	s_or_b64 exec, exec, s[16:17]
	v_and_b32_e32 v8, 0xffff0000, v28
	v_lshlrev_b32_e32 v9, 16, v9
	v_mul_f32_e32 v9, v8, v9
	v_and_b32_e32 v28, 0x7f800000, v9
	v_cmp_ne_u32_e64 s[0:1], s21, v28
                                        ; implicit-def: $vgpr28
	s_and_saveexec_b64 s[16:17], s[0:1]
	s_xor_b64 s[0:1], exec, s[16:17]
; %bb.163:                              ;   in Loop: Header=BB327_92 Depth=1
	v_bfe_u32 v28, v9, 16, 1
	v_add3_u32 v28, v9, v28, s22
                                        ; implicit-def: $vgpr9
; %bb.164:                              ;   in Loop: Header=BB327_92 Depth=1
	s_andn2_saveexec_b64 s[16:17], s[0:1]
; %bb.165:                              ;   in Loop: Header=BB327_92 Depth=1
	v_or_b32_e32 v28, 0x10000, v9
	v_cmp_eq_u32_sdwa s[0:1], v9, v17 src0_sel:WORD_0 src1_sel:DWORD
	s_nop 1
	v_cndmask_b32_e64 v28, v28, v9, s[0:1]
; %bb.166:                              ;   in Loop: Header=BB327_92 Depth=1
	s_or_b64 exec, exec, s[16:17]
	v_and_b32_e32 v9, 0xffff0000, v27
	v_lshlrev_b32_e32 v27, 16, v34
	v_mul_f32_e32 v29, v9, v27
	v_and_b32_e32 v27, 0x7f800000, v29
	v_cmp_ne_u32_e64 s[0:1], s21, v27
                                        ; implicit-def: $vgpr27
	s_and_saveexec_b64 s[16:17], s[0:1]
	s_xor_b64 s[0:1], exec, s[16:17]
; %bb.167:                              ;   in Loop: Header=BB327_92 Depth=1
	v_bfe_u32 v27, v29, 16, 1
	v_add3_u32 v27, v29, v27, s22
                                        ; implicit-def: $vgpr29
; %bb.168:                              ;   in Loop: Header=BB327_92 Depth=1
	s_andn2_saveexec_b64 s[16:17], s[0:1]
; %bb.169:                              ;   in Loop: Header=BB327_92 Depth=1
	v_or_b32_e32 v27, 0x10000, v29
	v_cmp_eq_u32_sdwa s[0:1], v29, v17 src0_sel:WORD_0 src1_sel:DWORD
	s_nop 1
	v_cndmask_b32_e64 v27, v27, v29, s[0:1]
; %bb.170:                              ;   in Loop: Header=BB327_92 Depth=1
	s_or_b64 exec, exec, s[16:17]
	v_and_b32_e32 v13, 0xffff0000, v13
	v_lshlrev_b32_e32 v29, 16, v33
	v_mul_f32_e32 v33, v13, v29
	v_and_b32_e32 v29, 0x7f800000, v33
	v_cmp_ne_u32_e64 s[0:1], s21, v29
                                        ; implicit-def: $vgpr29
	s_and_saveexec_b64 s[16:17], s[0:1]
	s_xor_b64 s[0:1], exec, s[16:17]
; %bb.171:                              ;   in Loop: Header=BB327_92 Depth=1
	v_bfe_u32 v29, v33, 16, 1
	v_add3_u32 v29, v33, v29, s22
                                        ; implicit-def: $vgpr33
; %bb.172:                              ;   in Loop: Header=BB327_92 Depth=1
	s_andn2_saveexec_b64 s[16:17], s[0:1]
; %bb.173:                              ;   in Loop: Header=BB327_92 Depth=1
	v_or_b32_e32 v29, 0x10000, v33
	v_cmp_eq_u32_sdwa s[0:1], v33, v17 src0_sel:WORD_0 src1_sel:DWORD
	s_nop 1
	v_cndmask_b32_e64 v29, v29, v33, s[0:1]
; %bb.174:                              ;   in Loop: Header=BB327_92 Depth=1
	s_or_b64 exec, exec, s[16:17]
	v_and_b32_e32 v23, 0xffff0000, v23
	v_lshlrev_b32_e32 v32, 16, v32
	v_mul_f32_e32 v33, v23, v32
	v_and_b32_e32 v32, 0x7f800000, v33
	v_cmp_ne_u32_e64 s[0:1], s21, v32
                                        ; implicit-def: $vgpr32
	s_and_saveexec_b64 s[16:17], s[0:1]
	s_xor_b64 s[0:1], exec, s[16:17]
; %bb.175:                              ;   in Loop: Header=BB327_92 Depth=1
	v_bfe_u32 v32, v33, 16, 1
	v_add3_u32 v32, v33, v32, s22
                                        ; implicit-def: $vgpr33
; %bb.176:                              ;   in Loop: Header=BB327_92 Depth=1
	s_andn2_saveexec_b64 s[16:17], s[0:1]
; %bb.177:                              ;   in Loop: Header=BB327_92 Depth=1
	v_or_b32_e32 v32, 0x10000, v33
	v_cmp_eq_u32_sdwa s[0:1], v33, v17 src0_sel:WORD_0 src1_sel:DWORD
	s_nop 1
	v_cndmask_b32_e64 v32, v32, v33, s[0:1]
; %bb.178:                              ;   in Loop: Header=BB327_92 Depth=1
	s_or_b64 exec, exec, s[16:17]
	v_and_b32_e32 v24, 0xffff0000, v24
	v_lshlrev_b32_e32 v31, 16, v31
	v_mul_f32_e32 v33, v24, v31
	v_and_b32_e32 v31, 0x7f800000, v33
	v_cmp_ne_u32_e64 s[0:1], s21, v31
                                        ; implicit-def: $vgpr31
	s_and_saveexec_b64 s[16:17], s[0:1]
	s_xor_b64 s[0:1], exec, s[16:17]
; %bb.179:                              ;   in Loop: Header=BB327_92 Depth=1
	v_bfe_u32 v31, v33, 16, 1
	v_add3_u32 v31, v33, v31, s22
                                        ; implicit-def: $vgpr33
; %bb.180:                              ;   in Loop: Header=BB327_92 Depth=1
	s_andn2_saveexec_b64 s[16:17], s[0:1]
; %bb.181:                              ;   in Loop: Header=BB327_92 Depth=1
	v_or_b32_e32 v31, 0x10000, v33
	v_cmp_eq_u32_sdwa s[0:1], v33, v17 src0_sel:WORD_0 src1_sel:DWORD
	s_nop 1
	v_cndmask_b32_e64 v31, v31, v33, s[0:1]
; %bb.182:                              ;   in Loop: Header=BB327_92 Depth=1
	s_or_b64 exec, exec, s[16:17]
	v_and_b32_e32 v25, 0xffff0000, v25
	v_lshlrev_b32_e32 v30, 16, v30
	v_mul_f32_e32 v33, v25, v30
	v_and_b32_e32 v30, 0x7f800000, v33
	v_cmp_ne_u32_e64 s[0:1], s21, v30
                                        ; implicit-def: $vgpr30
	s_and_saveexec_b64 s[16:17], s[0:1]
	s_xor_b64 s[0:1], exec, s[16:17]
; %bb.183:                              ;   in Loop: Header=BB327_92 Depth=1
	v_bfe_u32 v30, v33, 16, 1
	v_add3_u32 v30, v33, v30, s22
                                        ; implicit-def: $vgpr33
; %bb.184:                              ;   in Loop: Header=BB327_92 Depth=1
	s_andn2_saveexec_b64 s[16:17], s[0:1]
; %bb.185:                              ;   in Loop: Header=BB327_92 Depth=1
	v_or_b32_e32 v30, 0x10000, v33
	v_cmp_eq_u32_sdwa s[0:1], v33, v17 src0_sel:WORD_0 src1_sel:DWORD
	s_nop 1
	v_cndmask_b32_e64 v30, v30, v33, s[0:1]
; %bb.186:                              ;   in Loop: Header=BB327_92 Depth=1
	s_or_b64 exec, exec, s[16:17]
	v_and_b32_e32 v26, 0xffff0000, v26
	v_lshlrev_b32_e32 v2, 16, v2
	v_mul_f32_e32 v2, v26, v2
	v_and_b32_e32 v33, 0x7f800000, v2
	v_cmp_ne_u32_e64 s[0:1], s21, v33
                                        ; implicit-def: $vgpr33
	s_and_saveexec_b64 s[16:17], s[0:1]
	s_xor_b64 s[0:1], exec, s[16:17]
; %bb.187:                              ;   in Loop: Header=BB327_92 Depth=1
	v_bfe_u32 v33, v2, 16, 1
	v_add3_u32 v33, v2, v33, s22
                                        ; implicit-def: $vgpr2
; %bb.188:                              ;   in Loop: Header=BB327_92 Depth=1
	s_andn2_saveexec_b64 s[16:17], s[0:1]
; %bb.189:                              ;   in Loop: Header=BB327_92 Depth=1
	v_or_b32_e32 v33, 0x10000, v2
	v_cmp_eq_u32_sdwa s[0:1], v2, v17 src0_sel:WORD_0 src1_sel:DWORD
	s_nop 1
	v_cndmask_b32_e64 v33, v33, v2, s[0:1]
; %bb.190:                              ;   in Loop: Header=BB327_92 Depth=1
	s_or_b64 exec, exec, s[16:17]
	v_and_b32_e32 v35, 0xffff0000, v33
	v_and_b32_e32 v34, 0xffff0000, v31
	;; [unrolled: 1-line block ×8, first 2 shown]
	v_pk_add_f32 v[2:3], v[32:33], v[28:29]
	s_nop 0
	v_mov_b32_e32 v28, v3
	v_pk_add_f32 v[2:3], v[2:3], v[28:29]
	v_pk_add_f32 v[28:29], v[30:31], v[34:35]
	s_nop 0
	v_pk_add_f32 v[2:3], v[2:3], v[28:29]
	v_mov_b32_e32 v28, v29
	v_pk_add_f32 v[2:3], v[2:3], v[28:29]
	s_nop 0
	v_pk_add_f32 v[2:3], v[14:15], v[2:3]
	s_and_saveexec_b64 s[16:17], vcc
	s_cbranch_execz .LBB327_91
; %bb.191:                              ;   in Loop: Header=BB327_92 Depth=1
	v_lshl_add_u64 v[4:5], v[4:5], 0, v[18:19]
	global_load_dwordx2 v[4:5], v[4:5], off
	s_waitcnt vmcnt(0)
	v_and_b32_e32 v3, 0xff, v4
	v_cvt_f32_fp8_sdwa v3, v3 src0_sel:BYTE_0
	s_nop 0
	v_mul_f32_e32 v27, s20, v3
	v_and_b32_e32 v3, 0x7f800000, v27
	v_cmp_ne_u32_e64 s[0:1], s21, v3
                                        ; implicit-def: $vgpr3
	s_and_saveexec_b64 s[18:19], s[0:1]
	s_xor_b64 s[0:1], exec, s[18:19]
; %bb.192:                              ;   in Loop: Header=BB327_92 Depth=1
	v_bfe_u32 v3, v27, 16, 1
	v_add3_u32 v3, v27, v3, s22
                                        ; implicit-def: $vgpr27
; %bb.193:                              ;   in Loop: Header=BB327_92 Depth=1
	s_andn2_saveexec_b64 s[18:19], s[0:1]
; %bb.194:                              ;   in Loop: Header=BB327_92 Depth=1
	v_or_b32_e32 v3, 0x10000, v27
	v_cmp_eq_u32_sdwa s[0:1], v27, v17 src0_sel:WORD_0 src1_sel:DWORD
	s_nop 1
	v_cndmask_b32_e64 v3, v3, v27, s[0:1]
; %bb.195:                              ;   in Loop: Header=BB327_92 Depth=1
	s_or_b64 exec, exec, s[18:19]
	v_bfe_u32 v27, v4, 8, 8
	v_cvt_f32_fp8_sdwa v27, v27 src0_sel:BYTE_0
	s_nop 0
	v_mul_f32_e32 v28, s20, v27
	v_and_b32_e32 v27, 0x7f800000, v28
	v_cmp_ne_u32_e64 s[0:1], s21, v27
                                        ; implicit-def: $vgpr27
	s_and_saveexec_b64 s[18:19], s[0:1]
	s_xor_b64 s[0:1], exec, s[18:19]
; %bb.196:                              ;   in Loop: Header=BB327_92 Depth=1
	v_bfe_u32 v27, v28, 16, 1
	v_add3_u32 v27, v28, v27, s22
                                        ; implicit-def: $vgpr28
; %bb.197:                              ;   in Loop: Header=BB327_92 Depth=1
	s_andn2_saveexec_b64 s[18:19], s[0:1]
; %bb.198:                              ;   in Loop: Header=BB327_92 Depth=1
	v_or_b32_e32 v27, 0x10000, v28
	v_cmp_eq_u32_sdwa s[0:1], v28, v17 src0_sel:WORD_0 src1_sel:DWORD
	s_nop 1
	v_cndmask_b32_e64 v27, v27, v28, s[0:1]
; %bb.199:                              ;   in Loop: Header=BB327_92 Depth=1
	s_or_b64 exec, exec, s[18:19]
	v_bfe_u32 v28, v4, 16, 8
	v_cvt_f32_fp8_sdwa v28, v28 src0_sel:BYTE_0
	s_nop 0
	v_mul_f32_e32 v28, s20, v28
	v_and_b32_e32 v29, 0x7f800000, v28
	v_cmp_ne_u32_e64 s[0:1], s21, v29
                                        ; implicit-def: $vgpr29
	s_and_saveexec_b64 s[18:19], s[0:1]
	s_xor_b64 s[0:1], exec, s[18:19]
; %bb.200:                              ;   in Loop: Header=BB327_92 Depth=1
	v_bfe_u32 v29, v28, 16, 1
	v_add3_u32 v29, v28, v29, s22
                                        ; implicit-def: $vgpr28
; %bb.201:                              ;   in Loop: Header=BB327_92 Depth=1
	s_andn2_saveexec_b64 s[18:19], s[0:1]
; %bb.202:                              ;   in Loop: Header=BB327_92 Depth=1
	v_or_b32_e32 v29, 0x10000, v28
	v_cmp_eq_u32_sdwa s[0:1], v28, v17 src0_sel:WORD_0 src1_sel:DWORD
	s_nop 1
	v_cndmask_b32_e64 v29, v29, v28, s[0:1]
; %bb.203:                              ;   in Loop: Header=BB327_92 Depth=1
	s_or_b64 exec, exec, s[18:19]
	v_lshrrev_b32_e32 v4, 24, v4
	v_cvt_f32_fp8_sdwa v4, v4 src0_sel:BYTE_0
	s_nop 0
	v_mul_f32_e32 v28, s20, v4
	v_and_b32_e32 v4, 0x7f800000, v28
	v_cmp_ne_u32_e64 s[0:1], s21, v4
                                        ; implicit-def: $vgpr4
	s_and_saveexec_b64 s[18:19], s[0:1]
	s_xor_b64 s[0:1], exec, s[18:19]
; %bb.204:                              ;   in Loop: Header=BB327_92 Depth=1
	v_bfe_u32 v4, v28, 16, 1
	v_add3_u32 v4, v28, v4, s22
                                        ; implicit-def: $vgpr28
; %bb.205:                              ;   in Loop: Header=BB327_92 Depth=1
	s_andn2_saveexec_b64 s[18:19], s[0:1]
; %bb.206:                              ;   in Loop: Header=BB327_92 Depth=1
	v_or_b32_e32 v4, 0x10000, v28
	v_cmp_eq_u32_sdwa s[0:1], v28, v17 src0_sel:WORD_0 src1_sel:DWORD
	s_nop 1
	v_cndmask_b32_e64 v4, v4, v28, s[0:1]
; %bb.207:                              ;   in Loop: Header=BB327_92 Depth=1
	s_or_b64 exec, exec, s[18:19]
	v_and_b32_e32 v28, 0xff, v5
	v_cvt_f32_fp8_sdwa v28, v28 src0_sel:BYTE_0
	s_nop 0
	v_mul_f32_e32 v28, s20, v28
	v_and_b32_e32 v30, 0x7f800000, v28
	v_cmp_ne_u32_e64 s[0:1], s21, v30
                                        ; implicit-def: $vgpr30
	s_and_saveexec_b64 s[18:19], s[0:1]
	s_xor_b64 s[0:1], exec, s[18:19]
; %bb.208:                              ;   in Loop: Header=BB327_92 Depth=1
	v_bfe_u32 v30, v28, 16, 1
	v_add3_u32 v30, v28, v30, s22
                                        ; implicit-def: $vgpr28
; %bb.209:                              ;   in Loop: Header=BB327_92 Depth=1
	s_andn2_saveexec_b64 s[18:19], s[0:1]
; %bb.210:                              ;   in Loop: Header=BB327_92 Depth=1
	v_or_b32_e32 v30, 0x10000, v28
	v_cmp_eq_u32_sdwa s[0:1], v28, v17 src0_sel:WORD_0 src1_sel:DWORD
	s_nop 1
	v_cndmask_b32_e64 v30, v30, v28, s[0:1]
; %bb.211:                              ;   in Loop: Header=BB327_92 Depth=1
	s_or_b64 exec, exec, s[18:19]
	v_bfe_u32 v28, v5, 8, 8
	v_cvt_f32_fp8_sdwa v28, v28 src0_sel:BYTE_0
	s_nop 0
	v_mul_f32_e32 v31, s20, v28
	v_and_b32_e32 v28, 0x7f800000, v31
	v_cmp_ne_u32_e64 s[0:1], s21, v28
                                        ; implicit-def: $vgpr28
	s_and_saveexec_b64 s[18:19], s[0:1]
	s_xor_b64 s[0:1], exec, s[18:19]
; %bb.212:                              ;   in Loop: Header=BB327_92 Depth=1
	v_bfe_u32 v28, v31, 16, 1
	v_add3_u32 v28, v31, v28, s22
                                        ; implicit-def: $vgpr31
; %bb.213:                              ;   in Loop: Header=BB327_92 Depth=1
	s_andn2_saveexec_b64 s[18:19], s[0:1]
; %bb.214:                              ;   in Loop: Header=BB327_92 Depth=1
	v_or_b32_e32 v28, 0x10000, v31
	v_cmp_eq_u32_sdwa s[0:1], v31, v17 src0_sel:WORD_0 src1_sel:DWORD
	s_nop 1
	v_cndmask_b32_e64 v28, v28, v31, s[0:1]
; %bb.215:                              ;   in Loop: Header=BB327_92 Depth=1
	s_or_b64 exec, exec, s[18:19]
	v_bfe_u32 v31, v5, 16, 8
	v_cvt_f32_fp8_sdwa v31, v31 src0_sel:BYTE_0
	s_nop 0
	v_mul_f32_e32 v31, s20, v31
	v_and_b32_e32 v32, 0x7f800000, v31
	v_cmp_ne_u32_e64 s[0:1], s21, v32
                                        ; implicit-def: $vgpr32
	s_and_saveexec_b64 s[18:19], s[0:1]
	s_xor_b64 s[0:1], exec, s[18:19]
; %bb.216:                              ;   in Loop: Header=BB327_92 Depth=1
	v_bfe_u32 v32, v31, 16, 1
	v_add3_u32 v32, v31, v32, s22
                                        ; implicit-def: $vgpr31
; %bb.217:                              ;   in Loop: Header=BB327_92 Depth=1
	s_andn2_saveexec_b64 s[18:19], s[0:1]
; %bb.218:                              ;   in Loop: Header=BB327_92 Depth=1
	v_or_b32_e32 v32, 0x10000, v31
	v_cmp_eq_u32_sdwa s[0:1], v31, v17 src0_sel:WORD_0 src1_sel:DWORD
	s_nop 1
	v_cndmask_b32_e64 v32, v32, v31, s[0:1]
; %bb.219:                              ;   in Loop: Header=BB327_92 Depth=1
	s_or_b64 exec, exec, s[18:19]
	v_lshrrev_b32_e32 v5, 24, v5
	v_cvt_f32_fp8_sdwa v5, v5 src0_sel:BYTE_0
                                        ; implicit-def: $vgpr33
	s_nop 0
	v_mul_f32_e32 v5, s20, v5
	v_and_b32_e32 v31, 0x7f800000, v5
	v_cmp_ne_u32_e64 s[0:1], s21, v31
	s_and_saveexec_b64 s[18:19], s[0:1]
	s_xor_b64 s[0:1], exec, s[18:19]
; %bb.220:                              ;   in Loop: Header=BB327_92 Depth=1
	v_bfe_u32 v31, v5, 16, 1
	v_add3_u32 v33, v5, v31, s22
                                        ; implicit-def: $vgpr5
; %bb.221:                              ;   in Loop: Header=BB327_92 Depth=1
	s_andn2_saveexec_b64 s[18:19], s[0:1]
; %bb.222:                              ;   in Loop: Header=BB327_92 Depth=1
	v_or_b32_e32 v31, 0x10000, v5
	v_cmp_eq_u32_sdwa s[0:1], v5, v17 src0_sel:WORD_0 src1_sel:DWORD
	s_nop 1
	v_cndmask_b32_e64 v33, v31, v5, s[0:1]
; %bb.223:                              ;   in Loop: Header=BB327_92 Depth=1
	s_or_b64 exec, exec, s[18:19]
	v_lshrrev_b32_e32 v28, 16, v28
	v_lshrrev_b32_e32 v30, 16, v30
	;; [unrolled: 1-line block ×8, first 2 shown]
	s_and_saveexec_b64 s[18:19], s[2:3]
	s_cbranch_execz .LBB327_225
; %bb.224:                              ;   in Loop: Header=BB327_92 Depth=1
	v_cmp_gt_i32_e64 s[0:1], s29, v6
	v_add_u32_e32 v6, -6, v11
	s_nop 0
	v_cndmask_b32_e64 v4, 0, v4, s[0:1]
	v_cmp_gt_i32_e64 s[0:1], s29, v6
	v_add_u32_e32 v6, -5, v11
	s_nop 0
	v_cndmask_b32_e64 v27, 0, v27, s[0:1]
	;; [unrolled: 4-line block ×6, first 2 shown]
	v_cmp_gt_i32_e64 s[0:1], s29, v6
	s_nop 1
	v_cndmask_b32_e64 v5, 0, v5, s[0:1]
	v_cmp_gt_i32_e64 s[0:1], s29, v11
	s_nop 1
	v_cndmask_b32_e64 v3, 0, v3, s[0:1]
.LBB327_225:                            ;   in Loop: Header=BB327_92 Depth=1
	s_or_b64 exec, exec, s[18:19]
	v_lshlrev_b32_e32 v4, 16, v4
	v_mul_f32_e32 v6, v7, v4
	v_and_b32_e32 v4, 0x7f800000, v6
	v_cmp_ne_u32_e64 s[0:1], s21, v4
                                        ; implicit-def: $vgpr4
	s_and_saveexec_b64 s[2:3], s[0:1]
	s_xor_b64 s[0:1], exec, s[2:3]
; %bb.226:                              ;   in Loop: Header=BB327_92 Depth=1
	v_bfe_u32 v4, v6, 16, 1
	v_add3_u32 v4, v6, v4, s22
                                        ; implicit-def: $vgpr6
; %bb.227:                              ;   in Loop: Header=BB327_92 Depth=1
	s_andn2_saveexec_b64 s[2:3], s[0:1]
; %bb.228:                              ;   in Loop: Header=BB327_92 Depth=1
	v_or_b32_e32 v4, 0x10000, v6
	v_cmp_eq_u32_sdwa s[0:1], v6, v17 src0_sel:WORD_0 src1_sel:DWORD
	s_nop 1
	v_cndmask_b32_e64 v4, v4, v6, s[0:1]
; %bb.229:                              ;   in Loop: Header=BB327_92 Depth=1
	s_or_b64 exec, exec, s[2:3]
	v_lshlrev_b32_e32 v6, 16, v27
	v_mul_f32_e32 v7, v8, v6
	v_and_b32_e32 v6, 0x7f800000, v7
	v_cmp_ne_u32_e64 s[0:1], s21, v6
                                        ; implicit-def: $vgpr6
	s_and_saveexec_b64 s[2:3], s[0:1]
	s_xor_b64 s[0:1], exec, s[2:3]
; %bb.230:                              ;   in Loop: Header=BB327_92 Depth=1
	v_bfe_u32 v6, v7, 16, 1
	v_add3_u32 v6, v7, v6, s22
                                        ; implicit-def: $vgpr7
; %bb.231:                              ;   in Loop: Header=BB327_92 Depth=1
	s_andn2_saveexec_b64 s[2:3], s[0:1]
; %bb.232:                              ;   in Loop: Header=BB327_92 Depth=1
	v_or_b32_e32 v6, 0x10000, v7
	v_cmp_eq_u32_sdwa s[0:1], v7, v17 src0_sel:WORD_0 src1_sel:DWORD
	s_nop 1
	v_cndmask_b32_e64 v6, v6, v7, s[0:1]
; %bb.233:                              ;   in Loop: Header=BB327_92 Depth=1
	s_or_b64 exec, exec, s[2:3]
	v_lshlrev_b32_e32 v7, 16, v29
	v_mul_f32_e32 v8, v9, v7
	v_and_b32_e32 v7, 0x7f800000, v8
	v_cmp_ne_u32_e64 s[0:1], s21, v7
                                        ; implicit-def: $vgpr7
	s_and_saveexec_b64 s[2:3], s[0:1]
	s_xor_b64 s[0:1], exec, s[2:3]
; %bb.234:                              ;   in Loop: Header=BB327_92 Depth=1
	v_bfe_u32 v7, v8, 16, 1
	v_add3_u32 v7, v8, v7, s22
                                        ; implicit-def: $vgpr8
; %bb.235:                              ;   in Loop: Header=BB327_92 Depth=1
	s_andn2_saveexec_b64 s[2:3], s[0:1]
; %bb.236:                              ;   in Loop: Header=BB327_92 Depth=1
	v_or_b32_e32 v7, 0x10000, v8
	v_cmp_eq_u32_sdwa s[0:1], v8, v17 src0_sel:WORD_0 src1_sel:DWORD
	s_nop 1
	v_cndmask_b32_e64 v7, v7, v8, s[0:1]
; %bb.237:                              ;   in Loop: Header=BB327_92 Depth=1
	s_or_b64 exec, exec, s[2:3]
	v_lshlrev_b32_e32 v8, 16, v31
	v_mul_f32_e32 v9, v13, v8
	v_and_b32_e32 v8, 0x7f800000, v9
	v_cmp_ne_u32_e64 s[0:1], s21, v8
                                        ; implicit-def: $vgpr8
	s_and_saveexec_b64 s[2:3], s[0:1]
	s_xor_b64 s[0:1], exec, s[2:3]
; %bb.238:                              ;   in Loop: Header=BB327_92 Depth=1
	v_bfe_u32 v8, v9, 16, 1
	v_add3_u32 v8, v9, v8, s22
                                        ; implicit-def: $vgpr9
; %bb.239:                              ;   in Loop: Header=BB327_92 Depth=1
	s_andn2_saveexec_b64 s[2:3], s[0:1]
; %bb.240:                              ;   in Loop: Header=BB327_92 Depth=1
	v_or_b32_e32 v8, 0x10000, v9
	v_cmp_eq_u32_sdwa s[0:1], v9, v17 src0_sel:WORD_0 src1_sel:DWORD
	s_nop 1
	v_cndmask_b32_e64 v8, v8, v9, s[0:1]
; %bb.241:                              ;   in Loop: Header=BB327_92 Depth=1
	s_or_b64 exec, exec, s[2:3]
	v_lshlrev_b32_e32 v9, 16, v30
	v_mul_f32_e32 v13, v23, v9
	v_and_b32_e32 v9, 0x7f800000, v13
	v_cmp_ne_u32_e64 s[0:1], s21, v9
                                        ; implicit-def: $vgpr9
	s_and_saveexec_b64 s[2:3], s[0:1]
	s_xor_b64 s[0:1], exec, s[2:3]
; %bb.242:                              ;   in Loop: Header=BB327_92 Depth=1
	v_bfe_u32 v9, v13, 16, 1
	v_add3_u32 v9, v13, v9, s22
                                        ; implicit-def: $vgpr13
; %bb.243:                              ;   in Loop: Header=BB327_92 Depth=1
	s_andn2_saveexec_b64 s[2:3], s[0:1]
; %bb.244:                              ;   in Loop: Header=BB327_92 Depth=1
	v_or_b32_e32 v9, 0x10000, v13
	v_cmp_eq_u32_sdwa s[0:1], v13, v17 src0_sel:WORD_0 src1_sel:DWORD
	s_nop 1
	v_cndmask_b32_e64 v9, v9, v13, s[0:1]
; %bb.245:                              ;   in Loop: Header=BB327_92 Depth=1
	s_or_b64 exec, exec, s[2:3]
	v_lshlrev_b32_e32 v13, 16, v28
	v_mul_f32_e32 v23, v24, v13
	v_and_b32_e32 v13, 0x7f800000, v23
	v_cmp_ne_u32_e64 s[0:1], s21, v13
                                        ; implicit-def: $vgpr13
	s_and_saveexec_b64 s[2:3], s[0:1]
	s_xor_b64 s[0:1], exec, s[2:3]
; %bb.246:                              ;   in Loop: Header=BB327_92 Depth=1
	v_bfe_u32 v13, v23, 16, 1
	v_add3_u32 v13, v23, v13, s22
                                        ; implicit-def: $vgpr23
; %bb.247:                              ;   in Loop: Header=BB327_92 Depth=1
	s_andn2_saveexec_b64 s[2:3], s[0:1]
; %bb.248:                              ;   in Loop: Header=BB327_92 Depth=1
	v_or_b32_e32 v13, 0x10000, v23
	v_cmp_eq_u32_sdwa s[0:1], v23, v17 src0_sel:WORD_0 src1_sel:DWORD
	s_nop 1
	v_cndmask_b32_e64 v13, v13, v23, s[0:1]
; %bb.249:                              ;   in Loop: Header=BB327_92 Depth=1
	s_or_b64 exec, exec, s[2:3]
	v_lshlrev_b32_e32 v5, 16, v5
	v_mul_f32_e32 v23, v25, v5
	v_and_b32_e32 v5, 0x7f800000, v23
	v_cmp_ne_u32_e64 s[0:1], s21, v5
                                        ; implicit-def: $vgpr5
	s_and_saveexec_b64 s[2:3], s[0:1]
	s_xor_b64 s[0:1], exec, s[2:3]
; %bb.250:                              ;   in Loop: Header=BB327_92 Depth=1
	v_bfe_u32 v5, v23, 16, 1
	v_add3_u32 v5, v23, v5, s22
                                        ; implicit-def: $vgpr23
; %bb.251:                              ;   in Loop: Header=BB327_92 Depth=1
	s_andn2_saveexec_b64 s[2:3], s[0:1]
; %bb.252:                              ;   in Loop: Header=BB327_92 Depth=1
	v_or_b32_e32 v5, 0x10000, v23
	v_cmp_eq_u32_sdwa s[0:1], v23, v17 src0_sel:WORD_0 src1_sel:DWORD
	s_nop 1
	v_cndmask_b32_e64 v5, v5, v23, s[0:1]
; %bb.253:                              ;   in Loop: Header=BB327_92 Depth=1
	s_or_b64 exec, exec, s[2:3]
	v_lshlrev_b32_e32 v3, 16, v3
	v_mul_f32_e32 v3, v26, v3
	v_and_b32_e32 v23, 0x7f800000, v3
	v_cmp_ne_u32_e64 s[0:1], s21, v23
                                        ; implicit-def: $vgpr23
	s_and_saveexec_b64 s[2:3], s[0:1]
	s_xor_b64 s[0:1], exec, s[2:3]
; %bb.254:                              ;   in Loop: Header=BB327_92 Depth=1
	v_bfe_u32 v23, v3, 16, 1
	v_add3_u32 v23, v3, v23, s22
                                        ; implicit-def: $vgpr3
; %bb.255:                              ;   in Loop: Header=BB327_92 Depth=1
	s_andn2_saveexec_b64 s[2:3], s[0:1]
	s_cbranch_execz .LBB327_90
; %bb.256:                              ;   in Loop: Header=BB327_92 Depth=1
	v_or_b32_e32 v23, 0x10000, v3
	v_cmp_eq_u32_sdwa s[0:1], v3, v17 src0_sel:WORD_0 src1_sel:DWORD
	s_nop 1
	v_cndmask_b32_e64 v23, v23, v3, s[0:1]
	s_branch .LBB327_90
.LBB327_257:
	s_or_b64 exec, exec, s[14:15]
.LBB327_258:
	s_or_b64 exec, exec, s[12:13]
	v_and_b32_e32 v3, 0x3c0, v0
	v_cmp_eq_u32_e32 vcc, 64, v3
	s_barrier
	s_and_saveexec_b64 s[0:1], vcc
	s_cbranch_execz .LBB327_261
; %bb.259:
	v_mov_b32_e32 v3, 0xd0
	v_lshl_add_u32 v1, v1, 2, v3
	ds_write_b32 v1, v2
	s_and_b64 exec, exec, s[10:11]
	s_cbranch_execz .LBB327_261
; %bb.260:
	v_lshl_add_u32 v1, v0, 2, v3
	ds_write_b32 v1, v15
.LBB327_261:
	s_or_b64 exec, exec, s[0:1]
	v_cmp_gt_u32_e32 vcc, 64, v0
	v_or_b32_e32 v1, 64, v0
	s_waitcnt lgkmcnt(0)
	s_barrier
	s_and_saveexec_b64 s[2:3], vcc
	s_cbranch_execz .LBB327_265
; %bb.262:
	v_mov_b32_e32 v3, 0xd0
	v_lshl_add_u32 v3, v0, 2, v3
	ds_read_b32 v0, v3
	s_movk_i32 s0, 0x60
	v_cmp_gt_u32_e64 s[0:1], s0, v1
	s_and_saveexec_b64 s[6:7], s[0:1]
	s_cbranch_execz .LBB327_264
; %bb.263:
	ds_read_b32 v3, v3 offset:256
	s_waitcnt lgkmcnt(0)
	v_add_f32_e32 v15, v15, v3
.LBB327_264:
	s_or_b64 exec, exec, s[6:7]
	s_waitcnt lgkmcnt(0)
	v_add_f32_e32 v2, v2, v0
.LBB327_265:
	s_or_b64 exec, exec, s[2:3]
	s_barrier
	s_and_saveexec_b64 s[0:1], vcc
	s_cbranch_execz .LBB327_276
; %bb.266:
	s_mov_b32 s0, 0x7f800000
	v_and_b32_e32 v0, 0x7f800000, v2
	v_cmp_ne_u32_e32 vcc, s0, v0
                                        ; implicit-def: $vgpr0
	s_and_saveexec_b64 s[0:1], vcc
	s_xor_b64 s[0:1], exec, s[0:1]
; %bb.267:
	v_bfe_u32 v0, v2, 16, 1
	s_movk_i32 s2, 0x7fff
	v_add3_u32 v0, v2, v0, s2
                                        ; implicit-def: $vgpr2
; %bb.268:
	s_andn2_saveexec_b64 s[0:1], s[0:1]
; %bb.269:
	v_mov_b32_e32 v0, 0
	v_or_b32_e32 v3, 0x10000, v2
	v_cmp_eq_u32_sdwa vcc, v2, v0 src0_sel:WORD_0 src1_sel:DWORD
	s_nop 1
	v_cndmask_b32_e32 v0, v3, v2, vcc
; %bb.270:
	s_or_b64 exec, exec, s[0:1]
	s_mul_i32 s0, s8, 0x60
	s_ashr_i32 s1, s0, 31
	s_lshl_b64 s[0:1], s[0:1], 1
	s_add_u32 s3, s26, s0
	s_mul_i32 s0, s25, s24
	s_addc_u32 s5, s27, s1
	s_ashr_i32 s1, s0, 31
	s_lshl_b64 s[0:1], s[0:1], 1
	s_add_u32 s3, s3, s0
	s_mul_i32 s0, s4, 0x60
	s_addc_u32 s5, s5, s1
	s_ashr_i32 s1, s0, 31
	s_lshl_b64 s[0:1], s[0:1], 1
	s_movk_i32 s2, 0x60
	s_add_u32 s0, s3, s0
	s_addc_u32 s1, s5, s1
	v_cmp_gt_u32_e32 vcc, s2, v1
	global_store_short_d16_hi v10, v0, s[0:1]
	s_and_b64 exec, exec, vcc
	s_cbranch_execz .LBB327_276
; %bb.271:
	s_mov_b32 s2, 0x7f800000
	v_and_b32_e32 v0, 0x7f800000, v15
	v_mov_b32_e32 v11, 0
	v_cmp_ne_u32_e32 vcc, s2, v0
                                        ; implicit-def: $vgpr2
	s_and_saveexec_b64 s[2:3], vcc
	s_xor_b64 s[2:3], exec, s[2:3]
; %bb.272:
	v_bfe_u32 v0, v15, 16, 1
	s_movk_i32 s4, 0x7fff
	v_add3_u32 v2, v15, v0, s4
                                        ; implicit-def: $vgpr15
; %bb.273:
	s_or_saveexec_b64 s[2:3], s[2:3]
	v_lshl_add_u64 v[0:1], s[0:1], 0, v[10:11]
	s_xor_b64 exec, exec, s[2:3]
; %bb.274:
	v_mov_b32_e32 v2, 0
	v_or_b32_e32 v3, 0x10000, v15
	v_cmp_eq_u32_sdwa vcc, v15, v2 src0_sel:WORD_0 src1_sel:DWORD
	s_nop 1
	v_cndmask_b32_e32 v2, v3, v15, vcc
; %bb.275:
	s_or_b64 exec, exec, s[2:3]
	global_store_short_d16_hi v[0:1], v2, off offset:128
.LBB327_276:
	s_endpgm
	.section	.rodata,"a",@progbits
	.p2align	6, 0x0
	.amdhsa_kernel _ZN4vllm25paged_attention_v2_kernelI14__hip_bfloat16hLi96ELi8ELi128ELNS_18Fp8KVCacheDataTypeE1ELb0ELi512EEEvPfS3_PT_PKS4_PKT0_SA_ifPKiSC_iPKfiiiSE_SE_iiiii
		.amdhsa_group_segment_fixed_size 208
		.amdhsa_private_segment_fixed_size 0
		.amdhsa_kernarg_size 400
		.amdhsa_user_sgpr_count 2
		.amdhsa_user_sgpr_dispatch_ptr 0
		.amdhsa_user_sgpr_queue_ptr 0
		.amdhsa_user_sgpr_kernarg_segment_ptr 1
		.amdhsa_user_sgpr_dispatch_id 0
		.amdhsa_user_sgpr_kernarg_preload_length 0
		.amdhsa_user_sgpr_kernarg_preload_offset 0
		.amdhsa_user_sgpr_private_segment_size 0
		.amdhsa_uses_dynamic_stack 0
		.amdhsa_enable_private_segment 0
		.amdhsa_system_sgpr_workgroup_id_x 1
		.amdhsa_system_sgpr_workgroup_id_y 1
		.amdhsa_system_sgpr_workgroup_id_z 1
		.amdhsa_system_sgpr_workgroup_info 0
		.amdhsa_system_vgpr_workitem_id 0
		.amdhsa_next_free_vgpr 47
		.amdhsa_next_free_sgpr 49
		.amdhsa_accum_offset 48
		.amdhsa_reserve_vcc 1
		.amdhsa_float_round_mode_32 0
		.amdhsa_float_round_mode_16_64 0
		.amdhsa_float_denorm_mode_32 3
		.amdhsa_float_denorm_mode_16_64 3
		.amdhsa_dx10_clamp 1
		.amdhsa_ieee_mode 1
		.amdhsa_fp16_overflow 0
		.amdhsa_tg_split 0
		.amdhsa_exception_fp_ieee_invalid_op 0
		.amdhsa_exception_fp_denorm_src 0
		.amdhsa_exception_fp_ieee_div_zero 0
		.amdhsa_exception_fp_ieee_overflow 0
		.amdhsa_exception_fp_ieee_underflow 0
		.amdhsa_exception_fp_ieee_inexact 0
		.amdhsa_exception_int_div_zero 0
	.end_amdhsa_kernel
	.section	.text._ZN4vllm25paged_attention_v2_kernelI14__hip_bfloat16hLi96ELi8ELi128ELNS_18Fp8KVCacheDataTypeE1ELb0ELi512EEEvPfS3_PT_PKS4_PKT0_SA_ifPKiSC_iPKfiiiSE_SE_iiiii,"axG",@progbits,_ZN4vllm25paged_attention_v2_kernelI14__hip_bfloat16hLi96ELi8ELi128ELNS_18Fp8KVCacheDataTypeE1ELb0ELi512EEEvPfS3_PT_PKS4_PKT0_SA_ifPKiSC_iPKfiiiSE_SE_iiiii,comdat
.Lfunc_end327:
	.size	_ZN4vllm25paged_attention_v2_kernelI14__hip_bfloat16hLi96ELi8ELi128ELNS_18Fp8KVCacheDataTypeE1ELb0ELi512EEEvPfS3_PT_PKS4_PKT0_SA_ifPKiSC_iPKfiiiSE_SE_iiiii, .Lfunc_end327-_ZN4vllm25paged_attention_v2_kernelI14__hip_bfloat16hLi96ELi8ELi128ELNS_18Fp8KVCacheDataTypeE1ELb0ELi512EEEvPfS3_PT_PKS4_PKT0_SA_ifPKiSC_iPKfiiiSE_SE_iiiii
                                        ; -- End function
	.section	.AMDGPU.csdata,"",@progbits
; Kernel info:
; codeLenInByte = 9168
; NumSgprs: 55
; NumVgprs: 47
; NumAgprs: 0
; TotalNumVgprs: 47
; ScratchSize: 0
; MemoryBound: 0
; FloatMode: 240
; IeeeMode: 1
; LDSByteSize: 208 bytes/workgroup (compile time only)
; SGPRBlocks: 6
; VGPRBlocks: 5
; NumSGPRsForWavesPerEU: 55
; NumVGPRsForWavesPerEU: 47
; AccumOffset: 48
; Occupancy: 8
; WaveLimiterHint : 1
; COMPUTE_PGM_RSRC2:SCRATCH_EN: 0
; COMPUTE_PGM_RSRC2:USER_SGPR: 2
; COMPUTE_PGM_RSRC2:TRAP_HANDLER: 0
; COMPUTE_PGM_RSRC2:TGID_X_EN: 1
; COMPUTE_PGM_RSRC2:TGID_Y_EN: 1
; COMPUTE_PGM_RSRC2:TGID_Z_EN: 1
; COMPUTE_PGM_RSRC2:TIDIG_COMP_CNT: 0
; COMPUTE_PGM_RSRC3_GFX90A:ACCUM_OFFSET: 11
; COMPUTE_PGM_RSRC3_GFX90A:TG_SPLIT: 0
	.section	.text._ZN4vllm25paged_attention_v2_kernelI14__hip_bfloat16hLi112ELi8ELi128ELNS_18Fp8KVCacheDataTypeE1ELb0ELi512EEEvPfS3_PT_PKS4_PKT0_SA_ifPKiSC_iPKfiiiSE_SE_iiiii,"axG",@progbits,_ZN4vllm25paged_attention_v2_kernelI14__hip_bfloat16hLi112ELi8ELi128ELNS_18Fp8KVCacheDataTypeE1ELb0ELi512EEEvPfS3_PT_PKS4_PKT0_SA_ifPKiSC_iPKfiiiSE_SE_iiiii,comdat
	.protected	_ZN4vllm25paged_attention_v2_kernelI14__hip_bfloat16hLi112ELi8ELi128ELNS_18Fp8KVCacheDataTypeE1ELb0ELi512EEEvPfS3_PT_PKS4_PKT0_SA_ifPKiSC_iPKfiiiSE_SE_iiiii ; -- Begin function _ZN4vllm25paged_attention_v2_kernelI14__hip_bfloat16hLi112ELi8ELi128ELNS_18Fp8KVCacheDataTypeE1ELb0ELi512EEEvPfS3_PT_PKS4_PKT0_SA_ifPKiSC_iPKfiiiSE_SE_iiiii
	.globl	_ZN4vllm25paged_attention_v2_kernelI14__hip_bfloat16hLi112ELi8ELi128ELNS_18Fp8KVCacheDataTypeE1ELb0ELi512EEEvPfS3_PT_PKS4_PKT0_SA_ifPKiSC_iPKfiiiSE_SE_iiiii
	.p2align	8
	.type	_ZN4vllm25paged_attention_v2_kernelI14__hip_bfloat16hLi112ELi8ELi128ELNS_18Fp8KVCacheDataTypeE1ELb0ELi512EEEvPfS3_PT_PKS4_PKT0_SA_ifPKiSC_iPKfiiiSE_SE_iiiii,@function
_ZN4vllm25paged_attention_v2_kernelI14__hip_bfloat16hLi112ELi8ELi128ELNS_18Fp8KVCacheDataTypeE1ELb0ELi512EEEvPfS3_PT_PKS4_PKT0_SA_ifPKiSC_iPKfiiiSE_SE_iiiii: ; @_ZN4vllm25paged_attention_v2_kernelI14__hip_bfloat16hLi112ELi8ELi128ELNS_18Fp8KVCacheDataTypeE1ELb0ELi512EEEvPfS3_PT_PKS4_PKT0_SA_ifPKiSC_iPKfiiiSE_SE_iiiii
; %bb.0:
	s_load_dwordx2 s[6:7], s[0:1], 0x40
	s_mov_b32 s28, s3
	s_ashr_i32 s29, s3, 31
	s_lshl_b64 s[8:9], s[28:29], 2
	s_waitcnt lgkmcnt(0)
	s_add_u32 s6, s6, s8
	s_addc_u32 s7, s7, s9
	s_load_dword s29, s[6:7], 0x0
	s_lshl_b32 s42, s4, 9
	s_waitcnt lgkmcnt(0)
	s_cmp_ge_i32 s42, s29
	s_cbranch_scc1 .LBB328_284
; %bb.1:
	s_load_dword s5, s[0:1], 0x90
	s_load_dwordx2 s[38:39], s[0:1], 0x30
	s_mov_b32 s43, 0
	s_waitcnt lgkmcnt(0)
	s_abs_i32 s7, s5
	s_abs_i32 s3, s38
	v_cvt_f32_u32_e32 v1, s3
	s_sub_i32 s8, 0, s3
	s_xor_b32 s6, s5, s38
	s_ashr_i32 s6, s6, 31
	v_rcp_iflag_f32_e32 v1, v1
	s_nop 0
	v_mul_f32_e32 v1, 0x4f7ffffe, v1
	v_cvt_u32_f32_e32 v1, v1
	s_nop 0
	v_readfirstlane_b32 s9, v1
	s_mul_i32 s8, s8, s9
	s_mul_hi_u32 s8, s9, s8
	s_add_i32 s9, s9, s8
	s_mul_hi_u32 s8, s7, s9
	s_mul_i32 s9, s8, s3
	s_sub_i32 s7, s7, s9
	s_add_i32 s10, s8, 1
	s_sub_i32 s9, s7, s3
	s_cmp_ge_u32 s7, s3
	s_cselect_b32 s8, s10, s8
	s_cselect_b32 s7, s9, s7
	s_add_i32 s9, s8, 1
	s_cmp_ge_u32 s7, s3
	s_cselect_b32 s3, s9, s8
	s_xor_b32 s3, s3, s6
	s_sub_i32 s10, s3, s6
	s_abs_i32 s8, s10
	v_cvt_f32_u32_e32 v1, s8
	s_load_dwordx2 s[6:7], s[0:1], 0x50
	s_sub_i32 s3, 0, s8
	s_abs_i32 s9, s2
	v_rcp_iflag_f32_e32 v1, v1
	s_nop 0
	v_mul_f32_e32 v1, 0x4f7ffffe, v1
	v_cvt_u32_f32_e32 v1, v1
	s_nop 0
	v_readfirstlane_b32 s11, v1
	s_mul_i32 s3, s3, s11
	s_mul_hi_u32 s3, s11, s3
	s_add_i32 s11, s11, s3
	s_waitcnt lgkmcnt(0)
	s_cmp_eq_u64 s[6:7], 0
	s_mul_hi_u32 s12, s9, s11
	s_cbranch_scc1 .LBB328_3
; %bb.2:
	s_ashr_i32 s3, s2, 31
	s_lshl_b64 s[14:15], s[2:3], 2
	s_add_u32 s6, s6, s14
	s_addc_u32 s7, s7, s15
	s_load_dword s43, s[6:7], 0x0
.LBB328_3:
	s_load_dwordx4 s[16:19], s[0:1], 0x58
	s_movk_i32 s3, 0x70
	s_ashr_i32 s13, s2, 31
	s_ashr_i32 s14, s10, 31
	v_and_b32_e32 v2, 7, v0
	s_mul_i32 s24, s2, 0x70
	v_cmp_gt_u32_e64 s[10:11], s3, v0
	v_lshlrev_b32_e32 v10, 1, v0
	s_and_saveexec_b64 s[6:7], s[10:11]
	s_cbranch_execz .LBB328_5
; %bb.4:
	s_load_dwordx2 s[20:21], s[0:1], 0x18
	s_waitcnt lgkmcnt(0)
	s_mul_i32 s22, s28, s16
	s_ashr_i32 s23, s22, 31
	s_lshl_b64 s[22:23], s[22:23], 1
	v_lshrrev_b32_e32 v3, 2, v0
	s_add_u32 s3, s20, s22
	s_addc_u32 s15, s21, s23
	s_ashr_i32 s25, s24, 31
	s_lshl_b64 s[20:21], s[24:25], 1
	s_add_u32 s20, s3, s20
	s_addc_u32 s21, s15, s21
	global_load_ushort v1, v10, s[20:21]
	v_and_b32_e32 v3, 0xfe, v3
	v_mad_u32_u24 v3, v2, 28, v3
	s_waitcnt vmcnt(0)
	ds_write_b16 v3, v1
.LBB328_5:
	s_or_b64 exec, exec, s[6:7]
	s_add_i32 s3, s29, 7
	s_ashr_i32 s6, s3, 31
	s_lshr_b32 s6, s6, 29
	s_add_i32 s3, s3, s6
	s_lshl_b32 s38, s4, 6
	s_mul_i32 s7, s12, s8
	s_ashr_i32 s3, s3, 3
	s_add_i32 s6, s38, 64
	s_sub_i32 s7, s9, s7
	s_min_i32 s33, s6, s3
	s_xor_b32 s6, s13, s14
	s_add_i32 s9, s12, 1
	s_sub_i32 s13, s7, s8
	s_cmp_ge_u32 s7, s8
	s_cselect_b32 s9, s9, s12
	s_cselect_b32 s7, s13, s7
	s_add_i32 s12, s9, 1
	s_cmp_ge_u32 s7, s8
	s_load_dwordx2 s[30:31], s[0:1], 0x38
	s_load_dword s8, s[0:1], 0x48
	v_lshrrev_b32_e32 v14, 6, v0
	s_cselect_b32 s7, s12, s9
	s_xor_b32 s7, s7, s6
	v_or_b32_e32 v12, s38, v14
	s_waitcnt lgkmcnt(0)
	s_mul_i32 s34, s28, s8
	s_sub_i32 s16, s7, s6
	s_ashr_i32 s35, s34, 31
	v_cmp_gt_i32_e64 s[6:7], s33, v12
	v_cmp_le_i32_e32 vcc, s33, v12
	v_mbcnt_lo_u32_b32 v6, -1, 0
	s_barrier
	s_waitcnt lgkmcnt(0)
                                        ; implicit-def: $sgpr19
                                        ; implicit-def: $vgpr15
                                        ; implicit-def: $vgpr16
	s_and_saveexec_b64 s[8:9], vcc
	s_xor_b64 s[8:9], exec, s[8:9]
; %bb.6:
	v_mbcnt_hi_u32_b32 v15, -1, v6
	v_and_b32_e32 v1, 64, v15
	v_add_u32_e32 v16, 64, v1
	s_mov_b32 s19, 0xff7fffff
                                        ; implicit-def: $vgpr2
                                        ; implicit-def: $vgpr6
; %bb.7:
	s_or_saveexec_b64 s[40:41], s[8:9]
	s_load_dwordx4 s[20:23], s[0:1], 0x0
	s_load_dwordx2 s[26:27], s[0:1], 0x10
	s_load_dword s25, s[0:1], 0x98
	s_load_dwordx2 s[36:37], s[0:1], 0x28
	s_load_dwordx4 s[12:15], s[0:1], 0x68
	v_mov_b32_e32 v30, s19
	s_mul_i32 s16, s16, s18
	v_ashrrev_i32_e32 v13, 31, v12
	v_lshlrev_b32_e32 v11, 3, v14
	s_xor_b64 exec, exec, s[40:41]
	s_cbranch_execz .LBB328_69
; %bb.8:
	v_mul_u32_u24_e32 v1, 28, v2
	ds_read2_b32 v[8:9], v1 offset1:1
	ds_read2_b32 v[22:23], v1 offset0:2 offset1:3
	ds_read2_b32 v[26:27], v1 offset0:4 offset1:5
	ds_read_b32 v15, v1 offset:24
	s_load_dwordx2 s[0:1], s[0:1], 0x20
	s_ashr_i32 s8, s16, 31
	v_bfe_u32 v7, v0, 3, 3
	v_mov_b32_e32 v3, 0
	s_waitcnt lgkmcnt(0)
	v_lshlrev_b32_e32 v28, 16, v15
	v_and_b32_e32 v29, 0xffff0000, v15
	v_mbcnt_hi_u32_b32 v15, -1, v6
	v_and_b32_e32 v6, 64, v15
	v_add_u32_e32 v16, 64, v6
	v_xor_b32_e32 v6, 4, v15
	v_cmp_lt_i32_e32 vcc, v6, v16
	s_add_u32 s0, s0, s16
	v_lshlrev_b32_e32 v4, 4, v7
	v_cndmask_b32_e32 v6, v15, v6, vcc
	v_lshlrev_b32_e32 v31, 2, v6
	v_xor_b32_e32 v6, 2, v15
	v_cmp_lt_i32_e32 vcc, v6, v16
	s_addc_u32 s1, s1, s8
	v_mov_b32_e32 v5, v3
	v_cndmask_b32_e32 v6, v15, v6, vcc
	v_lshlrev_b32_e32 v32, 2, v6
	v_xor_b32_e32 v6, 1, v15
	v_cmp_lt_i32_e32 vcc, v6, v16
	s_load_dword s45, s[12:13], 0x0
	v_lshl_add_u64 v[4:5], s[0:1], 0, v[4:5]
	v_cndmask_b32_e32 v6, v15, v6, vcc
	s_sub_i32 s46, 1, s29
	s_lshl_b64 s[0:1], s[34:35], 2
	v_lshlrev_b32_e32 v33, 2, v6
	v_lshlrev_b32_e32 v6, 2, v7
	s_add_u32 s0, s30, s0
	v_lshl_or_b32 v6, v14, 5, v6
	s_addc_u32 s1, s31, s1
	s_mov_b32 s44, s17
	v_lshlrev_b32_e32 v1, 16, v8
	v_and_b32_e32 v17, 0xffff0000, v8
	v_lshlrev_b32_e32 v18, 16, v9
	v_and_b32_e32 v19, 0xffff0000, v9
	;; [unrolled: 2-line block ×6, first 2 shown]
	v_cmp_eq_u32_e32 vcc, 0, v2
	v_cmp_neq_f32_e64 s[8:9], s43, 0
	v_add3_u32 v34, s42, v11, v7
	v_add_u32_e32 v35, 0xf0, v6
	v_lshl_add_u64 v[6:7], v[12:13], 2, s[0:1]
	s_mov_b64 s[12:13], 0
	v_mov_b32_e32 v30, 0xff7fffff
	s_mov_b32 s47, 0x7f800000
	s_movk_i32 s48, 0x7fff
	v_mov_b32_e32 v36, v12
	s_branch .LBB328_10
.LBB328_9:                              ;   in Loop: Header=BB328_10 Depth=1
	s_or_b64 exec, exec, s[18:19]
	v_add_u32_e32 v36, 2, v36
	v_cmp_le_i32_e64 s[0:1], s33, v36
	v_add_u32_e32 v34, 16, v34
	v_add_u32_e32 v35, 64, v35
	s_or_b64 s[12:13], s[0:1], s[12:13]
	v_lshl_add_u64 v[6:7], v[6:7], 0, 8
	s_andn2_b64 exec, exec, s[12:13]
	s_cbranch_execz .LBB328_68
.LBB328_10:                             ; =>This Inner Loop Header: Depth=1
	global_load_dword v8, v[6:7], off
	s_waitcnt vmcnt(0) lgkmcnt(0)
	v_mad_i64_i32 v[8:9], s[0:1], v8, s44, v[4:5]
	v_lshl_add_u64 v[8:9], v[8:9], 0, v[2:3]
	global_load_ubyte v37, v[8:9], off
	s_waitcnt vmcnt(0)
	v_cvt_f32_fp8_sdwa v37, v37 src0_sel:BYTE_0
	s_waitcnt lgkmcnt(0)
	v_mul_f32_e32 v38, s45, v37
	v_and_b32_e32 v37, 0x7f800000, v38
	v_cmp_ne_u32_e64 s[0:1], s47, v37
                                        ; implicit-def: $vgpr37
	s_and_saveexec_b64 s[18:19], s[0:1]
	s_xor_b64 s[0:1], exec, s[18:19]
; %bb.11:                               ;   in Loop: Header=BB328_10 Depth=1
	v_bfe_u32 v37, v38, 16, 1
	v_add3_u32 v37, v38, v37, s48
                                        ; implicit-def: $vgpr38
; %bb.12:                               ;   in Loop: Header=BB328_10 Depth=1
	s_andn2_saveexec_b64 s[18:19], s[0:1]
; %bb.13:                               ;   in Loop: Header=BB328_10 Depth=1
	v_or_b32_e32 v37, 0x10000, v38
	v_cmp_eq_u32_sdwa s[0:1], v38, v3 src0_sel:WORD_0 src1_sel:DWORD
	s_nop 1
	v_cndmask_b32_e64 v37, v37, v38, s[0:1]
; %bb.14:                               ;   in Loop: Header=BB328_10 Depth=1
	s_or_b64 exec, exec, s[18:19]
	global_load_ubyte v38, v[8:9], off offset:8
	s_waitcnt vmcnt(0)
	v_cvt_f32_fp8_sdwa v38, v38 src0_sel:BYTE_0
	s_nop 0
	v_mul_f32_e32 v39, s45, v38
	v_and_b32_e32 v38, 0x7f800000, v39
	v_cmp_ne_u32_e64 s[0:1], s47, v38
                                        ; implicit-def: $vgpr38
	s_and_saveexec_b64 s[18:19], s[0:1]
	s_xor_b64 s[0:1], exec, s[18:19]
; %bb.15:                               ;   in Loop: Header=BB328_10 Depth=1
	v_bfe_u32 v38, v39, 16, 1
	v_add3_u32 v38, v39, v38, s48
                                        ; implicit-def: $vgpr39
; %bb.16:                               ;   in Loop: Header=BB328_10 Depth=1
	s_andn2_saveexec_b64 s[18:19], s[0:1]
; %bb.17:                               ;   in Loop: Header=BB328_10 Depth=1
	v_or_b32_e32 v38, 0x10000, v39
	v_cmp_eq_u32_sdwa s[0:1], v39, v3 src0_sel:WORD_0 src1_sel:DWORD
	s_nop 1
	v_cndmask_b32_e64 v38, v38, v39, s[0:1]
; %bb.18:                               ;   in Loop: Header=BB328_10 Depth=1
	s_or_b64 exec, exec, s[18:19]
	global_load_ubyte v39, v[8:9], off offset:128
	s_waitcnt vmcnt(0)
	v_cvt_f32_fp8_sdwa v39, v39 src0_sel:BYTE_0
	s_nop 0
	v_mul_f32_e32 v40, s45, v39
	v_and_b32_e32 v39, 0x7f800000, v40
	v_cmp_ne_u32_e64 s[0:1], s47, v39
                                        ; implicit-def: $vgpr39
	s_and_saveexec_b64 s[18:19], s[0:1]
	s_xor_b64 s[0:1], exec, s[18:19]
; %bb.19:                               ;   in Loop: Header=BB328_10 Depth=1
	v_bfe_u32 v39, v40, 16, 1
	v_add3_u32 v39, v40, v39, s48
                                        ; implicit-def: $vgpr40
; %bb.20:                               ;   in Loop: Header=BB328_10 Depth=1
	s_andn2_saveexec_b64 s[18:19], s[0:1]
; %bb.21:                               ;   in Loop: Header=BB328_10 Depth=1
	v_or_b32_e32 v39, 0x10000, v40
	v_cmp_eq_u32_sdwa s[0:1], v40, v3 src0_sel:WORD_0 src1_sel:DWORD
	s_nop 1
	v_cndmask_b32_e64 v39, v39, v40, s[0:1]
; %bb.22:                               ;   in Loop: Header=BB328_10 Depth=1
	s_or_b64 exec, exec, s[18:19]
	global_load_ubyte v40, v[8:9], off offset:136
	s_waitcnt vmcnt(0)
	v_cvt_f32_fp8_sdwa v40, v40 src0_sel:BYTE_0
	s_nop 0
	v_mul_f32_e32 v41, s45, v40
	v_and_b32_e32 v40, 0x7f800000, v41
	v_cmp_ne_u32_e64 s[0:1], s47, v40
                                        ; implicit-def: $vgpr40
	s_and_saveexec_b64 s[18:19], s[0:1]
	s_xor_b64 s[0:1], exec, s[18:19]
; %bb.23:                               ;   in Loop: Header=BB328_10 Depth=1
	v_bfe_u32 v40, v41, 16, 1
	v_add3_u32 v40, v41, v40, s48
                                        ; implicit-def: $vgpr41
; %bb.24:                               ;   in Loop: Header=BB328_10 Depth=1
	s_andn2_saveexec_b64 s[18:19], s[0:1]
; %bb.25:                               ;   in Loop: Header=BB328_10 Depth=1
	v_or_b32_e32 v40, 0x10000, v41
	v_cmp_eq_u32_sdwa s[0:1], v41, v3 src0_sel:WORD_0 src1_sel:DWORD
	s_nop 1
	v_cndmask_b32_e64 v40, v40, v41, s[0:1]
; %bb.26:                               ;   in Loop: Header=BB328_10 Depth=1
	s_or_b64 exec, exec, s[18:19]
	global_load_ubyte v41, v[8:9], off offset:256
	s_waitcnt vmcnt(0)
	v_cvt_f32_fp8_sdwa v41, v41 src0_sel:BYTE_0
	s_nop 0
	v_mul_f32_e32 v42, s45, v41
	v_and_b32_e32 v41, 0x7f800000, v42
	v_cmp_ne_u32_e64 s[0:1], s47, v41
                                        ; implicit-def: $vgpr41
	s_and_saveexec_b64 s[18:19], s[0:1]
	s_xor_b64 s[0:1], exec, s[18:19]
; %bb.27:                               ;   in Loop: Header=BB328_10 Depth=1
	v_bfe_u32 v41, v42, 16, 1
	v_add3_u32 v41, v42, v41, s48
                                        ; implicit-def: $vgpr42
; %bb.28:                               ;   in Loop: Header=BB328_10 Depth=1
	s_andn2_saveexec_b64 s[18:19], s[0:1]
; %bb.29:                               ;   in Loop: Header=BB328_10 Depth=1
	v_or_b32_e32 v41, 0x10000, v42
	v_cmp_eq_u32_sdwa s[0:1], v42, v3 src0_sel:WORD_0 src1_sel:DWORD
	s_nop 1
	v_cndmask_b32_e64 v41, v41, v42, s[0:1]
; %bb.30:                               ;   in Loop: Header=BB328_10 Depth=1
	s_or_b64 exec, exec, s[18:19]
	global_load_ubyte v42, v[8:9], off offset:264
	s_waitcnt vmcnt(0)
	v_cvt_f32_fp8_sdwa v42, v42 src0_sel:BYTE_0
	s_nop 0
	v_mul_f32_e32 v43, s45, v42
	v_and_b32_e32 v42, 0x7f800000, v43
	v_cmp_ne_u32_e64 s[0:1], s47, v42
                                        ; implicit-def: $vgpr42
	s_and_saveexec_b64 s[18:19], s[0:1]
	s_xor_b64 s[0:1], exec, s[18:19]
; %bb.31:                               ;   in Loop: Header=BB328_10 Depth=1
	v_bfe_u32 v42, v43, 16, 1
	v_add3_u32 v42, v43, v42, s48
                                        ; implicit-def: $vgpr43
; %bb.32:                               ;   in Loop: Header=BB328_10 Depth=1
	s_andn2_saveexec_b64 s[18:19], s[0:1]
; %bb.33:                               ;   in Loop: Header=BB328_10 Depth=1
	v_or_b32_e32 v42, 0x10000, v43
	v_cmp_eq_u32_sdwa s[0:1], v43, v3 src0_sel:WORD_0 src1_sel:DWORD
	s_nop 1
	v_cndmask_b32_e64 v42, v42, v43, s[0:1]
; %bb.34:                               ;   in Loop: Header=BB328_10 Depth=1
	s_or_b64 exec, exec, s[18:19]
	global_load_ubyte v43, v[8:9], off offset:384
	s_waitcnt vmcnt(0)
	v_cvt_f32_fp8_sdwa v43, v43 src0_sel:BYTE_0
	s_nop 0
	v_mul_f32_e32 v44, s45, v43
	v_and_b32_e32 v43, 0x7f800000, v44
	v_cmp_ne_u32_e64 s[0:1], s47, v43
                                        ; implicit-def: $vgpr43
	s_and_saveexec_b64 s[18:19], s[0:1]
	s_xor_b64 s[0:1], exec, s[18:19]
; %bb.35:                               ;   in Loop: Header=BB328_10 Depth=1
	v_bfe_u32 v43, v44, 16, 1
	v_add3_u32 v43, v44, v43, s48
                                        ; implicit-def: $vgpr44
; %bb.36:                               ;   in Loop: Header=BB328_10 Depth=1
	s_andn2_saveexec_b64 s[18:19], s[0:1]
; %bb.37:                               ;   in Loop: Header=BB328_10 Depth=1
	v_or_b32_e32 v43, 0x10000, v44
	v_cmp_eq_u32_sdwa s[0:1], v44, v3 src0_sel:WORD_0 src1_sel:DWORD
	s_nop 1
	v_cndmask_b32_e64 v43, v43, v44, s[0:1]
; %bb.38:                               ;   in Loop: Header=BB328_10 Depth=1
	s_or_b64 exec, exec, s[18:19]
	global_load_ubyte v44, v[8:9], off offset:392
	s_waitcnt vmcnt(0)
	v_cvt_f32_fp8_sdwa v44, v44 src0_sel:BYTE_0
	s_nop 0
	v_mul_f32_e32 v45, s45, v44
	v_and_b32_e32 v44, 0x7f800000, v45
	v_cmp_ne_u32_e64 s[0:1], s47, v44
                                        ; implicit-def: $vgpr44
	s_and_saveexec_b64 s[18:19], s[0:1]
	s_xor_b64 s[0:1], exec, s[18:19]
; %bb.39:                               ;   in Loop: Header=BB328_10 Depth=1
	v_bfe_u32 v44, v45, 16, 1
	v_add3_u32 v44, v45, v44, s48
                                        ; implicit-def: $vgpr45
; %bb.40:                               ;   in Loop: Header=BB328_10 Depth=1
	s_andn2_saveexec_b64 s[18:19], s[0:1]
; %bb.41:                               ;   in Loop: Header=BB328_10 Depth=1
	v_or_b32_e32 v44, 0x10000, v45
	v_cmp_eq_u32_sdwa s[0:1], v45, v3 src0_sel:WORD_0 src1_sel:DWORD
	s_nop 1
	v_cndmask_b32_e64 v44, v44, v45, s[0:1]
; %bb.42:                               ;   in Loop: Header=BB328_10 Depth=1
	s_or_b64 exec, exec, s[18:19]
	global_load_ubyte v45, v[8:9], off offset:512
	s_waitcnt vmcnt(0)
	v_cvt_f32_fp8_sdwa v45, v45 src0_sel:BYTE_0
	s_nop 0
	v_mul_f32_e32 v46, s45, v45
	v_and_b32_e32 v45, 0x7f800000, v46
	v_cmp_ne_u32_e64 s[0:1], s47, v45
                                        ; implicit-def: $vgpr45
	s_and_saveexec_b64 s[18:19], s[0:1]
	s_xor_b64 s[0:1], exec, s[18:19]
; %bb.43:                               ;   in Loop: Header=BB328_10 Depth=1
	v_bfe_u32 v45, v46, 16, 1
	v_add3_u32 v45, v46, v45, s48
                                        ; implicit-def: $vgpr46
; %bb.44:                               ;   in Loop: Header=BB328_10 Depth=1
	s_andn2_saveexec_b64 s[18:19], s[0:1]
; %bb.45:                               ;   in Loop: Header=BB328_10 Depth=1
	v_or_b32_e32 v45, 0x10000, v46
	v_cmp_eq_u32_sdwa s[0:1], v46, v3 src0_sel:WORD_0 src1_sel:DWORD
	s_nop 1
	v_cndmask_b32_e64 v45, v45, v46, s[0:1]
; %bb.46:                               ;   in Loop: Header=BB328_10 Depth=1
	s_or_b64 exec, exec, s[18:19]
	global_load_ubyte v46, v[8:9], off offset:520
	s_waitcnt vmcnt(0)
	v_cvt_f32_fp8_sdwa v46, v46 src0_sel:BYTE_0
	s_nop 0
	v_mul_f32_e32 v47, s45, v46
	v_and_b32_e32 v46, 0x7f800000, v47
	v_cmp_ne_u32_e64 s[0:1], s47, v46
                                        ; implicit-def: $vgpr46
	s_and_saveexec_b64 s[18:19], s[0:1]
	s_xor_b64 s[0:1], exec, s[18:19]
; %bb.47:                               ;   in Loop: Header=BB328_10 Depth=1
	v_bfe_u32 v46, v47, 16, 1
	v_add3_u32 v46, v47, v46, s48
                                        ; implicit-def: $vgpr47
; %bb.48:                               ;   in Loop: Header=BB328_10 Depth=1
	s_andn2_saveexec_b64 s[18:19], s[0:1]
; %bb.49:                               ;   in Loop: Header=BB328_10 Depth=1
	v_or_b32_e32 v46, 0x10000, v47
	v_cmp_eq_u32_sdwa s[0:1], v47, v3 src0_sel:WORD_0 src1_sel:DWORD
	s_nop 1
	v_cndmask_b32_e64 v46, v46, v47, s[0:1]
; %bb.50:                               ;   in Loop: Header=BB328_10 Depth=1
	s_or_b64 exec, exec, s[18:19]
	global_load_ubyte v47, v[8:9], off offset:640
	s_waitcnt vmcnt(0)
	v_cvt_f32_fp8_sdwa v47, v47 src0_sel:BYTE_0
	s_nop 0
	v_mul_f32_e32 v48, s45, v47
	v_and_b32_e32 v47, 0x7f800000, v48
	v_cmp_ne_u32_e64 s[0:1], s47, v47
                                        ; implicit-def: $vgpr47
	s_and_saveexec_b64 s[18:19], s[0:1]
	s_xor_b64 s[0:1], exec, s[18:19]
; %bb.51:                               ;   in Loop: Header=BB328_10 Depth=1
	v_bfe_u32 v47, v48, 16, 1
	v_add3_u32 v47, v48, v47, s48
                                        ; implicit-def: $vgpr48
; %bb.52:                               ;   in Loop: Header=BB328_10 Depth=1
	s_andn2_saveexec_b64 s[18:19], s[0:1]
; %bb.53:                               ;   in Loop: Header=BB328_10 Depth=1
	v_or_b32_e32 v47, 0x10000, v48
	v_cmp_eq_u32_sdwa s[0:1], v48, v3 src0_sel:WORD_0 src1_sel:DWORD
	s_nop 1
	v_cndmask_b32_e64 v47, v47, v48, s[0:1]
; %bb.54:                               ;   in Loop: Header=BB328_10 Depth=1
	s_or_b64 exec, exec, s[18:19]
	global_load_ubyte v48, v[8:9], off offset:648
	s_waitcnt vmcnt(0)
	v_cvt_f32_fp8_sdwa v48, v48 src0_sel:BYTE_0
	s_nop 0
	v_mul_f32_e32 v49, s45, v48
	v_and_b32_e32 v48, 0x7f800000, v49
	v_cmp_ne_u32_e64 s[0:1], s47, v48
                                        ; implicit-def: $vgpr48
	s_and_saveexec_b64 s[18:19], s[0:1]
	s_xor_b64 s[0:1], exec, s[18:19]
; %bb.55:                               ;   in Loop: Header=BB328_10 Depth=1
	v_bfe_u32 v48, v49, 16, 1
	v_add3_u32 v48, v49, v48, s48
                                        ; implicit-def: $vgpr49
; %bb.56:                               ;   in Loop: Header=BB328_10 Depth=1
	s_andn2_saveexec_b64 s[18:19], s[0:1]
; %bb.57:                               ;   in Loop: Header=BB328_10 Depth=1
	v_or_b32_e32 v48, 0x10000, v49
	v_cmp_eq_u32_sdwa s[0:1], v49, v3 src0_sel:WORD_0 src1_sel:DWORD
	s_nop 1
	v_cndmask_b32_e64 v48, v48, v49, s[0:1]
; %bb.58:                               ;   in Loop: Header=BB328_10 Depth=1
	s_or_b64 exec, exec, s[18:19]
	global_load_ubyte v49, v[8:9], off offset:768
	s_waitcnt vmcnt(0)
	v_cvt_f32_fp8_sdwa v49, v49 src0_sel:BYTE_0
	s_nop 0
	v_mul_f32_e32 v50, s45, v49
	v_and_b32_e32 v49, 0x7f800000, v50
	v_cmp_ne_u32_e64 s[0:1], s47, v49
                                        ; implicit-def: $vgpr49
	s_and_saveexec_b64 s[18:19], s[0:1]
	s_xor_b64 s[0:1], exec, s[18:19]
; %bb.59:                               ;   in Loop: Header=BB328_10 Depth=1
	v_bfe_u32 v49, v50, 16, 1
	v_add3_u32 v49, v50, v49, s48
                                        ; implicit-def: $vgpr50
; %bb.60:                               ;   in Loop: Header=BB328_10 Depth=1
	s_andn2_saveexec_b64 s[18:19], s[0:1]
; %bb.61:                               ;   in Loop: Header=BB328_10 Depth=1
	v_or_b32_e32 v49, 0x10000, v50
	v_cmp_eq_u32_sdwa s[0:1], v50, v3 src0_sel:WORD_0 src1_sel:DWORD
	s_nop 1
	v_cndmask_b32_e64 v49, v49, v50, s[0:1]
; %bb.62:                               ;   in Loop: Header=BB328_10 Depth=1
	s_or_b64 exec, exec, s[18:19]
	global_load_ubyte v8, v[8:9], off offset:776
	s_waitcnt vmcnt(0)
	v_cvt_f32_fp8_sdwa v8, v8 src0_sel:BYTE_0
	s_nop 0
	v_mul_f32_e32 v9, s45, v8
	v_and_b32_e32 v8, 0x7f800000, v9
	v_cmp_ne_u32_e64 s[0:1], s47, v8
                                        ; implicit-def: $vgpr8
	s_and_saveexec_b64 s[18:19], s[0:1]
	s_xor_b64 s[0:1], exec, s[18:19]
; %bb.63:                               ;   in Loop: Header=BB328_10 Depth=1
	v_bfe_u32 v8, v9, 16, 1
	v_add3_u32 v8, v9, v8, s48
                                        ; implicit-def: $vgpr9
; %bb.64:                               ;   in Loop: Header=BB328_10 Depth=1
	s_andn2_saveexec_b64 s[18:19], s[0:1]
; %bb.65:                               ;   in Loop: Header=BB328_10 Depth=1
	v_or_b32_e32 v8, 0x10000, v9
	v_cmp_eq_u32_sdwa s[0:1], v9, v3 src0_sel:WORD_0 src1_sel:DWORD
	s_nop 1
	v_cndmask_b32_e64 v8, v8, v9, s[0:1]
; %bb.66:                               ;   in Loop: Header=BB328_10 Depth=1
	s_or_b64 exec, exec, s[18:19]
	v_and_b32_e32 v38, 0xffff0000, v38
	v_and_b32_e32 v37, 0xffff0000, v37
	v_mul_f32_e32 v38, v17, v38
	v_and_b32_e32 v39, 0xffff0000, v39
	v_fmac_f32_e32 v38, v1, v37
	v_and_b32_e32 v40, 0xffff0000, v40
	v_fmac_f32_e32 v38, v18, v39
	;; [unrolled: 2-line block ×12, first 2 shown]
	v_fmac_f32_e32 v38, v29, v8
	ds_bpermute_b32 v8, v31, v38
	s_waitcnt lgkmcnt(0)
	v_add_f32_e32 v8, v38, v8
	ds_bpermute_b32 v9, v32, v8
	s_waitcnt lgkmcnt(0)
	v_add_f32_e32 v8, v8, v9
	ds_bpermute_b32 v9, v33, v8
	s_and_saveexec_b64 s[18:19], vcc
	s_cbranch_execz .LBB328_9
; %bb.67:                               ;   in Loop: Header=BB328_10 Depth=1
	v_add_u32_e32 v37, s46, v34
	v_cvt_f32_i32_e32 v37, v37
	s_waitcnt lgkmcnt(0)
	v_add_f32_e32 v8, v8, v9
	v_cmp_gt_i32_e64 s[0:1], s29, v34
	v_max_f32_e32 v9, v30, v30
	v_mul_f32_e32 v37, s43, v37
	v_cndmask_b32_e64 v37, 0, v37, s[8:9]
	v_fmac_f32_e32 v37, s39, v8
	v_cndmask_b32_e64 v8, 0, v37, s[0:1]
	ds_write_b32 v35, v8
	v_max_f32_e32 v8, v9, v37
	v_cndmask_b32_e64 v30, v30, v8, s[0:1]
	s_branch .LBB328_9
.LBB328_68:
	s_or_b64 exec, exec, s[12:13]
.LBB328_69:
	s_or_b64 exec, exec, s[40:41]
	v_xor_b32_e32 v1, 32, v15
	v_cmp_lt_i32_e32 vcc, v1, v16
	v_xor_b32_e32 v4, 16, v15
	v_max_f32_e32 v2, v30, v30
	v_cndmask_b32_e32 v1, v15, v1, vcc
	v_lshlrev_b32_e32 v3, 2, v1
	ds_bpermute_b32 v1, v3, v30
	v_cmp_lt_i32_e32 vcc, v4, v16
	v_xor_b32_e32 v5, 8, v15
	s_waitcnt lgkmcnt(0)
	v_max_f32_e32 v1, v1, v1
	v_max_f32_e32 v1, v2, v1
	v_cndmask_b32_e32 v2, v15, v4, vcc
	v_lshlrev_b32_e32 v6, 2, v2
	ds_bpermute_b32 v2, v6, v1
	v_cmp_lt_i32_e32 vcc, v5, v16
	s_waitcnt lgkmcnt(0)
	v_max_f32_e32 v2, v2, v2
	v_max_f32_e32 v4, v1, v2
	v_cndmask_b32_e32 v1, v15, v5, vcc
	v_lshlrev_b32_e32 v7, 2, v1
	ds_bpermute_b32 v5, v7, v4
	v_and_b32_e32 v1, 63, v0
	v_cmp_eq_u32_e32 vcc, 0, v1
	v_lshlrev_b32_e32 v2, 2, v14
	s_and_saveexec_b64 s[0:1], vcc
	s_cbranch_execz .LBB328_71
; %bb.70:
	s_waitcnt lgkmcnt(0)
	v_max_f32_e32 v5, v5, v5
	v_max_f32_e32 v4, v4, v4
	;; [unrolled: 1-line block ×3, first 2 shown]
	ds_write_b32 v2, v4 offset:224
.LBB328_71:
	s_or_b64 exec, exec, s[0:1]
	v_cmp_gt_u32_e64 s[0:1], 2, v1
	v_mov_b32_e32 v4, 0xff7fffff
	s_waitcnt lgkmcnt(0)
	v_lshlrev_b32_e32 v5, 2, v1
	s_barrier
	s_and_saveexec_b64 s[8:9], s[0:1]
	s_cbranch_execz .LBB328_73
; %bb.72:
	ds_read_b32 v4, v5 offset:224
.LBB328_73:
	s_or_b64 exec, exec, s[8:9]
	v_xor_b32_e32 v8, 1, v15
	v_cmp_lt_i32_e64 s[8:9], v8, v16
	v_mov_b32_e32 v17, 0
	s_nop 0
	v_cndmask_b32_e64 v8, v15, v8, s[8:9]
	v_lshlrev_b32_e32 v8, 2, v8
	s_waitcnt lgkmcnt(0)
	ds_bpermute_b32 v9, v8, v4
	v_max_f32_e32 v4, v4, v4
	s_sub_i32 s8, s33, s38
	s_lshl_b32 s8, s8, 3
	s_add_i32 s8, s8, s42
	s_waitcnt lgkmcnt(0)
	v_max_f32_e32 v9, v9, v9
	v_max_f32_e32 v4, v4, v9
	v_lshlrev_b32_e32 v9, 2, v15
	v_and_b32_e32 v9, 0xffffff00, v9
	ds_bpermute_b32 v4, v9, v4
	s_min_i32 s41, s8, s29
	s_sub_i32 s40, s41, s42
	v_cmp_gt_i32_e64 s[8:9], s40, v0
	s_and_saveexec_b64 s[18:19], s[8:9]
	s_cbranch_execz .LBB328_77
; %bb.74:
	v_mov_b32_e32 v17, 0xf0
	v_lshl_add_u32 v18, v0, 2, v17
	s_mov_b64 s[38:39], 0
	v_mov_b32_e32 v17, 0
	v_mov_b32_e32 v19, v0
.LBB328_75:                             ; =>This Inner Loop Header: Depth=1
	ds_read_b32 v20, v18
	v_add_u32_e32 v19, 0x80, v19
	v_cmp_le_i32_e64 s[12:13], s40, v19
	s_or_b64 s[38:39], s[12:13], s[38:39]
	s_waitcnt lgkmcnt(0)
	v_sub_f32_e32 v20, v20, v4
	v_mul_f32_e32 v20, 0x3fb8aa3b, v20
	v_exp_f32_e32 v20, v20
	ds_write_b32 v18, v20
	v_add_f32_e32 v17, v17, v20
	v_add_u32_e32 v18, 0x200, v18
	s_andn2_b64 exec, exec, s[38:39]
	s_cbranch_execnz .LBB328_75
; %bb.76:
	s_or_b64 exec, exec, s[38:39]
.LBB328_77:
	s_or_b64 exec, exec, s[18:19]
	ds_bpermute_b32 v3, v3, v17
	s_waitcnt lgkmcnt(0)
	v_add_f32_e32 v3, v17, v3
	ds_bpermute_b32 v6, v6, v3
	s_waitcnt lgkmcnt(0)
	v_add_f32_e32 v3, v3, v6
	ds_bpermute_b32 v6, v7, v3
	v_xor_b32_e32 v7, 4, v15
	v_cmp_lt_i32_e64 s[12:13], v7, v16
	s_waitcnt lgkmcnt(0)
	v_add_f32_e32 v3, v3, v6
	v_cndmask_b32_e64 v7, v15, v7, s[12:13]
	v_lshlrev_b32_e32 v7, 2, v7
	ds_bpermute_b32 v6, v7, v3
	v_xor_b32_e32 v7, 2, v15
	v_cmp_lt_i32_e64 s[12:13], v7, v16
	s_waitcnt lgkmcnt(0)
	v_add_f32_e32 v3, v3, v6
	v_cndmask_b32_e64 v7, v15, v7, s[12:13]
	v_lshlrev_b32_e32 v6, 2, v7
	ds_bpermute_b32 v6, v6, v3
	s_waitcnt lgkmcnt(0)
	v_add_f32_e32 v3, v3, v6
	ds_bpermute_b32 v6, v8, v3
	s_waitcnt lgkmcnt(0)
	v_add_f32_e32 v3, v3, v6
	s_and_saveexec_b64 s[12:13], vcc
	s_cbranch_execz .LBB328_79
; %bb.78:
	ds_write_b32 v2, v3 offset:232
.LBB328_79:
	s_or_b64 exec, exec, s[12:13]
	s_waitcnt lgkmcnt(0)
	s_barrier
	s_and_saveexec_b64 s[12:13], s[0:1]
	s_cbranch_execz .LBB328_81
; %bb.80:
	ds_read_b32 v3, v5 offset:232
.LBB328_81:
	s_or_b64 exec, exec, s[12:13]
	s_waitcnt lgkmcnt(0)
	ds_bpermute_b32 v2, v8, v3
	s_waitcnt lgkmcnt(0)
	v_add_f32_e32 v2, v3, v2
	ds_bpermute_b32 v5, v9, v2
	s_and_saveexec_b64 s[0:1], s[8:9]
	s_cbranch_execz .LBB328_94
; %bb.82:
	s_waitcnt lgkmcnt(0)
	v_add_f32_e32 v2, 0x358637bd, v5
	v_div_scale_f32 v3, s[8:9], v2, v2, 1.0
	v_rcp_f32_e32 v6, v3
	v_div_scale_f32 v7, vcc, 1.0, v2, 1.0
	s_movk_i32 s8, 0x7f
	v_fma_f32 v8, -v3, v6, 1.0
	v_fmac_f32_e32 v6, v8, v6
	v_mul_f32_e32 v8, v7, v6
	v_fma_f32 v9, -v3, v8, v7
	v_fmac_f32_e32 v8, v9, v6
	v_fma_f32 v3, -v3, v8, v7
	v_div_fmas_f32 v3, v3, v6, v8
	v_div_fixup_f32 v2, v3, v2, 1.0
	v_xad_u32 v3, v0, -1, s41
	v_subrev_u32_e32 v6, s42, v3
	v_cmp_lt_u32_e32 vcc, s8, v6
	s_mov_b64 s[12:13], -1
	v_mov_b32_e32 v3, v0
	s_and_saveexec_b64 s[8:9], vcc
	s_cbranch_execz .LBB328_91
; %bb.83:
	v_lshrrev_b32_e32 v6, 7, v6
	v_add_u32_e32 v8, -1, v6
	v_lshrrev_b32_e32 v7, 1, v8
	v_mov_b32_e32 v3, v2
	v_add_u32_e32 v7, 1, v7
	v_cmp_lt_u32_e32 vcc, 13, v8
	v_mov_b32_e32 v15, 0
	s_and_saveexec_b64 s[12:13], vcc
	s_cbranch_execz .LBB328_87
; %bb.84:
	v_mov_b32_e32 v9, 0xf0
	v_and_b32_e32 v8, -8, v7
	v_lshl_add_u32 v9, v0, 2, v9
	s_mov_b32 s38, 0
	s_mov_b64 s[18:19], 0
.LBB328_85:                             ; =>This Inner Loop Header: Depth=1
	ds_read2st64_b32 v[16:17], v9 offset1:2
	ds_read2st64_b32 v[18:19], v9 offset0:4 offset1:6
	ds_read2st64_b32 v[20:21], v9 offset0:8 offset1:10
	;; [unrolled: 1-line block ×3, first 2 shown]
	v_add_u32_e32 v8, -8, v8
	s_waitcnt lgkmcnt(3)
	v_pk_mul_f32 v[16:17], v[2:3], v[16:17]
	s_waitcnt lgkmcnt(2)
	v_pk_mul_f32 v[18:19], v[2:3], v[18:19]
	ds_write2st64_b32 v9, v16, v17 offset1:2
	ds_write2st64_b32 v9, v18, v19 offset0:4 offset1:6
	ds_read2st64_b32 v[18:19], v9 offset0:16 offset1:18
	s_waitcnt lgkmcnt(4)
	v_pk_mul_f32 v[16:17], v[2:3], v[20:21]
	ds_write2st64_b32 v9, v16, v17 offset0:8 offset1:10
	s_waitcnt lgkmcnt(4)
	v_pk_mul_f32 v[16:17], v[2:3], v[22:23]
	ds_write2st64_b32 v9, v16, v17 offset0:12 offset1:14
	ds_read2st64_b32 v[16:17], v9 offset0:20 offset1:22
	s_waitcnt lgkmcnt(3)
	v_pk_mul_f32 v[18:19], v[2:3], v[18:19]
	ds_read2st64_b32 v[20:21], v9 offset0:24 offset1:26
	ds_write2st64_b32 v9, v18, v19 offset0:16 offset1:18
	ds_read2st64_b32 v[18:19], v9 offset0:28 offset1:30
	s_waitcnt lgkmcnt(3)
	v_pk_mul_f32 v[16:17], v[2:3], v[16:17]
	ds_write2st64_b32 v9, v16, v17 offset0:20 offset1:22
	s_waitcnt lgkmcnt(3)
	v_pk_mul_f32 v[16:17], v[2:3], v[20:21]
	ds_write2st64_b32 v9, v16, v17 offset0:24 offset1:26
	s_waitcnt lgkmcnt(2)
	v_pk_mul_f32 v[16:17], v[2:3], v[18:19]
	s_add_i32 s38, s38, 16
	v_cmp_eq_u32_e32 vcc, 0, v8
	ds_write2st64_b32 v9, v16, v17 offset0:28 offset1:30
	v_add_u32_e32 v9, 0x2000, v9
	s_or_b64 s[18:19], vcc, s[18:19]
	v_mov_b32_e32 v15, s38
	s_andn2_b64 exec, exec, s[18:19]
	s_cbranch_execnz .LBB328_85
; %bb.86:
	s_or_b64 exec, exec, s[18:19]
.LBB328_87:
	s_or_b64 exec, exec, s[12:13]
	v_and_b32_e32 v7, 7, v7
	v_cmp_ne_u32_e32 vcc, 0, v7
	s_and_saveexec_b64 s[12:13], vcc
	s_cbranch_execz .LBB328_90
; %bb.88:
	v_lshlrev_b32_e32 v8, 9, v15
	v_lshlrev_b32_e32 v9, 2, v0
	s_movk_i32 s18, 0xf0
	v_add3_u32 v8, v8, v9, s18
	s_mov_b64 s[18:19], 0
.LBB328_89:                             ; =>This Inner Loop Header: Depth=1
	ds_read2st64_b32 v[16:17], v8 offset1:2
	v_add_u32_e32 v7, -1, v7
	v_cmp_eq_u32_e32 vcc, 0, v7
	s_or_b64 s[18:19], vcc, s[18:19]
	s_waitcnt lgkmcnt(0)
	v_pk_mul_f32 v[16:17], v[2:3], v[16:17]
	ds_write2st64_b32 v8, v16, v17 offset1:2
	v_add_u32_e32 v8, 0x400, v8
	s_andn2_b64 exec, exec, s[18:19]
	s_cbranch_execnz .LBB328_89
.LBB328_90:
	s_or_b64 exec, exec, s[12:13]
	v_add_u32_e32 v6, 1, v6
	v_and_b32_e32 v7, 0x3fffffe, v6
	v_cmp_ne_u32_e32 vcc, v6, v7
	v_lshl_add_u32 v3, v7, 7, v0
	s_orn2_b64 s[12:13], vcc, exec
.LBB328_91:
	s_or_b64 exec, exec, s[8:9]
	s_and_b64 exec, exec, s[12:13]
	s_cbranch_execz .LBB328_94
; %bb.92:
	v_mov_b32_e32 v6, 0xf0
	v_lshl_add_u32 v6, v3, 2, v6
	s_mov_b64 s[8:9], 0
.LBB328_93:                             ; =>This Inner Loop Header: Depth=1
	ds_read_b32 v7, v6
	v_add_u32_e32 v3, 0x80, v3
	v_cmp_le_i32_e32 vcc, s40, v3
	s_or_b64 s[8:9], vcc, s[8:9]
	s_waitcnt lgkmcnt(0)
	v_mul_f32_e32 v7, v2, v7
	ds_write_b32 v6, v7
	v_add_u32_e32 v6, 0x200, v6
	s_andn2_b64 exec, exec, s[8:9]
	s_cbranch_execnz .LBB328_93
.LBB328_94:
	s_or_b64 exec, exec, s[0:1]
	s_mul_i32 s0, s25, s28
	v_cmp_eq_u32_e32 vcc, 0, v0
	s_mul_i32 s8, s0, s5
	s_waitcnt lgkmcnt(0)
	s_barrier
	s_and_saveexec_b64 s[0:1], vcc
	s_cbranch_execz .LBB328_96
; %bb.95:
	s_ashr_i32 s9, s8, 31
	s_lshl_b64 s[12:13], s[8:9], 2
	s_add_u32 s5, s22, s12
	s_mul_i32 s18, s25, s2
	s_addc_u32 s9, s23, s13
	s_ashr_i32 s19, s18, 31
	s_lshl_b64 s[18:19], s[18:19], 2
	s_add_u32 s2, s5, s18
	s_addc_u32 s9, s9, s19
	s_ashr_i32 s5, s4, 31
	s_lshl_b64 s[22:23], s[4:5], 2
	s_add_u32 s38, s2, s22
	s_addc_u32 s39, s9, s23
	s_add_u32 s2, s20, s12
	s_addc_u32 s5, s21, s13
	;; [unrolled: 2-line block ×3, first 2 shown]
	s_add_u32 s12, s2, s22
	v_mov_b32_e32 v2, 0
	s_addc_u32 s13, s5, s23
	global_store_dword v2, v4, s[38:39]
	global_store_dword v2, v5, s[12:13]
.LBB328_96:
	s_or_b64 exec, exec, s[0:1]
	v_mov_b32_e32 v15, 0
	v_mov_b32_e32 v2, v15
	s_and_saveexec_b64 s[12:13], s[6:7]
	s_cbranch_execz .LBB328_266
; %bb.97:
	s_ashr_i32 s0, s16, 31
	s_add_u32 s6, s36, s16
	s_addc_u32 s7, s37, s0
	s_load_dword s20, s[14:15], 0x0
	v_or_b32_e32 v2, 64, v1
	s_movk_i32 s0, 0x70
	s_add_i32 s9, s3, -1
	v_cmp_gt_u32_e32 vcc, s0, v2
	s_lshl_b64 s[0:1], s[34:35], 2
	s_add_u32 s0, s30, s0
	v_mov_b32_e32 v17, 0
	v_lshlrev_b32_e32 v18, 3, v2
	v_mov_b32_e32 v2, 0xf0
	s_addc_u32 s1, s31, s1
	s_mov_b32 s5, s17
	v_lshlrev_b32_e32 v16, 3, v1
	v_mov_b32_e32 v19, v17
	v_add3_u32 v11, s42, v11, 7
	v_lshl_add_u32 v22, v14, 5, v2
	v_lshl_add_u64 v[20:21], v[12:13], 2, s[0:1]
	s_mov_b64 s[14:15], 0
	s_mov_b32 s21, 0x7f800000
	s_movk_i32 s22, 0x7fff
	v_mov_b32_e32 v14, v17
	v_mov_b32_e32 v15, v17
	s_branch .LBB328_100
.LBB328_98:                             ;   in Loop: Header=BB328_100 Depth=1
	s_or_b64 exec, exec, s[2:3]
	v_and_b32_e32 v27, 0xffff0000, v5
	v_and_b32_e32 v26, 0xffff0000, v9
	;; [unrolled: 1-line block ×6, first 2 shown]
	v_pk_add_f32 v[4:5], v[4:5], v[8:9]
	v_and_b32_e32 v25, 0xffff0000, v23
	v_and_b32_e32 v24, 0xffff0000, v13
	v_mov_b32_e32 v6, v5
	v_pk_add_f32 v[4:5], v[4:5], v[6:7]
	v_pk_add_f32 v[6:7], v[26:27], v[24:25]
	s_nop 0
	v_pk_add_f32 v[4:5], v[4:5], v[6:7]
	v_mov_b32_e32 v6, v7
	v_pk_add_f32 v[4:5], v[4:5], v[6:7]
	s_nop 0
	v_mov_b32_e32 v3, v4
	v_pk_add_f32 v[14:15], v[14:15], v[2:3]
.LBB328_99:                             ;   in Loop: Header=BB328_100 Depth=1
	s_or_b64 exec, exec, s[16:17]
	v_add_u32_e32 v12, 2, v12
	v_cmp_le_i32_e64 s[0:1], s33, v12
	v_add_u32_e32 v11, 16, v11
	v_add_u32_e32 v22, 64, v22
	v_lshl_add_u64 v[20:21], v[20:21], 0, 8
	s_or_b64 s[14:15], s[0:1], s[14:15]
	v_mov_b32_e32 v14, v2
	s_andn2_b64 exec, exec, s[14:15]
	s_cbranch_execz .LBB328_265
.LBB328_100:                            ; =>This Inner Loop Header: Depth=1
	global_load_dword v30, v[20:21], off
	ds_read2_b64 v[6:9], v22 offset1:1
	ds_read2_b64 v[2:5], v22 offset0:2 offset1:3
                                        ; implicit-def: $vgpr29
	s_waitcnt lgkmcnt(0)
	v_and_b32_e32 v13, 0x7f800000, v6
	v_cmp_ne_u32_e64 s[0:1], s21, v13
	s_and_saveexec_b64 s[2:3], s[0:1]
	s_xor_b64 s[0:1], exec, s[2:3]
; %bb.101:                              ;   in Loop: Header=BB328_100 Depth=1
	v_bfe_u32 v13, v6, 16, 1
	v_add3_u32 v29, v6, v13, s22
; %bb.102:                              ;   in Loop: Header=BB328_100 Depth=1
	s_andn2_saveexec_b64 s[2:3], s[0:1]
; %bb.103:                              ;   in Loop: Header=BB328_100 Depth=1
	v_or_b32_e32 v13, 0x10000, v6
	v_cmp_eq_u32_sdwa s[0:1], v6, v17 src0_sel:WORD_0 src1_sel:DWORD
	s_nop 1
	v_cndmask_b32_e64 v29, v13, v6, s[0:1]
; %bb.104:                              ;   in Loop: Header=BB328_100 Depth=1
	s_or_b64 exec, exec, s[2:3]
	v_and_b32_e32 v6, 0x7f800000, v7
	v_cmp_ne_u32_e64 s[0:1], s21, v6
                                        ; implicit-def: $vgpr28
	s_and_saveexec_b64 s[2:3], s[0:1]
	s_xor_b64 s[0:1], exec, s[2:3]
; %bb.105:                              ;   in Loop: Header=BB328_100 Depth=1
	v_bfe_u32 v6, v7, 16, 1
	v_add3_u32 v28, v7, v6, s22
; %bb.106:                              ;   in Loop: Header=BB328_100 Depth=1
	s_andn2_saveexec_b64 s[2:3], s[0:1]
; %bb.107:                              ;   in Loop: Header=BB328_100 Depth=1
	v_or_b32_e32 v6, 0x10000, v7
	v_cmp_eq_u32_sdwa s[0:1], v7, v17 src0_sel:WORD_0 src1_sel:DWORD
	s_nop 1
	v_cndmask_b32_e64 v28, v6, v7, s[0:1]
; %bb.108:                              ;   in Loop: Header=BB328_100 Depth=1
	s_or_b64 exec, exec, s[2:3]
	v_and_b32_e32 v6, 0x7f800000, v8
	v_cmp_ne_u32_e64 s[0:1], s21, v6
                                        ; implicit-def: $vgpr27
	s_and_saveexec_b64 s[2:3], s[0:1]
	s_xor_b64 s[0:1], exec, s[2:3]
; %bb.109:                              ;   in Loop: Header=BB328_100 Depth=1
	v_bfe_u32 v6, v8, 16, 1
	v_add3_u32 v27, v8, v6, s22
; %bb.110:                              ;   in Loop: Header=BB328_100 Depth=1
	s_andn2_saveexec_b64 s[2:3], s[0:1]
; %bb.111:                              ;   in Loop: Header=BB328_100 Depth=1
	v_or_b32_e32 v6, 0x10000, v8
	v_cmp_eq_u32_sdwa s[0:1], v8, v17 src0_sel:WORD_0 src1_sel:DWORD
	s_nop 1
	v_cndmask_b32_e64 v27, v6, v8, s[0:1]
; %bb.112:                              ;   in Loop: Header=BB328_100 Depth=1
	s_or_b64 exec, exec, s[2:3]
	v_and_b32_e32 v6, 0x7f800000, v9
	v_cmp_ne_u32_e64 s[0:1], s21, v6
                                        ; implicit-def: $vgpr13
	s_and_saveexec_b64 s[2:3], s[0:1]
	s_xor_b64 s[0:1], exec, s[2:3]
; %bb.113:                              ;   in Loop: Header=BB328_100 Depth=1
	v_bfe_u32 v6, v9, 16, 1
	v_add3_u32 v13, v9, v6, s22
                                        ; implicit-def: $vgpr6_vgpr7_vgpr8_vgpr9
; %bb.114:                              ;   in Loop: Header=BB328_100 Depth=1
	s_andn2_saveexec_b64 s[2:3], s[0:1]
; %bb.115:                              ;   in Loop: Header=BB328_100 Depth=1
	v_or_b32_e32 v6, 0x10000, v9
	v_cmp_eq_u32_sdwa s[0:1], v9, v17 src0_sel:WORD_0 src1_sel:DWORD
	s_nop 1
	v_cndmask_b32_e64 v13, v6, v9, s[0:1]
; %bb.116:                              ;   in Loop: Header=BB328_100 Depth=1
	s_or_b64 exec, exec, s[2:3]
	v_and_b32_e32 v6, 0x7f800000, v2
	v_cmp_ne_u32_e64 s[0:1], s21, v6
                                        ; implicit-def: $vgpr23
	s_and_saveexec_b64 s[2:3], s[0:1]
	s_xor_b64 s[0:1], exec, s[2:3]
; %bb.117:                              ;   in Loop: Header=BB328_100 Depth=1
	v_bfe_u32 v6, v2, 16, 1
	v_add3_u32 v23, v2, v6, s22
; %bb.118:                              ;   in Loop: Header=BB328_100 Depth=1
	s_andn2_saveexec_b64 s[2:3], s[0:1]
; %bb.119:                              ;   in Loop: Header=BB328_100 Depth=1
	v_or_b32_e32 v6, 0x10000, v2
	v_cmp_eq_u32_sdwa s[0:1], v2, v17 src0_sel:WORD_0 src1_sel:DWORD
	s_nop 1
	v_cndmask_b32_e64 v23, v6, v2, s[0:1]
; %bb.120:                              ;   in Loop: Header=BB328_100 Depth=1
	s_or_b64 exec, exec, s[2:3]
	v_and_b32_e32 v2, 0x7f800000, v3
	v_cmp_ne_u32_e64 s[0:1], s21, v2
                                        ; implicit-def: $vgpr24
	s_and_saveexec_b64 s[2:3], s[0:1]
	s_xor_b64 s[0:1], exec, s[2:3]
; %bb.121:                              ;   in Loop: Header=BB328_100 Depth=1
	v_bfe_u32 v2, v3, 16, 1
	v_add3_u32 v24, v3, v2, s22
; %bb.122:                              ;   in Loop: Header=BB328_100 Depth=1
	s_andn2_saveexec_b64 s[2:3], s[0:1]
; %bb.123:                              ;   in Loop: Header=BB328_100 Depth=1
	v_or_b32_e32 v2, 0x10000, v3
	v_cmp_eq_u32_sdwa s[0:1], v3, v17 src0_sel:WORD_0 src1_sel:DWORD
	s_nop 1
	v_cndmask_b32_e64 v24, v2, v3, s[0:1]
; %bb.124:                              ;   in Loop: Header=BB328_100 Depth=1
	s_or_b64 exec, exec, s[2:3]
	v_and_b32_e32 v2, 0x7f800000, v4
	v_cmp_ne_u32_e64 s[0:1], s21, v2
                                        ; implicit-def: $vgpr25
	s_and_saveexec_b64 s[2:3], s[0:1]
	s_xor_b64 s[0:1], exec, s[2:3]
; %bb.125:                              ;   in Loop: Header=BB328_100 Depth=1
	v_bfe_u32 v2, v4, 16, 1
	v_add3_u32 v25, v4, v2, s22
; %bb.126:                              ;   in Loop: Header=BB328_100 Depth=1
	s_andn2_saveexec_b64 s[2:3], s[0:1]
; %bb.127:                              ;   in Loop: Header=BB328_100 Depth=1
	v_or_b32_e32 v2, 0x10000, v4
	v_cmp_eq_u32_sdwa s[0:1], v4, v17 src0_sel:WORD_0 src1_sel:DWORD
	s_nop 1
	v_cndmask_b32_e64 v25, v2, v4, s[0:1]
; %bb.128:                              ;   in Loop: Header=BB328_100 Depth=1
	s_or_b64 exec, exec, s[2:3]
	v_and_b32_e32 v2, 0x7f800000, v5
	v_cmp_ne_u32_e64 s[0:1], s21, v2
                                        ; implicit-def: $vgpr26
	s_and_saveexec_b64 s[2:3], s[0:1]
	s_xor_b64 s[0:1], exec, s[2:3]
; %bb.129:                              ;   in Loop: Header=BB328_100 Depth=1
	v_bfe_u32 v2, v5, 16, 1
	v_add3_u32 v26, v5, v2, s22
                                        ; implicit-def: $vgpr2_vgpr3_vgpr4_vgpr5
; %bb.130:                              ;   in Loop: Header=BB328_100 Depth=1
	s_andn2_saveexec_b64 s[2:3], s[0:1]
; %bb.131:                              ;   in Loop: Header=BB328_100 Depth=1
	v_or_b32_e32 v2, 0x10000, v5
	v_cmp_eq_u32_sdwa s[0:1], v5, v17 src0_sel:WORD_0 src1_sel:DWORD
	s_nop 1
	v_cndmask_b32_e64 v26, v2, v5, s[0:1]
; %bb.132:                              ;   in Loop: Header=BB328_100 Depth=1
	s_or_b64 exec, exec, s[2:3]
	v_mov_b64_e32 v[2:3], s[6:7]
	s_waitcnt vmcnt(0)
	v_mad_i64_i32 v[4:5], s[0:1], v30, s5, v[2:3]
	v_lshl_add_u64 v[2:3], v[4:5], 0, v[16:17]
	global_load_dwordx2 v[2:3], v[2:3], off
	s_waitcnt vmcnt(0)
	v_and_b32_e32 v6, 0xff, v2
	v_cvt_f32_fp8_sdwa v6, v6 src0_sel:BYTE_0
	s_nop 0
	v_mul_f32_e32 v6, s20, v6
	v_and_b32_e32 v7, 0x7f800000, v6
	v_cmp_ne_u32_e64 s[0:1], s21, v7
                                        ; implicit-def: $vgpr7
	s_and_saveexec_b64 s[2:3], s[0:1]
	s_xor_b64 s[0:1], exec, s[2:3]
; %bb.133:                              ;   in Loop: Header=BB328_100 Depth=1
	v_bfe_u32 v7, v6, 16, 1
	v_add3_u32 v7, v6, v7, s22
                                        ; implicit-def: $vgpr6
; %bb.134:                              ;   in Loop: Header=BB328_100 Depth=1
	s_andn2_saveexec_b64 s[2:3], s[0:1]
; %bb.135:                              ;   in Loop: Header=BB328_100 Depth=1
	v_or_b32_e32 v7, 0x10000, v6
	v_cmp_eq_u32_sdwa s[0:1], v6, v17 src0_sel:WORD_0 src1_sel:DWORD
	s_nop 1
	v_cndmask_b32_e64 v7, v7, v6, s[0:1]
; %bb.136:                              ;   in Loop: Header=BB328_100 Depth=1
	s_or_b64 exec, exec, s[2:3]
	v_bfe_u32 v6, v2, 8, 8
	v_cvt_f32_fp8_sdwa v6, v6 src0_sel:BYTE_0
	s_nop 0
	v_mul_f32_e32 v6, s20, v6
	v_and_b32_e32 v8, 0x7f800000, v6
	v_cmp_ne_u32_e64 s[0:1], s21, v8
                                        ; implicit-def: $vgpr8
	s_and_saveexec_b64 s[2:3], s[0:1]
	s_xor_b64 s[0:1], exec, s[2:3]
; %bb.137:                              ;   in Loop: Header=BB328_100 Depth=1
	v_bfe_u32 v8, v6, 16, 1
	v_add3_u32 v8, v6, v8, s22
                                        ; implicit-def: $vgpr6
; %bb.138:                              ;   in Loop: Header=BB328_100 Depth=1
	s_andn2_saveexec_b64 s[2:3], s[0:1]
; %bb.139:                              ;   in Loop: Header=BB328_100 Depth=1
	v_or_b32_e32 v8, 0x10000, v6
	v_cmp_eq_u32_sdwa s[0:1], v6, v17 src0_sel:WORD_0 src1_sel:DWORD
	s_nop 1
	v_cndmask_b32_e64 v8, v8, v6, s[0:1]
; %bb.140:                              ;   in Loop: Header=BB328_100 Depth=1
	s_or_b64 exec, exec, s[2:3]
	v_bfe_u32 v6, v2, 16, 8
	v_cvt_f32_fp8_sdwa v6, v6 src0_sel:BYTE_0
	s_nop 0
	v_mul_f32_e32 v6, s20, v6
	v_and_b32_e32 v9, 0x7f800000, v6
	v_cmp_ne_u32_e64 s[0:1], s21, v9
                                        ; implicit-def: $vgpr9
	s_and_saveexec_b64 s[2:3], s[0:1]
	s_xor_b64 s[0:1], exec, s[2:3]
; %bb.141:                              ;   in Loop: Header=BB328_100 Depth=1
	v_bfe_u32 v9, v6, 16, 1
	v_add3_u32 v9, v6, v9, s22
                                        ; implicit-def: $vgpr6
; %bb.142:                              ;   in Loop: Header=BB328_100 Depth=1
	s_andn2_saveexec_b64 s[2:3], s[0:1]
; %bb.143:                              ;   in Loop: Header=BB328_100 Depth=1
	v_or_b32_e32 v9, 0x10000, v6
	v_cmp_eq_u32_sdwa s[0:1], v6, v17 src0_sel:WORD_0 src1_sel:DWORD
	s_nop 1
	v_cndmask_b32_e64 v9, v9, v6, s[0:1]
; %bb.144:                              ;   in Loop: Header=BB328_100 Depth=1
	s_or_b64 exec, exec, s[2:3]
	v_lshrrev_b32_e32 v2, 24, v2
	v_cvt_f32_fp8_sdwa v2, v2 src0_sel:BYTE_0
	s_nop 0
	v_mul_f32_e32 v6, s20, v2
	v_and_b32_e32 v2, 0x7f800000, v6
	v_cmp_ne_u32_e64 s[0:1], s21, v2
                                        ; implicit-def: $vgpr2
	s_and_saveexec_b64 s[2:3], s[0:1]
	s_xor_b64 s[0:1], exec, s[2:3]
; %bb.145:                              ;   in Loop: Header=BB328_100 Depth=1
	v_bfe_u32 v2, v6, 16, 1
	v_add3_u32 v2, v6, v2, s22
                                        ; implicit-def: $vgpr6
; %bb.146:                              ;   in Loop: Header=BB328_100 Depth=1
	s_andn2_saveexec_b64 s[2:3], s[0:1]
; %bb.147:                              ;   in Loop: Header=BB328_100 Depth=1
	v_or_b32_e32 v2, 0x10000, v6
	v_cmp_eq_u32_sdwa s[0:1], v6, v17 src0_sel:WORD_0 src1_sel:DWORD
	s_nop 1
	v_cndmask_b32_e64 v2, v2, v6, s[0:1]
; %bb.148:                              ;   in Loop: Header=BB328_100 Depth=1
	s_or_b64 exec, exec, s[2:3]
	v_and_b32_e32 v6, 0xff, v3
	v_cvt_f32_fp8_sdwa v6, v6 src0_sel:BYTE_0
	s_nop 0
	v_mul_f32_e32 v6, s20, v6
	v_and_b32_e32 v30, 0x7f800000, v6
	v_cmp_ne_u32_e64 s[0:1], s21, v30
                                        ; implicit-def: $vgpr30
	s_and_saveexec_b64 s[2:3], s[0:1]
	s_xor_b64 s[0:1], exec, s[2:3]
; %bb.149:                              ;   in Loop: Header=BB328_100 Depth=1
	v_bfe_u32 v30, v6, 16, 1
	v_add3_u32 v30, v6, v30, s22
                                        ; implicit-def: $vgpr6
; %bb.150:                              ;   in Loop: Header=BB328_100 Depth=1
	s_andn2_saveexec_b64 s[2:3], s[0:1]
; %bb.151:                              ;   in Loop: Header=BB328_100 Depth=1
	v_or_b32_e32 v30, 0x10000, v6
	v_cmp_eq_u32_sdwa s[0:1], v6, v17 src0_sel:WORD_0 src1_sel:DWORD
	s_nop 1
	v_cndmask_b32_e64 v30, v30, v6, s[0:1]
; %bb.152:                              ;   in Loop: Header=BB328_100 Depth=1
	s_or_b64 exec, exec, s[2:3]
	v_bfe_u32 v6, v3, 8, 8
	v_cvt_f32_fp8_sdwa v6, v6 src0_sel:BYTE_0
	s_nop 0
	v_mul_f32_e32 v6, s20, v6
	v_and_b32_e32 v31, 0x7f800000, v6
	v_cmp_ne_u32_e64 s[0:1], s21, v31
                                        ; implicit-def: $vgpr31
	s_and_saveexec_b64 s[2:3], s[0:1]
	s_xor_b64 s[0:1], exec, s[2:3]
; %bb.153:                              ;   in Loop: Header=BB328_100 Depth=1
	v_bfe_u32 v31, v6, 16, 1
	v_add3_u32 v31, v6, v31, s22
                                        ; implicit-def: $vgpr6
; %bb.154:                              ;   in Loop: Header=BB328_100 Depth=1
	s_andn2_saveexec_b64 s[2:3], s[0:1]
; %bb.155:                              ;   in Loop: Header=BB328_100 Depth=1
	v_or_b32_e32 v31, 0x10000, v6
	v_cmp_eq_u32_sdwa s[0:1], v6, v17 src0_sel:WORD_0 src1_sel:DWORD
	s_nop 1
	v_cndmask_b32_e64 v31, v31, v6, s[0:1]
; %bb.156:                              ;   in Loop: Header=BB328_100 Depth=1
	s_or_b64 exec, exec, s[2:3]
	v_bfe_u32 v6, v3, 16, 8
	v_cvt_f32_fp8_sdwa v6, v6 src0_sel:BYTE_0
                                        ; implicit-def: $vgpr35
	s_nop 0
	v_mul_f32_e32 v6, s20, v6
	v_and_b32_e32 v32, 0x7f800000, v6
	v_cmp_ne_u32_e64 s[0:1], s21, v32
	s_and_saveexec_b64 s[2:3], s[0:1]
	s_xor_b64 s[0:1], exec, s[2:3]
; %bb.157:                              ;   in Loop: Header=BB328_100 Depth=1
	v_bfe_u32 v32, v6, 16, 1
	v_add3_u32 v35, v6, v32, s22
                                        ; implicit-def: $vgpr6
; %bb.158:                              ;   in Loop: Header=BB328_100 Depth=1
	s_andn2_saveexec_b64 s[2:3], s[0:1]
; %bb.159:                              ;   in Loop: Header=BB328_100 Depth=1
	v_or_b32_e32 v32, 0x10000, v6
	v_cmp_eq_u32_sdwa s[0:1], v6, v17 src0_sel:WORD_0 src1_sel:DWORD
	s_nop 1
	v_cndmask_b32_e64 v35, v32, v6, s[0:1]
; %bb.160:                              ;   in Loop: Header=BB328_100 Depth=1
	s_or_b64 exec, exec, s[2:3]
	v_lshrrev_b32_e32 v3, 24, v3
	v_cvt_f32_fp8_sdwa v3, v3 src0_sel:BYTE_0
                                        ; implicit-def: $vgpr36
	s_nop 0
	v_mul_f32_e32 v3, s20, v3
	v_and_b32_e32 v6, 0x7f800000, v3
	v_cmp_ne_u32_e64 s[0:1], s21, v6
	s_and_saveexec_b64 s[2:3], s[0:1]
	s_xor_b64 s[0:1], exec, s[2:3]
; %bb.161:                              ;   in Loop: Header=BB328_100 Depth=1
	v_bfe_u32 v6, v3, 16, 1
	v_add3_u32 v36, v3, v6, s22
                                        ; implicit-def: $vgpr3
; %bb.162:                              ;   in Loop: Header=BB328_100 Depth=1
	s_andn2_saveexec_b64 s[2:3], s[0:1]
; %bb.163:                              ;   in Loop: Header=BB328_100 Depth=1
	v_or_b32_e32 v6, 0x10000, v3
	v_cmp_eq_u32_sdwa s[0:1], v3, v17 src0_sel:WORD_0 src1_sel:DWORD
	s_nop 1
	v_cndmask_b32_e64 v36, v6, v3, s[0:1]
; %bb.164:                              ;   in Loop: Header=BB328_100 Depth=1
	s_or_b64 exec, exec, s[2:3]
	v_cmp_eq_u32_e64 s[2:3], s9, v12
	v_add_u32_e32 v6, -7, v11
	v_lshrrev_b32_e32 v31, 16, v31
	v_lshrrev_b32_e32 v32, 16, v30
	;; [unrolled: 1-line block ×8, first 2 shown]
	s_and_saveexec_b64 s[16:17], s[2:3]
	s_cbranch_execz .LBB328_166
; %bb.165:                              ;   in Loop: Header=BB328_100 Depth=1
	v_cmp_gt_i32_e64 s[0:1], s29, v6
	v_add_u32_e32 v7, -6, v11
	s_nop 0
	v_cndmask_b32_e64 v3, 0, v3, s[0:1]
	v_cmp_gt_i32_e64 s[0:1], s29, v7
	v_add_u32_e32 v7, -5, v11
	s_nop 0
	v_cndmask_b32_e64 v9, 0, v9, s[0:1]
	v_cmp_gt_i32_e64 s[0:1], s29, v7
	v_add_u32_e32 v7, -4, v11
	s_nop 0
	v_cndmask_b32_e64 v34, 0, v34, s[0:1]
	v_cmp_gt_i32_e64 s[0:1], s29, v7
	v_add_u32_e32 v7, -3, v11
	s_nop 0
	v_cndmask_b32_e64 v33, 0, v33, s[0:1]
	v_cmp_gt_i32_e64 s[0:1], s29, v7
	v_add_u32_e32 v7, -2, v11
	s_nop 0
	v_cndmask_b32_e64 v32, 0, v32, s[0:1]
	v_cmp_gt_i32_e64 s[0:1], s29, v7
	v_add_u32_e32 v7, -1, v11
	s_nop 0
	v_cndmask_b32_e64 v31, 0, v31, s[0:1]
	v_cmp_gt_i32_e64 s[0:1], s29, v7
	s_nop 1
	v_cndmask_b32_e64 v30, 0, v30, s[0:1]
	v_cmp_gt_i32_e64 s[0:1], s29, v11
	s_nop 1
	v_cndmask_b32_e64 v2, 0, v2, s[0:1]
.LBB328_166:                            ;   in Loop: Header=BB328_100 Depth=1
	s_or_b64 exec, exec, s[16:17]
	v_and_b32_e32 v7, 0xffff0000, v29
	v_lshlrev_b32_e32 v3, 16, v3
	v_mul_f32_e32 v8, v7, v3
	v_and_b32_e32 v3, 0x7f800000, v8
	v_cmp_ne_u32_e64 s[0:1], s21, v3
                                        ; implicit-def: $vgpr3
	s_and_saveexec_b64 s[16:17], s[0:1]
	s_xor_b64 s[0:1], exec, s[16:17]
; %bb.167:                              ;   in Loop: Header=BB328_100 Depth=1
	v_bfe_u32 v3, v8, 16, 1
	v_add3_u32 v3, v8, v3, s22
                                        ; implicit-def: $vgpr8
; %bb.168:                              ;   in Loop: Header=BB328_100 Depth=1
	s_andn2_saveexec_b64 s[16:17], s[0:1]
; %bb.169:                              ;   in Loop: Header=BB328_100 Depth=1
	v_or_b32_e32 v3, 0x10000, v8
	v_cmp_eq_u32_sdwa s[0:1], v8, v17 src0_sel:WORD_0 src1_sel:DWORD
	s_nop 1
	v_cndmask_b32_e64 v3, v3, v8, s[0:1]
; %bb.170:                              ;   in Loop: Header=BB328_100 Depth=1
	s_or_b64 exec, exec, s[16:17]
	v_and_b32_e32 v8, 0xffff0000, v28
	v_lshlrev_b32_e32 v9, 16, v9
	v_mul_f32_e32 v9, v8, v9
	v_and_b32_e32 v28, 0x7f800000, v9
	v_cmp_ne_u32_e64 s[0:1], s21, v28
                                        ; implicit-def: $vgpr28
	s_and_saveexec_b64 s[16:17], s[0:1]
	s_xor_b64 s[0:1], exec, s[16:17]
; %bb.171:                              ;   in Loop: Header=BB328_100 Depth=1
	v_bfe_u32 v28, v9, 16, 1
	v_add3_u32 v28, v9, v28, s22
                                        ; implicit-def: $vgpr9
; %bb.172:                              ;   in Loop: Header=BB328_100 Depth=1
	s_andn2_saveexec_b64 s[16:17], s[0:1]
; %bb.173:                              ;   in Loop: Header=BB328_100 Depth=1
	v_or_b32_e32 v28, 0x10000, v9
	v_cmp_eq_u32_sdwa s[0:1], v9, v17 src0_sel:WORD_0 src1_sel:DWORD
	s_nop 1
	v_cndmask_b32_e64 v28, v28, v9, s[0:1]
; %bb.174:                              ;   in Loop: Header=BB328_100 Depth=1
	s_or_b64 exec, exec, s[16:17]
	v_and_b32_e32 v9, 0xffff0000, v27
	v_lshlrev_b32_e32 v27, 16, v34
	v_mul_f32_e32 v29, v9, v27
	v_and_b32_e32 v27, 0x7f800000, v29
	v_cmp_ne_u32_e64 s[0:1], s21, v27
                                        ; implicit-def: $vgpr27
	s_and_saveexec_b64 s[16:17], s[0:1]
	s_xor_b64 s[0:1], exec, s[16:17]
; %bb.175:                              ;   in Loop: Header=BB328_100 Depth=1
	v_bfe_u32 v27, v29, 16, 1
	v_add3_u32 v27, v29, v27, s22
                                        ; implicit-def: $vgpr29
; %bb.176:                              ;   in Loop: Header=BB328_100 Depth=1
	s_andn2_saveexec_b64 s[16:17], s[0:1]
; %bb.177:                              ;   in Loop: Header=BB328_100 Depth=1
	v_or_b32_e32 v27, 0x10000, v29
	v_cmp_eq_u32_sdwa s[0:1], v29, v17 src0_sel:WORD_0 src1_sel:DWORD
	s_nop 1
	v_cndmask_b32_e64 v27, v27, v29, s[0:1]
; %bb.178:                              ;   in Loop: Header=BB328_100 Depth=1
	s_or_b64 exec, exec, s[16:17]
	v_and_b32_e32 v13, 0xffff0000, v13
	v_lshlrev_b32_e32 v29, 16, v33
	v_mul_f32_e32 v33, v13, v29
	v_and_b32_e32 v29, 0x7f800000, v33
	v_cmp_ne_u32_e64 s[0:1], s21, v29
                                        ; implicit-def: $vgpr29
	s_and_saveexec_b64 s[16:17], s[0:1]
	s_xor_b64 s[0:1], exec, s[16:17]
; %bb.179:                              ;   in Loop: Header=BB328_100 Depth=1
	v_bfe_u32 v29, v33, 16, 1
	v_add3_u32 v29, v33, v29, s22
                                        ; implicit-def: $vgpr33
; %bb.180:                              ;   in Loop: Header=BB328_100 Depth=1
	s_andn2_saveexec_b64 s[16:17], s[0:1]
; %bb.181:                              ;   in Loop: Header=BB328_100 Depth=1
	v_or_b32_e32 v29, 0x10000, v33
	v_cmp_eq_u32_sdwa s[0:1], v33, v17 src0_sel:WORD_0 src1_sel:DWORD
	s_nop 1
	v_cndmask_b32_e64 v29, v29, v33, s[0:1]
; %bb.182:                              ;   in Loop: Header=BB328_100 Depth=1
	s_or_b64 exec, exec, s[16:17]
	v_and_b32_e32 v23, 0xffff0000, v23
	v_lshlrev_b32_e32 v32, 16, v32
	v_mul_f32_e32 v33, v23, v32
	v_and_b32_e32 v32, 0x7f800000, v33
	v_cmp_ne_u32_e64 s[0:1], s21, v32
                                        ; implicit-def: $vgpr32
	s_and_saveexec_b64 s[16:17], s[0:1]
	s_xor_b64 s[0:1], exec, s[16:17]
; %bb.183:                              ;   in Loop: Header=BB328_100 Depth=1
	v_bfe_u32 v32, v33, 16, 1
	v_add3_u32 v32, v33, v32, s22
                                        ; implicit-def: $vgpr33
; %bb.184:                              ;   in Loop: Header=BB328_100 Depth=1
	s_andn2_saveexec_b64 s[16:17], s[0:1]
; %bb.185:                              ;   in Loop: Header=BB328_100 Depth=1
	v_or_b32_e32 v32, 0x10000, v33
	v_cmp_eq_u32_sdwa s[0:1], v33, v17 src0_sel:WORD_0 src1_sel:DWORD
	s_nop 1
	v_cndmask_b32_e64 v32, v32, v33, s[0:1]
; %bb.186:                              ;   in Loop: Header=BB328_100 Depth=1
	s_or_b64 exec, exec, s[16:17]
	v_and_b32_e32 v24, 0xffff0000, v24
	v_lshlrev_b32_e32 v31, 16, v31
	v_mul_f32_e32 v33, v24, v31
	v_and_b32_e32 v31, 0x7f800000, v33
	v_cmp_ne_u32_e64 s[0:1], s21, v31
                                        ; implicit-def: $vgpr31
	s_and_saveexec_b64 s[16:17], s[0:1]
	s_xor_b64 s[0:1], exec, s[16:17]
; %bb.187:                              ;   in Loop: Header=BB328_100 Depth=1
	v_bfe_u32 v31, v33, 16, 1
	v_add3_u32 v31, v33, v31, s22
                                        ; implicit-def: $vgpr33
; %bb.188:                              ;   in Loop: Header=BB328_100 Depth=1
	s_andn2_saveexec_b64 s[16:17], s[0:1]
; %bb.189:                              ;   in Loop: Header=BB328_100 Depth=1
	v_or_b32_e32 v31, 0x10000, v33
	v_cmp_eq_u32_sdwa s[0:1], v33, v17 src0_sel:WORD_0 src1_sel:DWORD
	s_nop 1
	v_cndmask_b32_e64 v31, v31, v33, s[0:1]
; %bb.190:                              ;   in Loop: Header=BB328_100 Depth=1
	s_or_b64 exec, exec, s[16:17]
	v_and_b32_e32 v25, 0xffff0000, v25
	v_lshlrev_b32_e32 v30, 16, v30
	v_mul_f32_e32 v33, v25, v30
	v_and_b32_e32 v30, 0x7f800000, v33
	v_cmp_ne_u32_e64 s[0:1], s21, v30
                                        ; implicit-def: $vgpr30
	s_and_saveexec_b64 s[16:17], s[0:1]
	s_xor_b64 s[0:1], exec, s[16:17]
; %bb.191:                              ;   in Loop: Header=BB328_100 Depth=1
	v_bfe_u32 v30, v33, 16, 1
	v_add3_u32 v30, v33, v30, s22
                                        ; implicit-def: $vgpr33
; %bb.192:                              ;   in Loop: Header=BB328_100 Depth=1
	s_andn2_saveexec_b64 s[16:17], s[0:1]
; %bb.193:                              ;   in Loop: Header=BB328_100 Depth=1
	v_or_b32_e32 v30, 0x10000, v33
	v_cmp_eq_u32_sdwa s[0:1], v33, v17 src0_sel:WORD_0 src1_sel:DWORD
	s_nop 1
	v_cndmask_b32_e64 v30, v30, v33, s[0:1]
; %bb.194:                              ;   in Loop: Header=BB328_100 Depth=1
	s_or_b64 exec, exec, s[16:17]
	v_and_b32_e32 v26, 0xffff0000, v26
	v_lshlrev_b32_e32 v2, 16, v2
	v_mul_f32_e32 v2, v26, v2
	v_and_b32_e32 v33, 0x7f800000, v2
	v_cmp_ne_u32_e64 s[0:1], s21, v33
                                        ; implicit-def: $vgpr33
	s_and_saveexec_b64 s[16:17], s[0:1]
	s_xor_b64 s[0:1], exec, s[16:17]
; %bb.195:                              ;   in Loop: Header=BB328_100 Depth=1
	v_bfe_u32 v33, v2, 16, 1
	v_add3_u32 v33, v2, v33, s22
                                        ; implicit-def: $vgpr2
; %bb.196:                              ;   in Loop: Header=BB328_100 Depth=1
	s_andn2_saveexec_b64 s[16:17], s[0:1]
; %bb.197:                              ;   in Loop: Header=BB328_100 Depth=1
	v_or_b32_e32 v33, 0x10000, v2
	v_cmp_eq_u32_sdwa s[0:1], v2, v17 src0_sel:WORD_0 src1_sel:DWORD
	s_nop 1
	v_cndmask_b32_e64 v33, v33, v2, s[0:1]
; %bb.198:                              ;   in Loop: Header=BB328_100 Depth=1
	s_or_b64 exec, exec, s[16:17]
	v_and_b32_e32 v35, 0xffff0000, v33
	v_and_b32_e32 v34, 0xffff0000, v31
	;; [unrolled: 1-line block ×8, first 2 shown]
	v_pk_add_f32 v[2:3], v[32:33], v[28:29]
	s_nop 0
	v_mov_b32_e32 v28, v3
	v_pk_add_f32 v[2:3], v[2:3], v[28:29]
	v_pk_add_f32 v[28:29], v[30:31], v[34:35]
	s_nop 0
	v_pk_add_f32 v[2:3], v[2:3], v[28:29]
	v_mov_b32_e32 v28, v29
	v_pk_add_f32 v[2:3], v[2:3], v[28:29]
	s_nop 0
	v_pk_add_f32 v[2:3], v[14:15], v[2:3]
	s_and_saveexec_b64 s[16:17], vcc
	s_cbranch_execz .LBB328_99
; %bb.199:                              ;   in Loop: Header=BB328_100 Depth=1
	v_lshl_add_u64 v[4:5], v[4:5], 0, v[18:19]
	global_load_dwordx2 v[4:5], v[4:5], off
	s_waitcnt vmcnt(0)
	v_and_b32_e32 v3, 0xff, v4
	v_cvt_f32_fp8_sdwa v3, v3 src0_sel:BYTE_0
	s_nop 0
	v_mul_f32_e32 v27, s20, v3
	v_and_b32_e32 v3, 0x7f800000, v27
	v_cmp_ne_u32_e64 s[0:1], s21, v3
                                        ; implicit-def: $vgpr3
	s_and_saveexec_b64 s[18:19], s[0:1]
	s_xor_b64 s[0:1], exec, s[18:19]
; %bb.200:                              ;   in Loop: Header=BB328_100 Depth=1
	v_bfe_u32 v3, v27, 16, 1
	v_add3_u32 v3, v27, v3, s22
                                        ; implicit-def: $vgpr27
; %bb.201:                              ;   in Loop: Header=BB328_100 Depth=1
	s_andn2_saveexec_b64 s[18:19], s[0:1]
; %bb.202:                              ;   in Loop: Header=BB328_100 Depth=1
	v_or_b32_e32 v3, 0x10000, v27
	v_cmp_eq_u32_sdwa s[0:1], v27, v17 src0_sel:WORD_0 src1_sel:DWORD
	s_nop 1
	v_cndmask_b32_e64 v3, v3, v27, s[0:1]
; %bb.203:                              ;   in Loop: Header=BB328_100 Depth=1
	s_or_b64 exec, exec, s[18:19]
	v_bfe_u32 v27, v4, 8, 8
	v_cvt_f32_fp8_sdwa v27, v27 src0_sel:BYTE_0
	s_nop 0
	v_mul_f32_e32 v28, s20, v27
	v_and_b32_e32 v27, 0x7f800000, v28
	v_cmp_ne_u32_e64 s[0:1], s21, v27
                                        ; implicit-def: $vgpr27
	s_and_saveexec_b64 s[18:19], s[0:1]
	s_xor_b64 s[0:1], exec, s[18:19]
; %bb.204:                              ;   in Loop: Header=BB328_100 Depth=1
	v_bfe_u32 v27, v28, 16, 1
	v_add3_u32 v27, v28, v27, s22
                                        ; implicit-def: $vgpr28
; %bb.205:                              ;   in Loop: Header=BB328_100 Depth=1
	s_andn2_saveexec_b64 s[18:19], s[0:1]
; %bb.206:                              ;   in Loop: Header=BB328_100 Depth=1
	v_or_b32_e32 v27, 0x10000, v28
	v_cmp_eq_u32_sdwa s[0:1], v28, v17 src0_sel:WORD_0 src1_sel:DWORD
	s_nop 1
	v_cndmask_b32_e64 v27, v27, v28, s[0:1]
; %bb.207:                              ;   in Loop: Header=BB328_100 Depth=1
	s_or_b64 exec, exec, s[18:19]
	v_bfe_u32 v28, v4, 16, 8
	v_cvt_f32_fp8_sdwa v28, v28 src0_sel:BYTE_0
	s_nop 0
	v_mul_f32_e32 v28, s20, v28
	v_and_b32_e32 v29, 0x7f800000, v28
	v_cmp_ne_u32_e64 s[0:1], s21, v29
                                        ; implicit-def: $vgpr29
	s_and_saveexec_b64 s[18:19], s[0:1]
	s_xor_b64 s[0:1], exec, s[18:19]
; %bb.208:                              ;   in Loop: Header=BB328_100 Depth=1
	v_bfe_u32 v29, v28, 16, 1
	v_add3_u32 v29, v28, v29, s22
                                        ; implicit-def: $vgpr28
; %bb.209:                              ;   in Loop: Header=BB328_100 Depth=1
	s_andn2_saveexec_b64 s[18:19], s[0:1]
; %bb.210:                              ;   in Loop: Header=BB328_100 Depth=1
	v_or_b32_e32 v29, 0x10000, v28
	v_cmp_eq_u32_sdwa s[0:1], v28, v17 src0_sel:WORD_0 src1_sel:DWORD
	s_nop 1
	v_cndmask_b32_e64 v29, v29, v28, s[0:1]
; %bb.211:                              ;   in Loop: Header=BB328_100 Depth=1
	s_or_b64 exec, exec, s[18:19]
	v_lshrrev_b32_e32 v4, 24, v4
	v_cvt_f32_fp8_sdwa v4, v4 src0_sel:BYTE_0
	s_nop 0
	v_mul_f32_e32 v28, s20, v4
	v_and_b32_e32 v4, 0x7f800000, v28
	v_cmp_ne_u32_e64 s[0:1], s21, v4
                                        ; implicit-def: $vgpr4
	s_and_saveexec_b64 s[18:19], s[0:1]
	s_xor_b64 s[0:1], exec, s[18:19]
; %bb.212:                              ;   in Loop: Header=BB328_100 Depth=1
	v_bfe_u32 v4, v28, 16, 1
	v_add3_u32 v4, v28, v4, s22
                                        ; implicit-def: $vgpr28
; %bb.213:                              ;   in Loop: Header=BB328_100 Depth=1
	s_andn2_saveexec_b64 s[18:19], s[0:1]
; %bb.214:                              ;   in Loop: Header=BB328_100 Depth=1
	v_or_b32_e32 v4, 0x10000, v28
	v_cmp_eq_u32_sdwa s[0:1], v28, v17 src0_sel:WORD_0 src1_sel:DWORD
	s_nop 1
	v_cndmask_b32_e64 v4, v4, v28, s[0:1]
; %bb.215:                              ;   in Loop: Header=BB328_100 Depth=1
	s_or_b64 exec, exec, s[18:19]
	v_and_b32_e32 v28, 0xff, v5
	v_cvt_f32_fp8_sdwa v28, v28 src0_sel:BYTE_0
	s_nop 0
	v_mul_f32_e32 v28, s20, v28
	v_and_b32_e32 v30, 0x7f800000, v28
	v_cmp_ne_u32_e64 s[0:1], s21, v30
                                        ; implicit-def: $vgpr30
	s_and_saveexec_b64 s[18:19], s[0:1]
	s_xor_b64 s[0:1], exec, s[18:19]
; %bb.216:                              ;   in Loop: Header=BB328_100 Depth=1
	v_bfe_u32 v30, v28, 16, 1
	v_add3_u32 v30, v28, v30, s22
                                        ; implicit-def: $vgpr28
; %bb.217:                              ;   in Loop: Header=BB328_100 Depth=1
	s_andn2_saveexec_b64 s[18:19], s[0:1]
; %bb.218:                              ;   in Loop: Header=BB328_100 Depth=1
	v_or_b32_e32 v30, 0x10000, v28
	v_cmp_eq_u32_sdwa s[0:1], v28, v17 src0_sel:WORD_0 src1_sel:DWORD
	s_nop 1
	v_cndmask_b32_e64 v30, v30, v28, s[0:1]
; %bb.219:                              ;   in Loop: Header=BB328_100 Depth=1
	s_or_b64 exec, exec, s[18:19]
	v_bfe_u32 v28, v5, 8, 8
	v_cvt_f32_fp8_sdwa v28, v28 src0_sel:BYTE_0
	s_nop 0
	v_mul_f32_e32 v31, s20, v28
	v_and_b32_e32 v28, 0x7f800000, v31
	v_cmp_ne_u32_e64 s[0:1], s21, v28
                                        ; implicit-def: $vgpr28
	s_and_saveexec_b64 s[18:19], s[0:1]
	s_xor_b64 s[0:1], exec, s[18:19]
; %bb.220:                              ;   in Loop: Header=BB328_100 Depth=1
	v_bfe_u32 v28, v31, 16, 1
	v_add3_u32 v28, v31, v28, s22
                                        ; implicit-def: $vgpr31
; %bb.221:                              ;   in Loop: Header=BB328_100 Depth=1
	s_andn2_saveexec_b64 s[18:19], s[0:1]
; %bb.222:                              ;   in Loop: Header=BB328_100 Depth=1
	v_or_b32_e32 v28, 0x10000, v31
	v_cmp_eq_u32_sdwa s[0:1], v31, v17 src0_sel:WORD_0 src1_sel:DWORD
	s_nop 1
	v_cndmask_b32_e64 v28, v28, v31, s[0:1]
; %bb.223:                              ;   in Loop: Header=BB328_100 Depth=1
	s_or_b64 exec, exec, s[18:19]
	v_bfe_u32 v31, v5, 16, 8
	v_cvt_f32_fp8_sdwa v31, v31 src0_sel:BYTE_0
	s_nop 0
	v_mul_f32_e32 v31, s20, v31
	v_and_b32_e32 v32, 0x7f800000, v31
	v_cmp_ne_u32_e64 s[0:1], s21, v32
                                        ; implicit-def: $vgpr32
	s_and_saveexec_b64 s[18:19], s[0:1]
	s_xor_b64 s[0:1], exec, s[18:19]
; %bb.224:                              ;   in Loop: Header=BB328_100 Depth=1
	v_bfe_u32 v32, v31, 16, 1
	v_add3_u32 v32, v31, v32, s22
                                        ; implicit-def: $vgpr31
; %bb.225:                              ;   in Loop: Header=BB328_100 Depth=1
	s_andn2_saveexec_b64 s[18:19], s[0:1]
; %bb.226:                              ;   in Loop: Header=BB328_100 Depth=1
	v_or_b32_e32 v32, 0x10000, v31
	v_cmp_eq_u32_sdwa s[0:1], v31, v17 src0_sel:WORD_0 src1_sel:DWORD
	s_nop 1
	v_cndmask_b32_e64 v32, v32, v31, s[0:1]
; %bb.227:                              ;   in Loop: Header=BB328_100 Depth=1
	s_or_b64 exec, exec, s[18:19]
	v_lshrrev_b32_e32 v5, 24, v5
	v_cvt_f32_fp8_sdwa v5, v5 src0_sel:BYTE_0
                                        ; implicit-def: $vgpr33
	s_nop 0
	v_mul_f32_e32 v5, s20, v5
	v_and_b32_e32 v31, 0x7f800000, v5
	v_cmp_ne_u32_e64 s[0:1], s21, v31
	s_and_saveexec_b64 s[18:19], s[0:1]
	s_xor_b64 s[0:1], exec, s[18:19]
; %bb.228:                              ;   in Loop: Header=BB328_100 Depth=1
	v_bfe_u32 v31, v5, 16, 1
	v_add3_u32 v33, v5, v31, s22
                                        ; implicit-def: $vgpr5
; %bb.229:                              ;   in Loop: Header=BB328_100 Depth=1
	s_andn2_saveexec_b64 s[18:19], s[0:1]
; %bb.230:                              ;   in Loop: Header=BB328_100 Depth=1
	v_or_b32_e32 v31, 0x10000, v5
	v_cmp_eq_u32_sdwa s[0:1], v5, v17 src0_sel:WORD_0 src1_sel:DWORD
	s_nop 1
	v_cndmask_b32_e64 v33, v31, v5, s[0:1]
; %bb.231:                              ;   in Loop: Header=BB328_100 Depth=1
	s_or_b64 exec, exec, s[18:19]
	v_lshrrev_b32_e32 v28, 16, v28
	v_lshrrev_b32_e32 v30, 16, v30
	;; [unrolled: 1-line block ×8, first 2 shown]
	s_and_saveexec_b64 s[18:19], s[2:3]
	s_cbranch_execz .LBB328_233
; %bb.232:                              ;   in Loop: Header=BB328_100 Depth=1
	v_cmp_gt_i32_e64 s[0:1], s29, v6
	v_add_u32_e32 v6, -6, v11
	s_nop 0
	v_cndmask_b32_e64 v4, 0, v4, s[0:1]
	v_cmp_gt_i32_e64 s[0:1], s29, v6
	v_add_u32_e32 v6, -5, v11
	s_nop 0
	v_cndmask_b32_e64 v27, 0, v27, s[0:1]
	;; [unrolled: 4-line block ×6, first 2 shown]
	v_cmp_gt_i32_e64 s[0:1], s29, v6
	s_nop 1
	v_cndmask_b32_e64 v5, 0, v5, s[0:1]
	v_cmp_gt_i32_e64 s[0:1], s29, v11
	s_nop 1
	v_cndmask_b32_e64 v3, 0, v3, s[0:1]
.LBB328_233:                            ;   in Loop: Header=BB328_100 Depth=1
	s_or_b64 exec, exec, s[18:19]
	v_lshlrev_b32_e32 v4, 16, v4
	v_mul_f32_e32 v6, v7, v4
	v_and_b32_e32 v4, 0x7f800000, v6
	v_cmp_ne_u32_e64 s[0:1], s21, v4
                                        ; implicit-def: $vgpr4
	s_and_saveexec_b64 s[2:3], s[0:1]
	s_xor_b64 s[0:1], exec, s[2:3]
; %bb.234:                              ;   in Loop: Header=BB328_100 Depth=1
	v_bfe_u32 v4, v6, 16, 1
	v_add3_u32 v4, v6, v4, s22
                                        ; implicit-def: $vgpr6
; %bb.235:                              ;   in Loop: Header=BB328_100 Depth=1
	s_andn2_saveexec_b64 s[2:3], s[0:1]
; %bb.236:                              ;   in Loop: Header=BB328_100 Depth=1
	v_or_b32_e32 v4, 0x10000, v6
	v_cmp_eq_u32_sdwa s[0:1], v6, v17 src0_sel:WORD_0 src1_sel:DWORD
	s_nop 1
	v_cndmask_b32_e64 v4, v4, v6, s[0:1]
; %bb.237:                              ;   in Loop: Header=BB328_100 Depth=1
	s_or_b64 exec, exec, s[2:3]
	v_lshlrev_b32_e32 v6, 16, v27
	v_mul_f32_e32 v7, v8, v6
	v_and_b32_e32 v6, 0x7f800000, v7
	v_cmp_ne_u32_e64 s[0:1], s21, v6
                                        ; implicit-def: $vgpr6
	s_and_saveexec_b64 s[2:3], s[0:1]
	s_xor_b64 s[0:1], exec, s[2:3]
; %bb.238:                              ;   in Loop: Header=BB328_100 Depth=1
	v_bfe_u32 v6, v7, 16, 1
	v_add3_u32 v6, v7, v6, s22
                                        ; implicit-def: $vgpr7
; %bb.239:                              ;   in Loop: Header=BB328_100 Depth=1
	s_andn2_saveexec_b64 s[2:3], s[0:1]
; %bb.240:                              ;   in Loop: Header=BB328_100 Depth=1
	v_or_b32_e32 v6, 0x10000, v7
	v_cmp_eq_u32_sdwa s[0:1], v7, v17 src0_sel:WORD_0 src1_sel:DWORD
	s_nop 1
	v_cndmask_b32_e64 v6, v6, v7, s[0:1]
; %bb.241:                              ;   in Loop: Header=BB328_100 Depth=1
	s_or_b64 exec, exec, s[2:3]
	v_lshlrev_b32_e32 v7, 16, v29
	v_mul_f32_e32 v8, v9, v7
	v_and_b32_e32 v7, 0x7f800000, v8
	v_cmp_ne_u32_e64 s[0:1], s21, v7
                                        ; implicit-def: $vgpr7
	s_and_saveexec_b64 s[2:3], s[0:1]
	s_xor_b64 s[0:1], exec, s[2:3]
; %bb.242:                              ;   in Loop: Header=BB328_100 Depth=1
	v_bfe_u32 v7, v8, 16, 1
	v_add3_u32 v7, v8, v7, s22
                                        ; implicit-def: $vgpr8
; %bb.243:                              ;   in Loop: Header=BB328_100 Depth=1
	s_andn2_saveexec_b64 s[2:3], s[0:1]
; %bb.244:                              ;   in Loop: Header=BB328_100 Depth=1
	v_or_b32_e32 v7, 0x10000, v8
	v_cmp_eq_u32_sdwa s[0:1], v8, v17 src0_sel:WORD_0 src1_sel:DWORD
	s_nop 1
	v_cndmask_b32_e64 v7, v7, v8, s[0:1]
; %bb.245:                              ;   in Loop: Header=BB328_100 Depth=1
	s_or_b64 exec, exec, s[2:3]
	v_lshlrev_b32_e32 v8, 16, v31
	v_mul_f32_e32 v9, v13, v8
	v_and_b32_e32 v8, 0x7f800000, v9
	v_cmp_ne_u32_e64 s[0:1], s21, v8
                                        ; implicit-def: $vgpr8
	s_and_saveexec_b64 s[2:3], s[0:1]
	s_xor_b64 s[0:1], exec, s[2:3]
; %bb.246:                              ;   in Loop: Header=BB328_100 Depth=1
	v_bfe_u32 v8, v9, 16, 1
	v_add3_u32 v8, v9, v8, s22
                                        ; implicit-def: $vgpr9
; %bb.247:                              ;   in Loop: Header=BB328_100 Depth=1
	s_andn2_saveexec_b64 s[2:3], s[0:1]
; %bb.248:                              ;   in Loop: Header=BB328_100 Depth=1
	v_or_b32_e32 v8, 0x10000, v9
	v_cmp_eq_u32_sdwa s[0:1], v9, v17 src0_sel:WORD_0 src1_sel:DWORD
	s_nop 1
	v_cndmask_b32_e64 v8, v8, v9, s[0:1]
; %bb.249:                              ;   in Loop: Header=BB328_100 Depth=1
	s_or_b64 exec, exec, s[2:3]
	v_lshlrev_b32_e32 v9, 16, v30
	v_mul_f32_e32 v13, v23, v9
	v_and_b32_e32 v9, 0x7f800000, v13
	v_cmp_ne_u32_e64 s[0:1], s21, v9
                                        ; implicit-def: $vgpr9
	s_and_saveexec_b64 s[2:3], s[0:1]
	s_xor_b64 s[0:1], exec, s[2:3]
; %bb.250:                              ;   in Loop: Header=BB328_100 Depth=1
	v_bfe_u32 v9, v13, 16, 1
	v_add3_u32 v9, v13, v9, s22
                                        ; implicit-def: $vgpr13
; %bb.251:                              ;   in Loop: Header=BB328_100 Depth=1
	s_andn2_saveexec_b64 s[2:3], s[0:1]
; %bb.252:                              ;   in Loop: Header=BB328_100 Depth=1
	v_or_b32_e32 v9, 0x10000, v13
	v_cmp_eq_u32_sdwa s[0:1], v13, v17 src0_sel:WORD_0 src1_sel:DWORD
	s_nop 1
	v_cndmask_b32_e64 v9, v9, v13, s[0:1]
; %bb.253:                              ;   in Loop: Header=BB328_100 Depth=1
	s_or_b64 exec, exec, s[2:3]
	v_lshlrev_b32_e32 v13, 16, v28
	v_mul_f32_e32 v23, v24, v13
	v_and_b32_e32 v13, 0x7f800000, v23
	v_cmp_ne_u32_e64 s[0:1], s21, v13
                                        ; implicit-def: $vgpr13
	s_and_saveexec_b64 s[2:3], s[0:1]
	s_xor_b64 s[0:1], exec, s[2:3]
; %bb.254:                              ;   in Loop: Header=BB328_100 Depth=1
	v_bfe_u32 v13, v23, 16, 1
	v_add3_u32 v13, v23, v13, s22
                                        ; implicit-def: $vgpr23
; %bb.255:                              ;   in Loop: Header=BB328_100 Depth=1
	s_andn2_saveexec_b64 s[2:3], s[0:1]
; %bb.256:                              ;   in Loop: Header=BB328_100 Depth=1
	v_or_b32_e32 v13, 0x10000, v23
	v_cmp_eq_u32_sdwa s[0:1], v23, v17 src0_sel:WORD_0 src1_sel:DWORD
	s_nop 1
	v_cndmask_b32_e64 v13, v13, v23, s[0:1]
; %bb.257:                              ;   in Loop: Header=BB328_100 Depth=1
	s_or_b64 exec, exec, s[2:3]
	v_lshlrev_b32_e32 v5, 16, v5
	v_mul_f32_e32 v23, v25, v5
	v_and_b32_e32 v5, 0x7f800000, v23
	v_cmp_ne_u32_e64 s[0:1], s21, v5
                                        ; implicit-def: $vgpr5
	s_and_saveexec_b64 s[2:3], s[0:1]
	s_xor_b64 s[0:1], exec, s[2:3]
; %bb.258:                              ;   in Loop: Header=BB328_100 Depth=1
	v_bfe_u32 v5, v23, 16, 1
	v_add3_u32 v5, v23, v5, s22
                                        ; implicit-def: $vgpr23
; %bb.259:                              ;   in Loop: Header=BB328_100 Depth=1
	s_andn2_saveexec_b64 s[2:3], s[0:1]
; %bb.260:                              ;   in Loop: Header=BB328_100 Depth=1
	v_or_b32_e32 v5, 0x10000, v23
	v_cmp_eq_u32_sdwa s[0:1], v23, v17 src0_sel:WORD_0 src1_sel:DWORD
	s_nop 1
	v_cndmask_b32_e64 v5, v5, v23, s[0:1]
; %bb.261:                              ;   in Loop: Header=BB328_100 Depth=1
	s_or_b64 exec, exec, s[2:3]
	v_lshlrev_b32_e32 v3, 16, v3
	v_mul_f32_e32 v3, v26, v3
	v_and_b32_e32 v23, 0x7f800000, v3
	v_cmp_ne_u32_e64 s[0:1], s21, v23
                                        ; implicit-def: $vgpr23
	s_and_saveexec_b64 s[2:3], s[0:1]
	s_xor_b64 s[0:1], exec, s[2:3]
; %bb.262:                              ;   in Loop: Header=BB328_100 Depth=1
	v_bfe_u32 v23, v3, 16, 1
	v_add3_u32 v23, v3, v23, s22
                                        ; implicit-def: $vgpr3
; %bb.263:                              ;   in Loop: Header=BB328_100 Depth=1
	s_andn2_saveexec_b64 s[2:3], s[0:1]
	s_cbranch_execz .LBB328_98
; %bb.264:                              ;   in Loop: Header=BB328_100 Depth=1
	v_or_b32_e32 v23, 0x10000, v3
	v_cmp_eq_u32_sdwa s[0:1], v3, v17 src0_sel:WORD_0 src1_sel:DWORD
	s_nop 1
	v_cndmask_b32_e64 v23, v23, v3, s[0:1]
	s_branch .LBB328_98
.LBB328_265:
	s_or_b64 exec, exec, s[14:15]
.LBB328_266:
	s_or_b64 exec, exec, s[12:13]
	v_and_b32_e32 v3, 0x3c0, v0
	v_cmp_eq_u32_e32 vcc, 64, v3
	s_barrier
	s_and_saveexec_b64 s[0:1], vcc
	s_cbranch_execz .LBB328_269
; %bb.267:
	v_mov_b32_e32 v3, 0xf0
	v_lshl_add_u32 v1, v1, 2, v3
	ds_write_b32 v1, v2
	s_and_b64 exec, exec, s[10:11]
	s_cbranch_execz .LBB328_269
; %bb.268:
	v_lshl_add_u32 v1, v0, 2, v3
	ds_write_b32 v1, v15
.LBB328_269:
	s_or_b64 exec, exec, s[0:1]
	v_cmp_gt_u32_e32 vcc, 64, v0
	v_or_b32_e32 v1, 64, v0
	s_waitcnt lgkmcnt(0)
	s_barrier
	s_and_saveexec_b64 s[2:3], vcc
	s_cbranch_execz .LBB328_273
; %bb.270:
	v_mov_b32_e32 v3, 0xf0
	v_lshl_add_u32 v3, v0, 2, v3
	ds_read_b32 v0, v3
	s_movk_i32 s0, 0x70
	v_cmp_gt_u32_e64 s[0:1], s0, v1
	s_and_saveexec_b64 s[6:7], s[0:1]
	s_cbranch_execz .LBB328_272
; %bb.271:
	ds_read_b32 v3, v3 offset:256
	s_waitcnt lgkmcnt(0)
	v_add_f32_e32 v15, v15, v3
.LBB328_272:
	s_or_b64 exec, exec, s[6:7]
	s_waitcnt lgkmcnt(0)
	v_add_f32_e32 v2, v2, v0
.LBB328_273:
	s_or_b64 exec, exec, s[2:3]
	s_barrier
	s_and_saveexec_b64 s[0:1], vcc
	s_cbranch_execz .LBB328_284
; %bb.274:
	s_mov_b32 s0, 0x7f800000
	v_and_b32_e32 v0, 0x7f800000, v2
	v_cmp_ne_u32_e32 vcc, s0, v0
                                        ; implicit-def: $vgpr0
	s_and_saveexec_b64 s[0:1], vcc
	s_xor_b64 s[0:1], exec, s[0:1]
; %bb.275:
	v_bfe_u32 v0, v2, 16, 1
	s_movk_i32 s2, 0x7fff
	v_add3_u32 v0, v2, v0, s2
                                        ; implicit-def: $vgpr2
; %bb.276:
	s_andn2_saveexec_b64 s[0:1], s[0:1]
; %bb.277:
	v_mov_b32_e32 v0, 0
	v_or_b32_e32 v3, 0x10000, v2
	v_cmp_eq_u32_sdwa vcc, v2, v0 src0_sel:WORD_0 src1_sel:DWORD
	s_nop 1
	v_cndmask_b32_e32 v0, v3, v2, vcc
; %bb.278:
	s_or_b64 exec, exec, s[0:1]
	s_mul_i32 s0, s8, 0x70
	s_ashr_i32 s1, s0, 31
	s_lshl_b64 s[0:1], s[0:1], 1
	s_add_u32 s3, s26, s0
	s_mul_i32 s0, s25, s24
	s_addc_u32 s5, s27, s1
	s_ashr_i32 s1, s0, 31
	s_lshl_b64 s[0:1], s[0:1], 1
	s_add_u32 s3, s3, s0
	s_mul_i32 s0, s4, 0x70
	s_addc_u32 s5, s5, s1
	s_ashr_i32 s1, s0, 31
	s_lshl_b64 s[0:1], s[0:1], 1
	s_movk_i32 s2, 0x70
	s_add_u32 s0, s3, s0
	s_addc_u32 s1, s5, s1
	v_cmp_gt_u32_e32 vcc, s2, v1
	global_store_short_d16_hi v10, v0, s[0:1]
	s_and_b64 exec, exec, vcc
	s_cbranch_execz .LBB328_284
; %bb.279:
	s_mov_b32 s2, 0x7f800000
	v_and_b32_e32 v0, 0x7f800000, v15
	v_mov_b32_e32 v11, 0
	v_cmp_ne_u32_e32 vcc, s2, v0
                                        ; implicit-def: $vgpr2
	s_and_saveexec_b64 s[2:3], vcc
	s_xor_b64 s[2:3], exec, s[2:3]
; %bb.280:
	v_bfe_u32 v0, v15, 16, 1
	s_movk_i32 s4, 0x7fff
	v_add3_u32 v2, v15, v0, s4
                                        ; implicit-def: $vgpr15
; %bb.281:
	s_or_saveexec_b64 s[2:3], s[2:3]
	v_lshl_add_u64 v[0:1], s[0:1], 0, v[10:11]
	s_xor_b64 exec, exec, s[2:3]
; %bb.282:
	v_mov_b32_e32 v2, 0
	v_or_b32_e32 v3, 0x10000, v15
	v_cmp_eq_u32_sdwa vcc, v15, v2 src0_sel:WORD_0 src1_sel:DWORD
	s_nop 1
	v_cndmask_b32_e32 v2, v3, v15, vcc
; %bb.283:
	s_or_b64 exec, exec, s[2:3]
	global_store_short_d16_hi v[0:1], v2, off offset:128
.LBB328_284:
	s_endpgm
	.section	.rodata,"a",@progbits
	.p2align	6, 0x0
	.amdhsa_kernel _ZN4vllm25paged_attention_v2_kernelI14__hip_bfloat16hLi112ELi8ELi128ELNS_18Fp8KVCacheDataTypeE1ELb0ELi512EEEvPfS3_PT_PKS4_PKT0_SA_ifPKiSC_iPKfiiiSE_SE_iiiii
		.amdhsa_group_segment_fixed_size 240
		.amdhsa_private_segment_fixed_size 0
		.amdhsa_kernarg_size 400
		.amdhsa_user_sgpr_count 2
		.amdhsa_user_sgpr_dispatch_ptr 0
		.amdhsa_user_sgpr_queue_ptr 0
		.amdhsa_user_sgpr_kernarg_segment_ptr 1
		.amdhsa_user_sgpr_dispatch_id 0
		.amdhsa_user_sgpr_kernarg_preload_length 0
		.amdhsa_user_sgpr_kernarg_preload_offset 0
		.amdhsa_user_sgpr_private_segment_size 0
		.amdhsa_uses_dynamic_stack 0
		.amdhsa_enable_private_segment 0
		.amdhsa_system_sgpr_workgroup_id_x 1
		.amdhsa_system_sgpr_workgroup_id_y 1
		.amdhsa_system_sgpr_workgroup_id_z 1
		.amdhsa_system_sgpr_workgroup_info 0
		.amdhsa_system_vgpr_workitem_id 0
		.amdhsa_next_free_vgpr 51
		.amdhsa_next_free_sgpr 49
		.amdhsa_accum_offset 52
		.amdhsa_reserve_vcc 1
		.amdhsa_float_round_mode_32 0
		.amdhsa_float_round_mode_16_64 0
		.amdhsa_float_denorm_mode_32 3
		.amdhsa_float_denorm_mode_16_64 3
		.amdhsa_dx10_clamp 1
		.amdhsa_ieee_mode 1
		.amdhsa_fp16_overflow 0
		.amdhsa_tg_split 0
		.amdhsa_exception_fp_ieee_invalid_op 0
		.amdhsa_exception_fp_denorm_src 0
		.amdhsa_exception_fp_ieee_div_zero 0
		.amdhsa_exception_fp_ieee_overflow 0
		.amdhsa_exception_fp_ieee_underflow 0
		.amdhsa_exception_fp_ieee_inexact 0
		.amdhsa_exception_int_div_zero 0
	.end_amdhsa_kernel
	.section	.text._ZN4vllm25paged_attention_v2_kernelI14__hip_bfloat16hLi112ELi8ELi128ELNS_18Fp8KVCacheDataTypeE1ELb0ELi512EEEvPfS3_PT_PKS4_PKT0_SA_ifPKiSC_iPKfiiiSE_SE_iiiii,"axG",@progbits,_ZN4vllm25paged_attention_v2_kernelI14__hip_bfloat16hLi112ELi8ELi128ELNS_18Fp8KVCacheDataTypeE1ELb0ELi512EEEvPfS3_PT_PKS4_PKT0_SA_ifPKiSC_iPKfiiiSE_SE_iiiii,comdat
.Lfunc_end328:
	.size	_ZN4vllm25paged_attention_v2_kernelI14__hip_bfloat16hLi112ELi8ELi128ELNS_18Fp8KVCacheDataTypeE1ELb0ELi512EEEvPfS3_PT_PKS4_PKT0_SA_ifPKiSC_iPKfiiiSE_SE_iiiii, .Lfunc_end328-_ZN4vllm25paged_attention_v2_kernelI14__hip_bfloat16hLi112ELi8ELi128ELNS_18Fp8KVCacheDataTypeE1ELb0ELi512EEEvPfS3_PT_PKS4_PKT0_SA_ifPKiSC_iPKfiiiSE_SE_iiiii
                                        ; -- End function
	.section	.AMDGPU.csdata,"",@progbits
; Kernel info:
; codeLenInByte = 9424
; NumSgprs: 55
; NumVgprs: 51
; NumAgprs: 0
; TotalNumVgprs: 51
; ScratchSize: 0
; MemoryBound: 0
; FloatMode: 240
; IeeeMode: 1
; LDSByteSize: 240 bytes/workgroup (compile time only)
; SGPRBlocks: 6
; VGPRBlocks: 6
; NumSGPRsForWavesPerEU: 55
; NumVGPRsForWavesPerEU: 51
; AccumOffset: 52
; Occupancy: 8
; WaveLimiterHint : 1
; COMPUTE_PGM_RSRC2:SCRATCH_EN: 0
; COMPUTE_PGM_RSRC2:USER_SGPR: 2
; COMPUTE_PGM_RSRC2:TRAP_HANDLER: 0
; COMPUTE_PGM_RSRC2:TGID_X_EN: 1
; COMPUTE_PGM_RSRC2:TGID_Y_EN: 1
; COMPUTE_PGM_RSRC2:TGID_Z_EN: 1
; COMPUTE_PGM_RSRC2:TIDIG_COMP_CNT: 0
; COMPUTE_PGM_RSRC3_GFX90A:ACCUM_OFFSET: 12
; COMPUTE_PGM_RSRC3_GFX90A:TG_SPLIT: 0
	.section	.text._ZN4vllm25paged_attention_v2_kernelI14__hip_bfloat16hLi120ELi8ELi128ELNS_18Fp8KVCacheDataTypeE1ELb0ELi512EEEvPfS3_PT_PKS4_PKT0_SA_ifPKiSC_iPKfiiiSE_SE_iiiii,"axG",@progbits,_ZN4vllm25paged_attention_v2_kernelI14__hip_bfloat16hLi120ELi8ELi128ELNS_18Fp8KVCacheDataTypeE1ELb0ELi512EEEvPfS3_PT_PKS4_PKT0_SA_ifPKiSC_iPKfiiiSE_SE_iiiii,comdat
	.protected	_ZN4vllm25paged_attention_v2_kernelI14__hip_bfloat16hLi120ELi8ELi128ELNS_18Fp8KVCacheDataTypeE1ELb0ELi512EEEvPfS3_PT_PKS4_PKT0_SA_ifPKiSC_iPKfiiiSE_SE_iiiii ; -- Begin function _ZN4vllm25paged_attention_v2_kernelI14__hip_bfloat16hLi120ELi8ELi128ELNS_18Fp8KVCacheDataTypeE1ELb0ELi512EEEvPfS3_PT_PKS4_PKT0_SA_ifPKiSC_iPKfiiiSE_SE_iiiii
	.globl	_ZN4vllm25paged_attention_v2_kernelI14__hip_bfloat16hLi120ELi8ELi128ELNS_18Fp8KVCacheDataTypeE1ELb0ELi512EEEvPfS3_PT_PKS4_PKT0_SA_ifPKiSC_iPKfiiiSE_SE_iiiii
	.p2align	8
	.type	_ZN4vllm25paged_attention_v2_kernelI14__hip_bfloat16hLi120ELi8ELi128ELNS_18Fp8KVCacheDataTypeE1ELb0ELi512EEEvPfS3_PT_PKS4_PKT0_SA_ifPKiSC_iPKfiiiSE_SE_iiiii,@function
_ZN4vllm25paged_attention_v2_kernelI14__hip_bfloat16hLi120ELi8ELi128ELNS_18Fp8KVCacheDataTypeE1ELb0ELi512EEEvPfS3_PT_PKS4_PKT0_SA_ifPKiSC_iPKfiiiSE_SE_iiiii: ; @_ZN4vllm25paged_attention_v2_kernelI14__hip_bfloat16hLi120ELi8ELi128ELNS_18Fp8KVCacheDataTypeE1ELb0ELi512EEEvPfS3_PT_PKS4_PKT0_SA_ifPKiSC_iPKfiiiSE_SE_iiiii
; %bb.0:
	s_load_dwordx2 s[6:7], s[0:1], 0x40
	s_mov_b32 s28, s3
	s_ashr_i32 s29, s3, 31
	s_lshl_b64 s[8:9], s[28:29], 2
	s_waitcnt lgkmcnt(0)
	s_add_u32 s6, s6, s8
	s_addc_u32 s7, s7, s9
	s_load_dword s29, s[6:7], 0x0
	s_lshl_b32 s42, s4, 9
	s_waitcnt lgkmcnt(0)
	s_cmp_ge_i32 s42, s29
	s_cbranch_scc1 .LBB329_288
; %bb.1:
	s_load_dword s5, s[0:1], 0x90
	s_load_dwordx2 s[38:39], s[0:1], 0x30
	s_mov_b32 s43, 0
	s_waitcnt lgkmcnt(0)
	s_abs_i32 s7, s5
	s_abs_i32 s3, s38
	v_cvt_f32_u32_e32 v1, s3
	s_sub_i32 s8, 0, s3
	s_xor_b32 s6, s5, s38
	s_ashr_i32 s6, s6, 31
	v_rcp_iflag_f32_e32 v1, v1
	s_nop 0
	v_mul_f32_e32 v1, 0x4f7ffffe, v1
	v_cvt_u32_f32_e32 v1, v1
	s_nop 0
	v_readfirstlane_b32 s9, v1
	s_mul_i32 s8, s8, s9
	s_mul_hi_u32 s8, s9, s8
	s_add_i32 s9, s9, s8
	s_mul_hi_u32 s8, s7, s9
	s_mul_i32 s9, s8, s3
	s_sub_i32 s7, s7, s9
	s_add_i32 s10, s8, 1
	s_sub_i32 s9, s7, s3
	s_cmp_ge_u32 s7, s3
	s_cselect_b32 s8, s10, s8
	s_cselect_b32 s7, s9, s7
	s_add_i32 s9, s8, 1
	s_cmp_ge_u32 s7, s3
	s_cselect_b32 s3, s9, s8
	s_xor_b32 s3, s3, s6
	s_sub_i32 s10, s3, s6
	s_abs_i32 s8, s10
	v_cvt_f32_u32_e32 v1, s8
	s_load_dwordx2 s[6:7], s[0:1], 0x50
	s_sub_i32 s3, 0, s8
	s_abs_i32 s9, s2
	v_rcp_iflag_f32_e32 v1, v1
	s_nop 0
	v_mul_f32_e32 v1, 0x4f7ffffe, v1
	v_cvt_u32_f32_e32 v1, v1
	s_nop 0
	v_readfirstlane_b32 s11, v1
	s_mul_i32 s3, s3, s11
	s_mul_hi_u32 s3, s11, s3
	s_add_i32 s11, s11, s3
	s_waitcnt lgkmcnt(0)
	s_cmp_eq_u64 s[6:7], 0
	s_mul_hi_u32 s12, s9, s11
	s_cbranch_scc1 .LBB329_3
; %bb.2:
	s_ashr_i32 s3, s2, 31
	s_lshl_b64 s[14:15], s[2:3], 2
	s_add_u32 s6, s6, s14
	s_addc_u32 s7, s7, s15
	s_load_dword s43, s[6:7], 0x0
.LBB329_3:
	s_load_dwordx4 s[16:19], s[0:1], 0x58
	s_movk_i32 s3, 0x78
	s_ashr_i32 s13, s2, 31
	s_ashr_i32 s14, s10, 31
	v_and_b32_e32 v2, 7, v0
	s_mul_i32 s24, s2, 0x78
	v_cmp_gt_u32_e64 s[10:11], s3, v0
	v_lshlrev_b32_e32 v10, 1, v0
	s_and_saveexec_b64 s[6:7], s[10:11]
	s_cbranch_execz .LBB329_5
; %bb.4:
	s_load_dwordx2 s[20:21], s[0:1], 0x18
	s_waitcnt lgkmcnt(0)
	s_mul_i32 s22, s28, s16
	s_ashr_i32 s23, s22, 31
	s_lshl_b64 s[22:23], s[22:23], 1
	v_lshrrev_b32_e32 v3, 2, v0
	s_add_u32 s3, s20, s22
	s_addc_u32 s15, s21, s23
	s_ashr_i32 s25, s24, 31
	s_lshl_b64 s[20:21], s[24:25], 1
	s_add_u32 s20, s3, s20
	s_addc_u32 s21, s15, s21
	global_load_ushort v1, v10, s[20:21]
	v_and_b32_e32 v3, 0xfe, v3
	v_mad_u32_u24 v3, v2, 30, v3
	s_waitcnt vmcnt(0)
	ds_write_b16 v3, v1
.LBB329_5:
	s_or_b64 exec, exec, s[6:7]
	s_add_i32 s3, s29, 7
	s_ashr_i32 s6, s3, 31
	s_lshr_b32 s6, s6, 29
	s_add_i32 s3, s3, s6
	s_lshl_b32 s38, s4, 6
	s_mul_i32 s7, s12, s8
	s_ashr_i32 s3, s3, 3
	s_add_i32 s6, s38, 64
	s_sub_i32 s7, s9, s7
	s_min_i32 s33, s6, s3
	s_xor_b32 s6, s13, s14
	s_add_i32 s9, s12, 1
	s_sub_i32 s13, s7, s8
	s_cmp_ge_u32 s7, s8
	s_cselect_b32 s9, s9, s12
	s_cselect_b32 s7, s13, s7
	s_add_i32 s12, s9, 1
	s_cmp_ge_u32 s7, s8
	s_load_dwordx2 s[30:31], s[0:1], 0x38
	s_load_dword s8, s[0:1], 0x48
	v_lshrrev_b32_e32 v14, 6, v0
	s_cselect_b32 s7, s12, s9
	s_xor_b32 s7, s7, s6
	v_or_b32_e32 v12, s38, v14
	s_waitcnt lgkmcnt(0)
	s_mul_i32 s34, s28, s8
	s_sub_i32 s16, s7, s6
	s_ashr_i32 s35, s34, 31
	v_cmp_gt_i32_e64 s[6:7], s33, v12
	v_cmp_le_i32_e32 vcc, s33, v12
	v_mbcnt_lo_u32_b32 v6, -1, 0
	s_barrier
	s_waitcnt lgkmcnt(0)
                                        ; implicit-def: $sgpr19
                                        ; implicit-def: $vgpr15
                                        ; implicit-def: $vgpr16
	s_and_saveexec_b64 s[8:9], vcc
	s_xor_b64 s[8:9], exec, s[8:9]
; %bb.6:
	v_mbcnt_hi_u32_b32 v15, -1, v6
	v_and_b32_e32 v1, 64, v15
	v_add_u32_e32 v16, 64, v1
	s_mov_b32 s19, 0xff7fffff
                                        ; implicit-def: $vgpr2
                                        ; implicit-def: $vgpr6
; %bb.7:
	s_or_saveexec_b64 s[40:41], s[8:9]
	s_load_dwordx4 s[20:23], s[0:1], 0x0
	s_load_dwordx2 s[26:27], s[0:1], 0x10
	s_load_dword s25, s[0:1], 0x98
	s_load_dwordx2 s[36:37], s[0:1], 0x28
	s_load_dwordx4 s[12:15], s[0:1], 0x68
	v_mov_b32_e32 v31, s19
	s_mul_i32 s16, s16, s18
	v_ashrrev_i32_e32 v13, 31, v12
	v_lshlrev_b32_e32 v11, 3, v14
	s_xor_b64 exec, exec, s[40:41]
	s_cbranch_execz .LBB329_73
; %bb.8:
	v_mbcnt_hi_u32_b32 v15, -1, v6
	v_and_b32_e32 v6, 64, v15
	v_add_u32_e32 v16, 64, v6
	v_xor_b32_e32 v6, 4, v15
	s_load_dwordx2 s[0:1], s[0:1], 0x20
	v_cmp_lt_i32_e32 vcc, v6, v16
	s_ashr_i32 s8, s16, 31
	v_mul_u32_u24_e32 v1, 30, v2
	v_cndmask_b32_e32 v6, v15, v6, vcc
	v_lshlrev_b32_e32 v32, 2, v6
	v_xor_b32_e32 v6, 2, v15
	v_cmp_lt_i32_e32 vcc, v6, v16
	v_bfe_u32 v7, v0, 3, 3
	s_waitcnt lgkmcnt(0)
	s_add_u32 s0, s0, s16
	v_cndmask_b32_e32 v6, v15, v6, vcc
	v_mov_b32_e32 v3, 0
	ds_read_b128 v[20:23], v1
	ds_read_b96 v[28:30], v1 offset:16
	ds_read_u16 v8, v1 offset:28
	v_lshlrev_b32_e32 v33, 2, v6
	v_xor_b32_e32 v6, 1, v15
	v_lshlrev_b32_e32 v4, 4, v7
	s_addc_u32 s1, s1, s8
	v_mov_b32_e32 v5, v3
	v_cmp_lt_i32_e32 vcc, v6, v16
	s_load_dword s45, s[12:13], 0x0
	v_lshl_add_u64 v[4:5], s[0:1], 0, v[4:5]
	v_cndmask_b32_e32 v6, v15, v6, vcc
	s_sub_i32 s46, 1, s29
	s_lshl_b64 s[0:1], s[34:35], 2
	v_lshlrev_b32_e32 v34, 2, v6
	v_lshlrev_b32_e32 v6, 2, v7
	s_add_u32 s0, s30, s0
	v_lshl_or_b32 v6, v14, 5, v6
	s_addc_u32 s1, s31, s1
	s_mov_b32 s44, s17
	s_waitcnt lgkmcnt(0)
	v_lshlrev_b32_e32 v1, 16, v20
	v_and_b32_e32 v17, 0xffff0000, v20
	v_lshlrev_b32_e32 v18, 16, v21
	v_and_b32_e32 v19, 0xffff0000, v21
	;; [unrolled: 2-line block ×7, first 2 shown]
	v_lshlrev_b32_e32 v30, 16, v8
	v_cmp_eq_u32_e32 vcc, 0, v2
	v_cmp_neq_f32_e64 s[8:9], s43, 0
	v_add3_u32 v35, s42, v11, v7
	v_add_u32_e32 v36, 0x100, v6
	v_lshl_add_u64 v[6:7], v[12:13], 2, s[0:1]
	s_mov_b64 s[12:13], 0
	v_mov_b32_e32 v31, 0xff7fffff
	s_mov_b32 s47, 0x7f800000
	s_movk_i32 s48, 0x7fff
	v_mov_b32_e32 v37, v12
	s_branch .LBB329_10
.LBB329_9:                              ;   in Loop: Header=BB329_10 Depth=1
	s_or_b64 exec, exec, s[18:19]
	v_add_u32_e32 v37, 2, v37
	v_cmp_le_i32_e64 s[0:1], s33, v37
	v_add_u32_e32 v35, 16, v35
	v_add_u32_e32 v36, 64, v36
	s_or_b64 s[12:13], s[0:1], s[12:13]
	v_lshl_add_u64 v[6:7], v[6:7], 0, 8
	s_andn2_b64 exec, exec, s[12:13]
	s_cbranch_execz .LBB329_72
.LBB329_10:                             ; =>This Inner Loop Header: Depth=1
	global_load_dword v8, v[6:7], off
	s_waitcnt vmcnt(0) lgkmcnt(0)
	v_mad_i64_i32 v[8:9], s[0:1], v8, s44, v[4:5]
	v_lshl_add_u64 v[8:9], v[8:9], 0, v[2:3]
	global_load_ubyte v38, v[8:9], off
	s_waitcnt vmcnt(0)
	v_cvt_f32_fp8_sdwa v38, v38 src0_sel:BYTE_0
	s_nop 0
	v_mul_f32_e32 v39, s45, v38
	v_and_b32_e32 v38, 0x7f800000, v39
	v_cmp_ne_u32_e64 s[0:1], s47, v38
                                        ; implicit-def: $vgpr38
	s_and_saveexec_b64 s[18:19], s[0:1]
	s_xor_b64 s[0:1], exec, s[18:19]
; %bb.11:                               ;   in Loop: Header=BB329_10 Depth=1
	v_bfe_u32 v38, v39, 16, 1
	v_add3_u32 v38, v39, v38, s48
                                        ; implicit-def: $vgpr39
; %bb.12:                               ;   in Loop: Header=BB329_10 Depth=1
	s_andn2_saveexec_b64 s[18:19], s[0:1]
; %bb.13:                               ;   in Loop: Header=BB329_10 Depth=1
	v_or_b32_e32 v38, 0x10000, v39
	v_cmp_eq_u32_sdwa s[0:1], v39, v3 src0_sel:WORD_0 src1_sel:DWORD
	s_nop 1
	v_cndmask_b32_e64 v38, v38, v39, s[0:1]
; %bb.14:                               ;   in Loop: Header=BB329_10 Depth=1
	s_or_b64 exec, exec, s[18:19]
	global_load_ubyte v39, v[8:9], off offset:8
	s_waitcnt vmcnt(0)
	v_cvt_f32_fp8_sdwa v39, v39 src0_sel:BYTE_0
	s_nop 0
	v_mul_f32_e32 v40, s45, v39
	v_and_b32_e32 v39, 0x7f800000, v40
	v_cmp_ne_u32_e64 s[0:1], s47, v39
                                        ; implicit-def: $vgpr39
	s_and_saveexec_b64 s[18:19], s[0:1]
	s_xor_b64 s[0:1], exec, s[18:19]
; %bb.15:                               ;   in Loop: Header=BB329_10 Depth=1
	v_bfe_u32 v39, v40, 16, 1
	v_add3_u32 v39, v40, v39, s48
                                        ; implicit-def: $vgpr40
; %bb.16:                               ;   in Loop: Header=BB329_10 Depth=1
	s_andn2_saveexec_b64 s[18:19], s[0:1]
; %bb.17:                               ;   in Loop: Header=BB329_10 Depth=1
	v_or_b32_e32 v39, 0x10000, v40
	v_cmp_eq_u32_sdwa s[0:1], v40, v3 src0_sel:WORD_0 src1_sel:DWORD
	s_nop 1
	v_cndmask_b32_e64 v39, v39, v40, s[0:1]
; %bb.18:                               ;   in Loop: Header=BB329_10 Depth=1
	s_or_b64 exec, exec, s[18:19]
	global_load_ubyte v40, v[8:9], off offset:128
	s_waitcnt vmcnt(0)
	v_cvt_f32_fp8_sdwa v40, v40 src0_sel:BYTE_0
	s_nop 0
	v_mul_f32_e32 v41, s45, v40
	v_and_b32_e32 v40, 0x7f800000, v41
	v_cmp_ne_u32_e64 s[0:1], s47, v40
                                        ; implicit-def: $vgpr40
	s_and_saveexec_b64 s[18:19], s[0:1]
	s_xor_b64 s[0:1], exec, s[18:19]
; %bb.19:                               ;   in Loop: Header=BB329_10 Depth=1
	v_bfe_u32 v40, v41, 16, 1
	v_add3_u32 v40, v41, v40, s48
                                        ; implicit-def: $vgpr41
; %bb.20:                               ;   in Loop: Header=BB329_10 Depth=1
	s_andn2_saveexec_b64 s[18:19], s[0:1]
; %bb.21:                               ;   in Loop: Header=BB329_10 Depth=1
	v_or_b32_e32 v40, 0x10000, v41
	v_cmp_eq_u32_sdwa s[0:1], v41, v3 src0_sel:WORD_0 src1_sel:DWORD
	s_nop 1
	v_cndmask_b32_e64 v40, v40, v41, s[0:1]
; %bb.22:                               ;   in Loop: Header=BB329_10 Depth=1
	s_or_b64 exec, exec, s[18:19]
	global_load_ubyte v41, v[8:9], off offset:136
	s_waitcnt vmcnt(0)
	v_cvt_f32_fp8_sdwa v41, v41 src0_sel:BYTE_0
	s_nop 0
	v_mul_f32_e32 v42, s45, v41
	v_and_b32_e32 v41, 0x7f800000, v42
	v_cmp_ne_u32_e64 s[0:1], s47, v41
                                        ; implicit-def: $vgpr41
	s_and_saveexec_b64 s[18:19], s[0:1]
	s_xor_b64 s[0:1], exec, s[18:19]
; %bb.23:                               ;   in Loop: Header=BB329_10 Depth=1
	v_bfe_u32 v41, v42, 16, 1
	v_add3_u32 v41, v42, v41, s48
                                        ; implicit-def: $vgpr42
; %bb.24:                               ;   in Loop: Header=BB329_10 Depth=1
	s_andn2_saveexec_b64 s[18:19], s[0:1]
; %bb.25:                               ;   in Loop: Header=BB329_10 Depth=1
	v_or_b32_e32 v41, 0x10000, v42
	v_cmp_eq_u32_sdwa s[0:1], v42, v3 src0_sel:WORD_0 src1_sel:DWORD
	s_nop 1
	v_cndmask_b32_e64 v41, v41, v42, s[0:1]
; %bb.26:                               ;   in Loop: Header=BB329_10 Depth=1
	s_or_b64 exec, exec, s[18:19]
	global_load_ubyte v42, v[8:9], off offset:256
	s_waitcnt vmcnt(0)
	v_cvt_f32_fp8_sdwa v42, v42 src0_sel:BYTE_0
	s_nop 0
	v_mul_f32_e32 v43, s45, v42
	v_and_b32_e32 v42, 0x7f800000, v43
	v_cmp_ne_u32_e64 s[0:1], s47, v42
                                        ; implicit-def: $vgpr42
	s_and_saveexec_b64 s[18:19], s[0:1]
	s_xor_b64 s[0:1], exec, s[18:19]
; %bb.27:                               ;   in Loop: Header=BB329_10 Depth=1
	v_bfe_u32 v42, v43, 16, 1
	v_add3_u32 v42, v43, v42, s48
                                        ; implicit-def: $vgpr43
; %bb.28:                               ;   in Loop: Header=BB329_10 Depth=1
	s_andn2_saveexec_b64 s[18:19], s[0:1]
; %bb.29:                               ;   in Loop: Header=BB329_10 Depth=1
	v_or_b32_e32 v42, 0x10000, v43
	v_cmp_eq_u32_sdwa s[0:1], v43, v3 src0_sel:WORD_0 src1_sel:DWORD
	s_nop 1
	v_cndmask_b32_e64 v42, v42, v43, s[0:1]
; %bb.30:                               ;   in Loop: Header=BB329_10 Depth=1
	s_or_b64 exec, exec, s[18:19]
	global_load_ubyte v43, v[8:9], off offset:264
	s_waitcnt vmcnt(0)
	v_cvt_f32_fp8_sdwa v43, v43 src0_sel:BYTE_0
	s_nop 0
	v_mul_f32_e32 v44, s45, v43
	v_and_b32_e32 v43, 0x7f800000, v44
	v_cmp_ne_u32_e64 s[0:1], s47, v43
                                        ; implicit-def: $vgpr43
	s_and_saveexec_b64 s[18:19], s[0:1]
	s_xor_b64 s[0:1], exec, s[18:19]
; %bb.31:                               ;   in Loop: Header=BB329_10 Depth=1
	v_bfe_u32 v43, v44, 16, 1
	v_add3_u32 v43, v44, v43, s48
                                        ; implicit-def: $vgpr44
; %bb.32:                               ;   in Loop: Header=BB329_10 Depth=1
	s_andn2_saveexec_b64 s[18:19], s[0:1]
; %bb.33:                               ;   in Loop: Header=BB329_10 Depth=1
	v_or_b32_e32 v43, 0x10000, v44
	v_cmp_eq_u32_sdwa s[0:1], v44, v3 src0_sel:WORD_0 src1_sel:DWORD
	s_nop 1
	v_cndmask_b32_e64 v43, v43, v44, s[0:1]
; %bb.34:                               ;   in Loop: Header=BB329_10 Depth=1
	s_or_b64 exec, exec, s[18:19]
	global_load_ubyte v44, v[8:9], off offset:384
	s_waitcnt vmcnt(0)
	v_cvt_f32_fp8_sdwa v44, v44 src0_sel:BYTE_0
	s_nop 0
	v_mul_f32_e32 v45, s45, v44
	v_and_b32_e32 v44, 0x7f800000, v45
	v_cmp_ne_u32_e64 s[0:1], s47, v44
                                        ; implicit-def: $vgpr44
	s_and_saveexec_b64 s[18:19], s[0:1]
	s_xor_b64 s[0:1], exec, s[18:19]
; %bb.35:                               ;   in Loop: Header=BB329_10 Depth=1
	v_bfe_u32 v44, v45, 16, 1
	v_add3_u32 v44, v45, v44, s48
                                        ; implicit-def: $vgpr45
; %bb.36:                               ;   in Loop: Header=BB329_10 Depth=1
	s_andn2_saveexec_b64 s[18:19], s[0:1]
; %bb.37:                               ;   in Loop: Header=BB329_10 Depth=1
	v_or_b32_e32 v44, 0x10000, v45
	v_cmp_eq_u32_sdwa s[0:1], v45, v3 src0_sel:WORD_0 src1_sel:DWORD
	s_nop 1
	v_cndmask_b32_e64 v44, v44, v45, s[0:1]
; %bb.38:                               ;   in Loop: Header=BB329_10 Depth=1
	s_or_b64 exec, exec, s[18:19]
	global_load_ubyte v45, v[8:9], off offset:392
	s_waitcnt vmcnt(0)
	v_cvt_f32_fp8_sdwa v45, v45 src0_sel:BYTE_0
	s_nop 0
	v_mul_f32_e32 v46, s45, v45
	v_and_b32_e32 v45, 0x7f800000, v46
	v_cmp_ne_u32_e64 s[0:1], s47, v45
                                        ; implicit-def: $vgpr45
	s_and_saveexec_b64 s[18:19], s[0:1]
	s_xor_b64 s[0:1], exec, s[18:19]
; %bb.39:                               ;   in Loop: Header=BB329_10 Depth=1
	v_bfe_u32 v45, v46, 16, 1
	v_add3_u32 v45, v46, v45, s48
                                        ; implicit-def: $vgpr46
; %bb.40:                               ;   in Loop: Header=BB329_10 Depth=1
	s_andn2_saveexec_b64 s[18:19], s[0:1]
; %bb.41:                               ;   in Loop: Header=BB329_10 Depth=1
	v_or_b32_e32 v45, 0x10000, v46
	v_cmp_eq_u32_sdwa s[0:1], v46, v3 src0_sel:WORD_0 src1_sel:DWORD
	s_nop 1
	v_cndmask_b32_e64 v45, v45, v46, s[0:1]
; %bb.42:                               ;   in Loop: Header=BB329_10 Depth=1
	s_or_b64 exec, exec, s[18:19]
	global_load_ubyte v46, v[8:9], off offset:512
	s_waitcnt vmcnt(0)
	v_cvt_f32_fp8_sdwa v46, v46 src0_sel:BYTE_0
	s_nop 0
	v_mul_f32_e32 v47, s45, v46
	v_and_b32_e32 v46, 0x7f800000, v47
	v_cmp_ne_u32_e64 s[0:1], s47, v46
                                        ; implicit-def: $vgpr46
	s_and_saveexec_b64 s[18:19], s[0:1]
	s_xor_b64 s[0:1], exec, s[18:19]
; %bb.43:                               ;   in Loop: Header=BB329_10 Depth=1
	v_bfe_u32 v46, v47, 16, 1
	v_add3_u32 v46, v47, v46, s48
                                        ; implicit-def: $vgpr47
; %bb.44:                               ;   in Loop: Header=BB329_10 Depth=1
	s_andn2_saveexec_b64 s[18:19], s[0:1]
; %bb.45:                               ;   in Loop: Header=BB329_10 Depth=1
	v_or_b32_e32 v46, 0x10000, v47
	v_cmp_eq_u32_sdwa s[0:1], v47, v3 src0_sel:WORD_0 src1_sel:DWORD
	s_nop 1
	v_cndmask_b32_e64 v46, v46, v47, s[0:1]
; %bb.46:                               ;   in Loop: Header=BB329_10 Depth=1
	s_or_b64 exec, exec, s[18:19]
	global_load_ubyte v47, v[8:9], off offset:520
	s_waitcnt vmcnt(0)
	v_cvt_f32_fp8_sdwa v47, v47 src0_sel:BYTE_0
	s_nop 0
	v_mul_f32_e32 v48, s45, v47
	v_and_b32_e32 v47, 0x7f800000, v48
	v_cmp_ne_u32_e64 s[0:1], s47, v47
                                        ; implicit-def: $vgpr47
	s_and_saveexec_b64 s[18:19], s[0:1]
	s_xor_b64 s[0:1], exec, s[18:19]
; %bb.47:                               ;   in Loop: Header=BB329_10 Depth=1
	v_bfe_u32 v47, v48, 16, 1
	v_add3_u32 v47, v48, v47, s48
                                        ; implicit-def: $vgpr48
; %bb.48:                               ;   in Loop: Header=BB329_10 Depth=1
	s_andn2_saveexec_b64 s[18:19], s[0:1]
; %bb.49:                               ;   in Loop: Header=BB329_10 Depth=1
	v_or_b32_e32 v47, 0x10000, v48
	v_cmp_eq_u32_sdwa s[0:1], v48, v3 src0_sel:WORD_0 src1_sel:DWORD
	s_nop 1
	v_cndmask_b32_e64 v47, v47, v48, s[0:1]
; %bb.50:                               ;   in Loop: Header=BB329_10 Depth=1
	s_or_b64 exec, exec, s[18:19]
	global_load_ubyte v48, v[8:9], off offset:640
	s_waitcnt vmcnt(0)
	v_cvt_f32_fp8_sdwa v48, v48 src0_sel:BYTE_0
	s_nop 0
	v_mul_f32_e32 v49, s45, v48
	v_and_b32_e32 v48, 0x7f800000, v49
	v_cmp_ne_u32_e64 s[0:1], s47, v48
                                        ; implicit-def: $vgpr48
	s_and_saveexec_b64 s[18:19], s[0:1]
	s_xor_b64 s[0:1], exec, s[18:19]
; %bb.51:                               ;   in Loop: Header=BB329_10 Depth=1
	v_bfe_u32 v48, v49, 16, 1
	v_add3_u32 v48, v49, v48, s48
                                        ; implicit-def: $vgpr49
; %bb.52:                               ;   in Loop: Header=BB329_10 Depth=1
	s_andn2_saveexec_b64 s[18:19], s[0:1]
; %bb.53:                               ;   in Loop: Header=BB329_10 Depth=1
	v_or_b32_e32 v48, 0x10000, v49
	v_cmp_eq_u32_sdwa s[0:1], v49, v3 src0_sel:WORD_0 src1_sel:DWORD
	s_nop 1
	v_cndmask_b32_e64 v48, v48, v49, s[0:1]
; %bb.54:                               ;   in Loop: Header=BB329_10 Depth=1
	s_or_b64 exec, exec, s[18:19]
	global_load_ubyte v49, v[8:9], off offset:648
	s_waitcnt vmcnt(0)
	v_cvt_f32_fp8_sdwa v49, v49 src0_sel:BYTE_0
	s_nop 0
	v_mul_f32_e32 v50, s45, v49
	v_and_b32_e32 v49, 0x7f800000, v50
	v_cmp_ne_u32_e64 s[0:1], s47, v49
                                        ; implicit-def: $vgpr49
	s_and_saveexec_b64 s[18:19], s[0:1]
	s_xor_b64 s[0:1], exec, s[18:19]
; %bb.55:                               ;   in Loop: Header=BB329_10 Depth=1
	v_bfe_u32 v49, v50, 16, 1
	v_add3_u32 v49, v50, v49, s48
                                        ; implicit-def: $vgpr50
; %bb.56:                               ;   in Loop: Header=BB329_10 Depth=1
	s_andn2_saveexec_b64 s[18:19], s[0:1]
; %bb.57:                               ;   in Loop: Header=BB329_10 Depth=1
	v_or_b32_e32 v49, 0x10000, v50
	v_cmp_eq_u32_sdwa s[0:1], v50, v3 src0_sel:WORD_0 src1_sel:DWORD
	s_nop 1
	v_cndmask_b32_e64 v49, v49, v50, s[0:1]
; %bb.58:                               ;   in Loop: Header=BB329_10 Depth=1
	s_or_b64 exec, exec, s[18:19]
	global_load_ubyte v50, v[8:9], off offset:768
	s_waitcnt vmcnt(0)
	v_cvt_f32_fp8_sdwa v50, v50 src0_sel:BYTE_0
	s_nop 0
	v_mul_f32_e32 v51, s45, v50
	v_and_b32_e32 v50, 0x7f800000, v51
	v_cmp_ne_u32_e64 s[0:1], s47, v50
                                        ; implicit-def: $vgpr50
	s_and_saveexec_b64 s[18:19], s[0:1]
	s_xor_b64 s[0:1], exec, s[18:19]
; %bb.59:                               ;   in Loop: Header=BB329_10 Depth=1
	v_bfe_u32 v50, v51, 16, 1
	v_add3_u32 v50, v51, v50, s48
                                        ; implicit-def: $vgpr51
; %bb.60:                               ;   in Loop: Header=BB329_10 Depth=1
	s_andn2_saveexec_b64 s[18:19], s[0:1]
; %bb.61:                               ;   in Loop: Header=BB329_10 Depth=1
	v_or_b32_e32 v50, 0x10000, v51
	v_cmp_eq_u32_sdwa s[0:1], v51, v3 src0_sel:WORD_0 src1_sel:DWORD
	s_nop 1
	v_cndmask_b32_e64 v50, v50, v51, s[0:1]
; %bb.62:                               ;   in Loop: Header=BB329_10 Depth=1
	s_or_b64 exec, exec, s[18:19]
	global_load_ubyte v51, v[8:9], off offset:776
	s_waitcnt vmcnt(0)
	v_cvt_f32_fp8_sdwa v51, v51 src0_sel:BYTE_0
	s_nop 0
	v_mul_f32_e32 v52, s45, v51
	v_and_b32_e32 v51, 0x7f800000, v52
	v_cmp_ne_u32_e64 s[0:1], s47, v51
                                        ; implicit-def: $vgpr51
	s_and_saveexec_b64 s[18:19], s[0:1]
	s_xor_b64 s[0:1], exec, s[18:19]
; %bb.63:                               ;   in Loop: Header=BB329_10 Depth=1
	v_bfe_u32 v51, v52, 16, 1
	v_add3_u32 v51, v52, v51, s48
                                        ; implicit-def: $vgpr52
; %bb.64:                               ;   in Loop: Header=BB329_10 Depth=1
	s_andn2_saveexec_b64 s[18:19], s[0:1]
; %bb.65:                               ;   in Loop: Header=BB329_10 Depth=1
	v_or_b32_e32 v51, 0x10000, v52
	v_cmp_eq_u32_sdwa s[0:1], v52, v3 src0_sel:WORD_0 src1_sel:DWORD
	s_nop 1
	v_cndmask_b32_e64 v51, v51, v52, s[0:1]
; %bb.66:                               ;   in Loop: Header=BB329_10 Depth=1
	s_or_b64 exec, exec, s[18:19]
	global_load_ubyte v8, v[8:9], off offset:896
	s_waitcnt vmcnt(0)
	v_cvt_f32_fp8_sdwa v8, v8 src0_sel:BYTE_0
	s_nop 0
	v_mul_f32_e32 v9, s45, v8
	v_and_b32_e32 v8, 0x7f800000, v9
	v_cmp_ne_u32_e64 s[0:1], s47, v8
                                        ; implicit-def: $vgpr8
	s_and_saveexec_b64 s[18:19], s[0:1]
	s_xor_b64 s[0:1], exec, s[18:19]
; %bb.67:                               ;   in Loop: Header=BB329_10 Depth=1
	v_bfe_u32 v8, v9, 16, 1
	v_add3_u32 v8, v9, v8, s48
                                        ; implicit-def: $vgpr9
; %bb.68:                               ;   in Loop: Header=BB329_10 Depth=1
	s_andn2_saveexec_b64 s[18:19], s[0:1]
; %bb.69:                               ;   in Loop: Header=BB329_10 Depth=1
	v_or_b32_e32 v8, 0x10000, v9
	v_cmp_eq_u32_sdwa s[0:1], v9, v3 src0_sel:WORD_0 src1_sel:DWORD
	s_nop 1
	v_cndmask_b32_e64 v8, v8, v9, s[0:1]
; %bb.70:                               ;   in Loop: Header=BB329_10 Depth=1
	s_or_b64 exec, exec, s[18:19]
	v_and_b32_e32 v39, 0xffff0000, v39
	v_and_b32_e32 v38, 0xffff0000, v38
	v_mul_f32_e32 v39, v17, v39
	v_and_b32_e32 v40, 0xffff0000, v40
	v_fmac_f32_e32 v39, v1, v38
	v_and_b32_e32 v41, 0xffff0000, v41
	v_fmac_f32_e32 v39, v18, v40
	;; [unrolled: 2-line block ×13, first 2 shown]
	v_fmac_f32_e32 v39, v30, v8
	ds_bpermute_b32 v8, v32, v39
	s_waitcnt lgkmcnt(0)
	v_add_f32_e32 v8, v39, v8
	ds_bpermute_b32 v9, v33, v8
	s_waitcnt lgkmcnt(0)
	v_add_f32_e32 v8, v8, v9
	ds_bpermute_b32 v9, v34, v8
	s_and_saveexec_b64 s[18:19], vcc
	s_cbranch_execz .LBB329_9
; %bb.71:                               ;   in Loop: Header=BB329_10 Depth=1
	v_add_u32_e32 v38, s46, v35
	v_cvt_f32_i32_e32 v38, v38
	s_waitcnt lgkmcnt(0)
	v_add_f32_e32 v8, v8, v9
	v_cmp_gt_i32_e64 s[0:1], s29, v35
	v_max_f32_e32 v9, v31, v31
	v_mul_f32_e32 v38, s43, v38
	v_cndmask_b32_e64 v38, 0, v38, s[8:9]
	v_fmac_f32_e32 v38, s39, v8
	v_cndmask_b32_e64 v8, 0, v38, s[0:1]
	ds_write_b32 v36, v8
	v_max_f32_e32 v8, v9, v38
	v_cndmask_b32_e64 v31, v31, v8, s[0:1]
	s_branch .LBB329_9
.LBB329_72:
	s_or_b64 exec, exec, s[12:13]
.LBB329_73:
	s_or_b64 exec, exec, s[40:41]
	v_xor_b32_e32 v1, 32, v15
	v_cmp_lt_i32_e32 vcc, v1, v16
	v_xor_b32_e32 v4, 16, v15
	v_max_f32_e32 v2, v31, v31
	v_cndmask_b32_e32 v1, v15, v1, vcc
	v_lshlrev_b32_e32 v3, 2, v1
	ds_bpermute_b32 v1, v3, v31
	v_cmp_lt_i32_e32 vcc, v4, v16
	v_xor_b32_e32 v5, 8, v15
	s_waitcnt lgkmcnt(0)
	v_max_f32_e32 v1, v1, v1
	v_max_f32_e32 v1, v2, v1
	v_cndmask_b32_e32 v2, v15, v4, vcc
	v_lshlrev_b32_e32 v6, 2, v2
	ds_bpermute_b32 v2, v6, v1
	v_cmp_lt_i32_e32 vcc, v5, v16
	s_waitcnt lgkmcnt(0)
	v_max_f32_e32 v2, v2, v2
	v_max_f32_e32 v4, v1, v2
	v_cndmask_b32_e32 v1, v15, v5, vcc
	v_lshlrev_b32_e32 v7, 2, v1
	ds_bpermute_b32 v5, v7, v4
	v_and_b32_e32 v1, 63, v0
	v_cmp_eq_u32_e32 vcc, 0, v1
	v_lshlrev_b32_e32 v2, 2, v14
	s_and_saveexec_b64 s[0:1], vcc
	s_cbranch_execz .LBB329_75
; %bb.74:
	s_waitcnt lgkmcnt(0)
	v_max_f32_e32 v5, v5, v5
	v_max_f32_e32 v4, v4, v4
	;; [unrolled: 1-line block ×3, first 2 shown]
	ds_write_b32 v2, v4 offset:240
.LBB329_75:
	s_or_b64 exec, exec, s[0:1]
	v_cmp_gt_u32_e64 s[0:1], 2, v1
	v_mov_b32_e32 v4, 0xff7fffff
	s_waitcnt lgkmcnt(0)
	v_lshlrev_b32_e32 v5, 2, v1
	s_barrier
	s_and_saveexec_b64 s[8:9], s[0:1]
	s_cbranch_execz .LBB329_77
; %bb.76:
	ds_read_b32 v4, v5 offset:240
.LBB329_77:
	s_or_b64 exec, exec, s[8:9]
	v_xor_b32_e32 v8, 1, v15
	v_cmp_lt_i32_e64 s[8:9], v8, v16
	v_mov_b32_e32 v17, 0
	s_nop 0
	v_cndmask_b32_e64 v8, v15, v8, s[8:9]
	v_lshlrev_b32_e32 v8, 2, v8
	s_waitcnt lgkmcnt(0)
	ds_bpermute_b32 v9, v8, v4
	v_max_f32_e32 v4, v4, v4
	s_sub_i32 s8, s33, s38
	s_lshl_b32 s8, s8, 3
	s_add_i32 s8, s8, s42
	s_waitcnt lgkmcnt(0)
	v_max_f32_e32 v9, v9, v9
	v_max_f32_e32 v4, v4, v9
	v_lshlrev_b32_e32 v9, 2, v15
	v_and_b32_e32 v9, 0xffffff00, v9
	ds_bpermute_b32 v4, v9, v4
	s_min_i32 s41, s8, s29
	s_sub_i32 s40, s41, s42
	v_cmp_gt_i32_e64 s[8:9], s40, v0
	s_and_saveexec_b64 s[18:19], s[8:9]
	s_cbranch_execz .LBB329_81
; %bb.78:
	v_mov_b32_e32 v17, 0x100
	v_lshl_add_u32 v18, v0, 2, v17
	s_mov_b64 s[38:39], 0
	v_mov_b32_e32 v17, 0
	v_mov_b32_e32 v19, v0
.LBB329_79:                             ; =>This Inner Loop Header: Depth=1
	ds_read_b32 v20, v18
	v_add_u32_e32 v19, 0x80, v19
	v_cmp_le_i32_e64 s[12:13], s40, v19
	s_or_b64 s[38:39], s[12:13], s[38:39]
	s_waitcnt lgkmcnt(0)
	v_sub_f32_e32 v20, v20, v4
	v_mul_f32_e32 v20, 0x3fb8aa3b, v20
	v_exp_f32_e32 v20, v20
	ds_write_b32 v18, v20
	v_add_f32_e32 v17, v17, v20
	v_add_u32_e32 v18, 0x200, v18
	s_andn2_b64 exec, exec, s[38:39]
	s_cbranch_execnz .LBB329_79
; %bb.80:
	s_or_b64 exec, exec, s[38:39]
.LBB329_81:
	s_or_b64 exec, exec, s[18:19]
	ds_bpermute_b32 v3, v3, v17
	s_waitcnt lgkmcnt(0)
	v_add_f32_e32 v3, v17, v3
	ds_bpermute_b32 v6, v6, v3
	s_waitcnt lgkmcnt(0)
	v_add_f32_e32 v3, v3, v6
	ds_bpermute_b32 v6, v7, v3
	v_xor_b32_e32 v7, 4, v15
	v_cmp_lt_i32_e64 s[12:13], v7, v16
	s_waitcnt lgkmcnt(0)
	v_add_f32_e32 v3, v3, v6
	v_cndmask_b32_e64 v7, v15, v7, s[12:13]
	v_lshlrev_b32_e32 v7, 2, v7
	ds_bpermute_b32 v6, v7, v3
	v_xor_b32_e32 v7, 2, v15
	v_cmp_lt_i32_e64 s[12:13], v7, v16
	s_waitcnt lgkmcnt(0)
	v_add_f32_e32 v3, v3, v6
	v_cndmask_b32_e64 v7, v15, v7, s[12:13]
	v_lshlrev_b32_e32 v6, 2, v7
	ds_bpermute_b32 v6, v6, v3
	s_waitcnt lgkmcnt(0)
	v_add_f32_e32 v3, v3, v6
	ds_bpermute_b32 v6, v8, v3
	s_waitcnt lgkmcnt(0)
	v_add_f32_e32 v3, v3, v6
	s_and_saveexec_b64 s[12:13], vcc
	s_cbranch_execz .LBB329_83
; %bb.82:
	ds_write_b32 v2, v3 offset:248
.LBB329_83:
	s_or_b64 exec, exec, s[12:13]
	s_waitcnt lgkmcnt(0)
	s_barrier
	s_and_saveexec_b64 s[12:13], s[0:1]
	s_cbranch_execz .LBB329_85
; %bb.84:
	ds_read_b32 v3, v5 offset:248
.LBB329_85:
	s_or_b64 exec, exec, s[12:13]
	s_waitcnt lgkmcnt(0)
	ds_bpermute_b32 v2, v8, v3
	s_waitcnt lgkmcnt(0)
	v_add_f32_e32 v2, v3, v2
	ds_bpermute_b32 v5, v9, v2
	s_and_saveexec_b64 s[0:1], s[8:9]
	s_cbranch_execz .LBB329_98
; %bb.86:
	s_waitcnt lgkmcnt(0)
	v_add_f32_e32 v2, 0x358637bd, v5
	v_div_scale_f32 v3, s[8:9], v2, v2, 1.0
	v_rcp_f32_e32 v6, v3
	v_div_scale_f32 v7, vcc, 1.0, v2, 1.0
	s_movk_i32 s8, 0x7f
	v_fma_f32 v8, -v3, v6, 1.0
	v_fmac_f32_e32 v6, v8, v6
	v_mul_f32_e32 v8, v7, v6
	v_fma_f32 v9, -v3, v8, v7
	v_fmac_f32_e32 v8, v9, v6
	v_fma_f32 v3, -v3, v8, v7
	v_div_fmas_f32 v3, v3, v6, v8
	v_div_fixup_f32 v2, v3, v2, 1.0
	v_xad_u32 v3, v0, -1, s41
	v_subrev_u32_e32 v6, s42, v3
	v_cmp_lt_u32_e32 vcc, s8, v6
	s_mov_b64 s[12:13], -1
	v_mov_b32_e32 v3, v0
	s_and_saveexec_b64 s[8:9], vcc
	s_cbranch_execz .LBB329_95
; %bb.87:
	v_lshrrev_b32_e32 v6, 7, v6
	v_add_u32_e32 v8, -1, v6
	v_lshrrev_b32_e32 v7, 1, v8
	v_mov_b32_e32 v3, v2
	v_add_u32_e32 v7, 1, v7
	v_cmp_lt_u32_e32 vcc, 13, v8
	v_mov_b32_e32 v15, 0
	s_and_saveexec_b64 s[12:13], vcc
	s_cbranch_execz .LBB329_91
; %bb.88:
	v_mov_b32_e32 v9, 0x100
	v_and_b32_e32 v8, -8, v7
	v_lshl_add_u32 v9, v0, 2, v9
	s_mov_b32 s38, 0
	s_mov_b64 s[18:19], 0
.LBB329_89:                             ; =>This Inner Loop Header: Depth=1
	ds_read2st64_b32 v[16:17], v9 offset1:2
	ds_read2st64_b32 v[18:19], v9 offset0:4 offset1:6
	ds_read2st64_b32 v[20:21], v9 offset0:8 offset1:10
	;; [unrolled: 1-line block ×3, first 2 shown]
	v_add_u32_e32 v8, -8, v8
	s_waitcnt lgkmcnt(3)
	v_pk_mul_f32 v[16:17], v[2:3], v[16:17]
	s_waitcnt lgkmcnt(2)
	v_pk_mul_f32 v[18:19], v[2:3], v[18:19]
	ds_write2st64_b32 v9, v16, v17 offset1:2
	ds_write2st64_b32 v9, v18, v19 offset0:4 offset1:6
	ds_read2st64_b32 v[18:19], v9 offset0:16 offset1:18
	s_waitcnt lgkmcnt(4)
	v_pk_mul_f32 v[16:17], v[2:3], v[20:21]
	ds_write2st64_b32 v9, v16, v17 offset0:8 offset1:10
	s_waitcnt lgkmcnt(4)
	v_pk_mul_f32 v[16:17], v[2:3], v[22:23]
	ds_write2st64_b32 v9, v16, v17 offset0:12 offset1:14
	ds_read2st64_b32 v[16:17], v9 offset0:20 offset1:22
	s_waitcnt lgkmcnt(3)
	v_pk_mul_f32 v[18:19], v[2:3], v[18:19]
	ds_read2st64_b32 v[20:21], v9 offset0:24 offset1:26
	ds_write2st64_b32 v9, v18, v19 offset0:16 offset1:18
	ds_read2st64_b32 v[18:19], v9 offset0:28 offset1:30
	s_waitcnt lgkmcnt(3)
	v_pk_mul_f32 v[16:17], v[2:3], v[16:17]
	ds_write2st64_b32 v9, v16, v17 offset0:20 offset1:22
	s_waitcnt lgkmcnt(3)
	v_pk_mul_f32 v[16:17], v[2:3], v[20:21]
	ds_write2st64_b32 v9, v16, v17 offset0:24 offset1:26
	s_waitcnt lgkmcnt(2)
	v_pk_mul_f32 v[16:17], v[2:3], v[18:19]
	s_add_i32 s38, s38, 16
	v_cmp_eq_u32_e32 vcc, 0, v8
	ds_write2st64_b32 v9, v16, v17 offset0:28 offset1:30
	v_add_u32_e32 v9, 0x2000, v9
	s_or_b64 s[18:19], vcc, s[18:19]
	v_mov_b32_e32 v15, s38
	s_andn2_b64 exec, exec, s[18:19]
	s_cbranch_execnz .LBB329_89
; %bb.90:
	s_or_b64 exec, exec, s[18:19]
.LBB329_91:
	s_or_b64 exec, exec, s[12:13]
	v_and_b32_e32 v7, 7, v7
	v_cmp_ne_u32_e32 vcc, 0, v7
	s_and_saveexec_b64 s[12:13], vcc
	s_cbranch_execz .LBB329_94
; %bb.92:
	v_lshlrev_b32_e32 v8, 9, v15
	v_lshlrev_b32_e32 v9, 2, v0
	s_movk_i32 s18, 0x100
	v_add3_u32 v8, v8, v9, s18
	s_mov_b64 s[18:19], 0
.LBB329_93:                             ; =>This Inner Loop Header: Depth=1
	ds_read2st64_b32 v[16:17], v8 offset1:2
	v_add_u32_e32 v7, -1, v7
	v_cmp_eq_u32_e32 vcc, 0, v7
	s_or_b64 s[18:19], vcc, s[18:19]
	s_waitcnt lgkmcnt(0)
	v_pk_mul_f32 v[16:17], v[2:3], v[16:17]
	ds_write2st64_b32 v8, v16, v17 offset1:2
	v_add_u32_e32 v8, 0x400, v8
	s_andn2_b64 exec, exec, s[18:19]
	s_cbranch_execnz .LBB329_93
.LBB329_94:
	s_or_b64 exec, exec, s[12:13]
	v_add_u32_e32 v6, 1, v6
	v_and_b32_e32 v7, 0x3fffffe, v6
	v_cmp_ne_u32_e32 vcc, v6, v7
	v_lshl_add_u32 v3, v7, 7, v0
	s_orn2_b64 s[12:13], vcc, exec
.LBB329_95:
	s_or_b64 exec, exec, s[8:9]
	s_and_b64 exec, exec, s[12:13]
	s_cbranch_execz .LBB329_98
; %bb.96:
	v_mov_b32_e32 v6, 0x100
	v_lshl_add_u32 v6, v3, 2, v6
	s_mov_b64 s[8:9], 0
.LBB329_97:                             ; =>This Inner Loop Header: Depth=1
	ds_read_b32 v7, v6
	v_add_u32_e32 v3, 0x80, v3
	v_cmp_le_i32_e32 vcc, s40, v3
	s_or_b64 s[8:9], vcc, s[8:9]
	s_waitcnt lgkmcnt(0)
	v_mul_f32_e32 v7, v2, v7
	ds_write_b32 v6, v7
	v_add_u32_e32 v6, 0x200, v6
	s_andn2_b64 exec, exec, s[8:9]
	s_cbranch_execnz .LBB329_97
.LBB329_98:
	s_or_b64 exec, exec, s[0:1]
	s_mul_i32 s0, s25, s28
	v_cmp_eq_u32_e32 vcc, 0, v0
	s_mul_i32 s8, s0, s5
	s_waitcnt lgkmcnt(0)
	s_barrier
	s_and_saveexec_b64 s[0:1], vcc
	s_cbranch_execz .LBB329_100
; %bb.99:
	s_ashr_i32 s9, s8, 31
	s_lshl_b64 s[12:13], s[8:9], 2
	s_add_u32 s5, s22, s12
	s_mul_i32 s18, s25, s2
	s_addc_u32 s9, s23, s13
	s_ashr_i32 s19, s18, 31
	s_lshl_b64 s[18:19], s[18:19], 2
	s_add_u32 s2, s5, s18
	s_addc_u32 s9, s9, s19
	s_ashr_i32 s5, s4, 31
	s_lshl_b64 s[22:23], s[4:5], 2
	s_add_u32 s38, s2, s22
	s_addc_u32 s39, s9, s23
	s_add_u32 s2, s20, s12
	s_addc_u32 s5, s21, s13
	;; [unrolled: 2-line block ×3, first 2 shown]
	s_add_u32 s12, s2, s22
	v_mov_b32_e32 v2, 0
	s_addc_u32 s13, s5, s23
	global_store_dword v2, v4, s[38:39]
	global_store_dword v2, v5, s[12:13]
.LBB329_100:
	s_or_b64 exec, exec, s[0:1]
	v_mov_b32_e32 v15, 0
	v_mov_b32_e32 v2, v15
	s_and_saveexec_b64 s[12:13], s[6:7]
	s_cbranch_execz .LBB329_270
; %bb.101:
	s_ashr_i32 s0, s16, 31
	s_add_u32 s6, s36, s16
	s_addc_u32 s7, s37, s0
	s_load_dword s20, s[14:15], 0x0
	v_or_b32_e32 v2, 64, v1
	s_movk_i32 s0, 0x78
	s_add_i32 s9, s3, -1
	v_cmp_gt_u32_e32 vcc, s0, v2
	s_lshl_b64 s[0:1], s[34:35], 2
	s_add_u32 s0, s30, s0
	v_mov_b32_e32 v17, 0
	v_lshlrev_b32_e32 v18, 3, v2
	v_mov_b32_e32 v2, 0x100
	s_addc_u32 s1, s31, s1
	s_mov_b32 s5, s17
	v_lshlrev_b32_e32 v16, 3, v1
	v_mov_b32_e32 v19, v17
	v_add3_u32 v11, s42, v11, 7
	v_lshl_add_u32 v22, v14, 5, v2
	v_lshl_add_u64 v[20:21], v[12:13], 2, s[0:1]
	s_mov_b64 s[14:15], 0
	s_mov_b32 s21, 0x7f800000
	s_movk_i32 s22, 0x7fff
	v_mov_b32_e32 v14, v17
	v_mov_b32_e32 v15, v17
	s_branch .LBB329_104
.LBB329_102:                            ;   in Loop: Header=BB329_104 Depth=1
	s_or_b64 exec, exec, s[2:3]
	v_and_b32_e32 v27, 0xffff0000, v5
	v_and_b32_e32 v26, 0xffff0000, v9
	;; [unrolled: 1-line block ×6, first 2 shown]
	v_pk_add_f32 v[4:5], v[4:5], v[8:9]
	v_and_b32_e32 v25, 0xffff0000, v23
	v_and_b32_e32 v24, 0xffff0000, v13
	v_mov_b32_e32 v6, v5
	v_pk_add_f32 v[4:5], v[4:5], v[6:7]
	v_pk_add_f32 v[6:7], v[26:27], v[24:25]
	s_nop 0
	v_pk_add_f32 v[4:5], v[4:5], v[6:7]
	v_mov_b32_e32 v6, v7
	v_pk_add_f32 v[4:5], v[4:5], v[6:7]
	s_nop 0
	v_mov_b32_e32 v3, v4
	v_pk_add_f32 v[14:15], v[14:15], v[2:3]
.LBB329_103:                            ;   in Loop: Header=BB329_104 Depth=1
	s_or_b64 exec, exec, s[16:17]
	v_add_u32_e32 v12, 2, v12
	v_cmp_le_i32_e64 s[0:1], s33, v12
	v_add_u32_e32 v11, 16, v11
	v_add_u32_e32 v22, 64, v22
	v_lshl_add_u64 v[20:21], v[20:21], 0, 8
	s_or_b64 s[14:15], s[0:1], s[14:15]
	v_mov_b32_e32 v14, v2
	s_andn2_b64 exec, exec, s[14:15]
	s_cbranch_execz .LBB329_269
.LBB329_104:                            ; =>This Inner Loop Header: Depth=1
	global_load_dword v30, v[20:21], off
	ds_read2_b64 v[6:9], v22 offset1:1
	ds_read2_b64 v[2:5], v22 offset0:2 offset1:3
                                        ; implicit-def: $vgpr29
	s_waitcnt lgkmcnt(0)
	v_and_b32_e32 v13, 0x7f800000, v6
	v_cmp_ne_u32_e64 s[0:1], s21, v13
	s_and_saveexec_b64 s[2:3], s[0:1]
	s_xor_b64 s[0:1], exec, s[2:3]
; %bb.105:                              ;   in Loop: Header=BB329_104 Depth=1
	v_bfe_u32 v13, v6, 16, 1
	v_add3_u32 v29, v6, v13, s22
; %bb.106:                              ;   in Loop: Header=BB329_104 Depth=1
	s_andn2_saveexec_b64 s[2:3], s[0:1]
; %bb.107:                              ;   in Loop: Header=BB329_104 Depth=1
	v_or_b32_e32 v13, 0x10000, v6
	v_cmp_eq_u32_sdwa s[0:1], v6, v17 src0_sel:WORD_0 src1_sel:DWORD
	s_nop 1
	v_cndmask_b32_e64 v29, v13, v6, s[0:1]
; %bb.108:                              ;   in Loop: Header=BB329_104 Depth=1
	s_or_b64 exec, exec, s[2:3]
	v_and_b32_e32 v6, 0x7f800000, v7
	v_cmp_ne_u32_e64 s[0:1], s21, v6
                                        ; implicit-def: $vgpr28
	s_and_saveexec_b64 s[2:3], s[0:1]
	s_xor_b64 s[0:1], exec, s[2:3]
; %bb.109:                              ;   in Loop: Header=BB329_104 Depth=1
	v_bfe_u32 v6, v7, 16, 1
	v_add3_u32 v28, v7, v6, s22
; %bb.110:                              ;   in Loop: Header=BB329_104 Depth=1
	s_andn2_saveexec_b64 s[2:3], s[0:1]
; %bb.111:                              ;   in Loop: Header=BB329_104 Depth=1
	v_or_b32_e32 v6, 0x10000, v7
	v_cmp_eq_u32_sdwa s[0:1], v7, v17 src0_sel:WORD_0 src1_sel:DWORD
	s_nop 1
	v_cndmask_b32_e64 v28, v6, v7, s[0:1]
; %bb.112:                              ;   in Loop: Header=BB329_104 Depth=1
	s_or_b64 exec, exec, s[2:3]
	v_and_b32_e32 v6, 0x7f800000, v8
	v_cmp_ne_u32_e64 s[0:1], s21, v6
                                        ; implicit-def: $vgpr27
	s_and_saveexec_b64 s[2:3], s[0:1]
	s_xor_b64 s[0:1], exec, s[2:3]
; %bb.113:                              ;   in Loop: Header=BB329_104 Depth=1
	v_bfe_u32 v6, v8, 16, 1
	v_add3_u32 v27, v8, v6, s22
; %bb.114:                              ;   in Loop: Header=BB329_104 Depth=1
	s_andn2_saveexec_b64 s[2:3], s[0:1]
; %bb.115:                              ;   in Loop: Header=BB329_104 Depth=1
	v_or_b32_e32 v6, 0x10000, v8
	v_cmp_eq_u32_sdwa s[0:1], v8, v17 src0_sel:WORD_0 src1_sel:DWORD
	s_nop 1
	v_cndmask_b32_e64 v27, v6, v8, s[0:1]
; %bb.116:                              ;   in Loop: Header=BB329_104 Depth=1
	s_or_b64 exec, exec, s[2:3]
	v_and_b32_e32 v6, 0x7f800000, v9
	v_cmp_ne_u32_e64 s[0:1], s21, v6
                                        ; implicit-def: $vgpr13
	s_and_saveexec_b64 s[2:3], s[0:1]
	s_xor_b64 s[0:1], exec, s[2:3]
; %bb.117:                              ;   in Loop: Header=BB329_104 Depth=1
	v_bfe_u32 v6, v9, 16, 1
	v_add3_u32 v13, v9, v6, s22
                                        ; implicit-def: $vgpr6_vgpr7_vgpr8_vgpr9
; %bb.118:                              ;   in Loop: Header=BB329_104 Depth=1
	s_andn2_saveexec_b64 s[2:3], s[0:1]
; %bb.119:                              ;   in Loop: Header=BB329_104 Depth=1
	v_or_b32_e32 v6, 0x10000, v9
	v_cmp_eq_u32_sdwa s[0:1], v9, v17 src0_sel:WORD_0 src1_sel:DWORD
	s_nop 1
	v_cndmask_b32_e64 v13, v6, v9, s[0:1]
; %bb.120:                              ;   in Loop: Header=BB329_104 Depth=1
	s_or_b64 exec, exec, s[2:3]
	v_and_b32_e32 v6, 0x7f800000, v2
	v_cmp_ne_u32_e64 s[0:1], s21, v6
                                        ; implicit-def: $vgpr23
	s_and_saveexec_b64 s[2:3], s[0:1]
	s_xor_b64 s[0:1], exec, s[2:3]
; %bb.121:                              ;   in Loop: Header=BB329_104 Depth=1
	v_bfe_u32 v6, v2, 16, 1
	v_add3_u32 v23, v2, v6, s22
; %bb.122:                              ;   in Loop: Header=BB329_104 Depth=1
	s_andn2_saveexec_b64 s[2:3], s[0:1]
; %bb.123:                              ;   in Loop: Header=BB329_104 Depth=1
	v_or_b32_e32 v6, 0x10000, v2
	v_cmp_eq_u32_sdwa s[0:1], v2, v17 src0_sel:WORD_0 src1_sel:DWORD
	s_nop 1
	v_cndmask_b32_e64 v23, v6, v2, s[0:1]
; %bb.124:                              ;   in Loop: Header=BB329_104 Depth=1
	s_or_b64 exec, exec, s[2:3]
	v_and_b32_e32 v2, 0x7f800000, v3
	v_cmp_ne_u32_e64 s[0:1], s21, v2
                                        ; implicit-def: $vgpr24
	s_and_saveexec_b64 s[2:3], s[0:1]
	s_xor_b64 s[0:1], exec, s[2:3]
; %bb.125:                              ;   in Loop: Header=BB329_104 Depth=1
	v_bfe_u32 v2, v3, 16, 1
	v_add3_u32 v24, v3, v2, s22
; %bb.126:                              ;   in Loop: Header=BB329_104 Depth=1
	s_andn2_saveexec_b64 s[2:3], s[0:1]
; %bb.127:                              ;   in Loop: Header=BB329_104 Depth=1
	v_or_b32_e32 v2, 0x10000, v3
	v_cmp_eq_u32_sdwa s[0:1], v3, v17 src0_sel:WORD_0 src1_sel:DWORD
	s_nop 1
	v_cndmask_b32_e64 v24, v2, v3, s[0:1]
; %bb.128:                              ;   in Loop: Header=BB329_104 Depth=1
	s_or_b64 exec, exec, s[2:3]
	v_and_b32_e32 v2, 0x7f800000, v4
	v_cmp_ne_u32_e64 s[0:1], s21, v2
                                        ; implicit-def: $vgpr25
	s_and_saveexec_b64 s[2:3], s[0:1]
	s_xor_b64 s[0:1], exec, s[2:3]
; %bb.129:                              ;   in Loop: Header=BB329_104 Depth=1
	v_bfe_u32 v2, v4, 16, 1
	v_add3_u32 v25, v4, v2, s22
; %bb.130:                              ;   in Loop: Header=BB329_104 Depth=1
	s_andn2_saveexec_b64 s[2:3], s[0:1]
; %bb.131:                              ;   in Loop: Header=BB329_104 Depth=1
	v_or_b32_e32 v2, 0x10000, v4
	v_cmp_eq_u32_sdwa s[0:1], v4, v17 src0_sel:WORD_0 src1_sel:DWORD
	s_nop 1
	v_cndmask_b32_e64 v25, v2, v4, s[0:1]
; %bb.132:                              ;   in Loop: Header=BB329_104 Depth=1
	s_or_b64 exec, exec, s[2:3]
	v_and_b32_e32 v2, 0x7f800000, v5
	v_cmp_ne_u32_e64 s[0:1], s21, v2
                                        ; implicit-def: $vgpr26
	s_and_saveexec_b64 s[2:3], s[0:1]
	s_xor_b64 s[0:1], exec, s[2:3]
; %bb.133:                              ;   in Loop: Header=BB329_104 Depth=1
	v_bfe_u32 v2, v5, 16, 1
	v_add3_u32 v26, v5, v2, s22
                                        ; implicit-def: $vgpr2_vgpr3_vgpr4_vgpr5
; %bb.134:                              ;   in Loop: Header=BB329_104 Depth=1
	s_andn2_saveexec_b64 s[2:3], s[0:1]
; %bb.135:                              ;   in Loop: Header=BB329_104 Depth=1
	v_or_b32_e32 v2, 0x10000, v5
	v_cmp_eq_u32_sdwa s[0:1], v5, v17 src0_sel:WORD_0 src1_sel:DWORD
	s_nop 1
	v_cndmask_b32_e64 v26, v2, v5, s[0:1]
; %bb.136:                              ;   in Loop: Header=BB329_104 Depth=1
	s_or_b64 exec, exec, s[2:3]
	v_mov_b64_e32 v[2:3], s[6:7]
	s_waitcnt vmcnt(0)
	v_mad_i64_i32 v[4:5], s[0:1], v30, s5, v[2:3]
	v_lshl_add_u64 v[2:3], v[4:5], 0, v[16:17]
	global_load_dwordx2 v[2:3], v[2:3], off
	s_waitcnt vmcnt(0)
	v_and_b32_e32 v6, 0xff, v2
	v_cvt_f32_fp8_sdwa v6, v6 src0_sel:BYTE_0
	s_nop 0
	v_mul_f32_e32 v6, s20, v6
	v_and_b32_e32 v7, 0x7f800000, v6
	v_cmp_ne_u32_e64 s[0:1], s21, v7
                                        ; implicit-def: $vgpr7
	s_and_saveexec_b64 s[2:3], s[0:1]
	s_xor_b64 s[0:1], exec, s[2:3]
; %bb.137:                              ;   in Loop: Header=BB329_104 Depth=1
	v_bfe_u32 v7, v6, 16, 1
	v_add3_u32 v7, v6, v7, s22
                                        ; implicit-def: $vgpr6
; %bb.138:                              ;   in Loop: Header=BB329_104 Depth=1
	s_andn2_saveexec_b64 s[2:3], s[0:1]
; %bb.139:                              ;   in Loop: Header=BB329_104 Depth=1
	v_or_b32_e32 v7, 0x10000, v6
	v_cmp_eq_u32_sdwa s[0:1], v6, v17 src0_sel:WORD_0 src1_sel:DWORD
	s_nop 1
	v_cndmask_b32_e64 v7, v7, v6, s[0:1]
; %bb.140:                              ;   in Loop: Header=BB329_104 Depth=1
	s_or_b64 exec, exec, s[2:3]
	v_bfe_u32 v6, v2, 8, 8
	v_cvt_f32_fp8_sdwa v6, v6 src0_sel:BYTE_0
	s_nop 0
	v_mul_f32_e32 v6, s20, v6
	v_and_b32_e32 v8, 0x7f800000, v6
	v_cmp_ne_u32_e64 s[0:1], s21, v8
                                        ; implicit-def: $vgpr8
	s_and_saveexec_b64 s[2:3], s[0:1]
	s_xor_b64 s[0:1], exec, s[2:3]
; %bb.141:                              ;   in Loop: Header=BB329_104 Depth=1
	v_bfe_u32 v8, v6, 16, 1
	v_add3_u32 v8, v6, v8, s22
                                        ; implicit-def: $vgpr6
; %bb.142:                              ;   in Loop: Header=BB329_104 Depth=1
	s_andn2_saveexec_b64 s[2:3], s[0:1]
; %bb.143:                              ;   in Loop: Header=BB329_104 Depth=1
	v_or_b32_e32 v8, 0x10000, v6
	v_cmp_eq_u32_sdwa s[0:1], v6, v17 src0_sel:WORD_0 src1_sel:DWORD
	s_nop 1
	v_cndmask_b32_e64 v8, v8, v6, s[0:1]
; %bb.144:                              ;   in Loop: Header=BB329_104 Depth=1
	s_or_b64 exec, exec, s[2:3]
	v_bfe_u32 v6, v2, 16, 8
	v_cvt_f32_fp8_sdwa v6, v6 src0_sel:BYTE_0
	s_nop 0
	v_mul_f32_e32 v6, s20, v6
	v_and_b32_e32 v9, 0x7f800000, v6
	v_cmp_ne_u32_e64 s[0:1], s21, v9
                                        ; implicit-def: $vgpr9
	s_and_saveexec_b64 s[2:3], s[0:1]
	s_xor_b64 s[0:1], exec, s[2:3]
; %bb.145:                              ;   in Loop: Header=BB329_104 Depth=1
	v_bfe_u32 v9, v6, 16, 1
	v_add3_u32 v9, v6, v9, s22
                                        ; implicit-def: $vgpr6
; %bb.146:                              ;   in Loop: Header=BB329_104 Depth=1
	s_andn2_saveexec_b64 s[2:3], s[0:1]
; %bb.147:                              ;   in Loop: Header=BB329_104 Depth=1
	v_or_b32_e32 v9, 0x10000, v6
	v_cmp_eq_u32_sdwa s[0:1], v6, v17 src0_sel:WORD_0 src1_sel:DWORD
	s_nop 1
	v_cndmask_b32_e64 v9, v9, v6, s[0:1]
; %bb.148:                              ;   in Loop: Header=BB329_104 Depth=1
	s_or_b64 exec, exec, s[2:3]
	v_lshrrev_b32_e32 v2, 24, v2
	v_cvt_f32_fp8_sdwa v2, v2 src0_sel:BYTE_0
	s_nop 0
	v_mul_f32_e32 v6, s20, v2
	v_and_b32_e32 v2, 0x7f800000, v6
	v_cmp_ne_u32_e64 s[0:1], s21, v2
                                        ; implicit-def: $vgpr2
	s_and_saveexec_b64 s[2:3], s[0:1]
	s_xor_b64 s[0:1], exec, s[2:3]
; %bb.149:                              ;   in Loop: Header=BB329_104 Depth=1
	v_bfe_u32 v2, v6, 16, 1
	v_add3_u32 v2, v6, v2, s22
                                        ; implicit-def: $vgpr6
; %bb.150:                              ;   in Loop: Header=BB329_104 Depth=1
	s_andn2_saveexec_b64 s[2:3], s[0:1]
; %bb.151:                              ;   in Loop: Header=BB329_104 Depth=1
	v_or_b32_e32 v2, 0x10000, v6
	v_cmp_eq_u32_sdwa s[0:1], v6, v17 src0_sel:WORD_0 src1_sel:DWORD
	s_nop 1
	v_cndmask_b32_e64 v2, v2, v6, s[0:1]
; %bb.152:                              ;   in Loop: Header=BB329_104 Depth=1
	s_or_b64 exec, exec, s[2:3]
	v_and_b32_e32 v6, 0xff, v3
	v_cvt_f32_fp8_sdwa v6, v6 src0_sel:BYTE_0
	s_nop 0
	v_mul_f32_e32 v6, s20, v6
	v_and_b32_e32 v30, 0x7f800000, v6
	v_cmp_ne_u32_e64 s[0:1], s21, v30
                                        ; implicit-def: $vgpr30
	s_and_saveexec_b64 s[2:3], s[0:1]
	s_xor_b64 s[0:1], exec, s[2:3]
; %bb.153:                              ;   in Loop: Header=BB329_104 Depth=1
	v_bfe_u32 v30, v6, 16, 1
	v_add3_u32 v30, v6, v30, s22
                                        ; implicit-def: $vgpr6
; %bb.154:                              ;   in Loop: Header=BB329_104 Depth=1
	s_andn2_saveexec_b64 s[2:3], s[0:1]
; %bb.155:                              ;   in Loop: Header=BB329_104 Depth=1
	v_or_b32_e32 v30, 0x10000, v6
	v_cmp_eq_u32_sdwa s[0:1], v6, v17 src0_sel:WORD_0 src1_sel:DWORD
	s_nop 1
	v_cndmask_b32_e64 v30, v30, v6, s[0:1]
; %bb.156:                              ;   in Loop: Header=BB329_104 Depth=1
	s_or_b64 exec, exec, s[2:3]
	v_bfe_u32 v6, v3, 8, 8
	v_cvt_f32_fp8_sdwa v6, v6 src0_sel:BYTE_0
	s_nop 0
	v_mul_f32_e32 v6, s20, v6
	v_and_b32_e32 v31, 0x7f800000, v6
	v_cmp_ne_u32_e64 s[0:1], s21, v31
                                        ; implicit-def: $vgpr31
	s_and_saveexec_b64 s[2:3], s[0:1]
	s_xor_b64 s[0:1], exec, s[2:3]
; %bb.157:                              ;   in Loop: Header=BB329_104 Depth=1
	v_bfe_u32 v31, v6, 16, 1
	v_add3_u32 v31, v6, v31, s22
                                        ; implicit-def: $vgpr6
; %bb.158:                              ;   in Loop: Header=BB329_104 Depth=1
	s_andn2_saveexec_b64 s[2:3], s[0:1]
; %bb.159:                              ;   in Loop: Header=BB329_104 Depth=1
	v_or_b32_e32 v31, 0x10000, v6
	v_cmp_eq_u32_sdwa s[0:1], v6, v17 src0_sel:WORD_0 src1_sel:DWORD
	s_nop 1
	v_cndmask_b32_e64 v31, v31, v6, s[0:1]
; %bb.160:                              ;   in Loop: Header=BB329_104 Depth=1
	s_or_b64 exec, exec, s[2:3]
	v_bfe_u32 v6, v3, 16, 8
	v_cvt_f32_fp8_sdwa v6, v6 src0_sel:BYTE_0
                                        ; implicit-def: $vgpr35
	s_nop 0
	v_mul_f32_e32 v6, s20, v6
	v_and_b32_e32 v32, 0x7f800000, v6
	v_cmp_ne_u32_e64 s[0:1], s21, v32
	s_and_saveexec_b64 s[2:3], s[0:1]
	s_xor_b64 s[0:1], exec, s[2:3]
; %bb.161:                              ;   in Loop: Header=BB329_104 Depth=1
	v_bfe_u32 v32, v6, 16, 1
	v_add3_u32 v35, v6, v32, s22
                                        ; implicit-def: $vgpr6
; %bb.162:                              ;   in Loop: Header=BB329_104 Depth=1
	s_andn2_saveexec_b64 s[2:3], s[0:1]
; %bb.163:                              ;   in Loop: Header=BB329_104 Depth=1
	v_or_b32_e32 v32, 0x10000, v6
	v_cmp_eq_u32_sdwa s[0:1], v6, v17 src0_sel:WORD_0 src1_sel:DWORD
	s_nop 1
	v_cndmask_b32_e64 v35, v32, v6, s[0:1]
; %bb.164:                              ;   in Loop: Header=BB329_104 Depth=1
	s_or_b64 exec, exec, s[2:3]
	v_lshrrev_b32_e32 v3, 24, v3
	v_cvt_f32_fp8_sdwa v3, v3 src0_sel:BYTE_0
                                        ; implicit-def: $vgpr36
	s_nop 0
	v_mul_f32_e32 v3, s20, v3
	v_and_b32_e32 v6, 0x7f800000, v3
	v_cmp_ne_u32_e64 s[0:1], s21, v6
	s_and_saveexec_b64 s[2:3], s[0:1]
	s_xor_b64 s[0:1], exec, s[2:3]
; %bb.165:                              ;   in Loop: Header=BB329_104 Depth=1
	v_bfe_u32 v6, v3, 16, 1
	v_add3_u32 v36, v3, v6, s22
                                        ; implicit-def: $vgpr3
; %bb.166:                              ;   in Loop: Header=BB329_104 Depth=1
	s_andn2_saveexec_b64 s[2:3], s[0:1]
; %bb.167:                              ;   in Loop: Header=BB329_104 Depth=1
	v_or_b32_e32 v6, 0x10000, v3
	v_cmp_eq_u32_sdwa s[0:1], v3, v17 src0_sel:WORD_0 src1_sel:DWORD
	s_nop 1
	v_cndmask_b32_e64 v36, v6, v3, s[0:1]
; %bb.168:                              ;   in Loop: Header=BB329_104 Depth=1
	s_or_b64 exec, exec, s[2:3]
	v_cmp_eq_u32_e64 s[2:3], s9, v12
	v_add_u32_e32 v6, -7, v11
	v_lshrrev_b32_e32 v31, 16, v31
	v_lshrrev_b32_e32 v32, 16, v30
	;; [unrolled: 1-line block ×8, first 2 shown]
	s_and_saveexec_b64 s[16:17], s[2:3]
	s_cbranch_execz .LBB329_170
; %bb.169:                              ;   in Loop: Header=BB329_104 Depth=1
	v_cmp_gt_i32_e64 s[0:1], s29, v6
	v_add_u32_e32 v7, -6, v11
	s_nop 0
	v_cndmask_b32_e64 v3, 0, v3, s[0:1]
	v_cmp_gt_i32_e64 s[0:1], s29, v7
	v_add_u32_e32 v7, -5, v11
	s_nop 0
	v_cndmask_b32_e64 v9, 0, v9, s[0:1]
	;; [unrolled: 4-line block ×6, first 2 shown]
	v_cmp_gt_i32_e64 s[0:1], s29, v7
	s_nop 1
	v_cndmask_b32_e64 v30, 0, v30, s[0:1]
	v_cmp_gt_i32_e64 s[0:1], s29, v11
	s_nop 1
	v_cndmask_b32_e64 v2, 0, v2, s[0:1]
.LBB329_170:                            ;   in Loop: Header=BB329_104 Depth=1
	s_or_b64 exec, exec, s[16:17]
	v_and_b32_e32 v7, 0xffff0000, v29
	v_lshlrev_b32_e32 v3, 16, v3
	v_mul_f32_e32 v8, v7, v3
	v_and_b32_e32 v3, 0x7f800000, v8
	v_cmp_ne_u32_e64 s[0:1], s21, v3
                                        ; implicit-def: $vgpr3
	s_and_saveexec_b64 s[16:17], s[0:1]
	s_xor_b64 s[0:1], exec, s[16:17]
; %bb.171:                              ;   in Loop: Header=BB329_104 Depth=1
	v_bfe_u32 v3, v8, 16, 1
	v_add3_u32 v3, v8, v3, s22
                                        ; implicit-def: $vgpr8
; %bb.172:                              ;   in Loop: Header=BB329_104 Depth=1
	s_andn2_saveexec_b64 s[16:17], s[0:1]
; %bb.173:                              ;   in Loop: Header=BB329_104 Depth=1
	v_or_b32_e32 v3, 0x10000, v8
	v_cmp_eq_u32_sdwa s[0:1], v8, v17 src0_sel:WORD_0 src1_sel:DWORD
	s_nop 1
	v_cndmask_b32_e64 v3, v3, v8, s[0:1]
; %bb.174:                              ;   in Loop: Header=BB329_104 Depth=1
	s_or_b64 exec, exec, s[16:17]
	v_and_b32_e32 v8, 0xffff0000, v28
	v_lshlrev_b32_e32 v9, 16, v9
	v_mul_f32_e32 v9, v8, v9
	v_and_b32_e32 v28, 0x7f800000, v9
	v_cmp_ne_u32_e64 s[0:1], s21, v28
                                        ; implicit-def: $vgpr28
	s_and_saveexec_b64 s[16:17], s[0:1]
	s_xor_b64 s[0:1], exec, s[16:17]
; %bb.175:                              ;   in Loop: Header=BB329_104 Depth=1
	v_bfe_u32 v28, v9, 16, 1
	v_add3_u32 v28, v9, v28, s22
                                        ; implicit-def: $vgpr9
; %bb.176:                              ;   in Loop: Header=BB329_104 Depth=1
	s_andn2_saveexec_b64 s[16:17], s[0:1]
; %bb.177:                              ;   in Loop: Header=BB329_104 Depth=1
	v_or_b32_e32 v28, 0x10000, v9
	v_cmp_eq_u32_sdwa s[0:1], v9, v17 src0_sel:WORD_0 src1_sel:DWORD
	s_nop 1
	v_cndmask_b32_e64 v28, v28, v9, s[0:1]
; %bb.178:                              ;   in Loop: Header=BB329_104 Depth=1
	s_or_b64 exec, exec, s[16:17]
	v_and_b32_e32 v9, 0xffff0000, v27
	v_lshlrev_b32_e32 v27, 16, v34
	v_mul_f32_e32 v29, v9, v27
	v_and_b32_e32 v27, 0x7f800000, v29
	v_cmp_ne_u32_e64 s[0:1], s21, v27
                                        ; implicit-def: $vgpr27
	s_and_saveexec_b64 s[16:17], s[0:1]
	s_xor_b64 s[0:1], exec, s[16:17]
; %bb.179:                              ;   in Loop: Header=BB329_104 Depth=1
	v_bfe_u32 v27, v29, 16, 1
	v_add3_u32 v27, v29, v27, s22
                                        ; implicit-def: $vgpr29
; %bb.180:                              ;   in Loop: Header=BB329_104 Depth=1
	s_andn2_saveexec_b64 s[16:17], s[0:1]
; %bb.181:                              ;   in Loop: Header=BB329_104 Depth=1
	v_or_b32_e32 v27, 0x10000, v29
	v_cmp_eq_u32_sdwa s[0:1], v29, v17 src0_sel:WORD_0 src1_sel:DWORD
	s_nop 1
	v_cndmask_b32_e64 v27, v27, v29, s[0:1]
; %bb.182:                              ;   in Loop: Header=BB329_104 Depth=1
	s_or_b64 exec, exec, s[16:17]
	v_and_b32_e32 v13, 0xffff0000, v13
	v_lshlrev_b32_e32 v29, 16, v33
	v_mul_f32_e32 v33, v13, v29
	v_and_b32_e32 v29, 0x7f800000, v33
	v_cmp_ne_u32_e64 s[0:1], s21, v29
                                        ; implicit-def: $vgpr29
	s_and_saveexec_b64 s[16:17], s[0:1]
	s_xor_b64 s[0:1], exec, s[16:17]
; %bb.183:                              ;   in Loop: Header=BB329_104 Depth=1
	v_bfe_u32 v29, v33, 16, 1
	v_add3_u32 v29, v33, v29, s22
                                        ; implicit-def: $vgpr33
; %bb.184:                              ;   in Loop: Header=BB329_104 Depth=1
	s_andn2_saveexec_b64 s[16:17], s[0:1]
; %bb.185:                              ;   in Loop: Header=BB329_104 Depth=1
	v_or_b32_e32 v29, 0x10000, v33
	v_cmp_eq_u32_sdwa s[0:1], v33, v17 src0_sel:WORD_0 src1_sel:DWORD
	s_nop 1
	v_cndmask_b32_e64 v29, v29, v33, s[0:1]
; %bb.186:                              ;   in Loop: Header=BB329_104 Depth=1
	s_or_b64 exec, exec, s[16:17]
	v_and_b32_e32 v23, 0xffff0000, v23
	v_lshlrev_b32_e32 v32, 16, v32
	v_mul_f32_e32 v33, v23, v32
	v_and_b32_e32 v32, 0x7f800000, v33
	v_cmp_ne_u32_e64 s[0:1], s21, v32
                                        ; implicit-def: $vgpr32
	s_and_saveexec_b64 s[16:17], s[0:1]
	s_xor_b64 s[0:1], exec, s[16:17]
; %bb.187:                              ;   in Loop: Header=BB329_104 Depth=1
	v_bfe_u32 v32, v33, 16, 1
	v_add3_u32 v32, v33, v32, s22
                                        ; implicit-def: $vgpr33
; %bb.188:                              ;   in Loop: Header=BB329_104 Depth=1
	s_andn2_saveexec_b64 s[16:17], s[0:1]
; %bb.189:                              ;   in Loop: Header=BB329_104 Depth=1
	v_or_b32_e32 v32, 0x10000, v33
	v_cmp_eq_u32_sdwa s[0:1], v33, v17 src0_sel:WORD_0 src1_sel:DWORD
	s_nop 1
	v_cndmask_b32_e64 v32, v32, v33, s[0:1]
; %bb.190:                              ;   in Loop: Header=BB329_104 Depth=1
	s_or_b64 exec, exec, s[16:17]
	v_and_b32_e32 v24, 0xffff0000, v24
	v_lshlrev_b32_e32 v31, 16, v31
	v_mul_f32_e32 v33, v24, v31
	v_and_b32_e32 v31, 0x7f800000, v33
	v_cmp_ne_u32_e64 s[0:1], s21, v31
                                        ; implicit-def: $vgpr31
	s_and_saveexec_b64 s[16:17], s[0:1]
	s_xor_b64 s[0:1], exec, s[16:17]
; %bb.191:                              ;   in Loop: Header=BB329_104 Depth=1
	v_bfe_u32 v31, v33, 16, 1
	v_add3_u32 v31, v33, v31, s22
                                        ; implicit-def: $vgpr33
; %bb.192:                              ;   in Loop: Header=BB329_104 Depth=1
	s_andn2_saveexec_b64 s[16:17], s[0:1]
; %bb.193:                              ;   in Loop: Header=BB329_104 Depth=1
	v_or_b32_e32 v31, 0x10000, v33
	v_cmp_eq_u32_sdwa s[0:1], v33, v17 src0_sel:WORD_0 src1_sel:DWORD
	s_nop 1
	v_cndmask_b32_e64 v31, v31, v33, s[0:1]
; %bb.194:                              ;   in Loop: Header=BB329_104 Depth=1
	s_or_b64 exec, exec, s[16:17]
	v_and_b32_e32 v25, 0xffff0000, v25
	v_lshlrev_b32_e32 v30, 16, v30
	v_mul_f32_e32 v33, v25, v30
	v_and_b32_e32 v30, 0x7f800000, v33
	v_cmp_ne_u32_e64 s[0:1], s21, v30
                                        ; implicit-def: $vgpr30
	s_and_saveexec_b64 s[16:17], s[0:1]
	s_xor_b64 s[0:1], exec, s[16:17]
; %bb.195:                              ;   in Loop: Header=BB329_104 Depth=1
	v_bfe_u32 v30, v33, 16, 1
	v_add3_u32 v30, v33, v30, s22
                                        ; implicit-def: $vgpr33
; %bb.196:                              ;   in Loop: Header=BB329_104 Depth=1
	s_andn2_saveexec_b64 s[16:17], s[0:1]
; %bb.197:                              ;   in Loop: Header=BB329_104 Depth=1
	v_or_b32_e32 v30, 0x10000, v33
	v_cmp_eq_u32_sdwa s[0:1], v33, v17 src0_sel:WORD_0 src1_sel:DWORD
	s_nop 1
	v_cndmask_b32_e64 v30, v30, v33, s[0:1]
; %bb.198:                              ;   in Loop: Header=BB329_104 Depth=1
	s_or_b64 exec, exec, s[16:17]
	v_and_b32_e32 v26, 0xffff0000, v26
	v_lshlrev_b32_e32 v2, 16, v2
	v_mul_f32_e32 v2, v26, v2
	v_and_b32_e32 v33, 0x7f800000, v2
	v_cmp_ne_u32_e64 s[0:1], s21, v33
                                        ; implicit-def: $vgpr33
	s_and_saveexec_b64 s[16:17], s[0:1]
	s_xor_b64 s[0:1], exec, s[16:17]
; %bb.199:                              ;   in Loop: Header=BB329_104 Depth=1
	v_bfe_u32 v33, v2, 16, 1
	v_add3_u32 v33, v2, v33, s22
                                        ; implicit-def: $vgpr2
; %bb.200:                              ;   in Loop: Header=BB329_104 Depth=1
	s_andn2_saveexec_b64 s[16:17], s[0:1]
; %bb.201:                              ;   in Loop: Header=BB329_104 Depth=1
	v_or_b32_e32 v33, 0x10000, v2
	v_cmp_eq_u32_sdwa s[0:1], v2, v17 src0_sel:WORD_0 src1_sel:DWORD
	s_nop 1
	v_cndmask_b32_e64 v33, v33, v2, s[0:1]
; %bb.202:                              ;   in Loop: Header=BB329_104 Depth=1
	s_or_b64 exec, exec, s[16:17]
	v_and_b32_e32 v35, 0xffff0000, v33
	v_and_b32_e32 v34, 0xffff0000, v31
	;; [unrolled: 1-line block ×8, first 2 shown]
	v_pk_add_f32 v[2:3], v[32:33], v[28:29]
	s_nop 0
	v_mov_b32_e32 v28, v3
	v_pk_add_f32 v[2:3], v[2:3], v[28:29]
	v_pk_add_f32 v[28:29], v[30:31], v[34:35]
	s_nop 0
	v_pk_add_f32 v[2:3], v[2:3], v[28:29]
	v_mov_b32_e32 v28, v29
	v_pk_add_f32 v[2:3], v[2:3], v[28:29]
	s_nop 0
	v_pk_add_f32 v[2:3], v[14:15], v[2:3]
	s_and_saveexec_b64 s[16:17], vcc
	s_cbranch_execz .LBB329_103
; %bb.203:                              ;   in Loop: Header=BB329_104 Depth=1
	v_lshl_add_u64 v[4:5], v[4:5], 0, v[18:19]
	global_load_dwordx2 v[4:5], v[4:5], off
	s_waitcnt vmcnt(0)
	v_and_b32_e32 v3, 0xff, v4
	v_cvt_f32_fp8_sdwa v3, v3 src0_sel:BYTE_0
	s_nop 0
	v_mul_f32_e32 v27, s20, v3
	v_and_b32_e32 v3, 0x7f800000, v27
	v_cmp_ne_u32_e64 s[0:1], s21, v3
                                        ; implicit-def: $vgpr3
	s_and_saveexec_b64 s[18:19], s[0:1]
	s_xor_b64 s[0:1], exec, s[18:19]
; %bb.204:                              ;   in Loop: Header=BB329_104 Depth=1
	v_bfe_u32 v3, v27, 16, 1
	v_add3_u32 v3, v27, v3, s22
                                        ; implicit-def: $vgpr27
; %bb.205:                              ;   in Loop: Header=BB329_104 Depth=1
	s_andn2_saveexec_b64 s[18:19], s[0:1]
; %bb.206:                              ;   in Loop: Header=BB329_104 Depth=1
	v_or_b32_e32 v3, 0x10000, v27
	v_cmp_eq_u32_sdwa s[0:1], v27, v17 src0_sel:WORD_0 src1_sel:DWORD
	s_nop 1
	v_cndmask_b32_e64 v3, v3, v27, s[0:1]
; %bb.207:                              ;   in Loop: Header=BB329_104 Depth=1
	s_or_b64 exec, exec, s[18:19]
	v_bfe_u32 v27, v4, 8, 8
	v_cvt_f32_fp8_sdwa v27, v27 src0_sel:BYTE_0
	s_nop 0
	v_mul_f32_e32 v28, s20, v27
	v_and_b32_e32 v27, 0x7f800000, v28
	v_cmp_ne_u32_e64 s[0:1], s21, v27
                                        ; implicit-def: $vgpr27
	s_and_saveexec_b64 s[18:19], s[0:1]
	s_xor_b64 s[0:1], exec, s[18:19]
; %bb.208:                              ;   in Loop: Header=BB329_104 Depth=1
	v_bfe_u32 v27, v28, 16, 1
	v_add3_u32 v27, v28, v27, s22
                                        ; implicit-def: $vgpr28
; %bb.209:                              ;   in Loop: Header=BB329_104 Depth=1
	s_andn2_saveexec_b64 s[18:19], s[0:1]
; %bb.210:                              ;   in Loop: Header=BB329_104 Depth=1
	v_or_b32_e32 v27, 0x10000, v28
	v_cmp_eq_u32_sdwa s[0:1], v28, v17 src0_sel:WORD_0 src1_sel:DWORD
	s_nop 1
	v_cndmask_b32_e64 v27, v27, v28, s[0:1]
; %bb.211:                              ;   in Loop: Header=BB329_104 Depth=1
	s_or_b64 exec, exec, s[18:19]
	v_bfe_u32 v28, v4, 16, 8
	v_cvt_f32_fp8_sdwa v28, v28 src0_sel:BYTE_0
	s_nop 0
	v_mul_f32_e32 v28, s20, v28
	v_and_b32_e32 v29, 0x7f800000, v28
	v_cmp_ne_u32_e64 s[0:1], s21, v29
                                        ; implicit-def: $vgpr29
	s_and_saveexec_b64 s[18:19], s[0:1]
	s_xor_b64 s[0:1], exec, s[18:19]
; %bb.212:                              ;   in Loop: Header=BB329_104 Depth=1
	v_bfe_u32 v29, v28, 16, 1
	v_add3_u32 v29, v28, v29, s22
                                        ; implicit-def: $vgpr28
; %bb.213:                              ;   in Loop: Header=BB329_104 Depth=1
	s_andn2_saveexec_b64 s[18:19], s[0:1]
; %bb.214:                              ;   in Loop: Header=BB329_104 Depth=1
	v_or_b32_e32 v29, 0x10000, v28
	v_cmp_eq_u32_sdwa s[0:1], v28, v17 src0_sel:WORD_0 src1_sel:DWORD
	s_nop 1
	v_cndmask_b32_e64 v29, v29, v28, s[0:1]
; %bb.215:                              ;   in Loop: Header=BB329_104 Depth=1
	s_or_b64 exec, exec, s[18:19]
	v_lshrrev_b32_e32 v4, 24, v4
	v_cvt_f32_fp8_sdwa v4, v4 src0_sel:BYTE_0
	s_nop 0
	v_mul_f32_e32 v28, s20, v4
	v_and_b32_e32 v4, 0x7f800000, v28
	v_cmp_ne_u32_e64 s[0:1], s21, v4
                                        ; implicit-def: $vgpr4
	s_and_saveexec_b64 s[18:19], s[0:1]
	s_xor_b64 s[0:1], exec, s[18:19]
; %bb.216:                              ;   in Loop: Header=BB329_104 Depth=1
	v_bfe_u32 v4, v28, 16, 1
	v_add3_u32 v4, v28, v4, s22
                                        ; implicit-def: $vgpr28
; %bb.217:                              ;   in Loop: Header=BB329_104 Depth=1
	s_andn2_saveexec_b64 s[18:19], s[0:1]
; %bb.218:                              ;   in Loop: Header=BB329_104 Depth=1
	v_or_b32_e32 v4, 0x10000, v28
	v_cmp_eq_u32_sdwa s[0:1], v28, v17 src0_sel:WORD_0 src1_sel:DWORD
	s_nop 1
	v_cndmask_b32_e64 v4, v4, v28, s[0:1]
; %bb.219:                              ;   in Loop: Header=BB329_104 Depth=1
	s_or_b64 exec, exec, s[18:19]
	v_and_b32_e32 v28, 0xff, v5
	v_cvt_f32_fp8_sdwa v28, v28 src0_sel:BYTE_0
	s_nop 0
	v_mul_f32_e32 v28, s20, v28
	v_and_b32_e32 v30, 0x7f800000, v28
	v_cmp_ne_u32_e64 s[0:1], s21, v30
                                        ; implicit-def: $vgpr30
	s_and_saveexec_b64 s[18:19], s[0:1]
	s_xor_b64 s[0:1], exec, s[18:19]
; %bb.220:                              ;   in Loop: Header=BB329_104 Depth=1
	v_bfe_u32 v30, v28, 16, 1
	v_add3_u32 v30, v28, v30, s22
                                        ; implicit-def: $vgpr28
; %bb.221:                              ;   in Loop: Header=BB329_104 Depth=1
	s_andn2_saveexec_b64 s[18:19], s[0:1]
; %bb.222:                              ;   in Loop: Header=BB329_104 Depth=1
	v_or_b32_e32 v30, 0x10000, v28
	v_cmp_eq_u32_sdwa s[0:1], v28, v17 src0_sel:WORD_0 src1_sel:DWORD
	s_nop 1
	v_cndmask_b32_e64 v30, v30, v28, s[0:1]
; %bb.223:                              ;   in Loop: Header=BB329_104 Depth=1
	s_or_b64 exec, exec, s[18:19]
	v_bfe_u32 v28, v5, 8, 8
	v_cvt_f32_fp8_sdwa v28, v28 src0_sel:BYTE_0
	s_nop 0
	v_mul_f32_e32 v31, s20, v28
	v_and_b32_e32 v28, 0x7f800000, v31
	v_cmp_ne_u32_e64 s[0:1], s21, v28
                                        ; implicit-def: $vgpr28
	s_and_saveexec_b64 s[18:19], s[0:1]
	s_xor_b64 s[0:1], exec, s[18:19]
; %bb.224:                              ;   in Loop: Header=BB329_104 Depth=1
	v_bfe_u32 v28, v31, 16, 1
	v_add3_u32 v28, v31, v28, s22
                                        ; implicit-def: $vgpr31
; %bb.225:                              ;   in Loop: Header=BB329_104 Depth=1
	s_andn2_saveexec_b64 s[18:19], s[0:1]
; %bb.226:                              ;   in Loop: Header=BB329_104 Depth=1
	v_or_b32_e32 v28, 0x10000, v31
	v_cmp_eq_u32_sdwa s[0:1], v31, v17 src0_sel:WORD_0 src1_sel:DWORD
	s_nop 1
	v_cndmask_b32_e64 v28, v28, v31, s[0:1]
; %bb.227:                              ;   in Loop: Header=BB329_104 Depth=1
	s_or_b64 exec, exec, s[18:19]
	v_bfe_u32 v31, v5, 16, 8
	v_cvt_f32_fp8_sdwa v31, v31 src0_sel:BYTE_0
	s_nop 0
	v_mul_f32_e32 v31, s20, v31
	v_and_b32_e32 v32, 0x7f800000, v31
	v_cmp_ne_u32_e64 s[0:1], s21, v32
                                        ; implicit-def: $vgpr32
	s_and_saveexec_b64 s[18:19], s[0:1]
	s_xor_b64 s[0:1], exec, s[18:19]
; %bb.228:                              ;   in Loop: Header=BB329_104 Depth=1
	v_bfe_u32 v32, v31, 16, 1
	v_add3_u32 v32, v31, v32, s22
                                        ; implicit-def: $vgpr31
; %bb.229:                              ;   in Loop: Header=BB329_104 Depth=1
	s_andn2_saveexec_b64 s[18:19], s[0:1]
; %bb.230:                              ;   in Loop: Header=BB329_104 Depth=1
	v_or_b32_e32 v32, 0x10000, v31
	v_cmp_eq_u32_sdwa s[0:1], v31, v17 src0_sel:WORD_0 src1_sel:DWORD
	s_nop 1
	v_cndmask_b32_e64 v32, v32, v31, s[0:1]
; %bb.231:                              ;   in Loop: Header=BB329_104 Depth=1
	s_or_b64 exec, exec, s[18:19]
	v_lshrrev_b32_e32 v5, 24, v5
	v_cvt_f32_fp8_sdwa v5, v5 src0_sel:BYTE_0
                                        ; implicit-def: $vgpr33
	s_nop 0
	v_mul_f32_e32 v5, s20, v5
	v_and_b32_e32 v31, 0x7f800000, v5
	v_cmp_ne_u32_e64 s[0:1], s21, v31
	s_and_saveexec_b64 s[18:19], s[0:1]
	s_xor_b64 s[0:1], exec, s[18:19]
; %bb.232:                              ;   in Loop: Header=BB329_104 Depth=1
	v_bfe_u32 v31, v5, 16, 1
	v_add3_u32 v33, v5, v31, s22
                                        ; implicit-def: $vgpr5
; %bb.233:                              ;   in Loop: Header=BB329_104 Depth=1
	s_andn2_saveexec_b64 s[18:19], s[0:1]
; %bb.234:                              ;   in Loop: Header=BB329_104 Depth=1
	v_or_b32_e32 v31, 0x10000, v5
	v_cmp_eq_u32_sdwa s[0:1], v5, v17 src0_sel:WORD_0 src1_sel:DWORD
	s_nop 1
	v_cndmask_b32_e64 v33, v31, v5, s[0:1]
; %bb.235:                              ;   in Loop: Header=BB329_104 Depth=1
	s_or_b64 exec, exec, s[18:19]
	v_lshrrev_b32_e32 v28, 16, v28
	v_lshrrev_b32_e32 v30, 16, v30
	;; [unrolled: 1-line block ×8, first 2 shown]
	s_and_saveexec_b64 s[18:19], s[2:3]
	s_cbranch_execz .LBB329_237
; %bb.236:                              ;   in Loop: Header=BB329_104 Depth=1
	v_cmp_gt_i32_e64 s[0:1], s29, v6
	v_add_u32_e32 v6, -6, v11
	s_nop 0
	v_cndmask_b32_e64 v4, 0, v4, s[0:1]
	v_cmp_gt_i32_e64 s[0:1], s29, v6
	v_add_u32_e32 v6, -5, v11
	s_nop 0
	v_cndmask_b32_e64 v27, 0, v27, s[0:1]
	;; [unrolled: 4-line block ×6, first 2 shown]
	v_cmp_gt_i32_e64 s[0:1], s29, v6
	s_nop 1
	v_cndmask_b32_e64 v5, 0, v5, s[0:1]
	v_cmp_gt_i32_e64 s[0:1], s29, v11
	s_nop 1
	v_cndmask_b32_e64 v3, 0, v3, s[0:1]
.LBB329_237:                            ;   in Loop: Header=BB329_104 Depth=1
	s_or_b64 exec, exec, s[18:19]
	v_lshlrev_b32_e32 v4, 16, v4
	v_mul_f32_e32 v6, v7, v4
	v_and_b32_e32 v4, 0x7f800000, v6
	v_cmp_ne_u32_e64 s[0:1], s21, v4
                                        ; implicit-def: $vgpr4
	s_and_saveexec_b64 s[2:3], s[0:1]
	s_xor_b64 s[0:1], exec, s[2:3]
; %bb.238:                              ;   in Loop: Header=BB329_104 Depth=1
	v_bfe_u32 v4, v6, 16, 1
	v_add3_u32 v4, v6, v4, s22
                                        ; implicit-def: $vgpr6
; %bb.239:                              ;   in Loop: Header=BB329_104 Depth=1
	s_andn2_saveexec_b64 s[2:3], s[0:1]
; %bb.240:                              ;   in Loop: Header=BB329_104 Depth=1
	v_or_b32_e32 v4, 0x10000, v6
	v_cmp_eq_u32_sdwa s[0:1], v6, v17 src0_sel:WORD_0 src1_sel:DWORD
	s_nop 1
	v_cndmask_b32_e64 v4, v4, v6, s[0:1]
; %bb.241:                              ;   in Loop: Header=BB329_104 Depth=1
	s_or_b64 exec, exec, s[2:3]
	v_lshlrev_b32_e32 v6, 16, v27
	v_mul_f32_e32 v7, v8, v6
	v_and_b32_e32 v6, 0x7f800000, v7
	v_cmp_ne_u32_e64 s[0:1], s21, v6
                                        ; implicit-def: $vgpr6
	s_and_saveexec_b64 s[2:3], s[0:1]
	s_xor_b64 s[0:1], exec, s[2:3]
; %bb.242:                              ;   in Loop: Header=BB329_104 Depth=1
	v_bfe_u32 v6, v7, 16, 1
	v_add3_u32 v6, v7, v6, s22
                                        ; implicit-def: $vgpr7
; %bb.243:                              ;   in Loop: Header=BB329_104 Depth=1
	s_andn2_saveexec_b64 s[2:3], s[0:1]
; %bb.244:                              ;   in Loop: Header=BB329_104 Depth=1
	v_or_b32_e32 v6, 0x10000, v7
	v_cmp_eq_u32_sdwa s[0:1], v7, v17 src0_sel:WORD_0 src1_sel:DWORD
	s_nop 1
	v_cndmask_b32_e64 v6, v6, v7, s[0:1]
; %bb.245:                              ;   in Loop: Header=BB329_104 Depth=1
	s_or_b64 exec, exec, s[2:3]
	v_lshlrev_b32_e32 v7, 16, v29
	v_mul_f32_e32 v8, v9, v7
	v_and_b32_e32 v7, 0x7f800000, v8
	v_cmp_ne_u32_e64 s[0:1], s21, v7
                                        ; implicit-def: $vgpr7
	s_and_saveexec_b64 s[2:3], s[0:1]
	s_xor_b64 s[0:1], exec, s[2:3]
; %bb.246:                              ;   in Loop: Header=BB329_104 Depth=1
	v_bfe_u32 v7, v8, 16, 1
	v_add3_u32 v7, v8, v7, s22
                                        ; implicit-def: $vgpr8
; %bb.247:                              ;   in Loop: Header=BB329_104 Depth=1
	s_andn2_saveexec_b64 s[2:3], s[0:1]
; %bb.248:                              ;   in Loop: Header=BB329_104 Depth=1
	v_or_b32_e32 v7, 0x10000, v8
	v_cmp_eq_u32_sdwa s[0:1], v8, v17 src0_sel:WORD_0 src1_sel:DWORD
	s_nop 1
	v_cndmask_b32_e64 v7, v7, v8, s[0:1]
; %bb.249:                              ;   in Loop: Header=BB329_104 Depth=1
	s_or_b64 exec, exec, s[2:3]
	v_lshlrev_b32_e32 v8, 16, v31
	v_mul_f32_e32 v9, v13, v8
	v_and_b32_e32 v8, 0x7f800000, v9
	v_cmp_ne_u32_e64 s[0:1], s21, v8
                                        ; implicit-def: $vgpr8
	s_and_saveexec_b64 s[2:3], s[0:1]
	s_xor_b64 s[0:1], exec, s[2:3]
; %bb.250:                              ;   in Loop: Header=BB329_104 Depth=1
	v_bfe_u32 v8, v9, 16, 1
	v_add3_u32 v8, v9, v8, s22
                                        ; implicit-def: $vgpr9
; %bb.251:                              ;   in Loop: Header=BB329_104 Depth=1
	s_andn2_saveexec_b64 s[2:3], s[0:1]
; %bb.252:                              ;   in Loop: Header=BB329_104 Depth=1
	v_or_b32_e32 v8, 0x10000, v9
	v_cmp_eq_u32_sdwa s[0:1], v9, v17 src0_sel:WORD_0 src1_sel:DWORD
	s_nop 1
	v_cndmask_b32_e64 v8, v8, v9, s[0:1]
; %bb.253:                              ;   in Loop: Header=BB329_104 Depth=1
	s_or_b64 exec, exec, s[2:3]
	v_lshlrev_b32_e32 v9, 16, v30
	v_mul_f32_e32 v13, v23, v9
	v_and_b32_e32 v9, 0x7f800000, v13
	v_cmp_ne_u32_e64 s[0:1], s21, v9
                                        ; implicit-def: $vgpr9
	s_and_saveexec_b64 s[2:3], s[0:1]
	s_xor_b64 s[0:1], exec, s[2:3]
; %bb.254:                              ;   in Loop: Header=BB329_104 Depth=1
	v_bfe_u32 v9, v13, 16, 1
	v_add3_u32 v9, v13, v9, s22
                                        ; implicit-def: $vgpr13
; %bb.255:                              ;   in Loop: Header=BB329_104 Depth=1
	s_andn2_saveexec_b64 s[2:3], s[0:1]
; %bb.256:                              ;   in Loop: Header=BB329_104 Depth=1
	v_or_b32_e32 v9, 0x10000, v13
	v_cmp_eq_u32_sdwa s[0:1], v13, v17 src0_sel:WORD_0 src1_sel:DWORD
	s_nop 1
	v_cndmask_b32_e64 v9, v9, v13, s[0:1]
; %bb.257:                              ;   in Loop: Header=BB329_104 Depth=1
	s_or_b64 exec, exec, s[2:3]
	v_lshlrev_b32_e32 v13, 16, v28
	v_mul_f32_e32 v23, v24, v13
	v_and_b32_e32 v13, 0x7f800000, v23
	v_cmp_ne_u32_e64 s[0:1], s21, v13
                                        ; implicit-def: $vgpr13
	s_and_saveexec_b64 s[2:3], s[0:1]
	s_xor_b64 s[0:1], exec, s[2:3]
; %bb.258:                              ;   in Loop: Header=BB329_104 Depth=1
	v_bfe_u32 v13, v23, 16, 1
	v_add3_u32 v13, v23, v13, s22
                                        ; implicit-def: $vgpr23
; %bb.259:                              ;   in Loop: Header=BB329_104 Depth=1
	s_andn2_saveexec_b64 s[2:3], s[0:1]
; %bb.260:                              ;   in Loop: Header=BB329_104 Depth=1
	v_or_b32_e32 v13, 0x10000, v23
	v_cmp_eq_u32_sdwa s[0:1], v23, v17 src0_sel:WORD_0 src1_sel:DWORD
	s_nop 1
	v_cndmask_b32_e64 v13, v13, v23, s[0:1]
; %bb.261:                              ;   in Loop: Header=BB329_104 Depth=1
	s_or_b64 exec, exec, s[2:3]
	v_lshlrev_b32_e32 v5, 16, v5
	v_mul_f32_e32 v23, v25, v5
	v_and_b32_e32 v5, 0x7f800000, v23
	v_cmp_ne_u32_e64 s[0:1], s21, v5
                                        ; implicit-def: $vgpr5
	s_and_saveexec_b64 s[2:3], s[0:1]
	s_xor_b64 s[0:1], exec, s[2:3]
; %bb.262:                              ;   in Loop: Header=BB329_104 Depth=1
	v_bfe_u32 v5, v23, 16, 1
	v_add3_u32 v5, v23, v5, s22
                                        ; implicit-def: $vgpr23
; %bb.263:                              ;   in Loop: Header=BB329_104 Depth=1
	s_andn2_saveexec_b64 s[2:3], s[0:1]
; %bb.264:                              ;   in Loop: Header=BB329_104 Depth=1
	v_or_b32_e32 v5, 0x10000, v23
	v_cmp_eq_u32_sdwa s[0:1], v23, v17 src0_sel:WORD_0 src1_sel:DWORD
	s_nop 1
	v_cndmask_b32_e64 v5, v5, v23, s[0:1]
; %bb.265:                              ;   in Loop: Header=BB329_104 Depth=1
	s_or_b64 exec, exec, s[2:3]
	v_lshlrev_b32_e32 v3, 16, v3
	v_mul_f32_e32 v3, v26, v3
	v_and_b32_e32 v23, 0x7f800000, v3
	v_cmp_ne_u32_e64 s[0:1], s21, v23
                                        ; implicit-def: $vgpr23
	s_and_saveexec_b64 s[2:3], s[0:1]
	s_xor_b64 s[0:1], exec, s[2:3]
; %bb.266:                              ;   in Loop: Header=BB329_104 Depth=1
	v_bfe_u32 v23, v3, 16, 1
	v_add3_u32 v23, v3, v23, s22
                                        ; implicit-def: $vgpr3
; %bb.267:                              ;   in Loop: Header=BB329_104 Depth=1
	s_andn2_saveexec_b64 s[2:3], s[0:1]
	s_cbranch_execz .LBB329_102
; %bb.268:                              ;   in Loop: Header=BB329_104 Depth=1
	v_or_b32_e32 v23, 0x10000, v3
	v_cmp_eq_u32_sdwa s[0:1], v3, v17 src0_sel:WORD_0 src1_sel:DWORD
	s_nop 1
	v_cndmask_b32_e64 v23, v23, v3, s[0:1]
	s_branch .LBB329_102
.LBB329_269:
	s_or_b64 exec, exec, s[14:15]
.LBB329_270:
	s_or_b64 exec, exec, s[12:13]
	v_and_b32_e32 v3, 0x3c0, v0
	v_cmp_eq_u32_e32 vcc, 64, v3
	s_barrier
	s_and_saveexec_b64 s[0:1], vcc
	s_cbranch_execz .LBB329_273
; %bb.271:
	v_mov_b32_e32 v3, 0x100
	v_lshl_add_u32 v1, v1, 2, v3
	ds_write_b32 v1, v2
	s_and_b64 exec, exec, s[10:11]
	s_cbranch_execz .LBB329_273
; %bb.272:
	v_lshl_add_u32 v1, v0, 2, v3
	ds_write_b32 v1, v15
.LBB329_273:
	s_or_b64 exec, exec, s[0:1]
	v_cmp_gt_u32_e32 vcc, 64, v0
	v_or_b32_e32 v1, 64, v0
	s_waitcnt lgkmcnt(0)
	s_barrier
	s_and_saveexec_b64 s[2:3], vcc
	s_cbranch_execz .LBB329_277
; %bb.274:
	v_mov_b32_e32 v3, 0x100
	v_lshl_add_u32 v3, v0, 2, v3
	ds_read_b32 v0, v3
	s_movk_i32 s0, 0x78
	v_cmp_gt_u32_e64 s[0:1], s0, v1
	s_and_saveexec_b64 s[6:7], s[0:1]
	s_cbranch_execz .LBB329_276
; %bb.275:
	ds_read_b32 v3, v3 offset:256
	s_waitcnt lgkmcnt(0)
	v_add_f32_e32 v15, v15, v3
.LBB329_276:
	s_or_b64 exec, exec, s[6:7]
	s_waitcnt lgkmcnt(0)
	v_add_f32_e32 v2, v2, v0
.LBB329_277:
	s_or_b64 exec, exec, s[2:3]
	s_barrier
	s_and_saveexec_b64 s[0:1], vcc
	s_cbranch_execz .LBB329_288
; %bb.278:
	s_mov_b32 s0, 0x7f800000
	v_and_b32_e32 v0, 0x7f800000, v2
	v_cmp_ne_u32_e32 vcc, s0, v0
                                        ; implicit-def: $vgpr0
	s_and_saveexec_b64 s[0:1], vcc
	s_xor_b64 s[0:1], exec, s[0:1]
; %bb.279:
	v_bfe_u32 v0, v2, 16, 1
	s_movk_i32 s2, 0x7fff
	v_add3_u32 v0, v2, v0, s2
                                        ; implicit-def: $vgpr2
; %bb.280:
	s_andn2_saveexec_b64 s[0:1], s[0:1]
; %bb.281:
	v_mov_b32_e32 v0, 0
	v_or_b32_e32 v3, 0x10000, v2
	v_cmp_eq_u32_sdwa vcc, v2, v0 src0_sel:WORD_0 src1_sel:DWORD
	s_nop 1
	v_cndmask_b32_e32 v0, v3, v2, vcc
; %bb.282:
	s_or_b64 exec, exec, s[0:1]
	s_mul_i32 s0, s8, 0x78
	s_ashr_i32 s1, s0, 31
	s_lshl_b64 s[0:1], s[0:1], 1
	s_add_u32 s3, s26, s0
	s_mul_i32 s0, s25, s24
	s_addc_u32 s5, s27, s1
	s_ashr_i32 s1, s0, 31
	s_lshl_b64 s[0:1], s[0:1], 1
	s_add_u32 s3, s3, s0
	s_mul_i32 s0, s4, 0x78
	s_addc_u32 s5, s5, s1
	s_ashr_i32 s1, s0, 31
	s_lshl_b64 s[0:1], s[0:1], 1
	s_movk_i32 s2, 0x78
	s_add_u32 s0, s3, s0
	s_addc_u32 s1, s5, s1
	v_cmp_gt_u32_e32 vcc, s2, v1
	global_store_short_d16_hi v10, v0, s[0:1]
	s_and_b64 exec, exec, vcc
	s_cbranch_execz .LBB329_288
; %bb.283:
	s_mov_b32 s2, 0x7f800000
	v_and_b32_e32 v0, 0x7f800000, v15
	v_mov_b32_e32 v11, 0
	v_cmp_ne_u32_e32 vcc, s2, v0
                                        ; implicit-def: $vgpr2
	s_and_saveexec_b64 s[2:3], vcc
	s_xor_b64 s[2:3], exec, s[2:3]
; %bb.284:
	v_bfe_u32 v0, v15, 16, 1
	s_movk_i32 s4, 0x7fff
	v_add3_u32 v2, v15, v0, s4
                                        ; implicit-def: $vgpr15
; %bb.285:
	s_or_saveexec_b64 s[2:3], s[2:3]
	v_lshl_add_u64 v[0:1], s[0:1], 0, v[10:11]
	s_xor_b64 exec, exec, s[2:3]
; %bb.286:
	v_mov_b32_e32 v2, 0
	v_or_b32_e32 v3, 0x10000, v15
	v_cmp_eq_u32_sdwa vcc, v15, v2 src0_sel:WORD_0 src1_sel:DWORD
	s_nop 1
	v_cndmask_b32_e32 v2, v3, v15, vcc
; %bb.287:
	s_or_b64 exec, exec, s[2:3]
	global_store_short_d16_hi v[0:1], v2, off offset:128
.LBB329_288:
	s_endpgm
	.section	.rodata,"a",@progbits
	.p2align	6, 0x0
	.amdhsa_kernel _ZN4vllm25paged_attention_v2_kernelI14__hip_bfloat16hLi120ELi8ELi128ELNS_18Fp8KVCacheDataTypeE1ELb0ELi512EEEvPfS3_PT_PKS4_PKT0_SA_ifPKiSC_iPKfiiiSE_SE_iiiii
		.amdhsa_group_segment_fixed_size 256
		.amdhsa_private_segment_fixed_size 0
		.amdhsa_kernarg_size 400
		.amdhsa_user_sgpr_count 2
		.amdhsa_user_sgpr_dispatch_ptr 0
		.amdhsa_user_sgpr_queue_ptr 0
		.amdhsa_user_sgpr_kernarg_segment_ptr 1
		.amdhsa_user_sgpr_dispatch_id 0
		.amdhsa_user_sgpr_kernarg_preload_length 0
		.amdhsa_user_sgpr_kernarg_preload_offset 0
		.amdhsa_user_sgpr_private_segment_size 0
		.amdhsa_uses_dynamic_stack 0
		.amdhsa_enable_private_segment 0
		.amdhsa_system_sgpr_workgroup_id_x 1
		.amdhsa_system_sgpr_workgroup_id_y 1
		.amdhsa_system_sgpr_workgroup_id_z 1
		.amdhsa_system_sgpr_workgroup_info 0
		.amdhsa_system_vgpr_workitem_id 0
		.amdhsa_next_free_vgpr 53
		.amdhsa_next_free_sgpr 49
		.amdhsa_accum_offset 56
		.amdhsa_reserve_vcc 1
		.amdhsa_float_round_mode_32 0
		.amdhsa_float_round_mode_16_64 0
		.amdhsa_float_denorm_mode_32 3
		.amdhsa_float_denorm_mode_16_64 3
		.amdhsa_dx10_clamp 1
		.amdhsa_ieee_mode 1
		.amdhsa_fp16_overflow 0
		.amdhsa_tg_split 0
		.amdhsa_exception_fp_ieee_invalid_op 0
		.amdhsa_exception_fp_denorm_src 0
		.amdhsa_exception_fp_ieee_div_zero 0
		.amdhsa_exception_fp_ieee_overflow 0
		.amdhsa_exception_fp_ieee_underflow 0
		.amdhsa_exception_fp_ieee_inexact 0
		.amdhsa_exception_int_div_zero 0
	.end_amdhsa_kernel
	.section	.text._ZN4vllm25paged_attention_v2_kernelI14__hip_bfloat16hLi120ELi8ELi128ELNS_18Fp8KVCacheDataTypeE1ELb0ELi512EEEvPfS3_PT_PKS4_PKT0_SA_ifPKiSC_iPKfiiiSE_SE_iiiii,"axG",@progbits,_ZN4vllm25paged_attention_v2_kernelI14__hip_bfloat16hLi120ELi8ELi128ELNS_18Fp8KVCacheDataTypeE1ELb0ELi512EEEvPfS3_PT_PKS4_PKT0_SA_ifPKiSC_iPKfiiiSE_SE_iiiii,comdat
.Lfunc_end329:
	.size	_ZN4vllm25paged_attention_v2_kernelI14__hip_bfloat16hLi120ELi8ELi128ELNS_18Fp8KVCacheDataTypeE1ELb0ELi512EEEvPfS3_PT_PKS4_PKT0_SA_ifPKiSC_iPKfiiiSE_SE_iiiii, .Lfunc_end329-_ZN4vllm25paged_attention_v2_kernelI14__hip_bfloat16hLi120ELi8ELi128ELNS_18Fp8KVCacheDataTypeE1ELb0ELi512EEEvPfS3_PT_PKS4_PKT0_SA_ifPKiSC_iPKfiiiSE_SE_iiiii
                                        ; -- End function
	.section	.AMDGPU.csdata,"",@progbits
; Kernel info:
; codeLenInByte = 9540
; NumSgprs: 55
; NumVgprs: 53
; NumAgprs: 0
; TotalNumVgprs: 53
; ScratchSize: 0
; MemoryBound: 0
; FloatMode: 240
; IeeeMode: 1
; LDSByteSize: 256 bytes/workgroup (compile time only)
; SGPRBlocks: 6
; VGPRBlocks: 6
; NumSGPRsForWavesPerEU: 55
; NumVGPRsForWavesPerEU: 53
; AccumOffset: 56
; Occupancy: 8
; WaveLimiterHint : 1
; COMPUTE_PGM_RSRC2:SCRATCH_EN: 0
; COMPUTE_PGM_RSRC2:USER_SGPR: 2
; COMPUTE_PGM_RSRC2:TRAP_HANDLER: 0
; COMPUTE_PGM_RSRC2:TGID_X_EN: 1
; COMPUTE_PGM_RSRC2:TGID_Y_EN: 1
; COMPUTE_PGM_RSRC2:TGID_Z_EN: 1
; COMPUTE_PGM_RSRC2:TIDIG_COMP_CNT: 0
; COMPUTE_PGM_RSRC3_GFX90A:ACCUM_OFFSET: 13
; COMPUTE_PGM_RSRC3_GFX90A:TG_SPLIT: 0
	.section	.text._ZN4vllm25paged_attention_v2_kernelI14__hip_bfloat16hLi128ELi8ELi128ELNS_18Fp8KVCacheDataTypeE1ELb0ELi512EEEvPfS3_PT_PKS4_PKT0_SA_ifPKiSC_iPKfiiiSE_SE_iiiii,"axG",@progbits,_ZN4vllm25paged_attention_v2_kernelI14__hip_bfloat16hLi128ELi8ELi128ELNS_18Fp8KVCacheDataTypeE1ELb0ELi512EEEvPfS3_PT_PKS4_PKT0_SA_ifPKiSC_iPKfiiiSE_SE_iiiii,comdat
	.protected	_ZN4vllm25paged_attention_v2_kernelI14__hip_bfloat16hLi128ELi8ELi128ELNS_18Fp8KVCacheDataTypeE1ELb0ELi512EEEvPfS3_PT_PKS4_PKT0_SA_ifPKiSC_iPKfiiiSE_SE_iiiii ; -- Begin function _ZN4vllm25paged_attention_v2_kernelI14__hip_bfloat16hLi128ELi8ELi128ELNS_18Fp8KVCacheDataTypeE1ELb0ELi512EEEvPfS3_PT_PKS4_PKT0_SA_ifPKiSC_iPKfiiiSE_SE_iiiii
	.globl	_ZN4vllm25paged_attention_v2_kernelI14__hip_bfloat16hLi128ELi8ELi128ELNS_18Fp8KVCacheDataTypeE1ELb0ELi512EEEvPfS3_PT_PKS4_PKT0_SA_ifPKiSC_iPKfiiiSE_SE_iiiii
	.p2align	8
	.type	_ZN4vllm25paged_attention_v2_kernelI14__hip_bfloat16hLi128ELi8ELi128ELNS_18Fp8KVCacheDataTypeE1ELb0ELi512EEEvPfS3_PT_PKS4_PKT0_SA_ifPKiSC_iPKfiiiSE_SE_iiiii,@function
_ZN4vllm25paged_attention_v2_kernelI14__hip_bfloat16hLi128ELi8ELi128ELNS_18Fp8KVCacheDataTypeE1ELb0ELi512EEEvPfS3_PT_PKS4_PKT0_SA_ifPKiSC_iPKfiiiSE_SE_iiiii: ; @_ZN4vllm25paged_attention_v2_kernelI14__hip_bfloat16hLi128ELi8ELi128ELNS_18Fp8KVCacheDataTypeE1ELb0ELi512EEEvPfS3_PT_PKS4_PKT0_SA_ifPKiSC_iPKfiiiSE_SE_iiiii
; %bb.0:
	s_load_dwordx2 s[6:7], s[0:1], 0x40
	s_mov_b32 s28, s3
	s_ashr_i32 s29, s3, 31
	s_lshl_b64 s[8:9], s[28:29], 2
	s_waitcnt lgkmcnt(0)
	s_add_u32 s6, s6, s8
	s_addc_u32 s7, s7, s9
	s_load_dword s29, s[6:7], 0x0
	s_lshl_b32 s33, s4, 9
	s_waitcnt lgkmcnt(0)
	s_cmp_ge_i32 s33, s29
	s_cbranch_scc1 .LBB330_286
; %bb.1:
	s_load_dword s5, s[0:1], 0x90
	s_load_dwordx2 s[10:11], s[0:1], 0x30
	s_waitcnt lgkmcnt(0)
	s_abs_i32 s7, s5
	s_abs_i32 s3, s10
	v_cvt_f32_u32_e32 v1, s3
	s_sub_i32 s8, 0, s3
	s_xor_b32 s6, s5, s10
	s_ashr_i32 s6, s6, 31
	v_rcp_iflag_f32_e32 v1, v1
	s_nop 0
	v_mul_f32_e32 v1, 0x4f7ffffe, v1
	v_cvt_u32_f32_e32 v1, v1
	s_nop 0
	v_readfirstlane_b32 s9, v1
	s_mul_i32 s8, s8, s9
	s_mul_hi_u32 s8, s9, s8
	s_add_i32 s9, s9, s8
	s_mul_hi_u32 s8, s7, s9
	s_mul_i32 s9, s8, s3
	s_sub_i32 s7, s7, s9
	s_add_i32 s10, s8, 1
	s_sub_i32 s9, s7, s3
	s_cmp_ge_u32 s7, s3
	s_cselect_b32 s8, s10, s8
	s_cselect_b32 s7, s9, s7
	s_add_i32 s9, s8, 1
	s_cmp_ge_u32 s7, s3
	s_cselect_b32 s3, s9, s8
	s_xor_b32 s3, s3, s6
	s_sub_i32 s12, s3, s6
	s_abs_i32 s8, s12
	v_cvt_f32_u32_e32 v1, s8
	s_load_dwordx2 s[6:7], s[0:1], 0x50
	s_sub_i32 s3, 0, s8
	s_abs_i32 s9, s2
	v_rcp_iflag_f32_e32 v1, v1
	s_mov_b32 s10, 0
	v_mul_f32_e32 v1, 0x4f7ffffe, v1
	v_cvt_u32_f32_e32 v1, v1
	s_nop 0
	v_readfirstlane_b32 s13, v1
	s_mul_i32 s3, s3, s13
	s_mul_hi_u32 s3, s13, s3
	s_add_i32 s13, s13, s3
	s_waitcnt lgkmcnt(0)
	s_cmp_eq_u64 s[6:7], 0
	s_mul_hi_u32 s16, s9, s13
	s_cbranch_scc1 .LBB330_3
; %bb.2:
	s_ashr_i32 s3, s2, 31
	s_lshl_b64 s[14:15], s[2:3], 2
	s_add_u32 s6, s6, s14
	s_addc_u32 s7, s7, s15
	s_load_dword s10, s[6:7], 0x0
.LBB330_3:
	s_ashr_i32 s18, s12, 31
	s_load_dwordx4 s[12:15], s[0:1], 0x58
	s_movk_i32 s3, 0x80
	s_ashr_i32 s17, s2, 31
	v_and_b32_e32 v2, 7, v0
	s_lshl_b32 s24, s2, 7
	v_cmp_gt_u32_e32 vcc, s3, v0
	v_lshlrev_b32_e32 v10, 1, v0
	s_and_saveexec_b64 s[6:7], vcc
	s_cbranch_execz .LBB330_5
; %bb.4:
	s_load_dwordx2 s[20:21], s[0:1], 0x18
	s_waitcnt lgkmcnt(0)
	s_mul_i32 s22, s28, s12
	s_ashr_i32 s23, s22, 31
	s_lshl_b64 s[22:23], s[22:23], 1
	v_lshrrev_b32_e32 v3, 2, v0
	s_add_u32 s3, s20, s22
	s_addc_u32 s12, s21, s23
	s_ashr_i32 s25, s24, 31
	s_lshl_b64 s[20:21], s[24:25], 1
	s_add_u32 s20, s3, s20
	s_addc_u32 s21, s12, s21
	global_load_ushort v1, v10, s[20:21]
	v_and_b32_e32 v3, 0xfe, v3
	v_lshl_add_u32 v3, v2, 5, v3
	s_waitcnt vmcnt(0)
	ds_write_b16 v3, v1
.LBB330_5:
	s_or_b64 exec, exec, s[6:7]
	s_add_i32 s3, s29, 7
	s_ashr_i32 s6, s3, 31
	s_lshr_b32 s6, s6, 29
	s_add_i32 s3, s3, s6
	s_ashr_i32 s40, s3, 3
	s_lshl_b32 s3, s4, 6
	s_mul_i32 s7, s16, s8
	s_add_i32 s6, s3, 64
	s_sub_i32 s7, s9, s7
	s_min_i32 s25, s6, s40
	s_xor_b32 s6, s17, s18
	s_add_i32 s9, s16, 1
	s_waitcnt lgkmcnt(0)
	s_sub_i32 s12, s7, s8
	s_cmp_ge_u32 s7, s8
	s_cselect_b32 s9, s9, s16
	s_cselect_b32 s7, s12, s7
	s_add_i32 s12, s9, 1
	s_cmp_ge_u32 s7, s8
	s_load_dwordx2 s[30:31], s[0:1], 0x38
	s_load_dword s8, s[0:1], 0x48
	v_lshrrev_b32_e32 v18, 6, v0
	s_cselect_b32 s7, s12, s9
	s_xor_b32 s7, s7, s6
	v_or_b32_e32 v12, s3, v18
	s_waitcnt lgkmcnt(0)
	s_mul_i32 s34, s28, s8
	s_sub_i32 s41, s7, s6
	s_ashr_i32 s35, s34, 31
	v_cmp_gt_i32_e64 s[8:9], s25, v12
	v_cmp_le_i32_e32 vcc, s25, v12
	v_mbcnt_lo_u32_b32 v6, -1, 0
	s_barrier
	s_waitcnt lgkmcnt(0)
                                        ; implicit-def: $sgpr15
                                        ; implicit-def: $vgpr14
                                        ; implicit-def: $vgpr15
	s_and_saveexec_b64 s[6:7], vcc
	s_xor_b64 s[6:7], exec, s[6:7]
; %bb.6:
	v_mbcnt_hi_u32_b32 v14, -1, v6
	v_and_b32_e32 v1, 64, v14
	v_add_u32_e32 v15, 64, v1
	s_mov_b32 s15, 0xff7fffff
                                        ; implicit-def: $vgpr2
                                        ; implicit-def: $vgpr6
; %bb.7:
	s_or_saveexec_b64 s[38:39], s[6:7]
	s_load_dwordx4 s[20:23], s[0:1], 0x0
	s_load_dwordx2 s[26:27], s[0:1], 0x10
	s_load_dword s12, s[0:1], 0x98
	s_load_dwordx2 s[36:37], s[0:1], 0x28
	s_load_dwordx4 s[16:19], s[0:1], 0x68
	v_mov_b32_e32 v32, s15
	s_mul_i32 s41, s41, s14
	v_ashrrev_i32_e32 v13, 31, v12
	v_lshlrev_b32_e32 v11, 3, v18
	s_xor_b64 exec, exec, s[38:39]
	s_cbranch_execz .LBB330_77
; %bb.8:
	v_mbcnt_hi_u32_b32 v14, -1, v6
	v_and_b32_e32 v6, 64, v14
	v_add_u32_e32 v15, 64, v6
	v_xor_b32_e32 v6, 4, v14
	s_load_dwordx2 s[0:1], s[0:1], 0x20
	v_cmp_lt_i32_e32 vcc, v6, v15
	s_ashr_i32 s6, s41, 31
	v_lshlrev_b32_e32 v1, 5, v2
	v_cndmask_b32_e32 v6, v14, v6, vcc
	v_lshlrev_b32_e32 v33, 2, v6
	v_xor_b32_e32 v6, 2, v14
	v_cmp_lt_i32_e32 vcc, v6, v15
	v_bfe_u32 v7, v0, 3, 3
	s_waitcnt lgkmcnt(0)
	s_add_u32 s0, s0, s41
	v_cndmask_b32_e32 v6, v14, v6, vcc
	ds_read_b128 v[20:23], v1
	ds_read_b128 v[28:31], v1 offset:16
	v_mov_b32_e32 v3, 0
	v_lshlrev_b32_e32 v34, 2, v6
	v_xor_b32_e32 v6, 1, v14
	v_lshlrev_b32_e32 v4, 4, v7
	s_addc_u32 s1, s1, s6
	v_mov_b32_e32 v5, v3
	v_cmp_lt_i32_e32 vcc, v6, v15
	s_load_dword s43, s[16:17], 0x0
	v_lshl_add_u64 v[4:5], s[0:1], 0, v[4:5]
	v_cndmask_b32_e32 v6, v14, v6, vcc
	s_sub_i32 s44, 1, s29
	s_lshl_b64 s[0:1], s[34:35], 2
	v_lshlrev_b32_e32 v35, 2, v6
	v_lshlrev_b32_e32 v6, 2, v7
	s_add_u32 s0, s30, s0
	v_lshl_or_b32 v6, v18, 5, v6
	s_addc_u32 s1, s31, s1
	s_mov_b32 s42, s13
	s_waitcnt lgkmcnt(0)
	v_lshlrev_b32_e32 v1, 16, v20
	v_and_b32_e32 v16, 0xffff0000, v20
	v_lshlrev_b32_e32 v17, 16, v21
	v_and_b32_e32 v19, 0xffff0000, v21
	;; [unrolled: 2-line block ×8, first 2 shown]
	v_cmp_eq_u32_e32 vcc, 0, v2
	v_cmp_neq_f32_e64 s[6:7], s10, 0
	v_add3_u32 v36, s33, v11, v7
	v_add_u32_e32 v37, 0x110, v6
	v_lshl_add_u64 v[6:7], v[12:13], 2, s[0:1]
	s_mov_b64 s[14:15], 0
	v_mov_b32_e32 v32, 0xff7fffff
	s_mov_b32 s45, 0x7f800000
	s_movk_i32 s46, 0x7fff
	v_mov_b32_e32 v38, v12
	s_branch .LBB330_10
.LBB330_9:                              ;   in Loop: Header=BB330_10 Depth=1
	s_or_b64 exec, exec, s[16:17]
	v_add_u32_e32 v38, 2, v38
	v_cmp_le_i32_e64 s[0:1], s25, v38
	v_add_u32_e32 v36, 16, v36
	v_add_u32_e32 v37, 64, v37
	s_or_b64 s[14:15], s[0:1], s[14:15]
	v_lshl_add_u64 v[6:7], v[6:7], 0, 8
	s_andn2_b64 exec, exec, s[14:15]
	s_cbranch_execz .LBB330_76
.LBB330_10:                             ; =>This Inner Loop Header: Depth=1
	global_load_dword v8, v[6:7], off
	s_waitcnt vmcnt(0) lgkmcnt(0)
	v_mad_i64_i32 v[8:9], s[0:1], v8, s42, v[4:5]
	v_lshl_add_u64 v[8:9], v[8:9], 0, v[2:3]
	global_load_ubyte v39, v[8:9], off
	s_waitcnt vmcnt(0)
	v_cvt_f32_fp8_sdwa v39, v39 src0_sel:BYTE_0
	s_nop 0
	v_mul_f32_e32 v40, s43, v39
	v_and_b32_e32 v39, 0x7f800000, v40
	v_cmp_ne_u32_e64 s[0:1], s45, v39
                                        ; implicit-def: $vgpr39
	s_and_saveexec_b64 s[16:17], s[0:1]
	s_xor_b64 s[0:1], exec, s[16:17]
; %bb.11:                               ;   in Loop: Header=BB330_10 Depth=1
	v_bfe_u32 v39, v40, 16, 1
	v_add3_u32 v39, v40, v39, s46
                                        ; implicit-def: $vgpr40
; %bb.12:                               ;   in Loop: Header=BB330_10 Depth=1
	s_andn2_saveexec_b64 s[16:17], s[0:1]
; %bb.13:                               ;   in Loop: Header=BB330_10 Depth=1
	v_or_b32_e32 v39, 0x10000, v40
	v_cmp_eq_u32_sdwa s[0:1], v40, v3 src0_sel:WORD_0 src1_sel:DWORD
	s_nop 1
	v_cndmask_b32_e64 v39, v39, v40, s[0:1]
; %bb.14:                               ;   in Loop: Header=BB330_10 Depth=1
	s_or_b64 exec, exec, s[16:17]
	global_load_ubyte v40, v[8:9], off offset:8
	s_waitcnt vmcnt(0)
	v_cvt_f32_fp8_sdwa v40, v40 src0_sel:BYTE_0
	s_nop 0
	v_mul_f32_e32 v41, s43, v40
	v_and_b32_e32 v40, 0x7f800000, v41
	v_cmp_ne_u32_e64 s[0:1], s45, v40
                                        ; implicit-def: $vgpr40
	s_and_saveexec_b64 s[16:17], s[0:1]
	s_xor_b64 s[0:1], exec, s[16:17]
; %bb.15:                               ;   in Loop: Header=BB330_10 Depth=1
	v_bfe_u32 v40, v41, 16, 1
	v_add3_u32 v40, v41, v40, s46
                                        ; implicit-def: $vgpr41
; %bb.16:                               ;   in Loop: Header=BB330_10 Depth=1
	s_andn2_saveexec_b64 s[16:17], s[0:1]
; %bb.17:                               ;   in Loop: Header=BB330_10 Depth=1
	v_or_b32_e32 v40, 0x10000, v41
	v_cmp_eq_u32_sdwa s[0:1], v41, v3 src0_sel:WORD_0 src1_sel:DWORD
	s_nop 1
	v_cndmask_b32_e64 v40, v40, v41, s[0:1]
; %bb.18:                               ;   in Loop: Header=BB330_10 Depth=1
	s_or_b64 exec, exec, s[16:17]
	global_load_ubyte v41, v[8:9], off offset:128
	s_waitcnt vmcnt(0)
	v_cvt_f32_fp8_sdwa v41, v41 src0_sel:BYTE_0
	s_nop 0
	v_mul_f32_e32 v42, s43, v41
	v_and_b32_e32 v41, 0x7f800000, v42
	v_cmp_ne_u32_e64 s[0:1], s45, v41
                                        ; implicit-def: $vgpr41
	s_and_saveexec_b64 s[16:17], s[0:1]
	s_xor_b64 s[0:1], exec, s[16:17]
; %bb.19:                               ;   in Loop: Header=BB330_10 Depth=1
	v_bfe_u32 v41, v42, 16, 1
	v_add3_u32 v41, v42, v41, s46
                                        ; implicit-def: $vgpr42
; %bb.20:                               ;   in Loop: Header=BB330_10 Depth=1
	s_andn2_saveexec_b64 s[16:17], s[0:1]
; %bb.21:                               ;   in Loop: Header=BB330_10 Depth=1
	v_or_b32_e32 v41, 0x10000, v42
	v_cmp_eq_u32_sdwa s[0:1], v42, v3 src0_sel:WORD_0 src1_sel:DWORD
	s_nop 1
	v_cndmask_b32_e64 v41, v41, v42, s[0:1]
; %bb.22:                               ;   in Loop: Header=BB330_10 Depth=1
	s_or_b64 exec, exec, s[16:17]
	global_load_ubyte v42, v[8:9], off offset:136
	s_waitcnt vmcnt(0)
	v_cvt_f32_fp8_sdwa v42, v42 src0_sel:BYTE_0
	s_nop 0
	v_mul_f32_e32 v43, s43, v42
	v_and_b32_e32 v42, 0x7f800000, v43
	v_cmp_ne_u32_e64 s[0:1], s45, v42
                                        ; implicit-def: $vgpr42
	s_and_saveexec_b64 s[16:17], s[0:1]
	s_xor_b64 s[0:1], exec, s[16:17]
; %bb.23:                               ;   in Loop: Header=BB330_10 Depth=1
	v_bfe_u32 v42, v43, 16, 1
	v_add3_u32 v42, v43, v42, s46
                                        ; implicit-def: $vgpr43
; %bb.24:                               ;   in Loop: Header=BB330_10 Depth=1
	s_andn2_saveexec_b64 s[16:17], s[0:1]
; %bb.25:                               ;   in Loop: Header=BB330_10 Depth=1
	v_or_b32_e32 v42, 0x10000, v43
	v_cmp_eq_u32_sdwa s[0:1], v43, v3 src0_sel:WORD_0 src1_sel:DWORD
	s_nop 1
	v_cndmask_b32_e64 v42, v42, v43, s[0:1]
; %bb.26:                               ;   in Loop: Header=BB330_10 Depth=1
	s_or_b64 exec, exec, s[16:17]
	global_load_ubyte v43, v[8:9], off offset:256
	s_waitcnt vmcnt(0)
	v_cvt_f32_fp8_sdwa v43, v43 src0_sel:BYTE_0
	s_nop 0
	v_mul_f32_e32 v44, s43, v43
	v_and_b32_e32 v43, 0x7f800000, v44
	v_cmp_ne_u32_e64 s[0:1], s45, v43
                                        ; implicit-def: $vgpr43
	s_and_saveexec_b64 s[16:17], s[0:1]
	s_xor_b64 s[0:1], exec, s[16:17]
; %bb.27:                               ;   in Loop: Header=BB330_10 Depth=1
	v_bfe_u32 v43, v44, 16, 1
	v_add3_u32 v43, v44, v43, s46
                                        ; implicit-def: $vgpr44
; %bb.28:                               ;   in Loop: Header=BB330_10 Depth=1
	s_andn2_saveexec_b64 s[16:17], s[0:1]
; %bb.29:                               ;   in Loop: Header=BB330_10 Depth=1
	v_or_b32_e32 v43, 0x10000, v44
	v_cmp_eq_u32_sdwa s[0:1], v44, v3 src0_sel:WORD_0 src1_sel:DWORD
	s_nop 1
	v_cndmask_b32_e64 v43, v43, v44, s[0:1]
; %bb.30:                               ;   in Loop: Header=BB330_10 Depth=1
	s_or_b64 exec, exec, s[16:17]
	global_load_ubyte v44, v[8:9], off offset:264
	s_waitcnt vmcnt(0)
	v_cvt_f32_fp8_sdwa v44, v44 src0_sel:BYTE_0
	s_nop 0
	v_mul_f32_e32 v45, s43, v44
	v_and_b32_e32 v44, 0x7f800000, v45
	v_cmp_ne_u32_e64 s[0:1], s45, v44
                                        ; implicit-def: $vgpr44
	s_and_saveexec_b64 s[16:17], s[0:1]
	s_xor_b64 s[0:1], exec, s[16:17]
; %bb.31:                               ;   in Loop: Header=BB330_10 Depth=1
	v_bfe_u32 v44, v45, 16, 1
	v_add3_u32 v44, v45, v44, s46
                                        ; implicit-def: $vgpr45
; %bb.32:                               ;   in Loop: Header=BB330_10 Depth=1
	s_andn2_saveexec_b64 s[16:17], s[0:1]
; %bb.33:                               ;   in Loop: Header=BB330_10 Depth=1
	v_or_b32_e32 v44, 0x10000, v45
	v_cmp_eq_u32_sdwa s[0:1], v45, v3 src0_sel:WORD_0 src1_sel:DWORD
	s_nop 1
	v_cndmask_b32_e64 v44, v44, v45, s[0:1]
; %bb.34:                               ;   in Loop: Header=BB330_10 Depth=1
	s_or_b64 exec, exec, s[16:17]
	global_load_ubyte v45, v[8:9], off offset:384
	s_waitcnt vmcnt(0)
	v_cvt_f32_fp8_sdwa v45, v45 src0_sel:BYTE_0
	s_nop 0
	v_mul_f32_e32 v46, s43, v45
	v_and_b32_e32 v45, 0x7f800000, v46
	v_cmp_ne_u32_e64 s[0:1], s45, v45
                                        ; implicit-def: $vgpr45
	s_and_saveexec_b64 s[16:17], s[0:1]
	s_xor_b64 s[0:1], exec, s[16:17]
; %bb.35:                               ;   in Loop: Header=BB330_10 Depth=1
	v_bfe_u32 v45, v46, 16, 1
	v_add3_u32 v45, v46, v45, s46
                                        ; implicit-def: $vgpr46
; %bb.36:                               ;   in Loop: Header=BB330_10 Depth=1
	s_andn2_saveexec_b64 s[16:17], s[0:1]
; %bb.37:                               ;   in Loop: Header=BB330_10 Depth=1
	v_or_b32_e32 v45, 0x10000, v46
	v_cmp_eq_u32_sdwa s[0:1], v46, v3 src0_sel:WORD_0 src1_sel:DWORD
	s_nop 1
	v_cndmask_b32_e64 v45, v45, v46, s[0:1]
; %bb.38:                               ;   in Loop: Header=BB330_10 Depth=1
	s_or_b64 exec, exec, s[16:17]
	global_load_ubyte v46, v[8:9], off offset:392
	s_waitcnt vmcnt(0)
	v_cvt_f32_fp8_sdwa v46, v46 src0_sel:BYTE_0
	s_nop 0
	v_mul_f32_e32 v47, s43, v46
	v_and_b32_e32 v46, 0x7f800000, v47
	v_cmp_ne_u32_e64 s[0:1], s45, v46
                                        ; implicit-def: $vgpr46
	s_and_saveexec_b64 s[16:17], s[0:1]
	s_xor_b64 s[0:1], exec, s[16:17]
; %bb.39:                               ;   in Loop: Header=BB330_10 Depth=1
	v_bfe_u32 v46, v47, 16, 1
	v_add3_u32 v46, v47, v46, s46
                                        ; implicit-def: $vgpr47
; %bb.40:                               ;   in Loop: Header=BB330_10 Depth=1
	s_andn2_saveexec_b64 s[16:17], s[0:1]
; %bb.41:                               ;   in Loop: Header=BB330_10 Depth=1
	v_or_b32_e32 v46, 0x10000, v47
	v_cmp_eq_u32_sdwa s[0:1], v47, v3 src0_sel:WORD_0 src1_sel:DWORD
	s_nop 1
	v_cndmask_b32_e64 v46, v46, v47, s[0:1]
; %bb.42:                               ;   in Loop: Header=BB330_10 Depth=1
	s_or_b64 exec, exec, s[16:17]
	global_load_ubyte v47, v[8:9], off offset:512
	s_waitcnt vmcnt(0)
	v_cvt_f32_fp8_sdwa v47, v47 src0_sel:BYTE_0
	s_nop 0
	v_mul_f32_e32 v48, s43, v47
	v_and_b32_e32 v47, 0x7f800000, v48
	v_cmp_ne_u32_e64 s[0:1], s45, v47
                                        ; implicit-def: $vgpr47
	s_and_saveexec_b64 s[16:17], s[0:1]
	s_xor_b64 s[0:1], exec, s[16:17]
; %bb.43:                               ;   in Loop: Header=BB330_10 Depth=1
	v_bfe_u32 v47, v48, 16, 1
	v_add3_u32 v47, v48, v47, s46
                                        ; implicit-def: $vgpr48
; %bb.44:                               ;   in Loop: Header=BB330_10 Depth=1
	s_andn2_saveexec_b64 s[16:17], s[0:1]
; %bb.45:                               ;   in Loop: Header=BB330_10 Depth=1
	v_or_b32_e32 v47, 0x10000, v48
	v_cmp_eq_u32_sdwa s[0:1], v48, v3 src0_sel:WORD_0 src1_sel:DWORD
	s_nop 1
	v_cndmask_b32_e64 v47, v47, v48, s[0:1]
; %bb.46:                               ;   in Loop: Header=BB330_10 Depth=1
	s_or_b64 exec, exec, s[16:17]
	global_load_ubyte v48, v[8:9], off offset:520
	s_waitcnt vmcnt(0)
	v_cvt_f32_fp8_sdwa v48, v48 src0_sel:BYTE_0
	s_nop 0
	v_mul_f32_e32 v49, s43, v48
	v_and_b32_e32 v48, 0x7f800000, v49
	v_cmp_ne_u32_e64 s[0:1], s45, v48
                                        ; implicit-def: $vgpr48
	s_and_saveexec_b64 s[16:17], s[0:1]
	s_xor_b64 s[0:1], exec, s[16:17]
; %bb.47:                               ;   in Loop: Header=BB330_10 Depth=1
	v_bfe_u32 v48, v49, 16, 1
	v_add3_u32 v48, v49, v48, s46
                                        ; implicit-def: $vgpr49
; %bb.48:                               ;   in Loop: Header=BB330_10 Depth=1
	s_andn2_saveexec_b64 s[16:17], s[0:1]
; %bb.49:                               ;   in Loop: Header=BB330_10 Depth=1
	v_or_b32_e32 v48, 0x10000, v49
	v_cmp_eq_u32_sdwa s[0:1], v49, v3 src0_sel:WORD_0 src1_sel:DWORD
	s_nop 1
	v_cndmask_b32_e64 v48, v48, v49, s[0:1]
; %bb.50:                               ;   in Loop: Header=BB330_10 Depth=1
	s_or_b64 exec, exec, s[16:17]
	global_load_ubyte v49, v[8:9], off offset:640
	s_waitcnt vmcnt(0)
	v_cvt_f32_fp8_sdwa v49, v49 src0_sel:BYTE_0
	s_nop 0
	v_mul_f32_e32 v50, s43, v49
	v_and_b32_e32 v49, 0x7f800000, v50
	v_cmp_ne_u32_e64 s[0:1], s45, v49
                                        ; implicit-def: $vgpr49
	s_and_saveexec_b64 s[16:17], s[0:1]
	s_xor_b64 s[0:1], exec, s[16:17]
; %bb.51:                               ;   in Loop: Header=BB330_10 Depth=1
	v_bfe_u32 v49, v50, 16, 1
	v_add3_u32 v49, v50, v49, s46
                                        ; implicit-def: $vgpr50
; %bb.52:                               ;   in Loop: Header=BB330_10 Depth=1
	s_andn2_saveexec_b64 s[16:17], s[0:1]
; %bb.53:                               ;   in Loop: Header=BB330_10 Depth=1
	v_or_b32_e32 v49, 0x10000, v50
	v_cmp_eq_u32_sdwa s[0:1], v50, v3 src0_sel:WORD_0 src1_sel:DWORD
	s_nop 1
	v_cndmask_b32_e64 v49, v49, v50, s[0:1]
; %bb.54:                               ;   in Loop: Header=BB330_10 Depth=1
	s_or_b64 exec, exec, s[16:17]
	global_load_ubyte v50, v[8:9], off offset:648
	s_waitcnt vmcnt(0)
	v_cvt_f32_fp8_sdwa v50, v50 src0_sel:BYTE_0
	s_nop 0
	v_mul_f32_e32 v51, s43, v50
	v_and_b32_e32 v50, 0x7f800000, v51
	v_cmp_ne_u32_e64 s[0:1], s45, v50
                                        ; implicit-def: $vgpr50
	s_and_saveexec_b64 s[16:17], s[0:1]
	s_xor_b64 s[0:1], exec, s[16:17]
; %bb.55:                               ;   in Loop: Header=BB330_10 Depth=1
	v_bfe_u32 v50, v51, 16, 1
	v_add3_u32 v50, v51, v50, s46
                                        ; implicit-def: $vgpr51
; %bb.56:                               ;   in Loop: Header=BB330_10 Depth=1
	s_andn2_saveexec_b64 s[16:17], s[0:1]
; %bb.57:                               ;   in Loop: Header=BB330_10 Depth=1
	v_or_b32_e32 v50, 0x10000, v51
	v_cmp_eq_u32_sdwa s[0:1], v51, v3 src0_sel:WORD_0 src1_sel:DWORD
	s_nop 1
	v_cndmask_b32_e64 v50, v50, v51, s[0:1]
; %bb.58:                               ;   in Loop: Header=BB330_10 Depth=1
	s_or_b64 exec, exec, s[16:17]
	global_load_ubyte v51, v[8:9], off offset:768
	s_waitcnt vmcnt(0)
	v_cvt_f32_fp8_sdwa v51, v51 src0_sel:BYTE_0
	s_nop 0
	v_mul_f32_e32 v52, s43, v51
	v_and_b32_e32 v51, 0x7f800000, v52
	v_cmp_ne_u32_e64 s[0:1], s45, v51
                                        ; implicit-def: $vgpr51
	s_and_saveexec_b64 s[16:17], s[0:1]
	s_xor_b64 s[0:1], exec, s[16:17]
; %bb.59:                               ;   in Loop: Header=BB330_10 Depth=1
	v_bfe_u32 v51, v52, 16, 1
	v_add3_u32 v51, v52, v51, s46
                                        ; implicit-def: $vgpr52
; %bb.60:                               ;   in Loop: Header=BB330_10 Depth=1
	s_andn2_saveexec_b64 s[16:17], s[0:1]
; %bb.61:                               ;   in Loop: Header=BB330_10 Depth=1
	v_or_b32_e32 v51, 0x10000, v52
	v_cmp_eq_u32_sdwa s[0:1], v52, v3 src0_sel:WORD_0 src1_sel:DWORD
	s_nop 1
	v_cndmask_b32_e64 v51, v51, v52, s[0:1]
; %bb.62:                               ;   in Loop: Header=BB330_10 Depth=1
	s_or_b64 exec, exec, s[16:17]
	global_load_ubyte v52, v[8:9], off offset:776
	s_waitcnt vmcnt(0)
	v_cvt_f32_fp8_sdwa v52, v52 src0_sel:BYTE_0
	s_nop 0
	v_mul_f32_e32 v53, s43, v52
	v_and_b32_e32 v52, 0x7f800000, v53
	v_cmp_ne_u32_e64 s[0:1], s45, v52
                                        ; implicit-def: $vgpr52
	s_and_saveexec_b64 s[16:17], s[0:1]
	s_xor_b64 s[0:1], exec, s[16:17]
; %bb.63:                               ;   in Loop: Header=BB330_10 Depth=1
	v_bfe_u32 v52, v53, 16, 1
	v_add3_u32 v52, v53, v52, s46
                                        ; implicit-def: $vgpr53
; %bb.64:                               ;   in Loop: Header=BB330_10 Depth=1
	s_andn2_saveexec_b64 s[16:17], s[0:1]
; %bb.65:                               ;   in Loop: Header=BB330_10 Depth=1
	v_or_b32_e32 v52, 0x10000, v53
	v_cmp_eq_u32_sdwa s[0:1], v53, v3 src0_sel:WORD_0 src1_sel:DWORD
	s_nop 1
	v_cndmask_b32_e64 v52, v52, v53, s[0:1]
; %bb.66:                               ;   in Loop: Header=BB330_10 Depth=1
	s_or_b64 exec, exec, s[16:17]
	global_load_ubyte v53, v[8:9], off offset:896
	s_waitcnt vmcnt(0)
	v_cvt_f32_fp8_sdwa v53, v53 src0_sel:BYTE_0
	s_nop 0
	v_mul_f32_e32 v54, s43, v53
	v_and_b32_e32 v53, 0x7f800000, v54
	v_cmp_ne_u32_e64 s[0:1], s45, v53
                                        ; implicit-def: $vgpr53
	s_and_saveexec_b64 s[16:17], s[0:1]
	s_xor_b64 s[0:1], exec, s[16:17]
; %bb.67:                               ;   in Loop: Header=BB330_10 Depth=1
	v_bfe_u32 v53, v54, 16, 1
	v_add3_u32 v53, v54, v53, s46
                                        ; implicit-def: $vgpr54
; %bb.68:                               ;   in Loop: Header=BB330_10 Depth=1
	s_andn2_saveexec_b64 s[16:17], s[0:1]
; %bb.69:                               ;   in Loop: Header=BB330_10 Depth=1
	v_or_b32_e32 v53, 0x10000, v54
	v_cmp_eq_u32_sdwa s[0:1], v54, v3 src0_sel:WORD_0 src1_sel:DWORD
	s_nop 1
	v_cndmask_b32_e64 v53, v53, v54, s[0:1]
; %bb.70:                               ;   in Loop: Header=BB330_10 Depth=1
	s_or_b64 exec, exec, s[16:17]
	global_load_ubyte v8, v[8:9], off offset:904
	s_waitcnt vmcnt(0)
	v_cvt_f32_fp8_sdwa v8, v8 src0_sel:BYTE_0
	s_nop 0
	v_mul_f32_e32 v9, s43, v8
	v_and_b32_e32 v8, 0x7f800000, v9
	v_cmp_ne_u32_e64 s[0:1], s45, v8
                                        ; implicit-def: $vgpr8
	s_and_saveexec_b64 s[16:17], s[0:1]
	s_xor_b64 s[0:1], exec, s[16:17]
; %bb.71:                               ;   in Loop: Header=BB330_10 Depth=1
	v_bfe_u32 v8, v9, 16, 1
	v_add3_u32 v8, v9, v8, s46
                                        ; implicit-def: $vgpr9
; %bb.72:                               ;   in Loop: Header=BB330_10 Depth=1
	s_andn2_saveexec_b64 s[16:17], s[0:1]
; %bb.73:                               ;   in Loop: Header=BB330_10 Depth=1
	v_or_b32_e32 v8, 0x10000, v9
	v_cmp_eq_u32_sdwa s[0:1], v9, v3 src0_sel:WORD_0 src1_sel:DWORD
	s_nop 1
	v_cndmask_b32_e64 v8, v8, v9, s[0:1]
; %bb.74:                               ;   in Loop: Header=BB330_10 Depth=1
	s_or_b64 exec, exec, s[16:17]
	v_and_b32_e32 v40, 0xffff0000, v40
	v_and_b32_e32 v39, 0xffff0000, v39
	v_mul_f32_e32 v40, v16, v40
	v_and_b32_e32 v41, 0xffff0000, v41
	v_fmac_f32_e32 v40, v1, v39
	v_and_b32_e32 v42, 0xffff0000, v42
	v_fmac_f32_e32 v40, v17, v41
	;; [unrolled: 2-line block ×14, first 2 shown]
	v_fmac_f32_e32 v40, v31, v8
	ds_bpermute_b32 v8, v33, v40
	s_waitcnt lgkmcnt(0)
	v_add_f32_e32 v8, v40, v8
	ds_bpermute_b32 v9, v34, v8
	s_waitcnt lgkmcnt(0)
	v_add_f32_e32 v8, v8, v9
	ds_bpermute_b32 v9, v35, v8
	s_and_saveexec_b64 s[16:17], vcc
	s_cbranch_execz .LBB330_9
; %bb.75:                               ;   in Loop: Header=BB330_10 Depth=1
	v_add_u32_e32 v39, s44, v36
	v_cvt_f32_i32_e32 v39, v39
	s_waitcnt lgkmcnt(0)
	v_add_f32_e32 v8, v8, v9
	v_cmp_gt_i32_e64 s[0:1], s29, v36
	v_max_f32_e32 v9, v32, v32
	v_mul_f32_e32 v39, s10, v39
	v_cndmask_b32_e64 v39, 0, v39, s[6:7]
	v_fmac_f32_e32 v39, s11, v8
	v_cndmask_b32_e64 v8, 0, v39, s[0:1]
	ds_write_b32 v37, v8
	v_max_f32_e32 v8, v9, v39
	v_cndmask_b32_e64 v32, v32, v8, s[0:1]
	s_branch .LBB330_9
.LBB330_76:
	s_or_b64 exec, exec, s[14:15]
.LBB330_77:
	s_or_b64 exec, exec, s[38:39]
	v_xor_b32_e32 v1, 32, v14
	v_cmp_lt_i32_e32 vcc, v1, v15
	v_xor_b32_e32 v4, 16, v14
	v_max_f32_e32 v2, v32, v32
	v_cndmask_b32_e32 v1, v14, v1, vcc
	v_lshlrev_b32_e32 v3, 2, v1
	ds_bpermute_b32 v1, v3, v32
	v_cmp_lt_i32_e32 vcc, v4, v15
	v_xor_b32_e32 v5, 8, v14
	s_waitcnt lgkmcnt(0)
	v_max_f32_e32 v1, v1, v1
	v_max_f32_e32 v1, v2, v1
	v_cndmask_b32_e32 v2, v14, v4, vcc
	v_lshlrev_b32_e32 v6, 2, v2
	ds_bpermute_b32 v2, v6, v1
	v_cmp_lt_i32_e32 vcc, v5, v15
	s_waitcnt lgkmcnt(0)
	v_max_f32_e32 v2, v2, v2
	v_max_f32_e32 v4, v1, v2
	v_cndmask_b32_e32 v1, v14, v5, vcc
	v_lshlrev_b32_e32 v7, 2, v1
	ds_bpermute_b32 v5, v7, v4
	v_and_b32_e32 v1, 63, v0
	v_cmp_eq_u32_e32 vcc, 0, v1
	v_lshlrev_b32_e32 v2, 2, v18
	s_and_saveexec_b64 s[0:1], vcc
	s_cbranch_execz .LBB330_79
; %bb.78:
	s_waitcnt lgkmcnt(0)
	v_max_f32_e32 v5, v5, v5
	v_max_f32_e32 v4, v4, v4
	;; [unrolled: 1-line block ×3, first 2 shown]
	ds_write_b32 v2, v4 offset:256
.LBB330_79:
	s_or_b64 exec, exec, s[0:1]
	v_cmp_gt_u32_e64 s[0:1], 2, v1
	v_mov_b32_e32 v4, 0xff7fffff
	s_waitcnt lgkmcnt(0)
	v_lshlrev_b32_e32 v5, 2, v1
	s_barrier
	s_and_saveexec_b64 s[6:7], s[0:1]
	s_cbranch_execz .LBB330_81
; %bb.80:
	ds_read_b32 v4, v5 offset:256
.LBB330_81:
	s_or_b64 exec, exec, s[6:7]
	v_xor_b32_e32 v8, 1, v14
	v_cmp_lt_i32_e64 s[6:7], v8, v15
	s_sub_i32 s3, s25, s3
	s_lshl_b32 s3, s3, 3
	v_cndmask_b32_e64 v8, v14, v8, s[6:7]
	v_lshlrev_b32_e32 v8, 2, v8
	s_waitcnt lgkmcnt(0)
	ds_bpermute_b32 v9, v8, v4
	v_max_f32_e32 v4, v4, v4
	s_add_i32 s3, s3, s33
	s_min_i32 s38, s3, s29
	s_sub_i32 s3, s38, s33
	s_waitcnt lgkmcnt(0)
	v_max_f32_e32 v9, v9, v9
	v_max_f32_e32 v4, v4, v9
	v_lshlrev_b32_e32 v9, 2, v14
	v_and_b32_e32 v9, 0xffffff00, v9
	ds_bpermute_b32 v4, v9, v4
	v_cmp_gt_i32_e64 s[6:7], s3, v0
	v_mov_b32_e32 v16, 0
	s_and_saveexec_b64 s[14:15], s[6:7]
	s_cbranch_execz .LBB330_85
; %bb.82:
	v_mov_b32_e32 v16, 0x110
	v_lshl_add_u32 v17, v0, 2, v16
	s_mov_b64 s[16:17], 0
	v_mov_b32_e32 v16, 0
	v_mov_b32_e32 v19, v0
.LBB330_83:                             ; =>This Inner Loop Header: Depth=1
	ds_read_b32 v20, v17
	v_add_u32_e32 v19, 0x80, v19
	v_cmp_le_i32_e64 s[10:11], s3, v19
	s_or_b64 s[16:17], s[10:11], s[16:17]
	s_waitcnt lgkmcnt(0)
	v_sub_f32_e32 v20, v20, v4
	v_mul_f32_e32 v20, 0x3fb8aa3b, v20
	v_exp_f32_e32 v20, v20
	ds_write_b32 v17, v20
	v_add_f32_e32 v16, v16, v20
	v_add_u32_e32 v17, 0x200, v17
	s_andn2_b64 exec, exec, s[16:17]
	s_cbranch_execnz .LBB330_83
; %bb.84:
	s_or_b64 exec, exec, s[16:17]
.LBB330_85:
	s_or_b64 exec, exec, s[14:15]
	ds_bpermute_b32 v3, v3, v16
	s_waitcnt lgkmcnt(0)
	v_add_f32_e32 v3, v16, v3
	ds_bpermute_b32 v6, v6, v3
	s_waitcnt lgkmcnt(0)
	v_add_f32_e32 v3, v3, v6
	ds_bpermute_b32 v6, v7, v3
	v_xor_b32_e32 v7, 4, v14
	v_cmp_lt_i32_e64 s[10:11], v7, v15
	s_waitcnt lgkmcnt(0)
	v_add_f32_e32 v3, v3, v6
	v_cndmask_b32_e64 v7, v14, v7, s[10:11]
	v_lshlrev_b32_e32 v7, 2, v7
	ds_bpermute_b32 v6, v7, v3
	v_xor_b32_e32 v7, 2, v14
	v_cmp_lt_i32_e64 s[10:11], v7, v15
	s_waitcnt lgkmcnt(0)
	v_add_f32_e32 v3, v3, v6
	v_cndmask_b32_e64 v7, v14, v7, s[10:11]
	v_lshlrev_b32_e32 v6, 2, v7
	ds_bpermute_b32 v6, v6, v3
	s_waitcnt lgkmcnt(0)
	v_add_f32_e32 v3, v3, v6
	ds_bpermute_b32 v6, v8, v3
	s_waitcnt lgkmcnt(0)
	v_add_f32_e32 v3, v3, v6
	s_and_saveexec_b64 s[10:11], vcc
	s_cbranch_execz .LBB330_87
; %bb.86:
	ds_write_b32 v2, v3 offset:264
.LBB330_87:
	s_or_b64 exec, exec, s[10:11]
	s_waitcnt lgkmcnt(0)
	s_barrier
	s_and_saveexec_b64 s[10:11], s[0:1]
	s_cbranch_execz .LBB330_89
; %bb.88:
	ds_read_b32 v3, v5 offset:264
.LBB330_89:
	s_or_b64 exec, exec, s[10:11]
	s_waitcnt lgkmcnt(0)
	ds_bpermute_b32 v2, v8, v3
	s_waitcnt lgkmcnt(0)
	v_add_f32_e32 v2, v3, v2
	ds_bpermute_b32 v5, v9, v2
	s_and_saveexec_b64 s[0:1], s[6:7]
	s_cbranch_execz .LBB330_102
; %bb.90:
	s_waitcnt lgkmcnt(0)
	v_add_f32_e32 v2, 0x358637bd, v5
	v_div_scale_f32 v3, s[6:7], v2, v2, 1.0
	v_rcp_f32_e32 v6, v3
	v_div_scale_f32 v7, vcc, 1.0, v2, 1.0
	s_movk_i32 s6, 0x7f
	v_fma_f32 v8, -v3, v6, 1.0
	v_fmac_f32_e32 v6, v8, v6
	v_mul_f32_e32 v8, v7, v6
	v_fma_f32 v9, -v3, v8, v7
	v_fmac_f32_e32 v8, v9, v6
	v_fma_f32 v3, -v3, v8, v7
	v_div_fmas_f32 v3, v3, v6, v8
	v_div_fixup_f32 v2, v3, v2, 1.0
	v_xad_u32 v3, v0, -1, s38
	v_subrev_u32_e32 v6, s33, v3
	v_cmp_lt_u32_e32 vcc, s6, v6
	s_mov_b64 s[10:11], -1
	v_mov_b32_e32 v3, v0
	s_and_saveexec_b64 s[6:7], vcc
	s_cbranch_execz .LBB330_99
; %bb.91:
	v_lshrrev_b32_e32 v6, 7, v6
	v_add_u32_e32 v8, -1, v6
	v_lshrrev_b32_e32 v7, 1, v8
	v_mov_b32_e32 v3, v2
	v_add_u32_e32 v7, 1, v7
	v_cmp_lt_u32_e32 vcc, 13, v8
	v_mov_b32_e32 v14, 0
	s_and_saveexec_b64 s[10:11], vcc
	s_cbranch_execz .LBB330_95
; %bb.92:
	v_mov_b32_e32 v9, 0x110
	v_and_b32_e32 v8, -8, v7
	v_lshl_add_u32 v9, v0, 2, v9
	s_mov_b32 s16, 0
	s_mov_b64 s[14:15], 0
.LBB330_93:                             ; =>This Inner Loop Header: Depth=1
	ds_read2st64_b32 v[14:15], v9 offset1:2
	ds_read2st64_b32 v[16:17], v9 offset0:4 offset1:6
	ds_read2st64_b32 v[20:21], v9 offset0:8 offset1:10
	;; [unrolled: 1-line block ×3, first 2 shown]
	v_add_u32_e32 v8, -8, v8
	s_waitcnt lgkmcnt(3)
	v_pk_mul_f32 v[14:15], v[2:3], v[14:15]
	s_waitcnt lgkmcnt(2)
	v_pk_mul_f32 v[16:17], v[2:3], v[16:17]
	ds_write2st64_b32 v9, v14, v15 offset1:2
	ds_write2st64_b32 v9, v16, v17 offset0:4 offset1:6
	ds_read2st64_b32 v[16:17], v9 offset0:16 offset1:18
	s_waitcnt lgkmcnt(4)
	v_pk_mul_f32 v[14:15], v[2:3], v[20:21]
	ds_write2st64_b32 v9, v14, v15 offset0:8 offset1:10
	s_waitcnt lgkmcnt(4)
	v_pk_mul_f32 v[14:15], v[2:3], v[22:23]
	ds_write2st64_b32 v9, v14, v15 offset0:12 offset1:14
	ds_read2st64_b32 v[14:15], v9 offset0:20 offset1:22
	s_waitcnt lgkmcnt(3)
	v_pk_mul_f32 v[16:17], v[2:3], v[16:17]
	ds_read2st64_b32 v[20:21], v9 offset0:24 offset1:26
	ds_write2st64_b32 v9, v16, v17 offset0:16 offset1:18
	ds_read2st64_b32 v[16:17], v9 offset0:28 offset1:30
	s_waitcnt lgkmcnt(3)
	v_pk_mul_f32 v[14:15], v[2:3], v[14:15]
	ds_write2st64_b32 v9, v14, v15 offset0:20 offset1:22
	s_waitcnt lgkmcnt(3)
	v_pk_mul_f32 v[14:15], v[2:3], v[20:21]
	ds_write2st64_b32 v9, v14, v15 offset0:24 offset1:26
	s_waitcnt lgkmcnt(2)
	v_pk_mul_f32 v[14:15], v[2:3], v[16:17]
	s_add_i32 s16, s16, 16
	v_cmp_eq_u32_e32 vcc, 0, v8
	ds_write2st64_b32 v9, v14, v15 offset0:28 offset1:30
	v_add_u32_e32 v9, 0x2000, v9
	s_or_b64 s[14:15], vcc, s[14:15]
	v_mov_b32_e32 v14, s16
	s_andn2_b64 exec, exec, s[14:15]
	s_cbranch_execnz .LBB330_93
; %bb.94:
	s_or_b64 exec, exec, s[14:15]
.LBB330_95:
	s_or_b64 exec, exec, s[10:11]
	v_and_b32_e32 v7, 7, v7
	v_cmp_ne_u32_e32 vcc, 0, v7
	s_and_saveexec_b64 s[10:11], vcc
	s_cbranch_execz .LBB330_98
; %bb.96:
	v_lshlrev_b32_e32 v8, 9, v14
	v_lshlrev_b32_e32 v9, 2, v0
	s_movk_i32 s14, 0x110
	v_add3_u32 v8, v8, v9, s14
	s_mov_b64 s[14:15], 0
.LBB330_97:                             ; =>This Inner Loop Header: Depth=1
	ds_read2st64_b32 v[14:15], v8 offset1:2
	v_add_u32_e32 v7, -1, v7
	v_cmp_eq_u32_e32 vcc, 0, v7
	s_or_b64 s[14:15], vcc, s[14:15]
	s_waitcnt lgkmcnt(0)
	v_pk_mul_f32 v[14:15], v[2:3], v[14:15]
	ds_write2st64_b32 v8, v14, v15 offset1:2
	v_add_u32_e32 v8, 0x400, v8
	s_andn2_b64 exec, exec, s[14:15]
	s_cbranch_execnz .LBB330_97
.LBB330_98:
	s_or_b64 exec, exec, s[10:11]
	v_add_u32_e32 v6, 1, v6
	v_and_b32_e32 v7, 0x3fffffe, v6
	v_cmp_ne_u32_e32 vcc, v6, v7
	v_lshl_add_u32 v3, v7, 7, v0
	s_orn2_b64 s[10:11], vcc, exec
.LBB330_99:
	s_or_b64 exec, exec, s[6:7]
	s_and_b64 exec, exec, s[10:11]
	s_cbranch_execz .LBB330_102
; %bb.100:
	v_mov_b32_e32 v6, 0x110
	v_lshl_add_u32 v6, v3, 2, v6
	s_mov_b64 s[6:7], 0
.LBB330_101:                            ; =>This Inner Loop Header: Depth=1
	ds_read_b32 v7, v6
	v_add_u32_e32 v3, 0x80, v3
	v_cmp_le_i32_e32 vcc, s3, v3
	s_or_b64 s[6:7], vcc, s[6:7]
	s_waitcnt lgkmcnt(0)
	v_mul_f32_e32 v7, v2, v7
	ds_write_b32 v6, v7
	v_add_u32_e32 v6, 0x200, v6
	s_andn2_b64 exec, exec, s[6:7]
	s_cbranch_execnz .LBB330_101
.LBB330_102:
	s_or_b64 exec, exec, s[0:1]
	s_mul_i32 s1, s12, s28
	s_mov_b32 s0, 0
	v_cmp_eq_u32_e32 vcc, 0, v0
	s_mul_i32 s6, s1, s5
	s_waitcnt lgkmcnt(0)
	s_barrier
	s_and_saveexec_b64 s[10:11], vcc
	s_cbranch_execz .LBB330_104
; %bb.103:
	s_ashr_i32 s7, s6, 31
	s_lshl_b64 s[14:15], s[6:7], 2
	s_add_u32 s1, s22, s14
	s_mul_i32 s2, s12, s2
	s_addc_u32 s5, s23, s15
	s_ashr_i32 s3, s2, 31
	s_lshl_b64 s[2:3], s[2:3], 2
	s_add_u32 s1, s1, s2
	s_addc_u32 s7, s5, s3
	s_ashr_i32 s5, s4, 31
	s_lshl_b64 s[16:17], s[4:5], 2
	s_add_u32 s22, s1, s16
	s_addc_u32 s23, s7, s17
	s_add_u32 s1, s20, s14
	s_addc_u32 s5, s21, s15
	;; [unrolled: 2-line block ×3, first 2 shown]
	s_add_u32 s2, s1, s16
	v_mov_b32_e32 v2, 0
	s_addc_u32 s3, s3, s17
	global_store_dword v2, v4, s[22:23]
	global_store_dword v2, v5, s[2:3]
.LBB330_104:
	s_or_b64 exec, exec, s[10:11]
	s_mov_b32 s1, s0
	v_mov_b64_e32 v[2:3], s[0:1]
	s_and_saveexec_b64 s[2:3], s[8:9]
	s_cbranch_execz .LBB330_272
; %bb.105:
	s_ashr_i32 s1, s41, 31
	s_add_u32 s0, s36, s41
	s_addc_u32 s1, s37, s1
	v_lshlrev_b32_e32 v14, 3, v1
	s_load_dword s7, s[18:19], 0x0
	v_mov_b32_e32 v15, 0
	s_mov_b32 s5, s13
	s_add_i32 s13, s40, -1
	v_lshl_add_u64 v[16:17], s[0:1], 0, v[14:15]
	s_lshl_b64 s[0:1], s[34:35], 2
	s_add_u32 s0, s30, s0
	v_mov_b32_e32 v2, 0x110
	s_addc_u32 s1, s31, s1
	v_add3_u32 v11, s33, v11, 7
	v_lshl_add_u32 v14, v18, 5, v2
	v_lshl_add_u64 v[18:19], v[12:13], 2, s[0:1]
	s_mov_b64 s[8:9], 0
	s_mov_b32 s14, 0x7f800000
	s_movk_i32 s15, 0x7fff
	v_mov_b32_e32 v20, 0
	v_mov_b32_e32 v21, v15
	s_branch .LBB330_107
.LBB330_106:                            ;   in Loop: Header=BB330_107 Depth=1
	s_or_b64 exec, exec, s[0:1]
	v_and_b32_e32 v33, 0xffff0000, v7
	v_and_b32_e32 v32, 0xffff0000, v5
	;; [unrolled: 1-line block ×4, first 2 shown]
	v_pk_add_f32 v[4:5], v[4:5], v[32:33]
	v_and_b32_e32 v3, 0xffff0000, v29
	v_and_b32_e32 v2, 0xffff0000, v9
	;; [unrolled: 1-line block ×4, first 2 shown]
	v_mov_b32_e32 v6, v5
	v_pk_add_f32 v[4:5], v[4:5], v[6:7]
	v_pk_add_f32 v[2:3], v[8:9], v[2:3]
	v_and_b32_e32 v9, 0xffff0000, v25
	v_and_b32_e32 v8, 0xffff0000, v23
	;; [unrolled: 1-line block ×4, first 2 shown]
	v_pk_add_f32 v[4:5], v[4:5], v[2:3]
	v_mov_b32_e32 v2, v3
	v_pk_add_f32 v[8:9], v[22:23], v[8:9]
	v_pk_add_f32 v[2:3], v[4:5], v[2:3]
	v_and_b32_e32 v5, 0xffff0000, v30
	v_and_b32_e32 v4, 0xffff0000, v27
	;; [unrolled: 1-line block ×4, first 2 shown]
	v_mov_b32_e32 v22, v9
	v_pk_add_f32 v[8:9], v[8:9], v[22:23]
	v_pk_add_f32 v[4:5], v[6:7], v[4:5]
	;; [unrolled: 1-line block ×4, first 2 shown]
	v_mov_b32_e32 v4, v5
	v_pk_add_f32 v[4:5], v[6:7], v[4:5]
	v_add_u32_e32 v12, 2, v12
	v_mov_b32_e32 v3, v4
	v_pk_add_f32 v[20:21], v[20:21], v[2:3]
	v_cmp_le_i32_e32 vcc, s25, v12
	v_add_u32_e32 v11, 16, v11
	v_add_u32_e32 v14, 64, v14
	v_lshl_add_u64 v[18:19], v[18:19], 0, 8
	s_or_b64 s[8:9], vcc, s[8:9]
	v_mov_b32_e32 v20, v2
	s_andn2_b64 exec, exec, s[8:9]
	s_cbranch_execz .LBB330_271
.LBB330_107:                            ; =>This Inner Loop Header: Depth=1
	global_load_dword v22, v[18:19], off
	ds_read2_b64 v[6:9], v14 offset1:1
	ds_read2_b64 v[2:5], v14 offset0:2 offset1:3
                                        ; implicit-def: $vgpr30
	s_waitcnt lgkmcnt(0)
	v_and_b32_e32 v13, 0x7f800000, v6
	v_cmp_ne_u32_e32 vcc, s14, v13
	s_and_saveexec_b64 s[0:1], vcc
	s_xor_b64 s[0:1], exec, s[0:1]
; %bb.108:                              ;   in Loop: Header=BB330_107 Depth=1
	v_bfe_u32 v13, v6, 16, 1
	v_add3_u32 v30, v6, v13, s15
; %bb.109:                              ;   in Loop: Header=BB330_107 Depth=1
	s_andn2_saveexec_b64 s[0:1], s[0:1]
; %bb.110:                              ;   in Loop: Header=BB330_107 Depth=1
	v_or_b32_e32 v13, 0x10000, v6
	v_cmp_eq_u32_sdwa vcc, v6, v15 src0_sel:WORD_0 src1_sel:DWORD
	s_nop 1
	v_cndmask_b32_e32 v30, v13, v6, vcc
; %bb.111:                              ;   in Loop: Header=BB330_107 Depth=1
	s_or_b64 exec, exec, s[0:1]
	v_and_b32_e32 v6, 0x7f800000, v7
	v_cmp_ne_u32_e32 vcc, s14, v6
                                        ; implicit-def: $vgpr31
	s_and_saveexec_b64 s[0:1], vcc
	s_xor_b64 s[0:1], exec, s[0:1]
; %bb.112:                              ;   in Loop: Header=BB330_107 Depth=1
	v_bfe_u32 v6, v7, 16, 1
	v_add3_u32 v31, v7, v6, s15
; %bb.113:                              ;   in Loop: Header=BB330_107 Depth=1
	s_andn2_saveexec_b64 s[0:1], s[0:1]
; %bb.114:                              ;   in Loop: Header=BB330_107 Depth=1
	v_or_b32_e32 v6, 0x10000, v7
	v_cmp_eq_u32_sdwa vcc, v7, v15 src0_sel:WORD_0 src1_sel:DWORD
	s_nop 1
	v_cndmask_b32_e32 v31, v6, v7, vcc
; %bb.115:                              ;   in Loop: Header=BB330_107 Depth=1
	s_or_b64 exec, exec, s[0:1]
	v_and_b32_e32 v6, 0x7f800000, v8
	v_cmp_ne_u32_e32 vcc, s14, v6
                                        ; implicit-def: $vgpr32
	s_and_saveexec_b64 s[0:1], vcc
	s_xor_b64 s[0:1], exec, s[0:1]
; %bb.116:                              ;   in Loop: Header=BB330_107 Depth=1
	v_bfe_u32 v6, v8, 16, 1
	v_add3_u32 v32, v8, v6, s15
; %bb.117:                              ;   in Loop: Header=BB330_107 Depth=1
	s_andn2_saveexec_b64 s[0:1], s[0:1]
; %bb.118:                              ;   in Loop: Header=BB330_107 Depth=1
	v_or_b32_e32 v6, 0x10000, v8
	v_cmp_eq_u32_sdwa vcc, v8, v15 src0_sel:WORD_0 src1_sel:DWORD
	s_nop 1
	v_cndmask_b32_e32 v32, v6, v8, vcc
; %bb.119:                              ;   in Loop: Header=BB330_107 Depth=1
	s_or_b64 exec, exec, s[0:1]
	v_and_b32_e32 v6, 0x7f800000, v9
	v_cmp_ne_u32_e32 vcc, s14, v6
                                        ; implicit-def: $vgpr33
	s_and_saveexec_b64 s[0:1], vcc
	s_xor_b64 s[0:1], exec, s[0:1]
; %bb.120:                              ;   in Loop: Header=BB330_107 Depth=1
	v_bfe_u32 v6, v9, 16, 1
	v_add3_u32 v33, v9, v6, s15
                                        ; implicit-def: $vgpr6_vgpr7_vgpr8_vgpr9
; %bb.121:                              ;   in Loop: Header=BB330_107 Depth=1
	s_andn2_saveexec_b64 s[0:1], s[0:1]
; %bb.122:                              ;   in Loop: Header=BB330_107 Depth=1
	v_or_b32_e32 v6, 0x10000, v9
	v_cmp_eq_u32_sdwa vcc, v9, v15 src0_sel:WORD_0 src1_sel:DWORD
	s_nop 1
	v_cndmask_b32_e32 v33, v6, v9, vcc
; %bb.123:                              ;   in Loop: Header=BB330_107 Depth=1
	s_or_b64 exec, exec, s[0:1]
	v_and_b32_e32 v6, 0x7f800000, v2
	v_cmp_ne_u32_e32 vcc, s14, v6
                                        ; implicit-def: $vgpr8
	s_and_saveexec_b64 s[0:1], vcc
	s_xor_b64 s[0:1], exec, s[0:1]
; %bb.124:                              ;   in Loop: Header=BB330_107 Depth=1
	v_bfe_u32 v6, v2, 16, 1
	v_add3_u32 v8, v2, v6, s15
; %bb.125:                              ;   in Loop: Header=BB330_107 Depth=1
	s_andn2_saveexec_b64 s[0:1], s[0:1]
; %bb.126:                              ;   in Loop: Header=BB330_107 Depth=1
	v_or_b32_e32 v6, 0x10000, v2
	v_cmp_eq_u32_sdwa vcc, v2, v15 src0_sel:WORD_0 src1_sel:DWORD
	s_nop 1
	v_cndmask_b32_e32 v8, v6, v2, vcc
; %bb.127:                              ;   in Loop: Header=BB330_107 Depth=1
	s_or_b64 exec, exec, s[0:1]
	v_and_b32_e32 v2, 0x7f800000, v3
	v_cmp_ne_u32_e32 vcc, s14, v2
                                        ; implicit-def: $vgpr9
	s_and_saveexec_b64 s[0:1], vcc
	s_xor_b64 s[0:1], exec, s[0:1]
; %bb.128:                              ;   in Loop: Header=BB330_107 Depth=1
	v_bfe_u32 v2, v3, 16, 1
	v_add3_u32 v9, v3, v2, s15
; %bb.129:                              ;   in Loop: Header=BB330_107 Depth=1
	s_andn2_saveexec_b64 s[0:1], s[0:1]
; %bb.130:                              ;   in Loop: Header=BB330_107 Depth=1
	v_or_b32_e32 v2, 0x10000, v3
	v_cmp_eq_u32_sdwa vcc, v3, v15 src0_sel:WORD_0 src1_sel:DWORD
	s_nop 1
	v_cndmask_b32_e32 v9, v2, v3, vcc
; %bb.131:                              ;   in Loop: Header=BB330_107 Depth=1
	s_or_b64 exec, exec, s[0:1]
	v_and_b32_e32 v2, 0x7f800000, v4
	v_cmp_ne_u32_e32 vcc, s14, v2
                                        ; implicit-def: $vgpr13
	s_and_saveexec_b64 s[0:1], vcc
	s_xor_b64 s[0:1], exec, s[0:1]
; %bb.132:                              ;   in Loop: Header=BB330_107 Depth=1
	v_bfe_u32 v2, v4, 16, 1
	v_add3_u32 v13, v4, v2, s15
; %bb.133:                              ;   in Loop: Header=BB330_107 Depth=1
	s_andn2_saveexec_b64 s[0:1], s[0:1]
; %bb.134:                              ;   in Loop: Header=BB330_107 Depth=1
	v_or_b32_e32 v2, 0x10000, v4
	v_cmp_eq_u32_sdwa vcc, v4, v15 src0_sel:WORD_0 src1_sel:DWORD
	s_nop 1
	v_cndmask_b32_e32 v13, v2, v4, vcc
; %bb.135:                              ;   in Loop: Header=BB330_107 Depth=1
	s_or_b64 exec, exec, s[0:1]
	v_and_b32_e32 v2, 0x7f800000, v5
	v_cmp_ne_u32_e32 vcc, s14, v2
                                        ; implicit-def: $vgpr29
	s_and_saveexec_b64 s[0:1], vcc
	s_xor_b64 s[0:1], exec, s[0:1]
; %bb.136:                              ;   in Loop: Header=BB330_107 Depth=1
	v_bfe_u32 v2, v5, 16, 1
	v_add3_u32 v29, v5, v2, s15
                                        ; implicit-def: $vgpr2_vgpr3_vgpr4_vgpr5
; %bb.137:                              ;   in Loop: Header=BB330_107 Depth=1
	s_andn2_saveexec_b64 s[0:1], s[0:1]
; %bb.138:                              ;   in Loop: Header=BB330_107 Depth=1
	v_or_b32_e32 v2, 0x10000, v5
	v_cmp_eq_u32_sdwa vcc, v5, v15 src0_sel:WORD_0 src1_sel:DWORD
	s_nop 1
	v_cndmask_b32_e32 v29, v2, v5, vcc
; %bb.139:                              ;   in Loop: Header=BB330_107 Depth=1
	s_or_b64 exec, exec, s[0:1]
	s_waitcnt vmcnt(0)
	v_mad_i64_i32 v[2:3], s[0:1], v22, s5, v[16:17]
	global_load_dwordx2 v[4:5], v[2:3], off
	s_waitcnt vmcnt(0)
	v_and_b32_e32 v6, 0xff, v4
	v_cvt_f32_fp8_sdwa v6, v6 src0_sel:BYTE_0
	s_nop 0
	v_mul_f32_e32 v7, s7, v6
	v_and_b32_e32 v6, 0x7f800000, v7
	v_cmp_ne_u32_e32 vcc, s14, v6
                                        ; implicit-def: $vgpr6
	s_and_saveexec_b64 s[0:1], vcc
	s_xor_b64 s[0:1], exec, s[0:1]
; %bb.140:                              ;   in Loop: Header=BB330_107 Depth=1
	v_bfe_u32 v6, v7, 16, 1
	v_add3_u32 v6, v7, v6, s15
                                        ; implicit-def: $vgpr7
; %bb.141:                              ;   in Loop: Header=BB330_107 Depth=1
	s_andn2_saveexec_b64 s[0:1], s[0:1]
; %bb.142:                              ;   in Loop: Header=BB330_107 Depth=1
	v_or_b32_e32 v6, 0x10000, v7
	v_cmp_eq_u32_sdwa vcc, v7, v15 src0_sel:WORD_0 src1_sel:DWORD
	s_nop 1
	v_cndmask_b32_e32 v6, v6, v7, vcc
; %bb.143:                              ;   in Loop: Header=BB330_107 Depth=1
	s_or_b64 exec, exec, s[0:1]
	v_bfe_u32 v7, v4, 8, 8
	v_cvt_f32_fp8_sdwa v7, v7 src0_sel:BYTE_0
	s_nop 0
	v_mul_f32_e32 v22, s7, v7
	v_and_b32_e32 v7, 0x7f800000, v22
	v_cmp_ne_u32_e32 vcc, s14, v7
                                        ; implicit-def: $vgpr7
	s_and_saveexec_b64 s[0:1], vcc
	s_xor_b64 s[0:1], exec, s[0:1]
; %bb.144:                              ;   in Loop: Header=BB330_107 Depth=1
	v_bfe_u32 v7, v22, 16, 1
	v_add3_u32 v7, v22, v7, s15
                                        ; implicit-def: $vgpr22
; %bb.145:                              ;   in Loop: Header=BB330_107 Depth=1
	s_andn2_saveexec_b64 s[0:1], s[0:1]
; %bb.146:                              ;   in Loop: Header=BB330_107 Depth=1
	v_or_b32_e32 v7, 0x10000, v22
	v_cmp_eq_u32_sdwa vcc, v22, v15 src0_sel:WORD_0 src1_sel:DWORD
	s_nop 1
	v_cndmask_b32_e32 v7, v7, v22, vcc
; %bb.147:                              ;   in Loop: Header=BB330_107 Depth=1
	s_or_b64 exec, exec, s[0:1]
	v_bfe_u32 v22, v4, 16, 8
	v_cvt_f32_fp8_sdwa v22, v22 src0_sel:BYTE_0
	s_nop 0
	v_mul_f32_e32 v22, s7, v22
	v_and_b32_e32 v23, 0x7f800000, v22
	v_cmp_ne_u32_e32 vcc, s14, v23
                                        ; implicit-def: $vgpr23
	s_and_saveexec_b64 s[0:1], vcc
	s_xor_b64 s[0:1], exec, s[0:1]
; %bb.148:                              ;   in Loop: Header=BB330_107 Depth=1
	v_bfe_u32 v23, v22, 16, 1
	v_add3_u32 v23, v22, v23, s15
                                        ; implicit-def: $vgpr22
; %bb.149:                              ;   in Loop: Header=BB330_107 Depth=1
	s_andn2_saveexec_b64 s[0:1], s[0:1]
; %bb.150:                              ;   in Loop: Header=BB330_107 Depth=1
	v_or_b32_e32 v23, 0x10000, v22
	v_cmp_eq_u32_sdwa vcc, v22, v15 src0_sel:WORD_0 src1_sel:DWORD
	s_nop 1
	v_cndmask_b32_e32 v23, v23, v22, vcc
; %bb.151:                              ;   in Loop: Header=BB330_107 Depth=1
	s_or_b64 exec, exec, s[0:1]
	v_lshrrev_b32_e32 v4, 24, v4
	v_cvt_f32_fp8_sdwa v4, v4 src0_sel:BYTE_0
	s_nop 0
	v_mul_f32_e32 v22, s7, v4
	v_and_b32_e32 v4, 0x7f800000, v22
	v_cmp_ne_u32_e32 vcc, s14, v4
                                        ; implicit-def: $vgpr4
	s_and_saveexec_b64 s[0:1], vcc
	s_xor_b64 s[0:1], exec, s[0:1]
; %bb.152:                              ;   in Loop: Header=BB330_107 Depth=1
	v_bfe_u32 v4, v22, 16, 1
	v_add3_u32 v4, v22, v4, s15
                                        ; implicit-def: $vgpr22
; %bb.153:                              ;   in Loop: Header=BB330_107 Depth=1
	s_andn2_saveexec_b64 s[0:1], s[0:1]
; %bb.154:                              ;   in Loop: Header=BB330_107 Depth=1
	v_or_b32_e32 v4, 0x10000, v22
	v_cmp_eq_u32_sdwa vcc, v22, v15 src0_sel:WORD_0 src1_sel:DWORD
	s_nop 1
	v_cndmask_b32_e32 v4, v4, v22, vcc
; %bb.155:                              ;   in Loop: Header=BB330_107 Depth=1
	s_or_b64 exec, exec, s[0:1]
	v_and_b32_e32 v22, 0xff, v5
	v_cvt_f32_fp8_sdwa v22, v22 src0_sel:BYTE_0
	s_nop 0
	v_mul_f32_e32 v22, s7, v22
	v_and_b32_e32 v24, 0x7f800000, v22
	v_cmp_ne_u32_e32 vcc, s14, v24
                                        ; implicit-def: $vgpr24
	s_and_saveexec_b64 s[0:1], vcc
	s_xor_b64 s[0:1], exec, s[0:1]
; %bb.156:                              ;   in Loop: Header=BB330_107 Depth=1
	v_bfe_u32 v24, v22, 16, 1
	v_add3_u32 v24, v22, v24, s15
                                        ; implicit-def: $vgpr22
; %bb.157:                              ;   in Loop: Header=BB330_107 Depth=1
	s_andn2_saveexec_b64 s[0:1], s[0:1]
; %bb.158:                              ;   in Loop: Header=BB330_107 Depth=1
	v_or_b32_e32 v24, 0x10000, v22
	v_cmp_eq_u32_sdwa vcc, v22, v15 src0_sel:WORD_0 src1_sel:DWORD
	s_nop 1
	v_cndmask_b32_e32 v24, v24, v22, vcc
; %bb.159:                              ;   in Loop: Header=BB330_107 Depth=1
	s_or_b64 exec, exec, s[0:1]
	v_bfe_u32 v22, v5, 8, 8
	v_cvt_f32_fp8_sdwa v22, v22 src0_sel:BYTE_0
	s_nop 0
	v_mul_f32_e32 v22, s7, v22
	v_and_b32_e32 v25, 0x7f800000, v22
	v_cmp_ne_u32_e32 vcc, s14, v25
                                        ; implicit-def: $vgpr25
	s_and_saveexec_b64 s[0:1], vcc
	s_xor_b64 s[0:1], exec, s[0:1]
; %bb.160:                              ;   in Loop: Header=BB330_107 Depth=1
	v_bfe_u32 v25, v22, 16, 1
	v_add3_u32 v25, v22, v25, s15
                                        ; implicit-def: $vgpr22
; %bb.161:                              ;   in Loop: Header=BB330_107 Depth=1
	s_andn2_saveexec_b64 s[0:1], s[0:1]
; %bb.162:                              ;   in Loop: Header=BB330_107 Depth=1
	v_or_b32_e32 v25, 0x10000, v22
	v_cmp_eq_u32_sdwa vcc, v22, v15 src0_sel:WORD_0 src1_sel:DWORD
	s_nop 1
	v_cndmask_b32_e32 v25, v25, v22, vcc
; %bb.163:                              ;   in Loop: Header=BB330_107 Depth=1
	s_or_b64 exec, exec, s[0:1]
	v_bfe_u32 v22, v5, 16, 8
	v_cvt_f32_fp8_sdwa v22, v22 src0_sel:BYTE_0
	s_nop 0
	v_mul_f32_e32 v22, s7, v22
	v_and_b32_e32 v26, 0x7f800000, v22
	v_cmp_ne_u32_e32 vcc, s14, v26
                                        ; implicit-def: $vgpr26
	s_and_saveexec_b64 s[0:1], vcc
	s_xor_b64 s[0:1], exec, s[0:1]
; %bb.164:                              ;   in Loop: Header=BB330_107 Depth=1
	v_bfe_u32 v26, v22, 16, 1
	v_add3_u32 v26, v22, v26, s15
                                        ; implicit-def: $vgpr22
; %bb.165:                              ;   in Loop: Header=BB330_107 Depth=1
	s_andn2_saveexec_b64 s[0:1], s[0:1]
; %bb.166:                              ;   in Loop: Header=BB330_107 Depth=1
	v_or_b32_e32 v26, 0x10000, v22
	v_cmp_eq_u32_sdwa vcc, v22, v15 src0_sel:WORD_0 src1_sel:DWORD
	s_nop 1
	v_cndmask_b32_e32 v26, v26, v22, vcc
; %bb.167:                              ;   in Loop: Header=BB330_107 Depth=1
	s_or_b64 exec, exec, s[0:1]
	v_lshrrev_b32_e32 v5, 24, v5
	v_cvt_f32_fp8_sdwa v5, v5 src0_sel:BYTE_0
                                        ; implicit-def: $vgpr27
	s_nop 0
	v_mul_f32_e32 v5, s7, v5
	v_and_b32_e32 v22, 0x7f800000, v5
	v_cmp_ne_u32_e32 vcc, s14, v22
	s_and_saveexec_b64 s[0:1], vcc
	s_xor_b64 s[0:1], exec, s[0:1]
; %bb.168:                              ;   in Loop: Header=BB330_107 Depth=1
	v_bfe_u32 v22, v5, 16, 1
	v_add3_u32 v27, v5, v22, s15
                                        ; implicit-def: $vgpr5
; %bb.169:                              ;   in Loop: Header=BB330_107 Depth=1
	s_andn2_saveexec_b64 s[0:1], s[0:1]
; %bb.170:                              ;   in Loop: Header=BB330_107 Depth=1
	v_or_b32_e32 v22, 0x10000, v5
	v_cmp_eq_u32_sdwa vcc, v5, v15 src0_sel:WORD_0 src1_sel:DWORD
	s_nop 1
	v_cndmask_b32_e32 v27, v22, v5, vcc
; %bb.171:                              ;   in Loop: Header=BB330_107 Depth=1
	s_or_b64 exec, exec, s[0:1]
	v_cmp_eq_u32_e32 vcc, s13, v12
	v_add_u32_e32 v22, -7, v11
	v_lshrrev_b32_e32 v36, 16, v25
	v_lshrrev_b32_e32 v35, 16, v24
	;; [unrolled: 1-line block ×8, first 2 shown]
	v_add_u32_e32 v28, -6, v11
	v_add_u32_e32 v27, -5, v11
	;; [unrolled: 1-line block ×6, first 2 shown]
	s_and_saveexec_b64 s[10:11], vcc
	s_cbranch_execz .LBB330_173
; %bb.172:                              ;   in Loop: Header=BB330_107 Depth=1
	v_cmp_gt_i32_e64 s[0:1], s29, v22
	s_nop 1
	v_cndmask_b32_e64 v4, 0, v4, s[0:1]
	v_cmp_gt_i32_e64 s[0:1], s29, v28
	s_nop 1
	v_cndmask_b32_e64 v5, 0, v5, s[0:1]
	;; [unrolled: 3-line block ×8, first 2 shown]
.LBB330_173:                            ;   in Loop: Header=BB330_107 Depth=1
	s_or_b64 exec, exec, s[10:11]
	v_and_b32_e32 v30, 0xffff0000, v30
	v_lshlrev_b32_e32 v4, 16, v4
	v_mul_f32_e32 v6, v30, v4
	v_and_b32_e32 v4, 0x7f800000, v6
	v_cmp_ne_u32_e64 s[0:1], s14, v4
                                        ; implicit-def: $vgpr4
	s_and_saveexec_b64 s[10:11], s[0:1]
	s_xor_b64 s[0:1], exec, s[10:11]
; %bb.174:                              ;   in Loop: Header=BB330_107 Depth=1
	v_bfe_u32 v4, v6, 16, 1
	v_add3_u32 v4, v6, v4, s15
                                        ; implicit-def: $vgpr6
; %bb.175:                              ;   in Loop: Header=BB330_107 Depth=1
	s_andn2_saveexec_b64 s[10:11], s[0:1]
; %bb.176:                              ;   in Loop: Header=BB330_107 Depth=1
	v_or_b32_e32 v4, 0x10000, v6
	v_cmp_eq_u32_sdwa s[0:1], v6, v15 src0_sel:WORD_0 src1_sel:DWORD
	s_nop 1
	v_cndmask_b32_e64 v4, v4, v6, s[0:1]
; %bb.177:                              ;   in Loop: Header=BB330_107 Depth=1
	s_or_b64 exec, exec, s[10:11]
	v_and_b32_e32 v31, 0xffff0000, v31
	v_lshlrev_b32_e32 v5, 16, v5
	v_mul_f32_e32 v6, v31, v5
	v_and_b32_e32 v5, 0x7f800000, v6
	v_cmp_ne_u32_e64 s[0:1], s14, v5
                                        ; implicit-def: $vgpr5
	s_and_saveexec_b64 s[10:11], s[0:1]
	s_xor_b64 s[0:1], exec, s[10:11]
; %bb.178:                              ;   in Loop: Header=BB330_107 Depth=1
	v_bfe_u32 v5, v6, 16, 1
	v_add3_u32 v5, v6, v5, s15
                                        ; implicit-def: $vgpr6
; %bb.179:                              ;   in Loop: Header=BB330_107 Depth=1
	s_andn2_saveexec_b64 s[10:11], s[0:1]
; %bb.180:                              ;   in Loop: Header=BB330_107 Depth=1
	v_or_b32_e32 v5, 0x10000, v6
	v_cmp_eq_u32_sdwa s[0:1], v6, v15 src0_sel:WORD_0 src1_sel:DWORD
	s_nop 1
	v_cndmask_b32_e64 v5, v5, v6, s[0:1]
; %bb.181:                              ;   in Loop: Header=BB330_107 Depth=1
	s_or_b64 exec, exec, s[10:11]
	v_and_b32_e32 v32, 0xffff0000, v32
	v_lshlrev_b32_e32 v6, 16, v39
	v_mul_f32_e32 v7, v32, v6
	v_and_b32_e32 v6, 0x7f800000, v7
	v_cmp_ne_u32_e64 s[0:1], s14, v6
                                        ; implicit-def: $vgpr6
	s_and_saveexec_b64 s[10:11], s[0:1]
	s_xor_b64 s[0:1], exec, s[10:11]
; %bb.182:                              ;   in Loop: Header=BB330_107 Depth=1
	v_bfe_u32 v6, v7, 16, 1
	v_add3_u32 v6, v7, v6, s15
                                        ; implicit-def: $vgpr7
; %bb.183:                              ;   in Loop: Header=BB330_107 Depth=1
	s_andn2_saveexec_b64 s[10:11], s[0:1]
; %bb.184:                              ;   in Loop: Header=BB330_107 Depth=1
	v_or_b32_e32 v6, 0x10000, v7
	v_cmp_eq_u32_sdwa s[0:1], v7, v15 src0_sel:WORD_0 src1_sel:DWORD
	s_nop 1
	v_cndmask_b32_e64 v6, v6, v7, s[0:1]
; %bb.185:                              ;   in Loop: Header=BB330_107 Depth=1
	s_or_b64 exec, exec, s[10:11]
	v_and_b32_e32 v33, 0xffff0000, v33
	v_lshlrev_b32_e32 v7, 16, v34
	v_mul_f32_e32 v34, v33, v7
	v_and_b32_e32 v7, 0x7f800000, v34
	v_cmp_ne_u32_e64 s[0:1], s14, v7
                                        ; implicit-def: $vgpr7
	s_and_saveexec_b64 s[10:11], s[0:1]
	s_xor_b64 s[0:1], exec, s[10:11]
; %bb.186:                              ;   in Loop: Header=BB330_107 Depth=1
	v_bfe_u32 v7, v34, 16, 1
	v_add3_u32 v7, v34, v7, s15
                                        ; implicit-def: $vgpr34
; %bb.187:                              ;   in Loop: Header=BB330_107 Depth=1
	s_andn2_saveexec_b64 s[10:11], s[0:1]
; %bb.188:                              ;   in Loop: Header=BB330_107 Depth=1
	v_or_b32_e32 v7, 0x10000, v34
	v_cmp_eq_u32_sdwa s[0:1], v34, v15 src0_sel:WORD_0 src1_sel:DWORD
	s_nop 1
	v_cndmask_b32_e64 v7, v7, v34, s[0:1]
; %bb.189:                              ;   in Loop: Header=BB330_107 Depth=1
	s_or_b64 exec, exec, s[10:11]
	v_and_b32_e32 v34, 0xffff0000, v8
	v_lshlrev_b32_e32 v8, 16, v35
	v_mul_f32_e32 v35, v34, v8
	v_and_b32_e32 v8, 0x7f800000, v35
	v_cmp_ne_u32_e64 s[0:1], s14, v8
                                        ; implicit-def: $vgpr8
	s_and_saveexec_b64 s[10:11], s[0:1]
	s_xor_b64 s[0:1], exec, s[10:11]
; %bb.190:                              ;   in Loop: Header=BB330_107 Depth=1
	v_bfe_u32 v8, v35, 16, 1
	v_add3_u32 v8, v35, v8, s15
                                        ; implicit-def: $vgpr35
; %bb.191:                              ;   in Loop: Header=BB330_107 Depth=1
	s_andn2_saveexec_b64 s[10:11], s[0:1]
; %bb.192:                              ;   in Loop: Header=BB330_107 Depth=1
	v_or_b32_e32 v8, 0x10000, v35
	v_cmp_eq_u32_sdwa s[0:1], v35, v15 src0_sel:WORD_0 src1_sel:DWORD
	s_nop 1
	v_cndmask_b32_e64 v8, v8, v35, s[0:1]
; %bb.193:                              ;   in Loop: Header=BB330_107 Depth=1
	s_or_b64 exec, exec, s[10:11]
	v_and_b32_e32 v35, 0xffff0000, v9
	v_lshlrev_b32_e32 v9, 16, v36
	v_mul_f32_e32 v36, v35, v9
	v_and_b32_e32 v9, 0x7f800000, v36
	v_cmp_ne_u32_e64 s[0:1], s14, v9
                                        ; implicit-def: $vgpr9
	s_and_saveexec_b64 s[10:11], s[0:1]
	s_xor_b64 s[0:1], exec, s[10:11]
; %bb.194:                              ;   in Loop: Header=BB330_107 Depth=1
	v_bfe_u32 v9, v36, 16, 1
	v_add3_u32 v9, v36, v9, s15
                                        ; implicit-def: $vgpr36
; %bb.195:                              ;   in Loop: Header=BB330_107 Depth=1
	s_andn2_saveexec_b64 s[10:11], s[0:1]
; %bb.196:                              ;   in Loop: Header=BB330_107 Depth=1
	v_or_b32_e32 v9, 0x10000, v36
	v_cmp_eq_u32_sdwa s[0:1], v36, v15 src0_sel:WORD_0 src1_sel:DWORD
	s_nop 1
	v_cndmask_b32_e64 v9, v9, v36, s[0:1]
; %bb.197:                              ;   in Loop: Header=BB330_107 Depth=1
	s_or_b64 exec, exec, s[10:11]
	v_and_b32_e32 v36, 0xffff0000, v13
	v_lshlrev_b32_e32 v13, 16, v37
	v_mul_f32_e32 v37, v36, v13
	v_and_b32_e32 v13, 0x7f800000, v37
	v_cmp_ne_u32_e64 s[0:1], s14, v13
                                        ; implicit-def: $vgpr13
	s_and_saveexec_b64 s[10:11], s[0:1]
	s_xor_b64 s[0:1], exec, s[10:11]
; %bb.198:                              ;   in Loop: Header=BB330_107 Depth=1
	v_bfe_u32 v13, v37, 16, 1
	v_add3_u32 v13, v37, v13, s15
                                        ; implicit-def: $vgpr37
; %bb.199:                              ;   in Loop: Header=BB330_107 Depth=1
	s_andn2_saveexec_b64 s[10:11], s[0:1]
; %bb.200:                              ;   in Loop: Header=BB330_107 Depth=1
	v_or_b32_e32 v13, 0x10000, v37
	v_cmp_eq_u32_sdwa s[0:1], v37, v15 src0_sel:WORD_0 src1_sel:DWORD
	s_nop 1
	v_cndmask_b32_e64 v13, v13, v37, s[0:1]
; %bb.201:                              ;   in Loop: Header=BB330_107 Depth=1
	s_or_b64 exec, exec, s[10:11]
	v_and_b32_e32 v37, 0xffff0000, v29
	v_lshlrev_b32_e32 v29, 16, v38
	v_mul_f32_e32 v38, v37, v29
	v_and_b32_e32 v29, 0x7f800000, v38
	v_cmp_ne_u32_e64 s[0:1], s14, v29
                                        ; implicit-def: $vgpr29
	s_and_saveexec_b64 s[10:11], s[0:1]
	s_xor_b64 s[0:1], exec, s[10:11]
; %bb.202:                              ;   in Loop: Header=BB330_107 Depth=1
	v_bfe_u32 v29, v38, 16, 1
	v_add3_u32 v29, v38, v29, s15
                                        ; implicit-def: $vgpr38
; %bb.203:                              ;   in Loop: Header=BB330_107 Depth=1
	s_andn2_saveexec_b64 s[10:11], s[0:1]
; %bb.204:                              ;   in Loop: Header=BB330_107 Depth=1
	v_or_b32_e32 v29, 0x10000, v38
	v_cmp_eq_u32_sdwa s[0:1], v38, v15 src0_sel:WORD_0 src1_sel:DWORD
	s_nop 1
	v_cndmask_b32_e64 v29, v29, v38, s[0:1]
; %bb.205:                              ;   in Loop: Header=BB330_107 Depth=1
	s_or_b64 exec, exec, s[10:11]
	global_load_dwordx2 v[2:3], v[2:3], off offset:512
	s_waitcnt vmcnt(0)
	v_and_b32_e32 v38, 0xff, v2
	v_cvt_f32_fp8_sdwa v38, v38 src0_sel:BYTE_0
	s_nop 0
	v_mul_f32_e32 v39, s7, v38
	v_and_b32_e32 v38, 0x7f800000, v39
	v_cmp_ne_u32_e64 s[0:1], s14, v38
                                        ; implicit-def: $vgpr38
	s_and_saveexec_b64 s[10:11], s[0:1]
	s_xor_b64 s[0:1], exec, s[10:11]
; %bb.206:                              ;   in Loop: Header=BB330_107 Depth=1
	v_bfe_u32 v38, v39, 16, 1
	v_add3_u32 v38, v39, v38, s15
                                        ; implicit-def: $vgpr39
; %bb.207:                              ;   in Loop: Header=BB330_107 Depth=1
	s_andn2_saveexec_b64 s[10:11], s[0:1]
; %bb.208:                              ;   in Loop: Header=BB330_107 Depth=1
	v_or_b32_e32 v38, 0x10000, v39
	v_cmp_eq_u32_sdwa s[0:1], v39, v15 src0_sel:WORD_0 src1_sel:DWORD
	s_nop 1
	v_cndmask_b32_e64 v38, v38, v39, s[0:1]
; %bb.209:                              ;   in Loop: Header=BB330_107 Depth=1
	s_or_b64 exec, exec, s[10:11]
	v_bfe_u32 v39, v2, 8, 8
	v_cvt_f32_fp8_sdwa v39, v39 src0_sel:BYTE_0
	s_nop 0
	v_mul_f32_e32 v40, s7, v39
	v_and_b32_e32 v39, 0x7f800000, v40
	v_cmp_ne_u32_e64 s[0:1], s14, v39
                                        ; implicit-def: $vgpr39
	s_and_saveexec_b64 s[10:11], s[0:1]
	s_xor_b64 s[0:1], exec, s[10:11]
; %bb.210:                              ;   in Loop: Header=BB330_107 Depth=1
	v_bfe_u32 v39, v40, 16, 1
	v_add3_u32 v39, v40, v39, s15
                                        ; implicit-def: $vgpr40
; %bb.211:                              ;   in Loop: Header=BB330_107 Depth=1
	s_andn2_saveexec_b64 s[10:11], s[0:1]
; %bb.212:                              ;   in Loop: Header=BB330_107 Depth=1
	v_or_b32_e32 v39, 0x10000, v40
	v_cmp_eq_u32_sdwa s[0:1], v40, v15 src0_sel:WORD_0 src1_sel:DWORD
	s_nop 1
	v_cndmask_b32_e64 v39, v39, v40, s[0:1]
; %bb.213:                              ;   in Loop: Header=BB330_107 Depth=1
	s_or_b64 exec, exec, s[10:11]
	v_bfe_u32 v40, v2, 16, 8
	v_cvt_f32_fp8_sdwa v40, v40 src0_sel:BYTE_0
	s_nop 0
	v_mul_f32_e32 v40, s7, v40
	v_and_b32_e32 v41, 0x7f800000, v40
	v_cmp_ne_u32_e64 s[0:1], s14, v41
                                        ; implicit-def: $vgpr41
	s_and_saveexec_b64 s[10:11], s[0:1]
	s_xor_b64 s[0:1], exec, s[10:11]
; %bb.214:                              ;   in Loop: Header=BB330_107 Depth=1
	v_bfe_u32 v41, v40, 16, 1
	v_add3_u32 v41, v40, v41, s15
                                        ; implicit-def: $vgpr40
; %bb.215:                              ;   in Loop: Header=BB330_107 Depth=1
	s_andn2_saveexec_b64 s[10:11], s[0:1]
; %bb.216:                              ;   in Loop: Header=BB330_107 Depth=1
	v_or_b32_e32 v41, 0x10000, v40
	v_cmp_eq_u32_sdwa s[0:1], v40, v15 src0_sel:WORD_0 src1_sel:DWORD
	s_nop 1
	v_cndmask_b32_e64 v41, v41, v40, s[0:1]
; %bb.217:                              ;   in Loop: Header=BB330_107 Depth=1
	s_or_b64 exec, exec, s[10:11]
	v_lshrrev_b32_e32 v2, 24, v2
	v_cvt_f32_fp8_sdwa v2, v2 src0_sel:BYTE_0
	s_nop 0
	v_mul_f32_e32 v40, s7, v2
	v_and_b32_e32 v2, 0x7f800000, v40
	v_cmp_ne_u32_e64 s[0:1], s14, v2
                                        ; implicit-def: $vgpr2
	s_and_saveexec_b64 s[10:11], s[0:1]
	s_xor_b64 s[0:1], exec, s[10:11]
; %bb.218:                              ;   in Loop: Header=BB330_107 Depth=1
	v_bfe_u32 v2, v40, 16, 1
	v_add3_u32 v2, v40, v2, s15
                                        ; implicit-def: $vgpr40
; %bb.219:                              ;   in Loop: Header=BB330_107 Depth=1
	s_andn2_saveexec_b64 s[10:11], s[0:1]
; %bb.220:                              ;   in Loop: Header=BB330_107 Depth=1
	v_or_b32_e32 v2, 0x10000, v40
	v_cmp_eq_u32_sdwa s[0:1], v40, v15 src0_sel:WORD_0 src1_sel:DWORD
	s_nop 1
	v_cndmask_b32_e64 v2, v2, v40, s[0:1]
; %bb.221:                              ;   in Loop: Header=BB330_107 Depth=1
	s_or_b64 exec, exec, s[10:11]
	v_and_b32_e32 v40, 0xff, v3
	v_cvt_f32_fp8_sdwa v40, v40 src0_sel:BYTE_0
	s_nop 0
	v_mul_f32_e32 v40, s7, v40
	v_and_b32_e32 v42, 0x7f800000, v40
	v_cmp_ne_u32_e64 s[0:1], s14, v42
                                        ; implicit-def: $vgpr42
	s_and_saveexec_b64 s[10:11], s[0:1]
	s_xor_b64 s[0:1], exec, s[10:11]
; %bb.222:                              ;   in Loop: Header=BB330_107 Depth=1
	v_bfe_u32 v42, v40, 16, 1
	v_add3_u32 v42, v40, v42, s15
                                        ; implicit-def: $vgpr40
; %bb.223:                              ;   in Loop: Header=BB330_107 Depth=1
	s_andn2_saveexec_b64 s[10:11], s[0:1]
; %bb.224:                              ;   in Loop: Header=BB330_107 Depth=1
	v_or_b32_e32 v42, 0x10000, v40
	v_cmp_eq_u32_sdwa s[0:1], v40, v15 src0_sel:WORD_0 src1_sel:DWORD
	s_nop 1
	v_cndmask_b32_e64 v42, v42, v40, s[0:1]
; %bb.225:                              ;   in Loop: Header=BB330_107 Depth=1
	s_or_b64 exec, exec, s[10:11]
	v_bfe_u32 v40, v3, 8, 8
	v_cvt_f32_fp8_sdwa v40, v40 src0_sel:BYTE_0
	s_nop 0
	v_mul_f32_e32 v43, s7, v40
	v_and_b32_e32 v40, 0x7f800000, v43
	v_cmp_ne_u32_e64 s[0:1], s14, v40
                                        ; implicit-def: $vgpr40
	s_and_saveexec_b64 s[10:11], s[0:1]
	s_xor_b64 s[0:1], exec, s[10:11]
; %bb.226:                              ;   in Loop: Header=BB330_107 Depth=1
	v_bfe_u32 v40, v43, 16, 1
	v_add3_u32 v40, v43, v40, s15
                                        ; implicit-def: $vgpr43
; %bb.227:                              ;   in Loop: Header=BB330_107 Depth=1
	s_andn2_saveexec_b64 s[10:11], s[0:1]
; %bb.228:                              ;   in Loop: Header=BB330_107 Depth=1
	v_or_b32_e32 v40, 0x10000, v43
	v_cmp_eq_u32_sdwa s[0:1], v43, v15 src0_sel:WORD_0 src1_sel:DWORD
	s_nop 1
	v_cndmask_b32_e64 v40, v40, v43, s[0:1]
; %bb.229:                              ;   in Loop: Header=BB330_107 Depth=1
	s_or_b64 exec, exec, s[10:11]
	v_bfe_u32 v43, v3, 16, 8
	v_cvt_f32_fp8_sdwa v43, v43 src0_sel:BYTE_0
	s_nop 0
	v_mul_f32_e32 v43, s7, v43
	v_and_b32_e32 v44, 0x7f800000, v43
	v_cmp_ne_u32_e64 s[0:1], s14, v44
                                        ; implicit-def: $vgpr44
	s_and_saveexec_b64 s[10:11], s[0:1]
	s_xor_b64 s[0:1], exec, s[10:11]
; %bb.230:                              ;   in Loop: Header=BB330_107 Depth=1
	v_bfe_u32 v44, v43, 16, 1
	v_add3_u32 v44, v43, v44, s15
                                        ; implicit-def: $vgpr43
; %bb.231:                              ;   in Loop: Header=BB330_107 Depth=1
	s_andn2_saveexec_b64 s[10:11], s[0:1]
; %bb.232:                              ;   in Loop: Header=BB330_107 Depth=1
	v_or_b32_e32 v44, 0x10000, v43
	v_cmp_eq_u32_sdwa s[0:1], v43, v15 src0_sel:WORD_0 src1_sel:DWORD
	s_nop 1
	v_cndmask_b32_e64 v44, v44, v43, s[0:1]
; %bb.233:                              ;   in Loop: Header=BB330_107 Depth=1
	s_or_b64 exec, exec, s[10:11]
	v_lshrrev_b32_e32 v3, 24, v3
	v_cvt_f32_fp8_sdwa v3, v3 src0_sel:BYTE_0
                                        ; implicit-def: $vgpr45
	s_nop 0
	v_mul_f32_e32 v3, s7, v3
	v_and_b32_e32 v43, 0x7f800000, v3
	v_cmp_ne_u32_e64 s[0:1], s14, v43
	s_and_saveexec_b64 s[10:11], s[0:1]
	s_xor_b64 s[0:1], exec, s[10:11]
; %bb.234:                              ;   in Loop: Header=BB330_107 Depth=1
	v_bfe_u32 v43, v3, 16, 1
	v_add3_u32 v45, v3, v43, s15
                                        ; implicit-def: $vgpr3
; %bb.235:                              ;   in Loop: Header=BB330_107 Depth=1
	s_andn2_saveexec_b64 s[10:11], s[0:1]
; %bb.236:                              ;   in Loop: Header=BB330_107 Depth=1
	v_or_b32_e32 v43, 0x10000, v3
	v_cmp_eq_u32_sdwa s[0:1], v3, v15 src0_sel:WORD_0 src1_sel:DWORD
	s_nop 1
	v_cndmask_b32_e64 v45, v43, v3, s[0:1]
; %bb.237:                              ;   in Loop: Header=BB330_107 Depth=1
	s_or_b64 exec, exec, s[10:11]
	v_lshrrev_b32_e32 v40, 16, v40
	v_lshrrev_b32_e32 v42, 16, v42
	;; [unrolled: 1-line block ×8, first 2 shown]
	s_and_saveexec_b64 s[0:1], vcc
	s_cbranch_execz .LBB330_239
; %bb.238:                              ;   in Loop: Header=BB330_107 Depth=1
	v_cmp_gt_i32_e32 vcc, s29, v22
	s_nop 1
	v_cndmask_b32_e32 v38, 0, v38, vcc
	v_cmp_gt_i32_e32 vcc, s29, v28
	s_nop 1
	v_cndmask_b32_e32 v39, 0, v39, vcc
	;; [unrolled: 3-line block ×8, first 2 shown]
.LBB330_239:                            ;   in Loop: Header=BB330_107 Depth=1
	s_or_b64 exec, exec, s[0:1]
	v_lshlrev_b32_e32 v22, 16, v38
	v_mul_f32_e32 v23, v30, v22
	v_and_b32_e32 v22, 0x7f800000, v23
	v_cmp_ne_u32_e32 vcc, s14, v22
                                        ; implicit-def: $vgpr22
	s_and_saveexec_b64 s[0:1], vcc
	s_xor_b64 s[0:1], exec, s[0:1]
; %bb.240:                              ;   in Loop: Header=BB330_107 Depth=1
	v_bfe_u32 v22, v23, 16, 1
	v_add3_u32 v22, v23, v22, s15
                                        ; implicit-def: $vgpr23
; %bb.241:                              ;   in Loop: Header=BB330_107 Depth=1
	s_andn2_saveexec_b64 s[0:1], s[0:1]
; %bb.242:                              ;   in Loop: Header=BB330_107 Depth=1
	v_or_b32_e32 v22, 0x10000, v23
	v_cmp_eq_u32_sdwa vcc, v23, v15 src0_sel:WORD_0 src1_sel:DWORD
	s_nop 1
	v_cndmask_b32_e32 v22, v22, v23, vcc
; %bb.243:                              ;   in Loop: Header=BB330_107 Depth=1
	s_or_b64 exec, exec, s[0:1]
	v_lshlrev_b32_e32 v23, 16, v39
	v_mul_f32_e32 v24, v31, v23
	v_and_b32_e32 v23, 0x7f800000, v24
	v_cmp_ne_u32_e32 vcc, s14, v23
                                        ; implicit-def: $vgpr23
	s_and_saveexec_b64 s[0:1], vcc
	s_xor_b64 s[0:1], exec, s[0:1]
; %bb.244:                              ;   in Loop: Header=BB330_107 Depth=1
	v_bfe_u32 v23, v24, 16, 1
	v_add3_u32 v23, v24, v23, s15
                                        ; implicit-def: $vgpr24
; %bb.245:                              ;   in Loop: Header=BB330_107 Depth=1
	s_andn2_saveexec_b64 s[0:1], s[0:1]
; %bb.246:                              ;   in Loop: Header=BB330_107 Depth=1
	v_or_b32_e32 v23, 0x10000, v24
	v_cmp_eq_u32_sdwa vcc, v24, v15 src0_sel:WORD_0 src1_sel:DWORD
	s_nop 1
	v_cndmask_b32_e32 v23, v23, v24, vcc
; %bb.247:                              ;   in Loop: Header=BB330_107 Depth=1
	s_or_b64 exec, exec, s[0:1]
	v_lshlrev_b32_e32 v24, 16, v41
	v_mul_f32_e32 v25, v32, v24
	v_and_b32_e32 v24, 0x7f800000, v25
	v_cmp_ne_u32_e32 vcc, s14, v24
                                        ; implicit-def: $vgpr24
	s_and_saveexec_b64 s[0:1], vcc
	s_xor_b64 s[0:1], exec, s[0:1]
; %bb.248:                              ;   in Loop: Header=BB330_107 Depth=1
	v_bfe_u32 v24, v25, 16, 1
	v_add3_u32 v24, v25, v24, s15
                                        ; implicit-def: $vgpr25
; %bb.249:                              ;   in Loop: Header=BB330_107 Depth=1
	s_andn2_saveexec_b64 s[0:1], s[0:1]
; %bb.250:                              ;   in Loop: Header=BB330_107 Depth=1
	v_or_b32_e32 v24, 0x10000, v25
	v_cmp_eq_u32_sdwa vcc, v25, v15 src0_sel:WORD_0 src1_sel:DWORD
	s_nop 1
	v_cndmask_b32_e32 v24, v24, v25, vcc
; %bb.251:                              ;   in Loop: Header=BB330_107 Depth=1
	s_or_b64 exec, exec, s[0:1]
	v_lshlrev_b32_e32 v25, 16, v43
	v_mul_f32_e32 v26, v33, v25
	v_and_b32_e32 v25, 0x7f800000, v26
	v_cmp_ne_u32_e32 vcc, s14, v25
                                        ; implicit-def: $vgpr25
	s_and_saveexec_b64 s[0:1], vcc
	s_xor_b64 s[0:1], exec, s[0:1]
; %bb.252:                              ;   in Loop: Header=BB330_107 Depth=1
	v_bfe_u32 v25, v26, 16, 1
	v_add3_u32 v25, v26, v25, s15
                                        ; implicit-def: $vgpr26
; %bb.253:                              ;   in Loop: Header=BB330_107 Depth=1
	s_andn2_saveexec_b64 s[0:1], s[0:1]
; %bb.254:                              ;   in Loop: Header=BB330_107 Depth=1
	v_or_b32_e32 v25, 0x10000, v26
	v_cmp_eq_u32_sdwa vcc, v26, v15 src0_sel:WORD_0 src1_sel:DWORD
	s_nop 1
	v_cndmask_b32_e32 v25, v25, v26, vcc
; %bb.255:                              ;   in Loop: Header=BB330_107 Depth=1
	s_or_b64 exec, exec, s[0:1]
	v_lshlrev_b32_e32 v26, 16, v42
	v_mul_f32_e32 v27, v34, v26
	v_and_b32_e32 v26, 0x7f800000, v27
	v_cmp_ne_u32_e32 vcc, s14, v26
                                        ; implicit-def: $vgpr26
	s_and_saveexec_b64 s[0:1], vcc
	s_xor_b64 s[0:1], exec, s[0:1]
; %bb.256:                              ;   in Loop: Header=BB330_107 Depth=1
	v_bfe_u32 v26, v27, 16, 1
	v_add3_u32 v26, v27, v26, s15
                                        ; implicit-def: $vgpr27
; %bb.257:                              ;   in Loop: Header=BB330_107 Depth=1
	s_andn2_saveexec_b64 s[0:1], s[0:1]
; %bb.258:                              ;   in Loop: Header=BB330_107 Depth=1
	v_or_b32_e32 v26, 0x10000, v27
	v_cmp_eq_u32_sdwa vcc, v27, v15 src0_sel:WORD_0 src1_sel:DWORD
	s_nop 1
	v_cndmask_b32_e32 v26, v26, v27, vcc
; %bb.259:                              ;   in Loop: Header=BB330_107 Depth=1
	s_or_b64 exec, exec, s[0:1]
	v_lshlrev_b32_e32 v27, 16, v40
	v_mul_f32_e32 v28, v35, v27
	v_and_b32_e32 v27, 0x7f800000, v28
	v_cmp_ne_u32_e32 vcc, s14, v27
                                        ; implicit-def: $vgpr27
	s_and_saveexec_b64 s[0:1], vcc
	s_xor_b64 s[0:1], exec, s[0:1]
; %bb.260:                              ;   in Loop: Header=BB330_107 Depth=1
	v_bfe_u32 v27, v28, 16, 1
	v_add3_u32 v27, v28, v27, s15
                                        ; implicit-def: $vgpr28
; %bb.261:                              ;   in Loop: Header=BB330_107 Depth=1
	s_andn2_saveexec_b64 s[0:1], s[0:1]
; %bb.262:                              ;   in Loop: Header=BB330_107 Depth=1
	v_or_b32_e32 v27, 0x10000, v28
	v_cmp_eq_u32_sdwa vcc, v28, v15 src0_sel:WORD_0 src1_sel:DWORD
	s_nop 1
	v_cndmask_b32_e32 v27, v27, v28, vcc
; %bb.263:                              ;   in Loop: Header=BB330_107 Depth=1
	s_or_b64 exec, exec, s[0:1]
	v_lshlrev_b32_e32 v3, 16, v3
	v_mul_f32_e32 v3, v36, v3
	v_and_b32_e32 v28, 0x7f800000, v3
	v_cmp_ne_u32_e32 vcc, s14, v28
                                        ; implicit-def: $vgpr28
	s_and_saveexec_b64 s[0:1], vcc
	s_xor_b64 s[0:1], exec, s[0:1]
; %bb.264:                              ;   in Loop: Header=BB330_107 Depth=1
	v_bfe_u32 v28, v3, 16, 1
	v_add3_u32 v28, v3, v28, s15
                                        ; implicit-def: $vgpr3
; %bb.265:                              ;   in Loop: Header=BB330_107 Depth=1
	s_andn2_saveexec_b64 s[0:1], s[0:1]
; %bb.266:                              ;   in Loop: Header=BB330_107 Depth=1
	v_or_b32_e32 v28, 0x10000, v3
	v_cmp_eq_u32_sdwa vcc, v3, v15 src0_sel:WORD_0 src1_sel:DWORD
	s_nop 1
	v_cndmask_b32_e32 v28, v28, v3, vcc
; %bb.267:                              ;   in Loop: Header=BB330_107 Depth=1
	s_or_b64 exec, exec, s[0:1]
	v_lshlrev_b32_e32 v2, 16, v2
	v_mul_f32_e32 v2, v37, v2
	v_and_b32_e32 v3, 0x7f800000, v2
	v_cmp_ne_u32_e32 vcc, s14, v3
                                        ; implicit-def: $vgpr30
	s_and_saveexec_b64 s[0:1], vcc
	s_xor_b64 s[0:1], exec, s[0:1]
; %bb.268:                              ;   in Loop: Header=BB330_107 Depth=1
	v_bfe_u32 v3, v2, 16, 1
	v_add3_u32 v30, v2, v3, s15
                                        ; implicit-def: $vgpr2
; %bb.269:                              ;   in Loop: Header=BB330_107 Depth=1
	s_andn2_saveexec_b64 s[0:1], s[0:1]
	s_cbranch_execz .LBB330_106
; %bb.270:                              ;   in Loop: Header=BB330_107 Depth=1
	v_or_b32_e32 v3, 0x10000, v2
	v_cmp_eq_u32_sdwa vcc, v2, v15 src0_sel:WORD_0 src1_sel:DWORD
	s_nop 1
	v_cndmask_b32_e32 v30, v3, v2, vcc
	s_branch .LBB330_106
.LBB330_271:
	s_or_b64 exec, exec, s[8:9]
	v_mov_b32_e32 v3, v21
.LBB330_272:
	s_or_b64 exec, exec, s[2:3]
	v_and_b32_e32 v4, 0x3c0, v0
	v_cmp_eq_u32_e32 vcc, 64, v4
	s_barrier
	s_and_saveexec_b64 s[0:1], vcc
	s_cbranch_execz .LBB330_274
; %bb.273:
	v_mov_b32_e32 v4, 0x110
	v_lshl_add_u32 v1, v1, 2, v4
	v_lshl_add_u32 v5, v0, 2, v4
	ds_write_b32 v1, v2
	ds_write_b32 v5, v3
.LBB330_274:
	s_or_b64 exec, exec, s[0:1]
	v_cmp_gt_u32_e32 vcc, 64, v0
	s_waitcnt lgkmcnt(0)
	s_barrier
	s_and_saveexec_b64 s[0:1], vcc
	s_cbranch_execz .LBB330_276
; %bb.275:
	v_mov_b32_e32 v1, 0x110
	v_lshl_add_u32 v0, v0, 2, v1
	ds_read2st64_b32 v[0:1], v0 offset1:1
	s_waitcnt lgkmcnt(0)
	v_pk_add_f32 v[2:3], v[2:3], v[0:1]
.LBB330_276:
	s_or_b64 exec, exec, s[0:1]
	s_barrier
	s_and_saveexec_b64 s[0:1], vcc
	s_cbranch_execz .LBB330_286
; %bb.277:
	s_mov_b32 s0, 0x7f800000
	v_and_b32_e32 v0, 0x7f800000, v2
	v_cmp_ne_u32_e32 vcc, s0, v0
                                        ; implicit-def: $vgpr0
	s_and_saveexec_b64 s[0:1], vcc
	s_xor_b64 s[0:1], exec, s[0:1]
; %bb.278:
	v_bfe_u32 v0, v2, 16, 1
	s_movk_i32 s2, 0x7fff
	v_add3_u32 v0, v2, v0, s2
; %bb.279:
	s_andn2_saveexec_b64 s[0:1], s[0:1]
; %bb.280:
	v_mov_b32_e32 v0, 0
	v_or_b32_e32 v1, 0x10000, v2
	v_cmp_eq_u32_sdwa vcc, v2, v0 src0_sel:WORD_0 src1_sel:DWORD
	s_nop 1
	v_cndmask_b32_e32 v0, v1, v2, vcc
; %bb.281:
	s_or_b64 exec, exec, s[0:1]
	s_lshl_b32 s0, s6, 7
	s_ashr_i32 s1, s0, 31
	s_lshl_b64 s[0:1], s[0:1], 1
	s_add_u32 s2, s26, s0
	s_mul_i32 s0, s12, s24
	s_addc_u32 s3, s27, s1
	s_ashr_i32 s1, s0, 31
	s_lshl_b64 s[0:1], s[0:1], 1
	s_add_u32 s2, s2, s0
	s_addc_u32 s3, s3, s1
	s_lshl_b32 s0, s4, 7
	s_ashr_i32 s1, s0, 31
	s_lshl_b64 s[0:1], s[0:1], 1
	s_add_u32 s0, s2, s0
	s_addc_u32 s1, s3, s1
	global_store_short_d16_hi v10, v0, s[0:1]
	s_mov_b32 s2, 0x7f800000
	v_and_b32_e32 v0, 0x7f800000, v3
	v_mov_b32_e32 v11, 0
	v_cmp_ne_u32_e32 vcc, s2, v0
                                        ; implicit-def: $vgpr4
	s_and_saveexec_b64 s[2:3], vcc
	s_xor_b64 s[2:3], exec, s[2:3]
; %bb.282:
	v_bfe_u32 v0, v3, 16, 1
	s_movk_i32 s4, 0x7fff
	v_add3_u32 v4, v3, v0, s4
                                        ; implicit-def: $vgpr2_vgpr3
; %bb.283:
	s_or_saveexec_b64 s[2:3], s[2:3]
	v_lshl_add_u64 v[0:1], s[0:1], 0, v[10:11]
	s_xor_b64 exec, exec, s[2:3]
; %bb.284:
	v_mov_b32_e32 v2, 0
	v_or_b32_e32 v4, 0x10000, v3
	v_cmp_eq_u32_sdwa vcc, v3, v2 src0_sel:WORD_0 src1_sel:DWORD
	s_nop 1
	v_cndmask_b32_e32 v4, v4, v3, vcc
; %bb.285:
	s_or_b64 exec, exec, s[2:3]
	global_store_short_d16_hi v[0:1], v4, off offset:128
.LBB330_286:
	s_endpgm
	.section	.rodata,"a",@progbits
	.p2align	6, 0x0
	.amdhsa_kernel _ZN4vllm25paged_attention_v2_kernelI14__hip_bfloat16hLi128ELi8ELi128ELNS_18Fp8KVCacheDataTypeE1ELb0ELi512EEEvPfS3_PT_PKS4_PKT0_SA_ifPKiSC_iPKfiiiSE_SE_iiiii
		.amdhsa_group_segment_fixed_size 272
		.amdhsa_private_segment_fixed_size 0
		.amdhsa_kernarg_size 400
		.amdhsa_user_sgpr_count 2
		.amdhsa_user_sgpr_dispatch_ptr 0
		.amdhsa_user_sgpr_queue_ptr 0
		.amdhsa_user_sgpr_kernarg_segment_ptr 1
		.amdhsa_user_sgpr_dispatch_id 0
		.amdhsa_user_sgpr_kernarg_preload_length 0
		.amdhsa_user_sgpr_kernarg_preload_offset 0
		.amdhsa_user_sgpr_private_segment_size 0
		.amdhsa_uses_dynamic_stack 0
		.amdhsa_enable_private_segment 0
		.amdhsa_system_sgpr_workgroup_id_x 1
		.amdhsa_system_sgpr_workgroup_id_y 1
		.amdhsa_system_sgpr_workgroup_id_z 1
		.amdhsa_system_sgpr_workgroup_info 0
		.amdhsa_system_vgpr_workitem_id 0
		.amdhsa_next_free_vgpr 55
		.amdhsa_next_free_sgpr 47
		.amdhsa_accum_offset 56
		.amdhsa_reserve_vcc 1
		.amdhsa_float_round_mode_32 0
		.amdhsa_float_round_mode_16_64 0
		.amdhsa_float_denorm_mode_32 3
		.amdhsa_float_denorm_mode_16_64 3
		.amdhsa_dx10_clamp 1
		.amdhsa_ieee_mode 1
		.amdhsa_fp16_overflow 0
		.amdhsa_tg_split 0
		.amdhsa_exception_fp_ieee_invalid_op 0
		.amdhsa_exception_fp_denorm_src 0
		.amdhsa_exception_fp_ieee_div_zero 0
		.amdhsa_exception_fp_ieee_overflow 0
		.amdhsa_exception_fp_ieee_underflow 0
		.amdhsa_exception_fp_ieee_inexact 0
		.amdhsa_exception_int_div_zero 0
	.end_amdhsa_kernel
	.section	.text._ZN4vllm25paged_attention_v2_kernelI14__hip_bfloat16hLi128ELi8ELi128ELNS_18Fp8KVCacheDataTypeE1ELb0ELi512EEEvPfS3_PT_PKS4_PKT0_SA_ifPKiSC_iPKfiiiSE_SE_iiiii,"axG",@progbits,_ZN4vllm25paged_attention_v2_kernelI14__hip_bfloat16hLi128ELi8ELi128ELNS_18Fp8KVCacheDataTypeE1ELb0ELi512EEEvPfS3_PT_PKS4_PKT0_SA_ifPKiSC_iPKfiiiSE_SE_iiiii,comdat
.Lfunc_end330:
	.size	_ZN4vllm25paged_attention_v2_kernelI14__hip_bfloat16hLi128ELi8ELi128ELNS_18Fp8KVCacheDataTypeE1ELb0ELi512EEEvPfS3_PT_PKS4_PKT0_SA_ifPKiSC_iPKfiiiSE_SE_iiiii, .Lfunc_end330-_ZN4vllm25paged_attention_v2_kernelI14__hip_bfloat16hLi128ELi8ELi128ELNS_18Fp8KVCacheDataTypeE1ELb0ELi512EEEvPfS3_PT_PKS4_PKT0_SA_ifPKiSC_iPKfiiiSE_SE_iiiii
                                        ; -- End function
	.section	.AMDGPU.csdata,"",@progbits
; Kernel info:
; codeLenInByte = 9228
; NumSgprs: 53
; NumVgprs: 55
; NumAgprs: 0
; TotalNumVgprs: 55
; ScratchSize: 0
; MemoryBound: 0
; FloatMode: 240
; IeeeMode: 1
; LDSByteSize: 272 bytes/workgroup (compile time only)
; SGPRBlocks: 6
; VGPRBlocks: 6
; NumSGPRsForWavesPerEU: 53
; NumVGPRsForWavesPerEU: 55
; AccumOffset: 56
; Occupancy: 8
; WaveLimiterHint : 1
; COMPUTE_PGM_RSRC2:SCRATCH_EN: 0
; COMPUTE_PGM_RSRC2:USER_SGPR: 2
; COMPUTE_PGM_RSRC2:TRAP_HANDLER: 0
; COMPUTE_PGM_RSRC2:TGID_X_EN: 1
; COMPUTE_PGM_RSRC2:TGID_Y_EN: 1
; COMPUTE_PGM_RSRC2:TGID_Z_EN: 1
; COMPUTE_PGM_RSRC2:TIDIG_COMP_CNT: 0
; COMPUTE_PGM_RSRC3_GFX90A:ACCUM_OFFSET: 13
; COMPUTE_PGM_RSRC3_GFX90A:TG_SPLIT: 0
	.section	.text._ZN4vllm25paged_attention_v2_kernelI14__hip_bfloat16hLi192ELi8ELi128ELNS_18Fp8KVCacheDataTypeE1ELb0ELi512EEEvPfS3_PT_PKS4_PKT0_SA_ifPKiSC_iPKfiiiSE_SE_iiiii,"axG",@progbits,_ZN4vllm25paged_attention_v2_kernelI14__hip_bfloat16hLi192ELi8ELi128ELNS_18Fp8KVCacheDataTypeE1ELb0ELi512EEEvPfS3_PT_PKS4_PKT0_SA_ifPKiSC_iPKfiiiSE_SE_iiiii,comdat
	.protected	_ZN4vllm25paged_attention_v2_kernelI14__hip_bfloat16hLi192ELi8ELi128ELNS_18Fp8KVCacheDataTypeE1ELb0ELi512EEEvPfS3_PT_PKS4_PKT0_SA_ifPKiSC_iPKfiiiSE_SE_iiiii ; -- Begin function _ZN4vllm25paged_attention_v2_kernelI14__hip_bfloat16hLi192ELi8ELi128ELNS_18Fp8KVCacheDataTypeE1ELb0ELi512EEEvPfS3_PT_PKS4_PKT0_SA_ifPKiSC_iPKfiiiSE_SE_iiiii
	.globl	_ZN4vllm25paged_attention_v2_kernelI14__hip_bfloat16hLi192ELi8ELi128ELNS_18Fp8KVCacheDataTypeE1ELb0ELi512EEEvPfS3_PT_PKS4_PKT0_SA_ifPKiSC_iPKfiiiSE_SE_iiiii
	.p2align	8
	.type	_ZN4vllm25paged_attention_v2_kernelI14__hip_bfloat16hLi192ELi8ELi128ELNS_18Fp8KVCacheDataTypeE1ELb0ELi512EEEvPfS3_PT_PKS4_PKT0_SA_ifPKiSC_iPKfiiiSE_SE_iiiii,@function
_ZN4vllm25paged_attention_v2_kernelI14__hip_bfloat16hLi192ELi8ELi128ELNS_18Fp8KVCacheDataTypeE1ELb0ELi512EEEvPfS3_PT_PKS4_PKT0_SA_ifPKiSC_iPKfiiiSE_SE_iiiii: ; @_ZN4vllm25paged_attention_v2_kernelI14__hip_bfloat16hLi192ELi8ELi128ELNS_18Fp8KVCacheDataTypeE1ELb0ELi512EEEvPfS3_PT_PKS4_PKT0_SA_ifPKiSC_iPKfiiiSE_SE_iiiii
; %bb.0:
	s_load_dwordx2 s[6:7], s[0:1], 0x40
	s_mov_b32 s34, s3
	s_ashr_i32 s35, s3, 31
	s_lshl_b64 s[8:9], s[34:35], 2
	s_waitcnt lgkmcnt(0)
	s_add_u32 s6, s6, s8
	s_addc_u32 s7, s7, s9
	s_load_dword s35, s[6:7], 0x0
	s_lshl_b32 s42, s4, 9
	s_waitcnt lgkmcnt(0)
	s_cmp_ge_i32 s42, s35
	s_cbranch_scc1 .LBB331_389
; %bb.1:
	s_load_dword s5, s[0:1], 0x90
	s_load_dwordx2 s[10:11], s[0:1], 0x30
	s_waitcnt lgkmcnt(0)
	s_abs_i32 s7, s5
	s_abs_i32 s3, s10
	v_cvt_f32_u32_e32 v1, s3
	s_sub_i32 s8, 0, s3
	s_xor_b32 s6, s5, s10
	s_ashr_i32 s6, s6, 31
	v_rcp_iflag_f32_e32 v1, v1
	s_nop 0
	v_mul_f32_e32 v1, 0x4f7ffffe, v1
	v_cvt_u32_f32_e32 v1, v1
	s_nop 0
	v_readfirstlane_b32 s9, v1
	s_mul_i32 s8, s8, s9
	s_mul_hi_u32 s8, s9, s8
	s_add_i32 s9, s9, s8
	s_mul_hi_u32 s8, s7, s9
	s_mul_i32 s9, s8, s3
	s_sub_i32 s7, s7, s9
	s_add_i32 s10, s8, 1
	s_sub_i32 s9, s7, s3
	s_cmp_ge_u32 s7, s3
	s_cselect_b32 s8, s10, s8
	s_cselect_b32 s7, s9, s7
	s_add_i32 s9, s8, 1
	s_cmp_ge_u32 s7, s3
	s_cselect_b32 s3, s9, s8
	s_xor_b32 s3, s3, s6
	s_sub_i32 s10, s3, s6
	s_abs_i32 s26, s10
	v_cvt_f32_u32_e32 v1, s26
	s_load_dwordx2 s[6:7], s[0:1], 0x50
	s_sub_i32 s3, 0, s26
	s_abs_i32 s27, s2
	v_rcp_iflag_f32_e32 v1, v1
	s_nop 0
	v_mul_f32_e32 v1, 0x4f7ffffe, v1
	v_cvt_u32_f32_e32 v1, v1
	s_nop 0
	v_readfirstlane_b32 s8, v1
	s_mul_i32 s3, s3, s8
	s_mul_hi_u32 s3, s8, s3
	s_add_i32 s8, s8, s3
	s_waitcnt lgkmcnt(0)
	s_cmp_eq_u64 s[6:7], 0
	s_mov_b32 s3, 0
	s_cbranch_scc1 .LBB331_3
; %bb.2:
	s_ashr_i32 s3, s2, 31
	s_lshl_b64 s[12:13], s[2:3], 2
	s_add_u32 s6, s6, s12
	s_addc_u32 s7, s7, s13
	s_load_dword s3, s[6:7], 0x0
.LBB331_3:
	s_load_dwordx4 s[20:23], s[0:1], 0x0
	s_load_dwordx2 s[28:29], s[0:1], 0x10
	s_load_dwordx4 s[12:15], s[0:1], 0x20
	s_load_dwordx2 s[36:37], s[0:1], 0x38
	s_load_dword s33, s[0:1], 0x98
	s_load_dwordx4 s[16:19], s[0:1], 0x58
	s_movk_i32 s6, 0xc0
	s_mul_i32 s30, s2, 0xc0
	s_mul_hi_u32 s38, s27, s8
	v_and_b32_e32 v2, 7, v0
	s_ashr_i32 s31, s30, 31
	v_cmp_gt_u32_e32 vcc, s6, v0
	s_and_saveexec_b64 s[6:7], vcc
	s_cbranch_execz .LBB331_6
; %bb.4:
	s_load_dwordx2 s[8:9], s[0:1], 0x18
	s_waitcnt lgkmcnt(0)
	s_mul_i32 s24, s34, s16
	s_ashr_i32 s25, s24, 31
	s_lshl_b64 s[24:25], s[24:25], 1
	s_lshl_b64 s[40:41], s[30:31], 1
	s_add_u32 s16, s24, s40
	s_addc_u32 s19, s25, s41
	v_lshrrev_b32_e32 v4, 3, v0
	v_lshlrev_b32_e32 v5, 1, v2
	s_add_u32 s8, s8, s16
	v_add_u32_e32 v1, -16, v4
	v_lshlrev_b32_e32 v3, 1, v4
	v_lshl_or_b32 v4, v4, 4, v5
	v_mov_b32_e32 v5, 0
	s_addc_u32 s9, s9, s19
	v_mad_u32_u24 v3, v2, 48, v3
	v_lshl_add_u64 v[4:5], s[8:9], 0, v[4:5]
	s_mov_b64 s[8:9], 0
	s_mov_b64 s[24:25], 0x100
.LBB331_5:                              ; =>This Inner Loop Header: Depth=1
	global_load_ushort v6, v[4:5], off
	v_add_u32_e32 v1, 16, v1
	v_cmp_lt_u32_e32 vcc, 7, v1
	v_lshl_add_u64 v[4:5], v[4:5], 0, s[24:25]
	s_or_b64 s[8:9], vcc, s[8:9]
	s_waitcnt vmcnt(0)
	ds_write_b16 v3, v6
	v_add_u32_e32 v3, 32, v3
	s_andn2_b64 exec, exec, s[8:9]
	s_cbranch_execnz .LBB331_5
.LBB331_6:
	s_or_b64 exec, exec, s[6:7]
	s_add_i32 s8, s35, 7
	s_ashr_i32 s9, s8, 31
	s_ashr_i32 s6, s2, 31
	;; [unrolled: 1-line block ×3, first 2 shown]
	s_lshr_b32 s9, s9, 29
	s_add_i32 s8, s8, s9
	s_lshl_b32 s10, s4, 6
	s_xor_b32 s6, s6, s7
	s_mul_i32 s7, s38, s26
	s_ashr_i32 s31, s8, 3
	s_add_i32 s8, s10, 64
	s_sub_i32 s7, s27, s7
	s_waitcnt lgkmcnt(0)
	s_min_i32 s16, s8, s31
	s_add_i32 s8, s38, 1
	s_sub_i32 s9, s7, s26
	s_cmp_ge_u32 s7, s26
	s_cselect_b32 s8, s8, s38
	s_cselect_b32 s7, s9, s7
	s_add_i32 s9, s8, 1
	s_cmp_ge_u32 s7, s26
	s_cselect_b32 s7, s9, s8
	s_load_dword s8, s[0:1], 0x48
	v_lshrrev_b32_e32 v18, 6, v0
	s_xor_b32 s7, s7, s6
	v_or_b32_e32 v12, s10, v18
	s_sub_i32 s43, s7, s6
	s_waitcnt lgkmcnt(0)
	s_mul_i32 s38, s34, s8
	s_ashr_i32 s39, s38, 31
	v_cmp_gt_i32_e64 s[8:9], s16, v12
	v_cmp_le_i32_e32 vcc, s16, v12
	v_mbcnt_lo_u32_b32 v6, -1, 0
	s_barrier
	s_waitcnt lgkmcnt(0)
                                        ; implicit-def: $sgpr19
                                        ; implicit-def: $vgpr10
                                        ; implicit-def: $vgpr11
	s_and_saveexec_b64 s[6:7], vcc
	s_xor_b64 s[6:7], exec, s[6:7]
; %bb.7:
	v_mbcnt_hi_u32_b32 v10, -1, v6
	v_and_b32_e32 v1, 64, v10
	v_add_u32_e32 v11, 64, v1
	s_mov_b32 s19, 0xff7fffff
                                        ; implicit-def: $vgpr2
                                        ; implicit-def: $vgpr6
; %bb.8:
	s_or_saveexec_b64 s[40:41], s[6:7]
	s_load_dwordx4 s[24:27], s[0:1], 0x68
	v_mov_b32_e32 v39, s19
	s_mul_i32 s43, s43, s18
	v_ashrrev_i32_e32 v13, 31, v12
	v_lshlrev_b32_e32 v19, 3, v18
	s_xor_b64 exec, exec, s[40:41]
	s_cbranch_execz .LBB331_110
; %bb.9:
	v_mul_u32_u24_e32 v1, 48, v2
	ds_read_b128 v[8:11], v1
	s_ashr_i32 s1, s43, 31
	v_bfe_u32 v7, v0, 3, 3
	s_add_u32 s0, s12, s43
	v_mov_b32_e32 v3, 0
	s_waitcnt lgkmcnt(0)
	v_lshlrev_b32_e32 v17, 16, v10
	v_and_b32_e32 v20, 0xffff0000, v10
	v_mbcnt_hi_u32_b32 v10, -1, v6
	v_and_b32_e32 v6, 64, v10
	v_lshlrev_b32_e32 v21, 16, v11
	v_and_b32_e32 v22, 0xffff0000, v11
	v_add_u32_e32 v11, 64, v6
	v_xor_b32_e32 v6, 4, v10
	v_cmp_lt_i32_e32 vcc, v6, v11
	ds_read_b128 v[28:31], v1 offset:16
	ds_read_b128 v[36:39], v1 offset:32
	v_cndmask_b32_e32 v6, v10, v6, vcc
	v_lshlrev_b32_e32 v40, 2, v6
	v_xor_b32_e32 v6, 2, v10
	v_cmp_lt_i32_e32 vcc, v6, v11
	s_addc_u32 s1, s13, s1
	v_lshlrev_b32_e32 v4, 4, v7
	v_cndmask_b32_e32 v6, v10, v6, vcc
	v_lshlrev_b32_e32 v41, 2, v6
	v_xor_b32_e32 v6, 1, v10
	v_mov_b32_e32 v5, v3
	v_cmp_lt_i32_e32 vcc, v6, v11
	s_load_dword s24, s[24:25], 0x0
	v_lshl_add_u64 v[4:5], s[0:1], 0, v[4:5]
	v_cndmask_b32_e32 v6, v10, v6, vcc
	s_sub_i32 s25, 1, s35
	s_lshl_b64 s[0:1], s[38:39], 2
	v_lshlrev_b32_e32 v42, 2, v6
	v_lshlrev_b32_e32 v6, 2, v7
	s_add_u32 s0, s36, s0
	v_lshl_or_b32 v6, v18, 5, v6
	s_addc_u32 s1, s37, s1
	s_mov_b32 s44, s17
	v_lshlrev_b32_e32 v1, 16, v8
	v_and_b32_e32 v14, 0xffff0000, v8
	v_lshlrev_b32_e32 v15, 16, v9
	v_and_b32_e32 v16, 0xffff0000, v9
	s_waitcnt lgkmcnt(0)
	v_lshlrev_b32_e32 v23, 16, v28
	v_and_b32_e32 v24, 0xffff0000, v28
	v_lshlrev_b32_e32 v25, 16, v29
	v_and_b32_e32 v26, 0xffff0000, v29
	;; [unrolled: 2-line block ×8, first 2 shown]
	v_cmp_eq_u32_e32 vcc, 0, v2
	v_cmp_neq_f32_e64 s[6:7], s3, 0
	v_add3_u32 v43, s42, v19, v7
	v_add_u32_e32 v44, 0x190, v6
	v_lshl_add_u64 v[6:7], v[12:13], 2, s[0:1]
	s_mov_b64 s[12:13], 0
	v_mov_b32_e32 v39, 0xff7fffff
	s_mov_b32 s45, 0x7f800000
	s_movk_i32 s46, 0x7fff
	v_mov_b32_e32 v45, v12
	s_branch .LBB331_11
.LBB331_10:                             ;   in Loop: Header=BB331_11 Depth=1
	s_or_b64 exec, exec, s[18:19]
	v_add_u32_e32 v45, 2, v45
	v_cmp_le_i32_e64 s[0:1], s16, v45
	v_add_u32_e32 v43, 16, v43
	v_add_u32_e32 v44, 64, v44
	s_or_b64 s[12:13], s[0:1], s[12:13]
	v_lshl_add_u64 v[6:7], v[6:7], 0, 8
	s_andn2_b64 exec, exec, s[12:13]
	s_cbranch_execz .LBB331_109
.LBB331_11:                             ; =>This Inner Loop Header: Depth=1
	global_load_dword v8, v[6:7], off
	s_waitcnt vmcnt(0) lgkmcnt(0)
	v_mad_i64_i32 v[8:9], s[0:1], v8, s44, v[4:5]
	v_lshl_add_u64 v[8:9], v[8:9], 0, v[2:3]
	global_load_ubyte v46, v[8:9], off
	s_waitcnt vmcnt(0)
	v_cvt_f32_fp8_sdwa v46, v46 src0_sel:BYTE_0
	s_nop 0
	v_mul_f32_e32 v47, s24, v46
	v_and_b32_e32 v46, 0x7f800000, v47
	v_cmp_ne_u32_e64 s[0:1], s45, v46
                                        ; implicit-def: $vgpr46
	s_and_saveexec_b64 s[18:19], s[0:1]
	s_xor_b64 s[0:1], exec, s[18:19]
; %bb.12:                               ;   in Loop: Header=BB331_11 Depth=1
	v_bfe_u32 v46, v47, 16, 1
	v_add3_u32 v46, v47, v46, s46
                                        ; implicit-def: $vgpr47
; %bb.13:                               ;   in Loop: Header=BB331_11 Depth=1
	s_andn2_saveexec_b64 s[18:19], s[0:1]
; %bb.14:                               ;   in Loop: Header=BB331_11 Depth=1
	v_or_b32_e32 v46, 0x10000, v47
	v_cmp_eq_u32_sdwa s[0:1], v47, v3 src0_sel:WORD_0 src1_sel:DWORD
	s_nop 1
	v_cndmask_b32_e64 v46, v46, v47, s[0:1]
; %bb.15:                               ;   in Loop: Header=BB331_11 Depth=1
	s_or_b64 exec, exec, s[18:19]
	global_load_ubyte v47, v[8:9], off offset:8
	s_waitcnt vmcnt(0)
	v_cvt_f32_fp8_sdwa v47, v47 src0_sel:BYTE_0
	s_nop 0
	v_mul_f32_e32 v48, s24, v47
	v_and_b32_e32 v47, 0x7f800000, v48
	v_cmp_ne_u32_e64 s[0:1], s45, v47
                                        ; implicit-def: $vgpr47
	s_and_saveexec_b64 s[18:19], s[0:1]
	s_xor_b64 s[0:1], exec, s[18:19]
; %bb.16:                               ;   in Loop: Header=BB331_11 Depth=1
	v_bfe_u32 v47, v48, 16, 1
	v_add3_u32 v47, v48, v47, s46
                                        ; implicit-def: $vgpr48
; %bb.17:                               ;   in Loop: Header=BB331_11 Depth=1
	s_andn2_saveexec_b64 s[18:19], s[0:1]
; %bb.18:                               ;   in Loop: Header=BB331_11 Depth=1
	v_or_b32_e32 v47, 0x10000, v48
	v_cmp_eq_u32_sdwa s[0:1], v48, v3 src0_sel:WORD_0 src1_sel:DWORD
	s_nop 1
	v_cndmask_b32_e64 v47, v47, v48, s[0:1]
; %bb.19:                               ;   in Loop: Header=BB331_11 Depth=1
	s_or_b64 exec, exec, s[18:19]
	global_load_ubyte v48, v[8:9], off offset:128
	s_waitcnt vmcnt(0)
	v_cvt_f32_fp8_sdwa v48, v48 src0_sel:BYTE_0
	s_nop 0
	v_mul_f32_e32 v49, s24, v48
	v_and_b32_e32 v48, 0x7f800000, v49
	v_cmp_ne_u32_e64 s[0:1], s45, v48
                                        ; implicit-def: $vgpr48
	s_and_saveexec_b64 s[18:19], s[0:1]
	s_xor_b64 s[0:1], exec, s[18:19]
; %bb.20:                               ;   in Loop: Header=BB331_11 Depth=1
	v_bfe_u32 v48, v49, 16, 1
	v_add3_u32 v48, v49, v48, s46
                                        ; implicit-def: $vgpr49
; %bb.21:                               ;   in Loop: Header=BB331_11 Depth=1
	s_andn2_saveexec_b64 s[18:19], s[0:1]
; %bb.22:                               ;   in Loop: Header=BB331_11 Depth=1
	v_or_b32_e32 v48, 0x10000, v49
	v_cmp_eq_u32_sdwa s[0:1], v49, v3 src0_sel:WORD_0 src1_sel:DWORD
	s_nop 1
	v_cndmask_b32_e64 v48, v48, v49, s[0:1]
; %bb.23:                               ;   in Loop: Header=BB331_11 Depth=1
	s_or_b64 exec, exec, s[18:19]
	global_load_ubyte v49, v[8:9], off offset:136
	s_waitcnt vmcnt(0)
	v_cvt_f32_fp8_sdwa v49, v49 src0_sel:BYTE_0
	s_nop 0
	v_mul_f32_e32 v50, s24, v49
	v_and_b32_e32 v49, 0x7f800000, v50
	v_cmp_ne_u32_e64 s[0:1], s45, v49
                                        ; implicit-def: $vgpr49
	s_and_saveexec_b64 s[18:19], s[0:1]
	s_xor_b64 s[0:1], exec, s[18:19]
; %bb.24:                               ;   in Loop: Header=BB331_11 Depth=1
	v_bfe_u32 v49, v50, 16, 1
	v_add3_u32 v49, v50, v49, s46
                                        ; implicit-def: $vgpr50
; %bb.25:                               ;   in Loop: Header=BB331_11 Depth=1
	s_andn2_saveexec_b64 s[18:19], s[0:1]
; %bb.26:                               ;   in Loop: Header=BB331_11 Depth=1
	v_or_b32_e32 v49, 0x10000, v50
	v_cmp_eq_u32_sdwa s[0:1], v50, v3 src0_sel:WORD_0 src1_sel:DWORD
	s_nop 1
	v_cndmask_b32_e64 v49, v49, v50, s[0:1]
; %bb.27:                               ;   in Loop: Header=BB331_11 Depth=1
	s_or_b64 exec, exec, s[18:19]
	global_load_ubyte v50, v[8:9], off offset:256
	s_waitcnt vmcnt(0)
	v_cvt_f32_fp8_sdwa v50, v50 src0_sel:BYTE_0
	s_nop 0
	v_mul_f32_e32 v51, s24, v50
	v_and_b32_e32 v50, 0x7f800000, v51
	v_cmp_ne_u32_e64 s[0:1], s45, v50
                                        ; implicit-def: $vgpr50
	s_and_saveexec_b64 s[18:19], s[0:1]
	s_xor_b64 s[0:1], exec, s[18:19]
; %bb.28:                               ;   in Loop: Header=BB331_11 Depth=1
	v_bfe_u32 v50, v51, 16, 1
	v_add3_u32 v50, v51, v50, s46
                                        ; implicit-def: $vgpr51
; %bb.29:                               ;   in Loop: Header=BB331_11 Depth=1
	s_andn2_saveexec_b64 s[18:19], s[0:1]
; %bb.30:                               ;   in Loop: Header=BB331_11 Depth=1
	v_or_b32_e32 v50, 0x10000, v51
	v_cmp_eq_u32_sdwa s[0:1], v51, v3 src0_sel:WORD_0 src1_sel:DWORD
	s_nop 1
	v_cndmask_b32_e64 v50, v50, v51, s[0:1]
; %bb.31:                               ;   in Loop: Header=BB331_11 Depth=1
	s_or_b64 exec, exec, s[18:19]
	global_load_ubyte v51, v[8:9], off offset:264
	s_waitcnt vmcnt(0)
	v_cvt_f32_fp8_sdwa v51, v51 src0_sel:BYTE_0
	s_nop 0
	v_mul_f32_e32 v52, s24, v51
	v_and_b32_e32 v51, 0x7f800000, v52
	v_cmp_ne_u32_e64 s[0:1], s45, v51
                                        ; implicit-def: $vgpr51
	s_and_saveexec_b64 s[18:19], s[0:1]
	s_xor_b64 s[0:1], exec, s[18:19]
; %bb.32:                               ;   in Loop: Header=BB331_11 Depth=1
	v_bfe_u32 v51, v52, 16, 1
	v_add3_u32 v51, v52, v51, s46
                                        ; implicit-def: $vgpr52
; %bb.33:                               ;   in Loop: Header=BB331_11 Depth=1
	s_andn2_saveexec_b64 s[18:19], s[0:1]
; %bb.34:                               ;   in Loop: Header=BB331_11 Depth=1
	v_or_b32_e32 v51, 0x10000, v52
	v_cmp_eq_u32_sdwa s[0:1], v52, v3 src0_sel:WORD_0 src1_sel:DWORD
	s_nop 1
	v_cndmask_b32_e64 v51, v51, v52, s[0:1]
; %bb.35:                               ;   in Loop: Header=BB331_11 Depth=1
	s_or_b64 exec, exec, s[18:19]
	global_load_ubyte v52, v[8:9], off offset:384
	s_waitcnt vmcnt(0)
	v_cvt_f32_fp8_sdwa v52, v52 src0_sel:BYTE_0
	s_nop 0
	v_mul_f32_e32 v53, s24, v52
	v_and_b32_e32 v52, 0x7f800000, v53
	v_cmp_ne_u32_e64 s[0:1], s45, v52
                                        ; implicit-def: $vgpr52
	s_and_saveexec_b64 s[18:19], s[0:1]
	s_xor_b64 s[0:1], exec, s[18:19]
; %bb.36:                               ;   in Loop: Header=BB331_11 Depth=1
	v_bfe_u32 v52, v53, 16, 1
	v_add3_u32 v52, v53, v52, s46
                                        ; implicit-def: $vgpr53
; %bb.37:                               ;   in Loop: Header=BB331_11 Depth=1
	s_andn2_saveexec_b64 s[18:19], s[0:1]
; %bb.38:                               ;   in Loop: Header=BB331_11 Depth=1
	v_or_b32_e32 v52, 0x10000, v53
	v_cmp_eq_u32_sdwa s[0:1], v53, v3 src0_sel:WORD_0 src1_sel:DWORD
	s_nop 1
	v_cndmask_b32_e64 v52, v52, v53, s[0:1]
; %bb.39:                               ;   in Loop: Header=BB331_11 Depth=1
	s_or_b64 exec, exec, s[18:19]
	global_load_ubyte v53, v[8:9], off offset:392
	s_waitcnt vmcnt(0)
	v_cvt_f32_fp8_sdwa v53, v53 src0_sel:BYTE_0
	s_nop 0
	v_mul_f32_e32 v54, s24, v53
	v_and_b32_e32 v53, 0x7f800000, v54
	v_cmp_ne_u32_e64 s[0:1], s45, v53
                                        ; implicit-def: $vgpr53
	s_and_saveexec_b64 s[18:19], s[0:1]
	s_xor_b64 s[0:1], exec, s[18:19]
; %bb.40:                               ;   in Loop: Header=BB331_11 Depth=1
	v_bfe_u32 v53, v54, 16, 1
	v_add3_u32 v53, v54, v53, s46
                                        ; implicit-def: $vgpr54
; %bb.41:                               ;   in Loop: Header=BB331_11 Depth=1
	s_andn2_saveexec_b64 s[18:19], s[0:1]
; %bb.42:                               ;   in Loop: Header=BB331_11 Depth=1
	v_or_b32_e32 v53, 0x10000, v54
	v_cmp_eq_u32_sdwa s[0:1], v54, v3 src0_sel:WORD_0 src1_sel:DWORD
	s_nop 1
	v_cndmask_b32_e64 v53, v53, v54, s[0:1]
; %bb.43:                               ;   in Loop: Header=BB331_11 Depth=1
	s_or_b64 exec, exec, s[18:19]
	global_load_ubyte v54, v[8:9], off offset:512
	s_waitcnt vmcnt(0)
	v_cvt_f32_fp8_sdwa v54, v54 src0_sel:BYTE_0
	s_nop 0
	v_mul_f32_e32 v55, s24, v54
	v_and_b32_e32 v54, 0x7f800000, v55
	v_cmp_ne_u32_e64 s[0:1], s45, v54
                                        ; implicit-def: $vgpr54
	s_and_saveexec_b64 s[18:19], s[0:1]
	s_xor_b64 s[0:1], exec, s[18:19]
; %bb.44:                               ;   in Loop: Header=BB331_11 Depth=1
	v_bfe_u32 v54, v55, 16, 1
	v_add3_u32 v54, v55, v54, s46
                                        ; implicit-def: $vgpr55
; %bb.45:                               ;   in Loop: Header=BB331_11 Depth=1
	s_andn2_saveexec_b64 s[18:19], s[0:1]
; %bb.46:                               ;   in Loop: Header=BB331_11 Depth=1
	v_or_b32_e32 v54, 0x10000, v55
	v_cmp_eq_u32_sdwa s[0:1], v55, v3 src0_sel:WORD_0 src1_sel:DWORD
	s_nop 1
	v_cndmask_b32_e64 v54, v54, v55, s[0:1]
; %bb.47:                               ;   in Loop: Header=BB331_11 Depth=1
	s_or_b64 exec, exec, s[18:19]
	global_load_ubyte v55, v[8:9], off offset:520
	s_waitcnt vmcnt(0)
	v_cvt_f32_fp8_sdwa v55, v55 src0_sel:BYTE_0
	s_nop 0
	v_mul_f32_e32 v56, s24, v55
	v_and_b32_e32 v55, 0x7f800000, v56
	v_cmp_ne_u32_e64 s[0:1], s45, v55
                                        ; implicit-def: $vgpr55
	s_and_saveexec_b64 s[18:19], s[0:1]
	s_xor_b64 s[0:1], exec, s[18:19]
; %bb.48:                               ;   in Loop: Header=BB331_11 Depth=1
	v_bfe_u32 v55, v56, 16, 1
	v_add3_u32 v55, v56, v55, s46
                                        ; implicit-def: $vgpr56
; %bb.49:                               ;   in Loop: Header=BB331_11 Depth=1
	s_andn2_saveexec_b64 s[18:19], s[0:1]
; %bb.50:                               ;   in Loop: Header=BB331_11 Depth=1
	v_or_b32_e32 v55, 0x10000, v56
	v_cmp_eq_u32_sdwa s[0:1], v56, v3 src0_sel:WORD_0 src1_sel:DWORD
	s_nop 1
	v_cndmask_b32_e64 v55, v55, v56, s[0:1]
; %bb.51:                               ;   in Loop: Header=BB331_11 Depth=1
	s_or_b64 exec, exec, s[18:19]
	global_load_ubyte v56, v[8:9], off offset:640
	s_waitcnt vmcnt(0)
	v_cvt_f32_fp8_sdwa v56, v56 src0_sel:BYTE_0
	s_nop 0
	v_mul_f32_e32 v57, s24, v56
	v_and_b32_e32 v56, 0x7f800000, v57
	v_cmp_ne_u32_e64 s[0:1], s45, v56
                                        ; implicit-def: $vgpr56
	s_and_saveexec_b64 s[18:19], s[0:1]
	s_xor_b64 s[0:1], exec, s[18:19]
; %bb.52:                               ;   in Loop: Header=BB331_11 Depth=1
	v_bfe_u32 v56, v57, 16, 1
	v_add3_u32 v56, v57, v56, s46
                                        ; implicit-def: $vgpr57
; %bb.53:                               ;   in Loop: Header=BB331_11 Depth=1
	s_andn2_saveexec_b64 s[18:19], s[0:1]
; %bb.54:                               ;   in Loop: Header=BB331_11 Depth=1
	v_or_b32_e32 v56, 0x10000, v57
	v_cmp_eq_u32_sdwa s[0:1], v57, v3 src0_sel:WORD_0 src1_sel:DWORD
	s_nop 1
	v_cndmask_b32_e64 v56, v56, v57, s[0:1]
; %bb.55:                               ;   in Loop: Header=BB331_11 Depth=1
	s_or_b64 exec, exec, s[18:19]
	global_load_ubyte v57, v[8:9], off offset:648
	s_waitcnt vmcnt(0)
	v_cvt_f32_fp8_sdwa v57, v57 src0_sel:BYTE_0
	s_nop 0
	v_mul_f32_e32 v58, s24, v57
	v_and_b32_e32 v57, 0x7f800000, v58
	v_cmp_ne_u32_e64 s[0:1], s45, v57
                                        ; implicit-def: $vgpr57
	s_and_saveexec_b64 s[18:19], s[0:1]
	s_xor_b64 s[0:1], exec, s[18:19]
; %bb.56:                               ;   in Loop: Header=BB331_11 Depth=1
	v_bfe_u32 v57, v58, 16, 1
	v_add3_u32 v57, v58, v57, s46
                                        ; implicit-def: $vgpr58
; %bb.57:                               ;   in Loop: Header=BB331_11 Depth=1
	s_andn2_saveexec_b64 s[18:19], s[0:1]
; %bb.58:                               ;   in Loop: Header=BB331_11 Depth=1
	v_or_b32_e32 v57, 0x10000, v58
	v_cmp_eq_u32_sdwa s[0:1], v58, v3 src0_sel:WORD_0 src1_sel:DWORD
	s_nop 1
	v_cndmask_b32_e64 v57, v57, v58, s[0:1]
; %bb.59:                               ;   in Loop: Header=BB331_11 Depth=1
	s_or_b64 exec, exec, s[18:19]
	global_load_ubyte v58, v[8:9], off offset:768
	s_waitcnt vmcnt(0)
	v_cvt_f32_fp8_sdwa v58, v58 src0_sel:BYTE_0
	s_nop 0
	v_mul_f32_e32 v59, s24, v58
	v_and_b32_e32 v58, 0x7f800000, v59
	v_cmp_ne_u32_e64 s[0:1], s45, v58
                                        ; implicit-def: $vgpr58
	s_and_saveexec_b64 s[18:19], s[0:1]
	s_xor_b64 s[0:1], exec, s[18:19]
; %bb.60:                               ;   in Loop: Header=BB331_11 Depth=1
	v_bfe_u32 v58, v59, 16, 1
	v_add3_u32 v58, v59, v58, s46
                                        ; implicit-def: $vgpr59
; %bb.61:                               ;   in Loop: Header=BB331_11 Depth=1
	s_andn2_saveexec_b64 s[18:19], s[0:1]
; %bb.62:                               ;   in Loop: Header=BB331_11 Depth=1
	v_or_b32_e32 v58, 0x10000, v59
	v_cmp_eq_u32_sdwa s[0:1], v59, v3 src0_sel:WORD_0 src1_sel:DWORD
	s_nop 1
	v_cndmask_b32_e64 v58, v58, v59, s[0:1]
; %bb.63:                               ;   in Loop: Header=BB331_11 Depth=1
	s_or_b64 exec, exec, s[18:19]
	global_load_ubyte v59, v[8:9], off offset:776
	s_waitcnt vmcnt(0)
	v_cvt_f32_fp8_sdwa v59, v59 src0_sel:BYTE_0
	s_nop 0
	v_mul_f32_e32 v60, s24, v59
	v_and_b32_e32 v59, 0x7f800000, v60
	v_cmp_ne_u32_e64 s[0:1], s45, v59
                                        ; implicit-def: $vgpr59
	s_and_saveexec_b64 s[18:19], s[0:1]
	s_xor_b64 s[0:1], exec, s[18:19]
; %bb.64:                               ;   in Loop: Header=BB331_11 Depth=1
	v_bfe_u32 v59, v60, 16, 1
	v_add3_u32 v59, v60, v59, s46
                                        ; implicit-def: $vgpr60
; %bb.65:                               ;   in Loop: Header=BB331_11 Depth=1
	s_andn2_saveexec_b64 s[18:19], s[0:1]
; %bb.66:                               ;   in Loop: Header=BB331_11 Depth=1
	v_or_b32_e32 v59, 0x10000, v60
	v_cmp_eq_u32_sdwa s[0:1], v60, v3 src0_sel:WORD_0 src1_sel:DWORD
	s_nop 1
	v_cndmask_b32_e64 v59, v59, v60, s[0:1]
; %bb.67:                               ;   in Loop: Header=BB331_11 Depth=1
	s_or_b64 exec, exec, s[18:19]
	global_load_ubyte v60, v[8:9], off offset:896
	s_waitcnt vmcnt(0)
	v_cvt_f32_fp8_sdwa v60, v60 src0_sel:BYTE_0
	s_nop 0
	v_mul_f32_e32 v61, s24, v60
	v_and_b32_e32 v60, 0x7f800000, v61
	v_cmp_ne_u32_e64 s[0:1], s45, v60
                                        ; implicit-def: $vgpr60
	s_and_saveexec_b64 s[18:19], s[0:1]
	s_xor_b64 s[0:1], exec, s[18:19]
; %bb.68:                               ;   in Loop: Header=BB331_11 Depth=1
	v_bfe_u32 v60, v61, 16, 1
	v_add3_u32 v60, v61, v60, s46
                                        ; implicit-def: $vgpr61
; %bb.69:                               ;   in Loop: Header=BB331_11 Depth=1
	s_andn2_saveexec_b64 s[18:19], s[0:1]
; %bb.70:                               ;   in Loop: Header=BB331_11 Depth=1
	v_or_b32_e32 v60, 0x10000, v61
	v_cmp_eq_u32_sdwa s[0:1], v61, v3 src0_sel:WORD_0 src1_sel:DWORD
	s_nop 1
	v_cndmask_b32_e64 v60, v60, v61, s[0:1]
; %bb.71:                               ;   in Loop: Header=BB331_11 Depth=1
	s_or_b64 exec, exec, s[18:19]
	global_load_ubyte v61, v[8:9], off offset:904
	s_waitcnt vmcnt(0)
	v_cvt_f32_fp8_sdwa v61, v61 src0_sel:BYTE_0
	s_nop 0
	v_mul_f32_e32 v62, s24, v61
	v_and_b32_e32 v61, 0x7f800000, v62
	v_cmp_ne_u32_e64 s[0:1], s45, v61
                                        ; implicit-def: $vgpr61
	s_and_saveexec_b64 s[18:19], s[0:1]
	s_xor_b64 s[0:1], exec, s[18:19]
; %bb.72:                               ;   in Loop: Header=BB331_11 Depth=1
	v_bfe_u32 v61, v62, 16, 1
	v_add3_u32 v61, v62, v61, s46
                                        ; implicit-def: $vgpr62
; %bb.73:                               ;   in Loop: Header=BB331_11 Depth=1
	s_andn2_saveexec_b64 s[18:19], s[0:1]
; %bb.74:                               ;   in Loop: Header=BB331_11 Depth=1
	v_or_b32_e32 v61, 0x10000, v62
	v_cmp_eq_u32_sdwa s[0:1], v62, v3 src0_sel:WORD_0 src1_sel:DWORD
	s_nop 1
	v_cndmask_b32_e64 v61, v61, v62, s[0:1]
; %bb.75:                               ;   in Loop: Header=BB331_11 Depth=1
	s_or_b64 exec, exec, s[18:19]
	global_load_ubyte v62, v[8:9], off offset:1024
	s_waitcnt vmcnt(0)
	v_cvt_f32_fp8_sdwa v62, v62 src0_sel:BYTE_0
	s_nop 0
	v_mul_f32_e32 v63, s24, v62
	v_and_b32_e32 v62, 0x7f800000, v63
	v_cmp_ne_u32_e64 s[0:1], s45, v62
                                        ; implicit-def: $vgpr62
	s_and_saveexec_b64 s[18:19], s[0:1]
	s_xor_b64 s[0:1], exec, s[18:19]
; %bb.76:                               ;   in Loop: Header=BB331_11 Depth=1
	v_bfe_u32 v62, v63, 16, 1
	v_add3_u32 v62, v63, v62, s46
                                        ; implicit-def: $vgpr63
; %bb.77:                               ;   in Loop: Header=BB331_11 Depth=1
	s_andn2_saveexec_b64 s[18:19], s[0:1]
; %bb.78:                               ;   in Loop: Header=BB331_11 Depth=1
	v_or_b32_e32 v62, 0x10000, v63
	v_cmp_eq_u32_sdwa s[0:1], v63, v3 src0_sel:WORD_0 src1_sel:DWORD
	s_nop 1
	v_cndmask_b32_e64 v62, v62, v63, s[0:1]
; %bb.79:                               ;   in Loop: Header=BB331_11 Depth=1
	s_or_b64 exec, exec, s[18:19]
	global_load_ubyte v63, v[8:9], off offset:1032
	s_waitcnt vmcnt(0)
	v_cvt_f32_fp8_sdwa v63, v63 src0_sel:BYTE_0
	s_nop 0
	v_mul_f32_e32 v64, s24, v63
	v_and_b32_e32 v63, 0x7f800000, v64
	v_cmp_ne_u32_e64 s[0:1], s45, v63
                                        ; implicit-def: $vgpr63
	s_and_saveexec_b64 s[18:19], s[0:1]
	s_xor_b64 s[0:1], exec, s[18:19]
; %bb.80:                               ;   in Loop: Header=BB331_11 Depth=1
	v_bfe_u32 v63, v64, 16, 1
	v_add3_u32 v63, v64, v63, s46
                                        ; implicit-def: $vgpr64
; %bb.81:                               ;   in Loop: Header=BB331_11 Depth=1
	s_andn2_saveexec_b64 s[18:19], s[0:1]
; %bb.82:                               ;   in Loop: Header=BB331_11 Depth=1
	v_or_b32_e32 v63, 0x10000, v64
	v_cmp_eq_u32_sdwa s[0:1], v64, v3 src0_sel:WORD_0 src1_sel:DWORD
	s_nop 1
	v_cndmask_b32_e64 v63, v63, v64, s[0:1]
; %bb.83:                               ;   in Loop: Header=BB331_11 Depth=1
	s_or_b64 exec, exec, s[18:19]
	global_load_ubyte v64, v[8:9], off offset:1152
	s_waitcnt vmcnt(0)
	v_cvt_f32_fp8_sdwa v64, v64 src0_sel:BYTE_0
	s_nop 0
	v_mul_f32_e32 v65, s24, v64
	v_and_b32_e32 v64, 0x7f800000, v65
	v_cmp_ne_u32_e64 s[0:1], s45, v64
                                        ; implicit-def: $vgpr64
	s_and_saveexec_b64 s[18:19], s[0:1]
	s_xor_b64 s[0:1], exec, s[18:19]
; %bb.84:                               ;   in Loop: Header=BB331_11 Depth=1
	v_bfe_u32 v64, v65, 16, 1
	v_add3_u32 v64, v65, v64, s46
                                        ; implicit-def: $vgpr65
; %bb.85:                               ;   in Loop: Header=BB331_11 Depth=1
	s_andn2_saveexec_b64 s[18:19], s[0:1]
; %bb.86:                               ;   in Loop: Header=BB331_11 Depth=1
	v_or_b32_e32 v64, 0x10000, v65
	v_cmp_eq_u32_sdwa s[0:1], v65, v3 src0_sel:WORD_0 src1_sel:DWORD
	s_nop 1
	v_cndmask_b32_e64 v64, v64, v65, s[0:1]
; %bb.87:                               ;   in Loop: Header=BB331_11 Depth=1
	s_or_b64 exec, exec, s[18:19]
	global_load_ubyte v65, v[8:9], off offset:1160
	s_waitcnt vmcnt(0)
	v_cvt_f32_fp8_sdwa v65, v65 src0_sel:BYTE_0
	s_nop 0
	v_mul_f32_e32 v66, s24, v65
	v_and_b32_e32 v65, 0x7f800000, v66
	v_cmp_ne_u32_e64 s[0:1], s45, v65
                                        ; implicit-def: $vgpr65
	s_and_saveexec_b64 s[18:19], s[0:1]
	s_xor_b64 s[0:1], exec, s[18:19]
; %bb.88:                               ;   in Loop: Header=BB331_11 Depth=1
	v_bfe_u32 v65, v66, 16, 1
	v_add3_u32 v65, v66, v65, s46
                                        ; implicit-def: $vgpr66
; %bb.89:                               ;   in Loop: Header=BB331_11 Depth=1
	s_andn2_saveexec_b64 s[18:19], s[0:1]
; %bb.90:                               ;   in Loop: Header=BB331_11 Depth=1
	v_or_b32_e32 v65, 0x10000, v66
	v_cmp_eq_u32_sdwa s[0:1], v66, v3 src0_sel:WORD_0 src1_sel:DWORD
	s_nop 1
	v_cndmask_b32_e64 v65, v65, v66, s[0:1]
; %bb.91:                               ;   in Loop: Header=BB331_11 Depth=1
	s_or_b64 exec, exec, s[18:19]
	global_load_ubyte v66, v[8:9], off offset:1280
	s_waitcnt vmcnt(0)
	v_cvt_f32_fp8_sdwa v66, v66 src0_sel:BYTE_0
	s_nop 0
	v_mul_f32_e32 v67, s24, v66
	v_and_b32_e32 v66, 0x7f800000, v67
	v_cmp_ne_u32_e64 s[0:1], s45, v66
                                        ; implicit-def: $vgpr66
	s_and_saveexec_b64 s[18:19], s[0:1]
	s_xor_b64 s[0:1], exec, s[18:19]
; %bb.92:                               ;   in Loop: Header=BB331_11 Depth=1
	v_bfe_u32 v66, v67, 16, 1
	v_add3_u32 v66, v67, v66, s46
                                        ; implicit-def: $vgpr67
; %bb.93:                               ;   in Loop: Header=BB331_11 Depth=1
	s_andn2_saveexec_b64 s[18:19], s[0:1]
; %bb.94:                               ;   in Loop: Header=BB331_11 Depth=1
	v_or_b32_e32 v66, 0x10000, v67
	v_cmp_eq_u32_sdwa s[0:1], v67, v3 src0_sel:WORD_0 src1_sel:DWORD
	s_nop 1
	v_cndmask_b32_e64 v66, v66, v67, s[0:1]
; %bb.95:                               ;   in Loop: Header=BB331_11 Depth=1
	s_or_b64 exec, exec, s[18:19]
	global_load_ubyte v67, v[8:9], off offset:1288
	s_waitcnt vmcnt(0)
	v_cvt_f32_fp8_sdwa v67, v67 src0_sel:BYTE_0
	s_nop 0
	v_mul_f32_e32 v68, s24, v67
	v_and_b32_e32 v67, 0x7f800000, v68
	v_cmp_ne_u32_e64 s[0:1], s45, v67
                                        ; implicit-def: $vgpr67
	s_and_saveexec_b64 s[18:19], s[0:1]
	s_xor_b64 s[0:1], exec, s[18:19]
; %bb.96:                               ;   in Loop: Header=BB331_11 Depth=1
	v_bfe_u32 v67, v68, 16, 1
	v_add3_u32 v67, v68, v67, s46
                                        ; implicit-def: $vgpr68
; %bb.97:                               ;   in Loop: Header=BB331_11 Depth=1
	s_andn2_saveexec_b64 s[18:19], s[0:1]
; %bb.98:                               ;   in Loop: Header=BB331_11 Depth=1
	v_or_b32_e32 v67, 0x10000, v68
	v_cmp_eq_u32_sdwa s[0:1], v68, v3 src0_sel:WORD_0 src1_sel:DWORD
	s_nop 1
	v_cndmask_b32_e64 v67, v67, v68, s[0:1]
; %bb.99:                               ;   in Loop: Header=BB331_11 Depth=1
	s_or_b64 exec, exec, s[18:19]
	global_load_ubyte v68, v[8:9], off offset:1408
	s_waitcnt vmcnt(0)
	v_cvt_f32_fp8_sdwa v68, v68 src0_sel:BYTE_0
	s_nop 0
	v_mul_f32_e32 v69, s24, v68
	v_and_b32_e32 v68, 0x7f800000, v69
	v_cmp_ne_u32_e64 s[0:1], s45, v68
                                        ; implicit-def: $vgpr68
	s_and_saveexec_b64 s[18:19], s[0:1]
	s_xor_b64 s[0:1], exec, s[18:19]
; %bb.100:                              ;   in Loop: Header=BB331_11 Depth=1
	v_bfe_u32 v68, v69, 16, 1
	v_add3_u32 v68, v69, v68, s46
                                        ; implicit-def: $vgpr69
; %bb.101:                              ;   in Loop: Header=BB331_11 Depth=1
	s_andn2_saveexec_b64 s[18:19], s[0:1]
; %bb.102:                              ;   in Loop: Header=BB331_11 Depth=1
	v_or_b32_e32 v68, 0x10000, v69
	v_cmp_eq_u32_sdwa s[0:1], v69, v3 src0_sel:WORD_0 src1_sel:DWORD
	s_nop 1
	v_cndmask_b32_e64 v68, v68, v69, s[0:1]
; %bb.103:                              ;   in Loop: Header=BB331_11 Depth=1
	s_or_b64 exec, exec, s[18:19]
	global_load_ubyte v8, v[8:9], off offset:1416
	s_waitcnt vmcnt(0)
	v_cvt_f32_fp8_sdwa v8, v8 src0_sel:BYTE_0
	s_nop 0
	v_mul_f32_e32 v9, s24, v8
	v_and_b32_e32 v8, 0x7f800000, v9
	v_cmp_ne_u32_e64 s[0:1], s45, v8
                                        ; implicit-def: $vgpr8
	s_and_saveexec_b64 s[18:19], s[0:1]
	s_xor_b64 s[0:1], exec, s[18:19]
; %bb.104:                              ;   in Loop: Header=BB331_11 Depth=1
	v_bfe_u32 v8, v9, 16, 1
	v_add3_u32 v8, v9, v8, s46
                                        ; implicit-def: $vgpr9
; %bb.105:                              ;   in Loop: Header=BB331_11 Depth=1
	s_andn2_saveexec_b64 s[18:19], s[0:1]
; %bb.106:                              ;   in Loop: Header=BB331_11 Depth=1
	v_or_b32_e32 v8, 0x10000, v9
	v_cmp_eq_u32_sdwa s[0:1], v9, v3 src0_sel:WORD_0 src1_sel:DWORD
	s_nop 1
	v_cndmask_b32_e64 v8, v8, v9, s[0:1]
; %bb.107:                              ;   in Loop: Header=BB331_11 Depth=1
	s_or_b64 exec, exec, s[18:19]
	v_and_b32_e32 v47, 0xffff0000, v47
	v_and_b32_e32 v46, 0xffff0000, v46
	v_mul_f32_e32 v47, v14, v47
	v_and_b32_e32 v48, 0xffff0000, v48
	v_fmac_f32_e32 v47, v1, v46
	v_and_b32_e32 v49, 0xffff0000, v49
	v_fmac_f32_e32 v47, v15, v48
	;; [unrolled: 2-line block ×22, first 2 shown]
	v_fmac_f32_e32 v47, v38, v8
	ds_bpermute_b32 v8, v40, v47
	s_waitcnt lgkmcnt(0)
	v_add_f32_e32 v8, v47, v8
	ds_bpermute_b32 v9, v41, v8
	s_waitcnt lgkmcnt(0)
	v_add_f32_e32 v8, v8, v9
	ds_bpermute_b32 v9, v42, v8
	s_and_saveexec_b64 s[18:19], vcc
	s_cbranch_execz .LBB331_10
; %bb.108:                              ;   in Loop: Header=BB331_11 Depth=1
	v_add_u32_e32 v46, s25, v43
	v_cvt_f32_i32_e32 v46, v46
	s_waitcnt lgkmcnt(0)
	v_add_f32_e32 v8, v8, v9
	v_cmp_gt_i32_e64 s[0:1], s35, v43
	v_max_f32_e32 v9, v39, v39
	v_mul_f32_e32 v46, s3, v46
	v_cndmask_b32_e64 v46, 0, v46, s[6:7]
	v_fmac_f32_e32 v46, s11, v8
	v_cndmask_b32_e64 v8, 0, v46, s[0:1]
	ds_write_b32 v44, v8
	v_max_f32_e32 v8, v9, v46
	v_cndmask_b32_e64 v39, v39, v8, s[0:1]
	s_branch .LBB331_10
.LBB331_109:
	s_or_b64 exec, exec, s[12:13]
.LBB331_110:
	s_or_b64 exec, exec, s[40:41]
	v_xor_b32_e32 v1, 32, v10
	v_cmp_lt_i32_e32 vcc, v1, v11
	v_xor_b32_e32 v4, 16, v10
	v_max_f32_e32 v2, v39, v39
	v_cndmask_b32_e32 v1, v10, v1, vcc
	v_lshlrev_b32_e32 v3, 2, v1
	ds_bpermute_b32 v1, v3, v39
	v_cmp_lt_i32_e32 vcc, v4, v11
	v_xor_b32_e32 v5, 8, v10
	s_waitcnt lgkmcnt(0)
	v_max_f32_e32 v1, v1, v1
	v_max_f32_e32 v1, v2, v1
	v_cndmask_b32_e32 v2, v10, v4, vcc
	v_lshlrev_b32_e32 v6, 2, v2
	ds_bpermute_b32 v2, v6, v1
	v_cmp_lt_i32_e32 vcc, v5, v11
	s_waitcnt lgkmcnt(0)
	v_max_f32_e32 v2, v2, v2
	v_max_f32_e32 v4, v1, v2
	v_cndmask_b32_e32 v1, v10, v5, vcc
	v_lshlrev_b32_e32 v7, 2, v1
	ds_bpermute_b32 v5, v7, v4
	v_and_b32_e32 v1, 63, v0
	v_cmp_eq_u32_e32 vcc, 0, v1
	v_lshlrev_b32_e32 v2, 2, v18
	s_and_saveexec_b64 s[0:1], vcc
	s_cbranch_execz .LBB331_112
; %bb.111:
	s_waitcnt lgkmcnt(0)
	v_max_f32_e32 v5, v5, v5
	v_max_f32_e32 v4, v4, v4
	;; [unrolled: 1-line block ×3, first 2 shown]
	ds_write_b32 v2, v4 offset:384
.LBB331_112:
	s_or_b64 exec, exec, s[0:1]
	v_cmp_gt_u32_e64 s[0:1], 2, v1
	v_mov_b32_e32 v4, 0xff7fffff
	s_waitcnt lgkmcnt(0)
	v_lshlrev_b32_e32 v5, 2, v1
	s_barrier
	s_and_saveexec_b64 s[6:7], s[0:1]
	s_cbranch_execz .LBB331_114
; %bb.113:
	ds_read_b32 v4, v5 offset:384
.LBB331_114:
	s_or_b64 exec, exec, s[6:7]
	v_xor_b32_e32 v8, 1, v10
	v_cmp_lt_i32_e64 s[6:7], v8, v11
	s_sub_i32 s3, s16, s10
	s_lshl_b32 s3, s3, 3
	v_cndmask_b32_e64 v8, v10, v8, s[6:7]
	v_lshlrev_b32_e32 v8, 2, v8
	s_waitcnt lgkmcnt(0)
	ds_bpermute_b32 v9, v8, v4
	v_max_f32_e32 v4, v4, v4
	s_add_i32 s3, s3, s42
	s_min_i32 s24, s3, s35
	s_sub_i32 s3, s24, s42
	s_waitcnt lgkmcnt(0)
	v_max_f32_e32 v9, v9, v9
	v_max_f32_e32 v4, v4, v9
	v_lshlrev_b32_e32 v9, 2, v10
	v_and_b32_e32 v9, 0xffffff00, v9
	ds_bpermute_b32 v4, v9, v4
	v_cmp_gt_i32_e64 s[6:7], s3, v0
	v_mov_b32_e32 v14, 0
	s_and_saveexec_b64 s[12:13], s[6:7]
	s_cbranch_execz .LBB331_118
; %bb.115:
	v_mov_b32_e32 v14, 0x190
	v_lshl_add_u32 v15, v0, 2, v14
	s_mov_b64 s[18:19], 0
	v_mov_b32_e32 v14, 0
	v_mov_b32_e32 v16, v0
.LBB331_116:                            ; =>This Inner Loop Header: Depth=1
	ds_read_b32 v17, v15
	v_add_u32_e32 v16, 0x80, v16
	v_cmp_le_i32_e64 s[10:11], s3, v16
	s_or_b64 s[18:19], s[10:11], s[18:19]
	s_waitcnt lgkmcnt(0)
	v_sub_f32_e32 v17, v17, v4
	v_mul_f32_e32 v17, 0x3fb8aa3b, v17
	v_exp_f32_e32 v17, v17
	ds_write_b32 v15, v17
	v_add_f32_e32 v14, v14, v17
	v_add_u32_e32 v15, 0x200, v15
	s_andn2_b64 exec, exec, s[18:19]
	s_cbranch_execnz .LBB331_116
; %bb.117:
	s_or_b64 exec, exec, s[18:19]
.LBB331_118:
	s_or_b64 exec, exec, s[12:13]
	ds_bpermute_b32 v3, v3, v14
	s_waitcnt lgkmcnt(0)
	v_add_f32_e32 v3, v14, v3
	ds_bpermute_b32 v6, v6, v3
	s_waitcnt lgkmcnt(0)
	v_add_f32_e32 v3, v3, v6
	ds_bpermute_b32 v6, v7, v3
	v_xor_b32_e32 v7, 4, v10
	v_cmp_lt_i32_e64 s[10:11], v7, v11
	s_waitcnt lgkmcnt(0)
	v_add_f32_e32 v3, v3, v6
	v_cndmask_b32_e64 v7, v10, v7, s[10:11]
	v_lshlrev_b32_e32 v7, 2, v7
	ds_bpermute_b32 v6, v7, v3
	v_xor_b32_e32 v7, 2, v10
	v_cmp_lt_i32_e64 s[10:11], v7, v11
	s_waitcnt lgkmcnt(0)
	v_add_f32_e32 v3, v3, v6
	v_cndmask_b32_e64 v7, v10, v7, s[10:11]
	v_lshlrev_b32_e32 v6, 2, v7
	ds_bpermute_b32 v6, v6, v3
	s_waitcnt lgkmcnt(0)
	v_add_f32_e32 v3, v3, v6
	ds_bpermute_b32 v6, v8, v3
	s_waitcnt lgkmcnt(0)
	v_add_f32_e32 v3, v3, v6
	s_and_saveexec_b64 s[10:11], vcc
	s_cbranch_execz .LBB331_120
; %bb.119:
	ds_write_b32 v2, v3 offset:392
.LBB331_120:
	s_or_b64 exec, exec, s[10:11]
	s_waitcnt lgkmcnt(0)
	s_barrier
	s_and_saveexec_b64 s[10:11], s[0:1]
	s_cbranch_execz .LBB331_122
; %bb.121:
	ds_read_b32 v3, v5 offset:392
.LBB331_122:
	s_or_b64 exec, exec, s[10:11]
	s_waitcnt lgkmcnt(0)
	ds_bpermute_b32 v2, v8, v3
	s_waitcnt lgkmcnt(0)
	v_add_f32_e32 v2, v3, v2
	ds_bpermute_b32 v5, v9, v2
	s_and_saveexec_b64 s[0:1], s[6:7]
	s_cbranch_execz .LBB331_135
; %bb.123:
	s_waitcnt lgkmcnt(0)
	v_add_f32_e32 v2, 0x358637bd, v5
	v_div_scale_f32 v3, s[6:7], v2, v2, 1.0
	v_rcp_f32_e32 v6, v3
	v_div_scale_f32 v7, vcc, 1.0, v2, 1.0
	s_movk_i32 s6, 0x7f
	v_fma_f32 v8, -v3, v6, 1.0
	v_fmac_f32_e32 v6, v8, v6
	v_mul_f32_e32 v8, v7, v6
	v_fma_f32 v9, -v3, v8, v7
	v_fmac_f32_e32 v8, v9, v6
	v_fma_f32 v3, -v3, v8, v7
	v_div_fmas_f32 v3, v3, v6, v8
	v_div_fixup_f32 v2, v3, v2, 1.0
	v_xad_u32 v3, v0, -1, s24
	v_subrev_u32_e32 v6, s42, v3
	v_cmp_lt_u32_e32 vcc, s6, v6
	s_mov_b64 s[10:11], -1
	v_mov_b32_e32 v3, v0
	s_and_saveexec_b64 s[6:7], vcc
	s_cbranch_execz .LBB331_132
; %bb.124:
	v_lshrrev_b32_e32 v6, 7, v6
	v_add_u32_e32 v8, -1, v6
	v_lshrrev_b32_e32 v7, 1, v8
	v_mov_b32_e32 v3, v2
	v_add_u32_e32 v7, 1, v7
	v_cmp_lt_u32_e32 vcc, 13, v8
	v_mov_b32_e32 v10, 0
	s_and_saveexec_b64 s[10:11], vcc
	s_cbranch_execz .LBB331_128
; %bb.125:
	v_mov_b32_e32 v9, 0x190
	v_and_b32_e32 v8, -8, v7
	v_lshl_add_u32 v9, v0, 2, v9
	s_mov_b32 s18, 0
	s_mov_b64 s[12:13], 0
.LBB331_126:                            ; =>This Inner Loop Header: Depth=1
	ds_read2st64_b32 v[10:11], v9 offset1:2
	ds_read2st64_b32 v[14:15], v9 offset0:4 offset1:6
	ds_read2st64_b32 v[16:17], v9 offset0:8 offset1:10
	;; [unrolled: 1-line block ×3, first 2 shown]
	v_add_u32_e32 v8, -8, v8
	s_waitcnt lgkmcnt(3)
	v_pk_mul_f32 v[10:11], v[2:3], v[10:11]
	s_waitcnt lgkmcnt(2)
	v_pk_mul_f32 v[14:15], v[2:3], v[14:15]
	ds_write2st64_b32 v9, v10, v11 offset1:2
	ds_write2st64_b32 v9, v14, v15 offset0:4 offset1:6
	ds_read2st64_b32 v[14:15], v9 offset0:16 offset1:18
	s_waitcnt lgkmcnt(4)
	v_pk_mul_f32 v[10:11], v[2:3], v[16:17]
	ds_write2st64_b32 v9, v10, v11 offset0:8 offset1:10
	s_waitcnt lgkmcnt(4)
	v_pk_mul_f32 v[10:11], v[2:3], v[20:21]
	ds_write2st64_b32 v9, v10, v11 offset0:12 offset1:14
	ds_read2st64_b32 v[10:11], v9 offset0:20 offset1:22
	s_waitcnt lgkmcnt(3)
	v_pk_mul_f32 v[14:15], v[2:3], v[14:15]
	ds_read2st64_b32 v[16:17], v9 offset0:24 offset1:26
	ds_write2st64_b32 v9, v14, v15 offset0:16 offset1:18
	ds_read2st64_b32 v[14:15], v9 offset0:28 offset1:30
	s_waitcnt lgkmcnt(3)
	v_pk_mul_f32 v[10:11], v[2:3], v[10:11]
	ds_write2st64_b32 v9, v10, v11 offset0:20 offset1:22
	s_waitcnt lgkmcnt(3)
	v_pk_mul_f32 v[10:11], v[2:3], v[16:17]
	ds_write2st64_b32 v9, v10, v11 offset0:24 offset1:26
	s_waitcnt lgkmcnt(2)
	v_pk_mul_f32 v[10:11], v[2:3], v[14:15]
	s_add_i32 s18, s18, 16
	v_cmp_eq_u32_e32 vcc, 0, v8
	ds_write2st64_b32 v9, v10, v11 offset0:28 offset1:30
	v_add_u32_e32 v9, 0x2000, v9
	s_or_b64 s[12:13], vcc, s[12:13]
	v_mov_b32_e32 v10, s18
	s_andn2_b64 exec, exec, s[12:13]
	s_cbranch_execnz .LBB331_126
; %bb.127:
	s_or_b64 exec, exec, s[12:13]
.LBB331_128:
	s_or_b64 exec, exec, s[10:11]
	v_and_b32_e32 v7, 7, v7
	v_cmp_ne_u32_e32 vcc, 0, v7
	s_and_saveexec_b64 s[10:11], vcc
	s_cbranch_execz .LBB331_131
; %bb.129:
	v_lshlrev_b32_e32 v8, 9, v10
	v_lshlrev_b32_e32 v9, 2, v0
	s_movk_i32 s12, 0x190
	v_add3_u32 v8, v8, v9, s12
	s_mov_b64 s[12:13], 0
.LBB331_130:                            ; =>This Inner Loop Header: Depth=1
	ds_read2st64_b32 v[10:11], v8 offset1:2
	v_add_u32_e32 v7, -1, v7
	v_cmp_eq_u32_e32 vcc, 0, v7
	s_or_b64 s[12:13], vcc, s[12:13]
	s_waitcnt lgkmcnt(0)
	v_pk_mul_f32 v[10:11], v[2:3], v[10:11]
	ds_write2st64_b32 v8, v10, v11 offset1:2
	v_add_u32_e32 v8, 0x400, v8
	s_andn2_b64 exec, exec, s[12:13]
	s_cbranch_execnz .LBB331_130
.LBB331_131:
	s_or_b64 exec, exec, s[10:11]
	v_add_u32_e32 v6, 1, v6
	v_and_b32_e32 v7, 0x3fffffe, v6
	v_cmp_ne_u32_e32 vcc, v6, v7
	v_lshl_add_u32 v3, v7, 7, v0
	s_orn2_b64 s[10:11], vcc, exec
.LBB331_132:
	s_or_b64 exec, exec, s[6:7]
	s_and_b64 exec, exec, s[10:11]
	s_cbranch_execz .LBB331_135
; %bb.133:
	v_mov_b32_e32 v6, 0x190
	v_lshl_add_u32 v6, v3, 2, v6
	s_mov_b64 s[6:7], 0
.LBB331_134:                            ; =>This Inner Loop Header: Depth=1
	ds_read_b32 v7, v6
	v_add_u32_e32 v3, 0x80, v3
	v_cmp_le_i32_e32 vcc, s3, v3
	s_or_b64 s[6:7], vcc, s[6:7]
	s_waitcnt lgkmcnt(0)
	v_mul_f32_e32 v7, v2, v7
	ds_write_b32 v6, v7
	v_add_u32_e32 v6, 0x200, v6
	s_andn2_b64 exec, exec, s[6:7]
	s_cbranch_execnz .LBB331_134
.LBB331_135:
	s_or_b64 exec, exec, s[0:1]
	s_mul_i32 s0, s33, s34
	v_cmp_eq_u32_e32 vcc, 0, v0
	s_mul_i32 s6, s0, s5
	s_waitcnt lgkmcnt(0)
	s_barrier
	s_and_saveexec_b64 s[0:1], vcc
	s_cbranch_execz .LBB331_137
; %bb.136:
	s_ashr_i32 s7, s6, 31
	s_lshl_b64 s[10:11], s[6:7], 2
	s_add_u32 s5, s22, s10
	s_mul_i32 s2, s33, s2
	s_addc_u32 s7, s23, s11
	s_ashr_i32 s3, s2, 31
	s_lshl_b64 s[2:3], s[2:3], 2
	s_add_u32 s18, s5, s2
	s_addc_u32 s7, s7, s3
	s_ashr_i32 s5, s4, 31
	s_lshl_b64 s[12:13], s[4:5], 2
	s_add_u32 s18, s18, s12
	s_addc_u32 s19, s7, s13
	s_add_u32 s5, s20, s10
	s_addc_u32 s7, s21, s11
	;; [unrolled: 2-line block ×3, first 2 shown]
	s_add_u32 s2, s2, s12
	v_mov_b32_e32 v2, 0
	s_addc_u32 s3, s3, s13
	global_store_dword v2, v4, s[18:19]
	global_store_dword v2, v5, s[2:3]
.LBB331_137:
	s_or_b64 exec, exec, s[0:1]
	v_mov_b32_e32 v10, 0
	v_mov_b32_e32 v15, v10
	;; [unrolled: 1-line block ×3, first 2 shown]
	s_and_saveexec_b64 s[2:3], s[8:9]
	s_cbranch_execz .LBB331_371
; %bb.138:
	s_ashr_i32 s1, s43, 31
	s_add_u32 s0, s14, s43
	s_addc_u32 s1, s15, s1
	v_lshlrev_b32_e32 v10, 3, v1
	s_load_dword s7, s[26:27], 0x0
	v_mov_b32_e32 v11, 0
	s_add_i32 s12, s31, -1
	v_lshl_add_u64 v[16:17], s[0:1], 0, v[10:11]
	s_lshl_b64 s[0:1], s[38:39], 2
	s_add_u32 s0, s36, s0
	v_mov_b32_e32 v2, 0x190
	s_addc_u32 s1, s37, s1
	s_mov_b32 s5, s17
	v_add3_u32 v20, s42, v19, 7
	v_lshl_add_u32 v21, v18, 5, v2
	v_lshl_add_u64 v[18:19], v[12:13], 2, s[0:1]
	s_mov_b64 s[8:9], 0
	s_mov_b32 s13, 0x7f800000
	s_movk_i32 s14, 0x7fff
	v_mov_b32_e32 v14, 0
	v_mov_b32_e32 v15, 0
	;; [unrolled: 1-line block ×3, first 2 shown]
	s_branch .LBB331_140
.LBB331_139:                            ;   in Loop: Header=BB331_140 Depth=1
	s_or_b64 exec, exec, s[0:1]
	v_and_b32_e32 v33, 0xffff0000, v9
	v_and_b32_e32 v32, 0xffff0000, v7
	;; [unrolled: 1-line block ×8, first 2 shown]
	v_pk_add_f32 v[6:7], v[6:7], v[32:33]
	v_pk_add_f32 v[8:9], v[22:23], v[30:31]
	v_add_f32_e32 v6, v6, v7
	v_add_f32_e32 v6, v6, v8
	;; [unrolled: 1-line block ×3, first 2 shown]
	v_and_b32_e32 v23, 0xffff0000, v41
	v_and_b32_e32 v22, 0xffff0000, v5
	;; [unrolled: 1-line block ×4, first 2 shown]
	v_add_f32_e32 v14, v14, v6
	v_and_b32_e32 v7, 0xffff0000, v45
	v_and_b32_e32 v6, 0xffff0000, v43
	;; [unrolled: 1-line block ×4, first 2 shown]
	v_pk_add_f32 v[4:5], v[4:5], v[22:23]
	v_pk_add_f32 v[6:7], v[8:9], v[6:7]
	v_add_f32_e32 v4, v4, v5
	v_add_f32_e32 v4, v4, v6
	;; [unrolled: 1-line block ×3, first 2 shown]
	v_and_b32_e32 v5, 0xffff0000, v3
	v_and_b32_e32 v9, 0xffff0000, v26
	;; [unrolled: 1-line block ×5, first 2 shown]
	v_add_f32_e32 v15, v15, v4
	v_and_b32_e32 v4, 0xffff0000, v28
	v_and_b32_e32 v7, 0xffff0000, v29
	;; [unrolled: 1-line block ×3, first 2 shown]
	v_pk_add_f32 v[2:3], v[2:3], v[8:9]
	v_pk_add_f32 v[4:5], v[6:7], v[4:5]
	v_add_f32_e32 v2, v2, v3
	v_add_f32_e32 v2, v2, v4
	v_add_u32_e32 v12, 2, v12
	v_add_f32_e32 v2, v2, v5
	v_cmp_le_i32_e32 vcc, s16, v12
	v_add_f32_e32 v10, v10, v2
	v_add_u32_e32 v20, 16, v20
	v_add_u32_e32 v21, 64, v21
	s_or_b64 s[8:9], vcc, s[8:9]
	v_lshl_add_u64 v[18:19], v[18:19], 0, 8
	s_andn2_b64 exec, exec, s[8:9]
	s_cbranch_execz .LBB331_370
.LBB331_140:                            ; =>This Inner Loop Header: Depth=1
	global_load_dword v24, v[18:19], off
	ds_read2_b64 v[6:9], v21 offset1:1
	ds_read2_b64 v[2:5], v21 offset0:2 offset1:3
                                        ; implicit-def: $vgpr32
	s_waitcnt lgkmcnt(0)
	v_and_b32_e32 v13, 0x7f800000, v6
	v_cmp_ne_u32_e32 vcc, s13, v13
	s_and_saveexec_b64 s[0:1], vcc
	s_xor_b64 s[0:1], exec, s[0:1]
; %bb.141:                              ;   in Loop: Header=BB331_140 Depth=1
	v_bfe_u32 v13, v6, 16, 1
	v_add3_u32 v32, v6, v13, s14
; %bb.142:                              ;   in Loop: Header=BB331_140 Depth=1
	s_andn2_saveexec_b64 s[0:1], s[0:1]
; %bb.143:                              ;   in Loop: Header=BB331_140 Depth=1
	v_or_b32_e32 v13, 0x10000, v6
	v_cmp_eq_u32_sdwa vcc, v6, v11 src0_sel:WORD_0 src1_sel:DWORD
	s_nop 1
	v_cndmask_b32_e32 v32, v13, v6, vcc
; %bb.144:                              ;   in Loop: Header=BB331_140 Depth=1
	s_or_b64 exec, exec, s[0:1]
	v_and_b32_e32 v6, 0x7f800000, v7
	v_cmp_ne_u32_e32 vcc, s13, v6
                                        ; implicit-def: $vgpr33
	s_and_saveexec_b64 s[0:1], vcc
	s_xor_b64 s[0:1], exec, s[0:1]
; %bb.145:                              ;   in Loop: Header=BB331_140 Depth=1
	v_bfe_u32 v6, v7, 16, 1
	v_add3_u32 v33, v7, v6, s14
; %bb.146:                              ;   in Loop: Header=BB331_140 Depth=1
	s_andn2_saveexec_b64 s[0:1], s[0:1]
; %bb.147:                              ;   in Loop: Header=BB331_140 Depth=1
	v_or_b32_e32 v6, 0x10000, v7
	v_cmp_eq_u32_sdwa vcc, v7, v11 src0_sel:WORD_0 src1_sel:DWORD
	s_nop 1
	v_cndmask_b32_e32 v33, v6, v7, vcc
; %bb.148:                              ;   in Loop: Header=BB331_140 Depth=1
	s_or_b64 exec, exec, s[0:1]
	v_and_b32_e32 v6, 0x7f800000, v8
	v_cmp_ne_u32_e32 vcc, s13, v6
                                        ; implicit-def: $vgpr34
	s_and_saveexec_b64 s[0:1], vcc
	s_xor_b64 s[0:1], exec, s[0:1]
; %bb.149:                              ;   in Loop: Header=BB331_140 Depth=1
	v_bfe_u32 v6, v8, 16, 1
	v_add3_u32 v34, v8, v6, s14
; %bb.150:                              ;   in Loop: Header=BB331_140 Depth=1
	s_andn2_saveexec_b64 s[0:1], s[0:1]
; %bb.151:                              ;   in Loop: Header=BB331_140 Depth=1
	v_or_b32_e32 v6, 0x10000, v8
	v_cmp_eq_u32_sdwa vcc, v8, v11 src0_sel:WORD_0 src1_sel:DWORD
	s_nop 1
	v_cndmask_b32_e32 v34, v6, v8, vcc
; %bb.152:                              ;   in Loop: Header=BB331_140 Depth=1
	s_or_b64 exec, exec, s[0:1]
	v_and_b32_e32 v6, 0x7f800000, v9
	v_cmp_ne_u32_e32 vcc, s13, v6
                                        ; implicit-def: $vgpr35
	s_and_saveexec_b64 s[0:1], vcc
	s_xor_b64 s[0:1], exec, s[0:1]
; %bb.153:                              ;   in Loop: Header=BB331_140 Depth=1
	v_bfe_u32 v6, v9, 16, 1
	v_add3_u32 v35, v9, v6, s14
                                        ; implicit-def: $vgpr6_vgpr7_vgpr8_vgpr9
; %bb.154:                              ;   in Loop: Header=BB331_140 Depth=1
	s_andn2_saveexec_b64 s[0:1], s[0:1]
; %bb.155:                              ;   in Loop: Header=BB331_140 Depth=1
	v_or_b32_e32 v6, 0x10000, v9
	v_cmp_eq_u32_sdwa vcc, v9, v11 src0_sel:WORD_0 src1_sel:DWORD
	s_nop 1
	v_cndmask_b32_e32 v35, v6, v9, vcc
; %bb.156:                              ;   in Loop: Header=BB331_140 Depth=1
	s_or_b64 exec, exec, s[0:1]
	v_and_b32_e32 v6, 0x7f800000, v2
	v_cmp_ne_u32_e32 vcc, s13, v6
                                        ; implicit-def: $vgpr13
	s_and_saveexec_b64 s[0:1], vcc
	s_xor_b64 s[0:1], exec, s[0:1]
; %bb.157:                              ;   in Loop: Header=BB331_140 Depth=1
	v_bfe_u32 v6, v2, 16, 1
	v_add3_u32 v13, v2, v6, s14
; %bb.158:                              ;   in Loop: Header=BB331_140 Depth=1
	s_andn2_saveexec_b64 s[0:1], s[0:1]
; %bb.159:                              ;   in Loop: Header=BB331_140 Depth=1
	v_or_b32_e32 v6, 0x10000, v2
	v_cmp_eq_u32_sdwa vcc, v2, v11 src0_sel:WORD_0 src1_sel:DWORD
	s_nop 1
	v_cndmask_b32_e32 v13, v6, v2, vcc
; %bb.160:                              ;   in Loop: Header=BB331_140 Depth=1
	s_or_b64 exec, exec, s[0:1]
	v_and_b32_e32 v2, 0x7f800000, v3
	v_cmp_ne_u32_e32 vcc, s13, v2
                                        ; implicit-def: $vgpr22
	s_and_saveexec_b64 s[0:1], vcc
	s_xor_b64 s[0:1], exec, s[0:1]
; %bb.161:                              ;   in Loop: Header=BB331_140 Depth=1
	v_bfe_u32 v2, v3, 16, 1
	v_add3_u32 v22, v3, v2, s14
; %bb.162:                              ;   in Loop: Header=BB331_140 Depth=1
	s_andn2_saveexec_b64 s[0:1], s[0:1]
; %bb.163:                              ;   in Loop: Header=BB331_140 Depth=1
	v_or_b32_e32 v2, 0x10000, v3
	v_cmp_eq_u32_sdwa vcc, v3, v11 src0_sel:WORD_0 src1_sel:DWORD
	s_nop 1
	v_cndmask_b32_e32 v22, v2, v3, vcc
; %bb.164:                              ;   in Loop: Header=BB331_140 Depth=1
	s_or_b64 exec, exec, s[0:1]
	v_and_b32_e32 v2, 0x7f800000, v4
	v_cmp_ne_u32_e32 vcc, s13, v2
                                        ; implicit-def: $vgpr23
	s_and_saveexec_b64 s[0:1], vcc
	s_xor_b64 s[0:1], exec, s[0:1]
; %bb.165:                              ;   in Loop: Header=BB331_140 Depth=1
	v_bfe_u32 v2, v4, 16, 1
	v_add3_u32 v23, v4, v2, s14
; %bb.166:                              ;   in Loop: Header=BB331_140 Depth=1
	s_andn2_saveexec_b64 s[0:1], s[0:1]
; %bb.167:                              ;   in Loop: Header=BB331_140 Depth=1
	v_or_b32_e32 v2, 0x10000, v4
	v_cmp_eq_u32_sdwa vcc, v4, v11 src0_sel:WORD_0 src1_sel:DWORD
	s_nop 1
	v_cndmask_b32_e32 v23, v2, v4, vcc
; %bb.168:                              ;   in Loop: Header=BB331_140 Depth=1
	s_or_b64 exec, exec, s[0:1]
	v_and_b32_e32 v2, 0x7f800000, v5
	v_cmp_ne_u32_e32 vcc, s13, v2
                                        ; implicit-def: $vgpr31
	s_and_saveexec_b64 s[0:1], vcc
	s_xor_b64 s[0:1], exec, s[0:1]
; %bb.169:                              ;   in Loop: Header=BB331_140 Depth=1
	v_bfe_u32 v2, v5, 16, 1
	v_add3_u32 v31, v5, v2, s14
                                        ; implicit-def: $vgpr2_vgpr3_vgpr4_vgpr5
; %bb.170:                              ;   in Loop: Header=BB331_140 Depth=1
	s_andn2_saveexec_b64 s[0:1], s[0:1]
; %bb.171:                              ;   in Loop: Header=BB331_140 Depth=1
	v_or_b32_e32 v2, 0x10000, v5
	v_cmp_eq_u32_sdwa vcc, v5, v11 src0_sel:WORD_0 src1_sel:DWORD
	s_nop 1
	v_cndmask_b32_e32 v31, v2, v5, vcc
; %bb.172:                              ;   in Loop: Header=BB331_140 Depth=1
	s_or_b64 exec, exec, s[0:1]
	s_waitcnt vmcnt(0)
	v_mad_i64_i32 v[2:3], s[0:1], v24, s5, v[16:17]
	global_load_dwordx2 v[4:5], v[2:3], off
	s_waitcnt vmcnt(0)
	v_and_b32_e32 v6, 0xff, v4
	v_cvt_f32_fp8_sdwa v6, v6 src0_sel:BYTE_0
	s_nop 0
	v_mul_f32_e32 v7, s7, v6
	v_and_b32_e32 v6, 0x7f800000, v7
	v_cmp_ne_u32_e32 vcc, s13, v6
                                        ; implicit-def: $vgpr6
	s_and_saveexec_b64 s[0:1], vcc
	s_xor_b64 s[0:1], exec, s[0:1]
; %bb.173:                              ;   in Loop: Header=BB331_140 Depth=1
	v_bfe_u32 v6, v7, 16, 1
	v_add3_u32 v6, v7, v6, s14
                                        ; implicit-def: $vgpr7
; %bb.174:                              ;   in Loop: Header=BB331_140 Depth=1
	s_andn2_saveexec_b64 s[0:1], s[0:1]
; %bb.175:                              ;   in Loop: Header=BB331_140 Depth=1
	v_or_b32_e32 v6, 0x10000, v7
	v_cmp_eq_u32_sdwa vcc, v7, v11 src0_sel:WORD_0 src1_sel:DWORD
	s_nop 1
	v_cndmask_b32_e32 v6, v6, v7, vcc
; %bb.176:                              ;   in Loop: Header=BB331_140 Depth=1
	s_or_b64 exec, exec, s[0:1]
	v_bfe_u32 v7, v4, 8, 8
	v_cvt_f32_fp8_sdwa v7, v7 src0_sel:BYTE_0
	s_nop 0
	v_mul_f32_e32 v8, s7, v7
	v_and_b32_e32 v7, 0x7f800000, v8
	v_cmp_ne_u32_e32 vcc, s13, v7
                                        ; implicit-def: $vgpr7
	s_and_saveexec_b64 s[0:1], vcc
	s_xor_b64 s[0:1], exec, s[0:1]
; %bb.177:                              ;   in Loop: Header=BB331_140 Depth=1
	v_bfe_u32 v7, v8, 16, 1
	v_add3_u32 v7, v8, v7, s14
                                        ; implicit-def: $vgpr8
; %bb.178:                              ;   in Loop: Header=BB331_140 Depth=1
	s_andn2_saveexec_b64 s[0:1], s[0:1]
; %bb.179:                              ;   in Loop: Header=BB331_140 Depth=1
	v_or_b32_e32 v7, 0x10000, v8
	v_cmp_eq_u32_sdwa vcc, v8, v11 src0_sel:WORD_0 src1_sel:DWORD
	s_nop 1
	v_cndmask_b32_e32 v7, v7, v8, vcc
; %bb.180:                              ;   in Loop: Header=BB331_140 Depth=1
	s_or_b64 exec, exec, s[0:1]
	v_bfe_u32 v8, v4, 16, 8
	v_cvt_f32_fp8_sdwa v8, v8 src0_sel:BYTE_0
	s_nop 0
	v_mul_f32_e32 v9, s7, v8
	v_and_b32_e32 v8, 0x7f800000, v9
	v_cmp_ne_u32_e32 vcc, s13, v8
                                        ; implicit-def: $vgpr8
	s_and_saveexec_b64 s[0:1], vcc
	s_xor_b64 s[0:1], exec, s[0:1]
; %bb.181:                              ;   in Loop: Header=BB331_140 Depth=1
	v_bfe_u32 v8, v9, 16, 1
	v_add3_u32 v8, v9, v8, s14
                                        ; implicit-def: $vgpr9
; %bb.182:                              ;   in Loop: Header=BB331_140 Depth=1
	s_andn2_saveexec_b64 s[0:1], s[0:1]
; %bb.183:                              ;   in Loop: Header=BB331_140 Depth=1
	v_or_b32_e32 v8, 0x10000, v9
	v_cmp_eq_u32_sdwa vcc, v9, v11 src0_sel:WORD_0 src1_sel:DWORD
	s_nop 1
	v_cndmask_b32_e32 v8, v8, v9, vcc
; %bb.184:                              ;   in Loop: Header=BB331_140 Depth=1
	s_or_b64 exec, exec, s[0:1]
	v_lshrrev_b32_e32 v4, 24, v4
	v_cvt_f32_fp8_sdwa v4, v4 src0_sel:BYTE_0
	s_nop 0
	v_mul_f32_e32 v9, s7, v4
	v_and_b32_e32 v4, 0x7f800000, v9
	v_cmp_ne_u32_e32 vcc, s13, v4
                                        ; implicit-def: $vgpr4
	s_and_saveexec_b64 s[0:1], vcc
	s_xor_b64 s[0:1], exec, s[0:1]
; %bb.185:                              ;   in Loop: Header=BB331_140 Depth=1
	v_bfe_u32 v4, v9, 16, 1
	v_add3_u32 v4, v9, v4, s14
                                        ; implicit-def: $vgpr9
; %bb.186:                              ;   in Loop: Header=BB331_140 Depth=1
	s_andn2_saveexec_b64 s[0:1], s[0:1]
; %bb.187:                              ;   in Loop: Header=BB331_140 Depth=1
	v_or_b32_e32 v4, 0x10000, v9
	v_cmp_eq_u32_sdwa vcc, v9, v11 src0_sel:WORD_0 src1_sel:DWORD
	s_nop 1
	v_cndmask_b32_e32 v4, v4, v9, vcc
; %bb.188:                              ;   in Loop: Header=BB331_140 Depth=1
	s_or_b64 exec, exec, s[0:1]
	v_and_b32_e32 v9, 0xff, v5
	v_cvt_f32_fp8_sdwa v9, v9 src0_sel:BYTE_0
	s_nop 0
	v_mul_f32_e32 v24, s7, v9
	v_and_b32_e32 v9, 0x7f800000, v24
	v_cmp_ne_u32_e32 vcc, s13, v9
                                        ; implicit-def: $vgpr9
	s_and_saveexec_b64 s[0:1], vcc
	s_xor_b64 s[0:1], exec, s[0:1]
; %bb.189:                              ;   in Loop: Header=BB331_140 Depth=1
	v_bfe_u32 v9, v24, 16, 1
	v_add3_u32 v9, v24, v9, s14
                                        ; implicit-def: $vgpr24
; %bb.190:                              ;   in Loop: Header=BB331_140 Depth=1
	s_andn2_saveexec_b64 s[0:1], s[0:1]
; %bb.191:                              ;   in Loop: Header=BB331_140 Depth=1
	v_or_b32_e32 v9, 0x10000, v24
	v_cmp_eq_u32_sdwa vcc, v24, v11 src0_sel:WORD_0 src1_sel:DWORD
	s_nop 1
	v_cndmask_b32_e32 v9, v9, v24, vcc
; %bb.192:                              ;   in Loop: Header=BB331_140 Depth=1
	s_or_b64 exec, exec, s[0:1]
	v_bfe_u32 v24, v5, 8, 8
	v_cvt_f32_fp8_sdwa v24, v24 src0_sel:BYTE_0
	s_nop 0
	v_mul_f32_e32 v24, s7, v24
	v_and_b32_e32 v25, 0x7f800000, v24
	v_cmp_ne_u32_e32 vcc, s13, v25
                                        ; implicit-def: $vgpr25
	s_and_saveexec_b64 s[0:1], vcc
	s_xor_b64 s[0:1], exec, s[0:1]
; %bb.193:                              ;   in Loop: Header=BB331_140 Depth=1
	v_bfe_u32 v25, v24, 16, 1
	v_add3_u32 v25, v24, v25, s14
                                        ; implicit-def: $vgpr24
; %bb.194:                              ;   in Loop: Header=BB331_140 Depth=1
	s_andn2_saveexec_b64 s[0:1], s[0:1]
; %bb.195:                              ;   in Loop: Header=BB331_140 Depth=1
	v_or_b32_e32 v25, 0x10000, v24
	v_cmp_eq_u32_sdwa vcc, v24, v11 src0_sel:WORD_0 src1_sel:DWORD
	s_nop 1
	v_cndmask_b32_e32 v25, v25, v24, vcc
; %bb.196:                              ;   in Loop: Header=BB331_140 Depth=1
	s_or_b64 exec, exec, s[0:1]
	v_bfe_u32 v24, v5, 16, 8
	v_cvt_f32_fp8_sdwa v24, v24 src0_sel:BYTE_0
	s_nop 0
	v_mul_f32_e32 v24, s7, v24
	v_and_b32_e32 v26, 0x7f800000, v24
	v_cmp_ne_u32_e32 vcc, s13, v26
                                        ; implicit-def: $vgpr26
	s_and_saveexec_b64 s[0:1], vcc
	s_xor_b64 s[0:1], exec, s[0:1]
; %bb.197:                              ;   in Loop: Header=BB331_140 Depth=1
	v_bfe_u32 v26, v24, 16, 1
	v_add3_u32 v26, v24, v26, s14
                                        ; implicit-def: $vgpr24
; %bb.198:                              ;   in Loop: Header=BB331_140 Depth=1
	s_andn2_saveexec_b64 s[0:1], s[0:1]
; %bb.199:                              ;   in Loop: Header=BB331_140 Depth=1
	v_or_b32_e32 v26, 0x10000, v24
	v_cmp_eq_u32_sdwa vcc, v24, v11 src0_sel:WORD_0 src1_sel:DWORD
	s_nop 1
	v_cndmask_b32_e32 v26, v26, v24, vcc
; %bb.200:                              ;   in Loop: Header=BB331_140 Depth=1
	s_or_b64 exec, exec, s[0:1]
	v_lshrrev_b32_e32 v5, 24, v5
	v_cvt_f32_fp8_sdwa v5, v5 src0_sel:BYTE_0
                                        ; implicit-def: $vgpr27
	s_nop 0
	v_mul_f32_e32 v5, s7, v5
	v_and_b32_e32 v24, 0x7f800000, v5
	v_cmp_ne_u32_e32 vcc, s13, v24
	s_and_saveexec_b64 s[0:1], vcc
	s_xor_b64 s[0:1], exec, s[0:1]
; %bb.201:                              ;   in Loop: Header=BB331_140 Depth=1
	v_bfe_u32 v24, v5, 16, 1
	v_add3_u32 v27, v5, v24, s14
                                        ; implicit-def: $vgpr5
; %bb.202:                              ;   in Loop: Header=BB331_140 Depth=1
	s_andn2_saveexec_b64 s[0:1], s[0:1]
; %bb.203:                              ;   in Loop: Header=BB331_140 Depth=1
	v_or_b32_e32 v24, 0x10000, v5
	v_cmp_eq_u32_sdwa vcc, v5, v11 src0_sel:WORD_0 src1_sel:DWORD
	s_nop 1
	v_cndmask_b32_e32 v27, v24, v5, vcc
; %bb.204:                              ;   in Loop: Header=BB331_140 Depth=1
	s_or_b64 exec, exec, s[0:1]
	v_cmp_eq_u32_e32 vcc, s12, v12
	v_add_u32_e32 v24, -7, v20
	v_lshrrev_b32_e32 v38, 16, v25
	v_lshrrev_b32_e32 v37, 16, v9
	v_lshrrev_b32_e32 v9, 16, v4
	v_lshrrev_b32_e32 v8, 16, v8
	v_lshrrev_b32_e32 v7, 16, v7
	v_lshrrev_b32_e32 v6, 16, v6
	v_lshrrev_b32_e32 v5, 16, v26
	v_lshrrev_b32_e32 v4, 16, v27
	v_add_u32_e32 v30, -6, v20
	v_add_u32_e32 v29, -5, v20
	;; [unrolled: 1-line block ×6, first 2 shown]
	s_and_saveexec_b64 s[10:11], vcc
	s_cbranch_execz .LBB331_206
; %bb.205:                              ;   in Loop: Header=BB331_140 Depth=1
	v_cmp_gt_i32_e64 s[0:1], s35, v24
	s_nop 1
	v_cndmask_b32_e64 v6, 0, v6, s[0:1]
	v_cmp_gt_i32_e64 s[0:1], s35, v30
	s_nop 1
	v_cndmask_b32_e64 v7, 0, v7, s[0:1]
	;; [unrolled: 3-line block ×8, first 2 shown]
.LBB331_206:                            ;   in Loop: Header=BB331_140 Depth=1
	s_or_b64 exec, exec, s[10:11]
	v_and_b32_e32 v32, 0xffff0000, v32
	v_lshlrev_b32_e32 v6, 16, v6
	v_mul_f32_e32 v36, v32, v6
	v_and_b32_e32 v6, 0x7f800000, v36
	v_cmp_ne_u32_e64 s[0:1], s13, v6
                                        ; implicit-def: $vgpr6
	s_and_saveexec_b64 s[10:11], s[0:1]
	s_xor_b64 s[0:1], exec, s[10:11]
; %bb.207:                              ;   in Loop: Header=BB331_140 Depth=1
	v_bfe_u32 v6, v36, 16, 1
	v_add3_u32 v6, v36, v6, s14
                                        ; implicit-def: $vgpr36
; %bb.208:                              ;   in Loop: Header=BB331_140 Depth=1
	s_andn2_saveexec_b64 s[10:11], s[0:1]
; %bb.209:                              ;   in Loop: Header=BB331_140 Depth=1
	v_or_b32_e32 v6, 0x10000, v36
	v_cmp_eq_u32_sdwa s[0:1], v36, v11 src0_sel:WORD_0 src1_sel:DWORD
	s_nop 1
	v_cndmask_b32_e64 v6, v6, v36, s[0:1]
; %bb.210:                              ;   in Loop: Header=BB331_140 Depth=1
	s_or_b64 exec, exec, s[10:11]
	v_and_b32_e32 v33, 0xffff0000, v33
	v_lshlrev_b32_e32 v7, 16, v7
	v_mul_f32_e32 v36, v33, v7
	v_and_b32_e32 v7, 0x7f800000, v36
	v_cmp_ne_u32_e64 s[0:1], s13, v7
                                        ; implicit-def: $vgpr7
	s_and_saveexec_b64 s[10:11], s[0:1]
	s_xor_b64 s[0:1], exec, s[10:11]
; %bb.211:                              ;   in Loop: Header=BB331_140 Depth=1
	v_bfe_u32 v7, v36, 16, 1
	v_add3_u32 v7, v36, v7, s14
                                        ; implicit-def: $vgpr36
; %bb.212:                              ;   in Loop: Header=BB331_140 Depth=1
	s_andn2_saveexec_b64 s[10:11], s[0:1]
; %bb.213:                              ;   in Loop: Header=BB331_140 Depth=1
	v_or_b32_e32 v7, 0x10000, v36
	v_cmp_eq_u32_sdwa s[0:1], v36, v11 src0_sel:WORD_0 src1_sel:DWORD
	s_nop 1
	v_cndmask_b32_e64 v7, v7, v36, s[0:1]
; %bb.214:                              ;   in Loop: Header=BB331_140 Depth=1
	s_or_b64 exec, exec, s[10:11]
	v_and_b32_e32 v34, 0xffff0000, v34
	v_lshlrev_b32_e32 v8, 16, v8
	v_mul_f32_e32 v36, v34, v8
	v_and_b32_e32 v8, 0x7f800000, v36
	v_cmp_ne_u32_e64 s[0:1], s13, v8
                                        ; implicit-def: $vgpr8
	s_and_saveexec_b64 s[10:11], s[0:1]
	s_xor_b64 s[0:1], exec, s[10:11]
; %bb.215:                              ;   in Loop: Header=BB331_140 Depth=1
	v_bfe_u32 v8, v36, 16, 1
	v_add3_u32 v8, v36, v8, s14
                                        ; implicit-def: $vgpr36
; %bb.216:                              ;   in Loop: Header=BB331_140 Depth=1
	s_andn2_saveexec_b64 s[10:11], s[0:1]
; %bb.217:                              ;   in Loop: Header=BB331_140 Depth=1
	v_or_b32_e32 v8, 0x10000, v36
	v_cmp_eq_u32_sdwa s[0:1], v36, v11 src0_sel:WORD_0 src1_sel:DWORD
	s_nop 1
	v_cndmask_b32_e64 v8, v8, v36, s[0:1]
; %bb.218:                              ;   in Loop: Header=BB331_140 Depth=1
	s_or_b64 exec, exec, s[10:11]
	v_and_b32_e32 v35, 0xffff0000, v35
	v_lshlrev_b32_e32 v9, 16, v9
	v_mul_f32_e32 v36, v35, v9
	v_and_b32_e32 v9, 0x7f800000, v36
	v_cmp_ne_u32_e64 s[0:1], s13, v9
                                        ; implicit-def: $vgpr9
	s_and_saveexec_b64 s[10:11], s[0:1]
	s_xor_b64 s[0:1], exec, s[10:11]
; %bb.219:                              ;   in Loop: Header=BB331_140 Depth=1
	v_bfe_u32 v9, v36, 16, 1
	v_add3_u32 v9, v36, v9, s14
                                        ; implicit-def: $vgpr36
; %bb.220:                              ;   in Loop: Header=BB331_140 Depth=1
	s_andn2_saveexec_b64 s[10:11], s[0:1]
; %bb.221:                              ;   in Loop: Header=BB331_140 Depth=1
	v_or_b32_e32 v9, 0x10000, v36
	v_cmp_eq_u32_sdwa s[0:1], v36, v11 src0_sel:WORD_0 src1_sel:DWORD
	s_nop 1
	v_cndmask_b32_e64 v9, v9, v36, s[0:1]
; %bb.222:                              ;   in Loop: Header=BB331_140 Depth=1
	s_or_b64 exec, exec, s[10:11]
	v_and_b32_e32 v36, 0xffff0000, v13
	v_lshlrev_b32_e32 v13, 16, v37
	v_mul_f32_e32 v37, v36, v13
	v_and_b32_e32 v13, 0x7f800000, v37
	v_cmp_ne_u32_e64 s[0:1], s13, v13
                                        ; implicit-def: $vgpr13
	s_and_saveexec_b64 s[10:11], s[0:1]
	s_xor_b64 s[0:1], exec, s[10:11]
; %bb.223:                              ;   in Loop: Header=BB331_140 Depth=1
	v_bfe_u32 v13, v37, 16, 1
	v_add3_u32 v13, v37, v13, s14
                                        ; implicit-def: $vgpr37
; %bb.224:                              ;   in Loop: Header=BB331_140 Depth=1
	s_andn2_saveexec_b64 s[10:11], s[0:1]
; %bb.225:                              ;   in Loop: Header=BB331_140 Depth=1
	v_or_b32_e32 v13, 0x10000, v37
	v_cmp_eq_u32_sdwa s[0:1], v37, v11 src0_sel:WORD_0 src1_sel:DWORD
	s_nop 1
	v_cndmask_b32_e64 v13, v13, v37, s[0:1]
; %bb.226:                              ;   in Loop: Header=BB331_140 Depth=1
	s_or_b64 exec, exec, s[10:11]
	v_and_b32_e32 v37, 0xffff0000, v22
	v_lshlrev_b32_e32 v22, 16, v38
	v_mul_f32_e32 v38, v37, v22
	v_and_b32_e32 v22, 0x7f800000, v38
	v_cmp_ne_u32_e64 s[0:1], s13, v22
                                        ; implicit-def: $vgpr22
	s_and_saveexec_b64 s[10:11], s[0:1]
	s_xor_b64 s[0:1], exec, s[10:11]
; %bb.227:                              ;   in Loop: Header=BB331_140 Depth=1
	v_bfe_u32 v22, v38, 16, 1
	v_add3_u32 v22, v38, v22, s14
                                        ; implicit-def: $vgpr38
; %bb.228:                              ;   in Loop: Header=BB331_140 Depth=1
	s_andn2_saveexec_b64 s[10:11], s[0:1]
; %bb.229:                              ;   in Loop: Header=BB331_140 Depth=1
	v_or_b32_e32 v22, 0x10000, v38
	v_cmp_eq_u32_sdwa s[0:1], v38, v11 src0_sel:WORD_0 src1_sel:DWORD
	s_nop 1
	v_cndmask_b32_e64 v22, v22, v38, s[0:1]
; %bb.230:                              ;   in Loop: Header=BB331_140 Depth=1
	s_or_b64 exec, exec, s[10:11]
	v_and_b32_e32 v38, 0xffff0000, v23
	v_lshlrev_b32_e32 v5, 16, v5
	v_mul_f32_e32 v5, v38, v5
	v_and_b32_e32 v23, 0x7f800000, v5
	v_cmp_ne_u32_e64 s[0:1], s13, v23
                                        ; implicit-def: $vgpr23
	s_and_saveexec_b64 s[10:11], s[0:1]
	s_xor_b64 s[0:1], exec, s[10:11]
; %bb.231:                              ;   in Loop: Header=BB331_140 Depth=1
	v_bfe_u32 v23, v5, 16, 1
	v_add3_u32 v23, v5, v23, s14
                                        ; implicit-def: $vgpr5
; %bb.232:                              ;   in Loop: Header=BB331_140 Depth=1
	s_andn2_saveexec_b64 s[10:11], s[0:1]
; %bb.233:                              ;   in Loop: Header=BB331_140 Depth=1
	v_or_b32_e32 v23, 0x10000, v5
	v_cmp_eq_u32_sdwa s[0:1], v5, v11 src0_sel:WORD_0 src1_sel:DWORD
	s_nop 1
	v_cndmask_b32_e64 v23, v23, v5, s[0:1]
; %bb.234:                              ;   in Loop: Header=BB331_140 Depth=1
	s_or_b64 exec, exec, s[10:11]
	v_and_b32_e32 v39, 0xffff0000, v31
	v_lshlrev_b32_e32 v4, 16, v4
	v_mul_f32_e32 v4, v39, v4
	v_and_b32_e32 v5, 0x7f800000, v4
	v_cmp_ne_u32_e64 s[0:1], s13, v5
                                        ; implicit-def: $vgpr31
	s_and_saveexec_b64 s[10:11], s[0:1]
	s_xor_b64 s[0:1], exec, s[10:11]
; %bb.235:                              ;   in Loop: Header=BB331_140 Depth=1
	v_bfe_u32 v5, v4, 16, 1
	v_add3_u32 v31, v4, v5, s14
                                        ; implicit-def: $vgpr4
; %bb.236:                              ;   in Loop: Header=BB331_140 Depth=1
	s_andn2_saveexec_b64 s[10:11], s[0:1]
; %bb.237:                              ;   in Loop: Header=BB331_140 Depth=1
	v_or_b32_e32 v5, 0x10000, v4
	v_cmp_eq_u32_sdwa s[0:1], v4, v11 src0_sel:WORD_0 src1_sel:DWORD
	s_nop 1
	v_cndmask_b32_e64 v31, v5, v4, s[0:1]
; %bb.238:                              ;   in Loop: Header=BB331_140 Depth=1
	s_or_b64 exec, exec, s[10:11]
	global_load_dwordx2 v[4:5], v[2:3], off offset:512
	s_waitcnt vmcnt(0)
	v_and_b32_e32 v40, 0xff, v4
	v_cvt_f32_fp8_sdwa v40, v40 src0_sel:BYTE_0
	s_nop 0
	v_mul_f32_e32 v41, s7, v40
	v_and_b32_e32 v40, 0x7f800000, v41
	v_cmp_ne_u32_e64 s[0:1], s13, v40
                                        ; implicit-def: $vgpr40
	s_and_saveexec_b64 s[10:11], s[0:1]
	s_xor_b64 s[0:1], exec, s[10:11]
; %bb.239:                              ;   in Loop: Header=BB331_140 Depth=1
	v_bfe_u32 v40, v41, 16, 1
	v_add3_u32 v40, v41, v40, s14
                                        ; implicit-def: $vgpr41
; %bb.240:                              ;   in Loop: Header=BB331_140 Depth=1
	s_andn2_saveexec_b64 s[10:11], s[0:1]
; %bb.241:                              ;   in Loop: Header=BB331_140 Depth=1
	v_or_b32_e32 v40, 0x10000, v41
	v_cmp_eq_u32_sdwa s[0:1], v41, v11 src0_sel:WORD_0 src1_sel:DWORD
	s_nop 1
	v_cndmask_b32_e64 v40, v40, v41, s[0:1]
; %bb.242:                              ;   in Loop: Header=BB331_140 Depth=1
	s_or_b64 exec, exec, s[10:11]
	v_bfe_u32 v41, v4, 8, 8
	v_cvt_f32_fp8_sdwa v41, v41 src0_sel:BYTE_0
	s_nop 0
	v_mul_f32_e32 v42, s7, v41
	v_and_b32_e32 v41, 0x7f800000, v42
	v_cmp_ne_u32_e64 s[0:1], s13, v41
                                        ; implicit-def: $vgpr41
	s_and_saveexec_b64 s[10:11], s[0:1]
	s_xor_b64 s[0:1], exec, s[10:11]
; %bb.243:                              ;   in Loop: Header=BB331_140 Depth=1
	v_bfe_u32 v41, v42, 16, 1
	v_add3_u32 v41, v42, v41, s14
                                        ; implicit-def: $vgpr42
; %bb.244:                              ;   in Loop: Header=BB331_140 Depth=1
	s_andn2_saveexec_b64 s[10:11], s[0:1]
; %bb.245:                              ;   in Loop: Header=BB331_140 Depth=1
	v_or_b32_e32 v41, 0x10000, v42
	v_cmp_eq_u32_sdwa s[0:1], v42, v11 src0_sel:WORD_0 src1_sel:DWORD
	s_nop 1
	v_cndmask_b32_e64 v41, v41, v42, s[0:1]
; %bb.246:                              ;   in Loop: Header=BB331_140 Depth=1
	s_or_b64 exec, exec, s[10:11]
	v_bfe_u32 v42, v4, 16, 8
	v_cvt_f32_fp8_sdwa v42, v42 src0_sel:BYTE_0
	s_nop 0
	v_mul_f32_e32 v43, s7, v42
	v_and_b32_e32 v42, 0x7f800000, v43
	v_cmp_ne_u32_e64 s[0:1], s13, v42
                                        ; implicit-def: $vgpr42
	s_and_saveexec_b64 s[10:11], s[0:1]
	s_xor_b64 s[0:1], exec, s[10:11]
; %bb.247:                              ;   in Loop: Header=BB331_140 Depth=1
	v_bfe_u32 v42, v43, 16, 1
	v_add3_u32 v42, v43, v42, s14
                                        ; implicit-def: $vgpr43
; %bb.248:                              ;   in Loop: Header=BB331_140 Depth=1
	s_andn2_saveexec_b64 s[10:11], s[0:1]
; %bb.249:                              ;   in Loop: Header=BB331_140 Depth=1
	v_or_b32_e32 v42, 0x10000, v43
	v_cmp_eq_u32_sdwa s[0:1], v43, v11 src0_sel:WORD_0 src1_sel:DWORD
	s_nop 1
	v_cndmask_b32_e64 v42, v42, v43, s[0:1]
; %bb.250:                              ;   in Loop: Header=BB331_140 Depth=1
	s_or_b64 exec, exec, s[10:11]
	v_lshrrev_b32_e32 v4, 24, v4
	v_cvt_f32_fp8_sdwa v4, v4 src0_sel:BYTE_0
	s_nop 0
	v_mul_f32_e32 v43, s7, v4
	v_and_b32_e32 v4, 0x7f800000, v43
	v_cmp_ne_u32_e64 s[0:1], s13, v4
                                        ; implicit-def: $vgpr4
	s_and_saveexec_b64 s[10:11], s[0:1]
	s_xor_b64 s[0:1], exec, s[10:11]
; %bb.251:                              ;   in Loop: Header=BB331_140 Depth=1
	v_bfe_u32 v4, v43, 16, 1
	v_add3_u32 v4, v43, v4, s14
                                        ; implicit-def: $vgpr43
; %bb.252:                              ;   in Loop: Header=BB331_140 Depth=1
	s_andn2_saveexec_b64 s[10:11], s[0:1]
; %bb.253:                              ;   in Loop: Header=BB331_140 Depth=1
	v_or_b32_e32 v4, 0x10000, v43
	v_cmp_eq_u32_sdwa s[0:1], v43, v11 src0_sel:WORD_0 src1_sel:DWORD
	s_nop 1
	v_cndmask_b32_e64 v4, v4, v43, s[0:1]
; %bb.254:                              ;   in Loop: Header=BB331_140 Depth=1
	s_or_b64 exec, exec, s[10:11]
	v_and_b32_e32 v43, 0xff, v5
	v_cvt_f32_fp8_sdwa v43, v43 src0_sel:BYTE_0
	s_nop 0
	v_mul_f32_e32 v43, s7, v43
	v_and_b32_e32 v44, 0x7f800000, v43
	v_cmp_ne_u32_e64 s[0:1], s13, v44
                                        ; implicit-def: $vgpr44
	s_and_saveexec_b64 s[10:11], s[0:1]
	s_xor_b64 s[0:1], exec, s[10:11]
; %bb.255:                              ;   in Loop: Header=BB331_140 Depth=1
	v_bfe_u32 v44, v43, 16, 1
	v_add3_u32 v44, v43, v44, s14
                                        ; implicit-def: $vgpr43
; %bb.256:                              ;   in Loop: Header=BB331_140 Depth=1
	s_andn2_saveexec_b64 s[10:11], s[0:1]
; %bb.257:                              ;   in Loop: Header=BB331_140 Depth=1
	v_or_b32_e32 v44, 0x10000, v43
	v_cmp_eq_u32_sdwa s[0:1], v43, v11 src0_sel:WORD_0 src1_sel:DWORD
	s_nop 1
	v_cndmask_b32_e64 v44, v44, v43, s[0:1]
; %bb.258:                              ;   in Loop: Header=BB331_140 Depth=1
	s_or_b64 exec, exec, s[10:11]
	v_bfe_u32 v43, v5, 8, 8
	v_cvt_f32_fp8_sdwa v43, v43 src0_sel:BYTE_0
	s_nop 0
	v_mul_f32_e32 v45, s7, v43
	v_and_b32_e32 v43, 0x7f800000, v45
	v_cmp_ne_u32_e64 s[0:1], s13, v43
                                        ; implicit-def: $vgpr43
	s_and_saveexec_b64 s[10:11], s[0:1]
	s_xor_b64 s[0:1], exec, s[10:11]
; %bb.259:                              ;   in Loop: Header=BB331_140 Depth=1
	v_bfe_u32 v43, v45, 16, 1
	v_add3_u32 v43, v45, v43, s14
                                        ; implicit-def: $vgpr45
; %bb.260:                              ;   in Loop: Header=BB331_140 Depth=1
	s_andn2_saveexec_b64 s[10:11], s[0:1]
; %bb.261:                              ;   in Loop: Header=BB331_140 Depth=1
	v_or_b32_e32 v43, 0x10000, v45
	v_cmp_eq_u32_sdwa s[0:1], v45, v11 src0_sel:WORD_0 src1_sel:DWORD
	s_nop 1
	v_cndmask_b32_e64 v43, v43, v45, s[0:1]
; %bb.262:                              ;   in Loop: Header=BB331_140 Depth=1
	s_or_b64 exec, exec, s[10:11]
	v_bfe_u32 v45, v5, 16, 8
	v_cvt_f32_fp8_sdwa v45, v45 src0_sel:BYTE_0
	s_nop 0
	v_mul_f32_e32 v46, s7, v45
	v_and_b32_e32 v45, 0x7f800000, v46
	v_cmp_ne_u32_e64 s[0:1], s13, v45
                                        ; implicit-def: $vgpr45
	s_and_saveexec_b64 s[10:11], s[0:1]
	s_xor_b64 s[0:1], exec, s[10:11]
; %bb.263:                              ;   in Loop: Header=BB331_140 Depth=1
	v_bfe_u32 v45, v46, 16, 1
	v_add3_u32 v45, v46, v45, s14
                                        ; implicit-def: $vgpr46
; %bb.264:                              ;   in Loop: Header=BB331_140 Depth=1
	s_andn2_saveexec_b64 s[10:11], s[0:1]
; %bb.265:                              ;   in Loop: Header=BB331_140 Depth=1
	v_or_b32_e32 v45, 0x10000, v46
	v_cmp_eq_u32_sdwa s[0:1], v46, v11 src0_sel:WORD_0 src1_sel:DWORD
	s_nop 1
	v_cndmask_b32_e64 v45, v45, v46, s[0:1]
; %bb.266:                              ;   in Loop: Header=BB331_140 Depth=1
	s_or_b64 exec, exec, s[10:11]
	v_lshrrev_b32_e32 v5, 24, v5
	v_cvt_f32_fp8_sdwa v5, v5 src0_sel:BYTE_0
                                        ; implicit-def: $vgpr48
	s_nop 0
	v_mul_f32_e32 v5, s7, v5
	v_and_b32_e32 v46, 0x7f800000, v5
	v_cmp_ne_u32_e64 s[0:1], s13, v46
	s_and_saveexec_b64 s[10:11], s[0:1]
	s_xor_b64 s[0:1], exec, s[10:11]
; %bb.267:                              ;   in Loop: Header=BB331_140 Depth=1
	v_bfe_u32 v46, v5, 16, 1
	v_add3_u32 v48, v5, v46, s14
                                        ; implicit-def: $vgpr5
; %bb.268:                              ;   in Loop: Header=BB331_140 Depth=1
	s_andn2_saveexec_b64 s[10:11], s[0:1]
; %bb.269:                              ;   in Loop: Header=BB331_140 Depth=1
	v_or_b32_e32 v46, 0x10000, v5
	v_cmp_eq_u32_sdwa s[0:1], v5, v11 src0_sel:WORD_0 src1_sel:DWORD
	s_nop 1
	v_cndmask_b32_e64 v48, v46, v5, s[0:1]
; %bb.270:                              ;   in Loop: Header=BB331_140 Depth=1
	s_or_b64 exec, exec, s[10:11]
	v_lshrrev_b32_e32 v43, 16, v43
	v_lshrrev_b32_e32 v46, 16, v44
	;; [unrolled: 1-line block ×8, first 2 shown]
	s_and_saveexec_b64 s[10:11], vcc
	s_cbranch_execz .LBB331_272
; %bb.271:                              ;   in Loop: Header=BB331_140 Depth=1
	v_cmp_gt_i32_e64 s[0:1], s35, v24
	s_nop 1
	v_cndmask_b32_e64 v4, 0, v4, s[0:1]
	v_cmp_gt_i32_e64 s[0:1], s35, v30
	s_nop 1
	v_cndmask_b32_e64 v5, 0, v5, s[0:1]
	;; [unrolled: 3-line block ×8, first 2 shown]
.LBB331_272:                            ;   in Loop: Header=BB331_140 Depth=1
	s_or_b64 exec, exec, s[10:11]
	v_lshlrev_b32_e32 v4, 16, v4
	v_mul_f32_e32 v40, v32, v4
	v_and_b32_e32 v4, 0x7f800000, v40
	v_cmp_ne_u32_e64 s[0:1], s13, v4
                                        ; implicit-def: $vgpr4
	s_and_saveexec_b64 s[10:11], s[0:1]
	s_xor_b64 s[0:1], exec, s[10:11]
; %bb.273:                              ;   in Loop: Header=BB331_140 Depth=1
	v_bfe_u32 v4, v40, 16, 1
	v_add3_u32 v4, v40, v4, s14
                                        ; implicit-def: $vgpr40
; %bb.274:                              ;   in Loop: Header=BB331_140 Depth=1
	s_andn2_saveexec_b64 s[10:11], s[0:1]
; %bb.275:                              ;   in Loop: Header=BB331_140 Depth=1
	v_or_b32_e32 v4, 0x10000, v40
	v_cmp_eq_u32_sdwa s[0:1], v40, v11 src0_sel:WORD_0 src1_sel:DWORD
	s_nop 1
	v_cndmask_b32_e64 v4, v4, v40, s[0:1]
; %bb.276:                              ;   in Loop: Header=BB331_140 Depth=1
	s_or_b64 exec, exec, s[10:11]
	v_lshlrev_b32_e32 v5, 16, v5
	v_mul_f32_e32 v40, v33, v5
	v_and_b32_e32 v5, 0x7f800000, v40
	v_cmp_ne_u32_e64 s[0:1], s13, v5
                                        ; implicit-def: $vgpr5
	s_and_saveexec_b64 s[10:11], s[0:1]
	s_xor_b64 s[0:1], exec, s[10:11]
; %bb.277:                              ;   in Loop: Header=BB331_140 Depth=1
	v_bfe_u32 v5, v40, 16, 1
	v_add3_u32 v5, v40, v5, s14
                                        ; implicit-def: $vgpr40
; %bb.278:                              ;   in Loop: Header=BB331_140 Depth=1
	s_andn2_saveexec_b64 s[10:11], s[0:1]
; %bb.279:                              ;   in Loop: Header=BB331_140 Depth=1
	v_or_b32_e32 v5, 0x10000, v40
	v_cmp_eq_u32_sdwa s[0:1], v40, v11 src0_sel:WORD_0 src1_sel:DWORD
	s_nop 1
	v_cndmask_b32_e64 v5, v5, v40, s[0:1]
; %bb.280:                              ;   in Loop: Header=BB331_140 Depth=1
	s_or_b64 exec, exec, s[10:11]
	v_lshlrev_b32_e32 v40, 16, v42
	v_mul_f32_e32 v41, v34, v40
	v_and_b32_e32 v40, 0x7f800000, v41
	v_cmp_ne_u32_e64 s[0:1], s13, v40
                                        ; implicit-def: $vgpr40
	s_and_saveexec_b64 s[10:11], s[0:1]
	s_xor_b64 s[0:1], exec, s[10:11]
; %bb.281:                              ;   in Loop: Header=BB331_140 Depth=1
	v_bfe_u32 v40, v41, 16, 1
	v_add3_u32 v40, v41, v40, s14
                                        ; implicit-def: $vgpr41
; %bb.282:                              ;   in Loop: Header=BB331_140 Depth=1
	s_andn2_saveexec_b64 s[10:11], s[0:1]
; %bb.283:                              ;   in Loop: Header=BB331_140 Depth=1
	v_or_b32_e32 v40, 0x10000, v41
	v_cmp_eq_u32_sdwa s[0:1], v41, v11 src0_sel:WORD_0 src1_sel:DWORD
	s_nop 1
	v_cndmask_b32_e64 v40, v40, v41, s[0:1]
; %bb.284:                              ;   in Loop: Header=BB331_140 Depth=1
	s_or_b64 exec, exec, s[10:11]
	v_lshlrev_b32_e32 v41, 16, v47
	v_mul_f32_e32 v42, v35, v41
	v_and_b32_e32 v41, 0x7f800000, v42
	v_cmp_ne_u32_e64 s[0:1], s13, v41
                                        ; implicit-def: $vgpr41
	s_and_saveexec_b64 s[10:11], s[0:1]
	s_xor_b64 s[0:1], exec, s[10:11]
; %bb.285:                              ;   in Loop: Header=BB331_140 Depth=1
	v_bfe_u32 v41, v42, 16, 1
	v_add3_u32 v41, v42, v41, s14
                                        ; implicit-def: $vgpr42
; %bb.286:                              ;   in Loop: Header=BB331_140 Depth=1
	s_andn2_saveexec_b64 s[10:11], s[0:1]
; %bb.287:                              ;   in Loop: Header=BB331_140 Depth=1
	v_or_b32_e32 v41, 0x10000, v42
	v_cmp_eq_u32_sdwa s[0:1], v42, v11 src0_sel:WORD_0 src1_sel:DWORD
	s_nop 1
	v_cndmask_b32_e64 v41, v41, v42, s[0:1]
; %bb.288:                              ;   in Loop: Header=BB331_140 Depth=1
	s_or_b64 exec, exec, s[10:11]
	v_lshlrev_b32_e32 v42, 16, v46
	v_mul_f32_e32 v46, v36, v42
	v_and_b32_e32 v42, 0x7f800000, v46
	v_cmp_ne_u32_e64 s[0:1], s13, v42
                                        ; implicit-def: $vgpr42
	s_and_saveexec_b64 s[10:11], s[0:1]
	s_xor_b64 s[0:1], exec, s[10:11]
; %bb.289:                              ;   in Loop: Header=BB331_140 Depth=1
	v_bfe_u32 v42, v46, 16, 1
	v_add3_u32 v42, v46, v42, s14
                                        ; implicit-def: $vgpr46
; %bb.290:                              ;   in Loop: Header=BB331_140 Depth=1
	s_andn2_saveexec_b64 s[10:11], s[0:1]
; %bb.291:                              ;   in Loop: Header=BB331_140 Depth=1
	v_or_b32_e32 v42, 0x10000, v46
	v_cmp_eq_u32_sdwa s[0:1], v46, v11 src0_sel:WORD_0 src1_sel:DWORD
	s_nop 1
	v_cndmask_b32_e64 v42, v42, v46, s[0:1]
; %bb.292:                              ;   in Loop: Header=BB331_140 Depth=1
	s_or_b64 exec, exec, s[10:11]
	v_lshlrev_b32_e32 v43, 16, v43
	v_mul_f32_e32 v46, v37, v43
	v_and_b32_e32 v43, 0x7f800000, v46
	v_cmp_ne_u32_e64 s[0:1], s13, v43
                                        ; implicit-def: $vgpr43
	s_and_saveexec_b64 s[10:11], s[0:1]
	s_xor_b64 s[0:1], exec, s[10:11]
; %bb.293:                              ;   in Loop: Header=BB331_140 Depth=1
	v_bfe_u32 v43, v46, 16, 1
	v_add3_u32 v43, v46, v43, s14
                                        ; implicit-def: $vgpr46
; %bb.294:                              ;   in Loop: Header=BB331_140 Depth=1
	s_andn2_saveexec_b64 s[10:11], s[0:1]
; %bb.295:                              ;   in Loop: Header=BB331_140 Depth=1
	v_or_b32_e32 v43, 0x10000, v46
	v_cmp_eq_u32_sdwa s[0:1], v46, v11 src0_sel:WORD_0 src1_sel:DWORD
	s_nop 1
	v_cndmask_b32_e64 v43, v43, v46, s[0:1]
; %bb.296:                              ;   in Loop: Header=BB331_140 Depth=1
	s_or_b64 exec, exec, s[10:11]
	v_lshlrev_b32_e32 v44, 16, v44
	v_mul_f32_e32 v46, v38, v44
	v_and_b32_e32 v44, 0x7f800000, v46
	v_cmp_ne_u32_e64 s[0:1], s13, v44
                                        ; implicit-def: $vgpr44
	s_and_saveexec_b64 s[10:11], s[0:1]
	s_xor_b64 s[0:1], exec, s[10:11]
; %bb.297:                              ;   in Loop: Header=BB331_140 Depth=1
	v_bfe_u32 v44, v46, 16, 1
	v_add3_u32 v44, v46, v44, s14
                                        ; implicit-def: $vgpr46
; %bb.298:                              ;   in Loop: Header=BB331_140 Depth=1
	s_andn2_saveexec_b64 s[10:11], s[0:1]
; %bb.299:                              ;   in Loop: Header=BB331_140 Depth=1
	v_or_b32_e32 v44, 0x10000, v46
	v_cmp_eq_u32_sdwa s[0:1], v46, v11 src0_sel:WORD_0 src1_sel:DWORD
	s_nop 1
	v_cndmask_b32_e64 v44, v44, v46, s[0:1]
; %bb.300:                              ;   in Loop: Header=BB331_140 Depth=1
	s_or_b64 exec, exec, s[10:11]
	v_lshlrev_b32_e32 v45, 16, v45
	v_mul_f32_e32 v46, v39, v45
	v_and_b32_e32 v45, 0x7f800000, v46
	v_cmp_ne_u32_e64 s[0:1], s13, v45
                                        ; implicit-def: $vgpr45
	s_and_saveexec_b64 s[10:11], s[0:1]
	s_xor_b64 s[0:1], exec, s[10:11]
; %bb.301:                              ;   in Loop: Header=BB331_140 Depth=1
	v_bfe_u32 v45, v46, 16, 1
	v_add3_u32 v45, v46, v45, s14
                                        ; implicit-def: $vgpr46
; %bb.302:                              ;   in Loop: Header=BB331_140 Depth=1
	s_andn2_saveexec_b64 s[10:11], s[0:1]
; %bb.303:                              ;   in Loop: Header=BB331_140 Depth=1
	v_or_b32_e32 v45, 0x10000, v46
	v_cmp_eq_u32_sdwa s[0:1], v46, v11 src0_sel:WORD_0 src1_sel:DWORD
	s_nop 1
	v_cndmask_b32_e64 v45, v45, v46, s[0:1]
; %bb.304:                              ;   in Loop: Header=BB331_140 Depth=1
	s_or_b64 exec, exec, s[10:11]
	global_load_dwordx2 v[2:3], v[2:3], off offset:1024
	s_waitcnt vmcnt(0)
	v_and_b32_e32 v46, 0xff, v2
	v_cvt_f32_fp8_sdwa v46, v46 src0_sel:BYTE_0
	s_nop 0
	v_mul_f32_e32 v47, s7, v46
	v_and_b32_e32 v46, 0x7f800000, v47
	v_cmp_ne_u32_e64 s[0:1], s13, v46
                                        ; implicit-def: $vgpr46
	s_and_saveexec_b64 s[10:11], s[0:1]
	s_xor_b64 s[0:1], exec, s[10:11]
; %bb.305:                              ;   in Loop: Header=BB331_140 Depth=1
	v_bfe_u32 v46, v47, 16, 1
	v_add3_u32 v46, v47, v46, s14
                                        ; implicit-def: $vgpr47
; %bb.306:                              ;   in Loop: Header=BB331_140 Depth=1
	s_andn2_saveexec_b64 s[10:11], s[0:1]
; %bb.307:                              ;   in Loop: Header=BB331_140 Depth=1
	v_or_b32_e32 v46, 0x10000, v47
	v_cmp_eq_u32_sdwa s[0:1], v47, v11 src0_sel:WORD_0 src1_sel:DWORD
	s_nop 1
	v_cndmask_b32_e64 v46, v46, v47, s[0:1]
; %bb.308:                              ;   in Loop: Header=BB331_140 Depth=1
	s_or_b64 exec, exec, s[10:11]
	v_bfe_u32 v47, v2, 8, 8
	v_cvt_f32_fp8_sdwa v47, v47 src0_sel:BYTE_0
	s_nop 0
	v_mul_f32_e32 v48, s7, v47
	v_and_b32_e32 v47, 0x7f800000, v48
	v_cmp_ne_u32_e64 s[0:1], s13, v47
                                        ; implicit-def: $vgpr47
	s_and_saveexec_b64 s[10:11], s[0:1]
	s_xor_b64 s[0:1], exec, s[10:11]
; %bb.309:                              ;   in Loop: Header=BB331_140 Depth=1
	v_bfe_u32 v47, v48, 16, 1
	v_add3_u32 v47, v48, v47, s14
                                        ; implicit-def: $vgpr48
; %bb.310:                              ;   in Loop: Header=BB331_140 Depth=1
	s_andn2_saveexec_b64 s[10:11], s[0:1]
; %bb.311:                              ;   in Loop: Header=BB331_140 Depth=1
	v_or_b32_e32 v47, 0x10000, v48
	v_cmp_eq_u32_sdwa s[0:1], v48, v11 src0_sel:WORD_0 src1_sel:DWORD
	s_nop 1
	v_cndmask_b32_e64 v47, v47, v48, s[0:1]
; %bb.312:                              ;   in Loop: Header=BB331_140 Depth=1
	s_or_b64 exec, exec, s[10:11]
	v_bfe_u32 v48, v2, 16, 8
	v_cvt_f32_fp8_sdwa v48, v48 src0_sel:BYTE_0
	s_nop 0
	v_mul_f32_e32 v48, s7, v48
	v_and_b32_e32 v49, 0x7f800000, v48
	v_cmp_ne_u32_e64 s[0:1], s13, v49
                                        ; implicit-def: $vgpr49
	s_and_saveexec_b64 s[10:11], s[0:1]
	s_xor_b64 s[0:1], exec, s[10:11]
; %bb.313:                              ;   in Loop: Header=BB331_140 Depth=1
	v_bfe_u32 v49, v48, 16, 1
	v_add3_u32 v49, v48, v49, s14
                                        ; implicit-def: $vgpr48
; %bb.314:                              ;   in Loop: Header=BB331_140 Depth=1
	s_andn2_saveexec_b64 s[10:11], s[0:1]
; %bb.315:                              ;   in Loop: Header=BB331_140 Depth=1
	v_or_b32_e32 v49, 0x10000, v48
	v_cmp_eq_u32_sdwa s[0:1], v48, v11 src0_sel:WORD_0 src1_sel:DWORD
	s_nop 1
	v_cndmask_b32_e64 v49, v49, v48, s[0:1]
; %bb.316:                              ;   in Loop: Header=BB331_140 Depth=1
	s_or_b64 exec, exec, s[10:11]
	v_lshrrev_b32_e32 v2, 24, v2
	v_cvt_f32_fp8_sdwa v2, v2 src0_sel:BYTE_0
	s_nop 0
	v_mul_f32_e32 v48, s7, v2
	v_and_b32_e32 v2, 0x7f800000, v48
	v_cmp_ne_u32_e64 s[0:1], s13, v2
                                        ; implicit-def: $vgpr2
	s_and_saveexec_b64 s[10:11], s[0:1]
	s_xor_b64 s[0:1], exec, s[10:11]
; %bb.317:                              ;   in Loop: Header=BB331_140 Depth=1
	v_bfe_u32 v2, v48, 16, 1
	v_add3_u32 v2, v48, v2, s14
                                        ; implicit-def: $vgpr48
; %bb.318:                              ;   in Loop: Header=BB331_140 Depth=1
	s_andn2_saveexec_b64 s[10:11], s[0:1]
; %bb.319:                              ;   in Loop: Header=BB331_140 Depth=1
	v_or_b32_e32 v2, 0x10000, v48
	v_cmp_eq_u32_sdwa s[0:1], v48, v11 src0_sel:WORD_0 src1_sel:DWORD
	s_nop 1
	v_cndmask_b32_e64 v2, v2, v48, s[0:1]
; %bb.320:                              ;   in Loop: Header=BB331_140 Depth=1
	s_or_b64 exec, exec, s[10:11]
	v_and_b32_e32 v48, 0xff, v3
	v_cvt_f32_fp8_sdwa v48, v48 src0_sel:BYTE_0
	s_nop 0
	v_mul_f32_e32 v48, s7, v48
	v_and_b32_e32 v50, 0x7f800000, v48
	v_cmp_ne_u32_e64 s[0:1], s13, v50
                                        ; implicit-def: $vgpr50
	s_and_saveexec_b64 s[10:11], s[0:1]
	s_xor_b64 s[0:1], exec, s[10:11]
; %bb.321:                              ;   in Loop: Header=BB331_140 Depth=1
	v_bfe_u32 v50, v48, 16, 1
	v_add3_u32 v50, v48, v50, s14
                                        ; implicit-def: $vgpr48
; %bb.322:                              ;   in Loop: Header=BB331_140 Depth=1
	s_andn2_saveexec_b64 s[10:11], s[0:1]
; %bb.323:                              ;   in Loop: Header=BB331_140 Depth=1
	v_or_b32_e32 v50, 0x10000, v48
	v_cmp_eq_u32_sdwa s[0:1], v48, v11 src0_sel:WORD_0 src1_sel:DWORD
	s_nop 1
	v_cndmask_b32_e64 v50, v50, v48, s[0:1]
; %bb.324:                              ;   in Loop: Header=BB331_140 Depth=1
	s_or_b64 exec, exec, s[10:11]
	v_bfe_u32 v48, v3, 8, 8
	v_cvt_f32_fp8_sdwa v48, v48 src0_sel:BYTE_0
	s_nop 0
	v_mul_f32_e32 v51, s7, v48
	v_and_b32_e32 v48, 0x7f800000, v51
	v_cmp_ne_u32_e64 s[0:1], s13, v48
                                        ; implicit-def: $vgpr48
	s_and_saveexec_b64 s[10:11], s[0:1]
	s_xor_b64 s[0:1], exec, s[10:11]
; %bb.325:                              ;   in Loop: Header=BB331_140 Depth=1
	v_bfe_u32 v48, v51, 16, 1
	v_add3_u32 v48, v51, v48, s14
                                        ; implicit-def: $vgpr51
; %bb.326:                              ;   in Loop: Header=BB331_140 Depth=1
	s_andn2_saveexec_b64 s[10:11], s[0:1]
; %bb.327:                              ;   in Loop: Header=BB331_140 Depth=1
	v_or_b32_e32 v48, 0x10000, v51
	v_cmp_eq_u32_sdwa s[0:1], v51, v11 src0_sel:WORD_0 src1_sel:DWORD
	s_nop 1
	v_cndmask_b32_e64 v48, v48, v51, s[0:1]
; %bb.328:                              ;   in Loop: Header=BB331_140 Depth=1
	s_or_b64 exec, exec, s[10:11]
	v_bfe_u32 v51, v3, 16, 8
	v_cvt_f32_fp8_sdwa v51, v51 src0_sel:BYTE_0
	s_nop 0
	v_mul_f32_e32 v51, s7, v51
	v_and_b32_e32 v52, 0x7f800000, v51
	v_cmp_ne_u32_e64 s[0:1], s13, v52
                                        ; implicit-def: $vgpr52
	s_and_saveexec_b64 s[10:11], s[0:1]
	s_xor_b64 s[0:1], exec, s[10:11]
; %bb.329:                              ;   in Loop: Header=BB331_140 Depth=1
	v_bfe_u32 v52, v51, 16, 1
	v_add3_u32 v52, v51, v52, s14
                                        ; implicit-def: $vgpr51
; %bb.330:                              ;   in Loop: Header=BB331_140 Depth=1
	s_andn2_saveexec_b64 s[10:11], s[0:1]
; %bb.331:                              ;   in Loop: Header=BB331_140 Depth=1
	v_or_b32_e32 v52, 0x10000, v51
	v_cmp_eq_u32_sdwa s[0:1], v51, v11 src0_sel:WORD_0 src1_sel:DWORD
	s_nop 1
	v_cndmask_b32_e64 v52, v52, v51, s[0:1]
; %bb.332:                              ;   in Loop: Header=BB331_140 Depth=1
	s_or_b64 exec, exec, s[10:11]
	v_lshrrev_b32_e32 v3, 24, v3
	v_cvt_f32_fp8_sdwa v3, v3 src0_sel:BYTE_0
	s_nop 0
	v_mul_f32_e32 v51, s7, v3
	v_and_b32_e32 v3, 0x7f800000, v51
	v_cmp_ne_u32_e64 s[0:1], s13, v3
                                        ; implicit-def: $vgpr3
	s_and_saveexec_b64 s[10:11], s[0:1]
	s_xor_b64 s[0:1], exec, s[10:11]
; %bb.333:                              ;   in Loop: Header=BB331_140 Depth=1
	v_bfe_u32 v3, v51, 16, 1
	v_add3_u32 v3, v51, v3, s14
                                        ; implicit-def: $vgpr51
; %bb.334:                              ;   in Loop: Header=BB331_140 Depth=1
	s_andn2_saveexec_b64 s[10:11], s[0:1]
; %bb.335:                              ;   in Loop: Header=BB331_140 Depth=1
	v_or_b32_e32 v3, 0x10000, v51
	v_cmp_eq_u32_sdwa s[0:1], v51, v11 src0_sel:WORD_0 src1_sel:DWORD
	s_nop 1
	v_cndmask_b32_e64 v3, v3, v51, s[0:1]
; %bb.336:                              ;   in Loop: Header=BB331_140 Depth=1
	s_or_b64 exec, exec, s[10:11]
	v_lshrrev_b32_e32 v48, 16, v48
	v_lshrrev_b32_e32 v50, 16, v50
	;; [unrolled: 1-line block ×8, first 2 shown]
	s_and_saveexec_b64 s[0:1], vcc
	s_cbranch_execz .LBB331_338
; %bb.337:                              ;   in Loop: Header=BB331_140 Depth=1
	v_cmp_gt_i32_e32 vcc, s35, v24
	s_nop 1
	v_cndmask_b32_e32 v2, 0, v2, vcc
	v_cmp_gt_i32_e32 vcc, s35, v30
	s_nop 1
	v_cndmask_b32_e32 v47, 0, v47, vcc
	v_cmp_gt_i32_e32 vcc, s35, v29
	s_nop 1
	v_cndmask_b32_e32 v49, 0, v49, vcc
	v_cmp_gt_i32_e32 vcc, s35, v28
	s_nop 1
	v_cndmask_b32_e32 v51, 0, v51, vcc
	v_cmp_gt_i32_e32 vcc, s35, v27
	s_nop 1
	v_cndmask_b32_e32 v50, 0, v50, vcc
	v_cmp_gt_i32_e32 vcc, s35, v26
	s_nop 1
	v_cndmask_b32_e32 v48, 0, v48, vcc
	v_cmp_gt_i32_e32 vcc, s35, v25
	s_nop 1
	v_cndmask_b32_e32 v46, 0, v46, vcc
	v_cmp_gt_i32_e32 vcc, s35, v20
	s_nop 1
	v_cndmask_b32_e32 v3, 0, v3, vcc
.LBB331_338:                            ;   in Loop: Header=BB331_140 Depth=1
	s_or_b64 exec, exec, s[0:1]
	v_lshlrev_b32_e32 v2, 16, v2
	v_mul_f32_e32 v24, v32, v2
	v_and_b32_e32 v2, 0x7f800000, v24
	v_cmp_ne_u32_e32 vcc, s13, v2
                                        ; implicit-def: $vgpr2
	s_and_saveexec_b64 s[0:1], vcc
	s_xor_b64 s[0:1], exec, s[0:1]
; %bb.339:                              ;   in Loop: Header=BB331_140 Depth=1
	v_bfe_u32 v2, v24, 16, 1
	v_add3_u32 v2, v24, v2, s14
                                        ; implicit-def: $vgpr24
; %bb.340:                              ;   in Loop: Header=BB331_140 Depth=1
	s_andn2_saveexec_b64 s[0:1], s[0:1]
; %bb.341:                              ;   in Loop: Header=BB331_140 Depth=1
	v_or_b32_e32 v2, 0x10000, v24
	v_cmp_eq_u32_sdwa vcc, v24, v11 src0_sel:WORD_0 src1_sel:DWORD
	s_nop 1
	v_cndmask_b32_e32 v2, v2, v24, vcc
; %bb.342:                              ;   in Loop: Header=BB331_140 Depth=1
	s_or_b64 exec, exec, s[0:1]
	v_lshlrev_b32_e32 v24, 16, v47
	v_mul_f32_e32 v25, v33, v24
	v_and_b32_e32 v24, 0x7f800000, v25
	v_cmp_ne_u32_e32 vcc, s13, v24
                                        ; implicit-def: $vgpr24
	s_and_saveexec_b64 s[0:1], vcc
	s_xor_b64 s[0:1], exec, s[0:1]
; %bb.343:                              ;   in Loop: Header=BB331_140 Depth=1
	v_bfe_u32 v24, v25, 16, 1
	v_add3_u32 v24, v25, v24, s14
                                        ; implicit-def: $vgpr25
; %bb.344:                              ;   in Loop: Header=BB331_140 Depth=1
	s_andn2_saveexec_b64 s[0:1], s[0:1]
; %bb.345:                              ;   in Loop: Header=BB331_140 Depth=1
	v_or_b32_e32 v24, 0x10000, v25
	v_cmp_eq_u32_sdwa vcc, v25, v11 src0_sel:WORD_0 src1_sel:DWORD
	s_nop 1
	v_cndmask_b32_e32 v24, v24, v25, vcc
; %bb.346:                              ;   in Loop: Header=BB331_140 Depth=1
	s_or_b64 exec, exec, s[0:1]
	v_lshlrev_b32_e32 v25, 16, v49
	v_mul_f32_e32 v26, v34, v25
	v_and_b32_e32 v25, 0x7f800000, v26
	v_cmp_ne_u32_e32 vcc, s13, v25
                                        ; implicit-def: $vgpr25
	s_and_saveexec_b64 s[0:1], vcc
	s_xor_b64 s[0:1], exec, s[0:1]
; %bb.347:                              ;   in Loop: Header=BB331_140 Depth=1
	v_bfe_u32 v25, v26, 16, 1
	v_add3_u32 v25, v26, v25, s14
                                        ; implicit-def: $vgpr26
; %bb.348:                              ;   in Loop: Header=BB331_140 Depth=1
	s_andn2_saveexec_b64 s[0:1], s[0:1]
; %bb.349:                              ;   in Loop: Header=BB331_140 Depth=1
	v_or_b32_e32 v25, 0x10000, v26
	v_cmp_eq_u32_sdwa vcc, v26, v11 src0_sel:WORD_0 src1_sel:DWORD
	s_nop 1
	v_cndmask_b32_e32 v25, v25, v26, vcc
; %bb.350:                              ;   in Loop: Header=BB331_140 Depth=1
	s_or_b64 exec, exec, s[0:1]
	v_lshlrev_b32_e32 v26, 16, v51
	v_mul_f32_e32 v27, v35, v26
	v_and_b32_e32 v26, 0x7f800000, v27
	v_cmp_ne_u32_e32 vcc, s13, v26
                                        ; implicit-def: $vgpr26
	s_and_saveexec_b64 s[0:1], vcc
	s_xor_b64 s[0:1], exec, s[0:1]
; %bb.351:                              ;   in Loop: Header=BB331_140 Depth=1
	v_bfe_u32 v26, v27, 16, 1
	v_add3_u32 v26, v27, v26, s14
                                        ; implicit-def: $vgpr27
; %bb.352:                              ;   in Loop: Header=BB331_140 Depth=1
	s_andn2_saveexec_b64 s[0:1], s[0:1]
; %bb.353:                              ;   in Loop: Header=BB331_140 Depth=1
	v_or_b32_e32 v26, 0x10000, v27
	v_cmp_eq_u32_sdwa vcc, v27, v11 src0_sel:WORD_0 src1_sel:DWORD
	s_nop 1
	v_cndmask_b32_e32 v26, v26, v27, vcc
; %bb.354:                              ;   in Loop: Header=BB331_140 Depth=1
	s_or_b64 exec, exec, s[0:1]
	v_lshlrev_b32_e32 v27, 16, v50
	v_mul_f32_e32 v28, v36, v27
	v_and_b32_e32 v27, 0x7f800000, v28
	v_cmp_ne_u32_e32 vcc, s13, v27
                                        ; implicit-def: $vgpr27
	s_and_saveexec_b64 s[0:1], vcc
	s_xor_b64 s[0:1], exec, s[0:1]
; %bb.355:                              ;   in Loop: Header=BB331_140 Depth=1
	v_bfe_u32 v27, v28, 16, 1
	v_add3_u32 v27, v28, v27, s14
                                        ; implicit-def: $vgpr28
; %bb.356:                              ;   in Loop: Header=BB331_140 Depth=1
	s_andn2_saveexec_b64 s[0:1], s[0:1]
; %bb.357:                              ;   in Loop: Header=BB331_140 Depth=1
	v_or_b32_e32 v27, 0x10000, v28
	v_cmp_eq_u32_sdwa vcc, v28, v11 src0_sel:WORD_0 src1_sel:DWORD
	s_nop 1
	v_cndmask_b32_e32 v27, v27, v28, vcc
; %bb.358:                              ;   in Loop: Header=BB331_140 Depth=1
	s_or_b64 exec, exec, s[0:1]
	v_lshlrev_b32_e32 v28, 16, v48
	v_mul_f32_e32 v29, v37, v28
	v_and_b32_e32 v28, 0x7f800000, v29
	v_cmp_ne_u32_e32 vcc, s13, v28
                                        ; implicit-def: $vgpr28
	s_and_saveexec_b64 s[0:1], vcc
	s_xor_b64 s[0:1], exec, s[0:1]
; %bb.359:                              ;   in Loop: Header=BB331_140 Depth=1
	v_bfe_u32 v28, v29, 16, 1
	v_add3_u32 v28, v29, v28, s14
                                        ; implicit-def: $vgpr29
; %bb.360:                              ;   in Loop: Header=BB331_140 Depth=1
	s_andn2_saveexec_b64 s[0:1], s[0:1]
; %bb.361:                              ;   in Loop: Header=BB331_140 Depth=1
	v_or_b32_e32 v28, 0x10000, v29
	v_cmp_eq_u32_sdwa vcc, v29, v11 src0_sel:WORD_0 src1_sel:DWORD
	s_nop 1
	v_cndmask_b32_e32 v28, v28, v29, vcc
; %bb.362:                              ;   in Loop: Header=BB331_140 Depth=1
	s_or_b64 exec, exec, s[0:1]
	v_lshlrev_b32_e32 v29, 16, v46
	v_mul_f32_e32 v30, v38, v29
	v_and_b32_e32 v29, 0x7f800000, v30
	v_cmp_ne_u32_e32 vcc, s13, v29
                                        ; implicit-def: $vgpr29
	s_and_saveexec_b64 s[0:1], vcc
	s_xor_b64 s[0:1], exec, s[0:1]
; %bb.363:                              ;   in Loop: Header=BB331_140 Depth=1
	v_bfe_u32 v29, v30, 16, 1
	v_add3_u32 v29, v30, v29, s14
                                        ; implicit-def: $vgpr30
; %bb.364:                              ;   in Loop: Header=BB331_140 Depth=1
	s_andn2_saveexec_b64 s[0:1], s[0:1]
; %bb.365:                              ;   in Loop: Header=BB331_140 Depth=1
	v_or_b32_e32 v29, 0x10000, v30
	v_cmp_eq_u32_sdwa vcc, v30, v11 src0_sel:WORD_0 src1_sel:DWORD
	s_nop 1
	v_cndmask_b32_e32 v29, v29, v30, vcc
; %bb.366:                              ;   in Loop: Header=BB331_140 Depth=1
	s_or_b64 exec, exec, s[0:1]
	v_lshlrev_b32_e32 v3, 16, v3
	v_mul_f32_e32 v30, v39, v3
	v_and_b32_e32 v3, 0x7f800000, v30
	v_cmp_ne_u32_e32 vcc, s13, v3
                                        ; implicit-def: $vgpr3
	s_and_saveexec_b64 s[0:1], vcc
	s_xor_b64 s[0:1], exec, s[0:1]
; %bb.367:                              ;   in Loop: Header=BB331_140 Depth=1
	v_bfe_u32 v3, v30, 16, 1
	v_add3_u32 v3, v30, v3, s14
                                        ; implicit-def: $vgpr30
; %bb.368:                              ;   in Loop: Header=BB331_140 Depth=1
	s_andn2_saveexec_b64 s[0:1], s[0:1]
	s_cbranch_execz .LBB331_139
; %bb.369:                              ;   in Loop: Header=BB331_140 Depth=1
	v_or_b32_e32 v3, 0x10000, v30
	v_cmp_eq_u32_sdwa vcc, v30, v11 src0_sel:WORD_0 src1_sel:DWORD
	s_nop 1
	v_cndmask_b32_e32 v3, v3, v30, vcc
	s_branch .LBB331_139
.LBB331_370:
	s_or_b64 exec, exec, s[8:9]
.LBB331_371:
	s_or_b64 exec, exec, s[2:3]
	v_and_b32_e32 v2, 0x3c0, v0
	v_cmp_eq_u32_e32 vcc, 64, v2
	s_barrier
	s_and_saveexec_b64 s[0:1], vcc
	s_cbranch_execz .LBB331_373
; %bb.372:
	v_mov_b32_e32 v2, 0x190
	v_lshl_add_u32 v1, v1, 2, v2
	v_lshl_add_u32 v2, v0, 2, v2
	ds_write_b32 v1, v14
	ds_write_b32 v2, v15
	ds_write_b32 v1, v10 offset:512
.LBB331_373:
	s_or_b64 exec, exec, s[0:1]
	v_cmp_gt_u32_e32 vcc, 64, v0
	s_waitcnt lgkmcnt(0)
	s_barrier
	s_and_saveexec_b64 s[0:1], vcc
	s_cbranch_execz .LBB331_375
; %bb.374:
	v_mov_b32_e32 v1, 0x190
	v_lshl_add_u32 v1, v0, 2, v1
	ds_read2st64_b32 v[2:3], v1 offset1:1
	ds_read_b32 v1, v1 offset:512
	s_waitcnt lgkmcnt(1)
	v_pk_add_f32 v[14:15], v[14:15], v[2:3]
	s_waitcnt lgkmcnt(0)
	v_add_f32_e32 v10, v10, v1
.LBB331_375:
	s_or_b64 exec, exec, s[0:1]
	s_barrier
	s_and_saveexec_b64 s[0:1], vcc
	s_cbranch_execz .LBB331_389
; %bb.376:
	s_mov_b32 s0, 0x7f800000
	v_and_b32_e32 v1, 0x7f800000, v14
	v_cmp_ne_u32_e32 vcc, s0, v1
                                        ; implicit-def: $vgpr2
	s_and_saveexec_b64 s[0:1], vcc
	s_xor_b64 s[0:1], exec, s[0:1]
; %bb.377:
	v_bfe_u32 v1, v14, 16, 1
	s_movk_i32 s2, 0x7fff
	v_add3_u32 v2, v14, v1, s2
; %bb.378:
	s_andn2_saveexec_b64 s[0:1], s[0:1]
; %bb.379:
	v_mov_b32_e32 v1, 0
	v_or_b32_e32 v2, 0x10000, v14
	v_cmp_eq_u32_sdwa vcc, v14, v1 src0_sel:WORD_0 src1_sel:DWORD
	s_nop 1
	v_cndmask_b32_e32 v2, v2, v14, vcc
; %bb.380:
	s_or_b64 exec, exec, s[0:1]
	s_mul_i32 s0, s6, 0xc0
	s_ashr_i32 s1, s0, 31
	s_lshl_b64 s[0:1], s[0:1], 1
	s_add_u32 s2, s28, s0
	s_mul_i32 s0, s33, s30
	s_addc_u32 s3, s29, s1
	s_ashr_i32 s1, s0, 31
	s_lshl_b64 s[0:1], s[0:1], 1
	s_add_u32 s2, s2, s0
	s_mul_i32 s0, s4, 0xc0
	s_addc_u32 s3, s3, s1
	s_ashr_i32 s1, s0, 31
	s_lshl_b64 s[0:1], s[0:1], 1
	s_add_u32 s0, s2, s0
	s_addc_u32 s1, s3, s1
	v_lshlrev_b32_e32 v0, 1, v0
	global_store_short_d16_hi v0, v2, s[0:1]
	s_mov_b32 s2, 0x7f800000
	v_and_b32_e32 v2, 0x7f800000, v15
	v_mov_b32_e32 v1, 0
	v_cmp_ne_u32_e32 vcc, s2, v2
                                        ; implicit-def: $vgpr2
	s_and_saveexec_b64 s[2:3], vcc
	s_xor_b64 s[2:3], exec, s[2:3]
; %bb.381:
	v_bfe_u32 v2, v15, 16, 1
	s_movk_i32 s4, 0x7fff
	v_add3_u32 v2, v15, v2, s4
; %bb.382:
	s_or_saveexec_b64 s[2:3], s[2:3]
	v_lshl_add_u64 v[0:1], s[0:1], 0, v[0:1]
	s_xor_b64 exec, exec, s[2:3]
; %bb.383:
	v_mov_b32_e32 v2, 0
	v_or_b32_e32 v3, 0x10000, v15
	v_cmp_eq_u32_sdwa vcc, v15, v2 src0_sel:WORD_0 src1_sel:DWORD
	s_nop 1
	v_cndmask_b32_e32 v2, v3, v15, vcc
; %bb.384:
	s_or_b64 exec, exec, s[2:3]
	global_store_short_d16_hi v[0:1], v2, off offset:128
	s_mov_b32 s0, 0x7f800000
	v_and_b32_e32 v2, 0x7f800000, v10
	v_cmp_ne_u32_e32 vcc, s0, v2
                                        ; implicit-def: $vgpr2
	s_and_saveexec_b64 s[0:1], vcc
	s_xor_b64 s[0:1], exec, s[0:1]
; %bb.385:
	v_bfe_u32 v2, v10, 16, 1
	s_movk_i32 s2, 0x7fff
	v_add3_u32 v2, v10, v2, s2
                                        ; implicit-def: $vgpr8_vgpr9_vgpr10
; %bb.386:
	s_andn2_saveexec_b64 s[0:1], s[0:1]
; %bb.387:
	v_mov_b32_e32 v2, 0
	v_or_b32_e32 v3, 0x10000, v10
	v_cmp_eq_u32_sdwa vcc, v10, v2 src0_sel:WORD_0 src1_sel:DWORD
	s_nop 1
	v_cndmask_b32_e32 v2, v3, v10, vcc
; %bb.388:
	s_or_b64 exec, exec, s[0:1]
	global_store_short_d16_hi v[0:1], v2, off offset:256
.LBB331_389:
	s_endpgm
	.section	.rodata,"a",@progbits
	.p2align	6, 0x0
	.amdhsa_kernel _ZN4vllm25paged_attention_v2_kernelI14__hip_bfloat16hLi192ELi8ELi128ELNS_18Fp8KVCacheDataTypeE1ELb0ELi512EEEvPfS3_PT_PKS4_PKT0_SA_ifPKiSC_iPKfiiiSE_SE_iiiii
		.amdhsa_group_segment_fixed_size 400
		.amdhsa_private_segment_fixed_size 0
		.amdhsa_kernarg_size 400
		.amdhsa_user_sgpr_count 2
		.amdhsa_user_sgpr_dispatch_ptr 0
		.amdhsa_user_sgpr_queue_ptr 0
		.amdhsa_user_sgpr_kernarg_segment_ptr 1
		.amdhsa_user_sgpr_dispatch_id 0
		.amdhsa_user_sgpr_kernarg_preload_length 0
		.amdhsa_user_sgpr_kernarg_preload_offset 0
		.amdhsa_user_sgpr_private_segment_size 0
		.amdhsa_uses_dynamic_stack 0
		.amdhsa_enable_private_segment 0
		.amdhsa_system_sgpr_workgroup_id_x 1
		.amdhsa_system_sgpr_workgroup_id_y 1
		.amdhsa_system_sgpr_workgroup_id_z 1
		.amdhsa_system_sgpr_workgroup_info 0
		.amdhsa_system_vgpr_workitem_id 0
		.amdhsa_next_free_vgpr 70
		.amdhsa_next_free_sgpr 47
		.amdhsa_accum_offset 72
		.amdhsa_reserve_vcc 1
		.amdhsa_float_round_mode_32 0
		.amdhsa_float_round_mode_16_64 0
		.amdhsa_float_denorm_mode_32 3
		.amdhsa_float_denorm_mode_16_64 3
		.amdhsa_dx10_clamp 1
		.amdhsa_ieee_mode 1
		.amdhsa_fp16_overflow 0
		.amdhsa_tg_split 0
		.amdhsa_exception_fp_ieee_invalid_op 0
		.amdhsa_exception_fp_denorm_src 0
		.amdhsa_exception_fp_ieee_div_zero 0
		.amdhsa_exception_fp_ieee_overflow 0
		.amdhsa_exception_fp_ieee_underflow 0
		.amdhsa_exception_fp_ieee_inexact 0
		.amdhsa_exception_int_div_zero 0
	.end_amdhsa_kernel
	.section	.text._ZN4vllm25paged_attention_v2_kernelI14__hip_bfloat16hLi192ELi8ELi128ELNS_18Fp8KVCacheDataTypeE1ELb0ELi512EEEvPfS3_PT_PKS4_PKT0_SA_ifPKiSC_iPKfiiiSE_SE_iiiii,"axG",@progbits,_ZN4vllm25paged_attention_v2_kernelI14__hip_bfloat16hLi192ELi8ELi128ELNS_18Fp8KVCacheDataTypeE1ELb0ELi512EEEvPfS3_PT_PKS4_PKT0_SA_ifPKiSC_iPKfiiiSE_SE_iiiii,comdat
.Lfunc_end331:
	.size	_ZN4vllm25paged_attention_v2_kernelI14__hip_bfloat16hLi192ELi8ELi128ELNS_18Fp8KVCacheDataTypeE1ELb0ELi512EEEvPfS3_PT_PKS4_PKT0_SA_ifPKiSC_iPKfiiiSE_SE_iiiii, .Lfunc_end331-_ZN4vllm25paged_attention_v2_kernelI14__hip_bfloat16hLi192ELi8ELi128ELNS_18Fp8KVCacheDataTypeE1ELb0ELi512EEEvPfS3_PT_PKS4_PKT0_SA_ifPKiSC_iPKfiiiSE_SE_iiiii
                                        ; -- End function
	.section	.AMDGPU.csdata,"",@progbits
; Kernel info:
; codeLenInByte = 12124
; NumSgprs: 53
; NumVgprs: 70
; NumAgprs: 0
; TotalNumVgprs: 70
; ScratchSize: 0
; MemoryBound: 0
; FloatMode: 240
; IeeeMode: 1
; LDSByteSize: 400 bytes/workgroup (compile time only)
; SGPRBlocks: 6
; VGPRBlocks: 8
; NumSGPRsForWavesPerEU: 53
; NumVGPRsForWavesPerEU: 70
; AccumOffset: 72
; Occupancy: 7
; WaveLimiterHint : 1
; COMPUTE_PGM_RSRC2:SCRATCH_EN: 0
; COMPUTE_PGM_RSRC2:USER_SGPR: 2
; COMPUTE_PGM_RSRC2:TRAP_HANDLER: 0
; COMPUTE_PGM_RSRC2:TGID_X_EN: 1
; COMPUTE_PGM_RSRC2:TGID_Y_EN: 1
; COMPUTE_PGM_RSRC2:TGID_Z_EN: 1
; COMPUTE_PGM_RSRC2:TIDIG_COMP_CNT: 0
; COMPUTE_PGM_RSRC3_GFX90A:ACCUM_OFFSET: 17
; COMPUTE_PGM_RSRC3_GFX90A:TG_SPLIT: 0
	.section	.text._ZN4vllm25paged_attention_v2_kernelI14__hip_bfloat16hLi256ELi8ELi128ELNS_18Fp8KVCacheDataTypeE1ELb0ELi512EEEvPfS3_PT_PKS4_PKT0_SA_ifPKiSC_iPKfiiiSE_SE_iiiii,"axG",@progbits,_ZN4vllm25paged_attention_v2_kernelI14__hip_bfloat16hLi256ELi8ELi128ELNS_18Fp8KVCacheDataTypeE1ELb0ELi512EEEvPfS3_PT_PKS4_PKT0_SA_ifPKiSC_iPKfiiiSE_SE_iiiii,comdat
	.protected	_ZN4vllm25paged_attention_v2_kernelI14__hip_bfloat16hLi256ELi8ELi128ELNS_18Fp8KVCacheDataTypeE1ELb0ELi512EEEvPfS3_PT_PKS4_PKT0_SA_ifPKiSC_iPKfiiiSE_SE_iiiii ; -- Begin function _ZN4vllm25paged_attention_v2_kernelI14__hip_bfloat16hLi256ELi8ELi128ELNS_18Fp8KVCacheDataTypeE1ELb0ELi512EEEvPfS3_PT_PKS4_PKT0_SA_ifPKiSC_iPKfiiiSE_SE_iiiii
	.globl	_ZN4vllm25paged_attention_v2_kernelI14__hip_bfloat16hLi256ELi8ELi128ELNS_18Fp8KVCacheDataTypeE1ELb0ELi512EEEvPfS3_PT_PKS4_PKT0_SA_ifPKiSC_iPKfiiiSE_SE_iiiii
	.p2align	8
	.type	_ZN4vllm25paged_attention_v2_kernelI14__hip_bfloat16hLi256ELi8ELi128ELNS_18Fp8KVCacheDataTypeE1ELb0ELi512EEEvPfS3_PT_PKS4_PKT0_SA_ifPKiSC_iPKfiiiSE_SE_iiiii,@function
_ZN4vllm25paged_attention_v2_kernelI14__hip_bfloat16hLi256ELi8ELi128ELNS_18Fp8KVCacheDataTypeE1ELb0ELi512EEEvPfS3_PT_PKS4_PKT0_SA_ifPKiSC_iPKfiiiSE_SE_iiiii: ; @_ZN4vllm25paged_attention_v2_kernelI14__hip_bfloat16hLi256ELi8ELi128ELNS_18Fp8KVCacheDataTypeE1ELb0ELi512EEEvPfS3_PT_PKS4_PKT0_SA_ifPKiSC_iPKfiiiSE_SE_iiiii
; %bb.0:
	s_load_dwordx2 s[6:7], s[0:1], 0x40
	s_mov_b32 s34, s3
	s_ashr_i32 s35, s3, 31
	s_lshl_b64 s[8:9], s[34:35], 2
	s_waitcnt lgkmcnt(0)
	s_add_u32 s6, s6, s8
	s_addc_u32 s7, s7, s9
	s_load_dword s35, s[6:7], 0x0
	s_lshl_b32 s42, s4, 9
	s_waitcnt lgkmcnt(0)
	s_cmp_ge_i32 s42, s35
	s_cbranch_scc1 .LBB332_491
; %bb.1:
	s_load_dword s5, s[0:1], 0x90
	s_load_dwordx2 s[10:11], s[0:1], 0x30
	s_waitcnt lgkmcnt(0)
	s_abs_i32 s7, s5
	s_abs_i32 s3, s10
	v_cvt_f32_u32_e32 v1, s3
	s_sub_i32 s8, 0, s3
	s_xor_b32 s6, s5, s10
	s_ashr_i32 s6, s6, 31
	v_rcp_iflag_f32_e32 v1, v1
	s_nop 0
	v_mul_f32_e32 v1, 0x4f7ffffe, v1
	v_cvt_u32_f32_e32 v1, v1
	s_nop 0
	v_readfirstlane_b32 s9, v1
	s_mul_i32 s8, s8, s9
	s_mul_hi_u32 s8, s9, s8
	s_add_i32 s9, s9, s8
	s_mul_hi_u32 s8, s7, s9
	s_mul_i32 s9, s8, s3
	s_sub_i32 s7, s7, s9
	s_add_i32 s10, s8, 1
	s_sub_i32 s9, s7, s3
	s_cmp_ge_u32 s7, s3
	s_cselect_b32 s8, s10, s8
	s_cselect_b32 s7, s9, s7
	s_add_i32 s9, s8, 1
	s_cmp_ge_u32 s7, s3
	s_cselect_b32 s3, s9, s8
	s_xor_b32 s3, s3, s6
	s_sub_i32 s10, s3, s6
	s_abs_i32 s26, s10
	v_cvt_f32_u32_e32 v1, s26
	s_load_dwordx2 s[6:7], s[0:1], 0x50
	s_sub_i32 s3, 0, s26
	s_abs_i32 s27, s2
	v_rcp_iflag_f32_e32 v1, v1
	s_nop 0
	v_mul_f32_e32 v1, 0x4f7ffffe, v1
	v_cvt_u32_f32_e32 v1, v1
	s_nop 0
	v_readfirstlane_b32 s8, v1
	s_mul_i32 s3, s3, s8
	s_mul_hi_u32 s3, s8, s3
	s_add_i32 s8, s8, s3
	s_waitcnt lgkmcnt(0)
	s_cmp_eq_u64 s[6:7], 0
	s_mov_b32 s3, 0
	s_cbranch_scc1 .LBB332_3
; %bb.2:
	s_ashr_i32 s3, s2, 31
	s_lshl_b64 s[12:13], s[2:3], 2
	s_add_u32 s6, s6, s12
	s_addc_u32 s7, s7, s13
	s_load_dword s3, s[6:7], 0x0
.LBB332_3:
	s_load_dwordx4 s[20:23], s[0:1], 0x0
	s_load_dwordx2 s[28:29], s[0:1], 0x10
	s_load_dwordx4 s[12:15], s[0:1], 0x20
	s_load_dwordx2 s[36:37], s[0:1], 0x38
	s_load_dword s33, s[0:1], 0x98
	s_load_dwordx4 s[16:19], s[0:1], 0x58
	s_lshl_b32 s30, s2, 8
	s_movk_i32 s6, 0x100
	s_mul_hi_u32 s38, s27, s8
	v_and_b32_e32 v2, 7, v0
	s_ashr_i32 s31, s30, 31
	v_cmp_gt_u32_e32 vcc, s6, v0
	s_and_saveexec_b64 s[6:7], vcc
	s_cbranch_execz .LBB332_6
; %bb.4:
	s_load_dwordx2 s[8:9], s[0:1], 0x18
	s_waitcnt lgkmcnt(0)
	s_mul_i32 s24, s34, s16
	s_ashr_i32 s25, s24, 31
	s_lshl_b64 s[24:25], s[24:25], 1
	s_lshl_b64 s[40:41], s[30:31], 1
	s_add_u32 s16, s24, s40
	s_addc_u32 s19, s25, s41
	v_lshrrev_b32_e32 v4, 3, v0
	v_lshlrev_b32_e32 v5, 1, v2
	s_add_u32 s8, s8, s16
	v_add_u32_e32 v1, -16, v4
	v_lshlrev_b32_e32 v3, 1, v4
	v_lshl_or_b32 v4, v4, 4, v5
	v_mov_b32_e32 v5, 0
	s_addc_u32 s9, s9, s19
	v_lshl_add_u32 v3, v2, 6, v3
	v_lshl_add_u64 v[4:5], s[8:9], 0, v[4:5]
	s_mov_b64 s[8:9], 0
	s_mov_b64 s[24:25], 0x100
.LBB332_5:                              ; =>This Inner Loop Header: Depth=1
	global_load_ushort v6, v[4:5], off
	v_add_co_u32_e32 v1, vcc, 16, v1
	s_xor_b64 s[40:41], vcc, -1
	s_and_b64 s[40:41], exec, s[40:41]
	v_lshl_add_u64 v[4:5], v[4:5], 0, s[24:25]
	s_or_b64 s[8:9], s[40:41], s[8:9]
	s_waitcnt vmcnt(0)
	ds_write_b16 v3, v6
	v_add_u32_e32 v3, 32, v3
	s_andn2_b64 exec, exec, s[8:9]
	s_cbranch_execnz .LBB332_5
.LBB332_6:
	s_or_b64 exec, exec, s[6:7]
	s_add_i32 s8, s35, 7
	s_ashr_i32 s9, s8, 31
	s_ashr_i32 s6, s2, 31
	;; [unrolled: 1-line block ×3, first 2 shown]
	s_lshr_b32 s9, s9, 29
	s_add_i32 s8, s8, s9
	s_lshl_b32 s10, s4, 6
	s_xor_b32 s6, s6, s7
	s_mul_i32 s7, s38, s26
	s_ashr_i32 s31, s8, 3
	s_add_i32 s8, s10, 64
	s_sub_i32 s7, s27, s7
	s_waitcnt lgkmcnt(0)
	s_min_i32 s16, s8, s31
	s_add_i32 s8, s38, 1
	s_sub_i32 s9, s7, s26
	s_cmp_ge_u32 s7, s26
	s_cselect_b32 s8, s8, s38
	s_cselect_b32 s7, s9, s7
	s_add_i32 s9, s8, 1
	s_cmp_ge_u32 s7, s26
	s_cselect_b32 s7, s9, s8
	s_load_dword s8, s[0:1], 0x48
	v_lshrrev_b32_e32 v10, 6, v0
	s_xor_b32 s7, s7, s6
	v_or_b32_e32 v14, s10, v10
	s_sub_i32 s43, s7, s6
	s_waitcnt lgkmcnt(0)
	s_mul_i32 s38, s34, s8
	s_ashr_i32 s39, s38, 31
	v_cmp_gt_i32_e64 s[8:9], s16, v14
	v_cmp_le_i32_e32 vcc, s16, v14
	v_mbcnt_lo_u32_b32 v6, -1, 0
	s_barrier
	s_waitcnt lgkmcnt(0)
                                        ; implicit-def: $sgpr19
                                        ; implicit-def: $vgpr12
                                        ; implicit-def: $vgpr13
	s_and_saveexec_b64 s[6:7], vcc
	s_xor_b64 s[6:7], exec, s[6:7]
; %bb.7:
	v_mbcnt_hi_u32_b32 v12, -1, v6
	v_and_b32_e32 v1, 64, v12
	v_add_u32_e32 v13, 64, v1
	s_mov_b32 s19, 0xff7fffff
                                        ; implicit-def: $vgpr2
                                        ; implicit-def: $vgpr6
; %bb.8:
	s_or_saveexec_b64 s[40:41], s[6:7]
	s_load_dwordx4 s[24:27], s[0:1], 0x68
	v_mov_b32_e32 v47, s19
	s_mul_i32 s43, s43, s18
	v_ashrrev_i32_e32 v15, 31, v14
	v_lshlrev_b32_e32 v11, 3, v10
	s_xor_b64 exec, exec, s[40:41]
	s_cbranch_execz .LBB332_142
; %bb.9:
	v_mbcnt_hi_u32_b32 v12, -1, v6
	v_and_b32_e32 v6, 64, v12
	v_add_u32_e32 v13, 64, v6
	v_xor_b32_e32 v6, 4, v12
	v_cmp_lt_i32_e32 vcc, v6, v13
	s_ashr_i32 s1, s43, 31
	v_lshlrev_b32_e32 v1, 6, v2
	v_cndmask_b32_e32 v6, v12, v6, vcc
	v_lshlrev_b32_e32 v48, 2, v6
	v_xor_b32_e32 v6, 2, v12
	v_cmp_lt_i32_e32 vcc, v6, v13
	v_bfe_u32 v7, v0, 3, 3
	s_add_u32 s0, s12, s43
	v_cndmask_b32_e32 v6, v12, v6, vcc
	v_mov_b32_e32 v3, 0
	ds_read_b128 v[20:23], v1
	ds_read_b128 v[28:31], v1 offset:16
	ds_read_b128 v[36:39], v1 offset:32
	;; [unrolled: 1-line block ×3, first 2 shown]
	v_lshlrev_b32_e32 v49, 2, v6
	v_xor_b32_e32 v6, 1, v12
	s_addc_u32 s1, s13, s1
	v_lshlrev_b32_e32 v4, 4, v7
	v_mov_b32_e32 v5, v3
	v_cmp_lt_i32_e32 vcc, v6, v13
	s_waitcnt lgkmcnt(0)
	s_load_dword s24, s[24:25], 0x0
	v_lshl_add_u64 v[4:5], s[0:1], 0, v[4:5]
	v_cndmask_b32_e32 v6, v12, v6, vcc
	s_sub_i32 s25, 1, s35
	s_lshl_b64 s[0:1], s[38:39], 2
	v_lshlrev_b32_e32 v50, 2, v6
	v_lshlrev_b32_e32 v6, 2, v7
	s_add_u32 s0, s36, s0
	v_lshl_or_b32 v6, v10, 5, v6
	s_addc_u32 s1, s37, s1
	s_mov_b32 s44, s17
	v_lshlrev_b32_e32 v1, 16, v20
	v_and_b32_e32 v16, 0xffff0000, v20
	v_lshlrev_b32_e32 v17, 16, v21
	v_and_b32_e32 v18, 0xffff0000, v21
	;; [unrolled: 2-line block ×16, first 2 shown]
	v_cmp_eq_u32_e32 vcc, 0, v2
	v_cmp_neq_f32_e64 s[6:7], s3, 0
	v_add3_u32 v51, s42, v11, v7
	v_add_u32_e32 v52, 0x210, v6
	v_lshl_add_u64 v[6:7], v[14:15], 2, s[0:1]
	s_mov_b64 s[12:13], 0
	v_mov_b32_e32 v47, 0xff7fffff
	s_mov_b32 s45, 0x7f800000
	s_movk_i32 s46, 0x7fff
	v_mov_b32_e32 v53, v14
	s_branch .LBB332_11
.LBB332_10:                             ;   in Loop: Header=BB332_11 Depth=1
	s_or_b64 exec, exec, s[18:19]
	v_add_u32_e32 v53, 2, v53
	v_cmp_le_i32_e64 s[0:1], s16, v53
	v_add_u32_e32 v51, 16, v51
	v_add_u32_e32 v52, 64, v52
	s_or_b64 s[12:13], s[0:1], s[12:13]
	v_lshl_add_u64 v[6:7], v[6:7], 0, 8
	s_andn2_b64 exec, exec, s[12:13]
	s_cbranch_execz .LBB332_141
.LBB332_11:                             ; =>This Inner Loop Header: Depth=1
	global_load_dword v8, v[6:7], off
	s_waitcnt vmcnt(0) lgkmcnt(0)
	v_mad_i64_i32 v[8:9], s[0:1], v8, s44, v[4:5]
	v_lshl_add_u64 v[8:9], v[8:9], 0, v[2:3]
	global_load_ubyte v54, v[8:9], off
	s_waitcnt vmcnt(0)
	v_cvt_f32_fp8_sdwa v54, v54 src0_sel:BYTE_0
	s_waitcnt lgkmcnt(0)
	v_mul_f32_e32 v55, s24, v54
	v_and_b32_e32 v54, 0x7f800000, v55
	v_cmp_ne_u32_e64 s[0:1], s45, v54
                                        ; implicit-def: $vgpr54
	s_and_saveexec_b64 s[18:19], s[0:1]
	s_xor_b64 s[0:1], exec, s[18:19]
; %bb.12:                               ;   in Loop: Header=BB332_11 Depth=1
	v_bfe_u32 v54, v55, 16, 1
	v_add3_u32 v54, v55, v54, s46
                                        ; implicit-def: $vgpr55
; %bb.13:                               ;   in Loop: Header=BB332_11 Depth=1
	s_andn2_saveexec_b64 s[18:19], s[0:1]
; %bb.14:                               ;   in Loop: Header=BB332_11 Depth=1
	v_or_b32_e32 v54, 0x10000, v55
	v_cmp_eq_u32_sdwa s[0:1], v55, v3 src0_sel:WORD_0 src1_sel:DWORD
	s_nop 1
	v_cndmask_b32_e64 v54, v54, v55, s[0:1]
; %bb.15:                               ;   in Loop: Header=BB332_11 Depth=1
	s_or_b64 exec, exec, s[18:19]
	global_load_ubyte v55, v[8:9], off offset:8
	s_waitcnt vmcnt(0)
	v_cvt_f32_fp8_sdwa v55, v55 src0_sel:BYTE_0
	s_nop 0
	v_mul_f32_e32 v56, s24, v55
	v_and_b32_e32 v55, 0x7f800000, v56
	v_cmp_ne_u32_e64 s[0:1], s45, v55
                                        ; implicit-def: $vgpr55
	s_and_saveexec_b64 s[18:19], s[0:1]
	s_xor_b64 s[0:1], exec, s[18:19]
; %bb.16:                               ;   in Loop: Header=BB332_11 Depth=1
	v_bfe_u32 v55, v56, 16, 1
	v_add3_u32 v55, v56, v55, s46
                                        ; implicit-def: $vgpr56
; %bb.17:                               ;   in Loop: Header=BB332_11 Depth=1
	s_andn2_saveexec_b64 s[18:19], s[0:1]
; %bb.18:                               ;   in Loop: Header=BB332_11 Depth=1
	v_or_b32_e32 v55, 0x10000, v56
	v_cmp_eq_u32_sdwa s[0:1], v56, v3 src0_sel:WORD_0 src1_sel:DWORD
	s_nop 1
	v_cndmask_b32_e64 v55, v55, v56, s[0:1]
; %bb.19:                               ;   in Loop: Header=BB332_11 Depth=1
	s_or_b64 exec, exec, s[18:19]
	global_load_ubyte v56, v[8:9], off offset:128
	s_waitcnt vmcnt(0)
	v_cvt_f32_fp8_sdwa v56, v56 src0_sel:BYTE_0
	s_nop 0
	v_mul_f32_e32 v57, s24, v56
	v_and_b32_e32 v56, 0x7f800000, v57
	v_cmp_ne_u32_e64 s[0:1], s45, v56
                                        ; implicit-def: $vgpr56
	s_and_saveexec_b64 s[18:19], s[0:1]
	s_xor_b64 s[0:1], exec, s[18:19]
; %bb.20:                               ;   in Loop: Header=BB332_11 Depth=1
	v_bfe_u32 v56, v57, 16, 1
	v_add3_u32 v56, v57, v56, s46
                                        ; implicit-def: $vgpr57
; %bb.21:                               ;   in Loop: Header=BB332_11 Depth=1
	s_andn2_saveexec_b64 s[18:19], s[0:1]
; %bb.22:                               ;   in Loop: Header=BB332_11 Depth=1
	v_or_b32_e32 v56, 0x10000, v57
	v_cmp_eq_u32_sdwa s[0:1], v57, v3 src0_sel:WORD_0 src1_sel:DWORD
	s_nop 1
	v_cndmask_b32_e64 v56, v56, v57, s[0:1]
; %bb.23:                               ;   in Loop: Header=BB332_11 Depth=1
	s_or_b64 exec, exec, s[18:19]
	global_load_ubyte v57, v[8:9], off offset:136
	s_waitcnt vmcnt(0)
	v_cvt_f32_fp8_sdwa v57, v57 src0_sel:BYTE_0
	s_nop 0
	v_mul_f32_e32 v58, s24, v57
	v_and_b32_e32 v57, 0x7f800000, v58
	v_cmp_ne_u32_e64 s[0:1], s45, v57
                                        ; implicit-def: $vgpr57
	s_and_saveexec_b64 s[18:19], s[0:1]
	s_xor_b64 s[0:1], exec, s[18:19]
; %bb.24:                               ;   in Loop: Header=BB332_11 Depth=1
	v_bfe_u32 v57, v58, 16, 1
	v_add3_u32 v57, v58, v57, s46
                                        ; implicit-def: $vgpr58
; %bb.25:                               ;   in Loop: Header=BB332_11 Depth=1
	s_andn2_saveexec_b64 s[18:19], s[0:1]
; %bb.26:                               ;   in Loop: Header=BB332_11 Depth=1
	v_or_b32_e32 v57, 0x10000, v58
	v_cmp_eq_u32_sdwa s[0:1], v58, v3 src0_sel:WORD_0 src1_sel:DWORD
	s_nop 1
	v_cndmask_b32_e64 v57, v57, v58, s[0:1]
; %bb.27:                               ;   in Loop: Header=BB332_11 Depth=1
	s_or_b64 exec, exec, s[18:19]
	global_load_ubyte v58, v[8:9], off offset:256
	s_waitcnt vmcnt(0)
	v_cvt_f32_fp8_sdwa v58, v58 src0_sel:BYTE_0
	s_nop 0
	v_mul_f32_e32 v59, s24, v58
	v_and_b32_e32 v58, 0x7f800000, v59
	v_cmp_ne_u32_e64 s[0:1], s45, v58
                                        ; implicit-def: $vgpr58
	s_and_saveexec_b64 s[18:19], s[0:1]
	s_xor_b64 s[0:1], exec, s[18:19]
; %bb.28:                               ;   in Loop: Header=BB332_11 Depth=1
	v_bfe_u32 v58, v59, 16, 1
	v_add3_u32 v58, v59, v58, s46
                                        ; implicit-def: $vgpr59
; %bb.29:                               ;   in Loop: Header=BB332_11 Depth=1
	s_andn2_saveexec_b64 s[18:19], s[0:1]
; %bb.30:                               ;   in Loop: Header=BB332_11 Depth=1
	v_or_b32_e32 v58, 0x10000, v59
	v_cmp_eq_u32_sdwa s[0:1], v59, v3 src0_sel:WORD_0 src1_sel:DWORD
	s_nop 1
	v_cndmask_b32_e64 v58, v58, v59, s[0:1]
; %bb.31:                               ;   in Loop: Header=BB332_11 Depth=1
	s_or_b64 exec, exec, s[18:19]
	global_load_ubyte v59, v[8:9], off offset:264
	s_waitcnt vmcnt(0)
	v_cvt_f32_fp8_sdwa v59, v59 src0_sel:BYTE_0
	s_nop 0
	v_mul_f32_e32 v60, s24, v59
	v_and_b32_e32 v59, 0x7f800000, v60
	v_cmp_ne_u32_e64 s[0:1], s45, v59
                                        ; implicit-def: $vgpr59
	s_and_saveexec_b64 s[18:19], s[0:1]
	s_xor_b64 s[0:1], exec, s[18:19]
; %bb.32:                               ;   in Loop: Header=BB332_11 Depth=1
	v_bfe_u32 v59, v60, 16, 1
	v_add3_u32 v59, v60, v59, s46
                                        ; implicit-def: $vgpr60
; %bb.33:                               ;   in Loop: Header=BB332_11 Depth=1
	s_andn2_saveexec_b64 s[18:19], s[0:1]
; %bb.34:                               ;   in Loop: Header=BB332_11 Depth=1
	v_or_b32_e32 v59, 0x10000, v60
	v_cmp_eq_u32_sdwa s[0:1], v60, v3 src0_sel:WORD_0 src1_sel:DWORD
	s_nop 1
	v_cndmask_b32_e64 v59, v59, v60, s[0:1]
; %bb.35:                               ;   in Loop: Header=BB332_11 Depth=1
	s_or_b64 exec, exec, s[18:19]
	global_load_ubyte v60, v[8:9], off offset:384
	s_waitcnt vmcnt(0)
	v_cvt_f32_fp8_sdwa v60, v60 src0_sel:BYTE_0
	s_nop 0
	v_mul_f32_e32 v61, s24, v60
	v_and_b32_e32 v60, 0x7f800000, v61
	v_cmp_ne_u32_e64 s[0:1], s45, v60
                                        ; implicit-def: $vgpr60
	s_and_saveexec_b64 s[18:19], s[0:1]
	s_xor_b64 s[0:1], exec, s[18:19]
; %bb.36:                               ;   in Loop: Header=BB332_11 Depth=1
	v_bfe_u32 v60, v61, 16, 1
	v_add3_u32 v60, v61, v60, s46
                                        ; implicit-def: $vgpr61
; %bb.37:                               ;   in Loop: Header=BB332_11 Depth=1
	s_andn2_saveexec_b64 s[18:19], s[0:1]
; %bb.38:                               ;   in Loop: Header=BB332_11 Depth=1
	v_or_b32_e32 v60, 0x10000, v61
	v_cmp_eq_u32_sdwa s[0:1], v61, v3 src0_sel:WORD_0 src1_sel:DWORD
	s_nop 1
	v_cndmask_b32_e64 v60, v60, v61, s[0:1]
; %bb.39:                               ;   in Loop: Header=BB332_11 Depth=1
	s_or_b64 exec, exec, s[18:19]
	global_load_ubyte v61, v[8:9], off offset:392
	s_waitcnt vmcnt(0)
	v_cvt_f32_fp8_sdwa v61, v61 src0_sel:BYTE_0
	s_nop 0
	v_mul_f32_e32 v62, s24, v61
	v_and_b32_e32 v61, 0x7f800000, v62
	v_cmp_ne_u32_e64 s[0:1], s45, v61
                                        ; implicit-def: $vgpr61
	s_and_saveexec_b64 s[18:19], s[0:1]
	s_xor_b64 s[0:1], exec, s[18:19]
; %bb.40:                               ;   in Loop: Header=BB332_11 Depth=1
	v_bfe_u32 v61, v62, 16, 1
	v_add3_u32 v61, v62, v61, s46
                                        ; implicit-def: $vgpr62
; %bb.41:                               ;   in Loop: Header=BB332_11 Depth=1
	s_andn2_saveexec_b64 s[18:19], s[0:1]
; %bb.42:                               ;   in Loop: Header=BB332_11 Depth=1
	v_or_b32_e32 v61, 0x10000, v62
	v_cmp_eq_u32_sdwa s[0:1], v62, v3 src0_sel:WORD_0 src1_sel:DWORD
	s_nop 1
	v_cndmask_b32_e64 v61, v61, v62, s[0:1]
; %bb.43:                               ;   in Loop: Header=BB332_11 Depth=1
	s_or_b64 exec, exec, s[18:19]
	global_load_ubyte v62, v[8:9], off offset:512
	s_waitcnt vmcnt(0)
	v_cvt_f32_fp8_sdwa v62, v62 src0_sel:BYTE_0
	s_nop 0
	v_mul_f32_e32 v63, s24, v62
	v_and_b32_e32 v62, 0x7f800000, v63
	v_cmp_ne_u32_e64 s[0:1], s45, v62
                                        ; implicit-def: $vgpr62
	s_and_saveexec_b64 s[18:19], s[0:1]
	s_xor_b64 s[0:1], exec, s[18:19]
; %bb.44:                               ;   in Loop: Header=BB332_11 Depth=1
	v_bfe_u32 v62, v63, 16, 1
	v_add3_u32 v62, v63, v62, s46
                                        ; implicit-def: $vgpr63
; %bb.45:                               ;   in Loop: Header=BB332_11 Depth=1
	s_andn2_saveexec_b64 s[18:19], s[0:1]
; %bb.46:                               ;   in Loop: Header=BB332_11 Depth=1
	v_or_b32_e32 v62, 0x10000, v63
	v_cmp_eq_u32_sdwa s[0:1], v63, v3 src0_sel:WORD_0 src1_sel:DWORD
	s_nop 1
	v_cndmask_b32_e64 v62, v62, v63, s[0:1]
; %bb.47:                               ;   in Loop: Header=BB332_11 Depth=1
	s_or_b64 exec, exec, s[18:19]
	global_load_ubyte v63, v[8:9], off offset:520
	s_waitcnt vmcnt(0)
	v_cvt_f32_fp8_sdwa v63, v63 src0_sel:BYTE_0
	s_nop 0
	v_mul_f32_e32 v64, s24, v63
	v_and_b32_e32 v63, 0x7f800000, v64
	v_cmp_ne_u32_e64 s[0:1], s45, v63
                                        ; implicit-def: $vgpr63
	s_and_saveexec_b64 s[18:19], s[0:1]
	s_xor_b64 s[0:1], exec, s[18:19]
; %bb.48:                               ;   in Loop: Header=BB332_11 Depth=1
	v_bfe_u32 v63, v64, 16, 1
	v_add3_u32 v63, v64, v63, s46
                                        ; implicit-def: $vgpr64
; %bb.49:                               ;   in Loop: Header=BB332_11 Depth=1
	s_andn2_saveexec_b64 s[18:19], s[0:1]
; %bb.50:                               ;   in Loop: Header=BB332_11 Depth=1
	v_or_b32_e32 v63, 0x10000, v64
	v_cmp_eq_u32_sdwa s[0:1], v64, v3 src0_sel:WORD_0 src1_sel:DWORD
	s_nop 1
	v_cndmask_b32_e64 v63, v63, v64, s[0:1]
; %bb.51:                               ;   in Loop: Header=BB332_11 Depth=1
	s_or_b64 exec, exec, s[18:19]
	global_load_ubyte v64, v[8:9], off offset:640
	s_waitcnt vmcnt(0)
	v_cvt_f32_fp8_sdwa v64, v64 src0_sel:BYTE_0
	s_nop 0
	v_mul_f32_e32 v65, s24, v64
	v_and_b32_e32 v64, 0x7f800000, v65
	v_cmp_ne_u32_e64 s[0:1], s45, v64
                                        ; implicit-def: $vgpr64
	s_and_saveexec_b64 s[18:19], s[0:1]
	s_xor_b64 s[0:1], exec, s[18:19]
; %bb.52:                               ;   in Loop: Header=BB332_11 Depth=1
	v_bfe_u32 v64, v65, 16, 1
	v_add3_u32 v64, v65, v64, s46
                                        ; implicit-def: $vgpr65
; %bb.53:                               ;   in Loop: Header=BB332_11 Depth=1
	s_andn2_saveexec_b64 s[18:19], s[0:1]
; %bb.54:                               ;   in Loop: Header=BB332_11 Depth=1
	v_or_b32_e32 v64, 0x10000, v65
	v_cmp_eq_u32_sdwa s[0:1], v65, v3 src0_sel:WORD_0 src1_sel:DWORD
	s_nop 1
	v_cndmask_b32_e64 v64, v64, v65, s[0:1]
; %bb.55:                               ;   in Loop: Header=BB332_11 Depth=1
	s_or_b64 exec, exec, s[18:19]
	global_load_ubyte v65, v[8:9], off offset:648
	s_waitcnt vmcnt(0)
	v_cvt_f32_fp8_sdwa v65, v65 src0_sel:BYTE_0
	s_nop 0
	v_mul_f32_e32 v66, s24, v65
	v_and_b32_e32 v65, 0x7f800000, v66
	v_cmp_ne_u32_e64 s[0:1], s45, v65
                                        ; implicit-def: $vgpr65
	s_and_saveexec_b64 s[18:19], s[0:1]
	s_xor_b64 s[0:1], exec, s[18:19]
; %bb.56:                               ;   in Loop: Header=BB332_11 Depth=1
	v_bfe_u32 v65, v66, 16, 1
	v_add3_u32 v65, v66, v65, s46
                                        ; implicit-def: $vgpr66
; %bb.57:                               ;   in Loop: Header=BB332_11 Depth=1
	s_andn2_saveexec_b64 s[18:19], s[0:1]
; %bb.58:                               ;   in Loop: Header=BB332_11 Depth=1
	v_or_b32_e32 v65, 0x10000, v66
	v_cmp_eq_u32_sdwa s[0:1], v66, v3 src0_sel:WORD_0 src1_sel:DWORD
	s_nop 1
	v_cndmask_b32_e64 v65, v65, v66, s[0:1]
; %bb.59:                               ;   in Loop: Header=BB332_11 Depth=1
	s_or_b64 exec, exec, s[18:19]
	global_load_ubyte v66, v[8:9], off offset:768
	s_waitcnt vmcnt(0)
	v_cvt_f32_fp8_sdwa v66, v66 src0_sel:BYTE_0
	s_nop 0
	v_mul_f32_e32 v67, s24, v66
	v_and_b32_e32 v66, 0x7f800000, v67
	v_cmp_ne_u32_e64 s[0:1], s45, v66
                                        ; implicit-def: $vgpr66
	s_and_saveexec_b64 s[18:19], s[0:1]
	s_xor_b64 s[0:1], exec, s[18:19]
; %bb.60:                               ;   in Loop: Header=BB332_11 Depth=1
	v_bfe_u32 v66, v67, 16, 1
	v_add3_u32 v66, v67, v66, s46
                                        ; implicit-def: $vgpr67
; %bb.61:                               ;   in Loop: Header=BB332_11 Depth=1
	s_andn2_saveexec_b64 s[18:19], s[0:1]
; %bb.62:                               ;   in Loop: Header=BB332_11 Depth=1
	v_or_b32_e32 v66, 0x10000, v67
	v_cmp_eq_u32_sdwa s[0:1], v67, v3 src0_sel:WORD_0 src1_sel:DWORD
	s_nop 1
	v_cndmask_b32_e64 v66, v66, v67, s[0:1]
; %bb.63:                               ;   in Loop: Header=BB332_11 Depth=1
	s_or_b64 exec, exec, s[18:19]
	global_load_ubyte v67, v[8:9], off offset:776
	s_waitcnt vmcnt(0)
	v_cvt_f32_fp8_sdwa v67, v67 src0_sel:BYTE_0
	s_nop 0
	v_mul_f32_e32 v68, s24, v67
	v_and_b32_e32 v67, 0x7f800000, v68
	v_cmp_ne_u32_e64 s[0:1], s45, v67
                                        ; implicit-def: $vgpr67
	s_and_saveexec_b64 s[18:19], s[0:1]
	s_xor_b64 s[0:1], exec, s[18:19]
; %bb.64:                               ;   in Loop: Header=BB332_11 Depth=1
	v_bfe_u32 v67, v68, 16, 1
	v_add3_u32 v67, v68, v67, s46
                                        ; implicit-def: $vgpr68
; %bb.65:                               ;   in Loop: Header=BB332_11 Depth=1
	s_andn2_saveexec_b64 s[18:19], s[0:1]
; %bb.66:                               ;   in Loop: Header=BB332_11 Depth=1
	v_or_b32_e32 v67, 0x10000, v68
	v_cmp_eq_u32_sdwa s[0:1], v68, v3 src0_sel:WORD_0 src1_sel:DWORD
	s_nop 1
	v_cndmask_b32_e64 v67, v67, v68, s[0:1]
; %bb.67:                               ;   in Loop: Header=BB332_11 Depth=1
	s_or_b64 exec, exec, s[18:19]
	global_load_ubyte v68, v[8:9], off offset:896
	s_waitcnt vmcnt(0)
	v_cvt_f32_fp8_sdwa v68, v68 src0_sel:BYTE_0
	s_nop 0
	v_mul_f32_e32 v69, s24, v68
	v_and_b32_e32 v68, 0x7f800000, v69
	v_cmp_ne_u32_e64 s[0:1], s45, v68
                                        ; implicit-def: $vgpr68
	s_and_saveexec_b64 s[18:19], s[0:1]
	s_xor_b64 s[0:1], exec, s[18:19]
; %bb.68:                               ;   in Loop: Header=BB332_11 Depth=1
	v_bfe_u32 v68, v69, 16, 1
	v_add3_u32 v68, v69, v68, s46
                                        ; implicit-def: $vgpr69
; %bb.69:                               ;   in Loop: Header=BB332_11 Depth=1
	s_andn2_saveexec_b64 s[18:19], s[0:1]
; %bb.70:                               ;   in Loop: Header=BB332_11 Depth=1
	v_or_b32_e32 v68, 0x10000, v69
	v_cmp_eq_u32_sdwa s[0:1], v69, v3 src0_sel:WORD_0 src1_sel:DWORD
	s_nop 1
	v_cndmask_b32_e64 v68, v68, v69, s[0:1]
; %bb.71:                               ;   in Loop: Header=BB332_11 Depth=1
	s_or_b64 exec, exec, s[18:19]
	global_load_ubyte v69, v[8:9], off offset:904
	s_waitcnt vmcnt(0)
	v_cvt_f32_fp8_sdwa v69, v69 src0_sel:BYTE_0
	s_nop 0
	v_mul_f32_e32 v70, s24, v69
	v_and_b32_e32 v69, 0x7f800000, v70
	v_cmp_ne_u32_e64 s[0:1], s45, v69
                                        ; implicit-def: $vgpr69
	s_and_saveexec_b64 s[18:19], s[0:1]
	s_xor_b64 s[0:1], exec, s[18:19]
; %bb.72:                               ;   in Loop: Header=BB332_11 Depth=1
	v_bfe_u32 v69, v70, 16, 1
	v_add3_u32 v69, v70, v69, s46
                                        ; implicit-def: $vgpr70
; %bb.73:                               ;   in Loop: Header=BB332_11 Depth=1
	s_andn2_saveexec_b64 s[18:19], s[0:1]
; %bb.74:                               ;   in Loop: Header=BB332_11 Depth=1
	v_or_b32_e32 v69, 0x10000, v70
	v_cmp_eq_u32_sdwa s[0:1], v70, v3 src0_sel:WORD_0 src1_sel:DWORD
	s_nop 1
	v_cndmask_b32_e64 v69, v69, v70, s[0:1]
; %bb.75:                               ;   in Loop: Header=BB332_11 Depth=1
	s_or_b64 exec, exec, s[18:19]
	global_load_ubyte v70, v[8:9], off offset:1024
	s_waitcnt vmcnt(0)
	v_cvt_f32_fp8_sdwa v70, v70 src0_sel:BYTE_0
	s_nop 0
	v_mul_f32_e32 v71, s24, v70
	v_and_b32_e32 v70, 0x7f800000, v71
	v_cmp_ne_u32_e64 s[0:1], s45, v70
                                        ; implicit-def: $vgpr70
	s_and_saveexec_b64 s[18:19], s[0:1]
	s_xor_b64 s[0:1], exec, s[18:19]
; %bb.76:                               ;   in Loop: Header=BB332_11 Depth=1
	v_bfe_u32 v70, v71, 16, 1
	v_add3_u32 v70, v71, v70, s46
                                        ; implicit-def: $vgpr71
; %bb.77:                               ;   in Loop: Header=BB332_11 Depth=1
	s_andn2_saveexec_b64 s[18:19], s[0:1]
; %bb.78:                               ;   in Loop: Header=BB332_11 Depth=1
	v_or_b32_e32 v70, 0x10000, v71
	v_cmp_eq_u32_sdwa s[0:1], v71, v3 src0_sel:WORD_0 src1_sel:DWORD
	s_nop 1
	v_cndmask_b32_e64 v70, v70, v71, s[0:1]
; %bb.79:                               ;   in Loop: Header=BB332_11 Depth=1
	s_or_b64 exec, exec, s[18:19]
	global_load_ubyte v71, v[8:9], off offset:1032
	s_waitcnt vmcnt(0)
	v_cvt_f32_fp8_sdwa v71, v71 src0_sel:BYTE_0
	s_nop 0
	v_mul_f32_e32 v72, s24, v71
	v_and_b32_e32 v71, 0x7f800000, v72
	v_cmp_ne_u32_e64 s[0:1], s45, v71
                                        ; implicit-def: $vgpr71
	s_and_saveexec_b64 s[18:19], s[0:1]
	s_xor_b64 s[0:1], exec, s[18:19]
; %bb.80:                               ;   in Loop: Header=BB332_11 Depth=1
	v_bfe_u32 v71, v72, 16, 1
	v_add3_u32 v71, v72, v71, s46
                                        ; implicit-def: $vgpr72
; %bb.81:                               ;   in Loop: Header=BB332_11 Depth=1
	s_andn2_saveexec_b64 s[18:19], s[0:1]
; %bb.82:                               ;   in Loop: Header=BB332_11 Depth=1
	v_or_b32_e32 v71, 0x10000, v72
	v_cmp_eq_u32_sdwa s[0:1], v72, v3 src0_sel:WORD_0 src1_sel:DWORD
	s_nop 1
	v_cndmask_b32_e64 v71, v71, v72, s[0:1]
; %bb.83:                               ;   in Loop: Header=BB332_11 Depth=1
	s_or_b64 exec, exec, s[18:19]
	global_load_ubyte v72, v[8:9], off offset:1152
	s_waitcnt vmcnt(0)
	v_cvt_f32_fp8_sdwa v72, v72 src0_sel:BYTE_0
	s_nop 0
	v_mul_f32_e32 v73, s24, v72
	v_and_b32_e32 v72, 0x7f800000, v73
	v_cmp_ne_u32_e64 s[0:1], s45, v72
                                        ; implicit-def: $vgpr72
	s_and_saveexec_b64 s[18:19], s[0:1]
	s_xor_b64 s[0:1], exec, s[18:19]
; %bb.84:                               ;   in Loop: Header=BB332_11 Depth=1
	v_bfe_u32 v72, v73, 16, 1
	v_add3_u32 v72, v73, v72, s46
                                        ; implicit-def: $vgpr73
; %bb.85:                               ;   in Loop: Header=BB332_11 Depth=1
	s_andn2_saveexec_b64 s[18:19], s[0:1]
; %bb.86:                               ;   in Loop: Header=BB332_11 Depth=1
	v_or_b32_e32 v72, 0x10000, v73
	v_cmp_eq_u32_sdwa s[0:1], v73, v3 src0_sel:WORD_0 src1_sel:DWORD
	s_nop 1
	v_cndmask_b32_e64 v72, v72, v73, s[0:1]
; %bb.87:                               ;   in Loop: Header=BB332_11 Depth=1
	s_or_b64 exec, exec, s[18:19]
	global_load_ubyte v73, v[8:9], off offset:1160
	s_waitcnt vmcnt(0)
	v_cvt_f32_fp8_sdwa v73, v73 src0_sel:BYTE_0
	s_nop 0
	v_mul_f32_e32 v74, s24, v73
	v_and_b32_e32 v73, 0x7f800000, v74
	v_cmp_ne_u32_e64 s[0:1], s45, v73
                                        ; implicit-def: $vgpr73
	s_and_saveexec_b64 s[18:19], s[0:1]
	s_xor_b64 s[0:1], exec, s[18:19]
; %bb.88:                               ;   in Loop: Header=BB332_11 Depth=1
	v_bfe_u32 v73, v74, 16, 1
	v_add3_u32 v73, v74, v73, s46
                                        ; implicit-def: $vgpr74
; %bb.89:                               ;   in Loop: Header=BB332_11 Depth=1
	s_andn2_saveexec_b64 s[18:19], s[0:1]
; %bb.90:                               ;   in Loop: Header=BB332_11 Depth=1
	v_or_b32_e32 v73, 0x10000, v74
	v_cmp_eq_u32_sdwa s[0:1], v74, v3 src0_sel:WORD_0 src1_sel:DWORD
	s_nop 1
	v_cndmask_b32_e64 v73, v73, v74, s[0:1]
; %bb.91:                               ;   in Loop: Header=BB332_11 Depth=1
	s_or_b64 exec, exec, s[18:19]
	global_load_ubyte v74, v[8:9], off offset:1280
	s_waitcnt vmcnt(0)
	v_cvt_f32_fp8_sdwa v74, v74 src0_sel:BYTE_0
	s_nop 0
	v_mul_f32_e32 v75, s24, v74
	v_and_b32_e32 v74, 0x7f800000, v75
	v_cmp_ne_u32_e64 s[0:1], s45, v74
                                        ; implicit-def: $vgpr74
	s_and_saveexec_b64 s[18:19], s[0:1]
	s_xor_b64 s[0:1], exec, s[18:19]
; %bb.92:                               ;   in Loop: Header=BB332_11 Depth=1
	v_bfe_u32 v74, v75, 16, 1
	v_add3_u32 v74, v75, v74, s46
                                        ; implicit-def: $vgpr75
; %bb.93:                               ;   in Loop: Header=BB332_11 Depth=1
	s_andn2_saveexec_b64 s[18:19], s[0:1]
; %bb.94:                               ;   in Loop: Header=BB332_11 Depth=1
	v_or_b32_e32 v74, 0x10000, v75
	v_cmp_eq_u32_sdwa s[0:1], v75, v3 src0_sel:WORD_0 src1_sel:DWORD
	s_nop 1
	v_cndmask_b32_e64 v74, v74, v75, s[0:1]
; %bb.95:                               ;   in Loop: Header=BB332_11 Depth=1
	s_or_b64 exec, exec, s[18:19]
	global_load_ubyte v75, v[8:9], off offset:1288
	s_waitcnt vmcnt(0)
	v_cvt_f32_fp8_sdwa v75, v75 src0_sel:BYTE_0
	s_nop 0
	v_mul_f32_e32 v76, s24, v75
	v_and_b32_e32 v75, 0x7f800000, v76
	v_cmp_ne_u32_e64 s[0:1], s45, v75
                                        ; implicit-def: $vgpr75
	s_and_saveexec_b64 s[18:19], s[0:1]
	s_xor_b64 s[0:1], exec, s[18:19]
; %bb.96:                               ;   in Loop: Header=BB332_11 Depth=1
	v_bfe_u32 v75, v76, 16, 1
	v_add3_u32 v75, v76, v75, s46
                                        ; implicit-def: $vgpr76
; %bb.97:                               ;   in Loop: Header=BB332_11 Depth=1
	s_andn2_saveexec_b64 s[18:19], s[0:1]
; %bb.98:                               ;   in Loop: Header=BB332_11 Depth=1
	v_or_b32_e32 v75, 0x10000, v76
	v_cmp_eq_u32_sdwa s[0:1], v76, v3 src0_sel:WORD_0 src1_sel:DWORD
	s_nop 1
	v_cndmask_b32_e64 v75, v75, v76, s[0:1]
; %bb.99:                               ;   in Loop: Header=BB332_11 Depth=1
	s_or_b64 exec, exec, s[18:19]
	global_load_ubyte v76, v[8:9], off offset:1408
	s_waitcnt vmcnt(0)
	v_cvt_f32_fp8_sdwa v76, v76 src0_sel:BYTE_0
	s_nop 0
	v_mul_f32_e32 v77, s24, v76
	v_and_b32_e32 v76, 0x7f800000, v77
	v_cmp_ne_u32_e64 s[0:1], s45, v76
                                        ; implicit-def: $vgpr76
	s_and_saveexec_b64 s[18:19], s[0:1]
	s_xor_b64 s[0:1], exec, s[18:19]
; %bb.100:                              ;   in Loop: Header=BB332_11 Depth=1
	v_bfe_u32 v76, v77, 16, 1
	v_add3_u32 v76, v77, v76, s46
                                        ; implicit-def: $vgpr77
; %bb.101:                              ;   in Loop: Header=BB332_11 Depth=1
	s_andn2_saveexec_b64 s[18:19], s[0:1]
; %bb.102:                              ;   in Loop: Header=BB332_11 Depth=1
	v_or_b32_e32 v76, 0x10000, v77
	v_cmp_eq_u32_sdwa s[0:1], v77, v3 src0_sel:WORD_0 src1_sel:DWORD
	s_nop 1
	v_cndmask_b32_e64 v76, v76, v77, s[0:1]
; %bb.103:                              ;   in Loop: Header=BB332_11 Depth=1
	s_or_b64 exec, exec, s[18:19]
	global_load_ubyte v77, v[8:9], off offset:1416
	s_waitcnt vmcnt(0)
	v_cvt_f32_fp8_sdwa v77, v77 src0_sel:BYTE_0
	s_nop 0
	v_mul_f32_e32 v78, s24, v77
	v_and_b32_e32 v77, 0x7f800000, v78
	v_cmp_ne_u32_e64 s[0:1], s45, v77
                                        ; implicit-def: $vgpr77
	s_and_saveexec_b64 s[18:19], s[0:1]
	s_xor_b64 s[0:1], exec, s[18:19]
; %bb.104:                              ;   in Loop: Header=BB332_11 Depth=1
	v_bfe_u32 v77, v78, 16, 1
	v_add3_u32 v77, v78, v77, s46
                                        ; implicit-def: $vgpr78
; %bb.105:                              ;   in Loop: Header=BB332_11 Depth=1
	s_andn2_saveexec_b64 s[18:19], s[0:1]
; %bb.106:                              ;   in Loop: Header=BB332_11 Depth=1
	v_or_b32_e32 v77, 0x10000, v78
	v_cmp_eq_u32_sdwa s[0:1], v78, v3 src0_sel:WORD_0 src1_sel:DWORD
	s_nop 1
	v_cndmask_b32_e64 v77, v77, v78, s[0:1]
; %bb.107:                              ;   in Loop: Header=BB332_11 Depth=1
	s_or_b64 exec, exec, s[18:19]
	global_load_ubyte v78, v[8:9], off offset:1536
	s_waitcnt vmcnt(0)
	v_cvt_f32_fp8_sdwa v78, v78 src0_sel:BYTE_0
	s_nop 0
	v_mul_f32_e32 v79, s24, v78
	v_and_b32_e32 v78, 0x7f800000, v79
	v_cmp_ne_u32_e64 s[0:1], s45, v78
                                        ; implicit-def: $vgpr78
	s_and_saveexec_b64 s[18:19], s[0:1]
	s_xor_b64 s[0:1], exec, s[18:19]
; %bb.108:                              ;   in Loop: Header=BB332_11 Depth=1
	v_bfe_u32 v78, v79, 16, 1
	v_add3_u32 v78, v79, v78, s46
                                        ; implicit-def: $vgpr79
; %bb.109:                              ;   in Loop: Header=BB332_11 Depth=1
	s_andn2_saveexec_b64 s[18:19], s[0:1]
; %bb.110:                              ;   in Loop: Header=BB332_11 Depth=1
	v_or_b32_e32 v78, 0x10000, v79
	v_cmp_eq_u32_sdwa s[0:1], v79, v3 src0_sel:WORD_0 src1_sel:DWORD
	s_nop 1
	v_cndmask_b32_e64 v78, v78, v79, s[0:1]
; %bb.111:                              ;   in Loop: Header=BB332_11 Depth=1
	s_or_b64 exec, exec, s[18:19]
	global_load_ubyte v79, v[8:9], off offset:1544
	s_waitcnt vmcnt(0)
	v_cvt_f32_fp8_sdwa v79, v79 src0_sel:BYTE_0
	s_nop 0
	v_mul_f32_e32 v80, s24, v79
	v_and_b32_e32 v79, 0x7f800000, v80
	v_cmp_ne_u32_e64 s[0:1], s45, v79
                                        ; implicit-def: $vgpr79
	s_and_saveexec_b64 s[18:19], s[0:1]
	s_xor_b64 s[0:1], exec, s[18:19]
; %bb.112:                              ;   in Loop: Header=BB332_11 Depth=1
	v_bfe_u32 v79, v80, 16, 1
	v_add3_u32 v79, v80, v79, s46
                                        ; implicit-def: $vgpr80
; %bb.113:                              ;   in Loop: Header=BB332_11 Depth=1
	s_andn2_saveexec_b64 s[18:19], s[0:1]
; %bb.114:                              ;   in Loop: Header=BB332_11 Depth=1
	v_or_b32_e32 v79, 0x10000, v80
	v_cmp_eq_u32_sdwa s[0:1], v80, v3 src0_sel:WORD_0 src1_sel:DWORD
	s_nop 1
	v_cndmask_b32_e64 v79, v79, v80, s[0:1]
; %bb.115:                              ;   in Loop: Header=BB332_11 Depth=1
	s_or_b64 exec, exec, s[18:19]
	global_load_ubyte v80, v[8:9], off offset:1664
	s_waitcnt vmcnt(0)
	v_cvt_f32_fp8_sdwa v80, v80 src0_sel:BYTE_0
	s_nop 0
	v_mul_f32_e32 v81, s24, v80
	v_and_b32_e32 v80, 0x7f800000, v81
	v_cmp_ne_u32_e64 s[0:1], s45, v80
                                        ; implicit-def: $vgpr80
	s_and_saveexec_b64 s[18:19], s[0:1]
	s_xor_b64 s[0:1], exec, s[18:19]
; %bb.116:                              ;   in Loop: Header=BB332_11 Depth=1
	v_bfe_u32 v80, v81, 16, 1
	v_add3_u32 v80, v81, v80, s46
                                        ; implicit-def: $vgpr81
; %bb.117:                              ;   in Loop: Header=BB332_11 Depth=1
	s_andn2_saveexec_b64 s[18:19], s[0:1]
; %bb.118:                              ;   in Loop: Header=BB332_11 Depth=1
	v_or_b32_e32 v80, 0x10000, v81
	v_cmp_eq_u32_sdwa s[0:1], v81, v3 src0_sel:WORD_0 src1_sel:DWORD
	s_nop 1
	v_cndmask_b32_e64 v80, v80, v81, s[0:1]
; %bb.119:                              ;   in Loop: Header=BB332_11 Depth=1
	s_or_b64 exec, exec, s[18:19]
	global_load_ubyte v81, v[8:9], off offset:1672
	s_waitcnt vmcnt(0)
	v_cvt_f32_fp8_sdwa v81, v81 src0_sel:BYTE_0
	s_nop 0
	v_mul_f32_e32 v82, s24, v81
	v_and_b32_e32 v81, 0x7f800000, v82
	v_cmp_ne_u32_e64 s[0:1], s45, v81
                                        ; implicit-def: $vgpr81
	s_and_saveexec_b64 s[18:19], s[0:1]
	s_xor_b64 s[0:1], exec, s[18:19]
; %bb.120:                              ;   in Loop: Header=BB332_11 Depth=1
	v_bfe_u32 v81, v82, 16, 1
	v_add3_u32 v81, v82, v81, s46
                                        ; implicit-def: $vgpr82
; %bb.121:                              ;   in Loop: Header=BB332_11 Depth=1
	s_andn2_saveexec_b64 s[18:19], s[0:1]
; %bb.122:                              ;   in Loop: Header=BB332_11 Depth=1
	v_or_b32_e32 v81, 0x10000, v82
	v_cmp_eq_u32_sdwa s[0:1], v82, v3 src0_sel:WORD_0 src1_sel:DWORD
	s_nop 1
	v_cndmask_b32_e64 v81, v81, v82, s[0:1]
; %bb.123:                              ;   in Loop: Header=BB332_11 Depth=1
	s_or_b64 exec, exec, s[18:19]
	global_load_ubyte v82, v[8:9], off offset:1792
	s_waitcnt vmcnt(0)
	v_cvt_f32_fp8_sdwa v82, v82 src0_sel:BYTE_0
	s_nop 0
	v_mul_f32_e32 v83, s24, v82
	v_and_b32_e32 v82, 0x7f800000, v83
	v_cmp_ne_u32_e64 s[0:1], s45, v82
                                        ; implicit-def: $vgpr82
	s_and_saveexec_b64 s[18:19], s[0:1]
	s_xor_b64 s[0:1], exec, s[18:19]
; %bb.124:                              ;   in Loop: Header=BB332_11 Depth=1
	v_bfe_u32 v82, v83, 16, 1
	v_add3_u32 v82, v83, v82, s46
                                        ; implicit-def: $vgpr83
; %bb.125:                              ;   in Loop: Header=BB332_11 Depth=1
	s_andn2_saveexec_b64 s[18:19], s[0:1]
; %bb.126:                              ;   in Loop: Header=BB332_11 Depth=1
	v_or_b32_e32 v82, 0x10000, v83
	v_cmp_eq_u32_sdwa s[0:1], v83, v3 src0_sel:WORD_0 src1_sel:DWORD
	s_nop 1
	v_cndmask_b32_e64 v82, v82, v83, s[0:1]
; %bb.127:                              ;   in Loop: Header=BB332_11 Depth=1
	s_or_b64 exec, exec, s[18:19]
	global_load_ubyte v83, v[8:9], off offset:1800
	s_waitcnt vmcnt(0)
	v_cvt_f32_fp8_sdwa v83, v83 src0_sel:BYTE_0
	s_nop 0
	v_mul_f32_e32 v84, s24, v83
	v_and_b32_e32 v83, 0x7f800000, v84
	v_cmp_ne_u32_e64 s[0:1], s45, v83
                                        ; implicit-def: $vgpr83
	s_and_saveexec_b64 s[18:19], s[0:1]
	s_xor_b64 s[0:1], exec, s[18:19]
; %bb.128:                              ;   in Loop: Header=BB332_11 Depth=1
	v_bfe_u32 v83, v84, 16, 1
	v_add3_u32 v83, v84, v83, s46
                                        ; implicit-def: $vgpr84
; %bb.129:                              ;   in Loop: Header=BB332_11 Depth=1
	s_andn2_saveexec_b64 s[18:19], s[0:1]
; %bb.130:                              ;   in Loop: Header=BB332_11 Depth=1
	v_or_b32_e32 v83, 0x10000, v84
	v_cmp_eq_u32_sdwa s[0:1], v84, v3 src0_sel:WORD_0 src1_sel:DWORD
	s_nop 1
	v_cndmask_b32_e64 v83, v83, v84, s[0:1]
; %bb.131:                              ;   in Loop: Header=BB332_11 Depth=1
	s_or_b64 exec, exec, s[18:19]
	global_load_ubyte v84, v[8:9], off offset:1920
	s_waitcnt vmcnt(0)
	v_cvt_f32_fp8_sdwa v84, v84 src0_sel:BYTE_0
	s_nop 0
	v_mul_f32_e32 v85, s24, v84
	v_and_b32_e32 v84, 0x7f800000, v85
	v_cmp_ne_u32_e64 s[0:1], s45, v84
                                        ; implicit-def: $vgpr84
	s_and_saveexec_b64 s[18:19], s[0:1]
	s_xor_b64 s[0:1], exec, s[18:19]
; %bb.132:                              ;   in Loop: Header=BB332_11 Depth=1
	v_bfe_u32 v84, v85, 16, 1
	v_add3_u32 v84, v85, v84, s46
                                        ; implicit-def: $vgpr85
; %bb.133:                              ;   in Loop: Header=BB332_11 Depth=1
	s_andn2_saveexec_b64 s[18:19], s[0:1]
; %bb.134:                              ;   in Loop: Header=BB332_11 Depth=1
	v_or_b32_e32 v84, 0x10000, v85
	v_cmp_eq_u32_sdwa s[0:1], v85, v3 src0_sel:WORD_0 src1_sel:DWORD
	s_nop 1
	v_cndmask_b32_e64 v84, v84, v85, s[0:1]
; %bb.135:                              ;   in Loop: Header=BB332_11 Depth=1
	s_or_b64 exec, exec, s[18:19]
	global_load_ubyte v8, v[8:9], off offset:1928
	s_waitcnt vmcnt(0)
	v_cvt_f32_fp8_sdwa v8, v8 src0_sel:BYTE_0
	s_nop 0
	v_mul_f32_e32 v9, s24, v8
	v_and_b32_e32 v8, 0x7f800000, v9
	v_cmp_ne_u32_e64 s[0:1], s45, v8
                                        ; implicit-def: $vgpr8
	s_and_saveexec_b64 s[18:19], s[0:1]
	s_xor_b64 s[0:1], exec, s[18:19]
; %bb.136:                              ;   in Loop: Header=BB332_11 Depth=1
	v_bfe_u32 v8, v9, 16, 1
	v_add3_u32 v8, v9, v8, s46
                                        ; implicit-def: $vgpr9
; %bb.137:                              ;   in Loop: Header=BB332_11 Depth=1
	s_andn2_saveexec_b64 s[18:19], s[0:1]
; %bb.138:                              ;   in Loop: Header=BB332_11 Depth=1
	v_or_b32_e32 v8, 0x10000, v9
	v_cmp_eq_u32_sdwa s[0:1], v9, v3 src0_sel:WORD_0 src1_sel:DWORD
	s_nop 1
	v_cndmask_b32_e64 v8, v8, v9, s[0:1]
; %bb.139:                              ;   in Loop: Header=BB332_11 Depth=1
	s_or_b64 exec, exec, s[18:19]
	v_and_b32_e32 v55, 0xffff0000, v55
	v_and_b32_e32 v54, 0xffff0000, v54
	v_mul_f32_e32 v55, v16, v55
	v_and_b32_e32 v56, 0xffff0000, v56
	v_fmac_f32_e32 v55, v1, v54
	v_and_b32_e32 v57, 0xffff0000, v57
	v_fmac_f32_e32 v55, v17, v56
	;; [unrolled: 2-line block ×30, first 2 shown]
	v_fmac_f32_e32 v55, v46, v8
	ds_bpermute_b32 v8, v48, v55
	s_waitcnt lgkmcnt(0)
	v_add_f32_e32 v8, v55, v8
	ds_bpermute_b32 v9, v49, v8
	s_waitcnt lgkmcnt(0)
	v_add_f32_e32 v8, v8, v9
	ds_bpermute_b32 v9, v50, v8
	s_and_saveexec_b64 s[18:19], vcc
	s_cbranch_execz .LBB332_10
; %bb.140:                              ;   in Loop: Header=BB332_11 Depth=1
	v_add_u32_e32 v54, s25, v51
	v_cvt_f32_i32_e32 v54, v54
	s_waitcnt lgkmcnt(0)
	v_add_f32_e32 v8, v8, v9
	v_cmp_gt_i32_e64 s[0:1], s35, v51
	v_max_f32_e32 v9, v47, v47
	v_mul_f32_e32 v54, s3, v54
	v_cndmask_b32_e64 v54, 0, v54, s[6:7]
	v_fmac_f32_e32 v54, s11, v8
	v_cndmask_b32_e64 v8, 0, v54, s[0:1]
	ds_write_b32 v52, v8
	v_max_f32_e32 v8, v9, v54
	v_cndmask_b32_e64 v47, v47, v8, s[0:1]
	s_branch .LBB332_10
.LBB332_141:
	s_or_b64 exec, exec, s[12:13]
.LBB332_142:
	s_or_b64 exec, exec, s[40:41]
	v_xor_b32_e32 v1, 32, v12
	v_cmp_lt_i32_e32 vcc, v1, v13
	v_xor_b32_e32 v4, 16, v12
	v_max_f32_e32 v2, v47, v47
	v_cndmask_b32_e32 v1, v12, v1, vcc
	v_lshlrev_b32_e32 v3, 2, v1
	ds_bpermute_b32 v1, v3, v47
	v_cmp_lt_i32_e32 vcc, v4, v13
	v_xor_b32_e32 v5, 8, v12
	s_waitcnt lgkmcnt(0)
	v_max_f32_e32 v1, v1, v1
	v_max_f32_e32 v1, v2, v1
	v_cndmask_b32_e32 v2, v12, v4, vcc
	v_lshlrev_b32_e32 v6, 2, v2
	ds_bpermute_b32 v2, v6, v1
	v_cmp_lt_i32_e32 vcc, v5, v13
	s_waitcnt lgkmcnt(0)
	v_max_f32_e32 v2, v2, v2
	v_max_f32_e32 v4, v1, v2
	v_cndmask_b32_e32 v1, v12, v5, vcc
	v_lshlrev_b32_e32 v7, 2, v1
	ds_bpermute_b32 v5, v7, v4
	v_and_b32_e32 v1, 63, v0
	v_cmp_eq_u32_e32 vcc, 0, v1
	v_lshlrev_b32_e32 v2, 2, v10
	s_and_saveexec_b64 s[0:1], vcc
	s_cbranch_execz .LBB332_144
; %bb.143:
	s_waitcnt lgkmcnt(0)
	v_max_f32_e32 v5, v5, v5
	v_max_f32_e32 v4, v4, v4
	;; [unrolled: 1-line block ×3, first 2 shown]
	ds_write_b32 v2, v4 offset:512
.LBB332_144:
	s_or_b64 exec, exec, s[0:1]
	v_cmp_gt_u32_e64 s[0:1], 2, v1
	v_mov_b32_e32 v4, 0xff7fffff
	s_waitcnt lgkmcnt(0)
	v_lshlrev_b32_e32 v5, 2, v1
	s_barrier
	s_and_saveexec_b64 s[6:7], s[0:1]
	s_cbranch_execz .LBB332_146
; %bb.145:
	ds_read_b32 v4, v5 offset:512
.LBB332_146:
	s_or_b64 exec, exec, s[6:7]
	v_xor_b32_e32 v8, 1, v12
	v_cmp_lt_i32_e64 s[6:7], v8, v13
	s_sub_i32 s3, s16, s10
	s_lshl_b32 s3, s3, 3
	v_cndmask_b32_e64 v8, v12, v8, s[6:7]
	v_lshlrev_b32_e32 v8, 2, v8
	s_waitcnt lgkmcnt(0)
	ds_bpermute_b32 v9, v8, v4
	v_max_f32_e32 v4, v4, v4
	s_add_i32 s3, s3, s42
	s_min_i32 s24, s3, s35
	s_sub_i32 s3, s24, s42
	s_waitcnt lgkmcnt(0)
	v_max_f32_e32 v9, v9, v9
	v_max_f32_e32 v4, v4, v9
	v_lshlrev_b32_e32 v9, 2, v12
	v_and_b32_e32 v9, 0xffffff00, v9
	ds_bpermute_b32 v4, v9, v4
	v_cmp_gt_i32_e64 s[6:7], s3, v0
	v_mov_b32_e32 v16, 0
	s_and_saveexec_b64 s[12:13], s[6:7]
	s_cbranch_execz .LBB332_150
; %bb.147:
	v_mov_b32_e32 v16, 0x210
	v_lshl_add_u32 v17, v0, 2, v16
	s_mov_b64 s[18:19], 0
	v_mov_b32_e32 v16, 0
	v_mov_b32_e32 v18, v0
.LBB332_148:                            ; =>This Inner Loop Header: Depth=1
	ds_read_b32 v19, v17
	v_add_u32_e32 v18, 0x80, v18
	v_cmp_le_i32_e64 s[10:11], s3, v18
	s_or_b64 s[18:19], s[10:11], s[18:19]
	s_waitcnt lgkmcnt(0)
	v_sub_f32_e32 v19, v19, v4
	v_mul_f32_e32 v19, 0x3fb8aa3b, v19
	v_exp_f32_e32 v19, v19
	ds_write_b32 v17, v19
	v_add_f32_e32 v16, v16, v19
	v_add_u32_e32 v17, 0x200, v17
	s_andn2_b64 exec, exec, s[18:19]
	s_cbranch_execnz .LBB332_148
; %bb.149:
	s_or_b64 exec, exec, s[18:19]
.LBB332_150:
	s_or_b64 exec, exec, s[12:13]
	ds_bpermute_b32 v3, v3, v16
	s_waitcnt lgkmcnt(0)
	v_add_f32_e32 v3, v16, v3
	ds_bpermute_b32 v6, v6, v3
	s_waitcnt lgkmcnt(0)
	v_add_f32_e32 v3, v3, v6
	ds_bpermute_b32 v6, v7, v3
	v_xor_b32_e32 v7, 4, v12
	v_cmp_lt_i32_e64 s[10:11], v7, v13
	s_waitcnt lgkmcnt(0)
	v_add_f32_e32 v3, v3, v6
	v_cndmask_b32_e64 v7, v12, v7, s[10:11]
	v_lshlrev_b32_e32 v7, 2, v7
	ds_bpermute_b32 v6, v7, v3
	v_xor_b32_e32 v7, 2, v12
	v_cmp_lt_i32_e64 s[10:11], v7, v13
	s_waitcnt lgkmcnt(0)
	v_add_f32_e32 v3, v3, v6
	v_cndmask_b32_e64 v7, v12, v7, s[10:11]
	v_lshlrev_b32_e32 v6, 2, v7
	ds_bpermute_b32 v6, v6, v3
	s_waitcnt lgkmcnt(0)
	v_add_f32_e32 v3, v3, v6
	ds_bpermute_b32 v6, v8, v3
	s_waitcnt lgkmcnt(0)
	v_add_f32_e32 v3, v3, v6
	s_and_saveexec_b64 s[10:11], vcc
	s_cbranch_execz .LBB332_152
; %bb.151:
	ds_write_b32 v2, v3 offset:520
.LBB332_152:
	s_or_b64 exec, exec, s[10:11]
	s_waitcnt lgkmcnt(0)
	s_barrier
	s_and_saveexec_b64 s[10:11], s[0:1]
	s_cbranch_execz .LBB332_154
; %bb.153:
	ds_read_b32 v3, v5 offset:520
.LBB332_154:
	s_or_b64 exec, exec, s[10:11]
	s_waitcnt lgkmcnt(0)
	ds_bpermute_b32 v2, v8, v3
	s_waitcnt lgkmcnt(0)
	v_add_f32_e32 v2, v3, v2
	ds_bpermute_b32 v5, v9, v2
	s_and_saveexec_b64 s[0:1], s[6:7]
	s_cbranch_execz .LBB332_167
; %bb.155:
	s_waitcnt lgkmcnt(0)
	v_add_f32_e32 v2, 0x358637bd, v5
	v_div_scale_f32 v3, s[6:7], v2, v2, 1.0
	v_rcp_f32_e32 v6, v3
	v_div_scale_f32 v7, vcc, 1.0, v2, 1.0
	s_movk_i32 s6, 0x7f
	v_fma_f32 v8, -v3, v6, 1.0
	v_fmac_f32_e32 v6, v8, v6
	v_mul_f32_e32 v8, v7, v6
	v_fma_f32 v9, -v3, v8, v7
	v_fmac_f32_e32 v8, v9, v6
	v_fma_f32 v3, -v3, v8, v7
	v_div_fmas_f32 v3, v3, v6, v8
	v_div_fixup_f32 v2, v3, v2, 1.0
	v_xad_u32 v3, v0, -1, s24
	v_subrev_u32_e32 v6, s42, v3
	v_cmp_lt_u32_e32 vcc, s6, v6
	s_mov_b64 s[10:11], -1
	v_mov_b32_e32 v3, v0
	s_and_saveexec_b64 s[6:7], vcc
	s_cbranch_execz .LBB332_164
; %bb.156:
	v_lshrrev_b32_e32 v6, 7, v6
	v_add_u32_e32 v8, -1, v6
	v_lshrrev_b32_e32 v7, 1, v8
	v_mov_b32_e32 v3, v2
	v_add_u32_e32 v7, 1, v7
	v_cmp_lt_u32_e32 vcc, 13, v8
	v_mov_b32_e32 v12, 0
	s_and_saveexec_b64 s[10:11], vcc
	s_cbranch_execz .LBB332_160
; %bb.157:
	v_mov_b32_e32 v9, 0x210
	v_and_b32_e32 v8, -8, v7
	v_lshl_add_u32 v9, v0, 2, v9
	s_mov_b32 s18, 0
	s_mov_b64 s[12:13], 0
.LBB332_158:                            ; =>This Inner Loop Header: Depth=1
	ds_read2st64_b32 v[12:13], v9 offset1:2
	ds_read2st64_b32 v[16:17], v9 offset0:4 offset1:6
	ds_read2st64_b32 v[18:19], v9 offset0:8 offset1:10
	;; [unrolled: 1-line block ×3, first 2 shown]
	v_add_u32_e32 v8, -8, v8
	s_waitcnt lgkmcnt(3)
	v_pk_mul_f32 v[12:13], v[2:3], v[12:13]
	s_waitcnt lgkmcnt(2)
	v_pk_mul_f32 v[16:17], v[2:3], v[16:17]
	ds_write2st64_b32 v9, v12, v13 offset1:2
	ds_write2st64_b32 v9, v16, v17 offset0:4 offset1:6
	ds_read2st64_b32 v[16:17], v9 offset0:16 offset1:18
	s_waitcnt lgkmcnt(4)
	v_pk_mul_f32 v[12:13], v[2:3], v[18:19]
	ds_write2st64_b32 v9, v12, v13 offset0:8 offset1:10
	s_waitcnt lgkmcnt(4)
	v_pk_mul_f32 v[12:13], v[2:3], v[20:21]
	ds_write2st64_b32 v9, v12, v13 offset0:12 offset1:14
	ds_read2st64_b32 v[12:13], v9 offset0:20 offset1:22
	s_waitcnt lgkmcnt(3)
	v_pk_mul_f32 v[16:17], v[2:3], v[16:17]
	ds_read2st64_b32 v[18:19], v9 offset0:24 offset1:26
	ds_write2st64_b32 v9, v16, v17 offset0:16 offset1:18
	ds_read2st64_b32 v[16:17], v9 offset0:28 offset1:30
	s_waitcnt lgkmcnt(3)
	v_pk_mul_f32 v[12:13], v[2:3], v[12:13]
	ds_write2st64_b32 v9, v12, v13 offset0:20 offset1:22
	s_waitcnt lgkmcnt(3)
	v_pk_mul_f32 v[12:13], v[2:3], v[18:19]
	ds_write2st64_b32 v9, v12, v13 offset0:24 offset1:26
	s_waitcnt lgkmcnt(2)
	v_pk_mul_f32 v[12:13], v[2:3], v[16:17]
	s_add_i32 s18, s18, 16
	v_cmp_eq_u32_e32 vcc, 0, v8
	ds_write2st64_b32 v9, v12, v13 offset0:28 offset1:30
	v_add_u32_e32 v9, 0x2000, v9
	s_or_b64 s[12:13], vcc, s[12:13]
	v_mov_b32_e32 v12, s18
	s_andn2_b64 exec, exec, s[12:13]
	s_cbranch_execnz .LBB332_158
; %bb.159:
	s_or_b64 exec, exec, s[12:13]
.LBB332_160:
	s_or_b64 exec, exec, s[10:11]
	v_and_b32_e32 v7, 7, v7
	v_cmp_ne_u32_e32 vcc, 0, v7
	s_and_saveexec_b64 s[10:11], vcc
	s_cbranch_execz .LBB332_163
; %bb.161:
	v_lshlrev_b32_e32 v8, 9, v12
	v_lshlrev_b32_e32 v9, 2, v0
	s_movk_i32 s12, 0x210
	v_add3_u32 v8, v8, v9, s12
	s_mov_b64 s[12:13], 0
.LBB332_162:                            ; =>This Inner Loop Header: Depth=1
	ds_read2st64_b32 v[12:13], v8 offset1:2
	v_add_u32_e32 v7, -1, v7
	v_cmp_eq_u32_e32 vcc, 0, v7
	s_or_b64 s[12:13], vcc, s[12:13]
	s_waitcnt lgkmcnt(0)
	v_pk_mul_f32 v[12:13], v[2:3], v[12:13]
	ds_write2st64_b32 v8, v12, v13 offset1:2
	v_add_u32_e32 v8, 0x400, v8
	s_andn2_b64 exec, exec, s[12:13]
	s_cbranch_execnz .LBB332_162
.LBB332_163:
	s_or_b64 exec, exec, s[10:11]
	v_add_u32_e32 v6, 1, v6
	v_and_b32_e32 v7, 0x3fffffe, v6
	v_cmp_ne_u32_e32 vcc, v6, v7
	v_lshl_add_u32 v3, v7, 7, v0
	s_orn2_b64 s[10:11], vcc, exec
.LBB332_164:
	s_or_b64 exec, exec, s[6:7]
	s_and_b64 exec, exec, s[10:11]
	s_cbranch_execz .LBB332_167
; %bb.165:
	v_mov_b32_e32 v6, 0x210
	v_lshl_add_u32 v6, v3, 2, v6
	s_mov_b64 s[6:7], 0
.LBB332_166:                            ; =>This Inner Loop Header: Depth=1
	ds_read_b32 v7, v6
	v_add_u32_e32 v3, 0x80, v3
	v_cmp_le_i32_e32 vcc, s3, v3
	s_or_b64 s[6:7], vcc, s[6:7]
	s_waitcnt lgkmcnt(0)
	v_mul_f32_e32 v7, v2, v7
	ds_write_b32 v6, v7
	v_add_u32_e32 v6, 0x200, v6
	s_andn2_b64 exec, exec, s[6:7]
	s_cbranch_execnz .LBB332_166
.LBB332_167:
	s_or_b64 exec, exec, s[0:1]
	s_mul_i32 s1, s33, s34
	s_mov_b32 s0, 0
	v_cmp_eq_u32_e32 vcc, 0, v0
	s_mul_i32 s6, s1, s5
	s_waitcnt lgkmcnt(0)
	s_barrier
	s_and_saveexec_b64 s[10:11], vcc
	s_cbranch_execz .LBB332_169
; %bb.168:
	s_ashr_i32 s7, s6, 31
	s_lshl_b64 s[12:13], s[6:7], 2
	s_add_u32 s1, s22, s12
	s_mul_i32 s2, s33, s2
	s_addc_u32 s5, s23, s13
	s_ashr_i32 s3, s2, 31
	s_lshl_b64 s[2:3], s[2:3], 2
	s_add_u32 s1, s1, s2
	s_addc_u32 s7, s5, s3
	s_ashr_i32 s5, s4, 31
	s_lshl_b64 s[18:19], s[4:5], 2
	s_add_u32 s22, s1, s18
	s_addc_u32 s23, s7, s19
	s_add_u32 s1, s20, s12
	s_addc_u32 s5, s21, s13
	;; [unrolled: 2-line block ×3, first 2 shown]
	s_add_u32 s2, s1, s18
	v_mov_b32_e32 v2, 0
	s_addc_u32 s3, s3, s19
	global_store_dword v2, v4, s[22:23]
	global_store_dword v2, v5, s[2:3]
.LBB332_169:
	s_or_b64 exec, exec, s[10:11]
	s_mov_b32 s2, s0
	s_mov_b32 s3, s0
	;; [unrolled: 1-line block ×3, first 2 shown]
	v_mov_b64_e32 v[4:5], s[2:3]
	v_mov_b64_e32 v[2:3], s[0:1]
	s_and_saveexec_b64 s[2:3], s[8:9]
	s_cbranch_execz .LBB332_469
; %bb.170:
	s_ashr_i32 s1, s43, 31
	s_add_u32 s0, s14, s43
	s_addc_u32 s1, s15, s1
	v_lshlrev_b32_e32 v16, 3, v1
	s_load_dword s7, s[26:27], 0x0
	v_mov_b32_e32 v17, 0
	s_add_i32 s12, s31, -1
	v_lshl_add_u64 v[18:19], s[0:1], 0, v[16:17]
	s_lshl_b64 s[0:1], s[38:39], 2
	s_add_u32 s0, s36, s0
	v_mov_b32_e32 v2, 0x210
	s_addc_u32 s1, s37, s1
	s_mov_b32 s5, s17
	v_add3_u32 v16, s42, v11, 7
	v_lshl_add_u32 v22, v10, 5, v2
	v_lshl_add_u64 v[20:21], v[14:15], 2, s[0:1]
	s_mov_b64 s[8:9], 0
	s_mov_b32 s13, 0x7f800000
	s_movk_i32 s14, 0x7fff
	v_mov_b32_e32 v2, 0
	v_mov_b32_e32 v3, 0
	;; [unrolled: 1-line block ×4, first 2 shown]
	s_branch .LBB332_172
.LBB332_171:                            ;   in Loop: Header=BB332_172 Depth=1
	s_or_b64 exec, exec, s[0:1]
	v_and_b32_e32 v37, 0xffff0000, v13
	v_and_b32_e32 v36, 0xffff0000, v11
	;; [unrolled: 1-line block ×8, first 2 shown]
	v_pk_add_f32 v[10:11], v[10:11], v[36:37]
	v_pk_add_f32 v[12:13], v[34:35], v[32:33]
	v_add_f32_e32 v10, v10, v11
	v_add_f32_e32 v10, v10, v12
	v_add_f32_e32 v10, v10, v13
	v_and_b32_e32 v33, 0xffff0000, v44
	v_and_b32_e32 v32, 0xffff0000, v42
	v_and_b32_e32 v35, 0xffff0000, v43
	v_and_b32_e32 v34, 0xffff0000, v41
	v_add_f32_e32 v2, v2, v10
	v_and_b32_e32 v11, 0xffff0000, v48
	v_and_b32_e32 v10, 0xffff0000, v46
	v_and_b32_e32 v13, 0xffff0000, v47
	v_and_b32_e32 v12, 0xffff0000, v45
	v_pk_add_f32 v[32:33], v[34:35], v[32:33]
	v_pk_add_f32 v[10:11], v[12:13], v[10:11]
	v_add_f32_e32 v12, v32, v33
	v_add_f32_e32 v10, v12, v10
	v_add_f32_e32 v10, v10, v11
	v_and_b32_e32 v33, 0xffff0000, v50
	v_and_b32_e32 v32, 0xffff0000, v9
	v_and_b32_e32 v9, 0xffff0000, v49
	v_and_b32_e32 v8, 0xffff0000, v8
	v_add_f32_e32 v3, v3, v10
	v_and_b32_e32 v11, 0xffff0000, v54
	v_and_b32_e32 v10, 0xffff0000, v52
	v_and_b32_e32 v13, 0xffff0000, v53
	v_and_b32_e32 v12, 0xffff0000, v51
	;; [unrolled: 14-line block ×3, first 2 shown]
	v_pk_add_f32 v[6:7], v[6:7], v[12:13]
	v_pk_add_f32 v[8:9], v[10:11], v[8:9]
	v_add_f32_e32 v6, v6, v7
	v_add_f32_e32 v6, v6, v8
	v_add_u32_e32 v14, 2, v14
	v_add_f32_e32 v6, v6, v9
	v_cmp_le_i32_e32 vcc, s16, v14
	v_add_f32_e32 v5, v5, v6
	v_add_u32_e32 v16, 16, v16
	v_add_u32_e32 v22, 64, v22
	s_or_b64 s[8:9], vcc, s[8:9]
	v_lshl_add_u64 v[20:21], v[20:21], 0, 8
	s_andn2_b64 exec, exec, s[8:9]
	s_cbranch_execz .LBB332_468
.LBB332_172:                            ; =>This Inner Loop Header: Depth=1
	global_load_dword v25, v[20:21], off
	ds_read2_b64 v[10:13], v22 offset1:1
	ds_read2_b64 v[6:9], v22 offset0:2 offset1:3
                                        ; implicit-def: $vgpr33
	s_waitcnt lgkmcnt(0)
	v_and_b32_e32 v15, 0x7f800000, v10
	v_cmp_ne_u32_e32 vcc, s13, v15
	s_and_saveexec_b64 s[0:1], vcc
	s_xor_b64 s[0:1], exec, s[0:1]
; %bb.173:                              ;   in Loop: Header=BB332_172 Depth=1
	v_bfe_u32 v15, v10, 16, 1
	v_add3_u32 v33, v10, v15, s14
; %bb.174:                              ;   in Loop: Header=BB332_172 Depth=1
	s_andn2_saveexec_b64 s[0:1], s[0:1]
; %bb.175:                              ;   in Loop: Header=BB332_172 Depth=1
	v_or_b32_e32 v15, 0x10000, v10
	v_cmp_eq_u32_sdwa vcc, v10, v17 src0_sel:WORD_0 src1_sel:DWORD
	s_nop 1
	v_cndmask_b32_e32 v33, v15, v10, vcc
; %bb.176:                              ;   in Loop: Header=BB332_172 Depth=1
	s_or_b64 exec, exec, s[0:1]
	v_and_b32_e32 v10, 0x7f800000, v11
	v_cmp_ne_u32_e32 vcc, s13, v10
                                        ; implicit-def: $vgpr34
	s_and_saveexec_b64 s[0:1], vcc
	s_xor_b64 s[0:1], exec, s[0:1]
; %bb.177:                              ;   in Loop: Header=BB332_172 Depth=1
	v_bfe_u32 v10, v11, 16, 1
	v_add3_u32 v34, v11, v10, s14
; %bb.178:                              ;   in Loop: Header=BB332_172 Depth=1
	s_andn2_saveexec_b64 s[0:1], s[0:1]
; %bb.179:                              ;   in Loop: Header=BB332_172 Depth=1
	v_or_b32_e32 v10, 0x10000, v11
	v_cmp_eq_u32_sdwa vcc, v11, v17 src0_sel:WORD_0 src1_sel:DWORD
	s_nop 1
	v_cndmask_b32_e32 v34, v10, v11, vcc
; %bb.180:                              ;   in Loop: Header=BB332_172 Depth=1
	s_or_b64 exec, exec, s[0:1]
	v_and_b32_e32 v10, 0x7f800000, v12
	v_cmp_ne_u32_e32 vcc, s13, v10
                                        ; implicit-def: $vgpr35
	s_and_saveexec_b64 s[0:1], vcc
	s_xor_b64 s[0:1], exec, s[0:1]
; %bb.181:                              ;   in Loop: Header=BB332_172 Depth=1
	v_bfe_u32 v10, v12, 16, 1
	v_add3_u32 v35, v12, v10, s14
; %bb.182:                              ;   in Loop: Header=BB332_172 Depth=1
	s_andn2_saveexec_b64 s[0:1], s[0:1]
; %bb.183:                              ;   in Loop: Header=BB332_172 Depth=1
	v_or_b32_e32 v10, 0x10000, v12
	v_cmp_eq_u32_sdwa vcc, v12, v17 src0_sel:WORD_0 src1_sel:DWORD
	s_nop 1
	v_cndmask_b32_e32 v35, v10, v12, vcc
; %bb.184:                              ;   in Loop: Header=BB332_172 Depth=1
	s_or_b64 exec, exec, s[0:1]
	v_and_b32_e32 v10, 0x7f800000, v13
	v_cmp_ne_u32_e32 vcc, s13, v10
                                        ; implicit-def: $vgpr36
	s_and_saveexec_b64 s[0:1], vcc
	s_xor_b64 s[0:1], exec, s[0:1]
; %bb.185:                              ;   in Loop: Header=BB332_172 Depth=1
	v_bfe_u32 v10, v13, 16, 1
	v_add3_u32 v36, v13, v10, s14
                                        ; implicit-def: $vgpr10_vgpr11_vgpr12_vgpr13
; %bb.186:                              ;   in Loop: Header=BB332_172 Depth=1
	s_andn2_saveexec_b64 s[0:1], s[0:1]
; %bb.187:                              ;   in Loop: Header=BB332_172 Depth=1
	v_or_b32_e32 v10, 0x10000, v13
	v_cmp_eq_u32_sdwa vcc, v13, v17 src0_sel:WORD_0 src1_sel:DWORD
	s_nop 1
	v_cndmask_b32_e32 v36, v10, v13, vcc
; %bb.188:                              ;   in Loop: Header=BB332_172 Depth=1
	s_or_b64 exec, exec, s[0:1]
	v_and_b32_e32 v10, 0x7f800000, v6
	v_cmp_ne_u32_e32 vcc, s13, v10
                                        ; implicit-def: $vgpr15
	s_and_saveexec_b64 s[0:1], vcc
	s_xor_b64 s[0:1], exec, s[0:1]
; %bb.189:                              ;   in Loop: Header=BB332_172 Depth=1
	v_bfe_u32 v10, v6, 16, 1
	v_add3_u32 v15, v6, v10, s14
; %bb.190:                              ;   in Loop: Header=BB332_172 Depth=1
	s_andn2_saveexec_b64 s[0:1], s[0:1]
; %bb.191:                              ;   in Loop: Header=BB332_172 Depth=1
	v_or_b32_e32 v10, 0x10000, v6
	v_cmp_eq_u32_sdwa vcc, v6, v17 src0_sel:WORD_0 src1_sel:DWORD
	s_nop 1
	v_cndmask_b32_e32 v15, v10, v6, vcc
; %bb.192:                              ;   in Loop: Header=BB332_172 Depth=1
	s_or_b64 exec, exec, s[0:1]
	v_and_b32_e32 v6, 0x7f800000, v7
	v_cmp_ne_u32_e32 vcc, s13, v6
                                        ; implicit-def: $vgpr23
	s_and_saveexec_b64 s[0:1], vcc
	s_xor_b64 s[0:1], exec, s[0:1]
; %bb.193:                              ;   in Loop: Header=BB332_172 Depth=1
	v_bfe_u32 v6, v7, 16, 1
	v_add3_u32 v23, v7, v6, s14
; %bb.194:                              ;   in Loop: Header=BB332_172 Depth=1
	s_andn2_saveexec_b64 s[0:1], s[0:1]
; %bb.195:                              ;   in Loop: Header=BB332_172 Depth=1
	v_or_b32_e32 v6, 0x10000, v7
	v_cmp_eq_u32_sdwa vcc, v7, v17 src0_sel:WORD_0 src1_sel:DWORD
	s_nop 1
	v_cndmask_b32_e32 v23, v6, v7, vcc
; %bb.196:                              ;   in Loop: Header=BB332_172 Depth=1
	s_or_b64 exec, exec, s[0:1]
	v_and_b32_e32 v6, 0x7f800000, v8
	v_cmp_ne_u32_e32 vcc, s13, v6
                                        ; implicit-def: $vgpr24
	s_and_saveexec_b64 s[0:1], vcc
	s_xor_b64 s[0:1], exec, s[0:1]
; %bb.197:                              ;   in Loop: Header=BB332_172 Depth=1
	v_bfe_u32 v6, v8, 16, 1
	v_add3_u32 v24, v8, v6, s14
; %bb.198:                              ;   in Loop: Header=BB332_172 Depth=1
	s_andn2_saveexec_b64 s[0:1], s[0:1]
; %bb.199:                              ;   in Loop: Header=BB332_172 Depth=1
	v_or_b32_e32 v6, 0x10000, v8
	v_cmp_eq_u32_sdwa vcc, v8, v17 src0_sel:WORD_0 src1_sel:DWORD
	s_nop 1
	v_cndmask_b32_e32 v24, v6, v8, vcc
; %bb.200:                              ;   in Loop: Header=BB332_172 Depth=1
	s_or_b64 exec, exec, s[0:1]
	v_and_b32_e32 v6, 0x7f800000, v9
	v_cmp_ne_u32_e32 vcc, s13, v6
                                        ; implicit-def: $vgpr32
	s_and_saveexec_b64 s[0:1], vcc
	s_xor_b64 s[0:1], exec, s[0:1]
; %bb.201:                              ;   in Loop: Header=BB332_172 Depth=1
	v_bfe_u32 v6, v9, 16, 1
	v_add3_u32 v32, v9, v6, s14
                                        ; implicit-def: $vgpr6_vgpr7_vgpr8_vgpr9
; %bb.202:                              ;   in Loop: Header=BB332_172 Depth=1
	s_andn2_saveexec_b64 s[0:1], s[0:1]
; %bb.203:                              ;   in Loop: Header=BB332_172 Depth=1
	v_or_b32_e32 v6, 0x10000, v9
	v_cmp_eq_u32_sdwa vcc, v9, v17 src0_sel:WORD_0 src1_sel:DWORD
	s_nop 1
	v_cndmask_b32_e32 v32, v6, v9, vcc
; %bb.204:                              ;   in Loop: Header=BB332_172 Depth=1
	s_or_b64 exec, exec, s[0:1]
	s_waitcnt vmcnt(0)
	v_mad_i64_i32 v[6:7], s[0:1], v25, s5, v[18:19]
	global_load_dwordx2 v[8:9], v[6:7], off
	s_waitcnt vmcnt(0)
	v_and_b32_e32 v10, 0xff, v8
	v_cvt_f32_fp8_sdwa v10, v10 src0_sel:BYTE_0
	s_nop 0
	v_mul_f32_e32 v11, s7, v10
	v_and_b32_e32 v10, 0x7f800000, v11
	v_cmp_ne_u32_e32 vcc, s13, v10
                                        ; implicit-def: $vgpr10
	s_and_saveexec_b64 s[0:1], vcc
	s_xor_b64 s[0:1], exec, s[0:1]
; %bb.205:                              ;   in Loop: Header=BB332_172 Depth=1
	v_bfe_u32 v10, v11, 16, 1
	v_add3_u32 v10, v11, v10, s14
                                        ; implicit-def: $vgpr11
; %bb.206:                              ;   in Loop: Header=BB332_172 Depth=1
	s_andn2_saveexec_b64 s[0:1], s[0:1]
; %bb.207:                              ;   in Loop: Header=BB332_172 Depth=1
	v_or_b32_e32 v10, 0x10000, v11
	v_cmp_eq_u32_sdwa vcc, v11, v17 src0_sel:WORD_0 src1_sel:DWORD
	s_nop 1
	v_cndmask_b32_e32 v10, v10, v11, vcc
; %bb.208:                              ;   in Loop: Header=BB332_172 Depth=1
	s_or_b64 exec, exec, s[0:1]
	v_bfe_u32 v11, v8, 8, 8
	v_cvt_f32_fp8_sdwa v11, v11 src0_sel:BYTE_0
	s_nop 0
	v_mul_f32_e32 v12, s7, v11
	v_and_b32_e32 v11, 0x7f800000, v12
	v_cmp_ne_u32_e32 vcc, s13, v11
                                        ; implicit-def: $vgpr11
	s_and_saveexec_b64 s[0:1], vcc
	s_xor_b64 s[0:1], exec, s[0:1]
; %bb.209:                              ;   in Loop: Header=BB332_172 Depth=1
	v_bfe_u32 v11, v12, 16, 1
	v_add3_u32 v11, v12, v11, s14
                                        ; implicit-def: $vgpr12
; %bb.210:                              ;   in Loop: Header=BB332_172 Depth=1
	s_andn2_saveexec_b64 s[0:1], s[0:1]
; %bb.211:                              ;   in Loop: Header=BB332_172 Depth=1
	v_or_b32_e32 v11, 0x10000, v12
	v_cmp_eq_u32_sdwa vcc, v12, v17 src0_sel:WORD_0 src1_sel:DWORD
	s_nop 1
	v_cndmask_b32_e32 v11, v11, v12, vcc
; %bb.212:                              ;   in Loop: Header=BB332_172 Depth=1
	s_or_b64 exec, exec, s[0:1]
	v_bfe_u32 v12, v8, 16, 8
	v_cvt_f32_fp8_sdwa v12, v12 src0_sel:BYTE_0
	s_nop 0
	v_mul_f32_e32 v13, s7, v12
	v_and_b32_e32 v12, 0x7f800000, v13
	v_cmp_ne_u32_e32 vcc, s13, v12
                                        ; implicit-def: $vgpr12
	s_and_saveexec_b64 s[0:1], vcc
	s_xor_b64 s[0:1], exec, s[0:1]
; %bb.213:                              ;   in Loop: Header=BB332_172 Depth=1
	v_bfe_u32 v12, v13, 16, 1
	v_add3_u32 v12, v13, v12, s14
                                        ; implicit-def: $vgpr13
; %bb.214:                              ;   in Loop: Header=BB332_172 Depth=1
	s_andn2_saveexec_b64 s[0:1], s[0:1]
; %bb.215:                              ;   in Loop: Header=BB332_172 Depth=1
	v_or_b32_e32 v12, 0x10000, v13
	v_cmp_eq_u32_sdwa vcc, v13, v17 src0_sel:WORD_0 src1_sel:DWORD
	s_nop 1
	v_cndmask_b32_e32 v12, v12, v13, vcc
; %bb.216:                              ;   in Loop: Header=BB332_172 Depth=1
	s_or_b64 exec, exec, s[0:1]
	v_lshrrev_b32_e32 v8, 24, v8
	v_cvt_f32_fp8_sdwa v8, v8 src0_sel:BYTE_0
	s_nop 0
	v_mul_f32_e32 v13, s7, v8
	v_and_b32_e32 v8, 0x7f800000, v13
	v_cmp_ne_u32_e32 vcc, s13, v8
                                        ; implicit-def: $vgpr8
	s_and_saveexec_b64 s[0:1], vcc
	s_xor_b64 s[0:1], exec, s[0:1]
; %bb.217:                              ;   in Loop: Header=BB332_172 Depth=1
	v_bfe_u32 v8, v13, 16, 1
	v_add3_u32 v8, v13, v8, s14
                                        ; implicit-def: $vgpr13
; %bb.218:                              ;   in Loop: Header=BB332_172 Depth=1
	s_andn2_saveexec_b64 s[0:1], s[0:1]
; %bb.219:                              ;   in Loop: Header=BB332_172 Depth=1
	v_or_b32_e32 v8, 0x10000, v13
	v_cmp_eq_u32_sdwa vcc, v13, v17 src0_sel:WORD_0 src1_sel:DWORD
	s_nop 1
	v_cndmask_b32_e32 v8, v8, v13, vcc
; %bb.220:                              ;   in Loop: Header=BB332_172 Depth=1
	s_or_b64 exec, exec, s[0:1]
	v_and_b32_e32 v13, 0xff, v9
	v_cvt_f32_fp8_sdwa v13, v13 src0_sel:BYTE_0
	s_nop 0
	v_mul_f32_e32 v25, s7, v13
	v_and_b32_e32 v13, 0x7f800000, v25
	v_cmp_ne_u32_e32 vcc, s13, v13
                                        ; implicit-def: $vgpr13
	s_and_saveexec_b64 s[0:1], vcc
	s_xor_b64 s[0:1], exec, s[0:1]
; %bb.221:                              ;   in Loop: Header=BB332_172 Depth=1
	v_bfe_u32 v13, v25, 16, 1
	v_add3_u32 v13, v25, v13, s14
                                        ; implicit-def: $vgpr25
; %bb.222:                              ;   in Loop: Header=BB332_172 Depth=1
	s_andn2_saveexec_b64 s[0:1], s[0:1]
; %bb.223:                              ;   in Loop: Header=BB332_172 Depth=1
	v_or_b32_e32 v13, 0x10000, v25
	v_cmp_eq_u32_sdwa vcc, v25, v17 src0_sel:WORD_0 src1_sel:DWORD
	s_nop 1
	v_cndmask_b32_e32 v13, v13, v25, vcc
; %bb.224:                              ;   in Loop: Header=BB332_172 Depth=1
	s_or_b64 exec, exec, s[0:1]
	v_bfe_u32 v25, v9, 8, 8
	v_cvt_f32_fp8_sdwa v25, v25 src0_sel:BYTE_0
	s_nop 0
	v_mul_f32_e32 v25, s7, v25
	v_and_b32_e32 v26, 0x7f800000, v25
	v_cmp_ne_u32_e32 vcc, s13, v26
                                        ; implicit-def: $vgpr26
	s_and_saveexec_b64 s[0:1], vcc
	s_xor_b64 s[0:1], exec, s[0:1]
; %bb.225:                              ;   in Loop: Header=BB332_172 Depth=1
	v_bfe_u32 v26, v25, 16, 1
	v_add3_u32 v26, v25, v26, s14
                                        ; implicit-def: $vgpr25
; %bb.226:                              ;   in Loop: Header=BB332_172 Depth=1
	s_andn2_saveexec_b64 s[0:1], s[0:1]
; %bb.227:                              ;   in Loop: Header=BB332_172 Depth=1
	v_or_b32_e32 v26, 0x10000, v25
	v_cmp_eq_u32_sdwa vcc, v25, v17 src0_sel:WORD_0 src1_sel:DWORD
	s_nop 1
	v_cndmask_b32_e32 v26, v26, v25, vcc
; %bb.228:                              ;   in Loop: Header=BB332_172 Depth=1
	s_or_b64 exec, exec, s[0:1]
	v_bfe_u32 v25, v9, 16, 8
	v_cvt_f32_fp8_sdwa v25, v25 src0_sel:BYTE_0
	s_nop 0
	v_mul_f32_e32 v25, s7, v25
	v_and_b32_e32 v27, 0x7f800000, v25
	v_cmp_ne_u32_e32 vcc, s13, v27
                                        ; implicit-def: $vgpr27
	s_and_saveexec_b64 s[0:1], vcc
	s_xor_b64 s[0:1], exec, s[0:1]
; %bb.229:                              ;   in Loop: Header=BB332_172 Depth=1
	v_bfe_u32 v27, v25, 16, 1
	v_add3_u32 v27, v25, v27, s14
                                        ; implicit-def: $vgpr25
; %bb.230:                              ;   in Loop: Header=BB332_172 Depth=1
	s_andn2_saveexec_b64 s[0:1], s[0:1]
; %bb.231:                              ;   in Loop: Header=BB332_172 Depth=1
	v_or_b32_e32 v27, 0x10000, v25
	v_cmp_eq_u32_sdwa vcc, v25, v17 src0_sel:WORD_0 src1_sel:DWORD
	s_nop 1
	v_cndmask_b32_e32 v27, v27, v25, vcc
; %bb.232:                              ;   in Loop: Header=BB332_172 Depth=1
	s_or_b64 exec, exec, s[0:1]
	v_lshrrev_b32_e32 v9, 24, v9
	v_cvt_f32_fp8_sdwa v9, v9 src0_sel:BYTE_0
                                        ; implicit-def: $vgpr28
	s_nop 0
	v_mul_f32_e32 v9, s7, v9
	v_and_b32_e32 v25, 0x7f800000, v9
	v_cmp_ne_u32_e32 vcc, s13, v25
	s_and_saveexec_b64 s[0:1], vcc
	s_xor_b64 s[0:1], exec, s[0:1]
; %bb.233:                              ;   in Loop: Header=BB332_172 Depth=1
	v_bfe_u32 v25, v9, 16, 1
	v_add3_u32 v28, v9, v25, s14
                                        ; implicit-def: $vgpr9
; %bb.234:                              ;   in Loop: Header=BB332_172 Depth=1
	s_andn2_saveexec_b64 s[0:1], s[0:1]
; %bb.235:                              ;   in Loop: Header=BB332_172 Depth=1
	v_or_b32_e32 v25, 0x10000, v9
	v_cmp_eq_u32_sdwa vcc, v9, v17 src0_sel:WORD_0 src1_sel:DWORD
	s_nop 1
	v_cndmask_b32_e32 v28, v25, v9, vcc
; %bb.236:                              ;   in Loop: Header=BB332_172 Depth=1
	s_or_b64 exec, exec, s[0:1]
	v_cmp_eq_u32_e32 vcc, s12, v14
	v_add_u32_e32 v25, -7, v16
	v_lshrrev_b32_e32 v39, 16, v26
	v_lshrrev_b32_e32 v38, 16, v13
	;; [unrolled: 1-line block ×8, first 2 shown]
	v_add_u32_e32 v31, -6, v16
	v_add_u32_e32 v30, -5, v16
	;; [unrolled: 1-line block ×6, first 2 shown]
	s_and_saveexec_b64 s[10:11], vcc
	s_cbranch_execz .LBB332_238
; %bb.237:                              ;   in Loop: Header=BB332_172 Depth=1
	v_cmp_gt_i32_e64 s[0:1], s35, v25
	s_nop 1
	v_cndmask_b32_e64 v10, 0, v10, s[0:1]
	v_cmp_gt_i32_e64 s[0:1], s35, v31
	s_nop 1
	v_cndmask_b32_e64 v11, 0, v11, s[0:1]
	;; [unrolled: 3-line block ×8, first 2 shown]
.LBB332_238:                            ;   in Loop: Header=BB332_172 Depth=1
	s_or_b64 exec, exec, s[10:11]
	v_and_b32_e32 v33, 0xffff0000, v33
	v_lshlrev_b32_e32 v10, 16, v10
	v_mul_f32_e32 v37, v33, v10
	v_and_b32_e32 v10, 0x7f800000, v37
	v_cmp_ne_u32_e64 s[0:1], s13, v10
                                        ; implicit-def: $vgpr10
	s_and_saveexec_b64 s[10:11], s[0:1]
	s_xor_b64 s[0:1], exec, s[10:11]
; %bb.239:                              ;   in Loop: Header=BB332_172 Depth=1
	v_bfe_u32 v10, v37, 16, 1
	v_add3_u32 v10, v37, v10, s14
                                        ; implicit-def: $vgpr37
; %bb.240:                              ;   in Loop: Header=BB332_172 Depth=1
	s_andn2_saveexec_b64 s[10:11], s[0:1]
; %bb.241:                              ;   in Loop: Header=BB332_172 Depth=1
	v_or_b32_e32 v10, 0x10000, v37
	v_cmp_eq_u32_sdwa s[0:1], v37, v17 src0_sel:WORD_0 src1_sel:DWORD
	s_nop 1
	v_cndmask_b32_e64 v10, v10, v37, s[0:1]
; %bb.242:                              ;   in Loop: Header=BB332_172 Depth=1
	s_or_b64 exec, exec, s[10:11]
	v_and_b32_e32 v34, 0xffff0000, v34
	v_lshlrev_b32_e32 v11, 16, v11
	v_mul_f32_e32 v37, v34, v11
	v_and_b32_e32 v11, 0x7f800000, v37
	v_cmp_ne_u32_e64 s[0:1], s13, v11
                                        ; implicit-def: $vgpr11
	s_and_saveexec_b64 s[10:11], s[0:1]
	s_xor_b64 s[0:1], exec, s[10:11]
; %bb.243:                              ;   in Loop: Header=BB332_172 Depth=1
	v_bfe_u32 v11, v37, 16, 1
	v_add3_u32 v11, v37, v11, s14
                                        ; implicit-def: $vgpr37
; %bb.244:                              ;   in Loop: Header=BB332_172 Depth=1
	s_andn2_saveexec_b64 s[10:11], s[0:1]
; %bb.245:                              ;   in Loop: Header=BB332_172 Depth=1
	v_or_b32_e32 v11, 0x10000, v37
	v_cmp_eq_u32_sdwa s[0:1], v37, v17 src0_sel:WORD_0 src1_sel:DWORD
	s_nop 1
	v_cndmask_b32_e64 v11, v11, v37, s[0:1]
; %bb.246:                              ;   in Loop: Header=BB332_172 Depth=1
	s_or_b64 exec, exec, s[10:11]
	v_and_b32_e32 v35, 0xffff0000, v35
	v_lshlrev_b32_e32 v12, 16, v12
	v_mul_f32_e32 v37, v35, v12
	v_and_b32_e32 v12, 0x7f800000, v37
	v_cmp_ne_u32_e64 s[0:1], s13, v12
                                        ; implicit-def: $vgpr12
	s_and_saveexec_b64 s[10:11], s[0:1]
	s_xor_b64 s[0:1], exec, s[10:11]
; %bb.247:                              ;   in Loop: Header=BB332_172 Depth=1
	v_bfe_u32 v12, v37, 16, 1
	v_add3_u32 v12, v37, v12, s14
                                        ; implicit-def: $vgpr37
; %bb.248:                              ;   in Loop: Header=BB332_172 Depth=1
	s_andn2_saveexec_b64 s[10:11], s[0:1]
; %bb.249:                              ;   in Loop: Header=BB332_172 Depth=1
	v_or_b32_e32 v12, 0x10000, v37
	v_cmp_eq_u32_sdwa s[0:1], v37, v17 src0_sel:WORD_0 src1_sel:DWORD
	s_nop 1
	v_cndmask_b32_e64 v12, v12, v37, s[0:1]
; %bb.250:                              ;   in Loop: Header=BB332_172 Depth=1
	s_or_b64 exec, exec, s[10:11]
	v_and_b32_e32 v36, 0xffff0000, v36
	v_lshlrev_b32_e32 v13, 16, v13
	v_mul_f32_e32 v37, v36, v13
	v_and_b32_e32 v13, 0x7f800000, v37
	v_cmp_ne_u32_e64 s[0:1], s13, v13
                                        ; implicit-def: $vgpr13
	s_and_saveexec_b64 s[10:11], s[0:1]
	s_xor_b64 s[0:1], exec, s[10:11]
; %bb.251:                              ;   in Loop: Header=BB332_172 Depth=1
	v_bfe_u32 v13, v37, 16, 1
	v_add3_u32 v13, v37, v13, s14
                                        ; implicit-def: $vgpr37
; %bb.252:                              ;   in Loop: Header=BB332_172 Depth=1
	s_andn2_saveexec_b64 s[10:11], s[0:1]
; %bb.253:                              ;   in Loop: Header=BB332_172 Depth=1
	v_or_b32_e32 v13, 0x10000, v37
	v_cmp_eq_u32_sdwa s[0:1], v37, v17 src0_sel:WORD_0 src1_sel:DWORD
	s_nop 1
	v_cndmask_b32_e64 v13, v13, v37, s[0:1]
; %bb.254:                              ;   in Loop: Header=BB332_172 Depth=1
	s_or_b64 exec, exec, s[10:11]
	v_and_b32_e32 v37, 0xffff0000, v15
	v_lshlrev_b32_e32 v15, 16, v38
	v_mul_f32_e32 v38, v37, v15
	v_and_b32_e32 v15, 0x7f800000, v38
	v_cmp_ne_u32_e64 s[0:1], s13, v15
                                        ; implicit-def: $vgpr15
	s_and_saveexec_b64 s[10:11], s[0:1]
	s_xor_b64 s[0:1], exec, s[10:11]
; %bb.255:                              ;   in Loop: Header=BB332_172 Depth=1
	v_bfe_u32 v15, v38, 16, 1
	v_add3_u32 v15, v38, v15, s14
                                        ; implicit-def: $vgpr38
; %bb.256:                              ;   in Loop: Header=BB332_172 Depth=1
	s_andn2_saveexec_b64 s[10:11], s[0:1]
; %bb.257:                              ;   in Loop: Header=BB332_172 Depth=1
	v_or_b32_e32 v15, 0x10000, v38
	v_cmp_eq_u32_sdwa s[0:1], v38, v17 src0_sel:WORD_0 src1_sel:DWORD
	s_nop 1
	v_cndmask_b32_e64 v15, v15, v38, s[0:1]
; %bb.258:                              ;   in Loop: Header=BB332_172 Depth=1
	s_or_b64 exec, exec, s[10:11]
	v_and_b32_e32 v38, 0xffff0000, v23
	v_lshlrev_b32_e32 v23, 16, v39
	v_mul_f32_e32 v39, v38, v23
	v_and_b32_e32 v23, 0x7f800000, v39
	v_cmp_ne_u32_e64 s[0:1], s13, v23
                                        ; implicit-def: $vgpr23
	s_and_saveexec_b64 s[10:11], s[0:1]
	s_xor_b64 s[0:1], exec, s[10:11]
; %bb.259:                              ;   in Loop: Header=BB332_172 Depth=1
	v_bfe_u32 v23, v39, 16, 1
	v_add3_u32 v23, v39, v23, s14
                                        ; implicit-def: $vgpr39
; %bb.260:                              ;   in Loop: Header=BB332_172 Depth=1
	s_andn2_saveexec_b64 s[10:11], s[0:1]
; %bb.261:                              ;   in Loop: Header=BB332_172 Depth=1
	v_or_b32_e32 v23, 0x10000, v39
	v_cmp_eq_u32_sdwa s[0:1], v39, v17 src0_sel:WORD_0 src1_sel:DWORD
	s_nop 1
	v_cndmask_b32_e64 v23, v23, v39, s[0:1]
; %bb.262:                              ;   in Loop: Header=BB332_172 Depth=1
	s_or_b64 exec, exec, s[10:11]
	v_and_b32_e32 v39, 0xffff0000, v24
	v_lshlrev_b32_e32 v9, 16, v9
	v_mul_f32_e32 v9, v39, v9
	v_and_b32_e32 v24, 0x7f800000, v9
	v_cmp_ne_u32_e64 s[0:1], s13, v24
                                        ; implicit-def: $vgpr24
	s_and_saveexec_b64 s[10:11], s[0:1]
	s_xor_b64 s[0:1], exec, s[10:11]
; %bb.263:                              ;   in Loop: Header=BB332_172 Depth=1
	v_bfe_u32 v24, v9, 16, 1
	v_add3_u32 v24, v9, v24, s14
                                        ; implicit-def: $vgpr9
; %bb.264:                              ;   in Loop: Header=BB332_172 Depth=1
	s_andn2_saveexec_b64 s[10:11], s[0:1]
; %bb.265:                              ;   in Loop: Header=BB332_172 Depth=1
	v_or_b32_e32 v24, 0x10000, v9
	v_cmp_eq_u32_sdwa s[0:1], v9, v17 src0_sel:WORD_0 src1_sel:DWORD
	s_nop 1
	v_cndmask_b32_e64 v24, v24, v9, s[0:1]
; %bb.266:                              ;   in Loop: Header=BB332_172 Depth=1
	s_or_b64 exec, exec, s[10:11]
	v_and_b32_e32 v40, 0xffff0000, v32
	v_lshlrev_b32_e32 v8, 16, v8
	v_mul_f32_e32 v8, v40, v8
	v_and_b32_e32 v9, 0x7f800000, v8
	v_cmp_ne_u32_e64 s[0:1], s13, v9
                                        ; implicit-def: $vgpr32
	s_and_saveexec_b64 s[10:11], s[0:1]
	s_xor_b64 s[0:1], exec, s[10:11]
; %bb.267:                              ;   in Loop: Header=BB332_172 Depth=1
	v_bfe_u32 v9, v8, 16, 1
	v_add3_u32 v32, v8, v9, s14
                                        ; implicit-def: $vgpr8
; %bb.268:                              ;   in Loop: Header=BB332_172 Depth=1
	s_andn2_saveexec_b64 s[10:11], s[0:1]
; %bb.269:                              ;   in Loop: Header=BB332_172 Depth=1
	v_or_b32_e32 v9, 0x10000, v8
	v_cmp_eq_u32_sdwa s[0:1], v8, v17 src0_sel:WORD_0 src1_sel:DWORD
	s_nop 1
	v_cndmask_b32_e64 v32, v9, v8, s[0:1]
; %bb.270:                              ;   in Loop: Header=BB332_172 Depth=1
	s_or_b64 exec, exec, s[10:11]
	global_load_dwordx2 v[8:9], v[6:7], off offset:512
	s_waitcnt vmcnt(0)
	v_and_b32_e32 v41, 0xff, v8
	v_cvt_f32_fp8_sdwa v41, v41 src0_sel:BYTE_0
	s_nop 0
	v_mul_f32_e32 v42, s7, v41
	v_and_b32_e32 v41, 0x7f800000, v42
	v_cmp_ne_u32_e64 s[0:1], s13, v41
                                        ; implicit-def: $vgpr41
	s_and_saveexec_b64 s[10:11], s[0:1]
	s_xor_b64 s[0:1], exec, s[10:11]
; %bb.271:                              ;   in Loop: Header=BB332_172 Depth=1
	v_bfe_u32 v41, v42, 16, 1
	v_add3_u32 v41, v42, v41, s14
                                        ; implicit-def: $vgpr42
; %bb.272:                              ;   in Loop: Header=BB332_172 Depth=1
	s_andn2_saveexec_b64 s[10:11], s[0:1]
; %bb.273:                              ;   in Loop: Header=BB332_172 Depth=1
	v_or_b32_e32 v41, 0x10000, v42
	v_cmp_eq_u32_sdwa s[0:1], v42, v17 src0_sel:WORD_0 src1_sel:DWORD
	s_nop 1
	v_cndmask_b32_e64 v41, v41, v42, s[0:1]
; %bb.274:                              ;   in Loop: Header=BB332_172 Depth=1
	s_or_b64 exec, exec, s[10:11]
	v_bfe_u32 v42, v8, 8, 8
	v_cvt_f32_fp8_sdwa v42, v42 src0_sel:BYTE_0
	s_nop 0
	v_mul_f32_e32 v43, s7, v42
	v_and_b32_e32 v42, 0x7f800000, v43
	v_cmp_ne_u32_e64 s[0:1], s13, v42
                                        ; implicit-def: $vgpr42
	s_and_saveexec_b64 s[10:11], s[0:1]
	s_xor_b64 s[0:1], exec, s[10:11]
; %bb.275:                              ;   in Loop: Header=BB332_172 Depth=1
	v_bfe_u32 v42, v43, 16, 1
	v_add3_u32 v42, v43, v42, s14
                                        ; implicit-def: $vgpr43
; %bb.276:                              ;   in Loop: Header=BB332_172 Depth=1
	s_andn2_saveexec_b64 s[10:11], s[0:1]
; %bb.277:                              ;   in Loop: Header=BB332_172 Depth=1
	v_or_b32_e32 v42, 0x10000, v43
	v_cmp_eq_u32_sdwa s[0:1], v43, v17 src0_sel:WORD_0 src1_sel:DWORD
	s_nop 1
	v_cndmask_b32_e64 v42, v42, v43, s[0:1]
; %bb.278:                              ;   in Loop: Header=BB332_172 Depth=1
	s_or_b64 exec, exec, s[10:11]
	v_bfe_u32 v43, v8, 16, 8
	v_cvt_f32_fp8_sdwa v43, v43 src0_sel:BYTE_0
	s_nop 0
	v_mul_f32_e32 v44, s7, v43
	v_and_b32_e32 v43, 0x7f800000, v44
	v_cmp_ne_u32_e64 s[0:1], s13, v43
                                        ; implicit-def: $vgpr43
	s_and_saveexec_b64 s[10:11], s[0:1]
	s_xor_b64 s[0:1], exec, s[10:11]
; %bb.279:                              ;   in Loop: Header=BB332_172 Depth=1
	v_bfe_u32 v43, v44, 16, 1
	v_add3_u32 v43, v44, v43, s14
                                        ; implicit-def: $vgpr44
; %bb.280:                              ;   in Loop: Header=BB332_172 Depth=1
	s_andn2_saveexec_b64 s[10:11], s[0:1]
; %bb.281:                              ;   in Loop: Header=BB332_172 Depth=1
	v_or_b32_e32 v43, 0x10000, v44
	v_cmp_eq_u32_sdwa s[0:1], v44, v17 src0_sel:WORD_0 src1_sel:DWORD
	s_nop 1
	v_cndmask_b32_e64 v43, v43, v44, s[0:1]
; %bb.282:                              ;   in Loop: Header=BB332_172 Depth=1
	s_or_b64 exec, exec, s[10:11]
	v_lshrrev_b32_e32 v8, 24, v8
	v_cvt_f32_fp8_sdwa v8, v8 src0_sel:BYTE_0
	s_nop 0
	v_mul_f32_e32 v44, s7, v8
	v_and_b32_e32 v8, 0x7f800000, v44
	v_cmp_ne_u32_e64 s[0:1], s13, v8
                                        ; implicit-def: $vgpr8
	s_and_saveexec_b64 s[10:11], s[0:1]
	s_xor_b64 s[0:1], exec, s[10:11]
; %bb.283:                              ;   in Loop: Header=BB332_172 Depth=1
	v_bfe_u32 v8, v44, 16, 1
	v_add3_u32 v8, v44, v8, s14
                                        ; implicit-def: $vgpr44
; %bb.284:                              ;   in Loop: Header=BB332_172 Depth=1
	s_andn2_saveexec_b64 s[10:11], s[0:1]
; %bb.285:                              ;   in Loop: Header=BB332_172 Depth=1
	v_or_b32_e32 v8, 0x10000, v44
	v_cmp_eq_u32_sdwa s[0:1], v44, v17 src0_sel:WORD_0 src1_sel:DWORD
	s_nop 1
	v_cndmask_b32_e64 v8, v8, v44, s[0:1]
; %bb.286:                              ;   in Loop: Header=BB332_172 Depth=1
	s_or_b64 exec, exec, s[10:11]
	v_and_b32_e32 v44, 0xff, v9
	v_cvt_f32_fp8_sdwa v44, v44 src0_sel:BYTE_0
	s_nop 0
	v_mul_f32_e32 v45, s7, v44
	v_and_b32_e32 v44, 0x7f800000, v45
	v_cmp_ne_u32_e64 s[0:1], s13, v44
                                        ; implicit-def: $vgpr44
	s_and_saveexec_b64 s[10:11], s[0:1]
	s_xor_b64 s[0:1], exec, s[10:11]
; %bb.287:                              ;   in Loop: Header=BB332_172 Depth=1
	v_bfe_u32 v44, v45, 16, 1
	v_add3_u32 v44, v45, v44, s14
                                        ; implicit-def: $vgpr45
; %bb.288:                              ;   in Loop: Header=BB332_172 Depth=1
	s_andn2_saveexec_b64 s[10:11], s[0:1]
; %bb.289:                              ;   in Loop: Header=BB332_172 Depth=1
	v_or_b32_e32 v44, 0x10000, v45
	v_cmp_eq_u32_sdwa s[0:1], v45, v17 src0_sel:WORD_0 src1_sel:DWORD
	s_nop 1
	v_cndmask_b32_e64 v44, v44, v45, s[0:1]
; %bb.290:                              ;   in Loop: Header=BB332_172 Depth=1
	s_or_b64 exec, exec, s[10:11]
	v_bfe_u32 v45, v9, 8, 8
	v_cvt_f32_fp8_sdwa v45, v45 src0_sel:BYTE_0
	s_nop 0
	v_mul_f32_e32 v46, s7, v45
	v_and_b32_e32 v45, 0x7f800000, v46
	v_cmp_ne_u32_e64 s[0:1], s13, v45
                                        ; implicit-def: $vgpr45
	s_and_saveexec_b64 s[10:11], s[0:1]
	s_xor_b64 s[0:1], exec, s[10:11]
; %bb.291:                              ;   in Loop: Header=BB332_172 Depth=1
	v_bfe_u32 v45, v46, 16, 1
	v_add3_u32 v45, v46, v45, s14
                                        ; implicit-def: $vgpr46
; %bb.292:                              ;   in Loop: Header=BB332_172 Depth=1
	s_andn2_saveexec_b64 s[10:11], s[0:1]
; %bb.293:                              ;   in Loop: Header=BB332_172 Depth=1
	v_or_b32_e32 v45, 0x10000, v46
	v_cmp_eq_u32_sdwa s[0:1], v46, v17 src0_sel:WORD_0 src1_sel:DWORD
	s_nop 1
	v_cndmask_b32_e64 v45, v45, v46, s[0:1]
; %bb.294:                              ;   in Loop: Header=BB332_172 Depth=1
	s_or_b64 exec, exec, s[10:11]
	v_bfe_u32 v46, v9, 16, 8
	v_cvt_f32_fp8_sdwa v46, v46 src0_sel:BYTE_0
	s_nop 0
	v_mul_f32_e32 v46, s7, v46
	v_and_b32_e32 v47, 0x7f800000, v46
	v_cmp_ne_u32_e64 s[0:1], s13, v47
                                        ; implicit-def: $vgpr47
	s_and_saveexec_b64 s[10:11], s[0:1]
	s_xor_b64 s[0:1], exec, s[10:11]
; %bb.295:                              ;   in Loop: Header=BB332_172 Depth=1
	v_bfe_u32 v47, v46, 16, 1
	v_add3_u32 v47, v46, v47, s14
                                        ; implicit-def: $vgpr46
; %bb.296:                              ;   in Loop: Header=BB332_172 Depth=1
	s_andn2_saveexec_b64 s[10:11], s[0:1]
; %bb.297:                              ;   in Loop: Header=BB332_172 Depth=1
	v_or_b32_e32 v47, 0x10000, v46
	v_cmp_eq_u32_sdwa s[0:1], v46, v17 src0_sel:WORD_0 src1_sel:DWORD
	s_nop 1
	v_cndmask_b32_e64 v47, v47, v46, s[0:1]
; %bb.298:                              ;   in Loop: Header=BB332_172 Depth=1
	s_or_b64 exec, exec, s[10:11]
	v_lshrrev_b32_e32 v9, 24, v9
	v_cvt_f32_fp8_sdwa v9, v9 src0_sel:BYTE_0
                                        ; implicit-def: $vgpr48
	s_nop 0
	v_mul_f32_e32 v9, s7, v9
	v_and_b32_e32 v46, 0x7f800000, v9
	v_cmp_ne_u32_e64 s[0:1], s13, v46
	s_and_saveexec_b64 s[10:11], s[0:1]
	s_xor_b64 s[0:1], exec, s[10:11]
; %bb.299:                              ;   in Loop: Header=BB332_172 Depth=1
	v_bfe_u32 v46, v9, 16, 1
	v_add3_u32 v48, v9, v46, s14
                                        ; implicit-def: $vgpr9
; %bb.300:                              ;   in Loop: Header=BB332_172 Depth=1
	s_andn2_saveexec_b64 s[10:11], s[0:1]
; %bb.301:                              ;   in Loop: Header=BB332_172 Depth=1
	v_or_b32_e32 v46, 0x10000, v9
	v_cmp_eq_u32_sdwa s[0:1], v9, v17 src0_sel:WORD_0 src1_sel:DWORD
	s_nop 1
	v_cndmask_b32_e64 v48, v46, v9, s[0:1]
; %bb.302:                              ;   in Loop: Header=BB332_172 Depth=1
	s_or_b64 exec, exec, s[10:11]
	v_lshrrev_b32_e32 v46, 16, v45
	v_lshrrev_b32_e32 v45, 16, v44
	;; [unrolled: 1-line block ×8, first 2 shown]
	s_and_saveexec_b64 s[10:11], vcc
	s_cbranch_execz .LBB332_304
; %bb.303:                              ;   in Loop: Header=BB332_172 Depth=1
	v_cmp_gt_i32_e64 s[0:1], s35, v25
	s_nop 1
	v_cndmask_b32_e64 v41, 0, v41, s[0:1]
	v_cmp_gt_i32_e64 s[0:1], s35, v31
	s_nop 1
	v_cndmask_b32_e64 v42, 0, v42, s[0:1]
	;; [unrolled: 3-line block ×8, first 2 shown]
.LBB332_304:                            ;   in Loop: Header=BB332_172 Depth=1
	s_or_b64 exec, exec, s[10:11]
	v_lshlrev_b32_e32 v41, 16, v41
	v_mul_f32_e32 v47, v33, v41
	v_and_b32_e32 v41, 0x7f800000, v47
	v_cmp_ne_u32_e64 s[0:1], s13, v41
                                        ; implicit-def: $vgpr41
	s_and_saveexec_b64 s[10:11], s[0:1]
	s_xor_b64 s[0:1], exec, s[10:11]
; %bb.305:                              ;   in Loop: Header=BB332_172 Depth=1
	v_bfe_u32 v41, v47, 16, 1
	v_add3_u32 v41, v47, v41, s14
                                        ; implicit-def: $vgpr47
; %bb.306:                              ;   in Loop: Header=BB332_172 Depth=1
	s_andn2_saveexec_b64 s[10:11], s[0:1]
; %bb.307:                              ;   in Loop: Header=BB332_172 Depth=1
	v_or_b32_e32 v41, 0x10000, v47
	v_cmp_eq_u32_sdwa s[0:1], v47, v17 src0_sel:WORD_0 src1_sel:DWORD
	s_nop 1
	v_cndmask_b32_e64 v41, v41, v47, s[0:1]
; %bb.308:                              ;   in Loop: Header=BB332_172 Depth=1
	s_or_b64 exec, exec, s[10:11]
	v_lshlrev_b32_e32 v42, 16, v42
	v_mul_f32_e32 v47, v34, v42
	v_and_b32_e32 v42, 0x7f800000, v47
	v_cmp_ne_u32_e64 s[0:1], s13, v42
                                        ; implicit-def: $vgpr42
	s_and_saveexec_b64 s[10:11], s[0:1]
	s_xor_b64 s[0:1], exec, s[10:11]
; %bb.309:                              ;   in Loop: Header=BB332_172 Depth=1
	v_bfe_u32 v42, v47, 16, 1
	v_add3_u32 v42, v47, v42, s14
                                        ; implicit-def: $vgpr47
; %bb.310:                              ;   in Loop: Header=BB332_172 Depth=1
	s_andn2_saveexec_b64 s[10:11], s[0:1]
; %bb.311:                              ;   in Loop: Header=BB332_172 Depth=1
	v_or_b32_e32 v42, 0x10000, v47
	v_cmp_eq_u32_sdwa s[0:1], v47, v17 src0_sel:WORD_0 src1_sel:DWORD
	s_nop 1
	v_cndmask_b32_e64 v42, v42, v47, s[0:1]
; %bb.312:                              ;   in Loop: Header=BB332_172 Depth=1
	s_or_b64 exec, exec, s[10:11]
	v_lshlrev_b32_e32 v43, 16, v43
	v_mul_f32_e32 v47, v35, v43
	v_and_b32_e32 v43, 0x7f800000, v47
	v_cmp_ne_u32_e64 s[0:1], s13, v43
                                        ; implicit-def: $vgpr43
	s_and_saveexec_b64 s[10:11], s[0:1]
	s_xor_b64 s[0:1], exec, s[10:11]
; %bb.313:                              ;   in Loop: Header=BB332_172 Depth=1
	v_bfe_u32 v43, v47, 16, 1
	v_add3_u32 v43, v47, v43, s14
                                        ; implicit-def: $vgpr47
; %bb.314:                              ;   in Loop: Header=BB332_172 Depth=1
	s_andn2_saveexec_b64 s[10:11], s[0:1]
; %bb.315:                              ;   in Loop: Header=BB332_172 Depth=1
	v_or_b32_e32 v43, 0x10000, v47
	v_cmp_eq_u32_sdwa s[0:1], v47, v17 src0_sel:WORD_0 src1_sel:DWORD
	s_nop 1
	v_cndmask_b32_e64 v43, v43, v47, s[0:1]
; %bb.316:                              ;   in Loop: Header=BB332_172 Depth=1
	s_or_b64 exec, exec, s[10:11]
	v_lshlrev_b32_e32 v44, 16, v44
	v_mul_f32_e32 v47, v36, v44
	v_and_b32_e32 v44, 0x7f800000, v47
	v_cmp_ne_u32_e64 s[0:1], s13, v44
                                        ; implicit-def: $vgpr44
	s_and_saveexec_b64 s[10:11], s[0:1]
	s_xor_b64 s[0:1], exec, s[10:11]
; %bb.317:                              ;   in Loop: Header=BB332_172 Depth=1
	v_bfe_u32 v44, v47, 16, 1
	v_add3_u32 v44, v47, v44, s14
                                        ; implicit-def: $vgpr47
; %bb.318:                              ;   in Loop: Header=BB332_172 Depth=1
	s_andn2_saveexec_b64 s[10:11], s[0:1]
; %bb.319:                              ;   in Loop: Header=BB332_172 Depth=1
	v_or_b32_e32 v44, 0x10000, v47
	v_cmp_eq_u32_sdwa s[0:1], v47, v17 src0_sel:WORD_0 src1_sel:DWORD
	s_nop 1
	v_cndmask_b32_e64 v44, v44, v47, s[0:1]
; %bb.320:                              ;   in Loop: Header=BB332_172 Depth=1
	s_or_b64 exec, exec, s[10:11]
	v_lshlrev_b32_e32 v45, 16, v45
	v_mul_f32_e32 v47, v37, v45
	v_and_b32_e32 v45, 0x7f800000, v47
	v_cmp_ne_u32_e64 s[0:1], s13, v45
                                        ; implicit-def: $vgpr45
	s_and_saveexec_b64 s[10:11], s[0:1]
	s_xor_b64 s[0:1], exec, s[10:11]
; %bb.321:                              ;   in Loop: Header=BB332_172 Depth=1
	v_bfe_u32 v45, v47, 16, 1
	v_add3_u32 v45, v47, v45, s14
                                        ; implicit-def: $vgpr47
; %bb.322:                              ;   in Loop: Header=BB332_172 Depth=1
	s_andn2_saveexec_b64 s[10:11], s[0:1]
; %bb.323:                              ;   in Loop: Header=BB332_172 Depth=1
	v_or_b32_e32 v45, 0x10000, v47
	v_cmp_eq_u32_sdwa s[0:1], v47, v17 src0_sel:WORD_0 src1_sel:DWORD
	s_nop 1
	v_cndmask_b32_e64 v45, v45, v47, s[0:1]
; %bb.324:                              ;   in Loop: Header=BB332_172 Depth=1
	s_or_b64 exec, exec, s[10:11]
	v_lshlrev_b32_e32 v46, 16, v46
	v_mul_f32_e32 v47, v38, v46
	v_and_b32_e32 v46, 0x7f800000, v47
	v_cmp_ne_u32_e64 s[0:1], s13, v46
                                        ; implicit-def: $vgpr46
	s_and_saveexec_b64 s[10:11], s[0:1]
	s_xor_b64 s[0:1], exec, s[10:11]
; %bb.325:                              ;   in Loop: Header=BB332_172 Depth=1
	v_bfe_u32 v46, v47, 16, 1
	v_add3_u32 v46, v47, v46, s14
                                        ; implicit-def: $vgpr47
; %bb.326:                              ;   in Loop: Header=BB332_172 Depth=1
	s_andn2_saveexec_b64 s[10:11], s[0:1]
; %bb.327:                              ;   in Loop: Header=BB332_172 Depth=1
	v_or_b32_e32 v46, 0x10000, v47
	v_cmp_eq_u32_sdwa s[0:1], v47, v17 src0_sel:WORD_0 src1_sel:DWORD
	s_nop 1
	v_cndmask_b32_e64 v46, v46, v47, s[0:1]
; %bb.328:                              ;   in Loop: Header=BB332_172 Depth=1
	s_or_b64 exec, exec, s[10:11]
	v_lshlrev_b32_e32 v9, 16, v9
	v_mul_f32_e32 v9, v39, v9
	v_and_b32_e32 v47, 0x7f800000, v9
	v_cmp_ne_u32_e64 s[0:1], s13, v47
                                        ; implicit-def: $vgpr47
	s_and_saveexec_b64 s[10:11], s[0:1]
	s_xor_b64 s[0:1], exec, s[10:11]
; %bb.329:                              ;   in Loop: Header=BB332_172 Depth=1
	v_bfe_u32 v47, v9, 16, 1
	v_add3_u32 v47, v9, v47, s14
                                        ; implicit-def: $vgpr9
; %bb.330:                              ;   in Loop: Header=BB332_172 Depth=1
	s_andn2_saveexec_b64 s[10:11], s[0:1]
; %bb.331:                              ;   in Loop: Header=BB332_172 Depth=1
	v_or_b32_e32 v47, 0x10000, v9
	v_cmp_eq_u32_sdwa s[0:1], v9, v17 src0_sel:WORD_0 src1_sel:DWORD
	s_nop 1
	v_cndmask_b32_e64 v47, v47, v9, s[0:1]
; %bb.332:                              ;   in Loop: Header=BB332_172 Depth=1
	s_or_b64 exec, exec, s[10:11]
	v_lshlrev_b32_e32 v8, 16, v8
	v_mul_f32_e32 v8, v40, v8
	v_and_b32_e32 v9, 0x7f800000, v8
	v_cmp_ne_u32_e64 s[0:1], s13, v9
                                        ; implicit-def: $vgpr48
	s_and_saveexec_b64 s[10:11], s[0:1]
	s_xor_b64 s[0:1], exec, s[10:11]
; %bb.333:                              ;   in Loop: Header=BB332_172 Depth=1
	v_bfe_u32 v9, v8, 16, 1
	v_add3_u32 v48, v8, v9, s14
                                        ; implicit-def: $vgpr8
; %bb.334:                              ;   in Loop: Header=BB332_172 Depth=1
	s_andn2_saveexec_b64 s[10:11], s[0:1]
; %bb.335:                              ;   in Loop: Header=BB332_172 Depth=1
	v_or_b32_e32 v9, 0x10000, v8
	v_cmp_eq_u32_sdwa s[0:1], v8, v17 src0_sel:WORD_0 src1_sel:DWORD
	s_nop 1
	v_cndmask_b32_e64 v48, v9, v8, s[0:1]
; %bb.336:                              ;   in Loop: Header=BB332_172 Depth=1
	s_or_b64 exec, exec, s[10:11]
	global_load_dwordx2 v[8:9], v[6:7], off offset:1024
	s_waitcnt vmcnt(0)
	v_and_b32_e32 v49, 0xff, v8
	v_cvt_f32_fp8_sdwa v49, v49 src0_sel:BYTE_0
	s_nop 0
	v_mul_f32_e32 v50, s7, v49
	v_and_b32_e32 v49, 0x7f800000, v50
	v_cmp_ne_u32_e64 s[0:1], s13, v49
                                        ; implicit-def: $vgpr49
	s_and_saveexec_b64 s[10:11], s[0:1]
	s_xor_b64 s[0:1], exec, s[10:11]
; %bb.337:                              ;   in Loop: Header=BB332_172 Depth=1
	v_bfe_u32 v49, v50, 16, 1
	v_add3_u32 v49, v50, v49, s14
                                        ; implicit-def: $vgpr50
; %bb.338:                              ;   in Loop: Header=BB332_172 Depth=1
	s_andn2_saveexec_b64 s[10:11], s[0:1]
; %bb.339:                              ;   in Loop: Header=BB332_172 Depth=1
	v_or_b32_e32 v49, 0x10000, v50
	v_cmp_eq_u32_sdwa s[0:1], v50, v17 src0_sel:WORD_0 src1_sel:DWORD
	s_nop 1
	v_cndmask_b32_e64 v49, v49, v50, s[0:1]
; %bb.340:                              ;   in Loop: Header=BB332_172 Depth=1
	s_or_b64 exec, exec, s[10:11]
	v_bfe_u32 v50, v8, 8, 8
	v_cvt_f32_fp8_sdwa v50, v50 src0_sel:BYTE_0
	s_nop 0
	v_mul_f32_e32 v51, s7, v50
	v_and_b32_e32 v50, 0x7f800000, v51
	v_cmp_ne_u32_e64 s[0:1], s13, v50
                                        ; implicit-def: $vgpr50
	s_and_saveexec_b64 s[10:11], s[0:1]
	s_xor_b64 s[0:1], exec, s[10:11]
; %bb.341:                              ;   in Loop: Header=BB332_172 Depth=1
	v_bfe_u32 v50, v51, 16, 1
	v_add3_u32 v50, v51, v50, s14
                                        ; implicit-def: $vgpr51
; %bb.342:                              ;   in Loop: Header=BB332_172 Depth=1
	s_andn2_saveexec_b64 s[10:11], s[0:1]
; %bb.343:                              ;   in Loop: Header=BB332_172 Depth=1
	v_or_b32_e32 v50, 0x10000, v51
	v_cmp_eq_u32_sdwa s[0:1], v51, v17 src0_sel:WORD_0 src1_sel:DWORD
	s_nop 1
	v_cndmask_b32_e64 v50, v50, v51, s[0:1]
; %bb.344:                              ;   in Loop: Header=BB332_172 Depth=1
	s_or_b64 exec, exec, s[10:11]
	v_bfe_u32 v51, v8, 16, 8
	v_cvt_f32_fp8_sdwa v51, v51 src0_sel:BYTE_0
	s_nop 0
	v_mul_f32_e32 v52, s7, v51
	v_and_b32_e32 v51, 0x7f800000, v52
	v_cmp_ne_u32_e64 s[0:1], s13, v51
                                        ; implicit-def: $vgpr51
	s_and_saveexec_b64 s[10:11], s[0:1]
	s_xor_b64 s[0:1], exec, s[10:11]
; %bb.345:                              ;   in Loop: Header=BB332_172 Depth=1
	v_bfe_u32 v51, v52, 16, 1
	v_add3_u32 v51, v52, v51, s14
                                        ; implicit-def: $vgpr52
; %bb.346:                              ;   in Loop: Header=BB332_172 Depth=1
	s_andn2_saveexec_b64 s[10:11], s[0:1]
; %bb.347:                              ;   in Loop: Header=BB332_172 Depth=1
	v_or_b32_e32 v51, 0x10000, v52
	v_cmp_eq_u32_sdwa s[0:1], v52, v17 src0_sel:WORD_0 src1_sel:DWORD
	s_nop 1
	v_cndmask_b32_e64 v51, v51, v52, s[0:1]
; %bb.348:                              ;   in Loop: Header=BB332_172 Depth=1
	s_or_b64 exec, exec, s[10:11]
	v_lshrrev_b32_e32 v8, 24, v8
	v_cvt_f32_fp8_sdwa v8, v8 src0_sel:BYTE_0
	s_nop 0
	v_mul_f32_e32 v52, s7, v8
	v_and_b32_e32 v8, 0x7f800000, v52
	v_cmp_ne_u32_e64 s[0:1], s13, v8
                                        ; implicit-def: $vgpr8
	s_and_saveexec_b64 s[10:11], s[0:1]
	s_xor_b64 s[0:1], exec, s[10:11]
; %bb.349:                              ;   in Loop: Header=BB332_172 Depth=1
	v_bfe_u32 v8, v52, 16, 1
	v_add3_u32 v8, v52, v8, s14
                                        ; implicit-def: $vgpr52
; %bb.350:                              ;   in Loop: Header=BB332_172 Depth=1
	s_andn2_saveexec_b64 s[10:11], s[0:1]
; %bb.351:                              ;   in Loop: Header=BB332_172 Depth=1
	v_or_b32_e32 v8, 0x10000, v52
	v_cmp_eq_u32_sdwa s[0:1], v52, v17 src0_sel:WORD_0 src1_sel:DWORD
	s_nop 1
	v_cndmask_b32_e64 v8, v8, v52, s[0:1]
; %bb.352:                              ;   in Loop: Header=BB332_172 Depth=1
	s_or_b64 exec, exec, s[10:11]
	v_and_b32_e32 v52, 0xff, v9
	v_cvt_f32_fp8_sdwa v52, v52 src0_sel:BYTE_0
	s_nop 0
	v_mul_f32_e32 v52, s7, v52
	v_and_b32_e32 v53, 0x7f800000, v52
	v_cmp_ne_u32_e64 s[0:1], s13, v53
                                        ; implicit-def: $vgpr53
	s_and_saveexec_b64 s[10:11], s[0:1]
	s_xor_b64 s[0:1], exec, s[10:11]
; %bb.353:                              ;   in Loop: Header=BB332_172 Depth=1
	v_bfe_u32 v53, v52, 16, 1
	v_add3_u32 v53, v52, v53, s14
                                        ; implicit-def: $vgpr52
; %bb.354:                              ;   in Loop: Header=BB332_172 Depth=1
	s_andn2_saveexec_b64 s[10:11], s[0:1]
; %bb.355:                              ;   in Loop: Header=BB332_172 Depth=1
	v_or_b32_e32 v53, 0x10000, v52
	v_cmp_eq_u32_sdwa s[0:1], v52, v17 src0_sel:WORD_0 src1_sel:DWORD
	s_nop 1
	v_cndmask_b32_e64 v53, v53, v52, s[0:1]
; %bb.356:                              ;   in Loop: Header=BB332_172 Depth=1
	s_or_b64 exec, exec, s[10:11]
	v_bfe_u32 v52, v9, 8, 8
	v_cvt_f32_fp8_sdwa v52, v52 src0_sel:BYTE_0
	s_nop 0
	v_mul_f32_e32 v54, s7, v52
	v_and_b32_e32 v52, 0x7f800000, v54
	v_cmp_ne_u32_e64 s[0:1], s13, v52
                                        ; implicit-def: $vgpr52
	s_and_saveexec_b64 s[10:11], s[0:1]
	s_xor_b64 s[0:1], exec, s[10:11]
; %bb.357:                              ;   in Loop: Header=BB332_172 Depth=1
	v_bfe_u32 v52, v54, 16, 1
	v_add3_u32 v52, v54, v52, s14
                                        ; implicit-def: $vgpr54
; %bb.358:                              ;   in Loop: Header=BB332_172 Depth=1
	s_andn2_saveexec_b64 s[10:11], s[0:1]
; %bb.359:                              ;   in Loop: Header=BB332_172 Depth=1
	v_or_b32_e32 v52, 0x10000, v54
	v_cmp_eq_u32_sdwa s[0:1], v54, v17 src0_sel:WORD_0 src1_sel:DWORD
	s_nop 1
	v_cndmask_b32_e64 v52, v52, v54, s[0:1]
; %bb.360:                              ;   in Loop: Header=BB332_172 Depth=1
	s_or_b64 exec, exec, s[10:11]
	v_bfe_u32 v54, v9, 16, 8
	v_cvt_f32_fp8_sdwa v54, v54 src0_sel:BYTE_0
	s_nop 0
	v_mul_f32_e32 v55, s7, v54
	v_and_b32_e32 v54, 0x7f800000, v55
	v_cmp_ne_u32_e64 s[0:1], s13, v54
                                        ; implicit-def: $vgpr54
	s_and_saveexec_b64 s[10:11], s[0:1]
	s_xor_b64 s[0:1], exec, s[10:11]
; %bb.361:                              ;   in Loop: Header=BB332_172 Depth=1
	v_bfe_u32 v54, v55, 16, 1
	v_add3_u32 v54, v55, v54, s14
                                        ; implicit-def: $vgpr55
; %bb.362:                              ;   in Loop: Header=BB332_172 Depth=1
	s_andn2_saveexec_b64 s[10:11], s[0:1]
; %bb.363:                              ;   in Loop: Header=BB332_172 Depth=1
	v_or_b32_e32 v54, 0x10000, v55
	v_cmp_eq_u32_sdwa s[0:1], v55, v17 src0_sel:WORD_0 src1_sel:DWORD
	s_nop 1
	v_cndmask_b32_e64 v54, v54, v55, s[0:1]
; %bb.364:                              ;   in Loop: Header=BB332_172 Depth=1
	s_or_b64 exec, exec, s[10:11]
	v_lshrrev_b32_e32 v9, 24, v9
	v_cvt_f32_fp8_sdwa v9, v9 src0_sel:BYTE_0
                                        ; implicit-def: $vgpr57
	s_nop 0
	v_mul_f32_e32 v9, s7, v9
	v_and_b32_e32 v55, 0x7f800000, v9
	v_cmp_ne_u32_e64 s[0:1], s13, v55
	s_and_saveexec_b64 s[10:11], s[0:1]
	s_xor_b64 s[0:1], exec, s[10:11]
; %bb.365:                              ;   in Loop: Header=BB332_172 Depth=1
	v_bfe_u32 v55, v9, 16, 1
	v_add3_u32 v57, v9, v55, s14
                                        ; implicit-def: $vgpr9
; %bb.366:                              ;   in Loop: Header=BB332_172 Depth=1
	s_andn2_saveexec_b64 s[10:11], s[0:1]
; %bb.367:                              ;   in Loop: Header=BB332_172 Depth=1
	v_or_b32_e32 v55, 0x10000, v9
	v_cmp_eq_u32_sdwa s[0:1], v9, v17 src0_sel:WORD_0 src1_sel:DWORD
	s_nop 1
	v_cndmask_b32_e64 v57, v55, v9, s[0:1]
; %bb.368:                              ;   in Loop: Header=BB332_172 Depth=1
	s_or_b64 exec, exec, s[10:11]
	v_lshrrev_b32_e32 v52, 16, v52
	v_lshrrev_b32_e32 v55, 16, v53
	;; [unrolled: 1-line block ×8, first 2 shown]
	s_and_saveexec_b64 s[10:11], vcc
	s_cbranch_execz .LBB332_370
; %bb.369:                              ;   in Loop: Header=BB332_172 Depth=1
	v_cmp_gt_i32_e64 s[0:1], s35, v25
	s_nop 1
	v_cndmask_b32_e64 v8, 0, v8, s[0:1]
	v_cmp_gt_i32_e64 s[0:1], s35, v31
	s_nop 1
	v_cndmask_b32_e64 v9, 0, v9, s[0:1]
	v_cmp_gt_i32_e64 s[0:1], s35, v30
	s_nop 1
	v_cndmask_b32_e64 v51, 0, v51, s[0:1]
	v_cmp_gt_i32_e64 s[0:1], s35, v29
	s_nop 1
	v_cndmask_b32_e64 v56, 0, v56, s[0:1]
	v_cmp_gt_i32_e64 s[0:1], s35, v28
	s_nop 1
	v_cndmask_b32_e64 v55, 0, v55, s[0:1]
	v_cmp_gt_i32_e64 s[0:1], s35, v27
	s_nop 1
	v_cndmask_b32_e64 v52, 0, v52, s[0:1]
	v_cmp_gt_i32_e64 s[0:1], s35, v26
	s_nop 1
	v_cndmask_b32_e64 v53, 0, v53, s[0:1]
	v_cmp_gt_i32_e64 s[0:1], s35, v16
	s_nop 1
	v_cndmask_b32_e64 v54, 0, v54, s[0:1]
.LBB332_370:                            ;   in Loop: Header=BB332_172 Depth=1
	s_or_b64 exec, exec, s[10:11]
	v_lshlrev_b32_e32 v8, 16, v8
	v_mul_f32_e32 v49, v33, v8
	v_and_b32_e32 v8, 0x7f800000, v49
	v_cmp_ne_u32_e64 s[0:1], s13, v8
                                        ; implicit-def: $vgpr8
	s_and_saveexec_b64 s[10:11], s[0:1]
	s_xor_b64 s[0:1], exec, s[10:11]
; %bb.371:                              ;   in Loop: Header=BB332_172 Depth=1
	v_bfe_u32 v8, v49, 16, 1
	v_add3_u32 v8, v49, v8, s14
                                        ; implicit-def: $vgpr49
; %bb.372:                              ;   in Loop: Header=BB332_172 Depth=1
	s_andn2_saveexec_b64 s[10:11], s[0:1]
; %bb.373:                              ;   in Loop: Header=BB332_172 Depth=1
	v_or_b32_e32 v8, 0x10000, v49
	v_cmp_eq_u32_sdwa s[0:1], v49, v17 src0_sel:WORD_0 src1_sel:DWORD
	s_nop 1
	v_cndmask_b32_e64 v8, v8, v49, s[0:1]
; %bb.374:                              ;   in Loop: Header=BB332_172 Depth=1
	s_or_b64 exec, exec, s[10:11]
	v_lshlrev_b32_e32 v9, 16, v9
	v_mul_f32_e32 v49, v34, v9
	v_and_b32_e32 v9, 0x7f800000, v49
	v_cmp_ne_u32_e64 s[0:1], s13, v9
                                        ; implicit-def: $vgpr9
	s_and_saveexec_b64 s[10:11], s[0:1]
	s_xor_b64 s[0:1], exec, s[10:11]
; %bb.375:                              ;   in Loop: Header=BB332_172 Depth=1
	v_bfe_u32 v9, v49, 16, 1
	v_add3_u32 v9, v49, v9, s14
                                        ; implicit-def: $vgpr49
; %bb.376:                              ;   in Loop: Header=BB332_172 Depth=1
	s_andn2_saveexec_b64 s[10:11], s[0:1]
; %bb.377:                              ;   in Loop: Header=BB332_172 Depth=1
	v_or_b32_e32 v9, 0x10000, v49
	v_cmp_eq_u32_sdwa s[0:1], v49, v17 src0_sel:WORD_0 src1_sel:DWORD
	s_nop 1
	v_cndmask_b32_e64 v9, v9, v49, s[0:1]
; %bb.378:                              ;   in Loop: Header=BB332_172 Depth=1
	s_or_b64 exec, exec, s[10:11]
	v_lshlrev_b32_e32 v49, 16, v51
	v_mul_f32_e32 v50, v35, v49
	v_and_b32_e32 v49, 0x7f800000, v50
	v_cmp_ne_u32_e64 s[0:1], s13, v49
                                        ; implicit-def: $vgpr49
	s_and_saveexec_b64 s[10:11], s[0:1]
	s_xor_b64 s[0:1], exec, s[10:11]
; %bb.379:                              ;   in Loop: Header=BB332_172 Depth=1
	v_bfe_u32 v49, v50, 16, 1
	v_add3_u32 v49, v50, v49, s14
                                        ; implicit-def: $vgpr50
; %bb.380:                              ;   in Loop: Header=BB332_172 Depth=1
	s_andn2_saveexec_b64 s[10:11], s[0:1]
; %bb.381:                              ;   in Loop: Header=BB332_172 Depth=1
	v_or_b32_e32 v49, 0x10000, v50
	v_cmp_eq_u32_sdwa s[0:1], v50, v17 src0_sel:WORD_0 src1_sel:DWORD
	s_nop 1
	v_cndmask_b32_e64 v49, v49, v50, s[0:1]
; %bb.382:                              ;   in Loop: Header=BB332_172 Depth=1
	s_or_b64 exec, exec, s[10:11]
	v_lshlrev_b32_e32 v50, 16, v56
	v_mul_f32_e32 v51, v36, v50
	v_and_b32_e32 v50, 0x7f800000, v51
	v_cmp_ne_u32_e64 s[0:1], s13, v50
                                        ; implicit-def: $vgpr50
	s_and_saveexec_b64 s[10:11], s[0:1]
	s_xor_b64 s[0:1], exec, s[10:11]
; %bb.383:                              ;   in Loop: Header=BB332_172 Depth=1
	v_bfe_u32 v50, v51, 16, 1
	v_add3_u32 v50, v51, v50, s14
                                        ; implicit-def: $vgpr51
; %bb.384:                              ;   in Loop: Header=BB332_172 Depth=1
	s_andn2_saveexec_b64 s[10:11], s[0:1]
; %bb.385:                              ;   in Loop: Header=BB332_172 Depth=1
	v_or_b32_e32 v50, 0x10000, v51
	v_cmp_eq_u32_sdwa s[0:1], v51, v17 src0_sel:WORD_0 src1_sel:DWORD
	s_nop 1
	v_cndmask_b32_e64 v50, v50, v51, s[0:1]
; %bb.386:                              ;   in Loop: Header=BB332_172 Depth=1
	s_or_b64 exec, exec, s[10:11]
	v_lshlrev_b32_e32 v51, 16, v55
	v_mul_f32_e32 v55, v37, v51
	v_and_b32_e32 v51, 0x7f800000, v55
	v_cmp_ne_u32_e64 s[0:1], s13, v51
                                        ; implicit-def: $vgpr51
	s_and_saveexec_b64 s[10:11], s[0:1]
	s_xor_b64 s[0:1], exec, s[10:11]
; %bb.387:                              ;   in Loop: Header=BB332_172 Depth=1
	v_bfe_u32 v51, v55, 16, 1
	v_add3_u32 v51, v55, v51, s14
                                        ; implicit-def: $vgpr55
; %bb.388:                              ;   in Loop: Header=BB332_172 Depth=1
	s_andn2_saveexec_b64 s[10:11], s[0:1]
; %bb.389:                              ;   in Loop: Header=BB332_172 Depth=1
	v_or_b32_e32 v51, 0x10000, v55
	v_cmp_eq_u32_sdwa s[0:1], v55, v17 src0_sel:WORD_0 src1_sel:DWORD
	s_nop 1
	v_cndmask_b32_e64 v51, v51, v55, s[0:1]
; %bb.390:                              ;   in Loop: Header=BB332_172 Depth=1
	s_or_b64 exec, exec, s[10:11]
	v_lshlrev_b32_e32 v52, 16, v52
	v_mul_f32_e32 v55, v38, v52
	v_and_b32_e32 v52, 0x7f800000, v55
	v_cmp_ne_u32_e64 s[0:1], s13, v52
                                        ; implicit-def: $vgpr52
	s_and_saveexec_b64 s[10:11], s[0:1]
	s_xor_b64 s[0:1], exec, s[10:11]
; %bb.391:                              ;   in Loop: Header=BB332_172 Depth=1
	v_bfe_u32 v52, v55, 16, 1
	v_add3_u32 v52, v55, v52, s14
                                        ; implicit-def: $vgpr55
; %bb.392:                              ;   in Loop: Header=BB332_172 Depth=1
	s_andn2_saveexec_b64 s[10:11], s[0:1]
; %bb.393:                              ;   in Loop: Header=BB332_172 Depth=1
	v_or_b32_e32 v52, 0x10000, v55
	v_cmp_eq_u32_sdwa s[0:1], v55, v17 src0_sel:WORD_0 src1_sel:DWORD
	s_nop 1
	v_cndmask_b32_e64 v52, v52, v55, s[0:1]
; %bb.394:                              ;   in Loop: Header=BB332_172 Depth=1
	s_or_b64 exec, exec, s[10:11]
	v_lshlrev_b32_e32 v53, 16, v53
	v_mul_f32_e32 v55, v39, v53
	v_and_b32_e32 v53, 0x7f800000, v55
	v_cmp_ne_u32_e64 s[0:1], s13, v53
                                        ; implicit-def: $vgpr53
	s_and_saveexec_b64 s[10:11], s[0:1]
	s_xor_b64 s[0:1], exec, s[10:11]
; %bb.395:                              ;   in Loop: Header=BB332_172 Depth=1
	v_bfe_u32 v53, v55, 16, 1
	v_add3_u32 v53, v55, v53, s14
                                        ; implicit-def: $vgpr55
; %bb.396:                              ;   in Loop: Header=BB332_172 Depth=1
	s_andn2_saveexec_b64 s[10:11], s[0:1]
; %bb.397:                              ;   in Loop: Header=BB332_172 Depth=1
	v_or_b32_e32 v53, 0x10000, v55
	v_cmp_eq_u32_sdwa s[0:1], v55, v17 src0_sel:WORD_0 src1_sel:DWORD
	s_nop 1
	v_cndmask_b32_e64 v53, v53, v55, s[0:1]
; %bb.398:                              ;   in Loop: Header=BB332_172 Depth=1
	s_or_b64 exec, exec, s[10:11]
	v_lshlrev_b32_e32 v54, 16, v54
	v_mul_f32_e32 v55, v40, v54
	v_and_b32_e32 v54, 0x7f800000, v55
	v_cmp_ne_u32_e64 s[0:1], s13, v54
                                        ; implicit-def: $vgpr54
	s_and_saveexec_b64 s[10:11], s[0:1]
	s_xor_b64 s[0:1], exec, s[10:11]
; %bb.399:                              ;   in Loop: Header=BB332_172 Depth=1
	v_bfe_u32 v54, v55, 16, 1
	v_add3_u32 v54, v55, v54, s14
                                        ; implicit-def: $vgpr55
; %bb.400:                              ;   in Loop: Header=BB332_172 Depth=1
	s_andn2_saveexec_b64 s[10:11], s[0:1]
; %bb.401:                              ;   in Loop: Header=BB332_172 Depth=1
	v_or_b32_e32 v54, 0x10000, v55
	v_cmp_eq_u32_sdwa s[0:1], v55, v17 src0_sel:WORD_0 src1_sel:DWORD
	s_nop 1
	v_cndmask_b32_e64 v54, v54, v55, s[0:1]
; %bb.402:                              ;   in Loop: Header=BB332_172 Depth=1
	s_or_b64 exec, exec, s[10:11]
	global_load_dwordx2 v[6:7], v[6:7], off offset:1536
	s_waitcnt vmcnt(0)
	v_and_b32_e32 v55, 0xff, v6
	v_cvt_f32_fp8_sdwa v55, v55 src0_sel:BYTE_0
	s_nop 0
	v_mul_f32_e32 v56, s7, v55
	v_and_b32_e32 v55, 0x7f800000, v56
	v_cmp_ne_u32_e64 s[0:1], s13, v55
                                        ; implicit-def: $vgpr55
	s_and_saveexec_b64 s[10:11], s[0:1]
	s_xor_b64 s[0:1], exec, s[10:11]
; %bb.403:                              ;   in Loop: Header=BB332_172 Depth=1
	v_bfe_u32 v55, v56, 16, 1
	v_add3_u32 v55, v56, v55, s14
                                        ; implicit-def: $vgpr56
; %bb.404:                              ;   in Loop: Header=BB332_172 Depth=1
	s_andn2_saveexec_b64 s[10:11], s[0:1]
; %bb.405:                              ;   in Loop: Header=BB332_172 Depth=1
	v_or_b32_e32 v55, 0x10000, v56
	v_cmp_eq_u32_sdwa s[0:1], v56, v17 src0_sel:WORD_0 src1_sel:DWORD
	s_nop 1
	v_cndmask_b32_e64 v55, v55, v56, s[0:1]
; %bb.406:                              ;   in Loop: Header=BB332_172 Depth=1
	s_or_b64 exec, exec, s[10:11]
	v_bfe_u32 v56, v6, 8, 8
	v_cvt_f32_fp8_sdwa v56, v56 src0_sel:BYTE_0
	s_nop 0
	v_mul_f32_e32 v57, s7, v56
	v_and_b32_e32 v56, 0x7f800000, v57
	v_cmp_ne_u32_e64 s[0:1], s13, v56
                                        ; implicit-def: $vgpr56
	s_and_saveexec_b64 s[10:11], s[0:1]
	s_xor_b64 s[0:1], exec, s[10:11]
; %bb.407:                              ;   in Loop: Header=BB332_172 Depth=1
	v_bfe_u32 v56, v57, 16, 1
	v_add3_u32 v56, v57, v56, s14
                                        ; implicit-def: $vgpr57
; %bb.408:                              ;   in Loop: Header=BB332_172 Depth=1
	s_andn2_saveexec_b64 s[10:11], s[0:1]
; %bb.409:                              ;   in Loop: Header=BB332_172 Depth=1
	v_or_b32_e32 v56, 0x10000, v57
	v_cmp_eq_u32_sdwa s[0:1], v57, v17 src0_sel:WORD_0 src1_sel:DWORD
	s_nop 1
	v_cndmask_b32_e64 v56, v56, v57, s[0:1]
; %bb.410:                              ;   in Loop: Header=BB332_172 Depth=1
	s_or_b64 exec, exec, s[10:11]
	v_bfe_u32 v57, v6, 16, 8
	v_cvt_f32_fp8_sdwa v57, v57 src0_sel:BYTE_0
	s_nop 0
	v_mul_f32_e32 v57, s7, v57
	v_and_b32_e32 v58, 0x7f800000, v57
	v_cmp_ne_u32_e64 s[0:1], s13, v58
                                        ; implicit-def: $vgpr58
	s_and_saveexec_b64 s[10:11], s[0:1]
	s_xor_b64 s[0:1], exec, s[10:11]
; %bb.411:                              ;   in Loop: Header=BB332_172 Depth=1
	v_bfe_u32 v58, v57, 16, 1
	v_add3_u32 v58, v57, v58, s14
                                        ; implicit-def: $vgpr57
; %bb.412:                              ;   in Loop: Header=BB332_172 Depth=1
	s_andn2_saveexec_b64 s[10:11], s[0:1]
; %bb.413:                              ;   in Loop: Header=BB332_172 Depth=1
	v_or_b32_e32 v58, 0x10000, v57
	v_cmp_eq_u32_sdwa s[0:1], v57, v17 src0_sel:WORD_0 src1_sel:DWORD
	s_nop 1
	v_cndmask_b32_e64 v58, v58, v57, s[0:1]
; %bb.414:                              ;   in Loop: Header=BB332_172 Depth=1
	s_or_b64 exec, exec, s[10:11]
	v_lshrrev_b32_e32 v6, 24, v6
	v_cvt_f32_fp8_sdwa v6, v6 src0_sel:BYTE_0
	s_nop 0
	v_mul_f32_e32 v57, s7, v6
	v_and_b32_e32 v6, 0x7f800000, v57
	v_cmp_ne_u32_e64 s[0:1], s13, v6
                                        ; implicit-def: $vgpr6
	s_and_saveexec_b64 s[10:11], s[0:1]
	s_xor_b64 s[0:1], exec, s[10:11]
; %bb.415:                              ;   in Loop: Header=BB332_172 Depth=1
	v_bfe_u32 v6, v57, 16, 1
	v_add3_u32 v6, v57, v6, s14
                                        ; implicit-def: $vgpr57
; %bb.416:                              ;   in Loop: Header=BB332_172 Depth=1
	s_andn2_saveexec_b64 s[10:11], s[0:1]
; %bb.417:                              ;   in Loop: Header=BB332_172 Depth=1
	v_or_b32_e32 v6, 0x10000, v57
	v_cmp_eq_u32_sdwa s[0:1], v57, v17 src0_sel:WORD_0 src1_sel:DWORD
	s_nop 1
	v_cndmask_b32_e64 v6, v6, v57, s[0:1]
; %bb.418:                              ;   in Loop: Header=BB332_172 Depth=1
	s_or_b64 exec, exec, s[10:11]
	v_and_b32_e32 v57, 0xff, v7
	v_cvt_f32_fp8_sdwa v57, v57 src0_sel:BYTE_0
	s_nop 0
	v_mul_f32_e32 v57, s7, v57
	v_and_b32_e32 v59, 0x7f800000, v57
	v_cmp_ne_u32_e64 s[0:1], s13, v59
                                        ; implicit-def: $vgpr59
	s_and_saveexec_b64 s[10:11], s[0:1]
	s_xor_b64 s[0:1], exec, s[10:11]
; %bb.419:                              ;   in Loop: Header=BB332_172 Depth=1
	v_bfe_u32 v59, v57, 16, 1
	v_add3_u32 v59, v57, v59, s14
                                        ; implicit-def: $vgpr57
; %bb.420:                              ;   in Loop: Header=BB332_172 Depth=1
	s_andn2_saveexec_b64 s[10:11], s[0:1]
; %bb.421:                              ;   in Loop: Header=BB332_172 Depth=1
	v_or_b32_e32 v59, 0x10000, v57
	v_cmp_eq_u32_sdwa s[0:1], v57, v17 src0_sel:WORD_0 src1_sel:DWORD
	s_nop 1
	v_cndmask_b32_e64 v59, v59, v57, s[0:1]
; %bb.422:                              ;   in Loop: Header=BB332_172 Depth=1
	s_or_b64 exec, exec, s[10:11]
	v_bfe_u32 v57, v7, 8, 8
	v_cvt_f32_fp8_sdwa v57, v57 src0_sel:BYTE_0
	s_nop 0
	v_mul_f32_e32 v60, s7, v57
	v_and_b32_e32 v57, 0x7f800000, v60
	v_cmp_ne_u32_e64 s[0:1], s13, v57
                                        ; implicit-def: $vgpr57
	s_and_saveexec_b64 s[10:11], s[0:1]
	s_xor_b64 s[0:1], exec, s[10:11]
; %bb.423:                              ;   in Loop: Header=BB332_172 Depth=1
	v_bfe_u32 v57, v60, 16, 1
	v_add3_u32 v57, v60, v57, s14
                                        ; implicit-def: $vgpr60
; %bb.424:                              ;   in Loop: Header=BB332_172 Depth=1
	s_andn2_saveexec_b64 s[10:11], s[0:1]
; %bb.425:                              ;   in Loop: Header=BB332_172 Depth=1
	v_or_b32_e32 v57, 0x10000, v60
	v_cmp_eq_u32_sdwa s[0:1], v60, v17 src0_sel:WORD_0 src1_sel:DWORD
	s_nop 1
	v_cndmask_b32_e64 v57, v57, v60, s[0:1]
; %bb.426:                              ;   in Loop: Header=BB332_172 Depth=1
	s_or_b64 exec, exec, s[10:11]
	v_bfe_u32 v60, v7, 16, 8
	v_cvt_f32_fp8_sdwa v60, v60 src0_sel:BYTE_0
	s_nop 0
	v_mul_f32_e32 v60, s7, v60
	v_and_b32_e32 v61, 0x7f800000, v60
	v_cmp_ne_u32_e64 s[0:1], s13, v61
                                        ; implicit-def: $vgpr61
	s_and_saveexec_b64 s[10:11], s[0:1]
	s_xor_b64 s[0:1], exec, s[10:11]
; %bb.427:                              ;   in Loop: Header=BB332_172 Depth=1
	v_bfe_u32 v61, v60, 16, 1
	v_add3_u32 v61, v60, v61, s14
                                        ; implicit-def: $vgpr60
; %bb.428:                              ;   in Loop: Header=BB332_172 Depth=1
	s_andn2_saveexec_b64 s[10:11], s[0:1]
; %bb.429:                              ;   in Loop: Header=BB332_172 Depth=1
	v_or_b32_e32 v61, 0x10000, v60
	v_cmp_eq_u32_sdwa s[0:1], v60, v17 src0_sel:WORD_0 src1_sel:DWORD
	s_nop 1
	v_cndmask_b32_e64 v61, v61, v60, s[0:1]
; %bb.430:                              ;   in Loop: Header=BB332_172 Depth=1
	s_or_b64 exec, exec, s[10:11]
	v_lshrrev_b32_e32 v7, 24, v7
	v_cvt_f32_fp8_sdwa v7, v7 src0_sel:BYTE_0
                                        ; implicit-def: $vgpr62
	s_nop 0
	v_mul_f32_e32 v7, s7, v7
	v_and_b32_e32 v60, 0x7f800000, v7
	v_cmp_ne_u32_e64 s[0:1], s13, v60
	s_and_saveexec_b64 s[10:11], s[0:1]
	s_xor_b64 s[0:1], exec, s[10:11]
; %bb.431:                              ;   in Loop: Header=BB332_172 Depth=1
	v_bfe_u32 v60, v7, 16, 1
	v_add3_u32 v62, v7, v60, s14
                                        ; implicit-def: $vgpr7
; %bb.432:                              ;   in Loop: Header=BB332_172 Depth=1
	s_andn2_saveexec_b64 s[10:11], s[0:1]
; %bb.433:                              ;   in Loop: Header=BB332_172 Depth=1
	v_or_b32_e32 v60, 0x10000, v7
	v_cmp_eq_u32_sdwa s[0:1], v7, v17 src0_sel:WORD_0 src1_sel:DWORD
	s_nop 1
	v_cndmask_b32_e64 v62, v60, v7, s[0:1]
; %bb.434:                              ;   in Loop: Header=BB332_172 Depth=1
	s_or_b64 exec, exec, s[10:11]
	v_lshrrev_b32_e32 v57, 16, v57
	v_lshrrev_b32_e32 v59, 16, v59
	;; [unrolled: 1-line block ×8, first 2 shown]
	s_and_saveexec_b64 s[0:1], vcc
	s_cbranch_execz .LBB332_436
; %bb.435:                              ;   in Loop: Header=BB332_172 Depth=1
	v_cmp_gt_i32_e32 vcc, s35, v25
	s_nop 1
	v_cndmask_b32_e32 v6, 0, v6, vcc
	v_cmp_gt_i32_e32 vcc, s35, v31
	s_nop 1
	v_cndmask_b32_e32 v7, 0, v7, vcc
	;; [unrolled: 3-line block ×8, first 2 shown]
.LBB332_436:                            ;   in Loop: Header=BB332_172 Depth=1
	s_or_b64 exec, exec, s[0:1]
	v_lshlrev_b32_e32 v6, 16, v6
	v_mul_f32_e32 v25, v33, v6
	v_and_b32_e32 v6, 0x7f800000, v25
	v_cmp_ne_u32_e32 vcc, s13, v6
                                        ; implicit-def: $vgpr6
	s_and_saveexec_b64 s[0:1], vcc
	s_xor_b64 s[0:1], exec, s[0:1]
; %bb.437:                              ;   in Loop: Header=BB332_172 Depth=1
	v_bfe_u32 v6, v25, 16, 1
	v_add3_u32 v6, v25, v6, s14
                                        ; implicit-def: $vgpr25
; %bb.438:                              ;   in Loop: Header=BB332_172 Depth=1
	s_andn2_saveexec_b64 s[0:1], s[0:1]
; %bb.439:                              ;   in Loop: Header=BB332_172 Depth=1
	v_or_b32_e32 v6, 0x10000, v25
	v_cmp_eq_u32_sdwa vcc, v25, v17 src0_sel:WORD_0 src1_sel:DWORD
	s_nop 1
	v_cndmask_b32_e32 v6, v6, v25, vcc
; %bb.440:                              ;   in Loop: Header=BB332_172 Depth=1
	s_or_b64 exec, exec, s[0:1]
	v_lshlrev_b32_e32 v7, 16, v7
	v_mul_f32_e32 v25, v34, v7
	v_and_b32_e32 v7, 0x7f800000, v25
	v_cmp_ne_u32_e32 vcc, s13, v7
                                        ; implicit-def: $vgpr7
	s_and_saveexec_b64 s[0:1], vcc
	s_xor_b64 s[0:1], exec, s[0:1]
; %bb.441:                              ;   in Loop: Header=BB332_172 Depth=1
	v_bfe_u32 v7, v25, 16, 1
	v_add3_u32 v7, v25, v7, s14
                                        ; implicit-def: $vgpr25
; %bb.442:                              ;   in Loop: Header=BB332_172 Depth=1
	s_andn2_saveexec_b64 s[0:1], s[0:1]
; %bb.443:                              ;   in Loop: Header=BB332_172 Depth=1
	v_or_b32_e32 v7, 0x10000, v25
	v_cmp_eq_u32_sdwa vcc, v25, v17 src0_sel:WORD_0 src1_sel:DWORD
	s_nop 1
	v_cndmask_b32_e32 v7, v7, v25, vcc
; %bb.444:                              ;   in Loop: Header=BB332_172 Depth=1
	s_or_b64 exec, exec, s[0:1]
	v_lshlrev_b32_e32 v25, 16, v58
	v_mul_f32_e32 v26, v35, v25
	v_and_b32_e32 v25, 0x7f800000, v26
	v_cmp_ne_u32_e32 vcc, s13, v25
                                        ; implicit-def: $vgpr25
	s_and_saveexec_b64 s[0:1], vcc
	s_xor_b64 s[0:1], exec, s[0:1]
; %bb.445:                              ;   in Loop: Header=BB332_172 Depth=1
	v_bfe_u32 v25, v26, 16, 1
	v_add3_u32 v25, v26, v25, s14
                                        ; implicit-def: $vgpr26
; %bb.446:                              ;   in Loop: Header=BB332_172 Depth=1
	s_andn2_saveexec_b64 s[0:1], s[0:1]
; %bb.447:                              ;   in Loop: Header=BB332_172 Depth=1
	v_or_b32_e32 v25, 0x10000, v26
	v_cmp_eq_u32_sdwa vcc, v26, v17 src0_sel:WORD_0 src1_sel:DWORD
	s_nop 1
	v_cndmask_b32_e32 v25, v25, v26, vcc
; %bb.448:                              ;   in Loop: Header=BB332_172 Depth=1
	s_or_b64 exec, exec, s[0:1]
	v_lshlrev_b32_e32 v26, 16, v60
	v_mul_f32_e32 v27, v36, v26
	v_and_b32_e32 v26, 0x7f800000, v27
	v_cmp_ne_u32_e32 vcc, s13, v26
                                        ; implicit-def: $vgpr26
	s_and_saveexec_b64 s[0:1], vcc
	s_xor_b64 s[0:1], exec, s[0:1]
; %bb.449:                              ;   in Loop: Header=BB332_172 Depth=1
	v_bfe_u32 v26, v27, 16, 1
	v_add3_u32 v26, v27, v26, s14
                                        ; implicit-def: $vgpr27
; %bb.450:                              ;   in Loop: Header=BB332_172 Depth=1
	s_andn2_saveexec_b64 s[0:1], s[0:1]
; %bb.451:                              ;   in Loop: Header=BB332_172 Depth=1
	v_or_b32_e32 v26, 0x10000, v27
	v_cmp_eq_u32_sdwa vcc, v27, v17 src0_sel:WORD_0 src1_sel:DWORD
	s_nop 1
	v_cndmask_b32_e32 v26, v26, v27, vcc
; %bb.452:                              ;   in Loop: Header=BB332_172 Depth=1
	s_or_b64 exec, exec, s[0:1]
	v_lshlrev_b32_e32 v27, 16, v59
	v_mul_f32_e32 v28, v37, v27
	v_and_b32_e32 v27, 0x7f800000, v28
	v_cmp_ne_u32_e32 vcc, s13, v27
                                        ; implicit-def: $vgpr27
	s_and_saveexec_b64 s[0:1], vcc
	s_xor_b64 s[0:1], exec, s[0:1]
; %bb.453:                              ;   in Loop: Header=BB332_172 Depth=1
	v_bfe_u32 v27, v28, 16, 1
	v_add3_u32 v27, v28, v27, s14
                                        ; implicit-def: $vgpr28
; %bb.454:                              ;   in Loop: Header=BB332_172 Depth=1
	s_andn2_saveexec_b64 s[0:1], s[0:1]
; %bb.455:                              ;   in Loop: Header=BB332_172 Depth=1
	v_or_b32_e32 v27, 0x10000, v28
	v_cmp_eq_u32_sdwa vcc, v28, v17 src0_sel:WORD_0 src1_sel:DWORD
	s_nop 1
	v_cndmask_b32_e32 v27, v27, v28, vcc
; %bb.456:                              ;   in Loop: Header=BB332_172 Depth=1
	s_or_b64 exec, exec, s[0:1]
	v_lshlrev_b32_e32 v28, 16, v57
	v_mul_f32_e32 v29, v38, v28
	v_and_b32_e32 v28, 0x7f800000, v29
	v_cmp_ne_u32_e32 vcc, s13, v28
                                        ; implicit-def: $vgpr28
	s_and_saveexec_b64 s[0:1], vcc
	s_xor_b64 s[0:1], exec, s[0:1]
; %bb.457:                              ;   in Loop: Header=BB332_172 Depth=1
	v_bfe_u32 v28, v29, 16, 1
	v_add3_u32 v28, v29, v28, s14
                                        ; implicit-def: $vgpr29
; %bb.458:                              ;   in Loop: Header=BB332_172 Depth=1
	s_andn2_saveexec_b64 s[0:1], s[0:1]
; %bb.459:                              ;   in Loop: Header=BB332_172 Depth=1
	v_or_b32_e32 v28, 0x10000, v29
	v_cmp_eq_u32_sdwa vcc, v29, v17 src0_sel:WORD_0 src1_sel:DWORD
	s_nop 1
	v_cndmask_b32_e32 v28, v28, v29, vcc
; %bb.460:                              ;   in Loop: Header=BB332_172 Depth=1
	s_or_b64 exec, exec, s[0:1]
	v_lshlrev_b32_e32 v29, 16, v56
	v_mul_f32_e32 v30, v39, v29
	v_and_b32_e32 v29, 0x7f800000, v30
	v_cmp_ne_u32_e32 vcc, s13, v29
                                        ; implicit-def: $vgpr29
	s_and_saveexec_b64 s[0:1], vcc
	s_xor_b64 s[0:1], exec, s[0:1]
; %bb.461:                              ;   in Loop: Header=BB332_172 Depth=1
	v_bfe_u32 v29, v30, 16, 1
	v_add3_u32 v29, v30, v29, s14
                                        ; implicit-def: $vgpr30
; %bb.462:                              ;   in Loop: Header=BB332_172 Depth=1
	s_andn2_saveexec_b64 s[0:1], s[0:1]
; %bb.463:                              ;   in Loop: Header=BB332_172 Depth=1
	v_or_b32_e32 v29, 0x10000, v30
	v_cmp_eq_u32_sdwa vcc, v30, v17 src0_sel:WORD_0 src1_sel:DWORD
	s_nop 1
	v_cndmask_b32_e32 v29, v29, v30, vcc
; %bb.464:                              ;   in Loop: Header=BB332_172 Depth=1
	s_or_b64 exec, exec, s[0:1]
	v_lshlrev_b32_e32 v30, 16, v55
	v_mul_f32_e32 v31, v40, v30
	v_and_b32_e32 v30, 0x7f800000, v31
	v_cmp_ne_u32_e32 vcc, s13, v30
                                        ; implicit-def: $vgpr30
	s_and_saveexec_b64 s[0:1], vcc
	s_xor_b64 s[0:1], exec, s[0:1]
; %bb.465:                              ;   in Loop: Header=BB332_172 Depth=1
	v_bfe_u32 v30, v31, 16, 1
	v_add3_u32 v30, v31, v30, s14
                                        ; implicit-def: $vgpr31
; %bb.466:                              ;   in Loop: Header=BB332_172 Depth=1
	s_andn2_saveexec_b64 s[0:1], s[0:1]
	s_cbranch_execz .LBB332_171
; %bb.467:                              ;   in Loop: Header=BB332_172 Depth=1
	v_or_b32_e32 v30, 0x10000, v31
	v_cmp_eq_u32_sdwa vcc, v31, v17 src0_sel:WORD_0 src1_sel:DWORD
	s_nop 1
	v_cndmask_b32_e32 v30, v30, v31, vcc
	s_branch .LBB332_171
.LBB332_468:
	s_or_b64 exec, exec, s[8:9]
.LBB332_469:
	s_or_b64 exec, exec, s[2:3]
	v_and_b32_e32 v6, 0x3c0, v0
	v_cmp_eq_u32_e32 vcc, 64, v6
	s_barrier
	s_and_saveexec_b64 s[0:1], vcc
	s_cbranch_execz .LBB332_471
; %bb.470:
	v_lshlrev_b32_e32 v6, 2, v0
	v_mov_b32_e32 v8, 0x210
	v_or_b32_e32 v7, 0x300, v6
	v_lshl_add_u32 v1, v1, 2, v8
	v_add_u32_e32 v7, 0x210, v7
	v_add_u32_e32 v6, 0x210, v6
	ds_write_b32 v1, v2
	ds_write_b32 v6, v3
	ds_write_b32 v1, v4 offset:512
	ds_write_b32 v7, v5
.LBB332_471:
	s_or_b64 exec, exec, s[0:1]
	v_cmp_gt_u32_e32 vcc, 64, v0
	s_waitcnt lgkmcnt(0)
	s_barrier
	s_and_saveexec_b64 s[0:1], vcc
	s_cbranch_execz .LBB332_473
; %bb.472:
	v_mov_b32_e32 v1, 0x210
	v_lshl_add_u32 v1, v0, 2, v1
	ds_read2st64_b32 v[6:7], v1 offset0:2 offset1:3
	ds_read2st64_b32 v[8:9], v1 offset1:1
	s_waitcnt lgkmcnt(1)
	v_pk_add_f32 v[4:5], v[4:5], v[6:7]
	s_waitcnt lgkmcnt(0)
	v_pk_add_f32 v[2:3], v[2:3], v[8:9]
.LBB332_473:
	s_or_b64 exec, exec, s[0:1]
	s_barrier
	s_and_saveexec_b64 s[0:1], vcc
	s_cbranch_execz .LBB332_491
; %bb.474:
	s_mov_b32 s0, 0x7f800000
	v_and_b32_e32 v1, 0x7f800000, v2
	v_cmp_ne_u32_e32 vcc, s0, v1
                                        ; implicit-def: $vgpr6
	s_and_saveexec_b64 s[0:1], vcc
	s_xor_b64 s[0:1], exec, s[0:1]
; %bb.475:
	v_bfe_u32 v1, v2, 16, 1
	s_movk_i32 s2, 0x7fff
	v_add3_u32 v6, v2, v1, s2
; %bb.476:
	s_andn2_saveexec_b64 s[0:1], s[0:1]
; %bb.477:
	v_mov_b32_e32 v1, 0
	v_or_b32_e32 v6, 0x10000, v2
	v_cmp_eq_u32_sdwa vcc, v2, v1 src0_sel:WORD_0 src1_sel:DWORD
	s_nop 1
	v_cndmask_b32_e32 v6, v6, v2, vcc
; %bb.478:
	s_or_b64 exec, exec, s[0:1]
	s_lshl_b32 s0, s6, 8
	s_ashr_i32 s1, s0, 31
	s_lshl_b64 s[0:1], s[0:1], 1
	s_add_u32 s2, s28, s0
	s_mul_i32 s0, s33, s30
	s_addc_u32 s3, s29, s1
	s_ashr_i32 s1, s0, 31
	s_lshl_b64 s[0:1], s[0:1], 1
	s_add_u32 s2, s2, s0
	s_addc_u32 s3, s3, s1
	s_lshl_b32 s0, s4, 8
	s_ashr_i32 s1, s0, 31
	s_lshl_b64 s[0:1], s[0:1], 1
	s_add_u32 s0, s2, s0
	s_mov_b32 s2, 0x7f800000
	v_and_b32_e32 v2, 0x7f800000, v3
	s_addc_u32 s1, s3, s1
	v_lshlrev_b32_e32 v0, 1, v0
	v_mov_b32_e32 v1, 0
	v_cmp_ne_u32_e32 vcc, s2, v2
	global_store_short_d16_hi v0, v6, s[0:1]
                                        ; implicit-def: $vgpr2
	s_and_saveexec_b64 s[2:3], vcc
	s_xor_b64 s[2:3], exec, s[2:3]
; %bb.479:
	v_bfe_u32 v2, v3, 16, 1
	s_movk_i32 s4, 0x7fff
	v_add3_u32 v2, v3, v2, s4
; %bb.480:
	s_or_saveexec_b64 s[2:3], s[2:3]
	v_lshl_add_u64 v[0:1], s[0:1], 0, v[0:1]
	s_xor_b64 exec, exec, s[2:3]
; %bb.481:
	v_mov_b32_e32 v2, 0
	v_or_b32_e32 v6, 0x10000, v3
	v_cmp_eq_u32_sdwa vcc, v3, v2 src0_sel:WORD_0 src1_sel:DWORD
	s_nop 1
	v_cndmask_b32_e32 v2, v6, v3, vcc
; %bb.482:
	s_or_b64 exec, exec, s[2:3]
	global_store_short_d16_hi v[0:1], v2, off offset:128
	s_mov_b32 s0, 0x7f800000
	v_and_b32_e32 v2, 0x7f800000, v4
	v_cmp_ne_u32_e32 vcc, s0, v2
                                        ; implicit-def: $vgpr2
	s_and_saveexec_b64 s[0:1], vcc
	s_xor_b64 s[0:1], exec, s[0:1]
; %bb.483:
	v_bfe_u32 v2, v4, 16, 1
	s_movk_i32 s2, 0x7fff
	v_add3_u32 v2, v4, v2, s2
; %bb.484:
	s_andn2_saveexec_b64 s[0:1], s[0:1]
; %bb.485:
	v_mov_b32_e32 v2, 0
	v_or_b32_e32 v3, 0x10000, v4
	v_cmp_eq_u32_sdwa vcc, v4, v2 src0_sel:WORD_0 src1_sel:DWORD
	s_nop 1
	v_cndmask_b32_e32 v2, v3, v4, vcc
; %bb.486:
	s_or_b64 exec, exec, s[0:1]
	global_store_short_d16_hi v[0:1], v2, off offset:256
	s_mov_b32 s0, 0x7f800000
	v_and_b32_e32 v2, 0x7f800000, v5
	v_cmp_ne_u32_e32 vcc, s0, v2
                                        ; implicit-def: $vgpr6
	s_and_saveexec_b64 s[0:1], vcc
	s_xor_b64 s[0:1], exec, s[0:1]
; %bb.487:
	v_bfe_u32 v2, v5, 16, 1
	s_movk_i32 s2, 0x7fff
	v_add3_u32 v6, v5, v2, s2
                                        ; implicit-def: $vgpr2_vgpr3_vgpr4_vgpr5
; %bb.488:
	s_andn2_saveexec_b64 s[0:1], s[0:1]
; %bb.489:
	v_mov_b32_e32 v2, 0
	v_or_b32_e32 v3, 0x10000, v5
	v_cmp_eq_u32_sdwa vcc, v5, v2 src0_sel:WORD_0 src1_sel:DWORD
	s_nop 1
	v_cndmask_b32_e32 v6, v3, v5, vcc
; %bb.490:
	s_or_b64 exec, exec, s[0:1]
	global_store_short_d16_hi v[0:1], v6, off offset:384
.LBB332_491:
	s_endpgm
	.section	.rodata,"a",@progbits
	.p2align	6, 0x0
	.amdhsa_kernel _ZN4vllm25paged_attention_v2_kernelI14__hip_bfloat16hLi256ELi8ELi128ELNS_18Fp8KVCacheDataTypeE1ELb0ELi512EEEvPfS3_PT_PKS4_PKT0_SA_ifPKiSC_iPKfiiiSE_SE_iiiii
		.amdhsa_group_segment_fixed_size 528
		.amdhsa_private_segment_fixed_size 0
		.amdhsa_kernarg_size 400
		.amdhsa_user_sgpr_count 2
		.amdhsa_user_sgpr_dispatch_ptr 0
		.amdhsa_user_sgpr_queue_ptr 0
		.amdhsa_user_sgpr_kernarg_segment_ptr 1
		.amdhsa_user_sgpr_dispatch_id 0
		.amdhsa_user_sgpr_kernarg_preload_length 0
		.amdhsa_user_sgpr_kernarg_preload_offset 0
		.amdhsa_user_sgpr_private_segment_size 0
		.amdhsa_uses_dynamic_stack 0
		.amdhsa_enable_private_segment 0
		.amdhsa_system_sgpr_workgroup_id_x 1
		.amdhsa_system_sgpr_workgroup_id_y 1
		.amdhsa_system_sgpr_workgroup_id_z 1
		.amdhsa_system_sgpr_workgroup_info 0
		.amdhsa_system_vgpr_workitem_id 0
		.amdhsa_next_free_vgpr 86
		.amdhsa_next_free_sgpr 47
		.amdhsa_accum_offset 88
		.amdhsa_reserve_vcc 1
		.amdhsa_float_round_mode_32 0
		.amdhsa_float_round_mode_16_64 0
		.amdhsa_float_denorm_mode_32 3
		.amdhsa_float_denorm_mode_16_64 3
		.amdhsa_dx10_clamp 1
		.amdhsa_ieee_mode 1
		.amdhsa_fp16_overflow 0
		.amdhsa_tg_split 0
		.amdhsa_exception_fp_ieee_invalid_op 0
		.amdhsa_exception_fp_denorm_src 0
		.amdhsa_exception_fp_ieee_div_zero 0
		.amdhsa_exception_fp_ieee_overflow 0
		.amdhsa_exception_fp_ieee_underflow 0
		.amdhsa_exception_fp_ieee_inexact 0
		.amdhsa_exception_int_div_zero 0
	.end_amdhsa_kernel
	.section	.text._ZN4vllm25paged_attention_v2_kernelI14__hip_bfloat16hLi256ELi8ELi128ELNS_18Fp8KVCacheDataTypeE1ELb0ELi512EEEvPfS3_PT_PKS4_PKT0_SA_ifPKiSC_iPKfiiiSE_SE_iiiii,"axG",@progbits,_ZN4vllm25paged_attention_v2_kernelI14__hip_bfloat16hLi256ELi8ELi128ELNS_18Fp8KVCacheDataTypeE1ELb0ELi512EEEvPfS3_PT_PKS4_PKT0_SA_ifPKiSC_iPKfiiiSE_SE_iiiii,comdat
.Lfunc_end332:
	.size	_ZN4vllm25paged_attention_v2_kernelI14__hip_bfloat16hLi256ELi8ELi128ELNS_18Fp8KVCacheDataTypeE1ELb0ELi512EEEvPfS3_PT_PKS4_PKT0_SA_ifPKiSC_iPKfiiiSE_SE_iiiii, .Lfunc_end332-_ZN4vllm25paged_attention_v2_kernelI14__hip_bfloat16hLi256ELi8ELi128ELNS_18Fp8KVCacheDataTypeE1ELb0ELi512EEEvPfS3_PT_PKS4_PKT0_SA_ifPKiSC_iPKfiiiSE_SE_iiiii
                                        ; -- End function
	.section	.AMDGPU.csdata,"",@progbits
; Kernel info:
; codeLenInByte = 15012
; NumSgprs: 53
; NumVgprs: 86
; NumAgprs: 0
; TotalNumVgprs: 86
; ScratchSize: 0
; MemoryBound: 0
; FloatMode: 240
; IeeeMode: 1
; LDSByteSize: 528 bytes/workgroup (compile time only)
; SGPRBlocks: 6
; VGPRBlocks: 10
; NumSGPRsForWavesPerEU: 53
; NumVGPRsForWavesPerEU: 86
; AccumOffset: 88
; Occupancy: 5
; WaveLimiterHint : 1
; COMPUTE_PGM_RSRC2:SCRATCH_EN: 0
; COMPUTE_PGM_RSRC2:USER_SGPR: 2
; COMPUTE_PGM_RSRC2:TRAP_HANDLER: 0
; COMPUTE_PGM_RSRC2:TGID_X_EN: 1
; COMPUTE_PGM_RSRC2:TGID_Y_EN: 1
; COMPUTE_PGM_RSRC2:TGID_Z_EN: 1
; COMPUTE_PGM_RSRC2:TIDIG_COMP_CNT: 0
; COMPUTE_PGM_RSRC3_GFX90A:ACCUM_OFFSET: 21
; COMPUTE_PGM_RSRC3_GFX90A:TG_SPLIT: 0
	.section	.text._ZN4vllm25paged_attention_v2_kernelI14__hip_bfloat16hLi32ELi16ELi128ELNS_18Fp8KVCacheDataTypeE1ELb1ELi512EEEvPfS3_PT_PKS4_PKT0_SA_ifPKiSC_iPKfiiiSE_SE_iiiii,"axG",@progbits,_ZN4vllm25paged_attention_v2_kernelI14__hip_bfloat16hLi32ELi16ELi128ELNS_18Fp8KVCacheDataTypeE1ELb1ELi512EEEvPfS3_PT_PKS4_PKT0_SA_ifPKiSC_iPKfiiiSE_SE_iiiii,comdat
	.protected	_ZN4vllm25paged_attention_v2_kernelI14__hip_bfloat16hLi32ELi16ELi128ELNS_18Fp8KVCacheDataTypeE1ELb1ELi512EEEvPfS3_PT_PKS4_PKT0_SA_ifPKiSC_iPKfiiiSE_SE_iiiii ; -- Begin function _ZN4vllm25paged_attention_v2_kernelI14__hip_bfloat16hLi32ELi16ELi128ELNS_18Fp8KVCacheDataTypeE1ELb1ELi512EEEvPfS3_PT_PKS4_PKT0_SA_ifPKiSC_iPKfiiiSE_SE_iiiii
	.globl	_ZN4vllm25paged_attention_v2_kernelI14__hip_bfloat16hLi32ELi16ELi128ELNS_18Fp8KVCacheDataTypeE1ELb1ELi512EEEvPfS3_PT_PKS4_PKT0_SA_ifPKiSC_iPKfiiiSE_SE_iiiii
	.p2align	8
	.type	_ZN4vllm25paged_attention_v2_kernelI14__hip_bfloat16hLi32ELi16ELi128ELNS_18Fp8KVCacheDataTypeE1ELb1ELi512EEEvPfS3_PT_PKS4_PKT0_SA_ifPKiSC_iPKfiiiSE_SE_iiiii,@function
_ZN4vllm25paged_attention_v2_kernelI14__hip_bfloat16hLi32ELi16ELi128ELNS_18Fp8KVCacheDataTypeE1ELb1ELi512EEEvPfS3_PT_PKS4_PKT0_SA_ifPKiSC_iPKfiiiSE_SE_iiiii: ; @_ZN4vllm25paged_attention_v2_kernelI14__hip_bfloat16hLi32ELi16ELi128ELNS_18Fp8KVCacheDataTypeE1ELb1ELi512EEEvPfS3_PT_PKS4_PKT0_SA_ifPKiSC_iPKfiiiSE_SE_iiiii
; %bb.0:
	s_load_dwordx2 s[6:7], s[0:1], 0x40
	s_mov_b32 s34, s3
	s_ashr_i32 s35, s3, 31
	s_lshl_b64 s[8:9], s[34:35], 2
	s_waitcnt lgkmcnt(0)
	s_add_u32 s6, s6, s8
	s_addc_u32 s7, s7, s9
	s_load_dword s33, s[6:7], 0x0
	s_lshl_b32 s52, s4, 9
	s_waitcnt lgkmcnt(0)
	s_cmp_ge_i32 s52, s33
	s_cbranch_scc1 .LBB333_193
; %bb.1:
	s_load_dword s5, s[0:1], 0x90
	s_load_dwordx2 s[42:43], s[0:1], 0x30
	s_waitcnt lgkmcnt(0)
	s_abs_i32 s7, s5
	s_abs_i32 s3, s42
	v_cvt_f32_u32_e32 v1, s3
	s_sub_i32 s8, 0, s3
	s_xor_b32 s6, s5, s42
	s_ashr_i32 s6, s6, 31
	v_rcp_iflag_f32_e32 v1, v1
	s_nop 0
	v_mul_f32_e32 v1, 0x4f7ffffe, v1
	v_cvt_u32_f32_e32 v1, v1
	s_nop 0
	v_readfirstlane_b32 s9, v1
	s_mul_i32 s8, s8, s9
	s_mul_hi_u32 s8, s9, s8
	s_add_i32 s9, s9, s8
	s_mul_hi_u32 s8, s7, s9
	s_mul_i32 s9, s8, s3
	s_sub_i32 s7, s7, s9
	s_add_i32 s10, s8, 1
	s_sub_i32 s9, s7, s3
	s_cmp_ge_u32 s7, s3
	s_cselect_b32 s8, s10, s8
	s_cselect_b32 s7, s9, s7
	s_add_i32 s9, s8, 1
	s_cmp_ge_u32 s7, s3
	s_cselect_b32 s3, s9, s8
	s_xor_b32 s3, s3, s6
	s_sub_i32 s11, s3, s6
	s_abs_i32 s8, s11
	v_cvt_f32_u32_e32 v1, s8
	s_load_dwordx2 s[6:7], s[0:1], 0x50
	s_sub_i32 s10, 0, s8
	s_abs_i32 s9, s2
	v_rcp_iflag_f32_e32 v1, v1
	s_mov_b32 s3, 0
	v_mul_f32_e32 v1, 0x4f7ffffe, v1
	v_cvt_u32_f32_e32 v1, v1
	s_nop 0
	v_readfirstlane_b32 s12, v1
	s_mul_i32 s10, s10, s12
	s_mul_hi_u32 s10, s12, s10
	s_add_i32 s12, s12, s10
	s_waitcnt lgkmcnt(0)
	s_cmp_eq_u64 s[6:7], 0
	s_mul_hi_u32 s10, s9, s12
	s_cbranch_scc1 .LBB333_3
; %bb.2:
	s_ashr_i32 s3, s2, 31
	s_lshl_b64 s[12:13], s[2:3], 2
	s_add_u32 s6, s6, s12
	s_addc_u32 s7, s7, s13
	s_load_dword s3, s[6:7], 0x0
.LBB333_3:
	s_load_dwordx4 s[16:19], s[0:1], 0x58
	s_ashr_i32 s12, s2, 31
	s_ashr_i32 s11, s11, 31
	v_and_b32_e32 v2, 3, v0
	s_lshl_b32 s28, s2, 5
	v_cmp_gt_u32_e32 vcc, 16, v0
	s_and_saveexec_b64 s[6:7], vcc
	s_cbranch_execz .LBB333_5
; %bb.4:
	s_load_dwordx2 s[14:15], s[0:1], 0x18
	s_waitcnt lgkmcnt(0)
	s_mul_i32 s20, s34, s16
	s_ashr_i32 s21, s20, 31
	s_lshl_b64 s[20:21], s[20:21], 1
	v_lshlrev_b32_e32 v1, 2, v0
	s_add_u32 s13, s14, s20
	s_addc_u32 s16, s15, s21
	s_ashr_i32 s29, s28, 31
	s_lshl_b64 s[14:15], s[28:29], 1
	s_add_u32 s14, s13, s14
	s_addc_u32 s15, s16, s15
	global_load_dword v1, v1, s[14:15]
	v_and_b32_e32 v3, 0x3fc, v0
	v_lshl_add_u32 v3, v2, 4, v3
	s_waitcnt vmcnt(0)
	ds_write_b32 v3, v1
.LBB333_5:
	s_or_b64 exec, exec, s[6:7]
	s_mul_i32 s7, s10, s8
	s_sub_i32 s7, s9, s7
	s_xor_b32 s6, s12, s11
	s_add_i32 s9, s10, 1
	s_sub_i32 s11, s7, s8
	s_load_dwordx4 s[20:23], s[0:1], 0x78
	s_cmp_ge_u32 s7, s8
	s_cselect_b32 s9, s9, s10
	s_cselect_b32 s7, s11, s7
	s_add_i32 s10, s9, 1
	s_cmp_ge_u32 s7, s8
	s_cselect_b32 s7, s10, s9
	s_load_dword s10, s[0:1], 0x88
	s_waitcnt lgkmcnt(0)
	s_abs_i32 s29, s23
	v_cvt_f32_u32_e32 v1, s29
	s_xor_b32 s7, s7, s6
	s_sub_i32 s51, s7, s6
	s_sub_i32 s6, 0, s29
	v_rcp_iflag_f32_e32 v1, v1
	s_add_i32 s11, s33, -1
	s_abs_i32 s8, s11
	v_mul_f32_e32 v1, 0x4f7ffffe, v1
	v_cvt_u32_f32_e32 v1, v1
	s_barrier
	v_readfirstlane_b32 s35, v1
	s_mul_i32 s6, s6, s35
	s_mul_hi_u32 s6, s35, s6
	s_add_i32 s35, s35, s6
	s_cmp_lt_i32 s10, 0
	s_mul_hi_u32 s9, s8, s35
	s_cbranch_scc0 .LBB333_7
; %bb.6:
	s_mul_i32 s6, s20, s42
	s_add_i32 s6, s51, s6
	s_mul_i32 s6, s6, s10
	s_sub_i32 s42, 1, s6
	s_mov_b64 s[6:7], 0
	s_branch .LBB333_8
.LBB333_7:
	s_mov_b64 s[6:7], -1
                                        ; implicit-def: $sgpr42
.LBB333_8:
	s_load_dwordx2 s[36:37], s[0:1], 0x38
	s_ashr_i32 s11, s11, 31
	s_andn2_b64 vcc, exec, s[6:7]
	s_ashr_i32 s23, s23, 31
	s_cbranch_vccnz .LBB333_10
; %bb.9:
	s_mul_i32 s6, s5, s20
	s_add_i32 s6, s6, s2
	s_mul_i32 s6, s6, s10
	s_add_i32 s42, s6, 1
.LBB333_10:
	s_load_dwordx2 s[40:41], s[0:1], 0x28
	s_load_dword s6, s[0:1], 0x48
	s_load_dwordx4 s[24:27], s[0:1], 0x0
	s_load_dwordx2 s[30:31], s[0:1], 0x10
	s_load_dword s20, s[0:1], 0x98
	s_load_dwordx4 s[12:15], s[0:1], 0x68
	s_mul_i32 s7, s9, s29
	s_waitcnt lgkmcnt(0)
	s_mul_i32 s38, s34, s6
	s_sub_i32 s7, s8, s7
	s_ashr_i32 s39, s38, 31
	s_xor_b32 s6, s11, s23
	s_add_i32 s8, s9, 1
	s_sub_i32 s10, s7, s29
	s_cmp_ge_u32 s7, s29
	s_cselect_b32 s8, s8, s9
	s_cselect_b32 s7, s10, s7
	s_add_i32 s9, s8, 1
	s_cmp_ge_u32 s7, s29
	s_cselect_b32 s7, s9, s8
	s_xor_b32 s7, s7, s6
	s_sub_i32 s50, s7, s6
	s_add_i32 s6, s33, 15
	s_ashr_i32 s7, s6, 31
	s_lshr_b32 s7, s7, 28
	s_add_i32 s6, s6, s7
	s_lshl_b32 s16, s4, 5
	s_ashr_i32 s49, s6, 4
	s_add_i32 s6, s16, 32
	v_lshrrev_b32_e32 v20, 6, v0
	s_min_i32 s48, s6, s49
	v_or_b32_e32 v10, s16, v20
	v_cmp_gt_i32_e64 s[8:9], s48, v10
	v_mov_b32_e32 v19, 0xff7fffff
	s_mul_i32 s51, s51, s18
	v_ashrrev_i32_e32 v11, 31, v10
	v_lshl_add_u32 v1, v20, 4, s52
	v_mbcnt_lo_u32_b32 v16, -1, 0
	s_and_saveexec_b64 s[18:19], s[8:9]
	s_cbranch_execz .LBB333_52
; %bb.11:
	s_load_dwordx2 s[0:1], s[0:1], 0x20
	s_sub_i32 s53, s50, s21
	s_ashr_i32 s6, s51, 31
	v_bfe_u32 v17, v0, 2, 4
	v_mov_b32_e32 v7, 0
	s_waitcnt lgkmcnt(0)
	s_add_u32 s0, s0, s51
	s_addc_u32 s1, s1, s6
	s_abs_i32 s54, s22
	v_cvt_f32_u32_e32 v3, s54
	v_lshlrev_b32_e32 v6, 4, v17
	v_lshl_add_u64 v[8:9], s[0:1], 0, v[6:7]
	s_sub_i32 s0, 0, s54
	v_rcp_iflag_f32_e32 v3, v3
	v_cmp_eq_u32_e32 vcc, 0, v2
	v_lshlrev_b32_e32 v18, 4, v2
	v_lshlrev_b32_e32 v6, 1, v2
	v_mul_f32_e32 v3, 0x4f7ffffe, v3
	v_cvt_u32_f32_e32 v3, v3
	s_mov_b32 s55, s17
	v_cmp_neq_f32_e64 s[6:7], s3, 0
	v_lshl_add_u32 v22, v20, 4, s52
	v_mul_lo_u32 v2, s0, v3
	v_mul_hi_u32 v2, v3, v2
	v_add_u32_e32 v21, v3, v2
	s_lshl_b64 s[0:1], s[38:39], 2
	v_lshlrev_b32_e32 v2, 2, v17
	s_add_u32 s0, s36, s0
	v_lshl_or_b32 v2, v20, 6, v2
	s_addc_u32 s1, s37, s1
	v_add_u32_e32 v23, 0x50, v2
	v_subrev_u32_e32 v2, s33, v17
	v_lshl_add_u64 v[12:13], v[10:11], 2, s[0:1]
	v_add_u32_e32 v24, 1, v2
	s_mov_b64 s[44:45], 0
	v_mov_b32_e32 v25, 0xff7fffff
	s_mov_b32 s56, 0xffff
	s_mov_b32 s57, 0x7f800000
	s_movk_i32 s58, 0x7fff
	v_mbcnt_hi_u32_b32 v26, -1, v16
	v_mov_b32_e32 v19, 0xff7fffff
	v_mov_b32_e32 v27, v10
	s_branch .LBB333_14
.LBB333_12:                             ;   in Loop: Header=BB333_14 Depth=1
	s_or_b64 exec, exec, s[46:47]
.LBB333_13:                             ;   in Loop: Header=BB333_14 Depth=1
	s_or_b64 exec, exec, s[10:11]
	v_add_u32_e32 v27, 2, v27
	v_cmp_le_i32_e64 s[0:1], s48, v27
	v_lshl_add_u64 v[12:13], v[12:13], 0, 8
	v_add_u32_e32 v22, 32, v22
	s_or_b64 s[44:45], s[0:1], s[44:45]
	v_add_u32_e32 v23, 0x80, v23
	s_andn2_b64 exec, exec, s[44:45]
	s_cbranch_execz .LBB333_51
.LBB333_14:                             ; =>This Inner Loop Header: Depth=1
	s_waitcnt lgkmcnt(0)
	v_sub_u32_e32 v3, 0, v22
	v_max_i32_e32 v3, v22, v3
	v_mul_hi_u32 v4, v3, s35
	v_mul_lo_u32 v5, v4, s29
	v_sub_u32_e32 v3, v3, v5
	v_add_u32_e32 v5, 1, v4
	v_cmp_le_u32_e64 s[0:1], s29, v3
	v_ashrrev_i32_e32 v2, 31, v22
	v_xor_b32_e32 v2, s23, v2
	v_cndmask_b32_e64 v4, v4, v5, s[0:1]
	v_subrev_u32_e32 v5, s29, v3
	v_cndmask_b32_e64 v3, v3, v5, s[0:1]
	v_add_u32_e32 v5, 1, v4
	v_cmp_le_u32_e64 s[0:1], s29, v3
	s_nop 1
	v_cndmask_b32_e64 v3, v4, v5, s[0:1]
	v_xor_b32_e32 v3, v3, v2
	v_sub_u32_e32 v2, v3, v2
	v_add_u32_e32 v3, s42, v2
	v_sub_u32_e32 v5, 0, v3
	v_ashrrev_i32_e32 v4, 31, v3
	v_max_i32_e32 v3, v3, v5
	v_mul_hi_u32 v5, v3, v21
	v_mul_lo_u32 v5, v5, s54
	v_sub_u32_e32 v3, v3, v5
	v_subrev_u32_e32 v5, s54, v3
	v_cmp_le_u32_e64 s[0:1], s54, v3
	v_cmp_ge_i32_e64 s[10:11], s53, v2
	s_nop 0
	v_cndmask_b32_e64 v3, v3, v5, s[0:1]
	v_subrev_u32_e32 v5, s54, v3
	v_cmp_le_u32_e64 s[0:1], s54, v3
	s_nop 1
	v_cndmask_b32_e64 v3, v3, v5, s[0:1]
	v_xor_b32_e32 v3, v3, v4
	v_sub_u32_e32 v3, v3, v4
	v_cmp_ne_u32_e64 s[0:1], 0, v3
	s_and_b64 s[0:1], s[0:1], s[10:11]
	s_and_b64 s[46:47], vcc, s[0:1]
	s_and_saveexec_b64 s[10:11], s[46:47]
	s_cbranch_execz .LBB333_16
; %bb.15:                               ;   in Loop: Header=BB333_14 Depth=1
	ds_write_b32 v23, v25
.LBB333_16:                             ;   in Loop: Header=BB333_14 Depth=1
	s_or_b64 exec, exec, s[10:11]
	s_xor_b64 s[0:1], s[0:1], -1
	s_and_saveexec_b64 s[10:11], s[0:1]
	s_cbranch_execz .LBB333_13
; %bb.17:                               ;   in Loop: Header=BB333_14 Depth=1
	global_load_dword v2, v[12:13], off
	s_load_dword s59, s[12:13], 0x0
	s_waitcnt vmcnt(0)
	v_mad_i64_i32 v[2:3], s[0:1], v2, s55, v[8:9]
	v_lshl_add_u64 v[14:15], v[2:3], 0, v[6:7]
	global_load_ushort v29, v[14:15], off
	s_waitcnt vmcnt(0)
	v_and_b32_sdwa v2, s56, v29 dst_sel:DWORD dst_unused:UNUSED_PAD src0_sel:DWORD src1_sel:BYTE_0
	v_cvt_f32_fp8_sdwa v28, v2 src0_sel:BYTE_0
	ds_read_b128 v[2:5], v18
	s_waitcnt lgkmcnt(0)
	v_mul_f32_e32 v30, s59, v28
	v_and_b32_e32 v28, 0x7f800000, v30
	v_cmp_ne_u32_e64 s[0:1], s57, v28
                                        ; implicit-def: $vgpr28
	s_and_saveexec_b64 s[46:47], s[0:1]
	s_xor_b64 s[0:1], exec, s[46:47]
; %bb.18:                               ;   in Loop: Header=BB333_14 Depth=1
	v_bfe_u32 v28, v30, 16, 1
	v_add3_u32 v28, v30, v28, s58
                                        ; implicit-def: $vgpr30
; %bb.19:                               ;   in Loop: Header=BB333_14 Depth=1
	s_andn2_saveexec_b64 s[46:47], s[0:1]
; %bb.20:                               ;   in Loop: Header=BB333_14 Depth=1
	v_or_b32_e32 v28, 0x10000, v30
	v_cmp_eq_u32_sdwa s[0:1], v30, v7 src0_sel:WORD_0 src1_sel:DWORD
	s_nop 1
	v_cndmask_b32_e64 v28, v28, v30, s[0:1]
; %bb.21:                               ;   in Loop: Header=BB333_14 Depth=1
	s_or_b64 exec, exec, s[46:47]
	v_lshrrev_b16_e32 v29, 8, v29
	v_cvt_f32_fp8_sdwa v29, v29 src0_sel:BYTE_0
	s_nop 0
	v_mul_f32_e32 v30, s59, v29
	v_and_b32_e32 v29, 0x7f800000, v30
	v_cmp_ne_u32_e64 s[0:1], s57, v29
                                        ; implicit-def: $vgpr29
	s_and_saveexec_b64 s[46:47], s[0:1]
	s_xor_b64 s[0:1], exec, s[46:47]
; %bb.22:                               ;   in Loop: Header=BB333_14 Depth=1
	v_bfe_u32 v29, v30, 16, 1
	v_add3_u32 v29, v30, v29, s58
                                        ; implicit-def: $vgpr30
; %bb.23:                               ;   in Loop: Header=BB333_14 Depth=1
	s_andn2_saveexec_b64 s[46:47], s[0:1]
; %bb.24:                               ;   in Loop: Header=BB333_14 Depth=1
	v_or_b32_e32 v29, 0x10000, v30
	v_cmp_eq_u32_sdwa s[0:1], v30, v7 src0_sel:WORD_0 src1_sel:DWORD
	s_nop 1
	v_cndmask_b32_e64 v29, v29, v30, s[0:1]
; %bb.25:                               ;   in Loop: Header=BB333_14 Depth=1
	s_or_b64 exec, exec, s[46:47]
	global_load_ushort v31, v[14:15], off offset:8
	s_waitcnt vmcnt(0)
	v_and_b32_sdwa v30, s56, v31 dst_sel:DWORD dst_unused:UNUSED_PAD src0_sel:DWORD src1_sel:BYTE_0
	v_cvt_f32_fp8_sdwa v30, v30 src0_sel:BYTE_0
	s_nop 0
	v_mul_f32_e32 v32, s59, v30
	v_and_b32_e32 v30, 0x7f800000, v32
	v_cmp_ne_u32_e64 s[0:1], s57, v30
                                        ; implicit-def: $vgpr30
	s_and_saveexec_b64 s[46:47], s[0:1]
	s_xor_b64 s[0:1], exec, s[46:47]
; %bb.26:                               ;   in Loop: Header=BB333_14 Depth=1
	v_bfe_u32 v30, v32, 16, 1
	v_add3_u32 v30, v32, v30, s58
                                        ; implicit-def: $vgpr32
; %bb.27:                               ;   in Loop: Header=BB333_14 Depth=1
	s_andn2_saveexec_b64 s[46:47], s[0:1]
; %bb.28:                               ;   in Loop: Header=BB333_14 Depth=1
	v_or_b32_e32 v30, 0x10000, v32
	v_cmp_eq_u32_sdwa s[0:1], v32, v7 src0_sel:WORD_0 src1_sel:DWORD
	s_nop 1
	v_cndmask_b32_e64 v30, v30, v32, s[0:1]
; %bb.29:                               ;   in Loop: Header=BB333_14 Depth=1
	s_or_b64 exec, exec, s[46:47]
	v_lshrrev_b16_e32 v31, 8, v31
	v_cvt_f32_fp8_sdwa v31, v31 src0_sel:BYTE_0
	s_nop 0
	v_mul_f32_e32 v32, s59, v31
	v_and_b32_e32 v31, 0x7f800000, v32
	v_cmp_ne_u32_e64 s[0:1], s57, v31
                                        ; implicit-def: $vgpr31
	s_and_saveexec_b64 s[46:47], s[0:1]
	s_xor_b64 s[0:1], exec, s[46:47]
; %bb.30:                               ;   in Loop: Header=BB333_14 Depth=1
	v_bfe_u32 v31, v32, 16, 1
	v_add3_u32 v31, v32, v31, s58
                                        ; implicit-def: $vgpr32
; %bb.31:                               ;   in Loop: Header=BB333_14 Depth=1
	s_andn2_saveexec_b64 s[46:47], s[0:1]
; %bb.32:                               ;   in Loop: Header=BB333_14 Depth=1
	v_or_b32_e32 v31, 0x10000, v32
	v_cmp_eq_u32_sdwa s[0:1], v32, v7 src0_sel:WORD_0 src1_sel:DWORD
	s_nop 1
	v_cndmask_b32_e64 v31, v31, v32, s[0:1]
; %bb.33:                               ;   in Loop: Header=BB333_14 Depth=1
	s_or_b64 exec, exec, s[46:47]
	global_load_ushort v33, v[14:15], off offset:256
	s_waitcnt vmcnt(0)
	v_and_b32_sdwa v32, s56, v33 dst_sel:DWORD dst_unused:UNUSED_PAD src0_sel:DWORD src1_sel:BYTE_0
	v_cvt_f32_fp8_sdwa v32, v32 src0_sel:BYTE_0
	s_nop 0
	v_mul_f32_e32 v34, s59, v32
	v_and_b32_e32 v32, 0x7f800000, v34
	v_cmp_ne_u32_e64 s[0:1], s57, v32
                                        ; implicit-def: $vgpr32
	s_and_saveexec_b64 s[46:47], s[0:1]
	s_xor_b64 s[0:1], exec, s[46:47]
; %bb.34:                               ;   in Loop: Header=BB333_14 Depth=1
	v_bfe_u32 v32, v34, 16, 1
	v_add3_u32 v32, v34, v32, s58
                                        ; implicit-def: $vgpr34
; %bb.35:                               ;   in Loop: Header=BB333_14 Depth=1
	s_andn2_saveexec_b64 s[46:47], s[0:1]
; %bb.36:                               ;   in Loop: Header=BB333_14 Depth=1
	v_or_b32_e32 v32, 0x10000, v34
	v_cmp_eq_u32_sdwa s[0:1], v34, v7 src0_sel:WORD_0 src1_sel:DWORD
	s_nop 1
	v_cndmask_b32_e64 v32, v32, v34, s[0:1]
; %bb.37:                               ;   in Loop: Header=BB333_14 Depth=1
	s_or_b64 exec, exec, s[46:47]
	v_lshrrev_b16_e32 v33, 8, v33
	v_cvt_f32_fp8_sdwa v33, v33 src0_sel:BYTE_0
	s_nop 0
	v_mul_f32_e32 v34, s59, v33
	v_and_b32_e32 v33, 0x7f800000, v34
	v_cmp_ne_u32_e64 s[0:1], s57, v33
                                        ; implicit-def: $vgpr33
	s_and_saveexec_b64 s[46:47], s[0:1]
	s_xor_b64 s[0:1], exec, s[46:47]
; %bb.38:                               ;   in Loop: Header=BB333_14 Depth=1
	v_bfe_u32 v33, v34, 16, 1
	v_add3_u32 v33, v34, v33, s58
                                        ; implicit-def: $vgpr34
; %bb.39:                               ;   in Loop: Header=BB333_14 Depth=1
	s_andn2_saveexec_b64 s[46:47], s[0:1]
; %bb.40:                               ;   in Loop: Header=BB333_14 Depth=1
	v_or_b32_e32 v33, 0x10000, v34
	v_cmp_eq_u32_sdwa s[0:1], v34, v7 src0_sel:WORD_0 src1_sel:DWORD
	s_nop 1
	v_cndmask_b32_e64 v33, v33, v34, s[0:1]
; %bb.41:                               ;   in Loop: Header=BB333_14 Depth=1
	s_or_b64 exec, exec, s[46:47]
	global_load_ushort v15, v[14:15], off offset:264
	s_waitcnt vmcnt(0)
	v_and_b32_sdwa v14, s56, v15 dst_sel:DWORD dst_unused:UNUSED_PAD src0_sel:DWORD src1_sel:BYTE_0
	v_cvt_f32_fp8_sdwa v14, v14 src0_sel:BYTE_0
	s_nop 0
	v_mul_f32_e32 v34, s59, v14
	v_and_b32_e32 v14, 0x7f800000, v34
	v_cmp_ne_u32_e64 s[0:1], s57, v14
                                        ; implicit-def: $vgpr14
	s_and_saveexec_b64 s[46:47], s[0:1]
	s_xor_b64 s[0:1], exec, s[46:47]
; %bb.42:                               ;   in Loop: Header=BB333_14 Depth=1
	v_bfe_u32 v14, v34, 16, 1
	v_add3_u32 v14, v34, v14, s58
                                        ; implicit-def: $vgpr34
; %bb.43:                               ;   in Loop: Header=BB333_14 Depth=1
	s_andn2_saveexec_b64 s[46:47], s[0:1]
; %bb.44:                               ;   in Loop: Header=BB333_14 Depth=1
	v_or_b32_e32 v14, 0x10000, v34
	v_cmp_eq_u32_sdwa s[0:1], v34, v7 src0_sel:WORD_0 src1_sel:DWORD
	s_nop 1
	v_cndmask_b32_e64 v14, v14, v34, s[0:1]
; %bb.45:                               ;   in Loop: Header=BB333_14 Depth=1
	s_or_b64 exec, exec, s[46:47]
	v_lshrrev_b16_e32 v15, 8, v15
	v_cvt_f32_fp8_sdwa v15, v15 src0_sel:BYTE_0
	s_nop 0
	v_mul_f32_e32 v34, s59, v15
	v_and_b32_e32 v15, 0x7f800000, v34
	v_cmp_ne_u32_e64 s[0:1], s57, v15
                                        ; implicit-def: $vgpr15
	s_and_saveexec_b64 s[46:47], s[0:1]
	s_xor_b64 s[0:1], exec, s[46:47]
; %bb.46:                               ;   in Loop: Header=BB333_14 Depth=1
	v_bfe_u32 v15, v34, 16, 1
	v_add3_u32 v15, v34, v15, s58
                                        ; implicit-def: $vgpr34
; %bb.47:                               ;   in Loop: Header=BB333_14 Depth=1
	s_andn2_saveexec_b64 s[46:47], s[0:1]
; %bb.48:                               ;   in Loop: Header=BB333_14 Depth=1
	v_or_b32_e32 v15, 0x10000, v34
	v_cmp_eq_u32_sdwa s[0:1], v34, v7 src0_sel:WORD_0 src1_sel:DWORD
	s_nop 1
	v_cndmask_b32_e64 v15, v15, v34, s[0:1]
; %bb.49:                               ;   in Loop: Header=BB333_14 Depth=1
	s_or_b64 exec, exec, s[46:47]
	v_and_b32_e32 v31, 0xffff0000, v31
	v_and_b32_e32 v30, 0xffff0000, v30
	v_lshlrev_b32_e32 v35, 16, v3
	v_and_b32_e32 v3, 0xffff0000, v3
	v_and_b32_e32 v29, 0xffff0000, v29
	;; [unrolled: 1-line block ×3, first 2 shown]
	v_lshlrev_b32_e32 v34, 16, v2
	v_and_b32_e32 v38, 64, v26
	v_and_b32_e32 v2, 0xffff0000, v2
	v_mul_f32_e32 v30, v35, v30
	v_mul_f32_e32 v3, v3, v31
	v_and_b32_e32 v33, 0xffff0000, v33
	v_and_b32_e32 v32, 0xffff0000, v32
	v_lshlrev_b32_e32 v36, 16, v4
	v_add_u32_e32 v38, 64, v38
	v_xor_b32_e32 v39, 2, v26
	v_and_b32_e32 v4, 0xffff0000, v4
	v_fmac_f32_e32 v30, v34, v28
	v_fmac_f32_e32 v3, v2, v29
	v_and_b32_e32 v14, 0xffff0000, v14
	v_lshlrev_b32_e32 v37, 16, v5
	v_cmp_lt_i32_e64 s[0:1], v39, v38
	v_and_b32_e32 v15, 0xffff0000, v15
	v_and_b32_e32 v5, 0xffff0000, v5
	v_fmac_f32_e32 v30, v36, v32
	v_fmac_f32_e32 v3, v4, v33
	v_cndmask_b32_e64 v39, v26, v39, s[0:1]
	v_fmac_f32_e32 v30, v37, v14
	v_fmac_f32_e32 v3, v5, v15
	v_lshlrev_b32_e32 v39, 2, v39
	v_add_f32_e32 v2, v30, v3
	ds_bpermute_b32 v3, v39, v2
	v_xor_b32_e32 v4, 1, v26
	v_cmp_lt_i32_e64 s[0:1], v4, v38
	s_waitcnt lgkmcnt(0)
	v_add_f32_e32 v2, v2, v3
	v_cndmask_b32_e64 v4, v26, v4, s[0:1]
	v_lshlrev_b32_e32 v4, 2, v4
	ds_bpermute_b32 v3, v4, v2
	s_and_saveexec_b64 s[46:47], vcc
	s_cbranch_execz .LBB333_12
; %bb.50:                               ;   in Loop: Header=BB333_14 Depth=1
	v_add_u32_e32 v4, v24, v22
	v_cvt_f32_i32_e32 v4, v4
	s_waitcnt lgkmcnt(0)
	v_add_f32_e32 v2, v2, v3
	v_add_u32_e32 v5, v17, v22
	v_cmp_gt_i32_e64 s[0:1], s33, v5
	v_mul_f32_e32 v3, s3, v4
	v_cndmask_b32_e64 v3, 0, v3, s[6:7]
	v_fmac_f32_e32 v3, s43, v2
	v_cndmask_b32_e64 v2, 0, v3, s[0:1]
	ds_write_b32 v23, v2
	v_max_f32_e32 v2, v19, v19
	v_max_f32_e32 v2, v2, v3
	v_cndmask_b32_e64 v19, v19, v2, s[0:1]
	s_branch .LBB333_12
.LBB333_51:
	s_or_b64 exec, exec, s[44:45]
.LBB333_52:
	s_or_b64 exec, exec, s[18:19]
	v_mbcnt_hi_u32_b32 v2, -1, v16
	s_waitcnt lgkmcnt(0)
	v_and_b32_e32 v3, 64, v2
	v_add_u32_e32 v3, 64, v3
	v_xor_b32_e32 v4, 32, v2
	v_cmp_lt_i32_e32 vcc, v4, v3
	v_xor_b32_e32 v7, 16, v2
	v_max_f32_e32 v6, v19, v19
	v_cndmask_b32_e32 v4, v2, v4, vcc
	v_lshlrev_b32_e32 v5, 2, v4
	ds_bpermute_b32 v4, v5, v19
	v_cmp_lt_i32_e32 vcc, v7, v3
	v_xor_b32_e32 v8, 8, v2
	v_and_b32_e32 v18, 63, v0
	s_waitcnt lgkmcnt(0)
	v_max_f32_e32 v4, v4, v4
	v_max_f32_e32 v4, v6, v4
	v_cndmask_b32_e32 v6, v2, v7, vcc
	v_lshlrev_b32_e32 v6, 2, v6
	ds_bpermute_b32 v7, v6, v4
	v_cmp_lt_i32_e32 vcc, v8, v3
	s_waitcnt lgkmcnt(0)
	v_max_f32_e32 v7, v7, v7
	v_max_f32_e32 v4, v4, v7
	v_cndmask_b32_e32 v7, v2, v8, vcc
	v_lshlrev_b32_e32 v9, 2, v7
	ds_bpermute_b32 v7, v9, v4
	v_xor_b32_e32 v8, 4, v2
	v_cmp_lt_i32_e32 vcc, v8, v3
	s_waitcnt lgkmcnt(0)
	v_max_f32_e32 v7, v7, v7
	v_max_f32_e32 v4, v4, v7
	v_cndmask_b32_e32 v7, v2, v8, vcc
	v_lshlrev_b32_e32 v12, 2, v7
	ds_bpermute_b32 v8, v12, v4
	v_cmp_eq_u32_e32 vcc, 0, v18
	v_lshlrev_b32_e32 v7, 2, v20
	s_and_saveexec_b64 s[0:1], vcc
	s_cbranch_execz .LBB333_54
; %bb.53:
	s_waitcnt lgkmcnt(0)
	v_max_f32_e32 v8, v8, v8
	v_max_f32_e32 v4, v4, v4
	;; [unrolled: 1-line block ×3, first 2 shown]
	ds_write_b32 v7, v4 offset:64
.LBB333_54:
	s_or_b64 exec, exec, s[0:1]
	v_cmp_gt_u32_e64 s[0:1], 2, v18
	v_mov_b32_e32 v4, 0xff7fffff
	s_waitcnt lgkmcnt(0)
	v_lshlrev_b32_e32 v8, 2, v18
	s_barrier
	s_and_saveexec_b64 s[6:7], s[0:1]
	s_cbranch_execz .LBB333_56
; %bb.55:
	ds_read_b32 v4, v8 offset:64
.LBB333_56:
	s_or_b64 exec, exec, s[6:7]
	v_xor_b32_e32 v13, 1, v2
	v_cmp_lt_i32_e64 s[6:7], v13, v3
	s_sub_i32 s3, s48, s16
	s_lshl_b32 s3, s3, 4
	v_cndmask_b32_e64 v13, v2, v13, s[6:7]
	v_lshlrev_b32_e32 v19, 2, v13
	s_waitcnt lgkmcnt(0)
	ds_bpermute_b32 v13, v19, v4
	v_max_f32_e32 v4, v4, v4
	s_add_i32 s3, s3, s52
	s_min_i32 s43, s3, s33
	s_sub_i32 s3, s43, s52
	s_waitcnt lgkmcnt(0)
	v_max_f32_e32 v13, v13, v13
	v_max_f32_e32 v4, v4, v13
	v_lshlrev_b32_e32 v13, 2, v2
	v_and_b32_e32 v13, 0x100, v13
	ds_bpermute_b32 v4, v13, v4
	v_cmp_gt_i32_e64 s[6:7], s3, v0
	v_mov_b32_e32 v14, 0
	s_and_saveexec_b64 s[12:13], s[6:7]
	s_cbranch_execz .LBB333_60
; %bb.57:
	v_mov_b32_e32 v14, 0x50
	v_lshl_add_u32 v15, v0, 2, v14
	s_mov_b64 s[18:19], 0
	v_mov_b32_e32 v14, 0
	v_mov_b32_e32 v16, v0
.LBB333_58:                             ; =>This Inner Loop Header: Depth=1
	ds_read_b32 v17, v15
	v_add_u32_e32 v16, 0x80, v16
	v_cmp_le_i32_e64 s[10:11], s3, v16
	s_or_b64 s[18:19], s[10:11], s[18:19]
	s_waitcnt lgkmcnt(0)
	v_sub_f32_e32 v17, v17, v4
	v_mul_f32_e32 v17, 0x3fb8aa3b, v17
	v_exp_f32_e32 v17, v17
	ds_write_b32 v15, v17
	v_add_f32_e32 v14, v14, v17
	v_add_u32_e32 v15, 0x200, v15
	s_andn2_b64 exec, exec, s[18:19]
	s_cbranch_execnz .LBB333_58
; %bb.59:
	s_or_b64 exec, exec, s[18:19]
.LBB333_60:
	s_or_b64 exec, exec, s[12:13]
	ds_bpermute_b32 v5, v5, v14
	s_waitcnt lgkmcnt(0)
	v_add_f32_e32 v5, v14, v5
	ds_bpermute_b32 v6, v6, v5
	s_waitcnt lgkmcnt(0)
	v_add_f32_e32 v5, v5, v6
	ds_bpermute_b32 v6, v9, v5
	v_xor_b32_e32 v9, 2, v2
	v_cmp_lt_i32_e64 s[10:11], v9, v3
	s_waitcnt lgkmcnt(0)
	v_add_f32_e32 v5, v5, v6
	ds_bpermute_b32 v6, v12, v5
	v_cndmask_b32_e64 v2, v2, v9, s[10:11]
	v_lshlrev_b32_e32 v2, 2, v2
	s_waitcnt lgkmcnt(0)
	v_add_f32_e32 v3, v5, v6
	ds_bpermute_b32 v2, v2, v3
	s_waitcnt lgkmcnt(0)
	v_add_f32_e32 v2, v3, v2
	ds_bpermute_b32 v3, v19, v2
	s_waitcnt lgkmcnt(0)
	v_add_f32_e32 v2, v2, v3
	s_and_saveexec_b64 s[10:11], vcc
	s_cbranch_execz .LBB333_62
; %bb.61:
	ds_write_b32 v7, v2 offset:72
.LBB333_62:
	s_or_b64 exec, exec, s[10:11]
	s_waitcnt lgkmcnt(0)
	s_barrier
	s_and_saveexec_b64 s[10:11], s[0:1]
	s_cbranch_execz .LBB333_64
; %bb.63:
	ds_read_b32 v2, v8 offset:72
.LBB333_64:
	s_or_b64 exec, exec, s[10:11]
	s_waitcnt lgkmcnt(0)
	ds_bpermute_b32 v3, v19, v2
	s_waitcnt lgkmcnt(0)
	v_add_f32_e32 v2, v2, v3
	ds_bpermute_b32 v5, v13, v2
	s_and_saveexec_b64 s[0:1], s[6:7]
	s_cbranch_execz .LBB333_77
; %bb.65:
	s_waitcnt lgkmcnt(0)
	v_add_f32_e32 v2, 0x358637bd, v5
	v_div_scale_f32 v3, s[6:7], v2, v2, 1.0
	v_rcp_f32_e32 v6, v3
	v_div_scale_f32 v7, vcc, 1.0, v2, 1.0
	s_movk_i32 s6, 0x7f
	v_fma_f32 v8, -v3, v6, 1.0
	v_fmac_f32_e32 v6, v8, v6
	v_mul_f32_e32 v8, v7, v6
	v_fma_f32 v9, -v3, v8, v7
	v_fmac_f32_e32 v8, v9, v6
	v_fma_f32 v3, -v3, v8, v7
	v_div_fmas_f32 v3, v3, v6, v8
	v_div_fixup_f32 v2, v3, v2, 1.0
	v_xad_u32 v3, v0, -1, s43
	v_subrev_u32_e32 v6, s52, v3
	v_cmp_lt_u32_e32 vcc, s6, v6
	s_mov_b64 s[10:11], -1
	v_mov_b32_e32 v3, v0
	s_and_saveexec_b64 s[6:7], vcc
	s_cbranch_execz .LBB333_74
; %bb.66:
	v_lshrrev_b32_e32 v6, 7, v6
	v_add_u32_e32 v8, -1, v6
	v_lshrrev_b32_e32 v7, 1, v8
	v_mov_b32_e32 v3, v2
	v_add_u32_e32 v7, 1, v7
	v_cmp_lt_u32_e32 vcc, 13, v8
	v_mov_b32_e32 v12, 0
	s_and_saveexec_b64 s[10:11], vcc
	s_cbranch_execz .LBB333_70
; %bb.67:
	v_mov_b32_e32 v9, 0x50
	v_and_b32_e32 v8, -8, v7
	v_lshl_add_u32 v9, v0, 2, v9
	s_mov_b32 s18, 0
	s_mov_b64 s[12:13], 0
.LBB333_68:                             ; =>This Inner Loop Header: Depth=1
	ds_read2st64_b32 v[12:13], v9 offset1:2
	ds_read2st64_b32 v[14:15], v9 offset0:4 offset1:6
	ds_read2st64_b32 v[16:17], v9 offset0:8 offset1:10
	;; [unrolled: 1-line block ×3, first 2 shown]
	v_add_u32_e32 v8, -8, v8
	s_waitcnt lgkmcnt(3)
	v_pk_mul_f32 v[12:13], v[2:3], v[12:13]
	s_waitcnt lgkmcnt(2)
	v_pk_mul_f32 v[14:15], v[2:3], v[14:15]
	ds_write2st64_b32 v9, v12, v13 offset1:2
	ds_write2st64_b32 v9, v14, v15 offset0:4 offset1:6
	ds_read2st64_b32 v[14:15], v9 offset0:16 offset1:18
	s_waitcnt lgkmcnt(4)
	v_pk_mul_f32 v[12:13], v[2:3], v[16:17]
	ds_write2st64_b32 v9, v12, v13 offset0:8 offset1:10
	s_waitcnt lgkmcnt(4)
	v_pk_mul_f32 v[12:13], v[2:3], v[22:23]
	ds_write2st64_b32 v9, v12, v13 offset0:12 offset1:14
	ds_read2st64_b32 v[12:13], v9 offset0:20 offset1:22
	s_waitcnt lgkmcnt(3)
	v_pk_mul_f32 v[14:15], v[2:3], v[14:15]
	ds_read2st64_b32 v[16:17], v9 offset0:24 offset1:26
	ds_write2st64_b32 v9, v14, v15 offset0:16 offset1:18
	ds_read2st64_b32 v[14:15], v9 offset0:28 offset1:30
	s_waitcnt lgkmcnt(3)
	v_pk_mul_f32 v[12:13], v[2:3], v[12:13]
	ds_write2st64_b32 v9, v12, v13 offset0:20 offset1:22
	s_waitcnt lgkmcnt(3)
	v_pk_mul_f32 v[12:13], v[2:3], v[16:17]
	ds_write2st64_b32 v9, v12, v13 offset0:24 offset1:26
	s_waitcnt lgkmcnt(2)
	v_pk_mul_f32 v[12:13], v[2:3], v[14:15]
	s_add_i32 s18, s18, 16
	v_cmp_eq_u32_e32 vcc, 0, v8
	ds_write2st64_b32 v9, v12, v13 offset0:28 offset1:30
	v_add_u32_e32 v9, 0x2000, v9
	s_or_b64 s[12:13], vcc, s[12:13]
	v_mov_b32_e32 v12, s18
	s_andn2_b64 exec, exec, s[12:13]
	s_cbranch_execnz .LBB333_68
; %bb.69:
	s_or_b64 exec, exec, s[12:13]
.LBB333_70:
	s_or_b64 exec, exec, s[10:11]
	v_and_b32_e32 v7, 7, v7
	v_cmp_ne_u32_e32 vcc, 0, v7
	s_and_saveexec_b64 s[10:11], vcc
	s_cbranch_execz .LBB333_73
; %bb.71:
	v_lshlrev_b32_e32 v8, 9, v12
	v_lshlrev_b32_e32 v9, 2, v0
	s_movk_i32 s12, 0x50
	v_add3_u32 v8, v8, v9, s12
	s_mov_b64 s[12:13], 0
.LBB333_72:                             ; =>This Inner Loop Header: Depth=1
	ds_read2st64_b32 v[12:13], v8 offset1:2
	v_add_u32_e32 v7, -1, v7
	v_cmp_eq_u32_e32 vcc, 0, v7
	s_or_b64 s[12:13], vcc, s[12:13]
	s_waitcnt lgkmcnt(0)
	v_pk_mul_f32 v[12:13], v[2:3], v[12:13]
	ds_write2st64_b32 v8, v12, v13 offset1:2
	v_add_u32_e32 v8, 0x400, v8
	s_andn2_b64 exec, exec, s[12:13]
	s_cbranch_execnz .LBB333_72
.LBB333_73:
	s_or_b64 exec, exec, s[10:11]
	v_add_u32_e32 v6, 1, v6
	v_and_b32_e32 v7, 0x3fffffe, v6
	v_cmp_ne_u32_e32 vcc, v6, v7
	v_lshl_add_u32 v3, v7, 7, v0
	s_orn2_b64 s[10:11], vcc, exec
.LBB333_74:
	s_or_b64 exec, exec, s[6:7]
	s_and_b64 exec, exec, s[10:11]
	s_cbranch_execz .LBB333_77
; %bb.75:
	v_mov_b32_e32 v6, 0x50
	v_lshl_add_u32 v6, v3, 2, v6
	s_mov_b64 s[6:7], 0
.LBB333_76:                             ; =>This Inner Loop Header: Depth=1
	ds_read_b32 v7, v6
	v_add_u32_e32 v3, 0x80, v3
	v_cmp_le_i32_e32 vcc, s3, v3
	s_or_b64 s[6:7], vcc, s[6:7]
	s_waitcnt lgkmcnt(0)
	v_mul_f32_e32 v7, v2, v7
	ds_write_b32 v6, v7
	v_add_u32_e32 v6, 0x200, v6
	s_andn2_b64 exec, exec, s[6:7]
	s_cbranch_execnz .LBB333_76
.LBB333_77:
	s_or_b64 exec, exec, s[0:1]
	s_mul_i32 s0, s20, s34
	v_cmp_eq_u32_e32 vcc, 0, v0
	s_mul_i32 s6, s0, s5
	s_waitcnt lgkmcnt(0)
	s_barrier
	s_and_saveexec_b64 s[0:1], vcc
	s_cbranch_execz .LBB333_79
; %bb.78:
	s_ashr_i32 s7, s6, 31
	s_lshl_b64 s[10:11], s[6:7], 2
	s_add_u32 s5, s26, s10
	s_mul_i32 s2, s20, s2
	s_addc_u32 s7, s27, s11
	s_ashr_i32 s3, s2, 31
	s_lshl_b64 s[2:3], s[2:3], 2
	s_add_u32 s12, s5, s2
	s_addc_u32 s7, s7, s3
	s_ashr_i32 s5, s4, 31
	s_lshl_b64 s[4:5], s[4:5], 2
	s_add_u32 s12, s12, s4
	s_addc_u32 s13, s7, s5
	s_add_u32 s7, s24, s10
	s_addc_u32 s10, s25, s11
	;; [unrolled: 2-line block ×3, first 2 shown]
	s_add_u32 s2, s2, s4
	v_mov_b32_e32 v2, 0
	s_addc_u32 s3, s3, s5
	global_store_dword v2, v4, s[12:13]
	global_store_dword v2, v5, s[2:3]
.LBB333_79:
	s_or_b64 exec, exec, s[0:1]
	v_mov_b32_e32 v12, 0
	s_and_saveexec_b64 s[2:3], s[8:9]
	s_cbranch_execz .LBB333_183
; %bb.80:
	s_sub_i32 s7, s50, s21
	s_ashr_i32 s1, s51, 31
	s_add_u32 s0, s40, s51
	s_addc_u32 s1, s41, s1
	s_abs_i32 s10, s22
	v_cvt_f32_u32_e32 v2, s10
	v_lshlrev_b32_e32 v3, 3, v0
	v_and_b32_e32 v12, 0x1f8, v3
	v_mov_b32_e32 v13, 0
	v_rcp_iflag_f32_e32 v2, v2
	v_lshl_add_u64 v[14:15], s[0:1], 0, v[12:13]
	s_sub_i32 s0, 0, s10
	v_and_b32_e32 v21, 8, v3
	v_mul_f32_e32 v2, 0x4f7ffffe, v2
	v_cvt_u32_f32_e32 v2, v2
	s_add_i32 s49, s49, -1
	s_mov_b32 s11, s17
	s_mov_b64 s[4:5], 0
	v_mul_lo_u32 v3, s0, v2
	v_mul_hi_u32 v3, v2, v3
	v_add_u32_e32 v22, v2, v3
	s_lshl_b64 s[0:1], s[38:39], 2
	v_and_b32_e32 v2, 1, v0
	s_add_u32 s0, s36, s0
	v_lshlrev_b32_e32 v2, 5, v2
	s_addc_u32 s1, s37, s1
	v_lshl_or_b32 v2, v20, 6, v2
	v_lshl_add_u64 v[16:17], v[10:11], 2, s[0:1]
	v_add_u32_e32 v11, 0x50, v2
	s_mov_b32 s12, 0x7f800000
	s_movk_i32 s13, 0x7fff
	v_mov_b32_e32 v12, 0
	s_branch .LBB333_83
.LBB333_81:                             ;   in Loop: Header=BB333_83 Depth=1
	s_or_b64 exec, exec, s[8:9]
	v_and_b32_e32 v7, 0xffff0000, v6
	v_and_b32_e32 v6, 0xffff0000, v5
	;; [unrolled: 1-line block ×8, first 2 shown]
	v_pk_add_f32 v[2:3], v[24:25], v[8:9]
	v_pk_add_f32 v[4:5], v[4:5], v[6:7]
	v_add_f32_e32 v2, v2, v3
	v_add_f32_e32 v2, v2, v4
	;; [unrolled: 1-line block ×4, first 2 shown]
.LBB333_82:                             ;   in Loop: Header=BB333_83 Depth=1
	s_or_b64 exec, exec, s[0:1]
	v_add_u32_e32 v10, 2, v10
	v_cmp_le_i32_e32 vcc, s48, v10
	v_lshl_add_u64 v[16:17], v[16:17], 0, 8
	v_add_u32_e32 v1, 32, v1
	s_or_b64 s[4:5], vcc, s[4:5]
	v_add_u32_e32 v11, 0x80, v11
	s_andn2_b64 exec, exec, s[4:5]
	s_cbranch_execz .LBB333_182
.LBB333_83:                             ; =>This Inner Loop Header: Depth=1
	v_sub_u32_e32 v3, 0, v1
	v_max_i32_e32 v3, v1, v3
	v_mul_hi_u32 v4, v3, s35
	v_mul_lo_u32 v5, v4, s29
	v_sub_u32_e32 v3, v3, v5
	v_add_u32_e32 v5, 1, v4
	v_cmp_le_u32_e32 vcc, s29, v3
	v_ashrrev_i32_e32 v2, 31, v1
	v_xor_b32_e32 v2, s23, v2
	v_cndmask_b32_e32 v4, v4, v5, vcc
	v_subrev_u32_e32 v5, s29, v3
	v_cndmask_b32_e32 v3, v3, v5, vcc
	v_add_u32_e32 v5, 1, v4
	v_cmp_le_u32_e32 vcc, s29, v3
	s_nop 1
	v_cndmask_b32_e32 v3, v4, v5, vcc
	v_xor_b32_e32 v3, v3, v2
	v_sub_u32_e32 v2, v3, v2
	v_add_u32_e32 v3, s42, v2
	v_sub_u32_e32 v5, 0, v3
	v_ashrrev_i32_e32 v4, 31, v3
	v_max_i32_e32 v3, v3, v5
	v_mul_hi_u32 v5, v3, v22
	v_mul_lo_u32 v5, v5, s10
	v_sub_u32_e32 v3, v3, v5
	v_subrev_u32_e32 v5, s10, v3
	v_cmp_le_u32_e32 vcc, s10, v3
	v_cmp_lt_i32_e64 s[0:1], s7, v2
	s_nop 0
	v_cndmask_b32_e32 v3, v3, v5, vcc
	v_subrev_u32_e32 v5, s10, v3
	v_cmp_le_u32_e32 vcc, s10, v3
	s_nop 1
	v_cndmask_b32_e32 v3, v3, v5, vcc
	v_xor_b32_e32 v3, v3, v4
	v_sub_u32_e32 v3, v3, v4
	v_cmp_eq_u32_e32 vcc, 0, v3
	s_or_b64 s[8:9], vcc, s[0:1]
	s_and_saveexec_b64 s[0:1], s[8:9]
	s_cbranch_execz .LBB333_82
; %bb.84:                               ;   in Loop: Header=BB333_83 Depth=1
	global_load_dword v26, v[16:17], off
	ds_read2_b64 v[6:9], v11 offset1:1
	ds_read2_b64 v[2:5], v11 offset0:2 offset1:3
                                        ; implicit-def: $vgpr25
	s_waitcnt lgkmcnt(1)
	v_and_b32_e32 v20, 0x7f800000, v6
	v_cmp_ne_u32_e32 vcc, s12, v20
	s_and_saveexec_b64 s[8:9], vcc
	s_xor_b64 s[8:9], exec, s[8:9]
; %bb.85:                               ;   in Loop: Header=BB333_83 Depth=1
	v_bfe_u32 v20, v6, 16, 1
	v_add3_u32 v25, v6, v20, s13
; %bb.86:                               ;   in Loop: Header=BB333_83 Depth=1
	s_andn2_saveexec_b64 s[8:9], s[8:9]
; %bb.87:                               ;   in Loop: Header=BB333_83 Depth=1
	v_or_b32_e32 v20, 0x10000, v6
	v_cmp_eq_u32_sdwa vcc, v6, v13 src0_sel:WORD_0 src1_sel:DWORD
	s_nop 1
	v_cndmask_b32_e32 v25, v20, v6, vcc
; %bb.88:                               ;   in Loop: Header=BB333_83 Depth=1
	s_or_b64 exec, exec, s[8:9]
	v_and_b32_e32 v6, 0x7f800000, v7
	v_cmp_ne_u32_e32 vcc, s12, v6
                                        ; implicit-def: $vgpr24
	s_and_saveexec_b64 s[8:9], vcc
	s_xor_b64 s[8:9], exec, s[8:9]
; %bb.89:                               ;   in Loop: Header=BB333_83 Depth=1
	v_bfe_u32 v6, v7, 16, 1
	v_add3_u32 v24, v7, v6, s13
; %bb.90:                               ;   in Loop: Header=BB333_83 Depth=1
	s_andn2_saveexec_b64 s[8:9], s[8:9]
; %bb.91:                               ;   in Loop: Header=BB333_83 Depth=1
	v_or_b32_e32 v6, 0x10000, v7
	v_cmp_eq_u32_sdwa vcc, v7, v13 src0_sel:WORD_0 src1_sel:DWORD
	s_nop 1
	v_cndmask_b32_e32 v24, v6, v7, vcc
; %bb.92:                               ;   in Loop: Header=BB333_83 Depth=1
	s_or_b64 exec, exec, s[8:9]
	v_and_b32_e32 v6, 0x7f800000, v8
	v_cmp_ne_u32_e32 vcc, s12, v6
                                        ; implicit-def: $vgpr23
	s_and_saveexec_b64 s[8:9], vcc
	s_xor_b64 s[8:9], exec, s[8:9]
; %bb.93:                               ;   in Loop: Header=BB333_83 Depth=1
	v_bfe_u32 v6, v8, 16, 1
	v_add3_u32 v23, v8, v6, s13
; %bb.94:                               ;   in Loop: Header=BB333_83 Depth=1
	s_andn2_saveexec_b64 s[8:9], s[8:9]
; %bb.95:                               ;   in Loop: Header=BB333_83 Depth=1
	v_or_b32_e32 v6, 0x10000, v8
	v_cmp_eq_u32_sdwa vcc, v8, v13 src0_sel:WORD_0 src1_sel:DWORD
	s_nop 1
	v_cndmask_b32_e32 v23, v6, v8, vcc
; %bb.96:                               ;   in Loop: Header=BB333_83 Depth=1
	s_or_b64 exec, exec, s[8:9]
	v_and_b32_e32 v6, 0x7f800000, v9
	v_cmp_ne_u32_e32 vcc, s12, v6
                                        ; implicit-def: $vgpr20
	s_and_saveexec_b64 s[8:9], vcc
	s_xor_b64 s[8:9], exec, s[8:9]
; %bb.97:                               ;   in Loop: Header=BB333_83 Depth=1
	v_bfe_u32 v6, v9, 16, 1
	v_add3_u32 v20, v9, v6, s13
                                        ; implicit-def: $vgpr6_vgpr7_vgpr8_vgpr9
; %bb.98:                               ;   in Loop: Header=BB333_83 Depth=1
	s_andn2_saveexec_b64 s[8:9], s[8:9]
; %bb.99:                               ;   in Loop: Header=BB333_83 Depth=1
	v_or_b32_e32 v6, 0x10000, v9
	v_cmp_eq_u32_sdwa vcc, v9, v13 src0_sel:WORD_0 src1_sel:DWORD
	s_nop 1
	v_cndmask_b32_e32 v20, v6, v9, vcc
; %bb.100:                              ;   in Loop: Header=BB333_83 Depth=1
	s_or_b64 exec, exec, s[8:9]
	s_waitcnt lgkmcnt(0)
	v_and_b32_e32 v6, 0x7f800000, v2
	v_cmp_ne_u32_e32 vcc, s12, v6
                                        ; implicit-def: $vgpr9
	s_and_saveexec_b64 s[8:9], vcc
	s_xor_b64 s[8:9], exec, s[8:9]
; %bb.101:                              ;   in Loop: Header=BB333_83 Depth=1
	v_bfe_u32 v6, v2, 16, 1
	v_add3_u32 v9, v2, v6, s13
; %bb.102:                              ;   in Loop: Header=BB333_83 Depth=1
	s_andn2_saveexec_b64 s[8:9], s[8:9]
; %bb.103:                              ;   in Loop: Header=BB333_83 Depth=1
	v_or_b32_e32 v6, 0x10000, v2
	v_cmp_eq_u32_sdwa vcc, v2, v13 src0_sel:WORD_0 src1_sel:DWORD
	s_nop 1
	v_cndmask_b32_e32 v9, v6, v2, vcc
; %bb.104:                              ;   in Loop: Header=BB333_83 Depth=1
	s_or_b64 exec, exec, s[8:9]
	v_and_b32_e32 v2, 0x7f800000, v3
	v_cmp_ne_u32_e32 vcc, s12, v2
                                        ; implicit-def: $vgpr8
	s_and_saveexec_b64 s[8:9], vcc
	s_xor_b64 s[8:9], exec, s[8:9]
; %bb.105:                              ;   in Loop: Header=BB333_83 Depth=1
	v_bfe_u32 v2, v3, 16, 1
	v_add3_u32 v8, v3, v2, s13
; %bb.106:                              ;   in Loop: Header=BB333_83 Depth=1
	s_andn2_saveexec_b64 s[8:9], s[8:9]
; %bb.107:                              ;   in Loop: Header=BB333_83 Depth=1
	v_or_b32_e32 v2, 0x10000, v3
	v_cmp_eq_u32_sdwa vcc, v3, v13 src0_sel:WORD_0 src1_sel:DWORD
	s_nop 1
	v_cndmask_b32_e32 v8, v2, v3, vcc
; %bb.108:                              ;   in Loop: Header=BB333_83 Depth=1
	s_or_b64 exec, exec, s[8:9]
	v_and_b32_e32 v2, 0x7f800000, v4
	v_cmp_ne_u32_e32 vcc, s12, v2
                                        ; implicit-def: $vgpr7
	s_and_saveexec_b64 s[8:9], vcc
	s_xor_b64 s[8:9], exec, s[8:9]
; %bb.109:                              ;   in Loop: Header=BB333_83 Depth=1
	v_bfe_u32 v2, v4, 16, 1
	v_add3_u32 v7, v4, v2, s13
; %bb.110:                              ;   in Loop: Header=BB333_83 Depth=1
	s_andn2_saveexec_b64 s[8:9], s[8:9]
; %bb.111:                              ;   in Loop: Header=BB333_83 Depth=1
	v_or_b32_e32 v2, 0x10000, v4
	v_cmp_eq_u32_sdwa vcc, v4, v13 src0_sel:WORD_0 src1_sel:DWORD
	s_nop 1
	v_cndmask_b32_e32 v7, v2, v4, vcc
; %bb.112:                              ;   in Loop: Header=BB333_83 Depth=1
	s_or_b64 exec, exec, s[8:9]
	v_and_b32_e32 v2, 0x7f800000, v5
	v_cmp_ne_u32_e32 vcc, s12, v2
                                        ; implicit-def: $vgpr6
	s_and_saveexec_b64 s[8:9], vcc
	s_xor_b64 s[8:9], exec, s[8:9]
; %bb.113:                              ;   in Loop: Header=BB333_83 Depth=1
	v_bfe_u32 v2, v5, 16, 1
	v_add3_u32 v6, v5, v2, s13
                                        ; implicit-def: $vgpr2_vgpr3_vgpr4_vgpr5
; %bb.114:                              ;   in Loop: Header=BB333_83 Depth=1
	s_andn2_saveexec_b64 s[8:9], s[8:9]
; %bb.115:                              ;   in Loop: Header=BB333_83 Depth=1
	v_or_b32_e32 v2, 0x10000, v5
	v_cmp_eq_u32_sdwa vcc, v5, v13 src0_sel:WORD_0 src1_sel:DWORD
	s_nop 1
	v_cndmask_b32_e32 v6, v2, v5, vcc
; %bb.116:                              ;   in Loop: Header=BB333_83 Depth=1
	s_or_b64 exec, exec, s[8:9]
	s_waitcnt vmcnt(0)
	v_mad_i64_i32 v[2:3], s[8:9], v26, s11, v[14:15]
	global_load_dwordx2 v[2:3], v[2:3], off
	s_load_dword s17, s[14:15], 0x0
	s_waitcnt vmcnt(0)
	v_and_b32_e32 v4, 0xff, v2
	v_cvt_f32_fp8_sdwa v4, v4 src0_sel:BYTE_0
	s_waitcnt lgkmcnt(0)
	v_mul_f32_e32 v5, s17, v4
	v_and_b32_e32 v4, 0x7f800000, v5
	v_cmp_ne_u32_e32 vcc, s12, v4
                                        ; implicit-def: $vgpr4
	s_and_saveexec_b64 s[8:9], vcc
	s_xor_b64 s[8:9], exec, s[8:9]
; %bb.117:                              ;   in Loop: Header=BB333_83 Depth=1
	v_bfe_u32 v4, v5, 16, 1
	v_add3_u32 v4, v5, v4, s13
                                        ; implicit-def: $vgpr5
; %bb.118:                              ;   in Loop: Header=BB333_83 Depth=1
	s_andn2_saveexec_b64 s[8:9], s[8:9]
; %bb.119:                              ;   in Loop: Header=BB333_83 Depth=1
	v_or_b32_e32 v4, 0x10000, v5
	v_cmp_eq_u32_sdwa vcc, v5, v13 src0_sel:WORD_0 src1_sel:DWORD
	s_nop 1
	v_cndmask_b32_e32 v4, v4, v5, vcc
; %bb.120:                              ;   in Loop: Header=BB333_83 Depth=1
	s_or_b64 exec, exec, s[8:9]
	v_bfe_u32 v5, v2, 8, 8
	v_cvt_f32_fp8_sdwa v5, v5 src0_sel:BYTE_0
	s_nop 0
	v_mul_f32_e32 v5, s17, v5
	v_and_b32_e32 v26, 0x7f800000, v5
	v_cmp_ne_u32_e32 vcc, s12, v26
                                        ; implicit-def: $vgpr26
	s_and_saveexec_b64 s[8:9], vcc
	s_xor_b64 s[8:9], exec, s[8:9]
; %bb.121:                              ;   in Loop: Header=BB333_83 Depth=1
	v_bfe_u32 v26, v5, 16, 1
	v_add3_u32 v26, v5, v26, s13
                                        ; implicit-def: $vgpr5
; %bb.122:                              ;   in Loop: Header=BB333_83 Depth=1
	s_andn2_saveexec_b64 s[8:9], s[8:9]
; %bb.123:                              ;   in Loop: Header=BB333_83 Depth=1
	v_or_b32_e32 v26, 0x10000, v5
	v_cmp_eq_u32_sdwa vcc, v5, v13 src0_sel:WORD_0 src1_sel:DWORD
	s_nop 1
	v_cndmask_b32_e32 v26, v26, v5, vcc
; %bb.124:                              ;   in Loop: Header=BB333_83 Depth=1
	s_or_b64 exec, exec, s[8:9]
	v_bfe_u32 v5, v2, 16, 8
	v_cvt_f32_fp8_sdwa v5, v5 src0_sel:BYTE_0
                                        ; implicit-def: $vgpr28
	s_nop 0
	v_mul_f32_e32 v5, s17, v5
	v_and_b32_e32 v27, 0x7f800000, v5
	v_cmp_ne_u32_e32 vcc, s12, v27
	s_and_saveexec_b64 s[8:9], vcc
	s_xor_b64 s[8:9], exec, s[8:9]
; %bb.125:                              ;   in Loop: Header=BB333_83 Depth=1
	v_bfe_u32 v27, v5, 16, 1
	v_add3_u32 v28, v5, v27, s13
                                        ; implicit-def: $vgpr5
; %bb.126:                              ;   in Loop: Header=BB333_83 Depth=1
	s_andn2_saveexec_b64 s[8:9], s[8:9]
; %bb.127:                              ;   in Loop: Header=BB333_83 Depth=1
	v_or_b32_e32 v27, 0x10000, v5
	v_cmp_eq_u32_sdwa vcc, v5, v13 src0_sel:WORD_0 src1_sel:DWORD
	s_nop 1
	v_cndmask_b32_e32 v28, v27, v5, vcc
; %bb.128:                              ;   in Loop: Header=BB333_83 Depth=1
	s_or_b64 exec, exec, s[8:9]
	v_lshrrev_b32_e32 v2, 24, v2
	v_cvt_f32_fp8_sdwa v2, v2 src0_sel:BYTE_0
	s_nop 0
	v_mul_f32_e32 v5, s17, v2
	v_and_b32_e32 v2, 0x7f800000, v5
	v_cmp_ne_u32_e32 vcc, s12, v2
                                        ; implicit-def: $vgpr2
	s_and_saveexec_b64 s[8:9], vcc
	s_xor_b64 s[8:9], exec, s[8:9]
; %bb.129:                              ;   in Loop: Header=BB333_83 Depth=1
	v_bfe_u32 v2, v5, 16, 1
	v_add3_u32 v2, v5, v2, s13
                                        ; implicit-def: $vgpr5
; %bb.130:                              ;   in Loop: Header=BB333_83 Depth=1
	s_andn2_saveexec_b64 s[8:9], s[8:9]
; %bb.131:                              ;   in Loop: Header=BB333_83 Depth=1
	v_or_b32_e32 v2, 0x10000, v5
	v_cmp_eq_u32_sdwa vcc, v5, v13 src0_sel:WORD_0 src1_sel:DWORD
	s_nop 1
	v_cndmask_b32_e32 v2, v2, v5, vcc
; %bb.132:                              ;   in Loop: Header=BB333_83 Depth=1
	s_or_b64 exec, exec, s[8:9]
	v_and_b32_e32 v5, 0xff, v3
	v_cvt_f32_fp8_sdwa v5, v5 src0_sel:BYTE_0
	s_nop 0
	v_mul_f32_e32 v5, s17, v5
	v_and_b32_e32 v27, 0x7f800000, v5
	v_cmp_ne_u32_e32 vcc, s12, v27
                                        ; implicit-def: $vgpr27
	s_and_saveexec_b64 s[8:9], vcc
	s_xor_b64 s[8:9], exec, s[8:9]
; %bb.133:                              ;   in Loop: Header=BB333_83 Depth=1
	v_bfe_u32 v27, v5, 16, 1
	v_add3_u32 v27, v5, v27, s13
                                        ; implicit-def: $vgpr5
; %bb.134:                              ;   in Loop: Header=BB333_83 Depth=1
	s_andn2_saveexec_b64 s[8:9], s[8:9]
; %bb.135:                              ;   in Loop: Header=BB333_83 Depth=1
	v_or_b32_e32 v27, 0x10000, v5
	v_cmp_eq_u32_sdwa vcc, v5, v13 src0_sel:WORD_0 src1_sel:DWORD
	s_nop 1
	v_cndmask_b32_e32 v27, v27, v5, vcc
; %bb.136:                              ;   in Loop: Header=BB333_83 Depth=1
	s_or_b64 exec, exec, s[8:9]
	v_bfe_u32 v5, v3, 8, 8
	v_cvt_f32_fp8_sdwa v5, v5 src0_sel:BYTE_0
	s_nop 0
	v_mul_f32_e32 v29, s17, v5
	v_and_b32_e32 v5, 0x7f800000, v29
	v_cmp_ne_u32_e32 vcc, s12, v5
                                        ; implicit-def: $vgpr5
	s_and_saveexec_b64 s[8:9], vcc
	s_xor_b64 s[8:9], exec, s[8:9]
; %bb.137:                              ;   in Loop: Header=BB333_83 Depth=1
	v_bfe_u32 v5, v29, 16, 1
	v_add3_u32 v5, v29, v5, s13
                                        ; implicit-def: $vgpr29
; %bb.138:                              ;   in Loop: Header=BB333_83 Depth=1
	s_andn2_saveexec_b64 s[8:9], s[8:9]
; %bb.139:                              ;   in Loop: Header=BB333_83 Depth=1
	v_or_b32_e32 v5, 0x10000, v29
	v_cmp_eq_u32_sdwa vcc, v29, v13 src0_sel:WORD_0 src1_sel:DWORD
	s_nop 1
	v_cndmask_b32_e32 v5, v5, v29, vcc
; %bb.140:                              ;   in Loop: Header=BB333_83 Depth=1
	s_or_b64 exec, exec, s[8:9]
	v_bfe_u32 v29, v3, 16, 8
	v_cvt_f32_fp8_sdwa v29, v29 src0_sel:BYTE_0
	s_nop 0
	v_mul_f32_e32 v29, s17, v29
	v_and_b32_e32 v30, 0x7f800000, v29
	v_cmp_ne_u32_e32 vcc, s12, v30
                                        ; implicit-def: $vgpr30
	s_and_saveexec_b64 s[8:9], vcc
	s_xor_b64 s[8:9], exec, s[8:9]
; %bb.141:                              ;   in Loop: Header=BB333_83 Depth=1
	v_bfe_u32 v30, v29, 16, 1
	v_add3_u32 v30, v29, v30, s13
                                        ; implicit-def: $vgpr29
; %bb.142:                              ;   in Loop: Header=BB333_83 Depth=1
	s_andn2_saveexec_b64 s[8:9], s[8:9]
; %bb.143:                              ;   in Loop: Header=BB333_83 Depth=1
	v_or_b32_e32 v30, 0x10000, v29
	v_cmp_eq_u32_sdwa vcc, v29, v13 src0_sel:WORD_0 src1_sel:DWORD
	s_nop 1
	v_cndmask_b32_e32 v30, v30, v29, vcc
; %bb.144:                              ;   in Loop: Header=BB333_83 Depth=1
	s_or_b64 exec, exec, s[8:9]
	v_lshrrev_b32_e32 v3, 24, v3
	v_cvt_f32_fp8_sdwa v3, v3 src0_sel:BYTE_0
                                        ; implicit-def: $vgpr31
	s_nop 0
	v_mul_f32_e32 v3, s17, v3
	v_and_b32_e32 v29, 0x7f800000, v3
	v_cmp_ne_u32_e32 vcc, s12, v29
	s_and_saveexec_b64 s[8:9], vcc
	s_xor_b64 s[8:9], exec, s[8:9]
; %bb.145:                              ;   in Loop: Header=BB333_83 Depth=1
	v_bfe_u32 v29, v3, 16, 1
	v_add3_u32 v31, v3, v29, s13
                                        ; implicit-def: $vgpr3
; %bb.146:                              ;   in Loop: Header=BB333_83 Depth=1
	s_andn2_saveexec_b64 s[8:9], s[8:9]
; %bb.147:                              ;   in Loop: Header=BB333_83 Depth=1
	v_or_b32_e32 v29, 0x10000, v3
	v_cmp_eq_u32_sdwa vcc, v3, v13 src0_sel:WORD_0 src1_sel:DWORD
	s_nop 1
	v_cndmask_b32_e32 v31, v29, v3, vcc
; %bb.148:                              ;   in Loop: Header=BB333_83 Depth=1
	s_or_b64 exec, exec, s[8:9]
	v_lshrrev_b32_e32 v5, 16, v5
	v_lshrrev_b32_e32 v27, 16, v27
	;; [unrolled: 1-line block ×8, first 2 shown]
	v_cmp_eq_u32_e32 vcc, s49, v10
	s_and_saveexec_b64 s[8:9], vcc
	s_cbranch_execz .LBB333_150
; %bb.149:                              ;   in Loop: Header=BB333_83 Depth=1
	v_add_u32_e32 v30, v21, v1
	v_cmp_gt_i32_e32 vcc, s33, v30
	v_add_u32_e32 v31, 1, v30
	s_nop 0
	v_cndmask_b32_e32 v3, 0, v3, vcc
	v_cmp_gt_i32_e32 vcc, s33, v31
	v_add_u32_e32 v31, 2, v30
	s_nop 0
	v_cndmask_b32_e32 v26, 0, v26, vcc
	;; [unrolled: 4-line block ×5, first 2 shown]
	v_cmp_gt_i32_e32 vcc, s33, v31
	v_add_u32_e32 v31, 6, v30
	v_add_u32_e32 v30, 7, v30
	v_cndmask_b32_e32 v5, 0, v5, vcc
	v_cmp_gt_i32_e32 vcc, s33, v31
	s_nop 1
	v_cndmask_b32_e32 v4, 0, v4, vcc
	v_cmp_gt_i32_e32 vcc, s33, v30
	s_nop 1
	v_cndmask_b32_e32 v2, 0, v2, vcc
.LBB333_150:                            ;   in Loop: Header=BB333_83 Depth=1
	s_or_b64 exec, exec, s[8:9]
	v_and_b32_e32 v25, 0xffff0000, v25
	v_lshlrev_b32_e32 v3, 16, v3
	v_mul_f32_e32 v25, v25, v3
	v_and_b32_e32 v3, 0x7f800000, v25
	v_cmp_ne_u32_e32 vcc, s12, v3
                                        ; implicit-def: $vgpr3
	s_and_saveexec_b64 s[8:9], vcc
	s_xor_b64 s[8:9], exec, s[8:9]
; %bb.151:                              ;   in Loop: Header=BB333_83 Depth=1
	v_bfe_u32 v3, v25, 16, 1
	v_add3_u32 v3, v25, v3, s13
                                        ; implicit-def: $vgpr25
; %bb.152:                              ;   in Loop: Header=BB333_83 Depth=1
	s_andn2_saveexec_b64 s[8:9], s[8:9]
; %bb.153:                              ;   in Loop: Header=BB333_83 Depth=1
	v_or_b32_e32 v3, 0x10000, v25
	v_cmp_eq_u32_sdwa vcc, v25, v13 src0_sel:WORD_0 src1_sel:DWORD
	s_nop 1
	v_cndmask_b32_e32 v3, v3, v25, vcc
; %bb.154:                              ;   in Loop: Header=BB333_83 Depth=1
	s_or_b64 exec, exec, s[8:9]
	v_and_b32_e32 v24, 0xffff0000, v24
	v_lshlrev_b32_e32 v25, 16, v26
	v_mul_f32_e32 v25, v24, v25
	v_and_b32_e32 v24, 0x7f800000, v25
	v_cmp_ne_u32_e32 vcc, s12, v24
                                        ; implicit-def: $vgpr24
	s_and_saveexec_b64 s[8:9], vcc
	s_xor_b64 s[8:9], exec, s[8:9]
; %bb.155:                              ;   in Loop: Header=BB333_83 Depth=1
	v_bfe_u32 v24, v25, 16, 1
	v_add3_u32 v24, v25, v24, s13
                                        ; implicit-def: $vgpr25
; %bb.156:                              ;   in Loop: Header=BB333_83 Depth=1
	s_andn2_saveexec_b64 s[8:9], s[8:9]
; %bb.157:                              ;   in Loop: Header=BB333_83 Depth=1
	v_or_b32_e32 v24, 0x10000, v25
	v_cmp_eq_u32_sdwa vcc, v25, v13 src0_sel:WORD_0 src1_sel:DWORD
	s_nop 1
	v_cndmask_b32_e32 v24, v24, v25, vcc
; %bb.158:                              ;   in Loop: Header=BB333_83 Depth=1
	s_or_b64 exec, exec, s[8:9]
	v_and_b32_e32 v23, 0xffff0000, v23
	v_lshlrev_b32_e32 v25, 16, v28
	v_mul_f32_e32 v25, v23, v25
	v_and_b32_e32 v23, 0x7f800000, v25
	v_cmp_ne_u32_e32 vcc, s12, v23
                                        ; implicit-def: $vgpr23
	s_and_saveexec_b64 s[8:9], vcc
	s_xor_b64 s[8:9], exec, s[8:9]
; %bb.159:                              ;   in Loop: Header=BB333_83 Depth=1
	v_bfe_u32 v23, v25, 16, 1
	v_add3_u32 v23, v25, v23, s13
                                        ; implicit-def: $vgpr25
; %bb.160:                              ;   in Loop: Header=BB333_83 Depth=1
	s_andn2_saveexec_b64 s[8:9], s[8:9]
; %bb.161:                              ;   in Loop: Header=BB333_83 Depth=1
	v_or_b32_e32 v23, 0x10000, v25
	v_cmp_eq_u32_sdwa vcc, v25, v13 src0_sel:WORD_0 src1_sel:DWORD
	s_nop 1
	v_cndmask_b32_e32 v23, v23, v25, vcc
; %bb.162:                              ;   in Loop: Header=BB333_83 Depth=1
	s_or_b64 exec, exec, s[8:9]
	v_and_b32_e32 v20, 0xffff0000, v20
	v_lshlrev_b32_e32 v25, 16, v29
	v_mul_f32_e32 v25, v20, v25
	v_and_b32_e32 v20, 0x7f800000, v25
	v_cmp_ne_u32_e32 vcc, s12, v20
                                        ; implicit-def: $vgpr20
	s_and_saveexec_b64 s[8:9], vcc
	s_xor_b64 s[8:9], exec, s[8:9]
; %bb.163:                              ;   in Loop: Header=BB333_83 Depth=1
	v_bfe_u32 v20, v25, 16, 1
	v_add3_u32 v20, v25, v20, s13
                                        ; implicit-def: $vgpr25
; %bb.164:                              ;   in Loop: Header=BB333_83 Depth=1
	s_andn2_saveexec_b64 s[8:9], s[8:9]
; %bb.165:                              ;   in Loop: Header=BB333_83 Depth=1
	v_or_b32_e32 v20, 0x10000, v25
	v_cmp_eq_u32_sdwa vcc, v25, v13 src0_sel:WORD_0 src1_sel:DWORD
	s_nop 1
	v_cndmask_b32_e32 v20, v20, v25, vcc
; %bb.166:                              ;   in Loop: Header=BB333_83 Depth=1
	s_or_b64 exec, exec, s[8:9]
	v_and_b32_e32 v9, 0xffff0000, v9
	v_lshlrev_b32_e32 v25, 16, v27
	v_mul_f32_e32 v25, v9, v25
	v_and_b32_e32 v9, 0x7f800000, v25
	v_cmp_ne_u32_e32 vcc, s12, v9
                                        ; implicit-def: $vgpr9
	s_and_saveexec_b64 s[8:9], vcc
	s_xor_b64 s[8:9], exec, s[8:9]
; %bb.167:                              ;   in Loop: Header=BB333_83 Depth=1
	v_bfe_u32 v9, v25, 16, 1
	v_add3_u32 v9, v25, v9, s13
                                        ; implicit-def: $vgpr25
; %bb.168:                              ;   in Loop: Header=BB333_83 Depth=1
	s_andn2_saveexec_b64 s[8:9], s[8:9]
; %bb.169:                              ;   in Loop: Header=BB333_83 Depth=1
	v_or_b32_e32 v9, 0x10000, v25
	v_cmp_eq_u32_sdwa vcc, v25, v13 src0_sel:WORD_0 src1_sel:DWORD
	s_nop 1
	v_cndmask_b32_e32 v9, v9, v25, vcc
; %bb.170:                              ;   in Loop: Header=BB333_83 Depth=1
	s_or_b64 exec, exec, s[8:9]
	v_and_b32_e32 v8, 0xffff0000, v8
	v_lshlrev_b32_e32 v5, 16, v5
	v_mul_f32_e32 v8, v8, v5
	v_and_b32_e32 v5, 0x7f800000, v8
	v_cmp_ne_u32_e32 vcc, s12, v5
                                        ; implicit-def: $vgpr5
	s_and_saveexec_b64 s[8:9], vcc
	s_xor_b64 s[8:9], exec, s[8:9]
; %bb.171:                              ;   in Loop: Header=BB333_83 Depth=1
	v_bfe_u32 v5, v8, 16, 1
	v_add3_u32 v5, v8, v5, s13
                                        ; implicit-def: $vgpr8
; %bb.172:                              ;   in Loop: Header=BB333_83 Depth=1
	s_andn2_saveexec_b64 s[8:9], s[8:9]
; %bb.173:                              ;   in Loop: Header=BB333_83 Depth=1
	v_or_b32_e32 v5, 0x10000, v8
	v_cmp_eq_u32_sdwa vcc, v8, v13 src0_sel:WORD_0 src1_sel:DWORD
	s_nop 1
	v_cndmask_b32_e32 v5, v5, v8, vcc
; %bb.174:                              ;   in Loop: Header=BB333_83 Depth=1
	s_or_b64 exec, exec, s[8:9]
	v_and_b32_e32 v7, 0xffff0000, v7
	v_lshlrev_b32_e32 v4, 16, v4
	v_mul_f32_e32 v7, v7, v4
	v_and_b32_e32 v4, 0x7f800000, v7
	v_cmp_ne_u32_e32 vcc, s12, v4
                                        ; implicit-def: $vgpr4
	s_and_saveexec_b64 s[8:9], vcc
	s_xor_b64 s[8:9], exec, s[8:9]
; %bb.175:                              ;   in Loop: Header=BB333_83 Depth=1
	v_bfe_u32 v4, v7, 16, 1
	v_add3_u32 v4, v7, v4, s13
                                        ; implicit-def: $vgpr7
; %bb.176:                              ;   in Loop: Header=BB333_83 Depth=1
	s_andn2_saveexec_b64 s[8:9], s[8:9]
; %bb.177:                              ;   in Loop: Header=BB333_83 Depth=1
	v_or_b32_e32 v4, 0x10000, v7
	v_cmp_eq_u32_sdwa vcc, v7, v13 src0_sel:WORD_0 src1_sel:DWORD
	s_nop 1
	v_cndmask_b32_e32 v4, v4, v7, vcc
; %bb.178:                              ;   in Loop: Header=BB333_83 Depth=1
	s_or_b64 exec, exec, s[8:9]
	v_and_b32_e32 v6, 0xffff0000, v6
	v_lshlrev_b32_e32 v2, 16, v2
	v_mul_f32_e32 v2, v6, v2
	v_and_b32_e32 v6, 0x7f800000, v2
	v_cmp_ne_u32_e32 vcc, s12, v6
                                        ; implicit-def: $vgpr6
	s_and_saveexec_b64 s[8:9], vcc
	s_xor_b64 s[8:9], exec, s[8:9]
; %bb.179:                              ;   in Loop: Header=BB333_83 Depth=1
	v_bfe_u32 v6, v2, 16, 1
	v_add3_u32 v6, v2, v6, s13
                                        ; implicit-def: $vgpr2
; %bb.180:                              ;   in Loop: Header=BB333_83 Depth=1
	s_andn2_saveexec_b64 s[8:9], s[8:9]
	s_cbranch_execz .LBB333_81
; %bb.181:                              ;   in Loop: Header=BB333_83 Depth=1
	v_or_b32_e32 v6, 0x10000, v2
	v_cmp_eq_u32_sdwa vcc, v2, v13 src0_sel:WORD_0 src1_sel:DWORD
	s_nop 1
	v_cndmask_b32_e32 v6, v6, v2, vcc
	s_branch .LBB333_81
.LBB333_182:
	s_or_b64 exec, exec, s[4:5]
.LBB333_183:
	s_or_b64 exec, exec, s[2:3]
	ds_bpermute_b32 v1, v19, v12
	v_and_b32_e32 v2, 0x3c1, v0
	v_cmp_eq_u32_e32 vcc, 64, v2
	s_waitcnt lgkmcnt(0)
	s_barrier
	v_add_f32_e32 v1, v12, v1
	s_and_saveexec_b64 s[0:1], vcc
	s_cbranch_execz .LBB333_185
; %bb.184:
	v_mov_b32_e32 v3, 0x50
	v_lshl_add_u32 v3, v18, 1, v3
	ds_write_b32 v3, v1
.LBB333_185:
	s_or_b64 exec, exec, s[0:1]
	v_cmp_eq_u32_e32 vcc, 0, v2
	s_waitcnt lgkmcnt(0)
	s_barrier
	s_and_saveexec_b64 s[0:1], vcc
	s_cbranch_execz .LBB333_187
; %bb.186:
	v_mov_b32_e32 v2, 0x50
	v_lshl_add_u32 v2, v0, 1, v2
	ds_read_b32 v2, v2
	s_waitcnt lgkmcnt(0)
	v_add_f32_e32 v1, v1, v2
.LBB333_187:
	s_or_b64 exec, exec, s[0:1]
	s_barrier
	s_and_saveexec_b64 s[0:1], vcc
	s_cbranch_execz .LBB333_193
; %bb.188:
	s_mov_b32 s0, 0x7f800000
	v_and_b32_e32 v2, 0x7f800000, v1
	v_cmp_ne_u32_e32 vcc, s0, v2
                                        ; implicit-def: $vgpr2
	s_and_saveexec_b64 s[0:1], vcc
	s_xor_b64 s[0:1], exec, s[0:1]
; %bb.189:
	v_bfe_u32 v2, v1, 16, 1
	s_movk_i32 s2, 0x7fff
	v_add3_u32 v2, v1, v2, s2
                                        ; implicit-def: $vgpr1
; %bb.190:
	s_andn2_saveexec_b64 s[0:1], s[0:1]
; %bb.191:
	v_mov_b32_e32 v2, 0
	v_or_b32_e32 v3, 0x10000, v1
	v_cmp_eq_u32_sdwa vcc, v1, v2 src0_sel:WORD_0 src1_sel:DWORD
	s_nop 1
	v_cndmask_b32_e32 v2, v3, v1, vcc
; %bb.192:
	s_or_b64 exec, exec, s[0:1]
	s_lshl_b32 s0, s6, 5
	s_ashr_i32 s1, s0, 31
	s_lshl_b64 s[0:1], s[0:1], 1
	s_add_u32 s2, s30, s0
	s_mul_i32 s0, s20, s28
	s_addc_u32 s3, s31, s1
	s_ashr_i32 s1, s0, 31
	s_lshl_b64 s[0:1], s[0:1], 1
	s_add_u32 s2, s2, s0
	s_addc_u32 s3, s3, s1
	s_ashr_i32 s17, s16, 31
	s_lshl_b64 s[0:1], s[16:17], 1
	s_add_u32 s0, s2, s0
	s_addc_u32 s1, s3, s1
	global_store_short_d16_hi v0, v2, s[0:1]
.LBB333_193:
	s_endpgm
	.section	.rodata,"a",@progbits
	.p2align	6, 0x0
	.amdhsa_kernel _ZN4vllm25paged_attention_v2_kernelI14__hip_bfloat16hLi32ELi16ELi128ELNS_18Fp8KVCacheDataTypeE1ELb1ELi512EEEvPfS3_PT_PKS4_PKT0_SA_ifPKiSC_iPKfiiiSE_SE_iiiii
		.amdhsa_group_segment_fixed_size 80
		.amdhsa_private_segment_fixed_size 0
		.amdhsa_kernarg_size 400
		.amdhsa_user_sgpr_count 2
		.amdhsa_user_sgpr_dispatch_ptr 0
		.amdhsa_user_sgpr_queue_ptr 0
		.amdhsa_user_sgpr_kernarg_segment_ptr 1
		.amdhsa_user_sgpr_dispatch_id 0
		.amdhsa_user_sgpr_kernarg_preload_length 0
		.amdhsa_user_sgpr_kernarg_preload_offset 0
		.amdhsa_user_sgpr_private_segment_size 0
		.amdhsa_uses_dynamic_stack 0
		.amdhsa_enable_private_segment 0
		.amdhsa_system_sgpr_workgroup_id_x 1
		.amdhsa_system_sgpr_workgroup_id_y 1
		.amdhsa_system_sgpr_workgroup_id_z 1
		.amdhsa_system_sgpr_workgroup_info 0
		.amdhsa_system_vgpr_workitem_id 0
		.amdhsa_next_free_vgpr 40
		.amdhsa_next_free_sgpr 60
		.amdhsa_accum_offset 40
		.amdhsa_reserve_vcc 1
		.amdhsa_float_round_mode_32 0
		.amdhsa_float_round_mode_16_64 0
		.amdhsa_float_denorm_mode_32 3
		.amdhsa_float_denorm_mode_16_64 3
		.amdhsa_dx10_clamp 1
		.amdhsa_ieee_mode 1
		.amdhsa_fp16_overflow 0
		.amdhsa_tg_split 0
		.amdhsa_exception_fp_ieee_invalid_op 0
		.amdhsa_exception_fp_denorm_src 0
		.amdhsa_exception_fp_ieee_div_zero 0
		.amdhsa_exception_fp_ieee_overflow 0
		.amdhsa_exception_fp_ieee_underflow 0
		.amdhsa_exception_fp_ieee_inexact 0
		.amdhsa_exception_int_div_zero 0
	.end_amdhsa_kernel
	.section	.text._ZN4vllm25paged_attention_v2_kernelI14__hip_bfloat16hLi32ELi16ELi128ELNS_18Fp8KVCacheDataTypeE1ELb1ELi512EEEvPfS3_PT_PKS4_PKT0_SA_ifPKiSC_iPKfiiiSE_SE_iiiii,"axG",@progbits,_ZN4vllm25paged_attention_v2_kernelI14__hip_bfloat16hLi32ELi16ELi128ELNS_18Fp8KVCacheDataTypeE1ELb1ELi512EEEvPfS3_PT_PKS4_PKT0_SA_ifPKiSC_iPKfiiiSE_SE_iiiii,comdat
.Lfunc_end333:
	.size	_ZN4vllm25paged_attention_v2_kernelI14__hip_bfloat16hLi32ELi16ELi128ELNS_18Fp8KVCacheDataTypeE1ELb1ELi512EEEvPfS3_PT_PKS4_PKT0_SA_ifPKiSC_iPKfiiiSE_SE_iiiii, .Lfunc_end333-_ZN4vllm25paged_attention_v2_kernelI14__hip_bfloat16hLi32ELi16ELi128ELNS_18Fp8KVCacheDataTypeE1ELb1ELi512EEEvPfS3_PT_PKS4_PKT0_SA_ifPKiSC_iPKfiiiSE_SE_iiiii
                                        ; -- End function
	.section	.AMDGPU.csdata,"",@progbits
; Kernel info:
; codeLenInByte = 7036
; NumSgprs: 66
; NumVgprs: 40
; NumAgprs: 0
; TotalNumVgprs: 40
; ScratchSize: 0
; MemoryBound: 0
; FloatMode: 240
; IeeeMode: 1
; LDSByteSize: 80 bytes/workgroup (compile time only)
; SGPRBlocks: 8
; VGPRBlocks: 4
; NumSGPRsForWavesPerEU: 66
; NumVGPRsForWavesPerEU: 40
; AccumOffset: 40
; Occupancy: 8
; WaveLimiterHint : 1
; COMPUTE_PGM_RSRC2:SCRATCH_EN: 0
; COMPUTE_PGM_RSRC2:USER_SGPR: 2
; COMPUTE_PGM_RSRC2:TRAP_HANDLER: 0
; COMPUTE_PGM_RSRC2:TGID_X_EN: 1
; COMPUTE_PGM_RSRC2:TGID_Y_EN: 1
; COMPUTE_PGM_RSRC2:TGID_Z_EN: 1
; COMPUTE_PGM_RSRC2:TIDIG_COMP_CNT: 0
; COMPUTE_PGM_RSRC3_GFX90A:ACCUM_OFFSET: 9
; COMPUTE_PGM_RSRC3_GFX90A:TG_SPLIT: 0
	.section	.text._ZN4vllm25paged_attention_v2_kernelI14__hip_bfloat16hLi64ELi16ELi128ELNS_18Fp8KVCacheDataTypeE1ELb1ELi512EEEvPfS3_PT_PKS4_PKT0_SA_ifPKiSC_iPKfiiiSE_SE_iiiii,"axG",@progbits,_ZN4vllm25paged_attention_v2_kernelI14__hip_bfloat16hLi64ELi16ELi128ELNS_18Fp8KVCacheDataTypeE1ELb1ELi512EEEvPfS3_PT_PKS4_PKT0_SA_ifPKiSC_iPKfiiiSE_SE_iiiii,comdat
	.protected	_ZN4vllm25paged_attention_v2_kernelI14__hip_bfloat16hLi64ELi16ELi128ELNS_18Fp8KVCacheDataTypeE1ELb1ELi512EEEvPfS3_PT_PKS4_PKT0_SA_ifPKiSC_iPKfiiiSE_SE_iiiii ; -- Begin function _ZN4vllm25paged_attention_v2_kernelI14__hip_bfloat16hLi64ELi16ELi128ELNS_18Fp8KVCacheDataTypeE1ELb1ELi512EEEvPfS3_PT_PKS4_PKT0_SA_ifPKiSC_iPKfiiiSE_SE_iiiii
	.globl	_ZN4vllm25paged_attention_v2_kernelI14__hip_bfloat16hLi64ELi16ELi128ELNS_18Fp8KVCacheDataTypeE1ELb1ELi512EEEvPfS3_PT_PKS4_PKT0_SA_ifPKiSC_iPKfiiiSE_SE_iiiii
	.p2align	8
	.type	_ZN4vllm25paged_attention_v2_kernelI14__hip_bfloat16hLi64ELi16ELi128ELNS_18Fp8KVCacheDataTypeE1ELb1ELi512EEEvPfS3_PT_PKS4_PKT0_SA_ifPKiSC_iPKfiiiSE_SE_iiiii,@function
_ZN4vllm25paged_attention_v2_kernelI14__hip_bfloat16hLi64ELi16ELi128ELNS_18Fp8KVCacheDataTypeE1ELb1ELi512EEEvPfS3_PT_PKS4_PKT0_SA_ifPKiSC_iPKfiiiSE_SE_iiiii: ; @_ZN4vllm25paged_attention_v2_kernelI14__hip_bfloat16hLi64ELi16ELi128ELNS_18Fp8KVCacheDataTypeE1ELb1ELi512EEEvPfS3_PT_PKS4_PKT0_SA_ifPKiSC_iPKfiiiSE_SE_iiiii
; %bb.0:
	s_load_dwordx2 s[6:7], s[0:1], 0x40
	s_mov_b32 s28, s3
	s_ashr_i32 s29, s3, 31
	s_lshl_b64 s[8:9], s[28:29], 2
	s_waitcnt lgkmcnt(0)
	s_add_u32 s6, s6, s8
	s_addc_u32 s7, s7, s9
	s_load_dword s33, s[6:7], 0x0
	s_lshl_b32 s5, s4, 9
	s_waitcnt lgkmcnt(0)
	s_cmp_ge_i32 s5, s33
	s_cbranch_scc1 .LBB334_300
; %bb.1:
	s_load_dword s29, s[0:1], 0x90
	s_load_dwordx2 s[42:43], s[0:1], 0x30
	s_waitcnt lgkmcnt(0)
	s_abs_i32 s7, s29
	s_abs_i32 s3, s42
	v_cvt_f32_u32_e32 v1, s3
	s_sub_i32 s8, 0, s3
	s_xor_b32 s6, s29, s42
	s_ashr_i32 s6, s6, 31
	v_rcp_iflag_f32_e32 v1, v1
	s_nop 0
	v_mul_f32_e32 v1, 0x4f7ffffe, v1
	v_cvt_u32_f32_e32 v1, v1
	s_nop 0
	v_readfirstlane_b32 s9, v1
	s_mul_i32 s8, s8, s9
	s_mul_hi_u32 s8, s9, s8
	s_add_i32 s9, s9, s8
	s_mul_hi_u32 s8, s7, s9
	s_mul_i32 s9, s8, s3
	s_sub_i32 s7, s7, s9
	s_add_i32 s10, s8, 1
	s_sub_i32 s9, s7, s3
	s_cmp_ge_u32 s7, s3
	s_cselect_b32 s8, s10, s8
	s_cselect_b32 s7, s9, s7
	s_add_i32 s9, s8, 1
	s_cmp_ge_u32 s7, s3
	s_cselect_b32 s3, s9, s8
	s_xor_b32 s3, s3, s6
	s_sub_i32 s11, s3, s6
	s_abs_i32 s8, s11
	v_cvt_f32_u32_e32 v1, s8
	s_load_dwordx2 s[6:7], s[0:1], 0x50
	s_sub_i32 s10, 0, s8
	s_abs_i32 s9, s2
	v_rcp_iflag_f32_e32 v1, v1
	s_mov_b32 s3, 0
	v_mul_f32_e32 v1, 0x4f7ffffe, v1
	v_cvt_u32_f32_e32 v1, v1
	s_nop 0
	v_readfirstlane_b32 s12, v1
	s_mul_i32 s10, s10, s12
	s_mul_hi_u32 s10, s12, s10
	s_add_i32 s12, s12, s10
	s_waitcnt lgkmcnt(0)
	s_cmp_eq_u64 s[6:7], 0
	s_mul_hi_u32 s10, s9, s12
	s_cbranch_scc1 .LBB334_3
; %bb.2:
	s_ashr_i32 s3, s2, 31
	s_lshl_b64 s[12:13], s[2:3], 2
	s_add_u32 s6, s6, s12
	s_addc_u32 s7, s7, s13
	s_load_dword s3, s[6:7], 0x0
.LBB334_3:
	s_load_dwordx4 s[16:19], s[0:1], 0x58
	s_ashr_i32 s12, s2, 31
	s_ashr_i32 s11, s11, 31
	v_and_b32_e32 v2, 3, v0
	s_lshl_b32 s30, s2, 6
	v_cmp_gt_u32_e32 vcc, 32, v0
	s_and_saveexec_b64 s[6:7], vcc
	s_cbranch_execz .LBB334_5
; %bb.4:
	s_load_dwordx2 s[14:15], s[0:1], 0x18
	s_waitcnt lgkmcnt(0)
	s_mul_i32 s20, s28, s16
	s_ashr_i32 s21, s20, 31
	s_lshl_b64 s[20:21], s[20:21], 1
	v_lshlrev_b32_e32 v1, 2, v0
	s_add_u32 s13, s14, s20
	s_addc_u32 s16, s15, s21
	s_ashr_i32 s31, s30, 31
	s_lshl_b64 s[14:15], s[30:31], 1
	s_add_u32 s14, s13, s14
	s_addc_u32 s15, s16, s15
	global_load_dword v1, v1, s[14:15]
	v_and_b32_e32 v3, 0x3fc, v0
	v_lshl_add_u32 v3, v2, 5, v3
	s_waitcnt vmcnt(0)
	ds_write_b32 v3, v1
.LBB334_5:
	s_or_b64 exec, exec, s[6:7]
	s_mul_i32 s7, s10, s8
	s_sub_i32 s7, s9, s7
	s_xor_b32 s6, s12, s11
	s_add_i32 s9, s10, 1
	s_sub_i32 s11, s7, s8
	s_load_dwordx4 s[20:23], s[0:1], 0x78
	s_cmp_ge_u32 s7, s8
	s_cselect_b32 s9, s9, s10
	s_cselect_b32 s7, s11, s7
	s_add_i32 s10, s9, 1
	s_cmp_ge_u32 s7, s8
	s_cselect_b32 s7, s10, s9
	s_load_dword s10, s[0:1], 0x88
	s_waitcnt lgkmcnt(0)
	s_abs_i32 s31, s23
	v_cvt_f32_u32_e32 v1, s31
	s_xor_b32 s7, s7, s6
	s_sub_i32 s51, s7, s6
	s_sub_i32 s6, 0, s31
	v_rcp_iflag_f32_e32 v1, v1
	s_add_i32 s11, s33, -1
	s_abs_i32 s8, s11
	v_mul_f32_e32 v1, 0x4f7ffffe, v1
	v_cvt_u32_f32_e32 v1, v1
	s_barrier
	v_readfirstlane_b32 s48, v1
	s_mul_i32 s6, s6, s48
	s_mul_hi_u32 s6, s48, s6
	s_add_i32 s48, s48, s6
	s_cmp_lt_i32 s10, 0
	s_mul_hi_u32 s9, s8, s48
	s_cbranch_scc0 .LBB334_7
; %bb.6:
	s_mul_i32 s6, s20, s42
	s_add_i32 s6, s51, s6
	s_mul_i32 s6, s6, s10
	s_sub_i32 s42, 1, s6
	s_mov_b64 s[6:7], 0
	s_branch .LBB334_8
.LBB334_7:
	s_mov_b64 s[6:7], -1
                                        ; implicit-def: $sgpr42
.LBB334_8:
	s_load_dwordx2 s[36:37], s[0:1], 0x38
	s_ashr_i32 s11, s11, 31
	s_andn2_b64 vcc, exec, s[6:7]
	s_ashr_i32 s23, s23, 31
	s_cbranch_vccnz .LBB334_10
; %bb.9:
	s_mul_i32 s6, s29, s20
	s_add_i32 s6, s6, s2
	s_mul_i32 s6, s6, s10
	s_add_i32 s42, s6, 1
.LBB334_10:
	s_load_dwordx2 s[40:41], s[0:1], 0x28
	s_load_dword s6, s[0:1], 0x48
	s_load_dwordx4 s[24:27], s[0:1], 0x0
	s_load_dwordx2 s[34:35], s[0:1], 0x10
	s_load_dword s16, s[0:1], 0x98
	s_load_dwordx4 s[12:15], s[0:1], 0x68
	s_mul_i32 s7, s9, s31
	s_waitcnt lgkmcnt(0)
	s_mul_i32 s38, s28, s6
	s_sub_i32 s7, s8, s7
	s_ashr_i32 s39, s38, 31
	s_xor_b32 s6, s11, s23
	s_add_i32 s8, s9, 1
	s_sub_i32 s10, s7, s31
	s_cmp_ge_u32 s7, s31
	s_cselect_b32 s8, s8, s9
	s_cselect_b32 s7, s10, s7
	s_add_i32 s9, s8, 1
	s_cmp_ge_u32 s7, s31
	s_cselect_b32 s7, s9, s8
	s_xor_b32 s7, s7, s6
	s_sub_i32 s50, s7, s6
	s_add_i32 s6, s33, 15
	s_ashr_i32 s7, s6, 31
	s_lshr_b32 s7, s7, 28
	s_add_i32 s6, s6, s7
	s_lshl_b32 s52, s4, 5
	s_ashr_i32 s49, s6, 4
	s_add_i32 s6, s52, 32
	v_lshrrev_b32_e32 v25, 6, v0
	s_min_i32 s20, s6, s49
	v_or_b32_e32 v10, s52, v25
	v_cmp_gt_i32_e64 s[8:9], s20, v10
	v_mov_b32_e32 v23, 0xff7fffff
	s_mul_i32 s51, s51, s18
	v_ashrrev_i32_e32 v11, 31, v10
	v_lshl_add_u32 v1, v25, 4, s5
	v_mbcnt_lo_u32_b32 v20, -1, 0
	s_and_saveexec_b64 s[18:19], s[8:9]
	s_cbranch_execz .LBB334_84
; %bb.11:
	s_load_dwordx2 s[0:1], s[0:1], 0x20
	s_sub_i32 s53, s50, s21
	s_ashr_i32 s6, s51, 31
	v_bfe_u32 v21, v0, 2, 4
	v_mov_b32_e32 v13, 0
	s_waitcnt lgkmcnt(0)
	s_add_u32 s0, s0, s51
	s_addc_u32 s1, s1, s6
	s_abs_i32 s54, s22
	v_cvt_f32_u32_e32 v3, s54
	v_lshlrev_b32_e32 v12, 4, v21
	v_lshl_add_u64 v[14:15], s[0:1], 0, v[12:13]
	s_sub_i32 s0, 0, s54
	v_rcp_iflag_f32_e32 v3, v3
	v_cmp_eq_u32_e32 vcc, 0, v2
	v_lshlrev_b32_e32 v22, 5, v2
	v_lshlrev_b32_e32 v12, 1, v2
	v_mul_f32_e32 v3, 0x4f7ffffe, v3
	v_cvt_u32_f32_e32 v3, v3
	s_mov_b32 s55, s17
	v_cmp_neq_f32_e64 s[6:7], s3, 0
	v_lshl_add_u32 v26, v25, 4, s5
	v_mul_lo_u32 v2, s0, v3
	v_mul_hi_u32 v2, v3, v2
	v_add_u32_e32 v24, v3, v2
	s_lshl_b64 s[0:1], s[38:39], 2
	v_lshlrev_b32_e32 v2, 2, v21
	s_add_u32 s0, s36, s0
	v_lshl_or_b32 v2, v25, 6, v2
	s_addc_u32 s1, s37, s1
	v_add_u32_e32 v27, 0x90, v2
	v_subrev_u32_e32 v2, s33, v21
	v_lshl_add_u64 v[16:17], v[10:11], 2, s[0:1]
	v_add_u32_e32 v28, 1, v2
	s_mov_b64 s[44:45], 0
	v_mov_b32_e32 v29, 0xff7fffff
	s_mov_b32 s56, 0xffff
	s_mov_b32 s57, 0x7f800000
	s_movk_i32 s58, 0x7fff
	v_mbcnt_hi_u32_b32 v30, -1, v20
	v_mov_b32_e32 v23, 0xff7fffff
	v_mov_b32_e32 v31, v10
	s_branch .LBB334_14
.LBB334_12:                             ;   in Loop: Header=BB334_14 Depth=1
	s_or_b64 exec, exec, s[46:47]
.LBB334_13:                             ;   in Loop: Header=BB334_14 Depth=1
	s_or_b64 exec, exec, s[10:11]
	v_add_u32_e32 v31, 2, v31
	v_cmp_le_i32_e64 s[0:1], s20, v31
	v_lshl_add_u64 v[16:17], v[16:17], 0, 8
	v_add_u32_e32 v26, 32, v26
	s_or_b64 s[44:45], s[0:1], s[44:45]
	v_add_u32_e32 v27, 0x80, v27
	s_andn2_b64 exec, exec, s[44:45]
	s_cbranch_execz .LBB334_83
.LBB334_14:                             ; =>This Inner Loop Header: Depth=1
	s_waitcnt lgkmcnt(0)
	v_sub_u32_e32 v3, 0, v26
	v_max_i32_e32 v3, v26, v3
	v_mul_hi_u32 v4, v3, s48
	v_mul_lo_u32 v5, v4, s31
	v_sub_u32_e32 v3, v3, v5
	v_add_u32_e32 v5, 1, v4
	v_cmp_le_u32_e64 s[0:1], s31, v3
	v_ashrrev_i32_e32 v2, 31, v26
	v_xor_b32_e32 v2, s23, v2
	v_cndmask_b32_e64 v4, v4, v5, s[0:1]
	v_subrev_u32_e32 v5, s31, v3
	v_cndmask_b32_e64 v3, v3, v5, s[0:1]
	v_add_u32_e32 v5, 1, v4
	v_cmp_le_u32_e64 s[0:1], s31, v3
	s_nop 1
	v_cndmask_b32_e64 v3, v4, v5, s[0:1]
	v_xor_b32_e32 v3, v3, v2
	v_sub_u32_e32 v2, v3, v2
	v_add_u32_e32 v3, s42, v2
	v_sub_u32_e32 v5, 0, v3
	v_ashrrev_i32_e32 v4, 31, v3
	v_max_i32_e32 v3, v3, v5
	v_mul_hi_u32 v5, v3, v24
	v_mul_lo_u32 v5, v5, s54
	v_sub_u32_e32 v3, v3, v5
	v_subrev_u32_e32 v5, s54, v3
	v_cmp_le_u32_e64 s[0:1], s54, v3
	v_cmp_ge_i32_e64 s[10:11], s53, v2
	s_nop 0
	v_cndmask_b32_e64 v3, v3, v5, s[0:1]
	v_subrev_u32_e32 v5, s54, v3
	v_cmp_le_u32_e64 s[0:1], s54, v3
	s_nop 1
	v_cndmask_b32_e64 v3, v3, v5, s[0:1]
	v_xor_b32_e32 v3, v3, v4
	v_sub_u32_e32 v3, v3, v4
	v_cmp_ne_u32_e64 s[0:1], 0, v3
	s_and_b64 s[0:1], s[0:1], s[10:11]
	s_and_b64 s[46:47], vcc, s[0:1]
	s_and_saveexec_b64 s[10:11], s[46:47]
	s_cbranch_execz .LBB334_16
; %bb.15:                               ;   in Loop: Header=BB334_14 Depth=1
	ds_write_b32 v27, v29
.LBB334_16:                             ;   in Loop: Header=BB334_14 Depth=1
	s_or_b64 exec, exec, s[10:11]
	s_xor_b64 s[0:1], s[0:1], -1
	s_and_saveexec_b64 s[10:11], s[0:1]
	s_cbranch_execz .LBB334_13
; %bb.17:                               ;   in Loop: Header=BB334_14 Depth=1
	global_load_dword v2, v[16:17], off
	s_load_dword s59, s[12:13], 0x0
	s_waitcnt vmcnt(0)
	v_mad_i64_i32 v[2:3], s[0:1], v2, s55, v[14:15]
	v_lshl_add_u64 v[18:19], v[2:3], 0, v[12:13]
	global_load_ushort v33, v[18:19], off
	s_waitcnt vmcnt(0)
	v_and_b32_sdwa v2, s56, v33 dst_sel:DWORD dst_unused:UNUSED_PAD src0_sel:DWORD src1_sel:BYTE_0
	v_cvt_f32_fp8_sdwa v32, v2 src0_sel:BYTE_0
	ds_read_b128 v[6:9], v22
	ds_read_b128 v[2:5], v22 offset:16
	s_waitcnt lgkmcnt(0)
	v_mul_f32_e32 v34, s59, v32
	v_and_b32_e32 v32, 0x7f800000, v34
	v_cmp_ne_u32_e64 s[0:1], s57, v32
                                        ; implicit-def: $vgpr32
	s_and_saveexec_b64 s[46:47], s[0:1]
	s_xor_b64 s[0:1], exec, s[46:47]
; %bb.18:                               ;   in Loop: Header=BB334_14 Depth=1
	v_bfe_u32 v32, v34, 16, 1
	v_add3_u32 v32, v34, v32, s58
                                        ; implicit-def: $vgpr34
; %bb.19:                               ;   in Loop: Header=BB334_14 Depth=1
	s_andn2_saveexec_b64 s[46:47], s[0:1]
; %bb.20:                               ;   in Loop: Header=BB334_14 Depth=1
	v_or_b32_e32 v32, 0x10000, v34
	v_cmp_eq_u32_sdwa s[0:1], v34, v13 src0_sel:WORD_0 src1_sel:DWORD
	s_nop 1
	v_cndmask_b32_e64 v32, v32, v34, s[0:1]
; %bb.21:                               ;   in Loop: Header=BB334_14 Depth=1
	s_or_b64 exec, exec, s[46:47]
	v_lshrrev_b16_e32 v33, 8, v33
	v_cvt_f32_fp8_sdwa v33, v33 src0_sel:BYTE_0
	s_nop 0
	v_mul_f32_e32 v34, s59, v33
	v_and_b32_e32 v33, 0x7f800000, v34
	v_cmp_ne_u32_e64 s[0:1], s57, v33
                                        ; implicit-def: $vgpr33
	s_and_saveexec_b64 s[46:47], s[0:1]
	s_xor_b64 s[0:1], exec, s[46:47]
; %bb.22:                               ;   in Loop: Header=BB334_14 Depth=1
	v_bfe_u32 v33, v34, 16, 1
	v_add3_u32 v33, v34, v33, s58
                                        ; implicit-def: $vgpr34
; %bb.23:                               ;   in Loop: Header=BB334_14 Depth=1
	s_andn2_saveexec_b64 s[46:47], s[0:1]
; %bb.24:                               ;   in Loop: Header=BB334_14 Depth=1
	v_or_b32_e32 v33, 0x10000, v34
	v_cmp_eq_u32_sdwa s[0:1], v34, v13 src0_sel:WORD_0 src1_sel:DWORD
	s_nop 1
	v_cndmask_b32_e64 v33, v33, v34, s[0:1]
; %bb.25:                               ;   in Loop: Header=BB334_14 Depth=1
	s_or_b64 exec, exec, s[46:47]
	global_load_ushort v35, v[18:19], off offset:8
	s_waitcnt vmcnt(0)
	v_and_b32_sdwa v34, s56, v35 dst_sel:DWORD dst_unused:UNUSED_PAD src0_sel:DWORD src1_sel:BYTE_0
	v_cvt_f32_fp8_sdwa v34, v34 src0_sel:BYTE_0
	s_nop 0
	v_mul_f32_e32 v36, s59, v34
	v_and_b32_e32 v34, 0x7f800000, v36
	v_cmp_ne_u32_e64 s[0:1], s57, v34
                                        ; implicit-def: $vgpr34
	s_and_saveexec_b64 s[46:47], s[0:1]
	s_xor_b64 s[0:1], exec, s[46:47]
; %bb.26:                               ;   in Loop: Header=BB334_14 Depth=1
	v_bfe_u32 v34, v36, 16, 1
	v_add3_u32 v34, v36, v34, s58
                                        ; implicit-def: $vgpr36
; %bb.27:                               ;   in Loop: Header=BB334_14 Depth=1
	s_andn2_saveexec_b64 s[46:47], s[0:1]
; %bb.28:                               ;   in Loop: Header=BB334_14 Depth=1
	v_or_b32_e32 v34, 0x10000, v36
	v_cmp_eq_u32_sdwa s[0:1], v36, v13 src0_sel:WORD_0 src1_sel:DWORD
	s_nop 1
	v_cndmask_b32_e64 v34, v34, v36, s[0:1]
; %bb.29:                               ;   in Loop: Header=BB334_14 Depth=1
	s_or_b64 exec, exec, s[46:47]
	v_lshrrev_b16_e32 v35, 8, v35
	v_cvt_f32_fp8_sdwa v35, v35 src0_sel:BYTE_0
	s_nop 0
	v_mul_f32_e32 v36, s59, v35
	v_and_b32_e32 v35, 0x7f800000, v36
	v_cmp_ne_u32_e64 s[0:1], s57, v35
                                        ; implicit-def: $vgpr35
	s_and_saveexec_b64 s[46:47], s[0:1]
	s_xor_b64 s[0:1], exec, s[46:47]
; %bb.30:                               ;   in Loop: Header=BB334_14 Depth=1
	v_bfe_u32 v35, v36, 16, 1
	v_add3_u32 v35, v36, v35, s58
                                        ; implicit-def: $vgpr36
; %bb.31:                               ;   in Loop: Header=BB334_14 Depth=1
	s_andn2_saveexec_b64 s[46:47], s[0:1]
; %bb.32:                               ;   in Loop: Header=BB334_14 Depth=1
	v_or_b32_e32 v35, 0x10000, v36
	v_cmp_eq_u32_sdwa s[0:1], v36, v13 src0_sel:WORD_0 src1_sel:DWORD
	s_nop 1
	v_cndmask_b32_e64 v35, v35, v36, s[0:1]
; %bb.33:                               ;   in Loop: Header=BB334_14 Depth=1
	s_or_b64 exec, exec, s[46:47]
	global_load_ushort v37, v[18:19], off offset:256
	s_waitcnt vmcnt(0)
	v_and_b32_sdwa v36, s56, v37 dst_sel:DWORD dst_unused:UNUSED_PAD src0_sel:DWORD src1_sel:BYTE_0
	v_cvt_f32_fp8_sdwa v36, v36 src0_sel:BYTE_0
	s_nop 0
	v_mul_f32_e32 v38, s59, v36
	v_and_b32_e32 v36, 0x7f800000, v38
	v_cmp_ne_u32_e64 s[0:1], s57, v36
                                        ; implicit-def: $vgpr36
	s_and_saveexec_b64 s[46:47], s[0:1]
	s_xor_b64 s[0:1], exec, s[46:47]
; %bb.34:                               ;   in Loop: Header=BB334_14 Depth=1
	v_bfe_u32 v36, v38, 16, 1
	v_add3_u32 v36, v38, v36, s58
                                        ; implicit-def: $vgpr38
; %bb.35:                               ;   in Loop: Header=BB334_14 Depth=1
	s_andn2_saveexec_b64 s[46:47], s[0:1]
; %bb.36:                               ;   in Loop: Header=BB334_14 Depth=1
	v_or_b32_e32 v36, 0x10000, v38
	v_cmp_eq_u32_sdwa s[0:1], v38, v13 src0_sel:WORD_0 src1_sel:DWORD
	s_nop 1
	v_cndmask_b32_e64 v36, v36, v38, s[0:1]
; %bb.37:                               ;   in Loop: Header=BB334_14 Depth=1
	s_or_b64 exec, exec, s[46:47]
	v_lshrrev_b16_e32 v37, 8, v37
	v_cvt_f32_fp8_sdwa v37, v37 src0_sel:BYTE_0
	s_nop 0
	v_mul_f32_e32 v38, s59, v37
	v_and_b32_e32 v37, 0x7f800000, v38
	v_cmp_ne_u32_e64 s[0:1], s57, v37
                                        ; implicit-def: $vgpr37
	s_and_saveexec_b64 s[46:47], s[0:1]
	s_xor_b64 s[0:1], exec, s[46:47]
; %bb.38:                               ;   in Loop: Header=BB334_14 Depth=1
	v_bfe_u32 v37, v38, 16, 1
	v_add3_u32 v37, v38, v37, s58
                                        ; implicit-def: $vgpr38
; %bb.39:                               ;   in Loop: Header=BB334_14 Depth=1
	s_andn2_saveexec_b64 s[46:47], s[0:1]
; %bb.40:                               ;   in Loop: Header=BB334_14 Depth=1
	v_or_b32_e32 v37, 0x10000, v38
	v_cmp_eq_u32_sdwa s[0:1], v38, v13 src0_sel:WORD_0 src1_sel:DWORD
	s_nop 1
	v_cndmask_b32_e64 v37, v37, v38, s[0:1]
; %bb.41:                               ;   in Loop: Header=BB334_14 Depth=1
	s_or_b64 exec, exec, s[46:47]
	global_load_ushort v39, v[18:19], off offset:264
	s_waitcnt vmcnt(0)
	v_and_b32_sdwa v38, s56, v39 dst_sel:DWORD dst_unused:UNUSED_PAD src0_sel:DWORD src1_sel:BYTE_0
	v_cvt_f32_fp8_sdwa v38, v38 src0_sel:BYTE_0
	s_nop 0
	v_mul_f32_e32 v40, s59, v38
	v_and_b32_e32 v38, 0x7f800000, v40
	v_cmp_ne_u32_e64 s[0:1], s57, v38
                                        ; implicit-def: $vgpr38
	s_and_saveexec_b64 s[46:47], s[0:1]
	s_xor_b64 s[0:1], exec, s[46:47]
; %bb.42:                               ;   in Loop: Header=BB334_14 Depth=1
	v_bfe_u32 v38, v40, 16, 1
	v_add3_u32 v38, v40, v38, s58
                                        ; implicit-def: $vgpr40
; %bb.43:                               ;   in Loop: Header=BB334_14 Depth=1
	s_andn2_saveexec_b64 s[46:47], s[0:1]
; %bb.44:                               ;   in Loop: Header=BB334_14 Depth=1
	v_or_b32_e32 v38, 0x10000, v40
	v_cmp_eq_u32_sdwa s[0:1], v40, v13 src0_sel:WORD_0 src1_sel:DWORD
	s_nop 1
	v_cndmask_b32_e64 v38, v38, v40, s[0:1]
; %bb.45:                               ;   in Loop: Header=BB334_14 Depth=1
	s_or_b64 exec, exec, s[46:47]
	v_lshrrev_b16_e32 v39, 8, v39
	v_cvt_f32_fp8_sdwa v39, v39 src0_sel:BYTE_0
	s_nop 0
	v_mul_f32_e32 v40, s59, v39
	v_and_b32_e32 v39, 0x7f800000, v40
	v_cmp_ne_u32_e64 s[0:1], s57, v39
                                        ; implicit-def: $vgpr39
	s_and_saveexec_b64 s[46:47], s[0:1]
	s_xor_b64 s[0:1], exec, s[46:47]
; %bb.46:                               ;   in Loop: Header=BB334_14 Depth=1
	v_bfe_u32 v39, v40, 16, 1
	v_add3_u32 v39, v40, v39, s58
                                        ; implicit-def: $vgpr40
; %bb.47:                               ;   in Loop: Header=BB334_14 Depth=1
	s_andn2_saveexec_b64 s[46:47], s[0:1]
; %bb.48:                               ;   in Loop: Header=BB334_14 Depth=1
	v_or_b32_e32 v39, 0x10000, v40
	v_cmp_eq_u32_sdwa s[0:1], v40, v13 src0_sel:WORD_0 src1_sel:DWORD
	s_nop 1
	v_cndmask_b32_e64 v39, v39, v40, s[0:1]
; %bb.49:                               ;   in Loop: Header=BB334_14 Depth=1
	s_or_b64 exec, exec, s[46:47]
	global_load_ushort v41, v[18:19], off offset:512
	s_waitcnt vmcnt(0)
	v_and_b32_sdwa v40, s56, v41 dst_sel:DWORD dst_unused:UNUSED_PAD src0_sel:DWORD src1_sel:BYTE_0
	v_cvt_f32_fp8_sdwa v40, v40 src0_sel:BYTE_0
	s_nop 0
	v_mul_f32_e32 v42, s59, v40
	v_and_b32_e32 v40, 0x7f800000, v42
	v_cmp_ne_u32_e64 s[0:1], s57, v40
                                        ; implicit-def: $vgpr40
	s_and_saveexec_b64 s[46:47], s[0:1]
	s_xor_b64 s[0:1], exec, s[46:47]
; %bb.50:                               ;   in Loop: Header=BB334_14 Depth=1
	v_bfe_u32 v40, v42, 16, 1
	v_add3_u32 v40, v42, v40, s58
                                        ; implicit-def: $vgpr42
; %bb.51:                               ;   in Loop: Header=BB334_14 Depth=1
	s_andn2_saveexec_b64 s[46:47], s[0:1]
; %bb.52:                               ;   in Loop: Header=BB334_14 Depth=1
	v_or_b32_e32 v40, 0x10000, v42
	v_cmp_eq_u32_sdwa s[0:1], v42, v13 src0_sel:WORD_0 src1_sel:DWORD
	s_nop 1
	v_cndmask_b32_e64 v40, v40, v42, s[0:1]
; %bb.53:                               ;   in Loop: Header=BB334_14 Depth=1
	s_or_b64 exec, exec, s[46:47]
	v_lshrrev_b16_e32 v41, 8, v41
	v_cvt_f32_fp8_sdwa v41, v41 src0_sel:BYTE_0
	s_nop 0
	v_mul_f32_e32 v42, s59, v41
	v_and_b32_e32 v41, 0x7f800000, v42
	v_cmp_ne_u32_e64 s[0:1], s57, v41
                                        ; implicit-def: $vgpr41
	s_and_saveexec_b64 s[46:47], s[0:1]
	s_xor_b64 s[0:1], exec, s[46:47]
; %bb.54:                               ;   in Loop: Header=BB334_14 Depth=1
	v_bfe_u32 v41, v42, 16, 1
	v_add3_u32 v41, v42, v41, s58
                                        ; implicit-def: $vgpr42
; %bb.55:                               ;   in Loop: Header=BB334_14 Depth=1
	s_andn2_saveexec_b64 s[46:47], s[0:1]
; %bb.56:                               ;   in Loop: Header=BB334_14 Depth=1
	v_or_b32_e32 v41, 0x10000, v42
	v_cmp_eq_u32_sdwa s[0:1], v42, v13 src0_sel:WORD_0 src1_sel:DWORD
	s_nop 1
	v_cndmask_b32_e64 v41, v41, v42, s[0:1]
; %bb.57:                               ;   in Loop: Header=BB334_14 Depth=1
	s_or_b64 exec, exec, s[46:47]
	global_load_ushort v43, v[18:19], off offset:520
	s_waitcnt vmcnt(0)
	v_and_b32_sdwa v42, s56, v43 dst_sel:DWORD dst_unused:UNUSED_PAD src0_sel:DWORD src1_sel:BYTE_0
	v_cvt_f32_fp8_sdwa v42, v42 src0_sel:BYTE_0
	s_nop 0
	v_mul_f32_e32 v44, s59, v42
	v_and_b32_e32 v42, 0x7f800000, v44
	v_cmp_ne_u32_e64 s[0:1], s57, v42
                                        ; implicit-def: $vgpr42
	s_and_saveexec_b64 s[46:47], s[0:1]
	s_xor_b64 s[0:1], exec, s[46:47]
; %bb.58:                               ;   in Loop: Header=BB334_14 Depth=1
	v_bfe_u32 v42, v44, 16, 1
	v_add3_u32 v42, v44, v42, s58
                                        ; implicit-def: $vgpr44
; %bb.59:                               ;   in Loop: Header=BB334_14 Depth=1
	s_andn2_saveexec_b64 s[46:47], s[0:1]
; %bb.60:                               ;   in Loop: Header=BB334_14 Depth=1
	v_or_b32_e32 v42, 0x10000, v44
	v_cmp_eq_u32_sdwa s[0:1], v44, v13 src0_sel:WORD_0 src1_sel:DWORD
	s_nop 1
	v_cndmask_b32_e64 v42, v42, v44, s[0:1]
; %bb.61:                               ;   in Loop: Header=BB334_14 Depth=1
	s_or_b64 exec, exec, s[46:47]
	v_lshrrev_b16_e32 v43, 8, v43
	v_cvt_f32_fp8_sdwa v43, v43 src0_sel:BYTE_0
	s_nop 0
	v_mul_f32_e32 v44, s59, v43
	v_and_b32_e32 v43, 0x7f800000, v44
	v_cmp_ne_u32_e64 s[0:1], s57, v43
                                        ; implicit-def: $vgpr43
	s_and_saveexec_b64 s[46:47], s[0:1]
	s_xor_b64 s[0:1], exec, s[46:47]
; %bb.62:                               ;   in Loop: Header=BB334_14 Depth=1
	v_bfe_u32 v43, v44, 16, 1
	v_add3_u32 v43, v44, v43, s58
                                        ; implicit-def: $vgpr44
; %bb.63:                               ;   in Loop: Header=BB334_14 Depth=1
	s_andn2_saveexec_b64 s[46:47], s[0:1]
; %bb.64:                               ;   in Loop: Header=BB334_14 Depth=1
	v_or_b32_e32 v43, 0x10000, v44
	v_cmp_eq_u32_sdwa s[0:1], v44, v13 src0_sel:WORD_0 src1_sel:DWORD
	s_nop 1
	v_cndmask_b32_e64 v43, v43, v44, s[0:1]
; %bb.65:                               ;   in Loop: Header=BB334_14 Depth=1
	s_or_b64 exec, exec, s[46:47]
	global_load_ushort v45, v[18:19], off offset:768
	s_waitcnt vmcnt(0)
	v_and_b32_sdwa v44, s56, v45 dst_sel:DWORD dst_unused:UNUSED_PAD src0_sel:DWORD src1_sel:BYTE_0
	v_cvt_f32_fp8_sdwa v44, v44 src0_sel:BYTE_0
	s_nop 0
	v_mul_f32_e32 v46, s59, v44
	v_and_b32_e32 v44, 0x7f800000, v46
	v_cmp_ne_u32_e64 s[0:1], s57, v44
                                        ; implicit-def: $vgpr44
	s_and_saveexec_b64 s[46:47], s[0:1]
	s_xor_b64 s[0:1], exec, s[46:47]
; %bb.66:                               ;   in Loop: Header=BB334_14 Depth=1
	v_bfe_u32 v44, v46, 16, 1
	v_add3_u32 v44, v46, v44, s58
                                        ; implicit-def: $vgpr46
; %bb.67:                               ;   in Loop: Header=BB334_14 Depth=1
	s_andn2_saveexec_b64 s[46:47], s[0:1]
; %bb.68:                               ;   in Loop: Header=BB334_14 Depth=1
	v_or_b32_e32 v44, 0x10000, v46
	v_cmp_eq_u32_sdwa s[0:1], v46, v13 src0_sel:WORD_0 src1_sel:DWORD
	s_nop 1
	v_cndmask_b32_e64 v44, v44, v46, s[0:1]
; %bb.69:                               ;   in Loop: Header=BB334_14 Depth=1
	s_or_b64 exec, exec, s[46:47]
	v_lshrrev_b16_e32 v45, 8, v45
	v_cvt_f32_fp8_sdwa v45, v45 src0_sel:BYTE_0
	s_nop 0
	v_mul_f32_e32 v46, s59, v45
	v_and_b32_e32 v45, 0x7f800000, v46
	v_cmp_ne_u32_e64 s[0:1], s57, v45
                                        ; implicit-def: $vgpr45
	s_and_saveexec_b64 s[46:47], s[0:1]
	s_xor_b64 s[0:1], exec, s[46:47]
; %bb.70:                               ;   in Loop: Header=BB334_14 Depth=1
	v_bfe_u32 v45, v46, 16, 1
	v_add3_u32 v45, v46, v45, s58
                                        ; implicit-def: $vgpr46
; %bb.71:                               ;   in Loop: Header=BB334_14 Depth=1
	s_andn2_saveexec_b64 s[46:47], s[0:1]
; %bb.72:                               ;   in Loop: Header=BB334_14 Depth=1
	v_or_b32_e32 v45, 0x10000, v46
	v_cmp_eq_u32_sdwa s[0:1], v46, v13 src0_sel:WORD_0 src1_sel:DWORD
	s_nop 1
	v_cndmask_b32_e64 v45, v45, v46, s[0:1]
; %bb.73:                               ;   in Loop: Header=BB334_14 Depth=1
	s_or_b64 exec, exec, s[46:47]
	global_load_ushort v19, v[18:19], off offset:776
	s_waitcnt vmcnt(0)
	v_and_b32_sdwa v18, s56, v19 dst_sel:DWORD dst_unused:UNUSED_PAD src0_sel:DWORD src1_sel:BYTE_0
	v_cvt_f32_fp8_sdwa v18, v18 src0_sel:BYTE_0
	s_nop 0
	v_mul_f32_e32 v46, s59, v18
	v_and_b32_e32 v18, 0x7f800000, v46
	v_cmp_ne_u32_e64 s[0:1], s57, v18
                                        ; implicit-def: $vgpr18
	s_and_saveexec_b64 s[46:47], s[0:1]
	s_xor_b64 s[0:1], exec, s[46:47]
; %bb.74:                               ;   in Loop: Header=BB334_14 Depth=1
	v_bfe_u32 v18, v46, 16, 1
	v_add3_u32 v18, v46, v18, s58
                                        ; implicit-def: $vgpr46
; %bb.75:                               ;   in Loop: Header=BB334_14 Depth=1
	s_andn2_saveexec_b64 s[46:47], s[0:1]
; %bb.76:                               ;   in Loop: Header=BB334_14 Depth=1
	v_or_b32_e32 v18, 0x10000, v46
	v_cmp_eq_u32_sdwa s[0:1], v46, v13 src0_sel:WORD_0 src1_sel:DWORD
	s_nop 1
	v_cndmask_b32_e64 v18, v18, v46, s[0:1]
; %bb.77:                               ;   in Loop: Header=BB334_14 Depth=1
	s_or_b64 exec, exec, s[46:47]
	v_lshrrev_b16_e32 v19, 8, v19
	v_cvt_f32_fp8_sdwa v19, v19 src0_sel:BYTE_0
	s_nop 0
	v_mul_f32_e32 v46, s59, v19
	v_and_b32_e32 v19, 0x7f800000, v46
	v_cmp_ne_u32_e64 s[0:1], s57, v19
                                        ; implicit-def: $vgpr19
	s_and_saveexec_b64 s[46:47], s[0:1]
	s_xor_b64 s[0:1], exec, s[46:47]
; %bb.78:                               ;   in Loop: Header=BB334_14 Depth=1
	v_bfe_u32 v19, v46, 16, 1
	v_add3_u32 v19, v46, v19, s58
                                        ; implicit-def: $vgpr46
; %bb.79:                               ;   in Loop: Header=BB334_14 Depth=1
	s_andn2_saveexec_b64 s[46:47], s[0:1]
; %bb.80:                               ;   in Loop: Header=BB334_14 Depth=1
	v_or_b32_e32 v19, 0x10000, v46
	v_cmp_eq_u32_sdwa s[0:1], v46, v13 src0_sel:WORD_0 src1_sel:DWORD
	s_nop 1
	v_cndmask_b32_e64 v19, v19, v46, s[0:1]
; %bb.81:                               ;   in Loop: Header=BB334_14 Depth=1
	s_or_b64 exec, exec, s[46:47]
	v_and_b32_e32 v35, 0xffff0000, v35
	v_and_b32_e32 v34, 0xffff0000, v34
	v_lshlrev_b32_e32 v47, 16, v7
	v_and_b32_e32 v7, 0xffff0000, v7
	v_and_b32_e32 v33, 0xffff0000, v33
	;; [unrolled: 1-line block ×3, first 2 shown]
	v_lshlrev_b32_e32 v46, 16, v6
	v_and_b32_e32 v6, 0xffff0000, v6
	v_mul_f32_e32 v34, v47, v34
	v_mul_f32_e32 v7, v7, v35
	v_and_b32_e32 v37, 0xffff0000, v37
	v_and_b32_e32 v36, 0xffff0000, v36
	v_lshlrev_b32_e32 v48, 16, v8
	v_and_b32_e32 v8, 0xffff0000, v8
	v_fmac_f32_e32 v34, v46, v32
	v_fmac_f32_e32 v7, v6, v33
	v_and_b32_e32 v39, 0xffff0000, v39
	v_and_b32_e32 v38, 0xffff0000, v38
	v_lshlrev_b32_e32 v49, 16, v9
	v_and_b32_e32 v9, 0xffff0000, v9
	v_fmac_f32_e32 v34, v48, v36
	v_fmac_f32_e32 v7, v8, v37
	;; [unrolled: 6-line block ×3, first 2 shown]
	v_and_b32_e32 v43, 0xffff0000, v43
	v_and_b32_e32 v42, 0xffff0000, v42
	v_lshlrev_b32_e32 v51, 16, v3
	v_and_b32_e32 v54, 64, v30
	v_and_b32_e32 v3, 0xffff0000, v3
	v_fmac_f32_e32 v34, v50, v40
	v_fmac_f32_e32 v7, v2, v41
	v_and_b32_e32 v45, 0xffff0000, v45
	v_and_b32_e32 v44, 0xffff0000, v44
	v_lshlrev_b32_e32 v52, 16, v4
	v_add_u32_e32 v54, 64, v54
	v_xor_b32_e32 v55, 2, v30
	v_and_b32_e32 v4, 0xffff0000, v4
	v_fmac_f32_e32 v34, v51, v42
	v_fmac_f32_e32 v7, v3, v43
	v_and_b32_e32 v18, 0xffff0000, v18
	v_lshlrev_b32_e32 v53, 16, v5
	v_cmp_lt_i32_e64 s[0:1], v55, v54
	v_and_b32_e32 v19, 0xffff0000, v19
	v_and_b32_e32 v5, 0xffff0000, v5
	v_fmac_f32_e32 v34, v52, v44
	v_fmac_f32_e32 v7, v4, v45
	v_cndmask_b32_e64 v55, v30, v55, s[0:1]
	v_fmac_f32_e32 v34, v53, v18
	v_fmac_f32_e32 v7, v5, v19
	v_lshlrev_b32_e32 v55, 2, v55
	v_add_f32_e32 v2, v34, v7
	ds_bpermute_b32 v3, v55, v2
	v_xor_b32_e32 v4, 1, v30
	v_cmp_lt_i32_e64 s[0:1], v4, v54
	s_waitcnt lgkmcnt(0)
	v_add_f32_e32 v2, v2, v3
	v_cndmask_b32_e64 v4, v30, v4, s[0:1]
	v_lshlrev_b32_e32 v4, 2, v4
	ds_bpermute_b32 v3, v4, v2
	s_and_saveexec_b64 s[46:47], vcc
	s_cbranch_execz .LBB334_12
; %bb.82:                               ;   in Loop: Header=BB334_14 Depth=1
	v_add_u32_e32 v4, v28, v26
	v_cvt_f32_i32_e32 v4, v4
	s_waitcnt lgkmcnt(0)
	v_add_f32_e32 v2, v2, v3
	v_add_u32_e32 v5, v21, v26
	v_cmp_gt_i32_e64 s[0:1], s33, v5
	v_mul_f32_e32 v3, s3, v4
	v_cndmask_b32_e64 v3, 0, v3, s[6:7]
	v_fmac_f32_e32 v3, s43, v2
	v_cndmask_b32_e64 v2, 0, v3, s[0:1]
	ds_write_b32 v27, v2
	v_max_f32_e32 v2, v23, v23
	v_max_f32_e32 v2, v2, v3
	v_cndmask_b32_e64 v23, v23, v2, s[0:1]
	s_branch .LBB334_12
.LBB334_83:
	s_or_b64 exec, exec, s[44:45]
.LBB334_84:
	s_or_b64 exec, exec, s[18:19]
	v_mbcnt_hi_u32_b32 v2, -1, v20
	s_waitcnt lgkmcnt(0)
	v_and_b32_e32 v3, 64, v2
	v_add_u32_e32 v3, 64, v3
	v_xor_b32_e32 v4, 32, v2
	v_cmp_lt_i32_e32 vcc, v4, v3
	v_xor_b32_e32 v7, 16, v2
	v_max_f32_e32 v6, v23, v23
	v_cndmask_b32_e32 v4, v2, v4, vcc
	v_lshlrev_b32_e32 v5, 2, v4
	ds_bpermute_b32 v4, v5, v23
	v_cmp_lt_i32_e32 vcc, v7, v3
	v_xor_b32_e32 v8, 8, v2
	v_and_b32_e32 v20, 63, v0
	s_waitcnt lgkmcnt(0)
	v_max_f32_e32 v4, v4, v4
	v_max_f32_e32 v4, v6, v4
	v_cndmask_b32_e32 v6, v2, v7, vcc
	v_lshlrev_b32_e32 v6, 2, v6
	ds_bpermute_b32 v7, v6, v4
	v_cmp_lt_i32_e32 vcc, v8, v3
	s_waitcnt lgkmcnt(0)
	v_max_f32_e32 v7, v7, v7
	v_max_f32_e32 v4, v4, v7
	v_cndmask_b32_e32 v7, v2, v8, vcc
	v_lshlrev_b32_e32 v9, 2, v7
	ds_bpermute_b32 v7, v9, v4
	v_xor_b32_e32 v8, 4, v2
	v_cmp_lt_i32_e32 vcc, v8, v3
	s_waitcnt lgkmcnt(0)
	v_max_f32_e32 v7, v7, v7
	v_max_f32_e32 v4, v4, v7
	v_cndmask_b32_e32 v7, v2, v8, vcc
	v_lshlrev_b32_e32 v12, 2, v7
	ds_bpermute_b32 v8, v12, v4
	v_cmp_eq_u32_e32 vcc, 0, v20
	v_lshlrev_b32_e32 v7, 2, v25
	s_and_saveexec_b64 s[0:1], vcc
	s_cbranch_execz .LBB334_86
; %bb.85:
	s_waitcnt lgkmcnt(0)
	v_max_f32_e32 v8, v8, v8
	v_max_f32_e32 v4, v4, v4
	v_max_f32_e32 v4, v4, v8
	ds_write_b32 v7, v4 offset:128
.LBB334_86:
	s_or_b64 exec, exec, s[0:1]
	v_cmp_gt_u32_e64 s[0:1], 2, v20
	v_mov_b32_e32 v4, 0xff7fffff
	s_waitcnt lgkmcnt(0)
	v_lshlrev_b32_e32 v8, 2, v20
	s_barrier
	s_and_saveexec_b64 s[6:7], s[0:1]
	s_cbranch_execz .LBB334_88
; %bb.87:
	ds_read_b32 v4, v8 offset:128
.LBB334_88:
	s_or_b64 exec, exec, s[6:7]
	v_xor_b32_e32 v13, 1, v2
	v_cmp_lt_i32_e64 s[6:7], v13, v3
	s_sub_i32 s3, s20, s52
	s_lshl_b32 s3, s3, 4
	v_cndmask_b32_e64 v13, v2, v13, s[6:7]
	v_lshlrev_b32_e32 v21, 2, v13
	s_waitcnt lgkmcnt(0)
	ds_bpermute_b32 v13, v21, v4
	v_max_f32_e32 v4, v4, v4
	s_add_i32 s3, s3, s5
	s_min_i32 s43, s3, s33
	s_sub_i32 s3, s43, s5
	s_waitcnt lgkmcnt(0)
	v_max_f32_e32 v13, v13, v13
	v_max_f32_e32 v4, v4, v13
	v_lshlrev_b32_e32 v13, 2, v2
	v_and_b32_e32 v13, 0x100, v13
	ds_bpermute_b32 v4, v13, v4
	v_cmp_gt_i32_e64 s[6:7], s3, v0
	v_mov_b32_e32 v14, 0
	s_and_saveexec_b64 s[12:13], s[6:7]
	s_cbranch_execz .LBB334_92
; %bb.89:
	v_mov_b32_e32 v14, 0x90
	v_lshl_add_u32 v15, v0, 2, v14
	s_mov_b64 s[18:19], 0
	v_mov_b32_e32 v14, 0
	v_mov_b32_e32 v16, v0
.LBB334_90:                             ; =>This Inner Loop Header: Depth=1
	ds_read_b32 v17, v15
	v_add_u32_e32 v16, 0x80, v16
	v_cmp_le_i32_e64 s[10:11], s3, v16
	s_or_b64 s[18:19], s[10:11], s[18:19]
	s_waitcnt lgkmcnt(0)
	v_sub_f32_e32 v17, v17, v4
	v_mul_f32_e32 v17, 0x3fb8aa3b, v17
	v_exp_f32_e32 v17, v17
	ds_write_b32 v15, v17
	v_add_f32_e32 v14, v14, v17
	v_add_u32_e32 v15, 0x200, v15
	s_andn2_b64 exec, exec, s[18:19]
	s_cbranch_execnz .LBB334_90
; %bb.91:
	s_or_b64 exec, exec, s[18:19]
.LBB334_92:
	s_or_b64 exec, exec, s[12:13]
	ds_bpermute_b32 v5, v5, v14
	s_waitcnt lgkmcnt(0)
	v_add_f32_e32 v5, v14, v5
	ds_bpermute_b32 v6, v6, v5
	s_waitcnt lgkmcnt(0)
	v_add_f32_e32 v5, v5, v6
	ds_bpermute_b32 v6, v9, v5
	v_xor_b32_e32 v9, 2, v2
	v_cmp_lt_i32_e64 s[10:11], v9, v3
	s_waitcnt lgkmcnt(0)
	v_add_f32_e32 v5, v5, v6
	ds_bpermute_b32 v6, v12, v5
	v_cndmask_b32_e64 v2, v2, v9, s[10:11]
	v_lshlrev_b32_e32 v2, 2, v2
	s_waitcnt lgkmcnt(0)
	v_add_f32_e32 v3, v5, v6
	ds_bpermute_b32 v2, v2, v3
	s_waitcnt lgkmcnt(0)
	v_add_f32_e32 v2, v3, v2
	ds_bpermute_b32 v3, v21, v2
	s_waitcnt lgkmcnt(0)
	v_add_f32_e32 v2, v2, v3
	s_and_saveexec_b64 s[10:11], vcc
	s_cbranch_execz .LBB334_94
; %bb.93:
	ds_write_b32 v7, v2 offset:136
.LBB334_94:
	s_or_b64 exec, exec, s[10:11]
	s_waitcnt lgkmcnt(0)
	s_barrier
	s_and_saveexec_b64 s[10:11], s[0:1]
	s_cbranch_execz .LBB334_96
; %bb.95:
	ds_read_b32 v2, v8 offset:136
.LBB334_96:
	s_or_b64 exec, exec, s[10:11]
	s_waitcnt lgkmcnt(0)
	ds_bpermute_b32 v3, v21, v2
	s_waitcnt lgkmcnt(0)
	v_add_f32_e32 v2, v2, v3
	ds_bpermute_b32 v5, v13, v2
	s_and_saveexec_b64 s[0:1], s[6:7]
	s_cbranch_execz .LBB334_109
; %bb.97:
	s_waitcnt lgkmcnt(0)
	v_add_f32_e32 v2, 0x358637bd, v5
	v_div_scale_f32 v3, s[6:7], v2, v2, 1.0
	v_rcp_f32_e32 v6, v3
	v_div_scale_f32 v7, vcc, 1.0, v2, 1.0
	s_mov_b64 s[10:11], -1
	v_fma_f32 v8, -v3, v6, 1.0
	v_fmac_f32_e32 v6, v8, v6
	v_mul_f32_e32 v8, v7, v6
	v_fma_f32 v9, -v3, v8, v7
	v_fmac_f32_e32 v8, v9, v6
	v_fma_f32 v3, -v3, v8, v7
	v_div_fmas_f32 v3, v3, v6, v8
	v_div_fixup_f32 v2, v3, v2, 1.0
	v_xad_u32 v3, v0, -1, s43
	v_subrev_u32_e32 v6, s5, v3
	s_movk_i32 s5, 0x7f
	v_cmp_lt_u32_e32 vcc, s5, v6
	v_mov_b32_e32 v3, v0
	s_and_saveexec_b64 s[6:7], vcc
	s_cbranch_execz .LBB334_106
; %bb.98:
	v_lshrrev_b32_e32 v6, 7, v6
	v_add_u32_e32 v8, -1, v6
	v_lshrrev_b32_e32 v7, 1, v8
	v_mov_b32_e32 v3, v2
	v_add_u32_e32 v7, 1, v7
	v_cmp_lt_u32_e32 vcc, 13, v8
	v_mov_b32_e32 v12, 0
	s_and_saveexec_b64 s[10:11], vcc
	s_cbranch_execz .LBB334_102
; %bb.99:
	v_mov_b32_e32 v9, 0x90
	v_and_b32_e32 v8, -8, v7
	v_lshl_add_u32 v9, v0, 2, v9
	s_mov_b32 s5, 0
	s_mov_b64 s[12:13], 0
.LBB334_100:                            ; =>This Inner Loop Header: Depth=1
	ds_read2st64_b32 v[12:13], v9 offset1:2
	ds_read2st64_b32 v[14:15], v9 offset0:4 offset1:6
	ds_read2st64_b32 v[16:17], v9 offset0:8 offset1:10
	;; [unrolled: 1-line block ×3, first 2 shown]
	v_add_u32_e32 v8, -8, v8
	s_waitcnt lgkmcnt(3)
	v_pk_mul_f32 v[12:13], v[2:3], v[12:13]
	s_waitcnt lgkmcnt(2)
	v_pk_mul_f32 v[14:15], v[2:3], v[14:15]
	ds_write2st64_b32 v9, v12, v13 offset1:2
	ds_write2st64_b32 v9, v14, v15 offset0:4 offset1:6
	ds_read2st64_b32 v[14:15], v9 offset0:16 offset1:18
	s_waitcnt lgkmcnt(4)
	v_pk_mul_f32 v[12:13], v[2:3], v[16:17]
	ds_write2st64_b32 v9, v12, v13 offset0:8 offset1:10
	s_waitcnt lgkmcnt(4)
	v_pk_mul_f32 v[12:13], v[2:3], v[18:19]
	ds_write2st64_b32 v9, v12, v13 offset0:12 offset1:14
	ds_read2st64_b32 v[12:13], v9 offset0:20 offset1:22
	s_waitcnt lgkmcnt(3)
	v_pk_mul_f32 v[14:15], v[2:3], v[14:15]
	ds_read2st64_b32 v[16:17], v9 offset0:24 offset1:26
	ds_write2st64_b32 v9, v14, v15 offset0:16 offset1:18
	ds_read2st64_b32 v[14:15], v9 offset0:28 offset1:30
	s_waitcnt lgkmcnt(3)
	v_pk_mul_f32 v[12:13], v[2:3], v[12:13]
	ds_write2st64_b32 v9, v12, v13 offset0:20 offset1:22
	s_waitcnt lgkmcnt(3)
	v_pk_mul_f32 v[12:13], v[2:3], v[16:17]
	ds_write2st64_b32 v9, v12, v13 offset0:24 offset1:26
	s_waitcnt lgkmcnt(2)
	v_pk_mul_f32 v[12:13], v[2:3], v[14:15]
	s_add_i32 s5, s5, 16
	v_cmp_eq_u32_e32 vcc, 0, v8
	ds_write2st64_b32 v9, v12, v13 offset0:28 offset1:30
	v_add_u32_e32 v9, 0x2000, v9
	s_or_b64 s[12:13], vcc, s[12:13]
	v_mov_b32_e32 v12, s5
	s_andn2_b64 exec, exec, s[12:13]
	s_cbranch_execnz .LBB334_100
; %bb.101:
	s_or_b64 exec, exec, s[12:13]
.LBB334_102:
	s_or_b64 exec, exec, s[10:11]
	v_and_b32_e32 v7, 7, v7
	v_cmp_ne_u32_e32 vcc, 0, v7
	s_and_saveexec_b64 s[10:11], vcc
	s_cbranch_execz .LBB334_105
; %bb.103:
	v_lshlrev_b32_e32 v8, 9, v12
	v_lshlrev_b32_e32 v9, 2, v0
	s_movk_i32 s5, 0x90
	v_add3_u32 v8, v8, v9, s5
	s_mov_b64 s[12:13], 0
.LBB334_104:                            ; =>This Inner Loop Header: Depth=1
	ds_read2st64_b32 v[12:13], v8 offset1:2
	v_add_u32_e32 v7, -1, v7
	v_cmp_eq_u32_e32 vcc, 0, v7
	s_or_b64 s[12:13], vcc, s[12:13]
	s_waitcnt lgkmcnt(0)
	v_pk_mul_f32 v[12:13], v[2:3], v[12:13]
	ds_write2st64_b32 v8, v12, v13 offset1:2
	v_add_u32_e32 v8, 0x400, v8
	s_andn2_b64 exec, exec, s[12:13]
	s_cbranch_execnz .LBB334_104
.LBB334_105:
	s_or_b64 exec, exec, s[10:11]
	v_add_u32_e32 v6, 1, v6
	v_and_b32_e32 v7, 0x3fffffe, v6
	v_cmp_ne_u32_e32 vcc, v6, v7
	v_lshl_add_u32 v3, v7, 7, v0
	s_orn2_b64 s[10:11], vcc, exec
.LBB334_106:
	s_or_b64 exec, exec, s[6:7]
	s_and_b64 exec, exec, s[10:11]
	s_cbranch_execz .LBB334_109
; %bb.107:
	v_mov_b32_e32 v6, 0x90
	v_lshl_add_u32 v6, v3, 2, v6
	s_mov_b64 s[6:7], 0
.LBB334_108:                            ; =>This Inner Loop Header: Depth=1
	ds_read_b32 v7, v6
	v_add_u32_e32 v3, 0x80, v3
	v_cmp_le_i32_e32 vcc, s3, v3
	s_or_b64 s[6:7], vcc, s[6:7]
	s_waitcnt lgkmcnt(0)
	v_mul_f32_e32 v7, v2, v7
	ds_write_b32 v6, v7
	v_add_u32_e32 v6, 0x200, v6
	s_andn2_b64 exec, exec, s[6:7]
	s_cbranch_execnz .LBB334_108
.LBB334_109:
	s_or_b64 exec, exec, s[0:1]
	v_cmp_eq_u32_e32 vcc, 0, v0
	s_waitcnt lgkmcnt(0)
	s_barrier
	s_and_saveexec_b64 s[0:1], vcc
	s_cbranch_execz .LBB334_111
; %bb.110:
	s_mul_i32 s3, s16, s28
	s_mul_i32 s6, s3, s29
	s_ashr_i32 s7, s6, 31
	s_lshl_b64 s[6:7], s[6:7], 2
	s_add_u32 s5, s26, s6
	s_mul_i32 s2, s16, s2
	s_addc_u32 s10, s27, s7
	s_ashr_i32 s3, s2, 31
	s_lshl_b64 s[2:3], s[2:3], 2
	s_add_u32 s12, s5, s2
	s_addc_u32 s13, s10, s3
	s_ashr_i32 s5, s4, 31
	s_lshl_b64 s[10:11], s[4:5], 2
	s_add_u32 s12, s12, s10
	s_addc_u32 s13, s13, s11
	s_add_u32 s5, s24, s6
	s_addc_u32 s6, s25, s7
	s_add_u32 s2, s5, s2
	s_addc_u32 s3, s6, s3
	s_add_u32 s2, s2, s10
	v_mov_b32_e32 v2, 0
	s_addc_u32 s3, s3, s11
	global_store_dword v2, v4, s[12:13]
	global_store_dword v2, v5, s[2:3]
.LBB334_111:
	s_or_b64 exec, exec, s[0:1]
	v_mov_b32_e32 v15, 0
	v_and_b32_e32 v22, 1, v0
	v_mov_b32_e32 v14, v15
	s_and_saveexec_b64 s[2:3], s[8:9]
	s_cbranch_execz .LBB334_281
; %bb.112:
	s_sub_i32 s5, s50, s21
	s_ashr_i32 s1, s51, 31
	s_add_u32 s0, s40, s51
	s_addc_u32 s1, s41, s1
	s_abs_i32 s12, s22
	v_cvt_f32_u32_e32 v2, s12
	v_lshlrev_b32_e32 v3, 3, v0
	s_sub_i32 s6, 0, s12
	v_mov_b32_e32 v13, 0
	v_rcp_iflag_f32_e32 v2, v2
	v_and_b32_e32 v23, 8, v3
	v_and_b32_e32 v12, 0x1f8, v3
	s_mov_b32 s13, s17
	v_mul_f32_e32 v2, 0x4f7ffffe, v2
	v_cvt_u32_f32_e32 v2, v2
	s_add_i32 s17, s49, -1
	v_lshl_add_u64 v[16:17], s[0:1], 0, v[12:13]
	s_lshl_b64 s[0:1], s[38:39], 2
	v_mul_lo_u32 v3, s6, v2
	v_mul_hi_u32 v3, v2, v3
	v_add_u32_e32 v24, v2, v3
	s_add_u32 s0, s36, s0
	v_lshlrev_b32_e32 v2, 5, v22
	s_addc_u32 s1, s37, s1
	v_lshl_or_b32 v2, v25, 6, v2
	v_lshl_add_u64 v[18:19], v[10:11], 2, s[0:1]
	v_add_u32_e32 v11, 0x90, v2
	s_mov_b64 s[6:7], 0
	s_mov_b32 s18, 0x7f800000
	s_movk_i32 s19, 0x7fff
	v_mov_b32_e32 v14, 0
	v_mov_b32_e32 v15, v13
	s_branch .LBB334_115
.LBB334_113:                            ;   in Loop: Header=BB334_115 Depth=1
	s_or_b64 exec, exec, s[0:1]
	v_and_b32_e32 v35, 0xffff0000, v7
	v_and_b32_e32 v34, 0xffff0000, v5
	;; [unrolled: 1-line block ×4, first 2 shown]
	v_pk_add_f32 v[4:5], v[4:5], v[34:35]
	v_and_b32_e32 v33, 0xffff0000, v33
	v_and_b32_e32 v32, 0xffff0000, v9
	;; [unrolled: 1-line block ×4, first 2 shown]
	v_mov_b32_e32 v6, v5
	v_pk_add_f32 v[4:5], v[4:5], v[6:7]
	v_pk_add_f32 v[6:7], v[8:9], v[32:33]
	v_and_b32_e32 v8, 0xffff0000, v28
	v_pk_add_f32 v[4:5], v[4:5], v[6:7]
	v_mov_b32_e32 v6, v7
	v_pk_add_f32 v[4:5], v[4:5], v[6:7]
	v_and_b32_e32 v7, 0xffff0000, v3
	v_and_b32_e32 v6, 0xffff0000, v29
	;; [unrolled: 1-line block ×6, first 2 shown]
	v_pk_add_f32 v[2:3], v[2:3], v[28:29]
	v_and_b32_e32 v9, 0xffff0000, v30
	v_mov_b32_e32 v12, v3
	v_pk_add_f32 v[2:3], v[2:3], v[12:13]
	v_pk_add_f32 v[6:7], v[8:9], v[6:7]
	;; [unrolled: 1-line block ×4, first 2 shown]
	v_mov_b32_e32 v6, v7
	v_pk_add_f32 v[2:3], v[2:3], v[6:7]
	s_nop 0
	v_mov_b32_e32 v3, v2
	v_pk_add_f32 v[2:3], v[14:15], v[2:3]
	s_nop 0
	v_mov_b32_e32 v5, v3
	v_mov_b64_e32 v[14:15], v[4:5]
.LBB334_114:                            ;   in Loop: Header=BB334_115 Depth=1
	s_or_b64 exec, exec, s[8:9]
	v_add_u32_e32 v10, 2, v10
	v_cmp_le_i32_e32 vcc, s20, v10
	v_lshl_add_u64 v[18:19], v[18:19], 0, 8
	v_add_u32_e32 v1, 32, v1
	s_or_b64 s[6:7], vcc, s[6:7]
	v_add_u32_e32 v11, 0x80, v11
	s_andn2_b64 exec, exec, s[6:7]
	s_cbranch_execz .LBB334_280
.LBB334_115:                            ; =>This Inner Loop Header: Depth=1
	v_sub_u32_e32 v3, 0, v1
	v_max_i32_e32 v3, v1, v3
	v_mul_hi_u32 v4, v3, s48
	v_mul_lo_u32 v5, v4, s31
	v_sub_u32_e32 v3, v3, v5
	v_add_u32_e32 v5, 1, v4
	v_cmp_le_u32_e32 vcc, s31, v3
	v_ashrrev_i32_e32 v2, 31, v1
	v_xor_b32_e32 v2, s23, v2
	v_cndmask_b32_e32 v4, v4, v5, vcc
	v_subrev_u32_e32 v5, s31, v3
	v_cndmask_b32_e32 v3, v3, v5, vcc
	v_add_u32_e32 v5, 1, v4
	v_cmp_le_u32_e32 vcc, s31, v3
	s_nop 1
	v_cndmask_b32_e32 v3, v4, v5, vcc
	v_xor_b32_e32 v3, v3, v2
	v_sub_u32_e32 v2, v3, v2
	v_add_u32_e32 v3, s42, v2
	v_sub_u32_e32 v5, 0, v3
	v_ashrrev_i32_e32 v4, 31, v3
	v_max_i32_e32 v3, v3, v5
	v_mul_hi_u32 v5, v3, v24
	v_mul_lo_u32 v5, v5, s12
	v_sub_u32_e32 v3, v3, v5
	v_subrev_u32_e32 v5, s12, v3
	v_cmp_le_u32_e32 vcc, s12, v3
	v_cmp_lt_i32_e64 s[0:1], s5, v2
	s_nop 0
	v_cndmask_b32_e32 v3, v3, v5, vcc
	v_subrev_u32_e32 v5, s12, v3
	v_cmp_le_u32_e32 vcc, s12, v3
	s_nop 1
	v_cndmask_b32_e32 v3, v3, v5, vcc
	v_xor_b32_e32 v3, v3, v4
	v_sub_u32_e32 v3, v3, v4
	v_cmp_eq_u32_e32 vcc, 0, v3
	s_or_b64 s[0:1], vcc, s[0:1]
	s_and_saveexec_b64 s[8:9], s[0:1]
	s_cbranch_execz .LBB334_114
; %bb.116:                              ;   in Loop: Header=BB334_115 Depth=1
	global_load_dword v25, v[18:19], off
	ds_read2_b64 v[6:9], v11 offset1:1
	ds_read2_b64 v[2:5], v11 offset0:2 offset1:3
                                        ; implicit-def: $vgpr34
	s_waitcnt lgkmcnt(1)
	v_and_b32_e32 v12, 0x7f800000, v6
	v_cmp_ne_u32_e32 vcc, s18, v12
	s_and_saveexec_b64 s[0:1], vcc
	s_xor_b64 s[0:1], exec, s[0:1]
; %bb.117:                              ;   in Loop: Header=BB334_115 Depth=1
	v_bfe_u32 v12, v6, 16, 1
	v_add3_u32 v34, v6, v12, s19
; %bb.118:                              ;   in Loop: Header=BB334_115 Depth=1
	s_andn2_saveexec_b64 s[0:1], s[0:1]
; %bb.119:                              ;   in Loop: Header=BB334_115 Depth=1
	v_or_b32_e32 v12, 0x10000, v6
	v_cmp_eq_u32_sdwa vcc, v6, v13 src0_sel:WORD_0 src1_sel:DWORD
	s_nop 1
	v_cndmask_b32_e32 v34, v12, v6, vcc
; %bb.120:                              ;   in Loop: Header=BB334_115 Depth=1
	s_or_b64 exec, exec, s[0:1]
	v_and_b32_e32 v6, 0x7f800000, v7
	v_cmp_ne_u32_e32 vcc, s18, v6
                                        ; implicit-def: $vgpr35
	s_and_saveexec_b64 s[0:1], vcc
	s_xor_b64 s[0:1], exec, s[0:1]
; %bb.121:                              ;   in Loop: Header=BB334_115 Depth=1
	v_bfe_u32 v6, v7, 16, 1
	v_add3_u32 v35, v7, v6, s19
; %bb.122:                              ;   in Loop: Header=BB334_115 Depth=1
	s_andn2_saveexec_b64 s[0:1], s[0:1]
; %bb.123:                              ;   in Loop: Header=BB334_115 Depth=1
	v_or_b32_e32 v6, 0x10000, v7
	v_cmp_eq_u32_sdwa vcc, v7, v13 src0_sel:WORD_0 src1_sel:DWORD
	s_nop 1
	v_cndmask_b32_e32 v35, v6, v7, vcc
; %bb.124:                              ;   in Loop: Header=BB334_115 Depth=1
	s_or_b64 exec, exec, s[0:1]
	v_and_b32_e32 v6, 0x7f800000, v8
	v_cmp_ne_u32_e32 vcc, s18, v6
                                        ; implicit-def: $vgpr36
	s_and_saveexec_b64 s[0:1], vcc
	s_xor_b64 s[0:1], exec, s[0:1]
; %bb.125:                              ;   in Loop: Header=BB334_115 Depth=1
	v_bfe_u32 v6, v8, 16, 1
	v_add3_u32 v36, v8, v6, s19
; %bb.126:                              ;   in Loop: Header=BB334_115 Depth=1
	s_andn2_saveexec_b64 s[0:1], s[0:1]
; %bb.127:                              ;   in Loop: Header=BB334_115 Depth=1
	v_or_b32_e32 v6, 0x10000, v8
	v_cmp_eq_u32_sdwa vcc, v8, v13 src0_sel:WORD_0 src1_sel:DWORD
	s_nop 1
	v_cndmask_b32_e32 v36, v6, v8, vcc
; %bb.128:                              ;   in Loop: Header=BB334_115 Depth=1
	s_or_b64 exec, exec, s[0:1]
	v_and_b32_e32 v6, 0x7f800000, v9
	v_cmp_ne_u32_e32 vcc, s18, v6
                                        ; implicit-def: $vgpr37
	s_and_saveexec_b64 s[0:1], vcc
	s_xor_b64 s[0:1], exec, s[0:1]
; %bb.129:                              ;   in Loop: Header=BB334_115 Depth=1
	v_bfe_u32 v6, v9, 16, 1
	v_add3_u32 v37, v9, v6, s19
                                        ; implicit-def: $vgpr6_vgpr7_vgpr8_vgpr9
; %bb.130:                              ;   in Loop: Header=BB334_115 Depth=1
	s_andn2_saveexec_b64 s[0:1], s[0:1]
; %bb.131:                              ;   in Loop: Header=BB334_115 Depth=1
	v_or_b32_e32 v6, 0x10000, v9
	v_cmp_eq_u32_sdwa vcc, v9, v13 src0_sel:WORD_0 src1_sel:DWORD
	s_nop 1
	v_cndmask_b32_e32 v37, v6, v9, vcc
; %bb.132:                              ;   in Loop: Header=BB334_115 Depth=1
	s_or_b64 exec, exec, s[0:1]
	s_waitcnt lgkmcnt(0)
	v_and_b32_e32 v6, 0x7f800000, v2
	v_cmp_ne_u32_e32 vcc, s18, v6
                                        ; implicit-def: $vgpr8
	s_and_saveexec_b64 s[0:1], vcc
	s_xor_b64 s[0:1], exec, s[0:1]
; %bb.133:                              ;   in Loop: Header=BB334_115 Depth=1
	v_bfe_u32 v6, v2, 16, 1
	v_add3_u32 v8, v2, v6, s19
; %bb.134:                              ;   in Loop: Header=BB334_115 Depth=1
	s_andn2_saveexec_b64 s[0:1], s[0:1]
; %bb.135:                              ;   in Loop: Header=BB334_115 Depth=1
	v_or_b32_e32 v6, 0x10000, v2
	v_cmp_eq_u32_sdwa vcc, v2, v13 src0_sel:WORD_0 src1_sel:DWORD
	s_nop 1
	v_cndmask_b32_e32 v8, v6, v2, vcc
; %bb.136:                              ;   in Loop: Header=BB334_115 Depth=1
	s_or_b64 exec, exec, s[0:1]
	v_and_b32_e32 v2, 0x7f800000, v3
	v_cmp_ne_u32_e32 vcc, s18, v2
                                        ; implicit-def: $vgpr9
	s_and_saveexec_b64 s[0:1], vcc
	s_xor_b64 s[0:1], exec, s[0:1]
; %bb.137:                              ;   in Loop: Header=BB334_115 Depth=1
	v_bfe_u32 v2, v3, 16, 1
	v_add3_u32 v9, v3, v2, s19
; %bb.138:                              ;   in Loop: Header=BB334_115 Depth=1
	s_andn2_saveexec_b64 s[0:1], s[0:1]
; %bb.139:                              ;   in Loop: Header=BB334_115 Depth=1
	v_or_b32_e32 v2, 0x10000, v3
	v_cmp_eq_u32_sdwa vcc, v3, v13 src0_sel:WORD_0 src1_sel:DWORD
	s_nop 1
	v_cndmask_b32_e32 v9, v2, v3, vcc
; %bb.140:                              ;   in Loop: Header=BB334_115 Depth=1
	s_or_b64 exec, exec, s[0:1]
	v_and_b32_e32 v2, 0x7f800000, v4
	v_cmp_ne_u32_e32 vcc, s18, v2
                                        ; implicit-def: $vgpr12
	s_and_saveexec_b64 s[0:1], vcc
	s_xor_b64 s[0:1], exec, s[0:1]
; %bb.141:                              ;   in Loop: Header=BB334_115 Depth=1
	v_bfe_u32 v2, v4, 16, 1
	v_add3_u32 v12, v4, v2, s19
; %bb.142:                              ;   in Loop: Header=BB334_115 Depth=1
	s_andn2_saveexec_b64 s[0:1], s[0:1]
; %bb.143:                              ;   in Loop: Header=BB334_115 Depth=1
	v_or_b32_e32 v2, 0x10000, v4
	v_cmp_eq_u32_sdwa vcc, v4, v13 src0_sel:WORD_0 src1_sel:DWORD
	s_nop 1
	v_cndmask_b32_e32 v12, v2, v4, vcc
; %bb.144:                              ;   in Loop: Header=BB334_115 Depth=1
	s_or_b64 exec, exec, s[0:1]
	v_and_b32_e32 v2, 0x7f800000, v5
	v_cmp_ne_u32_e32 vcc, s18, v2
                                        ; implicit-def: $vgpr33
	s_and_saveexec_b64 s[0:1], vcc
	s_xor_b64 s[0:1], exec, s[0:1]
; %bb.145:                              ;   in Loop: Header=BB334_115 Depth=1
	v_bfe_u32 v2, v5, 16, 1
	v_add3_u32 v33, v5, v2, s19
                                        ; implicit-def: $vgpr2_vgpr3_vgpr4_vgpr5
; %bb.146:                              ;   in Loop: Header=BB334_115 Depth=1
	s_andn2_saveexec_b64 s[0:1], s[0:1]
; %bb.147:                              ;   in Loop: Header=BB334_115 Depth=1
	v_or_b32_e32 v2, 0x10000, v5
	v_cmp_eq_u32_sdwa vcc, v5, v13 src0_sel:WORD_0 src1_sel:DWORD
	s_nop 1
	v_cndmask_b32_e32 v33, v2, v5, vcc
; %bb.148:                              ;   in Loop: Header=BB334_115 Depth=1
	s_or_b64 exec, exec, s[0:1]
	s_waitcnt vmcnt(0)
	v_mad_i64_i32 v[2:3], s[0:1], v25, s13, v[16:17]
	global_load_dwordx2 v[4:5], v[2:3], off
	s_load_dword s21, s[14:15], 0x0
	s_waitcnt vmcnt(0)
	v_and_b32_e32 v6, 0xff, v4
	v_cvt_f32_fp8_sdwa v6, v6 src0_sel:BYTE_0
	s_waitcnt lgkmcnt(0)
	v_mul_f32_e32 v7, s21, v6
	v_and_b32_e32 v6, 0x7f800000, v7
	v_cmp_ne_u32_e32 vcc, s18, v6
                                        ; implicit-def: $vgpr6
	s_and_saveexec_b64 s[0:1], vcc
	s_xor_b64 s[0:1], exec, s[0:1]
; %bb.149:                              ;   in Loop: Header=BB334_115 Depth=1
	v_bfe_u32 v6, v7, 16, 1
	v_add3_u32 v6, v7, v6, s19
                                        ; implicit-def: $vgpr7
; %bb.150:                              ;   in Loop: Header=BB334_115 Depth=1
	s_andn2_saveexec_b64 s[0:1], s[0:1]
; %bb.151:                              ;   in Loop: Header=BB334_115 Depth=1
	v_or_b32_e32 v6, 0x10000, v7
	v_cmp_eq_u32_sdwa vcc, v7, v13 src0_sel:WORD_0 src1_sel:DWORD
	s_nop 1
	v_cndmask_b32_e32 v6, v6, v7, vcc
; %bb.152:                              ;   in Loop: Header=BB334_115 Depth=1
	s_or_b64 exec, exec, s[0:1]
	v_bfe_u32 v7, v4, 8, 8
	v_cvt_f32_fp8_sdwa v7, v7 src0_sel:BYTE_0
	s_nop 0
	v_mul_f32_e32 v25, s21, v7
	v_and_b32_e32 v7, 0x7f800000, v25
	v_cmp_ne_u32_e32 vcc, s18, v7
                                        ; implicit-def: $vgpr7
	s_and_saveexec_b64 s[0:1], vcc
	s_xor_b64 s[0:1], exec, s[0:1]
; %bb.153:                              ;   in Loop: Header=BB334_115 Depth=1
	v_bfe_u32 v7, v25, 16, 1
	v_add3_u32 v7, v25, v7, s19
                                        ; implicit-def: $vgpr25
; %bb.154:                              ;   in Loop: Header=BB334_115 Depth=1
	s_andn2_saveexec_b64 s[0:1], s[0:1]
; %bb.155:                              ;   in Loop: Header=BB334_115 Depth=1
	v_or_b32_e32 v7, 0x10000, v25
	v_cmp_eq_u32_sdwa vcc, v25, v13 src0_sel:WORD_0 src1_sel:DWORD
	s_nop 1
	v_cndmask_b32_e32 v7, v7, v25, vcc
; %bb.156:                              ;   in Loop: Header=BB334_115 Depth=1
	s_or_b64 exec, exec, s[0:1]
	v_bfe_u32 v25, v4, 16, 8
	v_cvt_f32_fp8_sdwa v25, v25 src0_sel:BYTE_0
	s_nop 0
	v_mul_f32_e32 v25, s21, v25
	v_and_b32_e32 v26, 0x7f800000, v25
	v_cmp_ne_u32_e32 vcc, s18, v26
                                        ; implicit-def: $vgpr26
	s_and_saveexec_b64 s[0:1], vcc
	s_xor_b64 s[0:1], exec, s[0:1]
; %bb.157:                              ;   in Loop: Header=BB334_115 Depth=1
	v_bfe_u32 v26, v25, 16, 1
	v_add3_u32 v26, v25, v26, s19
                                        ; implicit-def: $vgpr25
; %bb.158:                              ;   in Loop: Header=BB334_115 Depth=1
	s_andn2_saveexec_b64 s[0:1], s[0:1]
; %bb.159:                              ;   in Loop: Header=BB334_115 Depth=1
	v_or_b32_e32 v26, 0x10000, v25
	v_cmp_eq_u32_sdwa vcc, v25, v13 src0_sel:WORD_0 src1_sel:DWORD
	s_nop 1
	v_cndmask_b32_e32 v26, v26, v25, vcc
; %bb.160:                              ;   in Loop: Header=BB334_115 Depth=1
	s_or_b64 exec, exec, s[0:1]
	v_lshrrev_b32_e32 v4, 24, v4
	v_cvt_f32_fp8_sdwa v4, v4 src0_sel:BYTE_0
	s_nop 0
	v_mul_f32_e32 v25, s21, v4
	v_and_b32_e32 v4, 0x7f800000, v25
	v_cmp_ne_u32_e32 vcc, s18, v4
                                        ; implicit-def: $vgpr4
	s_and_saveexec_b64 s[0:1], vcc
	s_xor_b64 s[0:1], exec, s[0:1]
; %bb.161:                              ;   in Loop: Header=BB334_115 Depth=1
	v_bfe_u32 v4, v25, 16, 1
	v_add3_u32 v4, v25, v4, s19
                                        ; implicit-def: $vgpr25
; %bb.162:                              ;   in Loop: Header=BB334_115 Depth=1
	s_andn2_saveexec_b64 s[0:1], s[0:1]
; %bb.163:                              ;   in Loop: Header=BB334_115 Depth=1
	v_or_b32_e32 v4, 0x10000, v25
	v_cmp_eq_u32_sdwa vcc, v25, v13 src0_sel:WORD_0 src1_sel:DWORD
	s_nop 1
	v_cndmask_b32_e32 v4, v4, v25, vcc
; %bb.164:                              ;   in Loop: Header=BB334_115 Depth=1
	s_or_b64 exec, exec, s[0:1]
	v_and_b32_e32 v25, 0xff, v5
	v_cvt_f32_fp8_sdwa v25, v25 src0_sel:BYTE_0
	s_nop 0
	v_mul_f32_e32 v25, s21, v25
	v_and_b32_e32 v27, 0x7f800000, v25
	v_cmp_ne_u32_e32 vcc, s18, v27
                                        ; implicit-def: $vgpr27
	s_and_saveexec_b64 s[0:1], vcc
	s_xor_b64 s[0:1], exec, s[0:1]
; %bb.165:                              ;   in Loop: Header=BB334_115 Depth=1
	v_bfe_u32 v27, v25, 16, 1
	v_add3_u32 v27, v25, v27, s19
                                        ; implicit-def: $vgpr25
; %bb.166:                              ;   in Loop: Header=BB334_115 Depth=1
	s_andn2_saveexec_b64 s[0:1], s[0:1]
; %bb.167:                              ;   in Loop: Header=BB334_115 Depth=1
	v_or_b32_e32 v27, 0x10000, v25
	v_cmp_eq_u32_sdwa vcc, v25, v13 src0_sel:WORD_0 src1_sel:DWORD
	s_nop 1
	v_cndmask_b32_e32 v27, v27, v25, vcc
; %bb.168:                              ;   in Loop: Header=BB334_115 Depth=1
	s_or_b64 exec, exec, s[0:1]
	v_bfe_u32 v25, v5, 8, 8
	v_cvt_f32_fp8_sdwa v25, v25 src0_sel:BYTE_0
	s_nop 0
	v_mul_f32_e32 v25, s21, v25
	v_and_b32_e32 v28, 0x7f800000, v25
	v_cmp_ne_u32_e32 vcc, s18, v28
                                        ; implicit-def: $vgpr28
	s_and_saveexec_b64 s[0:1], vcc
	s_xor_b64 s[0:1], exec, s[0:1]
; %bb.169:                              ;   in Loop: Header=BB334_115 Depth=1
	v_bfe_u32 v28, v25, 16, 1
	v_add3_u32 v28, v25, v28, s19
                                        ; implicit-def: $vgpr25
; %bb.170:                              ;   in Loop: Header=BB334_115 Depth=1
	s_andn2_saveexec_b64 s[0:1], s[0:1]
; %bb.171:                              ;   in Loop: Header=BB334_115 Depth=1
	v_or_b32_e32 v28, 0x10000, v25
	v_cmp_eq_u32_sdwa vcc, v25, v13 src0_sel:WORD_0 src1_sel:DWORD
	s_nop 1
	v_cndmask_b32_e32 v28, v28, v25, vcc
; %bb.172:                              ;   in Loop: Header=BB334_115 Depth=1
	s_or_b64 exec, exec, s[0:1]
	v_bfe_u32 v25, v5, 16, 8
	v_cvt_f32_fp8_sdwa v25, v25 src0_sel:BYTE_0
	s_nop 0
	v_mul_f32_e32 v25, s21, v25
	v_and_b32_e32 v29, 0x7f800000, v25
	v_cmp_ne_u32_e32 vcc, s18, v29
                                        ; implicit-def: $vgpr29
	s_and_saveexec_b64 s[0:1], vcc
	s_xor_b64 s[0:1], exec, s[0:1]
; %bb.173:                              ;   in Loop: Header=BB334_115 Depth=1
	v_bfe_u32 v29, v25, 16, 1
	v_add3_u32 v29, v25, v29, s19
                                        ; implicit-def: $vgpr25
; %bb.174:                              ;   in Loop: Header=BB334_115 Depth=1
	s_andn2_saveexec_b64 s[0:1], s[0:1]
; %bb.175:                              ;   in Loop: Header=BB334_115 Depth=1
	v_or_b32_e32 v29, 0x10000, v25
	v_cmp_eq_u32_sdwa vcc, v25, v13 src0_sel:WORD_0 src1_sel:DWORD
	s_nop 1
	v_cndmask_b32_e32 v29, v29, v25, vcc
; %bb.176:                              ;   in Loop: Header=BB334_115 Depth=1
	s_or_b64 exec, exec, s[0:1]
	v_lshrrev_b32_e32 v5, 24, v5
	v_cvt_f32_fp8_sdwa v5, v5 src0_sel:BYTE_0
                                        ; implicit-def: $vgpr30
	s_nop 0
	v_mul_f32_e32 v5, s21, v5
	v_and_b32_e32 v25, 0x7f800000, v5
	v_cmp_ne_u32_e32 vcc, s18, v25
	s_and_saveexec_b64 s[0:1], vcc
	s_xor_b64 s[0:1], exec, s[0:1]
; %bb.177:                              ;   in Loop: Header=BB334_115 Depth=1
	v_bfe_u32 v25, v5, 16, 1
	v_add3_u32 v30, v5, v25, s19
                                        ; implicit-def: $vgpr5
; %bb.178:                              ;   in Loop: Header=BB334_115 Depth=1
	s_andn2_saveexec_b64 s[0:1], s[0:1]
; %bb.179:                              ;   in Loop: Header=BB334_115 Depth=1
	v_or_b32_e32 v25, 0x10000, v5
	v_cmp_eq_u32_sdwa vcc, v5, v13 src0_sel:WORD_0 src1_sel:DWORD
	s_nop 1
	v_cndmask_b32_e32 v30, v25, v5, vcc
; %bb.180:                              ;   in Loop: Header=BB334_115 Depth=1
	s_or_b64 exec, exec, s[0:1]
	v_add_u32_e32 v25, v23, v1
	v_cmp_eq_u32_e32 vcc, s17, v10
	v_lshrrev_b32_e32 v40, 16, v28
	v_lshrrev_b32_e32 v39, 16, v27
	;; [unrolled: 1-line block ×8, first 2 shown]
	v_add_u32_e32 v32, 1, v25
	v_add_u32_e32 v31, 2, v25
	;; [unrolled: 1-line block ×7, first 2 shown]
	s_and_saveexec_b64 s[10:11], vcc
	s_cbranch_execz .LBB334_182
; %bb.181:                              ;   in Loop: Header=BB334_115 Depth=1
	v_cmp_gt_i32_e64 s[0:1], s33, v25
	s_nop 1
	v_cndmask_b32_e64 v4, 0, v4, s[0:1]
	v_cmp_gt_i32_e64 s[0:1], s33, v32
	s_nop 1
	v_cndmask_b32_e64 v5, 0, v5, s[0:1]
	v_cmp_gt_i32_e64 s[0:1], s33, v31
	s_nop 1
	v_cndmask_b32_e64 v43, 0, v43, s[0:1]
	v_cmp_gt_i32_e64 s[0:1], s33, v30
	s_nop 1
	v_cndmask_b32_e64 v38, 0, v38, s[0:1]
	v_cmp_gt_i32_e64 s[0:1], s33, v29
	s_nop 1
	v_cndmask_b32_e64 v39, 0, v39, s[0:1]
	v_cmp_gt_i32_e64 s[0:1], s33, v28
	s_nop 1
	v_cndmask_b32_e64 v40, 0, v40, s[0:1]
	v_cmp_gt_i32_e64 s[0:1], s33, v27
	s_nop 1
	v_cndmask_b32_e64 v41, 0, v41, s[0:1]
	v_cmp_gt_i32_e64 s[0:1], s33, v26
	s_nop 1
	v_cndmask_b32_e64 v42, 0, v42, s[0:1]
.LBB334_182:                            ;   in Loop: Header=BB334_115 Depth=1
	s_or_b64 exec, exec, s[10:11]
	v_and_b32_e32 v34, 0xffff0000, v34
	v_lshlrev_b32_e32 v4, 16, v4
	v_mul_f32_e32 v6, v34, v4
	v_and_b32_e32 v4, 0x7f800000, v6
	v_cmp_ne_u32_e64 s[0:1], s18, v4
                                        ; implicit-def: $vgpr4
	s_and_saveexec_b64 s[10:11], s[0:1]
	s_xor_b64 s[0:1], exec, s[10:11]
; %bb.183:                              ;   in Loop: Header=BB334_115 Depth=1
	v_bfe_u32 v4, v6, 16, 1
	v_add3_u32 v4, v6, v4, s19
                                        ; implicit-def: $vgpr6
; %bb.184:                              ;   in Loop: Header=BB334_115 Depth=1
	s_andn2_saveexec_b64 s[10:11], s[0:1]
; %bb.185:                              ;   in Loop: Header=BB334_115 Depth=1
	v_or_b32_e32 v4, 0x10000, v6
	v_cmp_eq_u32_sdwa s[0:1], v6, v13 src0_sel:WORD_0 src1_sel:DWORD
	s_nop 1
	v_cndmask_b32_e64 v4, v4, v6, s[0:1]
; %bb.186:                              ;   in Loop: Header=BB334_115 Depth=1
	s_or_b64 exec, exec, s[10:11]
	v_and_b32_e32 v35, 0xffff0000, v35
	v_lshlrev_b32_e32 v5, 16, v5
	v_mul_f32_e32 v6, v35, v5
	v_and_b32_e32 v5, 0x7f800000, v6
	v_cmp_ne_u32_e64 s[0:1], s18, v5
                                        ; implicit-def: $vgpr5
	s_and_saveexec_b64 s[10:11], s[0:1]
	s_xor_b64 s[0:1], exec, s[10:11]
; %bb.187:                              ;   in Loop: Header=BB334_115 Depth=1
	v_bfe_u32 v5, v6, 16, 1
	v_add3_u32 v5, v6, v5, s19
                                        ; implicit-def: $vgpr6
; %bb.188:                              ;   in Loop: Header=BB334_115 Depth=1
	s_andn2_saveexec_b64 s[10:11], s[0:1]
; %bb.189:                              ;   in Loop: Header=BB334_115 Depth=1
	v_or_b32_e32 v5, 0x10000, v6
	v_cmp_eq_u32_sdwa s[0:1], v6, v13 src0_sel:WORD_0 src1_sel:DWORD
	s_nop 1
	v_cndmask_b32_e64 v5, v5, v6, s[0:1]
; %bb.190:                              ;   in Loop: Header=BB334_115 Depth=1
	s_or_b64 exec, exec, s[10:11]
	v_and_b32_e32 v36, 0xffff0000, v36
	v_lshlrev_b32_e32 v6, 16, v43
	v_mul_f32_e32 v7, v36, v6
	v_and_b32_e32 v6, 0x7f800000, v7
	v_cmp_ne_u32_e64 s[0:1], s18, v6
                                        ; implicit-def: $vgpr6
	s_and_saveexec_b64 s[10:11], s[0:1]
	s_xor_b64 s[0:1], exec, s[10:11]
; %bb.191:                              ;   in Loop: Header=BB334_115 Depth=1
	v_bfe_u32 v6, v7, 16, 1
	v_add3_u32 v6, v7, v6, s19
                                        ; implicit-def: $vgpr7
; %bb.192:                              ;   in Loop: Header=BB334_115 Depth=1
	s_andn2_saveexec_b64 s[10:11], s[0:1]
; %bb.193:                              ;   in Loop: Header=BB334_115 Depth=1
	v_or_b32_e32 v6, 0x10000, v7
	v_cmp_eq_u32_sdwa s[0:1], v7, v13 src0_sel:WORD_0 src1_sel:DWORD
	s_nop 1
	v_cndmask_b32_e64 v6, v6, v7, s[0:1]
; %bb.194:                              ;   in Loop: Header=BB334_115 Depth=1
	s_or_b64 exec, exec, s[10:11]
	v_and_b32_e32 v37, 0xffff0000, v37
	v_lshlrev_b32_e32 v7, 16, v38
	v_mul_f32_e32 v38, v37, v7
	v_and_b32_e32 v7, 0x7f800000, v38
	v_cmp_ne_u32_e64 s[0:1], s18, v7
                                        ; implicit-def: $vgpr7
	s_and_saveexec_b64 s[10:11], s[0:1]
	s_xor_b64 s[0:1], exec, s[10:11]
; %bb.195:                              ;   in Loop: Header=BB334_115 Depth=1
	v_bfe_u32 v7, v38, 16, 1
	v_add3_u32 v7, v38, v7, s19
                                        ; implicit-def: $vgpr38
; %bb.196:                              ;   in Loop: Header=BB334_115 Depth=1
	s_andn2_saveexec_b64 s[10:11], s[0:1]
; %bb.197:                              ;   in Loop: Header=BB334_115 Depth=1
	v_or_b32_e32 v7, 0x10000, v38
	v_cmp_eq_u32_sdwa s[0:1], v38, v13 src0_sel:WORD_0 src1_sel:DWORD
	s_nop 1
	v_cndmask_b32_e64 v7, v7, v38, s[0:1]
; %bb.198:                              ;   in Loop: Header=BB334_115 Depth=1
	s_or_b64 exec, exec, s[10:11]
	v_and_b32_e32 v38, 0xffff0000, v8
	v_lshlrev_b32_e32 v8, 16, v39
	v_mul_f32_e32 v39, v38, v8
	v_and_b32_e32 v8, 0x7f800000, v39
	v_cmp_ne_u32_e64 s[0:1], s18, v8
                                        ; implicit-def: $vgpr8
	s_and_saveexec_b64 s[10:11], s[0:1]
	s_xor_b64 s[0:1], exec, s[10:11]
; %bb.199:                              ;   in Loop: Header=BB334_115 Depth=1
	v_bfe_u32 v8, v39, 16, 1
	v_add3_u32 v8, v39, v8, s19
                                        ; implicit-def: $vgpr39
; %bb.200:                              ;   in Loop: Header=BB334_115 Depth=1
	s_andn2_saveexec_b64 s[10:11], s[0:1]
; %bb.201:                              ;   in Loop: Header=BB334_115 Depth=1
	v_or_b32_e32 v8, 0x10000, v39
	v_cmp_eq_u32_sdwa s[0:1], v39, v13 src0_sel:WORD_0 src1_sel:DWORD
	s_nop 1
	v_cndmask_b32_e64 v8, v8, v39, s[0:1]
; %bb.202:                              ;   in Loop: Header=BB334_115 Depth=1
	s_or_b64 exec, exec, s[10:11]
	v_and_b32_e32 v39, 0xffff0000, v9
	v_lshlrev_b32_e32 v9, 16, v40
	v_mul_f32_e32 v40, v39, v9
	v_and_b32_e32 v9, 0x7f800000, v40
	v_cmp_ne_u32_e64 s[0:1], s18, v9
                                        ; implicit-def: $vgpr9
	s_and_saveexec_b64 s[10:11], s[0:1]
	s_xor_b64 s[0:1], exec, s[10:11]
; %bb.203:                              ;   in Loop: Header=BB334_115 Depth=1
	v_bfe_u32 v9, v40, 16, 1
	v_add3_u32 v9, v40, v9, s19
                                        ; implicit-def: $vgpr40
; %bb.204:                              ;   in Loop: Header=BB334_115 Depth=1
	s_andn2_saveexec_b64 s[10:11], s[0:1]
; %bb.205:                              ;   in Loop: Header=BB334_115 Depth=1
	v_or_b32_e32 v9, 0x10000, v40
	v_cmp_eq_u32_sdwa s[0:1], v40, v13 src0_sel:WORD_0 src1_sel:DWORD
	s_nop 1
	v_cndmask_b32_e64 v9, v9, v40, s[0:1]
; %bb.206:                              ;   in Loop: Header=BB334_115 Depth=1
	s_or_b64 exec, exec, s[10:11]
	v_and_b32_e32 v40, 0xffff0000, v12
	v_lshlrev_b32_e32 v12, 16, v41
	v_mul_f32_e32 v41, v40, v12
	v_and_b32_e32 v12, 0x7f800000, v41
	v_cmp_ne_u32_e64 s[0:1], s18, v12
                                        ; implicit-def: $vgpr12
	s_and_saveexec_b64 s[10:11], s[0:1]
	s_xor_b64 s[0:1], exec, s[10:11]
; %bb.207:                              ;   in Loop: Header=BB334_115 Depth=1
	v_bfe_u32 v12, v41, 16, 1
	v_add3_u32 v12, v41, v12, s19
                                        ; implicit-def: $vgpr41
; %bb.208:                              ;   in Loop: Header=BB334_115 Depth=1
	s_andn2_saveexec_b64 s[10:11], s[0:1]
; %bb.209:                              ;   in Loop: Header=BB334_115 Depth=1
	v_or_b32_e32 v12, 0x10000, v41
	v_cmp_eq_u32_sdwa s[0:1], v41, v13 src0_sel:WORD_0 src1_sel:DWORD
	s_nop 1
	v_cndmask_b32_e64 v12, v12, v41, s[0:1]
; %bb.210:                              ;   in Loop: Header=BB334_115 Depth=1
	s_or_b64 exec, exec, s[10:11]
	v_and_b32_e32 v41, 0xffff0000, v33
	v_lshlrev_b32_e32 v33, 16, v42
	v_mul_f32_e32 v42, v41, v33
	v_and_b32_e32 v33, 0x7f800000, v42
	v_cmp_ne_u32_e64 s[0:1], s18, v33
                                        ; implicit-def: $vgpr33
	s_and_saveexec_b64 s[10:11], s[0:1]
	s_xor_b64 s[0:1], exec, s[10:11]
; %bb.211:                              ;   in Loop: Header=BB334_115 Depth=1
	v_bfe_u32 v33, v42, 16, 1
	v_add3_u32 v33, v42, v33, s19
                                        ; implicit-def: $vgpr42
; %bb.212:                              ;   in Loop: Header=BB334_115 Depth=1
	s_andn2_saveexec_b64 s[10:11], s[0:1]
; %bb.213:                              ;   in Loop: Header=BB334_115 Depth=1
	v_or_b32_e32 v33, 0x10000, v42
	v_cmp_eq_u32_sdwa s[0:1], v42, v13 src0_sel:WORD_0 src1_sel:DWORD
	s_nop 1
	v_cndmask_b32_e64 v33, v33, v42, s[0:1]
; %bb.214:                              ;   in Loop: Header=BB334_115 Depth=1
	s_or_b64 exec, exec, s[10:11]
	global_load_dwordx2 v[2:3], v[2:3], off offset:512
	s_waitcnt vmcnt(0)
	v_and_b32_e32 v42, 0xff, v2
	v_cvt_f32_fp8_sdwa v42, v42 src0_sel:BYTE_0
	s_nop 0
	v_mul_f32_e32 v43, s21, v42
	v_and_b32_e32 v42, 0x7f800000, v43
	v_cmp_ne_u32_e64 s[0:1], s18, v42
                                        ; implicit-def: $vgpr42
	s_and_saveexec_b64 s[10:11], s[0:1]
	s_xor_b64 s[0:1], exec, s[10:11]
; %bb.215:                              ;   in Loop: Header=BB334_115 Depth=1
	v_bfe_u32 v42, v43, 16, 1
	v_add3_u32 v42, v43, v42, s19
                                        ; implicit-def: $vgpr43
; %bb.216:                              ;   in Loop: Header=BB334_115 Depth=1
	s_andn2_saveexec_b64 s[10:11], s[0:1]
; %bb.217:                              ;   in Loop: Header=BB334_115 Depth=1
	v_or_b32_e32 v42, 0x10000, v43
	v_cmp_eq_u32_sdwa s[0:1], v43, v13 src0_sel:WORD_0 src1_sel:DWORD
	s_nop 1
	v_cndmask_b32_e64 v42, v42, v43, s[0:1]
; %bb.218:                              ;   in Loop: Header=BB334_115 Depth=1
	s_or_b64 exec, exec, s[10:11]
	v_bfe_u32 v43, v2, 8, 8
	v_cvt_f32_fp8_sdwa v43, v43 src0_sel:BYTE_0
	s_nop 0
	v_mul_f32_e32 v44, s21, v43
	v_and_b32_e32 v43, 0x7f800000, v44
	v_cmp_ne_u32_e64 s[0:1], s18, v43
                                        ; implicit-def: $vgpr43
	s_and_saveexec_b64 s[10:11], s[0:1]
	s_xor_b64 s[0:1], exec, s[10:11]
; %bb.219:                              ;   in Loop: Header=BB334_115 Depth=1
	v_bfe_u32 v43, v44, 16, 1
	v_add3_u32 v43, v44, v43, s19
                                        ; implicit-def: $vgpr44
; %bb.220:                              ;   in Loop: Header=BB334_115 Depth=1
	s_andn2_saveexec_b64 s[10:11], s[0:1]
; %bb.221:                              ;   in Loop: Header=BB334_115 Depth=1
	v_or_b32_e32 v43, 0x10000, v44
	v_cmp_eq_u32_sdwa s[0:1], v44, v13 src0_sel:WORD_0 src1_sel:DWORD
	s_nop 1
	v_cndmask_b32_e64 v43, v43, v44, s[0:1]
; %bb.222:                              ;   in Loop: Header=BB334_115 Depth=1
	s_or_b64 exec, exec, s[10:11]
	v_bfe_u32 v44, v2, 16, 8
	v_cvt_f32_fp8_sdwa v44, v44 src0_sel:BYTE_0
	s_nop 0
	v_mul_f32_e32 v44, s21, v44
	v_and_b32_e32 v45, 0x7f800000, v44
	v_cmp_ne_u32_e64 s[0:1], s18, v45
                                        ; implicit-def: $vgpr45
	s_and_saveexec_b64 s[10:11], s[0:1]
	s_xor_b64 s[0:1], exec, s[10:11]
; %bb.223:                              ;   in Loop: Header=BB334_115 Depth=1
	v_bfe_u32 v45, v44, 16, 1
	v_add3_u32 v45, v44, v45, s19
                                        ; implicit-def: $vgpr44
; %bb.224:                              ;   in Loop: Header=BB334_115 Depth=1
	s_andn2_saveexec_b64 s[10:11], s[0:1]
; %bb.225:                              ;   in Loop: Header=BB334_115 Depth=1
	v_or_b32_e32 v45, 0x10000, v44
	v_cmp_eq_u32_sdwa s[0:1], v44, v13 src0_sel:WORD_0 src1_sel:DWORD
	s_nop 1
	v_cndmask_b32_e64 v45, v45, v44, s[0:1]
; %bb.226:                              ;   in Loop: Header=BB334_115 Depth=1
	s_or_b64 exec, exec, s[10:11]
	v_lshrrev_b32_e32 v2, 24, v2
	v_cvt_f32_fp8_sdwa v2, v2 src0_sel:BYTE_0
	s_nop 0
	v_mul_f32_e32 v44, s21, v2
	v_and_b32_e32 v2, 0x7f800000, v44
	v_cmp_ne_u32_e64 s[0:1], s18, v2
                                        ; implicit-def: $vgpr2
	s_and_saveexec_b64 s[10:11], s[0:1]
	s_xor_b64 s[0:1], exec, s[10:11]
; %bb.227:                              ;   in Loop: Header=BB334_115 Depth=1
	v_bfe_u32 v2, v44, 16, 1
	v_add3_u32 v2, v44, v2, s19
                                        ; implicit-def: $vgpr44
; %bb.228:                              ;   in Loop: Header=BB334_115 Depth=1
	s_andn2_saveexec_b64 s[10:11], s[0:1]
; %bb.229:                              ;   in Loop: Header=BB334_115 Depth=1
	v_or_b32_e32 v2, 0x10000, v44
	v_cmp_eq_u32_sdwa s[0:1], v44, v13 src0_sel:WORD_0 src1_sel:DWORD
	s_nop 1
	v_cndmask_b32_e64 v2, v2, v44, s[0:1]
; %bb.230:                              ;   in Loop: Header=BB334_115 Depth=1
	s_or_b64 exec, exec, s[10:11]
	v_and_b32_e32 v44, 0xff, v3
	v_cvt_f32_fp8_sdwa v44, v44 src0_sel:BYTE_0
	s_nop 0
	v_mul_f32_e32 v44, s21, v44
	v_and_b32_e32 v46, 0x7f800000, v44
	v_cmp_ne_u32_e64 s[0:1], s18, v46
                                        ; implicit-def: $vgpr46
	s_and_saveexec_b64 s[10:11], s[0:1]
	s_xor_b64 s[0:1], exec, s[10:11]
; %bb.231:                              ;   in Loop: Header=BB334_115 Depth=1
	v_bfe_u32 v46, v44, 16, 1
	v_add3_u32 v46, v44, v46, s19
                                        ; implicit-def: $vgpr44
; %bb.232:                              ;   in Loop: Header=BB334_115 Depth=1
	s_andn2_saveexec_b64 s[10:11], s[0:1]
; %bb.233:                              ;   in Loop: Header=BB334_115 Depth=1
	v_or_b32_e32 v46, 0x10000, v44
	v_cmp_eq_u32_sdwa s[0:1], v44, v13 src0_sel:WORD_0 src1_sel:DWORD
	s_nop 1
	v_cndmask_b32_e64 v46, v46, v44, s[0:1]
; %bb.234:                              ;   in Loop: Header=BB334_115 Depth=1
	s_or_b64 exec, exec, s[10:11]
	v_bfe_u32 v44, v3, 8, 8
	v_cvt_f32_fp8_sdwa v44, v44 src0_sel:BYTE_0
	s_nop 0
	v_mul_f32_e32 v47, s21, v44
	v_and_b32_e32 v44, 0x7f800000, v47
	v_cmp_ne_u32_e64 s[0:1], s18, v44
                                        ; implicit-def: $vgpr44
	s_and_saveexec_b64 s[10:11], s[0:1]
	s_xor_b64 s[0:1], exec, s[10:11]
; %bb.235:                              ;   in Loop: Header=BB334_115 Depth=1
	v_bfe_u32 v44, v47, 16, 1
	v_add3_u32 v44, v47, v44, s19
                                        ; implicit-def: $vgpr47
; %bb.236:                              ;   in Loop: Header=BB334_115 Depth=1
	s_andn2_saveexec_b64 s[10:11], s[0:1]
; %bb.237:                              ;   in Loop: Header=BB334_115 Depth=1
	v_or_b32_e32 v44, 0x10000, v47
	v_cmp_eq_u32_sdwa s[0:1], v47, v13 src0_sel:WORD_0 src1_sel:DWORD
	s_nop 1
	v_cndmask_b32_e64 v44, v44, v47, s[0:1]
; %bb.238:                              ;   in Loop: Header=BB334_115 Depth=1
	s_or_b64 exec, exec, s[10:11]
	v_bfe_u32 v47, v3, 16, 8
	v_cvt_f32_fp8_sdwa v47, v47 src0_sel:BYTE_0
	s_nop 0
	v_mul_f32_e32 v47, s21, v47
	v_and_b32_e32 v48, 0x7f800000, v47
	v_cmp_ne_u32_e64 s[0:1], s18, v48
                                        ; implicit-def: $vgpr48
	s_and_saveexec_b64 s[10:11], s[0:1]
	s_xor_b64 s[0:1], exec, s[10:11]
; %bb.239:                              ;   in Loop: Header=BB334_115 Depth=1
	v_bfe_u32 v48, v47, 16, 1
	v_add3_u32 v48, v47, v48, s19
                                        ; implicit-def: $vgpr47
; %bb.240:                              ;   in Loop: Header=BB334_115 Depth=1
	s_andn2_saveexec_b64 s[10:11], s[0:1]
; %bb.241:                              ;   in Loop: Header=BB334_115 Depth=1
	v_or_b32_e32 v48, 0x10000, v47
	v_cmp_eq_u32_sdwa s[0:1], v47, v13 src0_sel:WORD_0 src1_sel:DWORD
	s_nop 1
	v_cndmask_b32_e64 v48, v48, v47, s[0:1]
; %bb.242:                              ;   in Loop: Header=BB334_115 Depth=1
	s_or_b64 exec, exec, s[10:11]
	v_lshrrev_b32_e32 v3, 24, v3
	v_cvt_f32_fp8_sdwa v3, v3 src0_sel:BYTE_0
	s_nop 0
	v_mul_f32_e32 v47, s21, v3
	v_and_b32_e32 v3, 0x7f800000, v47
	v_cmp_ne_u32_e64 s[0:1], s18, v3
                                        ; implicit-def: $vgpr3
	s_and_saveexec_b64 s[10:11], s[0:1]
	s_xor_b64 s[0:1], exec, s[10:11]
; %bb.243:                              ;   in Loop: Header=BB334_115 Depth=1
	v_bfe_u32 v3, v47, 16, 1
	v_add3_u32 v3, v47, v3, s19
                                        ; implicit-def: $vgpr47
; %bb.244:                              ;   in Loop: Header=BB334_115 Depth=1
	s_andn2_saveexec_b64 s[10:11], s[0:1]
; %bb.245:                              ;   in Loop: Header=BB334_115 Depth=1
	v_or_b32_e32 v3, 0x10000, v47
	v_cmp_eq_u32_sdwa s[0:1], v47, v13 src0_sel:WORD_0 src1_sel:DWORD
	s_nop 1
	v_cndmask_b32_e64 v3, v3, v47, s[0:1]
; %bb.246:                              ;   in Loop: Header=BB334_115 Depth=1
	s_or_b64 exec, exec, s[10:11]
	v_lshrrev_b32_e32 v44, 16, v44
	v_lshrrev_b32_e32 v46, 16, v46
	;; [unrolled: 1-line block ×8, first 2 shown]
	s_and_saveexec_b64 s[0:1], vcc
	s_cbranch_execz .LBB334_248
; %bb.247:                              ;   in Loop: Header=BB334_115 Depth=1
	v_cmp_gt_i32_e32 vcc, s33, v25
	s_nop 1
	v_cndmask_b32_e32 v2, 0, v2, vcc
	v_cmp_gt_i32_e32 vcc, s33, v32
	s_nop 1
	v_cndmask_b32_e32 v43, 0, v43, vcc
	v_cmp_gt_i32_e32 vcc, s33, v31
	s_nop 1
	v_cndmask_b32_e32 v45, 0, v45, vcc
	v_cmp_gt_i32_e32 vcc, s33, v30
	s_nop 1
	v_cndmask_b32_e32 v47, 0, v47, vcc
	v_cmp_gt_i32_e32 vcc, s33, v29
	s_nop 1
	v_cndmask_b32_e32 v46, 0, v46, vcc
	v_cmp_gt_i32_e32 vcc, s33, v28
	s_nop 1
	v_cndmask_b32_e32 v44, 0, v44, vcc
	v_cmp_gt_i32_e32 vcc, s33, v27
	s_nop 1
	v_cndmask_b32_e32 v42, 0, v42, vcc
	v_cmp_gt_i32_e32 vcc, s33, v26
	s_nop 1
	v_cndmask_b32_e32 v3, 0, v3, vcc
.LBB334_248:                            ;   in Loop: Header=BB334_115 Depth=1
	s_or_b64 exec, exec, s[0:1]
	v_lshlrev_b32_e32 v2, 16, v2
	v_mul_f32_e32 v25, v34, v2
	v_and_b32_e32 v2, 0x7f800000, v25
	v_cmp_ne_u32_e32 vcc, s18, v2
                                        ; implicit-def: $vgpr2
	s_and_saveexec_b64 s[0:1], vcc
	s_xor_b64 s[0:1], exec, s[0:1]
; %bb.249:                              ;   in Loop: Header=BB334_115 Depth=1
	v_bfe_u32 v2, v25, 16, 1
	v_add3_u32 v2, v25, v2, s19
                                        ; implicit-def: $vgpr25
; %bb.250:                              ;   in Loop: Header=BB334_115 Depth=1
	s_andn2_saveexec_b64 s[0:1], s[0:1]
; %bb.251:                              ;   in Loop: Header=BB334_115 Depth=1
	v_or_b32_e32 v2, 0x10000, v25
	v_cmp_eq_u32_sdwa vcc, v25, v13 src0_sel:WORD_0 src1_sel:DWORD
	s_nop 1
	v_cndmask_b32_e32 v2, v2, v25, vcc
; %bb.252:                              ;   in Loop: Header=BB334_115 Depth=1
	s_or_b64 exec, exec, s[0:1]
	v_lshlrev_b32_e32 v25, 16, v43
	v_mul_f32_e32 v26, v35, v25
	v_and_b32_e32 v25, 0x7f800000, v26
	v_cmp_ne_u32_e32 vcc, s18, v25
                                        ; implicit-def: $vgpr25
	s_and_saveexec_b64 s[0:1], vcc
	s_xor_b64 s[0:1], exec, s[0:1]
; %bb.253:                              ;   in Loop: Header=BB334_115 Depth=1
	v_bfe_u32 v25, v26, 16, 1
	v_add3_u32 v25, v26, v25, s19
                                        ; implicit-def: $vgpr26
; %bb.254:                              ;   in Loop: Header=BB334_115 Depth=1
	s_andn2_saveexec_b64 s[0:1], s[0:1]
; %bb.255:                              ;   in Loop: Header=BB334_115 Depth=1
	v_or_b32_e32 v25, 0x10000, v26
	v_cmp_eq_u32_sdwa vcc, v26, v13 src0_sel:WORD_0 src1_sel:DWORD
	s_nop 1
	v_cndmask_b32_e32 v25, v25, v26, vcc
; %bb.256:                              ;   in Loop: Header=BB334_115 Depth=1
	s_or_b64 exec, exec, s[0:1]
	v_lshlrev_b32_e32 v26, 16, v45
	v_mul_f32_e32 v27, v36, v26
	v_and_b32_e32 v26, 0x7f800000, v27
	v_cmp_ne_u32_e32 vcc, s18, v26
                                        ; implicit-def: $vgpr26
	s_and_saveexec_b64 s[0:1], vcc
	s_xor_b64 s[0:1], exec, s[0:1]
; %bb.257:                              ;   in Loop: Header=BB334_115 Depth=1
	v_bfe_u32 v26, v27, 16, 1
	v_add3_u32 v26, v27, v26, s19
                                        ; implicit-def: $vgpr27
; %bb.258:                              ;   in Loop: Header=BB334_115 Depth=1
	s_andn2_saveexec_b64 s[0:1], s[0:1]
; %bb.259:                              ;   in Loop: Header=BB334_115 Depth=1
	v_or_b32_e32 v26, 0x10000, v27
	v_cmp_eq_u32_sdwa vcc, v27, v13 src0_sel:WORD_0 src1_sel:DWORD
	s_nop 1
	v_cndmask_b32_e32 v26, v26, v27, vcc
; %bb.260:                              ;   in Loop: Header=BB334_115 Depth=1
	s_or_b64 exec, exec, s[0:1]
	v_lshlrev_b32_e32 v27, 16, v47
	v_mul_f32_e32 v28, v37, v27
	v_and_b32_e32 v27, 0x7f800000, v28
	v_cmp_ne_u32_e32 vcc, s18, v27
                                        ; implicit-def: $vgpr27
	s_and_saveexec_b64 s[0:1], vcc
	s_xor_b64 s[0:1], exec, s[0:1]
; %bb.261:                              ;   in Loop: Header=BB334_115 Depth=1
	v_bfe_u32 v27, v28, 16, 1
	v_add3_u32 v27, v28, v27, s19
                                        ; implicit-def: $vgpr28
; %bb.262:                              ;   in Loop: Header=BB334_115 Depth=1
	s_andn2_saveexec_b64 s[0:1], s[0:1]
; %bb.263:                              ;   in Loop: Header=BB334_115 Depth=1
	v_or_b32_e32 v27, 0x10000, v28
	v_cmp_eq_u32_sdwa vcc, v28, v13 src0_sel:WORD_0 src1_sel:DWORD
	s_nop 1
	v_cndmask_b32_e32 v27, v27, v28, vcc
; %bb.264:                              ;   in Loop: Header=BB334_115 Depth=1
	s_or_b64 exec, exec, s[0:1]
	v_lshlrev_b32_e32 v28, 16, v46
	v_mul_f32_e32 v29, v38, v28
	v_and_b32_e32 v28, 0x7f800000, v29
	v_cmp_ne_u32_e32 vcc, s18, v28
                                        ; implicit-def: $vgpr28
	s_and_saveexec_b64 s[0:1], vcc
	s_xor_b64 s[0:1], exec, s[0:1]
; %bb.265:                              ;   in Loop: Header=BB334_115 Depth=1
	v_bfe_u32 v28, v29, 16, 1
	v_add3_u32 v28, v29, v28, s19
                                        ; implicit-def: $vgpr29
; %bb.266:                              ;   in Loop: Header=BB334_115 Depth=1
	s_andn2_saveexec_b64 s[0:1], s[0:1]
; %bb.267:                              ;   in Loop: Header=BB334_115 Depth=1
	v_or_b32_e32 v28, 0x10000, v29
	v_cmp_eq_u32_sdwa vcc, v29, v13 src0_sel:WORD_0 src1_sel:DWORD
	s_nop 1
	v_cndmask_b32_e32 v28, v28, v29, vcc
; %bb.268:                              ;   in Loop: Header=BB334_115 Depth=1
	s_or_b64 exec, exec, s[0:1]
	v_lshlrev_b32_e32 v29, 16, v44
	v_mul_f32_e32 v30, v39, v29
	v_and_b32_e32 v29, 0x7f800000, v30
	v_cmp_ne_u32_e32 vcc, s18, v29
                                        ; implicit-def: $vgpr29
	s_and_saveexec_b64 s[0:1], vcc
	s_xor_b64 s[0:1], exec, s[0:1]
; %bb.269:                              ;   in Loop: Header=BB334_115 Depth=1
	v_bfe_u32 v29, v30, 16, 1
	v_add3_u32 v29, v30, v29, s19
                                        ; implicit-def: $vgpr30
; %bb.270:                              ;   in Loop: Header=BB334_115 Depth=1
	s_andn2_saveexec_b64 s[0:1], s[0:1]
; %bb.271:                              ;   in Loop: Header=BB334_115 Depth=1
	v_or_b32_e32 v29, 0x10000, v30
	v_cmp_eq_u32_sdwa vcc, v30, v13 src0_sel:WORD_0 src1_sel:DWORD
	s_nop 1
	v_cndmask_b32_e32 v29, v29, v30, vcc
; %bb.272:                              ;   in Loop: Header=BB334_115 Depth=1
	s_or_b64 exec, exec, s[0:1]
	v_lshlrev_b32_e32 v30, 16, v42
	v_mul_f32_e32 v31, v40, v30
	v_and_b32_e32 v30, 0x7f800000, v31
	v_cmp_ne_u32_e32 vcc, s18, v30
                                        ; implicit-def: $vgpr30
	s_and_saveexec_b64 s[0:1], vcc
	s_xor_b64 s[0:1], exec, s[0:1]
; %bb.273:                              ;   in Loop: Header=BB334_115 Depth=1
	v_bfe_u32 v30, v31, 16, 1
	v_add3_u32 v30, v31, v30, s19
                                        ; implicit-def: $vgpr31
; %bb.274:                              ;   in Loop: Header=BB334_115 Depth=1
	s_andn2_saveexec_b64 s[0:1], s[0:1]
; %bb.275:                              ;   in Loop: Header=BB334_115 Depth=1
	v_or_b32_e32 v30, 0x10000, v31
	v_cmp_eq_u32_sdwa vcc, v31, v13 src0_sel:WORD_0 src1_sel:DWORD
	s_nop 1
	v_cndmask_b32_e32 v30, v30, v31, vcc
; %bb.276:                              ;   in Loop: Header=BB334_115 Depth=1
	s_or_b64 exec, exec, s[0:1]
	v_lshlrev_b32_e32 v3, 16, v3
	v_mul_f32_e32 v31, v41, v3
	v_and_b32_e32 v3, 0x7f800000, v31
	v_cmp_ne_u32_e32 vcc, s18, v3
                                        ; implicit-def: $vgpr3
	s_and_saveexec_b64 s[0:1], vcc
	s_xor_b64 s[0:1], exec, s[0:1]
; %bb.277:                              ;   in Loop: Header=BB334_115 Depth=1
	v_bfe_u32 v3, v31, 16, 1
	v_add3_u32 v3, v31, v3, s19
                                        ; implicit-def: $vgpr31
; %bb.278:                              ;   in Loop: Header=BB334_115 Depth=1
	s_andn2_saveexec_b64 s[0:1], s[0:1]
	s_cbranch_execz .LBB334_113
; %bb.279:                              ;   in Loop: Header=BB334_115 Depth=1
	v_or_b32_e32 v3, 0x10000, v31
	v_cmp_eq_u32_sdwa vcc, v31, v13 src0_sel:WORD_0 src1_sel:DWORD
	s_nop 1
	v_cndmask_b32_e32 v3, v3, v31, vcc
	s_branch .LBB334_113
.LBB334_280:
	s_or_b64 exec, exec, s[6:7]
.LBB334_281:
	s_or_b64 exec, exec, s[2:3]
	ds_bpermute_b32 v2, v21, v14
	ds_bpermute_b32 v3, v21, v15
	v_and_b32_e32 v1, 0x3c1, v0
	v_cmp_eq_u32_e32 vcc, 64, v1
	s_waitcnt lgkmcnt(0)
	s_barrier
	v_pk_add_f32 v[2:3], v[14:15], v[2:3]
	s_and_saveexec_b64 s[0:1], vcc
	s_cbranch_execz .LBB334_283
; %bb.282:
	v_mov_b32_e32 v1, 0x90
	v_lshl_add_u32 v1, v20, 1, v1
	ds_write2_b32 v1, v2, v3 offset1:32
.LBB334_283:
	s_or_b64 exec, exec, s[0:1]
	v_cmp_gt_u32_e32 vcc, 64, v0
	s_waitcnt lgkmcnt(0)
	s_barrier
	s_and_saveexec_b64 s[2:3], vcc
	s_cbranch_execz .LBB334_289
; %bb.284:
	v_cmp_eq_u32_e64 s[0:1], 0, v22
	v_lshrrev_b32_e32 v1, 1, v0
	s_and_saveexec_b64 s[6:7], s[0:1]
	s_cbranch_execz .LBB334_286
; %bb.285:
	v_mov_b32_e32 v4, 0x90
	v_lshl_add_u32 v4, v1, 2, v4
	ds_read_b32 v4, v4
	s_waitcnt lgkmcnt(0)
	v_add_f32_e32 v2, v2, v4
.LBB334_286:
	s_or_b64 exec, exec, s[6:7]
	s_and_saveexec_b64 s[6:7], s[0:1]
	s_cbranch_execz .LBB334_288
; %bb.287:
	v_mov_b32_e32 v4, 0x90
	v_lshl_add_u32 v1, v1, 2, v4
	ds_read_b32 v1, v1 offset:128
	s_waitcnt lgkmcnt(0)
	v_add_f32_e32 v3, v3, v1
.LBB334_288:
	s_or_b64 exec, exec, s[6:7]
.LBB334_289:
	s_or_b64 exec, exec, s[2:3]
	s_barrier
	s_and_saveexec_b64 s[0:1], vcc
	s_cbranch_execz .LBB334_300
; %bb.290:
	v_cmp_eq_u32_e32 vcc, 0, v22
	s_and_b64 exec, exec, vcc
	s_cbranch_execz .LBB334_300
; %bb.291:
	s_mov_b32 s0, 0x7f800000
	v_and_b32_e32 v1, 0x7f800000, v2
	v_cmp_ne_u32_e32 vcc, s0, v1
                                        ; implicit-def: $vgpr4
	s_and_saveexec_b64 s[0:1], vcc
	s_xor_b64 s[0:1], exec, s[0:1]
; %bb.292:
	v_bfe_u32 v1, v2, 16, 1
	s_movk_i32 s2, 0x7fff
	v_add3_u32 v4, v2, v1, s2
; %bb.293:
	s_andn2_saveexec_b64 s[0:1], s[0:1]
; %bb.294:
	v_mov_b32_e32 v1, 0
	v_or_b32_e32 v4, 0x10000, v2
	v_cmp_eq_u32_sdwa vcc, v2, v1 src0_sel:WORD_0 src1_sel:DWORD
	s_nop 1
	v_cndmask_b32_e32 v4, v4, v2, vcc
; %bb.295:
	s_or_b64 exec, exec, s[0:1]
	s_mul_i32 s0, s16, s28
	s_mul_i32 s0, s0, s29
	s_lshl_b32 s0, s0, 6
	s_ashr_i32 s1, s0, 31
	s_lshl_b64 s[0:1], s[0:1], 1
	s_add_u32 s2, s34, s0
	s_mul_i32 s0, s16, s30
	s_addc_u32 s3, s35, s1
	s_ashr_i32 s1, s0, 31
	s_lshl_b64 s[0:1], s[0:1], 1
	s_add_u32 s2, s2, s0
	s_addc_u32 s3, s3, s1
	s_lshl_b32 s0, s4, 6
	s_ashr_i32 s1, s0, 31
	s_lshl_b64 s[0:1], s[0:1], 1
	s_add_u32 s0, s2, s0
	s_mov_b32 s2, 0x7f800000
	v_and_b32_e32 v2, 0x7f800000, v3
	s_addc_u32 s1, s3, s1
	v_and_b32_e32 v0, 0x3fe, v0
	v_mov_b32_e32 v1, 0
	v_cmp_ne_u32_e32 vcc, s2, v2
	global_store_short_d16_hi v0, v4, s[0:1]
                                        ; implicit-def: $vgpr4
	s_and_saveexec_b64 s[2:3], vcc
	s_xor_b64 s[2:3], exec, s[2:3]
; %bb.296:
	v_bfe_u32 v2, v3, 16, 1
	s_movk_i32 s4, 0x7fff
	v_add3_u32 v4, v3, v2, s4
                                        ; implicit-def: $vgpr2_vgpr3
; %bb.297:
	s_or_saveexec_b64 s[2:3], s[2:3]
	v_lshl_add_u64 v[0:1], s[0:1], 0, v[0:1]
	s_xor_b64 exec, exec, s[2:3]
; %bb.298:
	v_mov_b32_e32 v2, 0
	v_or_b32_e32 v4, 0x10000, v3
	v_cmp_eq_u32_sdwa vcc, v3, v2 src0_sel:WORD_0 src1_sel:DWORD
	s_nop 1
	v_cndmask_b32_e32 v4, v4, v3, vcc
; %bb.299:
	s_or_b64 exec, exec, s[2:3]
	global_store_short_d16_hi v[0:1], v4, off offset:64
.LBB334_300:
	s_endpgm
	.section	.rodata,"a",@progbits
	.p2align	6, 0x0
	.amdhsa_kernel _ZN4vllm25paged_attention_v2_kernelI14__hip_bfloat16hLi64ELi16ELi128ELNS_18Fp8KVCacheDataTypeE1ELb1ELi512EEEvPfS3_PT_PKS4_PKT0_SA_ifPKiSC_iPKfiiiSE_SE_iiiii
		.amdhsa_group_segment_fixed_size 144
		.amdhsa_private_segment_fixed_size 0
		.amdhsa_kernarg_size 400
		.amdhsa_user_sgpr_count 2
		.amdhsa_user_sgpr_dispatch_ptr 0
		.amdhsa_user_sgpr_queue_ptr 0
		.amdhsa_user_sgpr_kernarg_segment_ptr 1
		.amdhsa_user_sgpr_dispatch_id 0
		.amdhsa_user_sgpr_kernarg_preload_length 0
		.amdhsa_user_sgpr_kernarg_preload_offset 0
		.amdhsa_user_sgpr_private_segment_size 0
		.amdhsa_uses_dynamic_stack 0
		.amdhsa_enable_private_segment 0
		.amdhsa_system_sgpr_workgroup_id_x 1
		.amdhsa_system_sgpr_workgroup_id_y 1
		.amdhsa_system_sgpr_workgroup_id_z 1
		.amdhsa_system_sgpr_workgroup_info 0
		.amdhsa_system_vgpr_workitem_id 0
		.amdhsa_next_free_vgpr 56
		.amdhsa_next_free_sgpr 60
		.amdhsa_accum_offset 56
		.amdhsa_reserve_vcc 1
		.amdhsa_float_round_mode_32 0
		.amdhsa_float_round_mode_16_64 0
		.amdhsa_float_denorm_mode_32 3
		.amdhsa_float_denorm_mode_16_64 3
		.amdhsa_dx10_clamp 1
		.amdhsa_ieee_mode 1
		.amdhsa_fp16_overflow 0
		.amdhsa_tg_split 0
		.amdhsa_exception_fp_ieee_invalid_op 0
		.amdhsa_exception_fp_denorm_src 0
		.amdhsa_exception_fp_ieee_div_zero 0
		.amdhsa_exception_fp_ieee_overflow 0
		.amdhsa_exception_fp_ieee_underflow 0
		.amdhsa_exception_fp_ieee_inexact 0
		.amdhsa_exception_int_div_zero 0
	.end_amdhsa_kernel
	.section	.text._ZN4vllm25paged_attention_v2_kernelI14__hip_bfloat16hLi64ELi16ELi128ELNS_18Fp8KVCacheDataTypeE1ELb1ELi512EEEvPfS3_PT_PKS4_PKT0_SA_ifPKiSC_iPKfiiiSE_SE_iiiii,"axG",@progbits,_ZN4vllm25paged_attention_v2_kernelI14__hip_bfloat16hLi64ELi16ELi128ELNS_18Fp8KVCacheDataTypeE1ELb1ELi512EEEvPfS3_PT_PKS4_PKT0_SA_ifPKiSC_iPKfiiiSE_SE_iiiii,comdat
.Lfunc_end334:
	.size	_ZN4vllm25paged_attention_v2_kernelI14__hip_bfloat16hLi64ELi16ELi128ELNS_18Fp8KVCacheDataTypeE1ELb1ELi512EEEvPfS3_PT_PKS4_PKT0_SA_ifPKiSC_iPKfiiiSE_SE_iiiii, .Lfunc_end334-_ZN4vllm25paged_attention_v2_kernelI14__hip_bfloat16hLi64ELi16ELi128ELNS_18Fp8KVCacheDataTypeE1ELb1ELi512EEEvPfS3_PT_PKS4_PKT0_SA_ifPKiSC_iPKfiiiSE_SE_iiiii
                                        ; -- End function
	.section	.AMDGPU.csdata,"",@progbits
; Kernel info:
; codeLenInByte = 10096
; NumSgprs: 66
; NumVgprs: 56
; NumAgprs: 0
; TotalNumVgprs: 56
; ScratchSize: 0
; MemoryBound: 0
; FloatMode: 240
; IeeeMode: 1
; LDSByteSize: 144 bytes/workgroup (compile time only)
; SGPRBlocks: 8
; VGPRBlocks: 6
; NumSGPRsForWavesPerEU: 66
; NumVGPRsForWavesPerEU: 56
; AccumOffset: 56
; Occupancy: 8
; WaveLimiterHint : 1
; COMPUTE_PGM_RSRC2:SCRATCH_EN: 0
; COMPUTE_PGM_RSRC2:USER_SGPR: 2
; COMPUTE_PGM_RSRC2:TRAP_HANDLER: 0
; COMPUTE_PGM_RSRC2:TGID_X_EN: 1
; COMPUTE_PGM_RSRC2:TGID_Y_EN: 1
; COMPUTE_PGM_RSRC2:TGID_Z_EN: 1
; COMPUTE_PGM_RSRC2:TIDIG_COMP_CNT: 0
; COMPUTE_PGM_RSRC3_GFX90A:ACCUM_OFFSET: 13
; COMPUTE_PGM_RSRC3_GFX90A:TG_SPLIT: 0
	.section	.text._ZN4vllm25paged_attention_v2_kernelI14__hip_bfloat16hLi80ELi16ELi128ELNS_18Fp8KVCacheDataTypeE1ELb1ELi512EEEvPfS3_PT_PKS4_PKT0_SA_ifPKiSC_iPKfiiiSE_SE_iiiii,"axG",@progbits,_ZN4vllm25paged_attention_v2_kernelI14__hip_bfloat16hLi80ELi16ELi128ELNS_18Fp8KVCacheDataTypeE1ELb1ELi512EEEvPfS3_PT_PKS4_PKT0_SA_ifPKiSC_iPKfiiiSE_SE_iiiii,comdat
	.protected	_ZN4vllm25paged_attention_v2_kernelI14__hip_bfloat16hLi80ELi16ELi128ELNS_18Fp8KVCacheDataTypeE1ELb1ELi512EEEvPfS3_PT_PKS4_PKT0_SA_ifPKiSC_iPKfiiiSE_SE_iiiii ; -- Begin function _ZN4vllm25paged_attention_v2_kernelI14__hip_bfloat16hLi80ELi16ELi128ELNS_18Fp8KVCacheDataTypeE1ELb1ELi512EEEvPfS3_PT_PKS4_PKT0_SA_ifPKiSC_iPKfiiiSE_SE_iiiii
	.globl	_ZN4vllm25paged_attention_v2_kernelI14__hip_bfloat16hLi80ELi16ELi128ELNS_18Fp8KVCacheDataTypeE1ELb1ELi512EEEvPfS3_PT_PKS4_PKT0_SA_ifPKiSC_iPKfiiiSE_SE_iiiii
	.p2align	8
	.type	_ZN4vllm25paged_attention_v2_kernelI14__hip_bfloat16hLi80ELi16ELi128ELNS_18Fp8KVCacheDataTypeE1ELb1ELi512EEEvPfS3_PT_PKS4_PKT0_SA_ifPKiSC_iPKfiiiSE_SE_iiiii,@function
_ZN4vllm25paged_attention_v2_kernelI14__hip_bfloat16hLi80ELi16ELi128ELNS_18Fp8KVCacheDataTypeE1ELb1ELi512EEEvPfS3_PT_PKS4_PKT0_SA_ifPKiSC_iPKfiiiSE_SE_iiiii: ; @_ZN4vllm25paged_attention_v2_kernelI14__hip_bfloat16hLi80ELi16ELi128ELNS_18Fp8KVCacheDataTypeE1ELb1ELi512EEEvPfS3_PT_PKS4_PKT0_SA_ifPKiSC_iPKfiiiSE_SE_iiiii
; %bb.0:
	s_load_dwordx2 s[6:7], s[0:1], 0x40
	s_mov_b32 s34, s3
	s_ashr_i32 s35, s3, 31
	s_lshl_b64 s[8:9], s[34:35], 2
	s_waitcnt lgkmcnt(0)
	s_add_u32 s6, s6, s8
	s_addc_u32 s7, s7, s9
	s_load_dword s33, s[6:7], 0x0
	s_lshl_b32 s50, s4, 9
	s_waitcnt lgkmcnt(0)
	s_cmp_ge_i32 s50, s33
	s_cbranch_scc1 .LBB335_395
; %bb.1:
	s_load_dword s5, s[0:1], 0x90
	s_load_dwordx2 s[42:43], s[0:1], 0x30
	s_mov_b32 s51, 0
	s_waitcnt lgkmcnt(0)
	s_abs_i32 s7, s5
	s_abs_i32 s3, s42
	v_cvt_f32_u32_e32 v1, s3
	s_sub_i32 s8, 0, s3
	s_xor_b32 s6, s5, s42
	s_ashr_i32 s6, s6, 31
	v_rcp_iflag_f32_e32 v1, v1
	s_nop 0
	v_mul_f32_e32 v1, 0x4f7ffffe, v1
	v_cvt_u32_f32_e32 v1, v1
	s_nop 0
	v_readfirstlane_b32 s9, v1
	s_mul_i32 s8, s8, s9
	s_mul_hi_u32 s8, s9, s8
	s_add_i32 s9, s9, s8
	s_mul_hi_u32 s8, s7, s9
	s_mul_i32 s9, s8, s3
	s_sub_i32 s7, s7, s9
	s_add_i32 s10, s8, 1
	s_sub_i32 s9, s7, s3
	s_cmp_ge_u32 s7, s3
	s_cselect_b32 s8, s10, s8
	s_cselect_b32 s7, s9, s7
	s_add_i32 s9, s8, 1
	s_cmp_ge_u32 s7, s3
	s_cselect_b32 s3, s9, s8
	s_xor_b32 s3, s3, s6
	s_sub_i32 s11, s3, s6
	s_abs_i32 s8, s11
	v_cvt_f32_u32_e32 v1, s8
	s_load_dwordx2 s[6:7], s[0:1], 0x50
	s_sub_i32 s3, 0, s8
	s_abs_i32 s9, s2
	v_rcp_iflag_f32_e32 v1, v1
	s_nop 0
	v_mul_f32_e32 v1, 0x4f7ffffe, v1
	v_cvt_u32_f32_e32 v1, v1
	s_nop 0
	v_readfirstlane_b32 s10, v1
	s_mul_i32 s3, s3, s10
	s_mul_hi_u32 s3, s10, s3
	s_add_i32 s10, s10, s3
	s_waitcnt lgkmcnt(0)
	s_cmp_eq_u64 s[6:7], 0
	s_mul_hi_u32 s10, s9, s10
	s_cbranch_scc1 .LBB335_3
; %bb.2:
	s_ashr_i32 s3, s2, 31
	s_lshl_b64 s[12:13], s[2:3], 2
	s_add_u32 s6, s6, s12
	s_addc_u32 s7, s7, s13
	s_load_dword s51, s[6:7], 0x0
.LBB335_3:
	s_load_dwordx4 s[16:19], s[0:1], 0x58
	s_ashr_i32 s3, s2, 31
	s_ashr_i32 s11, s11, 31
	v_and_b32_e32 v2, 3, v0
	s_mul_i32 s28, s2, 0x50
	v_cmp_gt_u32_e32 vcc, 40, v0
	s_and_saveexec_b64 s[6:7], vcc
	s_cbranch_execz .LBB335_5
; %bb.4:
	s_load_dwordx2 s[12:13], s[0:1], 0x18
	s_waitcnt lgkmcnt(0)
	s_mul_i32 s14, s34, s16
	s_ashr_i32 s15, s14, 31
	s_lshl_b64 s[14:15], s[14:15], 1
	v_lshlrev_b32_e32 v1, 2, v0
	s_add_u32 s14, s12, s14
	s_addc_u32 s15, s13, s15
	s_ashr_i32 s29, s28, 31
	s_lshl_b64 s[12:13], s[28:29], 1
	s_add_u32 s12, s14, s12
	s_addc_u32 s13, s15, s13
	global_load_dword v1, v1, s[12:13]
	v_and_b32_e32 v3, 0x3fc, v0
	v_mad_u32_u24 v3, v2, 40, v3
	s_waitcnt vmcnt(0)
	ds_write_b32 v3, v1
.LBB335_5:
	s_or_b64 exec, exec, s[6:7]
	s_mul_i32 s6, s10, s8
	s_sub_i32 s6, s9, s6
	s_xor_b32 s3, s3, s11
	s_add_i32 s7, s10, 1
	s_sub_i32 s9, s6, s8
	s_load_dwordx4 s[20:23], s[0:1], 0x78
	s_cmp_ge_u32 s6, s8
	s_cselect_b32 s7, s7, s10
	s_cselect_b32 s6, s9, s6
	s_add_i32 s9, s7, 1
	s_cmp_ge_u32 s6, s8
	s_cselect_b32 s6, s9, s7
	s_load_dword s9, s[0:1], 0x88
	s_waitcnt lgkmcnt(0)
	s_abs_i32 s29, s23
	v_cvt_f32_u32_e32 v1, s29
	s_xor_b32 s6, s6, s3
	s_sub_i32 s10, s6, s3
	s_sub_i32 s6, 0, s29
	v_rcp_iflag_f32_e32 v1, v1
	s_add_i32 s11, s33, -1
	s_abs_i32 s3, s11
	v_mul_f32_e32 v1, 0x4f7ffffe, v1
	v_cvt_u32_f32_e32 v1, v1
	s_barrier
	v_readfirstlane_b32 s35, v1
	s_mul_i32 s6, s6, s35
	s_mul_hi_u32 s6, s35, s6
	s_add_i32 s35, s35, s6
	s_cmp_lt_i32 s9, 0
	s_mul_hi_u32 s8, s3, s35
	s_cbranch_scc0 .LBB335_7
; %bb.6:
	s_mul_i32 s6, s20, s42
	s_add_i32 s6, s10, s6
	s_mul_i32 s6, s6, s9
	s_sub_i32 s42, 1, s6
	s_mov_b64 s[6:7], 0
	s_branch .LBB335_8
.LBB335_7:
	s_mov_b64 s[6:7], -1
                                        ; implicit-def: $sgpr42
.LBB335_8:
	s_load_dwordx2 s[36:37], s[0:1], 0x38
	s_ashr_i32 s11, s11, 31
	s_andn2_b64 vcc, exec, s[6:7]
	s_ashr_i32 s48, s23, 31
	s_cbranch_vccnz .LBB335_10
; %bb.9:
	s_mul_i32 s6, s5, s20
	s_add_i32 s6, s6, s2
	s_mul_i32 s6, s6, s9
	s_add_i32 s42, s6, 1
.LBB335_10:
	s_load_dwordx2 s[40:41], s[0:1], 0x28
	s_load_dword s6, s[0:1], 0x48
	s_load_dwordx4 s[24:27], s[0:1], 0x0
	s_load_dwordx2 s[30:31], s[0:1], 0x10
	s_load_dword s23, s[0:1], 0x98
	s_load_dwordx4 s[12:15], s[0:1], 0x68
	s_mul_i32 s7, s8, s29
	s_waitcnt lgkmcnt(0)
	s_mul_i32 s38, s34, s6
	s_sub_i32 s3, s3, s7
	s_ashr_i32 s39, s38, 31
	s_xor_b32 s6, s11, s48
	s_add_i32 s7, s8, 1
	s_sub_i32 s9, s3, s29
	s_cmp_ge_u32 s3, s29
	s_cselect_b32 s7, s7, s8
	s_cselect_b32 s3, s9, s3
	s_add_i32 s8, s7, 1
	s_cmp_ge_u32 s3, s29
	s_cselect_b32 s3, s8, s7
	s_xor_b32 s3, s3, s6
	s_sub_i32 s16, s3, s6
	s_add_i32 s3, s33, 15
	s_ashr_i32 s6, s3, 31
	s_lshr_b32 s6, s6, 28
	s_add_i32 s3, s3, s6
	s_lshl_b32 s52, s4, 5
	s_ashr_i32 s3, s3, 4
	s_add_i32 s6, s52, 32
	v_lshrrev_b32_e32 v26, 6, v0
	s_min_i32 s49, s6, s3
	v_or_b32_e32 v14, s52, v26
	v_cmp_gt_i32_e64 s[8:9], s49, v14
	v_mov_b32_e32 v25, 0xff7fffff
	s_mul_i32 s20, s10, s18
	v_ashrrev_i32_e32 v15, 31, v14
	v_lshl_add_u32 v1, v26, 4, s50
	v_mbcnt_lo_u32_b32 v22, -1, 0
	s_and_saveexec_b64 s[18:19], s[8:9]
	s_cbranch_execz .LBB335_100
; %bb.11:
	s_load_dwordx2 s[0:1], s[0:1], 0x20
	s_sub_i32 s53, s16, s21
	s_ashr_i32 s6, s20, 31
	v_bfe_u32 v23, v0, 2, 4
	v_mov_b32_e32 v11, 0
	s_waitcnt lgkmcnt(0)
	s_add_u32 s0, s0, s20
	s_addc_u32 s1, s1, s6
	s_abs_i32 s54, s22
	v_cvt_f32_u32_e32 v3, s54
	v_lshlrev_b32_e32 v10, 4, v23
	v_lshl_add_u64 v[12:13], s[0:1], 0, v[10:11]
	s_sub_i32 s0, 0, s54
	v_rcp_iflag_f32_e32 v3, v3
	v_cmp_eq_u32_e32 vcc, 0, v2
	v_mul_u32_u24_e32 v24, 40, v2
	v_lshlrev_b32_e32 v10, 1, v2
	v_mul_f32_e32 v3, 0x4f7ffffe, v3
	v_cvt_u32_f32_e32 v3, v3
	s_mov_b32 s55, s17
	v_cmp_neq_f32_e64 s[6:7], s51, 0
	v_lshl_add_u32 v28, v26, 4, s50
	v_mul_lo_u32 v2, s0, v3
	v_mul_hi_u32 v2, v3, v2
	v_add_u32_e32 v27, v3, v2
	s_lshl_b64 s[0:1], s[38:39], 2
	v_lshlrev_b32_e32 v2, 2, v23
	s_add_u32 s0, s36, s0
	v_lshl_or_b32 v2, v26, 6, v2
	s_addc_u32 s1, s37, s1
	v_add_u32_e32 v29, 0xb0, v2
	v_subrev_u32_e32 v2, s33, v23
	v_lshl_add_u64 v[16:17], v[14:15], 2, s[0:1]
	v_add_u32_e32 v30, 1, v2
	s_mov_b64 s[44:45], 0
	s_mov_b32 s56, 0xffff
	s_mov_b32 s57, 0x7f800000
	s_movk_i32 s58, 0x7fff
	v_mbcnt_hi_u32_b32 v31, -1, v22
	v_mov_b32_e32 v25, 0xff7fffff
	v_mov_b32_e32 v32, v14
	s_branch .LBB335_14
.LBB335_12:                             ;   in Loop: Header=BB335_14 Depth=1
	s_or_b64 exec, exec, s[46:47]
.LBB335_13:                             ;   in Loop: Header=BB335_14 Depth=1
	s_or_b64 exec, exec, s[10:11]
	v_add_u32_e32 v32, 2, v32
	v_cmp_le_i32_e64 s[0:1], s49, v32
	v_lshl_add_u64 v[16:17], v[16:17], 0, 8
	v_add_u32_e32 v28, 32, v28
	s_or_b64 s[44:45], s[0:1], s[44:45]
	v_add_u32_e32 v29, 0x80, v29
	s_andn2_b64 exec, exec, s[44:45]
	s_cbranch_execz .LBB335_99
.LBB335_14:                             ; =>This Inner Loop Header: Depth=1
	s_waitcnt lgkmcnt(0)
	v_sub_u32_e32 v3, 0, v28
	v_max_i32_e32 v3, v28, v3
	v_mul_hi_u32 v4, v3, s35
	v_mul_lo_u32 v5, v4, s29
	v_sub_u32_e32 v3, v3, v5
	v_add_u32_e32 v5, 1, v4
	v_cmp_le_u32_e64 s[0:1], s29, v3
	v_ashrrev_i32_e32 v2, 31, v28
	v_xor_b32_e32 v2, s48, v2
	v_cndmask_b32_e64 v4, v4, v5, s[0:1]
	v_subrev_u32_e32 v5, s29, v3
	v_cndmask_b32_e64 v3, v3, v5, s[0:1]
	v_add_u32_e32 v5, 1, v4
	v_cmp_le_u32_e64 s[0:1], s29, v3
	s_nop 1
	v_cndmask_b32_e64 v3, v4, v5, s[0:1]
	v_xor_b32_e32 v3, v3, v2
	v_sub_u32_e32 v2, v3, v2
	v_add_u32_e32 v3, s42, v2
	v_sub_u32_e32 v5, 0, v3
	v_ashrrev_i32_e32 v4, 31, v3
	v_max_i32_e32 v3, v3, v5
	v_mul_hi_u32 v5, v3, v27
	v_mul_lo_u32 v5, v5, s54
	v_sub_u32_e32 v3, v3, v5
	v_subrev_u32_e32 v5, s54, v3
	v_cmp_le_u32_e64 s[0:1], s54, v3
	v_cmp_ge_i32_e64 s[10:11], s53, v2
	s_nop 0
	v_cndmask_b32_e64 v3, v3, v5, s[0:1]
	v_subrev_u32_e32 v5, s54, v3
	v_cmp_le_u32_e64 s[0:1], s54, v3
	s_nop 1
	v_cndmask_b32_e64 v3, v3, v5, s[0:1]
	v_xor_b32_e32 v3, v3, v4
	v_sub_u32_e32 v3, v3, v4
	v_cmp_ne_u32_e64 s[0:1], 0, v3
	s_and_b64 s[0:1], s[0:1], s[10:11]
	s_and_b64 s[46:47], vcc, s[0:1]
	s_and_saveexec_b64 s[10:11], s[46:47]
	s_cbranch_execz .LBB335_16
; %bb.15:                               ;   in Loop: Header=BB335_14 Depth=1
	v_mov_b32_e32 v2, 0xff7fffff
	ds_write_b32 v29, v2
.LBB335_16:                             ;   in Loop: Header=BB335_14 Depth=1
	s_or_b64 exec, exec, s[10:11]
	s_xor_b64 s[0:1], s[0:1], -1
	s_and_saveexec_b64 s[10:11], s[0:1]
	s_cbranch_execz .LBB335_13
; %bb.17:                               ;   in Loop: Header=BB335_14 Depth=1
	global_load_dword v2, v[16:17], off
	s_load_dword s59, s[12:13], 0x0
	s_waitcnt vmcnt(0)
	v_mad_i64_i32 v[2:3], s[0:1], v2, s55, v[12:13]
	v_lshl_add_u64 v[20:21], v[2:3], 0, v[10:11]
	global_load_ushort v34, v[20:21], off
	s_waitcnt vmcnt(0)
	v_and_b32_sdwa v2, s56, v34 dst_sel:DWORD dst_unused:UNUSED_PAD src0_sel:DWORD src1_sel:BYTE_0
	v_cvt_f32_fp8_sdwa v33, v2 src0_sel:BYTE_0
	ds_read2_b64 v[6:9], v24 offset1:1
	ds_read2_b64 v[2:5], v24 offset0:2 offset1:3
	ds_read_b64 v[18:19], v24 offset:32
	s_waitcnt lgkmcnt(0)
	v_mul_f32_e32 v35, s59, v33
	v_and_b32_e32 v33, 0x7f800000, v35
	v_cmp_ne_u32_e64 s[0:1], s57, v33
                                        ; implicit-def: $vgpr33
	s_and_saveexec_b64 s[46:47], s[0:1]
	s_xor_b64 s[0:1], exec, s[46:47]
; %bb.18:                               ;   in Loop: Header=BB335_14 Depth=1
	v_bfe_u32 v33, v35, 16, 1
	v_add3_u32 v33, v35, v33, s58
                                        ; implicit-def: $vgpr35
; %bb.19:                               ;   in Loop: Header=BB335_14 Depth=1
	s_andn2_saveexec_b64 s[46:47], s[0:1]
; %bb.20:                               ;   in Loop: Header=BB335_14 Depth=1
	v_or_b32_e32 v33, 0x10000, v35
	v_cmp_eq_u32_sdwa s[0:1], v35, v11 src0_sel:WORD_0 src1_sel:DWORD
	s_nop 1
	v_cndmask_b32_e64 v33, v33, v35, s[0:1]
; %bb.21:                               ;   in Loop: Header=BB335_14 Depth=1
	s_or_b64 exec, exec, s[46:47]
	v_lshrrev_b16_e32 v34, 8, v34
	v_cvt_f32_fp8_sdwa v34, v34 src0_sel:BYTE_0
	s_nop 0
	v_mul_f32_e32 v35, s59, v34
	v_and_b32_e32 v34, 0x7f800000, v35
	v_cmp_ne_u32_e64 s[0:1], s57, v34
                                        ; implicit-def: $vgpr34
	s_and_saveexec_b64 s[46:47], s[0:1]
	s_xor_b64 s[0:1], exec, s[46:47]
; %bb.22:                               ;   in Loop: Header=BB335_14 Depth=1
	v_bfe_u32 v34, v35, 16, 1
	v_add3_u32 v34, v35, v34, s58
                                        ; implicit-def: $vgpr35
; %bb.23:                               ;   in Loop: Header=BB335_14 Depth=1
	s_andn2_saveexec_b64 s[46:47], s[0:1]
; %bb.24:                               ;   in Loop: Header=BB335_14 Depth=1
	v_or_b32_e32 v34, 0x10000, v35
	v_cmp_eq_u32_sdwa s[0:1], v35, v11 src0_sel:WORD_0 src1_sel:DWORD
	s_nop 1
	v_cndmask_b32_e64 v34, v34, v35, s[0:1]
; %bb.25:                               ;   in Loop: Header=BB335_14 Depth=1
	s_or_b64 exec, exec, s[46:47]
	global_load_ushort v36, v[20:21], off offset:8
	s_waitcnt vmcnt(0)
	v_and_b32_sdwa v35, s56, v36 dst_sel:DWORD dst_unused:UNUSED_PAD src0_sel:DWORD src1_sel:BYTE_0
	v_cvt_f32_fp8_sdwa v35, v35 src0_sel:BYTE_0
	s_nop 0
	v_mul_f32_e32 v37, s59, v35
	v_and_b32_e32 v35, 0x7f800000, v37
	v_cmp_ne_u32_e64 s[0:1], s57, v35
                                        ; implicit-def: $vgpr35
	s_and_saveexec_b64 s[46:47], s[0:1]
	s_xor_b64 s[0:1], exec, s[46:47]
; %bb.26:                               ;   in Loop: Header=BB335_14 Depth=1
	v_bfe_u32 v35, v37, 16, 1
	v_add3_u32 v35, v37, v35, s58
                                        ; implicit-def: $vgpr37
; %bb.27:                               ;   in Loop: Header=BB335_14 Depth=1
	s_andn2_saveexec_b64 s[46:47], s[0:1]
; %bb.28:                               ;   in Loop: Header=BB335_14 Depth=1
	v_or_b32_e32 v35, 0x10000, v37
	v_cmp_eq_u32_sdwa s[0:1], v37, v11 src0_sel:WORD_0 src1_sel:DWORD
	s_nop 1
	v_cndmask_b32_e64 v35, v35, v37, s[0:1]
; %bb.29:                               ;   in Loop: Header=BB335_14 Depth=1
	s_or_b64 exec, exec, s[46:47]
	v_lshrrev_b16_e32 v36, 8, v36
	v_cvt_f32_fp8_sdwa v36, v36 src0_sel:BYTE_0
	s_nop 0
	v_mul_f32_e32 v37, s59, v36
	v_and_b32_e32 v36, 0x7f800000, v37
	v_cmp_ne_u32_e64 s[0:1], s57, v36
                                        ; implicit-def: $vgpr36
	s_and_saveexec_b64 s[46:47], s[0:1]
	s_xor_b64 s[0:1], exec, s[46:47]
; %bb.30:                               ;   in Loop: Header=BB335_14 Depth=1
	v_bfe_u32 v36, v37, 16, 1
	v_add3_u32 v36, v37, v36, s58
                                        ; implicit-def: $vgpr37
; %bb.31:                               ;   in Loop: Header=BB335_14 Depth=1
	s_andn2_saveexec_b64 s[46:47], s[0:1]
; %bb.32:                               ;   in Loop: Header=BB335_14 Depth=1
	v_or_b32_e32 v36, 0x10000, v37
	v_cmp_eq_u32_sdwa s[0:1], v37, v11 src0_sel:WORD_0 src1_sel:DWORD
	s_nop 1
	v_cndmask_b32_e64 v36, v36, v37, s[0:1]
; %bb.33:                               ;   in Loop: Header=BB335_14 Depth=1
	s_or_b64 exec, exec, s[46:47]
	global_load_ushort v38, v[20:21], off offset:256
	s_waitcnt vmcnt(0)
	v_and_b32_sdwa v37, s56, v38 dst_sel:DWORD dst_unused:UNUSED_PAD src0_sel:DWORD src1_sel:BYTE_0
	v_cvt_f32_fp8_sdwa v37, v37 src0_sel:BYTE_0
	s_nop 0
	v_mul_f32_e32 v39, s59, v37
	v_and_b32_e32 v37, 0x7f800000, v39
	v_cmp_ne_u32_e64 s[0:1], s57, v37
                                        ; implicit-def: $vgpr37
	s_and_saveexec_b64 s[46:47], s[0:1]
	s_xor_b64 s[0:1], exec, s[46:47]
; %bb.34:                               ;   in Loop: Header=BB335_14 Depth=1
	v_bfe_u32 v37, v39, 16, 1
	v_add3_u32 v37, v39, v37, s58
                                        ; implicit-def: $vgpr39
; %bb.35:                               ;   in Loop: Header=BB335_14 Depth=1
	s_andn2_saveexec_b64 s[46:47], s[0:1]
; %bb.36:                               ;   in Loop: Header=BB335_14 Depth=1
	v_or_b32_e32 v37, 0x10000, v39
	v_cmp_eq_u32_sdwa s[0:1], v39, v11 src0_sel:WORD_0 src1_sel:DWORD
	s_nop 1
	v_cndmask_b32_e64 v37, v37, v39, s[0:1]
; %bb.37:                               ;   in Loop: Header=BB335_14 Depth=1
	s_or_b64 exec, exec, s[46:47]
	v_lshrrev_b16_e32 v38, 8, v38
	v_cvt_f32_fp8_sdwa v38, v38 src0_sel:BYTE_0
	s_nop 0
	v_mul_f32_e32 v39, s59, v38
	v_and_b32_e32 v38, 0x7f800000, v39
	v_cmp_ne_u32_e64 s[0:1], s57, v38
                                        ; implicit-def: $vgpr38
	s_and_saveexec_b64 s[46:47], s[0:1]
	s_xor_b64 s[0:1], exec, s[46:47]
; %bb.38:                               ;   in Loop: Header=BB335_14 Depth=1
	v_bfe_u32 v38, v39, 16, 1
	v_add3_u32 v38, v39, v38, s58
                                        ; implicit-def: $vgpr39
; %bb.39:                               ;   in Loop: Header=BB335_14 Depth=1
	s_andn2_saveexec_b64 s[46:47], s[0:1]
; %bb.40:                               ;   in Loop: Header=BB335_14 Depth=1
	v_or_b32_e32 v38, 0x10000, v39
	v_cmp_eq_u32_sdwa s[0:1], v39, v11 src0_sel:WORD_0 src1_sel:DWORD
	s_nop 1
	v_cndmask_b32_e64 v38, v38, v39, s[0:1]
; %bb.41:                               ;   in Loop: Header=BB335_14 Depth=1
	s_or_b64 exec, exec, s[46:47]
	global_load_ushort v40, v[20:21], off offset:264
	s_waitcnt vmcnt(0)
	v_and_b32_sdwa v39, s56, v40 dst_sel:DWORD dst_unused:UNUSED_PAD src0_sel:DWORD src1_sel:BYTE_0
	v_cvt_f32_fp8_sdwa v39, v39 src0_sel:BYTE_0
	s_nop 0
	v_mul_f32_e32 v41, s59, v39
	v_and_b32_e32 v39, 0x7f800000, v41
	v_cmp_ne_u32_e64 s[0:1], s57, v39
                                        ; implicit-def: $vgpr39
	s_and_saveexec_b64 s[46:47], s[0:1]
	s_xor_b64 s[0:1], exec, s[46:47]
; %bb.42:                               ;   in Loop: Header=BB335_14 Depth=1
	v_bfe_u32 v39, v41, 16, 1
	v_add3_u32 v39, v41, v39, s58
                                        ; implicit-def: $vgpr41
; %bb.43:                               ;   in Loop: Header=BB335_14 Depth=1
	s_andn2_saveexec_b64 s[46:47], s[0:1]
; %bb.44:                               ;   in Loop: Header=BB335_14 Depth=1
	v_or_b32_e32 v39, 0x10000, v41
	v_cmp_eq_u32_sdwa s[0:1], v41, v11 src0_sel:WORD_0 src1_sel:DWORD
	s_nop 1
	v_cndmask_b32_e64 v39, v39, v41, s[0:1]
; %bb.45:                               ;   in Loop: Header=BB335_14 Depth=1
	s_or_b64 exec, exec, s[46:47]
	v_lshrrev_b16_e32 v40, 8, v40
	v_cvt_f32_fp8_sdwa v40, v40 src0_sel:BYTE_0
	s_nop 0
	v_mul_f32_e32 v41, s59, v40
	v_and_b32_e32 v40, 0x7f800000, v41
	v_cmp_ne_u32_e64 s[0:1], s57, v40
                                        ; implicit-def: $vgpr40
	s_and_saveexec_b64 s[46:47], s[0:1]
	s_xor_b64 s[0:1], exec, s[46:47]
; %bb.46:                               ;   in Loop: Header=BB335_14 Depth=1
	v_bfe_u32 v40, v41, 16, 1
	v_add3_u32 v40, v41, v40, s58
                                        ; implicit-def: $vgpr41
; %bb.47:                               ;   in Loop: Header=BB335_14 Depth=1
	s_andn2_saveexec_b64 s[46:47], s[0:1]
; %bb.48:                               ;   in Loop: Header=BB335_14 Depth=1
	v_or_b32_e32 v40, 0x10000, v41
	v_cmp_eq_u32_sdwa s[0:1], v41, v11 src0_sel:WORD_0 src1_sel:DWORD
	s_nop 1
	v_cndmask_b32_e64 v40, v40, v41, s[0:1]
; %bb.49:                               ;   in Loop: Header=BB335_14 Depth=1
	s_or_b64 exec, exec, s[46:47]
	global_load_ushort v42, v[20:21], off offset:512
	s_waitcnt vmcnt(0)
	v_and_b32_sdwa v41, s56, v42 dst_sel:DWORD dst_unused:UNUSED_PAD src0_sel:DWORD src1_sel:BYTE_0
	v_cvt_f32_fp8_sdwa v41, v41 src0_sel:BYTE_0
	s_nop 0
	v_mul_f32_e32 v43, s59, v41
	v_and_b32_e32 v41, 0x7f800000, v43
	v_cmp_ne_u32_e64 s[0:1], s57, v41
                                        ; implicit-def: $vgpr41
	s_and_saveexec_b64 s[46:47], s[0:1]
	s_xor_b64 s[0:1], exec, s[46:47]
; %bb.50:                               ;   in Loop: Header=BB335_14 Depth=1
	v_bfe_u32 v41, v43, 16, 1
	v_add3_u32 v41, v43, v41, s58
                                        ; implicit-def: $vgpr43
; %bb.51:                               ;   in Loop: Header=BB335_14 Depth=1
	s_andn2_saveexec_b64 s[46:47], s[0:1]
; %bb.52:                               ;   in Loop: Header=BB335_14 Depth=1
	v_or_b32_e32 v41, 0x10000, v43
	v_cmp_eq_u32_sdwa s[0:1], v43, v11 src0_sel:WORD_0 src1_sel:DWORD
	s_nop 1
	v_cndmask_b32_e64 v41, v41, v43, s[0:1]
; %bb.53:                               ;   in Loop: Header=BB335_14 Depth=1
	s_or_b64 exec, exec, s[46:47]
	v_lshrrev_b16_e32 v42, 8, v42
	v_cvt_f32_fp8_sdwa v42, v42 src0_sel:BYTE_0
	s_nop 0
	v_mul_f32_e32 v43, s59, v42
	v_and_b32_e32 v42, 0x7f800000, v43
	v_cmp_ne_u32_e64 s[0:1], s57, v42
                                        ; implicit-def: $vgpr42
	s_and_saveexec_b64 s[46:47], s[0:1]
	s_xor_b64 s[0:1], exec, s[46:47]
; %bb.54:                               ;   in Loop: Header=BB335_14 Depth=1
	v_bfe_u32 v42, v43, 16, 1
	v_add3_u32 v42, v43, v42, s58
                                        ; implicit-def: $vgpr43
; %bb.55:                               ;   in Loop: Header=BB335_14 Depth=1
	s_andn2_saveexec_b64 s[46:47], s[0:1]
; %bb.56:                               ;   in Loop: Header=BB335_14 Depth=1
	v_or_b32_e32 v42, 0x10000, v43
	v_cmp_eq_u32_sdwa s[0:1], v43, v11 src0_sel:WORD_0 src1_sel:DWORD
	s_nop 1
	v_cndmask_b32_e64 v42, v42, v43, s[0:1]
; %bb.57:                               ;   in Loop: Header=BB335_14 Depth=1
	s_or_b64 exec, exec, s[46:47]
	global_load_ushort v44, v[20:21], off offset:520
	s_waitcnt vmcnt(0)
	v_and_b32_sdwa v43, s56, v44 dst_sel:DWORD dst_unused:UNUSED_PAD src0_sel:DWORD src1_sel:BYTE_0
	v_cvt_f32_fp8_sdwa v43, v43 src0_sel:BYTE_0
	s_nop 0
	v_mul_f32_e32 v45, s59, v43
	v_and_b32_e32 v43, 0x7f800000, v45
	v_cmp_ne_u32_e64 s[0:1], s57, v43
                                        ; implicit-def: $vgpr43
	s_and_saveexec_b64 s[46:47], s[0:1]
	s_xor_b64 s[0:1], exec, s[46:47]
; %bb.58:                               ;   in Loop: Header=BB335_14 Depth=1
	v_bfe_u32 v43, v45, 16, 1
	v_add3_u32 v43, v45, v43, s58
                                        ; implicit-def: $vgpr45
; %bb.59:                               ;   in Loop: Header=BB335_14 Depth=1
	s_andn2_saveexec_b64 s[46:47], s[0:1]
; %bb.60:                               ;   in Loop: Header=BB335_14 Depth=1
	v_or_b32_e32 v43, 0x10000, v45
	v_cmp_eq_u32_sdwa s[0:1], v45, v11 src0_sel:WORD_0 src1_sel:DWORD
	s_nop 1
	v_cndmask_b32_e64 v43, v43, v45, s[0:1]
; %bb.61:                               ;   in Loop: Header=BB335_14 Depth=1
	s_or_b64 exec, exec, s[46:47]
	v_lshrrev_b16_e32 v44, 8, v44
	v_cvt_f32_fp8_sdwa v44, v44 src0_sel:BYTE_0
	s_nop 0
	v_mul_f32_e32 v45, s59, v44
	v_and_b32_e32 v44, 0x7f800000, v45
	v_cmp_ne_u32_e64 s[0:1], s57, v44
                                        ; implicit-def: $vgpr44
	s_and_saveexec_b64 s[46:47], s[0:1]
	s_xor_b64 s[0:1], exec, s[46:47]
; %bb.62:                               ;   in Loop: Header=BB335_14 Depth=1
	v_bfe_u32 v44, v45, 16, 1
	v_add3_u32 v44, v45, v44, s58
                                        ; implicit-def: $vgpr45
; %bb.63:                               ;   in Loop: Header=BB335_14 Depth=1
	s_andn2_saveexec_b64 s[46:47], s[0:1]
; %bb.64:                               ;   in Loop: Header=BB335_14 Depth=1
	v_or_b32_e32 v44, 0x10000, v45
	v_cmp_eq_u32_sdwa s[0:1], v45, v11 src0_sel:WORD_0 src1_sel:DWORD
	s_nop 1
	v_cndmask_b32_e64 v44, v44, v45, s[0:1]
; %bb.65:                               ;   in Loop: Header=BB335_14 Depth=1
	s_or_b64 exec, exec, s[46:47]
	global_load_ushort v46, v[20:21], off offset:768
	s_waitcnt vmcnt(0)
	v_and_b32_sdwa v45, s56, v46 dst_sel:DWORD dst_unused:UNUSED_PAD src0_sel:DWORD src1_sel:BYTE_0
	v_cvt_f32_fp8_sdwa v45, v45 src0_sel:BYTE_0
	s_nop 0
	v_mul_f32_e32 v47, s59, v45
	v_and_b32_e32 v45, 0x7f800000, v47
	v_cmp_ne_u32_e64 s[0:1], s57, v45
                                        ; implicit-def: $vgpr45
	s_and_saveexec_b64 s[46:47], s[0:1]
	s_xor_b64 s[0:1], exec, s[46:47]
; %bb.66:                               ;   in Loop: Header=BB335_14 Depth=1
	v_bfe_u32 v45, v47, 16, 1
	v_add3_u32 v45, v47, v45, s58
                                        ; implicit-def: $vgpr47
; %bb.67:                               ;   in Loop: Header=BB335_14 Depth=1
	s_andn2_saveexec_b64 s[46:47], s[0:1]
; %bb.68:                               ;   in Loop: Header=BB335_14 Depth=1
	v_or_b32_e32 v45, 0x10000, v47
	v_cmp_eq_u32_sdwa s[0:1], v47, v11 src0_sel:WORD_0 src1_sel:DWORD
	s_nop 1
	v_cndmask_b32_e64 v45, v45, v47, s[0:1]
; %bb.69:                               ;   in Loop: Header=BB335_14 Depth=1
	s_or_b64 exec, exec, s[46:47]
	v_lshrrev_b16_e32 v46, 8, v46
	v_cvt_f32_fp8_sdwa v46, v46 src0_sel:BYTE_0
	s_nop 0
	v_mul_f32_e32 v47, s59, v46
	v_and_b32_e32 v46, 0x7f800000, v47
	v_cmp_ne_u32_e64 s[0:1], s57, v46
                                        ; implicit-def: $vgpr46
	s_and_saveexec_b64 s[46:47], s[0:1]
	s_xor_b64 s[0:1], exec, s[46:47]
; %bb.70:                               ;   in Loop: Header=BB335_14 Depth=1
	v_bfe_u32 v46, v47, 16, 1
	v_add3_u32 v46, v47, v46, s58
                                        ; implicit-def: $vgpr47
; %bb.71:                               ;   in Loop: Header=BB335_14 Depth=1
	s_andn2_saveexec_b64 s[46:47], s[0:1]
; %bb.72:                               ;   in Loop: Header=BB335_14 Depth=1
	v_or_b32_e32 v46, 0x10000, v47
	v_cmp_eq_u32_sdwa s[0:1], v47, v11 src0_sel:WORD_0 src1_sel:DWORD
	s_nop 1
	v_cndmask_b32_e64 v46, v46, v47, s[0:1]
; %bb.73:                               ;   in Loop: Header=BB335_14 Depth=1
	s_or_b64 exec, exec, s[46:47]
	global_load_ushort v48, v[20:21], off offset:776
	s_waitcnt vmcnt(0)
	v_and_b32_sdwa v47, s56, v48 dst_sel:DWORD dst_unused:UNUSED_PAD src0_sel:DWORD src1_sel:BYTE_0
	v_cvt_f32_fp8_sdwa v47, v47 src0_sel:BYTE_0
	s_nop 0
	v_mul_f32_e32 v49, s59, v47
	v_and_b32_e32 v47, 0x7f800000, v49
	v_cmp_ne_u32_e64 s[0:1], s57, v47
                                        ; implicit-def: $vgpr47
	s_and_saveexec_b64 s[46:47], s[0:1]
	s_xor_b64 s[0:1], exec, s[46:47]
; %bb.74:                               ;   in Loop: Header=BB335_14 Depth=1
	v_bfe_u32 v47, v49, 16, 1
	v_add3_u32 v47, v49, v47, s58
                                        ; implicit-def: $vgpr49
; %bb.75:                               ;   in Loop: Header=BB335_14 Depth=1
	s_andn2_saveexec_b64 s[46:47], s[0:1]
; %bb.76:                               ;   in Loop: Header=BB335_14 Depth=1
	v_or_b32_e32 v47, 0x10000, v49
	v_cmp_eq_u32_sdwa s[0:1], v49, v11 src0_sel:WORD_0 src1_sel:DWORD
	s_nop 1
	v_cndmask_b32_e64 v47, v47, v49, s[0:1]
; %bb.77:                               ;   in Loop: Header=BB335_14 Depth=1
	s_or_b64 exec, exec, s[46:47]
	v_lshrrev_b16_e32 v48, 8, v48
	v_cvt_f32_fp8_sdwa v48, v48 src0_sel:BYTE_0
	s_nop 0
	v_mul_f32_e32 v49, s59, v48
	v_and_b32_e32 v48, 0x7f800000, v49
	v_cmp_ne_u32_e64 s[0:1], s57, v48
                                        ; implicit-def: $vgpr48
	s_and_saveexec_b64 s[46:47], s[0:1]
	s_xor_b64 s[0:1], exec, s[46:47]
; %bb.78:                               ;   in Loop: Header=BB335_14 Depth=1
	v_bfe_u32 v48, v49, 16, 1
	v_add3_u32 v48, v49, v48, s58
                                        ; implicit-def: $vgpr49
; %bb.79:                               ;   in Loop: Header=BB335_14 Depth=1
	s_andn2_saveexec_b64 s[46:47], s[0:1]
; %bb.80:                               ;   in Loop: Header=BB335_14 Depth=1
	v_or_b32_e32 v48, 0x10000, v49
	v_cmp_eq_u32_sdwa s[0:1], v49, v11 src0_sel:WORD_0 src1_sel:DWORD
	s_nop 1
	v_cndmask_b32_e64 v48, v48, v49, s[0:1]
; %bb.81:                               ;   in Loop: Header=BB335_14 Depth=1
	s_or_b64 exec, exec, s[46:47]
	global_load_ushort v50, v[20:21], off offset:1024
	s_waitcnt vmcnt(0)
	v_and_b32_sdwa v49, s56, v50 dst_sel:DWORD dst_unused:UNUSED_PAD src0_sel:DWORD src1_sel:BYTE_0
	v_cvt_f32_fp8_sdwa v49, v49 src0_sel:BYTE_0
	s_nop 0
	v_mul_f32_e32 v51, s59, v49
	v_and_b32_e32 v49, 0x7f800000, v51
	v_cmp_ne_u32_e64 s[0:1], s57, v49
                                        ; implicit-def: $vgpr49
	s_and_saveexec_b64 s[46:47], s[0:1]
	s_xor_b64 s[0:1], exec, s[46:47]
; %bb.82:                               ;   in Loop: Header=BB335_14 Depth=1
	v_bfe_u32 v49, v51, 16, 1
	v_add3_u32 v49, v51, v49, s58
                                        ; implicit-def: $vgpr51
; %bb.83:                               ;   in Loop: Header=BB335_14 Depth=1
	s_andn2_saveexec_b64 s[46:47], s[0:1]
; %bb.84:                               ;   in Loop: Header=BB335_14 Depth=1
	v_or_b32_e32 v49, 0x10000, v51
	v_cmp_eq_u32_sdwa s[0:1], v51, v11 src0_sel:WORD_0 src1_sel:DWORD
	s_nop 1
	v_cndmask_b32_e64 v49, v49, v51, s[0:1]
; %bb.85:                               ;   in Loop: Header=BB335_14 Depth=1
	s_or_b64 exec, exec, s[46:47]
	v_lshrrev_b16_e32 v50, 8, v50
	v_cvt_f32_fp8_sdwa v50, v50 src0_sel:BYTE_0
	s_nop 0
	v_mul_f32_e32 v51, s59, v50
	v_and_b32_e32 v50, 0x7f800000, v51
	v_cmp_ne_u32_e64 s[0:1], s57, v50
                                        ; implicit-def: $vgpr50
	s_and_saveexec_b64 s[46:47], s[0:1]
	s_xor_b64 s[0:1], exec, s[46:47]
; %bb.86:                               ;   in Loop: Header=BB335_14 Depth=1
	v_bfe_u32 v50, v51, 16, 1
	v_add3_u32 v50, v51, v50, s58
                                        ; implicit-def: $vgpr51
; %bb.87:                               ;   in Loop: Header=BB335_14 Depth=1
	s_andn2_saveexec_b64 s[46:47], s[0:1]
; %bb.88:                               ;   in Loop: Header=BB335_14 Depth=1
	v_or_b32_e32 v50, 0x10000, v51
	v_cmp_eq_u32_sdwa s[0:1], v51, v11 src0_sel:WORD_0 src1_sel:DWORD
	s_nop 1
	v_cndmask_b32_e64 v50, v50, v51, s[0:1]
; %bb.89:                               ;   in Loop: Header=BB335_14 Depth=1
	s_or_b64 exec, exec, s[46:47]
	global_load_ushort v20, v[20:21], off offset:1032
	s_waitcnt vmcnt(0)
	v_and_b32_sdwa v21, s56, v20 dst_sel:DWORD dst_unused:UNUSED_PAD src0_sel:DWORD src1_sel:BYTE_0
	v_cvt_f32_fp8_sdwa v21, v21 src0_sel:BYTE_0
	s_nop 0
	v_mul_f32_e32 v51, s59, v21
	v_and_b32_e32 v21, 0x7f800000, v51
	v_cmp_ne_u32_e64 s[0:1], s57, v21
                                        ; implicit-def: $vgpr21
	s_and_saveexec_b64 s[46:47], s[0:1]
	s_xor_b64 s[0:1], exec, s[46:47]
; %bb.90:                               ;   in Loop: Header=BB335_14 Depth=1
	v_bfe_u32 v21, v51, 16, 1
	v_add3_u32 v21, v51, v21, s58
                                        ; implicit-def: $vgpr51
; %bb.91:                               ;   in Loop: Header=BB335_14 Depth=1
	s_andn2_saveexec_b64 s[46:47], s[0:1]
; %bb.92:                               ;   in Loop: Header=BB335_14 Depth=1
	v_or_b32_e32 v21, 0x10000, v51
	v_cmp_eq_u32_sdwa s[0:1], v51, v11 src0_sel:WORD_0 src1_sel:DWORD
	s_nop 1
	v_cndmask_b32_e64 v21, v21, v51, s[0:1]
; %bb.93:                               ;   in Loop: Header=BB335_14 Depth=1
	s_or_b64 exec, exec, s[46:47]
	v_lshrrev_b16_e32 v20, 8, v20
	v_cvt_f32_fp8_sdwa v20, v20 src0_sel:BYTE_0
	s_nop 0
	v_mul_f32_e32 v51, s59, v20
	v_and_b32_e32 v20, 0x7f800000, v51
	v_cmp_ne_u32_e64 s[0:1], s57, v20
                                        ; implicit-def: $vgpr20
	s_and_saveexec_b64 s[46:47], s[0:1]
	s_xor_b64 s[0:1], exec, s[46:47]
; %bb.94:                               ;   in Loop: Header=BB335_14 Depth=1
	v_bfe_u32 v20, v51, 16, 1
	v_add3_u32 v20, v51, v20, s58
                                        ; implicit-def: $vgpr51
; %bb.95:                               ;   in Loop: Header=BB335_14 Depth=1
	s_andn2_saveexec_b64 s[46:47], s[0:1]
; %bb.96:                               ;   in Loop: Header=BB335_14 Depth=1
	v_or_b32_e32 v20, 0x10000, v51
	v_cmp_eq_u32_sdwa s[0:1], v51, v11 src0_sel:WORD_0 src1_sel:DWORD
	s_nop 1
	v_cndmask_b32_e64 v20, v20, v51, s[0:1]
; %bb.97:                               ;   in Loop: Header=BB335_14 Depth=1
	s_or_b64 exec, exec, s[46:47]
	v_and_b32_e32 v36, 0xffff0000, v36
	v_and_b32_e32 v35, 0xffff0000, v35
	v_lshlrev_b32_e32 v52, 16, v7
	v_and_b32_e32 v7, 0xffff0000, v7
	v_and_b32_e32 v34, 0xffff0000, v34
	;; [unrolled: 1-line block ×3, first 2 shown]
	v_lshlrev_b32_e32 v51, 16, v6
	v_and_b32_e32 v6, 0xffff0000, v6
	v_mul_f32_e32 v35, v52, v35
	v_mul_f32_e32 v7, v7, v36
	v_and_b32_e32 v38, 0xffff0000, v38
	v_and_b32_e32 v37, 0xffff0000, v37
	v_lshlrev_b32_e32 v53, 16, v8
	v_and_b32_e32 v8, 0xffff0000, v8
	v_fmac_f32_e32 v35, v51, v33
	v_fmac_f32_e32 v7, v6, v34
	v_and_b32_e32 v40, 0xffff0000, v40
	v_and_b32_e32 v39, 0xffff0000, v39
	v_lshlrev_b32_e32 v54, 16, v9
	v_and_b32_e32 v9, 0xffff0000, v9
	v_fmac_f32_e32 v35, v53, v37
	v_fmac_f32_e32 v7, v8, v38
	;; [unrolled: 6-line block ×5, first 2 shown]
	v_and_b32_e32 v48, 0xffff0000, v48
	v_and_b32_e32 v47, 0xffff0000, v47
	v_lshlrev_b32_e32 v58, 16, v5
	v_and_b32_e32 v61, 64, v31
	v_and_b32_e32 v5, 0xffff0000, v5
	v_fmac_f32_e32 v35, v57, v45
	v_fmac_f32_e32 v7, v4, v46
	v_and_b32_e32 v50, 0xffff0000, v50
	v_and_b32_e32 v49, 0xffff0000, v49
	v_lshlrev_b32_e32 v59, 16, v18
	v_add_u32_e32 v61, 64, v61
	v_xor_b32_e32 v62, 2, v31
	v_and_b32_e32 v18, 0xffff0000, v18
	v_fmac_f32_e32 v35, v58, v47
	v_fmac_f32_e32 v7, v5, v48
	v_and_b32_e32 v21, 0xffff0000, v21
	v_lshlrev_b32_e32 v60, 16, v19
	v_cmp_lt_i32_e64 s[0:1], v62, v61
	v_and_b32_e32 v20, 0xffff0000, v20
	v_and_b32_e32 v19, 0xffff0000, v19
	v_fmac_f32_e32 v35, v59, v49
	v_fmac_f32_e32 v7, v18, v50
	v_cndmask_b32_e64 v62, v31, v62, s[0:1]
	v_fmac_f32_e32 v35, v60, v21
	v_fmac_f32_e32 v7, v19, v20
	v_lshlrev_b32_e32 v62, 2, v62
	v_add_f32_e32 v2, v35, v7
	ds_bpermute_b32 v3, v62, v2
	v_xor_b32_e32 v4, 1, v31
	v_cmp_lt_i32_e64 s[0:1], v4, v61
	s_waitcnt lgkmcnt(0)
	v_add_f32_e32 v2, v2, v3
	v_cndmask_b32_e64 v4, v31, v4, s[0:1]
	v_lshlrev_b32_e32 v4, 2, v4
	ds_bpermute_b32 v3, v4, v2
	s_and_saveexec_b64 s[46:47], vcc
	s_cbranch_execz .LBB335_12
; %bb.98:                               ;   in Loop: Header=BB335_14 Depth=1
	v_add_u32_e32 v4, v30, v28
	v_cvt_f32_i32_e32 v4, v4
	s_waitcnt lgkmcnt(0)
	v_add_f32_e32 v2, v2, v3
	v_add_u32_e32 v5, v23, v28
	v_cmp_gt_i32_e64 s[0:1], s33, v5
	v_mul_f32_e32 v3, s51, v4
	v_cndmask_b32_e64 v3, 0, v3, s[6:7]
	v_fmac_f32_e32 v3, s43, v2
	v_cndmask_b32_e64 v2, 0, v3, s[0:1]
	ds_write_b32 v29, v2
	v_max_f32_e32 v2, v25, v25
	v_max_f32_e32 v2, v2, v3
	v_cndmask_b32_e64 v25, v25, v2, s[0:1]
	s_branch .LBB335_12
.LBB335_99:
	s_or_b64 exec, exec, s[44:45]
.LBB335_100:
	s_or_b64 exec, exec, s[18:19]
	v_mbcnt_hi_u32_b32 v2, -1, v22
	s_waitcnt lgkmcnt(0)
	v_and_b32_e32 v3, 64, v2
	v_add_u32_e32 v3, 64, v3
	v_xor_b32_e32 v4, 32, v2
	v_cmp_lt_i32_e32 vcc, v4, v3
	v_xor_b32_e32 v7, 16, v2
	v_max_f32_e32 v5, v25, v25
	v_cndmask_b32_e32 v4, v2, v4, vcc
	v_lshlrev_b32_e32 v6, 2, v4
	ds_bpermute_b32 v4, v6, v25
	v_cmp_lt_i32_e32 vcc, v7, v3
	v_xor_b32_e32 v8, 8, v2
	s_waitcnt lgkmcnt(0)
	v_max_f32_e32 v4, v4, v4
	v_max_f32_e32 v4, v5, v4
	v_cndmask_b32_e32 v5, v2, v7, vcc
	v_lshlrev_b32_e32 v7, 2, v5
	ds_bpermute_b32 v5, v7, v4
	v_cmp_lt_i32_e32 vcc, v8, v3
	s_waitcnt lgkmcnt(0)
	v_max_f32_e32 v5, v5, v5
	v_max_f32_e32 v4, v4, v5
	v_cndmask_b32_e32 v5, v2, v8, vcc
	v_lshlrev_b32_e32 v10, 2, v5
	ds_bpermute_b32 v5, v10, v4
	v_xor_b32_e32 v8, 4, v2
	v_cmp_lt_i32_e32 vcc, v8, v3
	s_waitcnt lgkmcnt(0)
	v_max_f32_e32 v5, v5, v5
	v_max_f32_e32 v5, v4, v5
	v_cndmask_b32_e32 v4, v2, v8, vcc
	v_lshlrev_b32_e32 v11, 2, v4
	ds_bpermute_b32 v9, v11, v5
	v_and_b32_e32 v4, 63, v0
	v_cmp_eq_u32_e32 vcc, 0, v4
	v_lshlrev_b32_e32 v8, 2, v26
	s_and_saveexec_b64 s[0:1], vcc
	s_cbranch_execz .LBB335_102
; %bb.101:
	s_waitcnt lgkmcnt(0)
	v_max_f32_e32 v9, v9, v9
	v_max_f32_e32 v5, v5, v5
	;; [unrolled: 1-line block ×3, first 2 shown]
	ds_write_b32 v8, v5 offset:160
.LBB335_102:
	s_or_b64 exec, exec, s[0:1]
	v_cmp_gt_u32_e64 s[0:1], 2, v4
	v_mov_b32_e32 v5, 0xff7fffff
	s_waitcnt lgkmcnt(0)
	v_lshlrev_b32_e32 v9, 2, v4
	s_barrier
	s_and_saveexec_b64 s[6:7], s[0:1]
	s_cbranch_execz .LBB335_104
; %bb.103:
	ds_read_b32 v5, v9 offset:160
.LBB335_104:
	s_or_b64 exec, exec, s[6:7]
	v_xor_b32_e32 v12, 1, v2
	v_cmp_lt_i32_e64 s[6:7], v12, v3
	v_mov_b32_e32 v16, 0
	s_nop 0
	v_cndmask_b32_e64 v12, v2, v12, s[6:7]
	v_lshlrev_b32_e32 v13, 2, v12
	s_waitcnt lgkmcnt(0)
	ds_bpermute_b32 v12, v13, v5
	v_max_f32_e32 v5, v5, v5
	s_sub_i32 s6, s49, s52
	s_lshl_b32 s6, s6, 4
	s_add_i32 s6, s6, s50
	s_waitcnt lgkmcnt(0)
	v_max_f32_e32 v12, v12, v12
	v_max_f32_e32 v5, v5, v12
	v_lshlrev_b32_e32 v12, 2, v2
	v_and_b32_e32 v12, 0x100, v12
	ds_bpermute_b32 v5, v12, v5
	s_min_i32 s44, s6, s33
	s_sub_i32 s43, s44, s50
	v_cmp_gt_i32_e64 s[6:7], s43, v0
	s_and_saveexec_b64 s[12:13], s[6:7]
	s_cbranch_execz .LBB335_108
; %bb.105:
	v_mov_b32_e32 v16, 0xb0
	v_lshl_add_u32 v17, v0, 2, v16
	s_mov_b64 s[18:19], 0
	v_mov_b32_e32 v16, 0
	v_mov_b32_e32 v18, v0
.LBB335_106:                            ; =>This Inner Loop Header: Depth=1
	ds_read_b32 v19, v17
	v_add_u32_e32 v18, 0x80, v18
	v_cmp_le_i32_e64 s[10:11], s43, v18
	s_or_b64 s[18:19], s[10:11], s[18:19]
	s_waitcnt lgkmcnt(0)
	v_sub_f32_e32 v19, v19, v5
	v_mul_f32_e32 v19, 0x3fb8aa3b, v19
	v_exp_f32_e32 v19, v19
	ds_write_b32 v17, v19
	v_add_f32_e32 v16, v16, v19
	v_add_u32_e32 v17, 0x200, v17
	s_andn2_b64 exec, exec, s[18:19]
	s_cbranch_execnz .LBB335_106
; %bb.107:
	s_or_b64 exec, exec, s[18:19]
.LBB335_108:
	s_or_b64 exec, exec, s[12:13]
	ds_bpermute_b32 v6, v6, v16
	s_waitcnt lgkmcnt(0)
	v_add_f32_e32 v6, v16, v6
	ds_bpermute_b32 v7, v7, v6
	s_waitcnt lgkmcnt(0)
	v_add_f32_e32 v6, v6, v7
	ds_bpermute_b32 v7, v10, v6
	v_xor_b32_e32 v10, 2, v2
	v_cmp_lt_i32_e64 s[10:11], v10, v3
	s_waitcnt lgkmcnt(0)
	v_add_f32_e32 v6, v6, v7
	ds_bpermute_b32 v7, v11, v6
	v_cndmask_b32_e64 v2, v2, v10, s[10:11]
	v_lshlrev_b32_e32 v2, 2, v2
	s_waitcnt lgkmcnt(0)
	v_add_f32_e32 v3, v6, v7
	ds_bpermute_b32 v2, v2, v3
	s_waitcnt lgkmcnt(0)
	v_add_f32_e32 v2, v3, v2
	ds_bpermute_b32 v3, v13, v2
	s_waitcnt lgkmcnt(0)
	v_add_f32_e32 v2, v2, v3
	s_and_saveexec_b64 s[10:11], vcc
	s_cbranch_execz .LBB335_110
; %bb.109:
	ds_write_b32 v8, v2 offset:168
.LBB335_110:
	s_or_b64 exec, exec, s[10:11]
	s_waitcnt lgkmcnt(0)
	s_barrier
	s_and_saveexec_b64 s[10:11], s[0:1]
	s_cbranch_execz .LBB335_112
; %bb.111:
	ds_read_b32 v2, v9 offset:168
.LBB335_112:
	s_or_b64 exec, exec, s[10:11]
	s_waitcnt lgkmcnt(0)
	ds_bpermute_b32 v3, v13, v2
	s_waitcnt lgkmcnt(0)
	v_add_f32_e32 v2, v2, v3
	ds_bpermute_b32 v6, v12, v2
	s_and_saveexec_b64 s[0:1], s[6:7]
	s_cbranch_execz .LBB335_125
; %bb.113:
	s_waitcnt lgkmcnt(0)
	v_add_f32_e32 v2, 0x358637bd, v6
	v_div_scale_f32 v3, s[6:7], v2, v2, 1.0
	v_rcp_f32_e32 v7, v3
	v_div_scale_f32 v8, vcc, 1.0, v2, 1.0
	s_movk_i32 s6, 0x7f
	v_fma_f32 v9, -v3, v7, 1.0
	v_fmac_f32_e32 v7, v9, v7
	v_mul_f32_e32 v9, v8, v7
	v_fma_f32 v10, -v3, v9, v8
	v_fmac_f32_e32 v9, v10, v7
	v_fma_f32 v3, -v3, v9, v8
	v_div_fmas_f32 v3, v3, v7, v9
	v_div_fixup_f32 v2, v3, v2, 1.0
	v_xad_u32 v3, v0, -1, s44
	v_subrev_u32_e32 v7, s50, v3
	v_cmp_lt_u32_e32 vcc, s6, v7
	s_mov_b64 s[10:11], -1
	v_mov_b32_e32 v3, v0
	s_and_saveexec_b64 s[6:7], vcc
	s_cbranch_execz .LBB335_122
; %bb.114:
	v_lshrrev_b32_e32 v7, 7, v7
	v_add_u32_e32 v9, -1, v7
	v_lshrrev_b32_e32 v8, 1, v9
	v_mov_b32_e32 v3, v2
	v_add_u32_e32 v8, 1, v8
	v_cmp_lt_u32_e32 vcc, 13, v9
	v_mov_b32_e32 v11, 0
	s_and_saveexec_b64 s[10:11], vcc
	s_cbranch_execz .LBB335_118
; %bb.115:
	v_mov_b32_e32 v10, 0xb0
	v_and_b32_e32 v9, -8, v8
	v_lshl_add_u32 v10, v0, 2, v10
	s_mov_b32 s18, 0
	s_mov_b64 s[12:13], 0
.LBB335_116:                            ; =>This Inner Loop Header: Depth=1
	ds_read2st64_b32 v[16:17], v10 offset1:2
	ds_read2st64_b32 v[18:19], v10 offset0:4 offset1:6
	ds_read2st64_b32 v[20:21], v10 offset0:8 offset1:10
	;; [unrolled: 1-line block ×3, first 2 shown]
	v_add_u32_e32 v9, -8, v9
	s_waitcnt lgkmcnt(3)
	v_pk_mul_f32 v[16:17], v[2:3], v[16:17]
	s_waitcnt lgkmcnt(2)
	v_pk_mul_f32 v[18:19], v[2:3], v[18:19]
	ds_write2st64_b32 v10, v16, v17 offset1:2
	ds_write2st64_b32 v10, v18, v19 offset0:4 offset1:6
	ds_read2st64_b32 v[18:19], v10 offset0:16 offset1:18
	s_waitcnt lgkmcnt(4)
	v_pk_mul_f32 v[16:17], v[2:3], v[20:21]
	ds_write2st64_b32 v10, v16, v17 offset0:8 offset1:10
	s_waitcnt lgkmcnt(4)
	v_pk_mul_f32 v[16:17], v[2:3], v[22:23]
	ds_write2st64_b32 v10, v16, v17 offset0:12 offset1:14
	ds_read2st64_b32 v[16:17], v10 offset0:20 offset1:22
	s_waitcnt lgkmcnt(3)
	v_pk_mul_f32 v[18:19], v[2:3], v[18:19]
	ds_read2st64_b32 v[20:21], v10 offset0:24 offset1:26
	ds_write2st64_b32 v10, v18, v19 offset0:16 offset1:18
	ds_read2st64_b32 v[18:19], v10 offset0:28 offset1:30
	s_waitcnt lgkmcnt(3)
	v_pk_mul_f32 v[16:17], v[2:3], v[16:17]
	ds_write2st64_b32 v10, v16, v17 offset0:20 offset1:22
	s_waitcnt lgkmcnt(3)
	v_pk_mul_f32 v[16:17], v[2:3], v[20:21]
	ds_write2st64_b32 v10, v16, v17 offset0:24 offset1:26
	s_waitcnt lgkmcnt(2)
	v_pk_mul_f32 v[16:17], v[2:3], v[18:19]
	s_add_i32 s18, s18, 16
	v_cmp_eq_u32_e32 vcc, 0, v9
	ds_write2st64_b32 v10, v16, v17 offset0:28 offset1:30
	v_add_u32_e32 v10, 0x2000, v10
	s_or_b64 s[12:13], vcc, s[12:13]
	v_mov_b32_e32 v11, s18
	s_andn2_b64 exec, exec, s[12:13]
	s_cbranch_execnz .LBB335_116
; %bb.117:
	s_or_b64 exec, exec, s[12:13]
.LBB335_118:
	s_or_b64 exec, exec, s[10:11]
	v_and_b32_e32 v8, 7, v8
	v_cmp_ne_u32_e32 vcc, 0, v8
	s_and_saveexec_b64 s[10:11], vcc
	s_cbranch_execz .LBB335_121
; %bb.119:
	v_lshlrev_b32_e32 v9, 9, v11
	v_lshlrev_b32_e32 v10, 2, v0
	s_movk_i32 s12, 0xb0
	v_add3_u32 v9, v9, v10, s12
	s_mov_b64 s[12:13], 0
.LBB335_120:                            ; =>This Inner Loop Header: Depth=1
	ds_read2st64_b32 v[10:11], v9 offset1:2
	v_add_u32_e32 v8, -1, v8
	v_cmp_eq_u32_e32 vcc, 0, v8
	s_or_b64 s[12:13], vcc, s[12:13]
	s_waitcnt lgkmcnt(0)
	v_pk_mul_f32 v[10:11], v[2:3], v[10:11]
	ds_write2st64_b32 v9, v10, v11 offset1:2
	v_add_u32_e32 v9, 0x400, v9
	s_andn2_b64 exec, exec, s[12:13]
	s_cbranch_execnz .LBB335_120
.LBB335_121:
	s_or_b64 exec, exec, s[10:11]
	v_add_u32_e32 v7, 1, v7
	v_and_b32_e32 v8, 0x3fffffe, v7
	v_cmp_ne_u32_e32 vcc, v7, v8
	v_lshl_add_u32 v3, v8, 7, v0
	s_orn2_b64 s[10:11], vcc, exec
.LBB335_122:
	s_or_b64 exec, exec, s[6:7]
	s_and_b64 exec, exec, s[10:11]
	s_cbranch_execz .LBB335_125
; %bb.123:
	v_mov_b32_e32 v7, 0xb0
	v_lshl_add_u32 v7, v3, 2, v7
	s_mov_b64 s[6:7], 0
.LBB335_124:                            ; =>This Inner Loop Header: Depth=1
	ds_read_b32 v8, v7
	v_add_u32_e32 v3, 0x80, v3
	v_cmp_le_i32_e32 vcc, s43, v3
	s_or_b64 s[6:7], vcc, s[6:7]
	s_waitcnt lgkmcnt(0)
	v_mul_f32_e32 v8, v2, v8
	ds_write_b32 v7, v8
	v_add_u32_e32 v7, 0x200, v7
	s_andn2_b64 exec, exec, s[6:7]
	s_cbranch_execnz .LBB335_124
.LBB335_125:
	s_or_b64 exec, exec, s[0:1]
	s_mul_i32 s0, s23, s34
	v_cmp_eq_u32_e32 vcc, 0, v0
	s_mul_i32 s6, s0, s5
	s_waitcnt lgkmcnt(0)
	s_barrier
	s_and_saveexec_b64 s[0:1], vcc
	s_cbranch_execz .LBB335_127
; %bb.126:
	s_ashr_i32 s7, s6, 31
	s_lshl_b64 s[10:11], s[6:7], 2
	s_add_u32 s5, s26, s10
	s_mul_i32 s12, s23, s2
	s_addc_u32 s7, s27, s11
	s_ashr_i32 s13, s12, 31
	s_lshl_b64 s[12:13], s[12:13], 2
	s_add_u32 s2, s5, s12
	s_addc_u32 s7, s7, s13
	s_ashr_i32 s5, s4, 31
	s_lshl_b64 s[18:19], s[4:5], 2
	s_add_u32 s26, s2, s18
	s_addc_u32 s27, s7, s19
	s_add_u32 s2, s24, s10
	s_addc_u32 s5, s25, s11
	;; [unrolled: 2-line block ×3, first 2 shown]
	s_add_u32 s10, s2, s18
	v_mov_b32_e32 v2, 0
	s_addc_u32 s11, s5, s19
	global_store_dword v2, v5, s[26:27]
	global_store_dword v2, v6, s[10:11]
.LBB335_127:
	s_or_b64 exec, exec, s[0:1]
	s_mov_b32 s0, 0
	v_mov_b32_e32 v12, 0
	v_lshrrev_b32_e32 v23, 1, v4
	v_and_b32_e32 v22, 1, v0
	v_mov_b32_e32 v11, 0
	v_mov_b32_e32 v10, 0
	s_and_saveexec_b64 s[10:11], s[8:9]
	s_cbranch_execz .LBB335_365
; %bb.128:
	s_sub_i32 s5, s16, s21
	s_ashr_i32 s1, s20, 31
	s_add_u32 s8, s40, s20
	v_lshlrev_b32_e32 v2, 3, v0
	s_addc_u32 s9, s41, s1
	s_abs_i32 s22, s22
	v_and_b32_e32 v24, 8, v2
	v_cvt_f32_u32_e32 v2, s22
	v_or_b32_e32 v3, 64, v23
	s_movk_i32 s1, 0x50
	s_add_i32 s24, s3, -1
	v_rcp_iflag_f32_e32 v2, v2
	v_cmp_gt_u32_e32 vcc, s1, v3
	s_sub_i32 s1, 0, s22
	s_lshl_b64 s[2:3], s[38:39], 2
	v_mul_f32_e32 v2, 0x4f7ffffe, v2
	v_cvt_u32_f32_e32 v2, v2
	v_lshl_or_b32 v18, v3, 4, v24
	s_add_u32 s2, s36, s2
	s_addc_u32 s3, s37, s3
	v_mul_lo_u32 v3, s1, v2
	v_mul_hi_u32 v3, v2, v3
	v_add_u32_e32 v25, v2, v3
	v_lshl_add_u64 v[20:21], v[14:15], 2, s[2:3]
	v_lshlrev_b32_e32 v2, 5, v22
	s_mov_b32 s2, s0
	v_mov_b32_e32 v17, 0
	v_lshl_or_b32 v2, v26, 6, v2
	s_mov_b32 s1, s0
	v_mov_b32_e32 v12, s2
	s_mov_b32 s7, s17
	v_lshl_or_b32 v16, v23, 4, v24
	v_mov_b32_e32 v19, v17
	v_add_u32_e32 v15, 0xb0, v2
	s_mov_b64 s[12:13], 0
	v_mov_b32_e32 v11, s1
	v_mov_b32_e32 v10, s0
	s_mov_b32 s25, 0x7f800000
	s_movk_i32 s26, 0x7fff
	s_branch .LBB335_132
.LBB335_129:                            ;   in Loop: Header=BB335_132 Depth=1
	s_or_b64 exec, exec, s[2:3]
	v_and_b32_e32 v27, 0xffff0000, v26
	v_and_b32_e32 v26, 0xffff0000, v9
	;; [unrolled: 1-line block ×8, first 2 shown]
	v_pk_add_f32 v[2:3], v[4:5], v[28:29]
	v_pk_add_f32 v[4:5], v[8:9], v[26:27]
	v_add_f32_e32 v2, v2, v3
	v_add_f32_e32 v2, v2, v4
	;; [unrolled: 1-line block ×4, first 2 shown]
.LBB335_130:                            ;   in Loop: Header=BB335_132 Depth=1
	s_or_b64 exec, exec, s[18:19]
.LBB335_131:                            ;   in Loop: Header=BB335_132 Depth=1
	s_or_b64 exec, exec, s[16:17]
	v_add_u32_e32 v14, 2, v14
	v_cmp_le_i32_e64 s[0:1], s49, v14
	v_lshl_add_u64 v[20:21], v[20:21], 0, 8
	v_add_u32_e32 v1, 32, v1
	s_or_b64 s[12:13], s[0:1], s[12:13]
	v_add_u32_e32 v15, 0x80, v15
	s_andn2_b64 exec, exec, s[12:13]
	s_cbranch_execz .LBB335_364
.LBB335_132:                            ; =>This Inner Loop Header: Depth=1
	v_sub_u32_e32 v3, 0, v1
	v_max_i32_e32 v3, v1, v3
	v_mul_hi_u32 v4, v3, s35
	v_mul_lo_u32 v5, v4, s29
	v_sub_u32_e32 v3, v3, v5
	v_add_u32_e32 v5, 1, v4
	v_cmp_le_u32_e64 s[0:1], s29, v3
	v_ashrrev_i32_e32 v2, 31, v1
	v_xor_b32_e32 v2, s48, v2
	v_cndmask_b32_e64 v4, v4, v5, s[0:1]
	v_subrev_u32_e32 v5, s29, v3
	v_cndmask_b32_e64 v3, v3, v5, s[0:1]
	v_add_u32_e32 v5, 1, v4
	v_cmp_le_u32_e64 s[0:1], s29, v3
	s_nop 1
	v_cndmask_b32_e64 v3, v4, v5, s[0:1]
	v_xor_b32_e32 v3, v3, v2
	v_sub_u32_e32 v2, v3, v2
	v_add_u32_e32 v3, s42, v2
	v_sub_u32_e32 v5, 0, v3
	v_ashrrev_i32_e32 v4, 31, v3
	v_max_i32_e32 v3, v3, v5
	v_mul_hi_u32 v5, v3, v25
	v_mul_lo_u32 v5, v5, s22
	v_sub_u32_e32 v3, v3, v5
	v_subrev_u32_e32 v5, s22, v3
	v_cmp_le_u32_e64 s[0:1], s22, v3
	v_cmp_lt_i32_e64 s[2:3], s5, v2
	s_nop 0
	v_cndmask_b32_e64 v3, v3, v5, s[0:1]
	v_subrev_u32_e32 v5, s22, v3
	v_cmp_le_u32_e64 s[0:1], s22, v3
	s_nop 1
	v_cndmask_b32_e64 v3, v3, v5, s[0:1]
	v_xor_b32_e32 v3, v3, v4
	v_sub_u32_e32 v3, v3, v4
	v_cmp_eq_u32_e64 s[0:1], 0, v3
	s_or_b64 s[0:1], s[0:1], s[2:3]
	s_and_saveexec_b64 s[16:17], s[0:1]
	s_cbranch_execz .LBB335_131
; %bb.133:                              ;   in Loop: Header=BB335_132 Depth=1
	global_load_dword v34, v[20:21], off
	ds_read2_b64 v[6:9], v15 offset1:1
	ds_read2_b64 v[2:5], v15 offset0:2 offset1:3
                                        ; implicit-def: $vgpr31
	s_waitcnt lgkmcnt(1)
	v_and_b32_e32 v26, 0x7f800000, v6
	v_cmp_ne_u32_e64 s[0:1], s25, v26
	s_and_saveexec_b64 s[2:3], s[0:1]
	s_xor_b64 s[0:1], exec, s[2:3]
; %bb.134:                              ;   in Loop: Header=BB335_132 Depth=1
	v_bfe_u32 v26, v6, 16, 1
	v_add3_u32 v31, v6, v26, s26
; %bb.135:                              ;   in Loop: Header=BB335_132 Depth=1
	s_andn2_saveexec_b64 s[2:3], s[0:1]
; %bb.136:                              ;   in Loop: Header=BB335_132 Depth=1
	v_or_b32_e32 v26, 0x10000, v6
	v_cmp_eq_u32_sdwa s[0:1], v6, v17 src0_sel:WORD_0 src1_sel:DWORD
	s_nop 1
	v_cndmask_b32_e64 v31, v26, v6, s[0:1]
; %bb.137:                              ;   in Loop: Header=BB335_132 Depth=1
	s_or_b64 exec, exec, s[2:3]
	v_and_b32_e32 v6, 0x7f800000, v7
	v_cmp_ne_u32_e64 s[0:1], s25, v6
                                        ; implicit-def: $vgpr32
	s_and_saveexec_b64 s[2:3], s[0:1]
	s_xor_b64 s[0:1], exec, s[2:3]
; %bb.138:                              ;   in Loop: Header=BB335_132 Depth=1
	v_bfe_u32 v6, v7, 16, 1
	v_add3_u32 v32, v7, v6, s26
; %bb.139:                              ;   in Loop: Header=BB335_132 Depth=1
	s_andn2_saveexec_b64 s[2:3], s[0:1]
; %bb.140:                              ;   in Loop: Header=BB335_132 Depth=1
	v_or_b32_e32 v6, 0x10000, v7
	v_cmp_eq_u32_sdwa s[0:1], v7, v17 src0_sel:WORD_0 src1_sel:DWORD
	s_nop 1
	v_cndmask_b32_e64 v32, v6, v7, s[0:1]
; %bb.141:                              ;   in Loop: Header=BB335_132 Depth=1
	s_or_b64 exec, exec, s[2:3]
	v_and_b32_e32 v6, 0x7f800000, v8
	v_cmp_ne_u32_e64 s[0:1], s25, v6
                                        ; implicit-def: $vgpr33
	s_and_saveexec_b64 s[2:3], s[0:1]
	s_xor_b64 s[0:1], exec, s[2:3]
; %bb.142:                              ;   in Loop: Header=BB335_132 Depth=1
	v_bfe_u32 v6, v8, 16, 1
	v_add3_u32 v33, v8, v6, s26
; %bb.143:                              ;   in Loop: Header=BB335_132 Depth=1
	s_andn2_saveexec_b64 s[2:3], s[0:1]
; %bb.144:                              ;   in Loop: Header=BB335_132 Depth=1
	v_or_b32_e32 v6, 0x10000, v8
	v_cmp_eq_u32_sdwa s[0:1], v8, v17 src0_sel:WORD_0 src1_sel:DWORD
	s_nop 1
	v_cndmask_b32_e64 v33, v6, v8, s[0:1]
; %bb.145:                              ;   in Loop: Header=BB335_132 Depth=1
	s_or_b64 exec, exec, s[2:3]
	v_and_b32_e32 v6, 0x7f800000, v9
	v_cmp_ne_u32_e64 s[0:1], s25, v6
                                        ; implicit-def: $vgpr26
	s_and_saveexec_b64 s[2:3], s[0:1]
	s_xor_b64 s[0:1], exec, s[2:3]
; %bb.146:                              ;   in Loop: Header=BB335_132 Depth=1
	v_bfe_u32 v6, v9, 16, 1
	v_add3_u32 v26, v9, v6, s26
                                        ; implicit-def: $vgpr6_vgpr7_vgpr8_vgpr9
; %bb.147:                              ;   in Loop: Header=BB335_132 Depth=1
	s_andn2_saveexec_b64 s[2:3], s[0:1]
; %bb.148:                              ;   in Loop: Header=BB335_132 Depth=1
	v_or_b32_e32 v6, 0x10000, v9
	v_cmp_eq_u32_sdwa s[0:1], v9, v17 src0_sel:WORD_0 src1_sel:DWORD
	s_nop 1
	v_cndmask_b32_e64 v26, v6, v9, s[0:1]
; %bb.149:                              ;   in Loop: Header=BB335_132 Depth=1
	s_or_b64 exec, exec, s[2:3]
	s_waitcnt lgkmcnt(0)
	v_and_b32_e32 v6, 0x7f800000, v2
	v_cmp_ne_u32_e64 s[0:1], s25, v6
                                        ; implicit-def: $vgpr27
	s_and_saveexec_b64 s[2:3], s[0:1]
	s_xor_b64 s[0:1], exec, s[2:3]
; %bb.150:                              ;   in Loop: Header=BB335_132 Depth=1
	v_bfe_u32 v6, v2, 16, 1
	v_add3_u32 v27, v2, v6, s26
; %bb.151:                              ;   in Loop: Header=BB335_132 Depth=1
	s_andn2_saveexec_b64 s[2:3], s[0:1]
; %bb.152:                              ;   in Loop: Header=BB335_132 Depth=1
	v_or_b32_e32 v6, 0x10000, v2
	v_cmp_eq_u32_sdwa s[0:1], v2, v17 src0_sel:WORD_0 src1_sel:DWORD
	s_nop 1
	v_cndmask_b32_e64 v27, v6, v2, s[0:1]
; %bb.153:                              ;   in Loop: Header=BB335_132 Depth=1
	s_or_b64 exec, exec, s[2:3]
	v_and_b32_e32 v2, 0x7f800000, v3
	v_cmp_ne_u32_e64 s[0:1], s25, v2
                                        ; implicit-def: $vgpr28
	s_and_saveexec_b64 s[2:3], s[0:1]
	s_xor_b64 s[0:1], exec, s[2:3]
; %bb.154:                              ;   in Loop: Header=BB335_132 Depth=1
	v_bfe_u32 v2, v3, 16, 1
	v_add3_u32 v28, v3, v2, s26
; %bb.155:                              ;   in Loop: Header=BB335_132 Depth=1
	s_andn2_saveexec_b64 s[2:3], s[0:1]
; %bb.156:                              ;   in Loop: Header=BB335_132 Depth=1
	v_or_b32_e32 v2, 0x10000, v3
	v_cmp_eq_u32_sdwa s[0:1], v3, v17 src0_sel:WORD_0 src1_sel:DWORD
	s_nop 1
	v_cndmask_b32_e64 v28, v2, v3, s[0:1]
; %bb.157:                              ;   in Loop: Header=BB335_132 Depth=1
	s_or_b64 exec, exec, s[2:3]
	v_and_b32_e32 v2, 0x7f800000, v4
	v_cmp_ne_u32_e64 s[0:1], s25, v2
                                        ; implicit-def: $vgpr29
	s_and_saveexec_b64 s[2:3], s[0:1]
	s_xor_b64 s[0:1], exec, s[2:3]
; %bb.158:                              ;   in Loop: Header=BB335_132 Depth=1
	v_bfe_u32 v2, v4, 16, 1
	v_add3_u32 v29, v4, v2, s26
; %bb.159:                              ;   in Loop: Header=BB335_132 Depth=1
	s_andn2_saveexec_b64 s[2:3], s[0:1]
; %bb.160:                              ;   in Loop: Header=BB335_132 Depth=1
	v_or_b32_e32 v2, 0x10000, v4
	v_cmp_eq_u32_sdwa s[0:1], v4, v17 src0_sel:WORD_0 src1_sel:DWORD
	s_nop 1
	v_cndmask_b32_e64 v29, v2, v4, s[0:1]
; %bb.161:                              ;   in Loop: Header=BB335_132 Depth=1
	s_or_b64 exec, exec, s[2:3]
	v_and_b32_e32 v2, 0x7f800000, v5
	v_cmp_ne_u32_e64 s[0:1], s25, v2
                                        ; implicit-def: $vgpr30
	s_and_saveexec_b64 s[2:3], s[0:1]
	s_xor_b64 s[0:1], exec, s[2:3]
; %bb.162:                              ;   in Loop: Header=BB335_132 Depth=1
	v_bfe_u32 v2, v5, 16, 1
	v_add3_u32 v30, v5, v2, s26
                                        ; implicit-def: $vgpr2_vgpr3_vgpr4_vgpr5
; %bb.163:                              ;   in Loop: Header=BB335_132 Depth=1
	s_andn2_saveexec_b64 s[2:3], s[0:1]
; %bb.164:                              ;   in Loop: Header=BB335_132 Depth=1
	v_or_b32_e32 v2, 0x10000, v5
	v_cmp_eq_u32_sdwa s[0:1], v5, v17 src0_sel:WORD_0 src1_sel:DWORD
	s_nop 1
	v_cndmask_b32_e64 v30, v2, v5, s[0:1]
; %bb.165:                              ;   in Loop: Header=BB335_132 Depth=1
	s_or_b64 exec, exec, s[2:3]
	v_mov_b64_e32 v[2:3], s[8:9]
	s_waitcnt vmcnt(0)
	v_mad_i64_i32 v[2:3], s[0:1], v34, s7, v[2:3]
	v_lshl_add_u64 v[4:5], v[2:3], 0, v[16:17]
	global_load_dwordx2 v[6:7], v[4:5], off
	s_load_dword s27, s[14:15], 0x0
	s_waitcnt vmcnt(0)
	v_and_b32_e32 v8, 0xff, v6
	v_cvt_f32_fp8_sdwa v8, v8 src0_sel:BYTE_0
	s_waitcnt lgkmcnt(0)
	v_mul_f32_e32 v9, s27, v8
	v_and_b32_e32 v8, 0x7f800000, v9
	v_cmp_ne_u32_e64 s[0:1], s25, v8
                                        ; implicit-def: $vgpr8
	s_and_saveexec_b64 s[2:3], s[0:1]
	s_xor_b64 s[0:1], exec, s[2:3]
; %bb.166:                              ;   in Loop: Header=BB335_132 Depth=1
	v_bfe_u32 v8, v9, 16, 1
	v_add3_u32 v8, v9, v8, s26
                                        ; implicit-def: $vgpr9
; %bb.167:                              ;   in Loop: Header=BB335_132 Depth=1
	s_andn2_saveexec_b64 s[2:3], s[0:1]
; %bb.168:                              ;   in Loop: Header=BB335_132 Depth=1
	v_or_b32_e32 v8, 0x10000, v9
	v_cmp_eq_u32_sdwa s[0:1], v9, v17 src0_sel:WORD_0 src1_sel:DWORD
	s_nop 1
	v_cndmask_b32_e64 v8, v8, v9, s[0:1]
; %bb.169:                              ;   in Loop: Header=BB335_132 Depth=1
	s_or_b64 exec, exec, s[2:3]
	v_bfe_u32 v9, v6, 8, 8
	v_cvt_f32_fp8_sdwa v9, v9 src0_sel:BYTE_0
	s_nop 0
	v_mul_f32_e32 v34, s27, v9
	v_and_b32_e32 v9, 0x7f800000, v34
	v_cmp_ne_u32_e64 s[0:1], s25, v9
                                        ; implicit-def: $vgpr9
	s_and_saveexec_b64 s[2:3], s[0:1]
	s_xor_b64 s[0:1], exec, s[2:3]
; %bb.170:                              ;   in Loop: Header=BB335_132 Depth=1
	v_bfe_u32 v9, v34, 16, 1
	v_add3_u32 v9, v34, v9, s26
                                        ; implicit-def: $vgpr34
; %bb.171:                              ;   in Loop: Header=BB335_132 Depth=1
	s_andn2_saveexec_b64 s[2:3], s[0:1]
; %bb.172:                              ;   in Loop: Header=BB335_132 Depth=1
	v_or_b32_e32 v9, 0x10000, v34
	v_cmp_eq_u32_sdwa s[0:1], v34, v17 src0_sel:WORD_0 src1_sel:DWORD
	s_nop 1
	v_cndmask_b32_e64 v9, v9, v34, s[0:1]
; %bb.173:                              ;   in Loop: Header=BB335_132 Depth=1
	s_or_b64 exec, exec, s[2:3]
	v_bfe_u32 v34, v6, 16, 8
	v_cvt_f32_fp8_sdwa v34, v34 src0_sel:BYTE_0
	s_nop 0
	v_mul_f32_e32 v35, s27, v34
	v_and_b32_e32 v34, 0x7f800000, v35
	v_cmp_ne_u32_e64 s[0:1], s25, v34
                                        ; implicit-def: $vgpr34
	s_and_saveexec_b64 s[2:3], s[0:1]
	s_xor_b64 s[0:1], exec, s[2:3]
; %bb.174:                              ;   in Loop: Header=BB335_132 Depth=1
	v_bfe_u32 v34, v35, 16, 1
	v_add3_u32 v34, v35, v34, s26
                                        ; implicit-def: $vgpr35
; %bb.175:                              ;   in Loop: Header=BB335_132 Depth=1
	s_andn2_saveexec_b64 s[2:3], s[0:1]
; %bb.176:                              ;   in Loop: Header=BB335_132 Depth=1
	v_or_b32_e32 v34, 0x10000, v35
	v_cmp_eq_u32_sdwa s[0:1], v35, v17 src0_sel:WORD_0 src1_sel:DWORD
	s_nop 1
	v_cndmask_b32_e64 v34, v34, v35, s[0:1]
; %bb.177:                              ;   in Loop: Header=BB335_132 Depth=1
	s_or_b64 exec, exec, s[2:3]
	v_lshrrev_b32_e32 v6, 24, v6
	v_cvt_f32_fp8_sdwa v6, v6 src0_sel:BYTE_0
                                        ; implicit-def: $vgpr37
	s_nop 0
	v_mul_f32_e32 v6, s27, v6
	v_and_b32_e32 v35, 0x7f800000, v6
	v_cmp_ne_u32_e64 s[0:1], s25, v35
	s_and_saveexec_b64 s[2:3], s[0:1]
	s_xor_b64 s[0:1], exec, s[2:3]
; %bb.178:                              ;   in Loop: Header=BB335_132 Depth=1
	v_bfe_u32 v35, v6, 16, 1
	v_add3_u32 v37, v6, v35, s26
                                        ; implicit-def: $vgpr6
; %bb.179:                              ;   in Loop: Header=BB335_132 Depth=1
	s_andn2_saveexec_b64 s[2:3], s[0:1]
; %bb.180:                              ;   in Loop: Header=BB335_132 Depth=1
	v_or_b32_e32 v35, 0x10000, v6
	v_cmp_eq_u32_sdwa s[0:1], v6, v17 src0_sel:WORD_0 src1_sel:DWORD
	s_nop 1
	v_cndmask_b32_e64 v37, v35, v6, s[0:1]
; %bb.181:                              ;   in Loop: Header=BB335_132 Depth=1
	s_or_b64 exec, exec, s[2:3]
	v_and_b32_e32 v6, 0xff, v7
	v_cvt_f32_fp8_sdwa v6, v6 src0_sel:BYTE_0
	s_nop 0
	v_mul_f32_e32 v6, s27, v6
	v_and_b32_e32 v35, 0x7f800000, v6
	v_cmp_ne_u32_e64 s[0:1], s25, v35
                                        ; implicit-def: $vgpr35
	s_and_saveexec_b64 s[2:3], s[0:1]
	s_xor_b64 s[0:1], exec, s[2:3]
; %bb.182:                              ;   in Loop: Header=BB335_132 Depth=1
	v_bfe_u32 v35, v6, 16, 1
	v_add3_u32 v35, v6, v35, s26
                                        ; implicit-def: $vgpr6
; %bb.183:                              ;   in Loop: Header=BB335_132 Depth=1
	s_andn2_saveexec_b64 s[2:3], s[0:1]
; %bb.184:                              ;   in Loop: Header=BB335_132 Depth=1
	v_or_b32_e32 v35, 0x10000, v6
	v_cmp_eq_u32_sdwa s[0:1], v6, v17 src0_sel:WORD_0 src1_sel:DWORD
	s_nop 1
	v_cndmask_b32_e64 v35, v35, v6, s[0:1]
; %bb.185:                              ;   in Loop: Header=BB335_132 Depth=1
	s_or_b64 exec, exec, s[2:3]
	v_bfe_u32 v6, v7, 8, 8
	v_cvt_f32_fp8_sdwa v6, v6 src0_sel:BYTE_0
	s_nop 0
	v_mul_f32_e32 v6, s27, v6
	v_and_b32_e32 v36, 0x7f800000, v6
	v_cmp_ne_u32_e64 s[0:1], s25, v36
                                        ; implicit-def: $vgpr36
	s_and_saveexec_b64 s[2:3], s[0:1]
	s_xor_b64 s[0:1], exec, s[2:3]
; %bb.186:                              ;   in Loop: Header=BB335_132 Depth=1
	v_bfe_u32 v36, v6, 16, 1
	v_add3_u32 v36, v6, v36, s26
                                        ; implicit-def: $vgpr6
; %bb.187:                              ;   in Loop: Header=BB335_132 Depth=1
	s_andn2_saveexec_b64 s[2:3], s[0:1]
; %bb.188:                              ;   in Loop: Header=BB335_132 Depth=1
	v_or_b32_e32 v36, 0x10000, v6
	v_cmp_eq_u32_sdwa s[0:1], v6, v17 src0_sel:WORD_0 src1_sel:DWORD
	s_nop 1
	v_cndmask_b32_e64 v36, v36, v6, s[0:1]
; %bb.189:                              ;   in Loop: Header=BB335_132 Depth=1
	s_or_b64 exec, exec, s[2:3]
	v_bfe_u32 v6, v7, 16, 8
	v_cvt_f32_fp8_sdwa v6, v6 src0_sel:BYTE_0
	s_nop 0
	v_mul_f32_e32 v6, s27, v6
	v_and_b32_e32 v38, 0x7f800000, v6
	v_cmp_ne_u32_e64 s[0:1], s25, v38
                                        ; implicit-def: $vgpr38
	s_and_saveexec_b64 s[2:3], s[0:1]
	s_xor_b64 s[0:1], exec, s[2:3]
; %bb.190:                              ;   in Loop: Header=BB335_132 Depth=1
	v_bfe_u32 v38, v6, 16, 1
	v_add3_u32 v38, v6, v38, s26
                                        ; implicit-def: $vgpr6
; %bb.191:                              ;   in Loop: Header=BB335_132 Depth=1
	s_andn2_saveexec_b64 s[2:3], s[0:1]
; %bb.192:                              ;   in Loop: Header=BB335_132 Depth=1
	v_or_b32_e32 v38, 0x10000, v6
	v_cmp_eq_u32_sdwa s[0:1], v6, v17 src0_sel:WORD_0 src1_sel:DWORD
	s_nop 1
	v_cndmask_b32_e64 v38, v38, v6, s[0:1]
; %bb.193:                              ;   in Loop: Header=BB335_132 Depth=1
	s_or_b64 exec, exec, s[2:3]
	v_lshrrev_b32_e32 v6, 24, v7
	v_cvt_f32_fp8_sdwa v6, v6 src0_sel:BYTE_0
	s_nop 0
	v_mul_f32_e32 v6, s27, v6
	v_and_b32_e32 v7, 0x7f800000, v6
	v_cmp_ne_u32_e64 s[0:1], s25, v7
                                        ; implicit-def: $vgpr7
	s_and_saveexec_b64 s[2:3], s[0:1]
	s_xor_b64 s[0:1], exec, s[2:3]
; %bb.194:                              ;   in Loop: Header=BB335_132 Depth=1
	v_bfe_u32 v7, v6, 16, 1
	v_add3_u32 v7, v6, v7, s26
                                        ; implicit-def: $vgpr6
; %bb.195:                              ;   in Loop: Header=BB335_132 Depth=1
	s_andn2_saveexec_b64 s[2:3], s[0:1]
; %bb.196:                              ;   in Loop: Header=BB335_132 Depth=1
	v_or_b32_e32 v7, 0x10000, v6
	v_cmp_eq_u32_sdwa s[0:1], v6, v17 src0_sel:WORD_0 src1_sel:DWORD
	s_nop 1
	v_cndmask_b32_e64 v7, v7, v6, s[0:1]
; %bb.197:                              ;   in Loop: Header=BB335_132 Depth=1
	s_or_b64 exec, exec, s[2:3]
	v_cmp_eq_u32_e64 s[0:1], s24, v14
	v_add_u32_e32 v6, v24, v1
	v_lshrrev_b32_e32 v36, 16, v36
	v_lshrrev_b32_e32 v35, 16, v35
	;; [unrolled: 1-line block ×8, first 2 shown]
	s_and_saveexec_b64 s[18:19], s[0:1]
	s_cbranch_execz .LBB335_199
; %bb.198:                              ;   in Loop: Header=BB335_132 Depth=1
	v_cmp_gt_i32_e64 s[2:3], s33, v6
	v_add_u32_e32 v7, 1, v6
	s_nop 0
	v_cndmask_b32_e64 v8, 0, v8, s[2:3]
	v_cmp_gt_i32_e64 s[2:3], s33, v7
	v_add_u32_e32 v7, 2, v6
	s_nop 0
	v_cndmask_b32_e64 v9, 0, v9, s[2:3]
	;; [unrolled: 4-line block ×7, first 2 shown]
	v_cmp_gt_i32_e64 s[2:3], s33, v7
	s_nop 1
	v_cndmask_b32_e64 v38, 0, v38, s[2:3]
.LBB335_199:                            ;   in Loop: Header=BB335_132 Depth=1
	s_or_b64 exec, exec, s[18:19]
	v_and_b32_e32 v7, 0xffff0000, v31
	v_lshlrev_b32_e32 v8, 16, v8
	v_mul_f32_e32 v8, v7, v8
	v_and_b32_e32 v31, 0x7f800000, v8
	v_cmp_ne_u32_e64 s[2:3], s25, v31
                                        ; implicit-def: $vgpr31
	s_and_saveexec_b64 s[18:19], s[2:3]
	s_xor_b64 s[2:3], exec, s[18:19]
; %bb.200:                              ;   in Loop: Header=BB335_132 Depth=1
	v_bfe_u32 v31, v8, 16, 1
	v_add3_u32 v31, v8, v31, s26
                                        ; implicit-def: $vgpr8
; %bb.201:                              ;   in Loop: Header=BB335_132 Depth=1
	s_andn2_saveexec_b64 s[18:19], s[2:3]
; %bb.202:                              ;   in Loop: Header=BB335_132 Depth=1
	v_or_b32_e32 v31, 0x10000, v8
	v_cmp_eq_u32_sdwa s[2:3], v8, v17 src0_sel:WORD_0 src1_sel:DWORD
	s_nop 1
	v_cndmask_b32_e64 v31, v31, v8, s[2:3]
; %bb.203:                              ;   in Loop: Header=BB335_132 Depth=1
	s_or_b64 exec, exec, s[18:19]
	v_and_b32_e32 v8, 0xffff0000, v32
	v_lshlrev_b32_e32 v9, 16, v9
	v_mul_f32_e32 v9, v8, v9
	v_and_b32_e32 v32, 0x7f800000, v9
	v_cmp_ne_u32_e64 s[2:3], s25, v32
                                        ; implicit-def: $vgpr32
	s_and_saveexec_b64 s[18:19], s[2:3]
	s_xor_b64 s[2:3], exec, s[18:19]
; %bb.204:                              ;   in Loop: Header=BB335_132 Depth=1
	v_bfe_u32 v32, v9, 16, 1
	v_add3_u32 v32, v9, v32, s26
                                        ; implicit-def: $vgpr9
; %bb.205:                              ;   in Loop: Header=BB335_132 Depth=1
	s_andn2_saveexec_b64 s[18:19], s[2:3]
; %bb.206:                              ;   in Loop: Header=BB335_132 Depth=1
	v_or_b32_e32 v32, 0x10000, v9
	v_cmp_eq_u32_sdwa s[2:3], v9, v17 src0_sel:WORD_0 src1_sel:DWORD
	s_nop 1
	v_cndmask_b32_e64 v32, v32, v9, s[2:3]
; %bb.207:                              ;   in Loop: Header=BB335_132 Depth=1
	s_or_b64 exec, exec, s[18:19]
	v_and_b32_e32 v9, 0xffff0000, v33
	v_lshlrev_b32_e32 v33, 16, v34
	v_mul_f32_e32 v34, v9, v33
	v_and_b32_e32 v33, 0x7f800000, v34
	v_cmp_ne_u32_e64 s[2:3], s25, v33
                                        ; implicit-def: $vgpr33
	s_and_saveexec_b64 s[18:19], s[2:3]
	s_xor_b64 s[2:3], exec, s[18:19]
; %bb.208:                              ;   in Loop: Header=BB335_132 Depth=1
	v_bfe_u32 v33, v34, 16, 1
	v_add3_u32 v33, v34, v33, s26
                                        ; implicit-def: $vgpr34
; %bb.209:                              ;   in Loop: Header=BB335_132 Depth=1
	s_andn2_saveexec_b64 s[18:19], s[2:3]
; %bb.210:                              ;   in Loop: Header=BB335_132 Depth=1
	v_or_b32_e32 v33, 0x10000, v34
	v_cmp_eq_u32_sdwa s[2:3], v34, v17 src0_sel:WORD_0 src1_sel:DWORD
	s_nop 1
	v_cndmask_b32_e64 v33, v33, v34, s[2:3]
; %bb.211:                              ;   in Loop: Header=BB335_132 Depth=1
	s_or_b64 exec, exec, s[18:19]
	v_and_b32_e32 v26, 0xffff0000, v26
	v_lshlrev_b32_e32 v34, 16, v39
	v_mul_f32_e32 v39, v26, v34
	v_and_b32_e32 v34, 0x7f800000, v39
	v_cmp_ne_u32_e64 s[2:3], s25, v34
                                        ; implicit-def: $vgpr34
	s_and_saveexec_b64 s[18:19], s[2:3]
	s_xor_b64 s[2:3], exec, s[18:19]
; %bb.212:                              ;   in Loop: Header=BB335_132 Depth=1
	v_bfe_u32 v34, v39, 16, 1
	v_add3_u32 v34, v39, v34, s26
                                        ; implicit-def: $vgpr39
; %bb.213:                              ;   in Loop: Header=BB335_132 Depth=1
	s_andn2_saveexec_b64 s[18:19], s[2:3]
; %bb.214:                              ;   in Loop: Header=BB335_132 Depth=1
	v_or_b32_e32 v34, 0x10000, v39
	v_cmp_eq_u32_sdwa s[2:3], v39, v17 src0_sel:WORD_0 src1_sel:DWORD
	s_nop 1
	v_cndmask_b32_e64 v34, v34, v39, s[2:3]
; %bb.215:                              ;   in Loop: Header=BB335_132 Depth=1
	s_or_b64 exec, exec, s[18:19]
	v_and_b32_e32 v27, 0xffff0000, v27
	v_lshlrev_b32_e32 v35, 16, v35
	v_mul_f32_e32 v39, v27, v35
	v_and_b32_e32 v35, 0x7f800000, v39
	v_cmp_ne_u32_e64 s[2:3], s25, v35
                                        ; implicit-def: $vgpr35
	s_and_saveexec_b64 s[18:19], s[2:3]
	s_xor_b64 s[2:3], exec, s[18:19]
; %bb.216:                              ;   in Loop: Header=BB335_132 Depth=1
	v_bfe_u32 v35, v39, 16, 1
	v_add3_u32 v35, v39, v35, s26
                                        ; implicit-def: $vgpr39
; %bb.217:                              ;   in Loop: Header=BB335_132 Depth=1
	s_andn2_saveexec_b64 s[18:19], s[2:3]
; %bb.218:                              ;   in Loop: Header=BB335_132 Depth=1
	v_or_b32_e32 v35, 0x10000, v39
	v_cmp_eq_u32_sdwa s[2:3], v39, v17 src0_sel:WORD_0 src1_sel:DWORD
	s_nop 1
	v_cndmask_b32_e64 v35, v35, v39, s[2:3]
; %bb.219:                              ;   in Loop: Header=BB335_132 Depth=1
	s_or_b64 exec, exec, s[18:19]
	v_and_b32_e32 v28, 0xffff0000, v28
	v_lshlrev_b32_e32 v36, 16, v36
	v_mul_f32_e32 v39, v28, v36
	v_and_b32_e32 v36, 0x7f800000, v39
	v_cmp_ne_u32_e64 s[2:3], s25, v36
                                        ; implicit-def: $vgpr36
	s_and_saveexec_b64 s[18:19], s[2:3]
	s_xor_b64 s[2:3], exec, s[18:19]
; %bb.220:                              ;   in Loop: Header=BB335_132 Depth=1
	v_bfe_u32 v36, v39, 16, 1
	v_add3_u32 v36, v39, v36, s26
                                        ; implicit-def: $vgpr39
; %bb.221:                              ;   in Loop: Header=BB335_132 Depth=1
	s_andn2_saveexec_b64 s[18:19], s[2:3]
; %bb.222:                              ;   in Loop: Header=BB335_132 Depth=1
	v_or_b32_e32 v36, 0x10000, v39
	v_cmp_eq_u32_sdwa s[2:3], v39, v17 src0_sel:WORD_0 src1_sel:DWORD
	s_nop 1
	v_cndmask_b32_e64 v36, v36, v39, s[2:3]
; %bb.223:                              ;   in Loop: Header=BB335_132 Depth=1
	s_or_b64 exec, exec, s[18:19]
	v_and_b32_e32 v29, 0xffff0000, v29
	v_lshlrev_b32_e32 v37, 16, v37
	v_mul_f32_e32 v39, v29, v37
	v_and_b32_e32 v37, 0x7f800000, v39
	v_cmp_ne_u32_e64 s[2:3], s25, v37
                                        ; implicit-def: $vgpr37
	s_and_saveexec_b64 s[18:19], s[2:3]
	s_xor_b64 s[2:3], exec, s[18:19]
; %bb.224:                              ;   in Loop: Header=BB335_132 Depth=1
	v_bfe_u32 v37, v39, 16, 1
	v_add3_u32 v37, v39, v37, s26
                                        ; implicit-def: $vgpr39
; %bb.225:                              ;   in Loop: Header=BB335_132 Depth=1
	s_andn2_saveexec_b64 s[18:19], s[2:3]
; %bb.226:                              ;   in Loop: Header=BB335_132 Depth=1
	v_or_b32_e32 v37, 0x10000, v39
	v_cmp_eq_u32_sdwa s[2:3], v39, v17 src0_sel:WORD_0 src1_sel:DWORD
	s_nop 1
	v_cndmask_b32_e64 v37, v37, v39, s[2:3]
; %bb.227:                              ;   in Loop: Header=BB335_132 Depth=1
	s_or_b64 exec, exec, s[18:19]
	v_and_b32_e32 v30, 0xffff0000, v30
	v_lshlrev_b32_e32 v38, 16, v38
	v_mul_f32_e32 v39, v30, v38
	v_and_b32_e32 v38, 0x7f800000, v39
	v_cmp_ne_u32_e64 s[2:3], s25, v38
                                        ; implicit-def: $vgpr38
	s_and_saveexec_b64 s[18:19], s[2:3]
	s_xor_b64 s[2:3], exec, s[18:19]
; %bb.228:                              ;   in Loop: Header=BB335_132 Depth=1
	v_bfe_u32 v38, v39, 16, 1
	v_add3_u32 v38, v39, v38, s26
                                        ; implicit-def: $vgpr39
; %bb.229:                              ;   in Loop: Header=BB335_132 Depth=1
	s_andn2_saveexec_b64 s[18:19], s[2:3]
; %bb.230:                              ;   in Loop: Header=BB335_132 Depth=1
	v_or_b32_e32 v38, 0x10000, v39
	v_cmp_eq_u32_sdwa s[2:3], v39, v17 src0_sel:WORD_0 src1_sel:DWORD
	s_nop 1
	v_cndmask_b32_e64 v38, v38, v39, s[2:3]
; %bb.231:                              ;   in Loop: Header=BB335_132 Depth=1
	s_or_b64 exec, exec, s[18:19]
	global_load_dwordx2 v[4:5], v[4:5], off offset:512
	s_waitcnt vmcnt(0)
	v_and_b32_e32 v39, 0xff, v4
	v_cvt_f32_fp8_sdwa v39, v39 src0_sel:BYTE_0
	s_nop 0
	v_mul_f32_e32 v40, s27, v39
	v_and_b32_e32 v39, 0x7f800000, v40
	v_cmp_ne_u32_e64 s[2:3], s25, v39
                                        ; implicit-def: $vgpr39
	s_and_saveexec_b64 s[18:19], s[2:3]
	s_xor_b64 s[2:3], exec, s[18:19]
; %bb.232:                              ;   in Loop: Header=BB335_132 Depth=1
	v_bfe_u32 v39, v40, 16, 1
	v_add3_u32 v39, v40, v39, s26
                                        ; implicit-def: $vgpr40
; %bb.233:                              ;   in Loop: Header=BB335_132 Depth=1
	s_andn2_saveexec_b64 s[18:19], s[2:3]
; %bb.234:                              ;   in Loop: Header=BB335_132 Depth=1
	v_or_b32_e32 v39, 0x10000, v40
	v_cmp_eq_u32_sdwa s[2:3], v40, v17 src0_sel:WORD_0 src1_sel:DWORD
	s_nop 1
	v_cndmask_b32_e64 v39, v39, v40, s[2:3]
; %bb.235:                              ;   in Loop: Header=BB335_132 Depth=1
	s_or_b64 exec, exec, s[18:19]
	v_bfe_u32 v40, v4, 8, 8
	v_cvt_f32_fp8_sdwa v40, v40 src0_sel:BYTE_0
	s_nop 0
	v_mul_f32_e32 v41, s27, v40
	v_and_b32_e32 v40, 0x7f800000, v41
	v_cmp_ne_u32_e64 s[2:3], s25, v40
                                        ; implicit-def: $vgpr40
	s_and_saveexec_b64 s[18:19], s[2:3]
	s_xor_b64 s[2:3], exec, s[18:19]
; %bb.236:                              ;   in Loop: Header=BB335_132 Depth=1
	v_bfe_u32 v40, v41, 16, 1
	v_add3_u32 v40, v41, v40, s26
                                        ; implicit-def: $vgpr41
; %bb.237:                              ;   in Loop: Header=BB335_132 Depth=1
	s_andn2_saveexec_b64 s[18:19], s[2:3]
; %bb.238:                              ;   in Loop: Header=BB335_132 Depth=1
	v_or_b32_e32 v40, 0x10000, v41
	v_cmp_eq_u32_sdwa s[2:3], v41, v17 src0_sel:WORD_0 src1_sel:DWORD
	s_nop 1
	v_cndmask_b32_e64 v40, v40, v41, s[2:3]
; %bb.239:                              ;   in Loop: Header=BB335_132 Depth=1
	s_or_b64 exec, exec, s[18:19]
	v_bfe_u32 v41, v4, 16, 8
	v_cvt_f32_fp8_sdwa v41, v41 src0_sel:BYTE_0
	s_nop 0
	v_mul_f32_e32 v41, s27, v41
	v_and_b32_e32 v42, 0x7f800000, v41
	v_cmp_ne_u32_e64 s[2:3], s25, v42
                                        ; implicit-def: $vgpr42
	s_and_saveexec_b64 s[18:19], s[2:3]
	s_xor_b64 s[2:3], exec, s[18:19]
; %bb.240:                              ;   in Loop: Header=BB335_132 Depth=1
	v_bfe_u32 v42, v41, 16, 1
	v_add3_u32 v42, v41, v42, s26
                                        ; implicit-def: $vgpr41
; %bb.241:                              ;   in Loop: Header=BB335_132 Depth=1
	s_andn2_saveexec_b64 s[18:19], s[2:3]
; %bb.242:                              ;   in Loop: Header=BB335_132 Depth=1
	v_or_b32_e32 v42, 0x10000, v41
	v_cmp_eq_u32_sdwa s[2:3], v41, v17 src0_sel:WORD_0 src1_sel:DWORD
	s_nop 1
	v_cndmask_b32_e64 v42, v42, v41, s[2:3]
; %bb.243:                              ;   in Loop: Header=BB335_132 Depth=1
	s_or_b64 exec, exec, s[18:19]
	v_lshrrev_b32_e32 v4, 24, v4
	v_cvt_f32_fp8_sdwa v4, v4 src0_sel:BYTE_0
	s_nop 0
	v_mul_f32_e32 v41, s27, v4
	v_and_b32_e32 v4, 0x7f800000, v41
	v_cmp_ne_u32_e64 s[2:3], s25, v4
                                        ; implicit-def: $vgpr4
	s_and_saveexec_b64 s[18:19], s[2:3]
	s_xor_b64 s[2:3], exec, s[18:19]
; %bb.244:                              ;   in Loop: Header=BB335_132 Depth=1
	v_bfe_u32 v4, v41, 16, 1
	v_add3_u32 v4, v41, v4, s26
                                        ; implicit-def: $vgpr41
; %bb.245:                              ;   in Loop: Header=BB335_132 Depth=1
	s_andn2_saveexec_b64 s[18:19], s[2:3]
; %bb.246:                              ;   in Loop: Header=BB335_132 Depth=1
	v_or_b32_e32 v4, 0x10000, v41
	v_cmp_eq_u32_sdwa s[2:3], v41, v17 src0_sel:WORD_0 src1_sel:DWORD
	s_nop 1
	v_cndmask_b32_e64 v4, v4, v41, s[2:3]
; %bb.247:                              ;   in Loop: Header=BB335_132 Depth=1
	s_or_b64 exec, exec, s[18:19]
	v_and_b32_e32 v41, 0xff, v5
	v_cvt_f32_fp8_sdwa v41, v41 src0_sel:BYTE_0
	s_nop 0
	v_mul_f32_e32 v41, s27, v41
	v_and_b32_e32 v43, 0x7f800000, v41
	v_cmp_ne_u32_e64 s[2:3], s25, v43
                                        ; implicit-def: $vgpr43
	s_and_saveexec_b64 s[18:19], s[2:3]
	s_xor_b64 s[2:3], exec, s[18:19]
; %bb.248:                              ;   in Loop: Header=BB335_132 Depth=1
	v_bfe_u32 v43, v41, 16, 1
	v_add3_u32 v43, v41, v43, s26
                                        ; implicit-def: $vgpr41
; %bb.249:                              ;   in Loop: Header=BB335_132 Depth=1
	s_andn2_saveexec_b64 s[18:19], s[2:3]
; %bb.250:                              ;   in Loop: Header=BB335_132 Depth=1
	v_or_b32_e32 v43, 0x10000, v41
	v_cmp_eq_u32_sdwa s[2:3], v41, v17 src0_sel:WORD_0 src1_sel:DWORD
	s_nop 1
	v_cndmask_b32_e64 v43, v43, v41, s[2:3]
; %bb.251:                              ;   in Loop: Header=BB335_132 Depth=1
	s_or_b64 exec, exec, s[18:19]
	v_bfe_u32 v41, v5, 8, 8
	v_cvt_f32_fp8_sdwa v41, v41 src0_sel:BYTE_0
	s_nop 0
	v_mul_f32_e32 v44, s27, v41
	v_and_b32_e32 v41, 0x7f800000, v44
	v_cmp_ne_u32_e64 s[2:3], s25, v41
                                        ; implicit-def: $vgpr41
	s_and_saveexec_b64 s[18:19], s[2:3]
	s_xor_b64 s[2:3], exec, s[18:19]
; %bb.252:                              ;   in Loop: Header=BB335_132 Depth=1
	v_bfe_u32 v41, v44, 16, 1
	v_add3_u32 v41, v44, v41, s26
                                        ; implicit-def: $vgpr44
; %bb.253:                              ;   in Loop: Header=BB335_132 Depth=1
	s_andn2_saveexec_b64 s[18:19], s[2:3]
; %bb.254:                              ;   in Loop: Header=BB335_132 Depth=1
	v_or_b32_e32 v41, 0x10000, v44
	v_cmp_eq_u32_sdwa s[2:3], v44, v17 src0_sel:WORD_0 src1_sel:DWORD
	s_nop 1
	v_cndmask_b32_e64 v41, v41, v44, s[2:3]
; %bb.255:                              ;   in Loop: Header=BB335_132 Depth=1
	s_or_b64 exec, exec, s[18:19]
	v_bfe_u32 v44, v5, 16, 8
	v_cvt_f32_fp8_sdwa v44, v44 src0_sel:BYTE_0
	s_nop 0
	v_mul_f32_e32 v44, s27, v44
	v_and_b32_e32 v45, 0x7f800000, v44
	v_cmp_ne_u32_e64 s[2:3], s25, v45
                                        ; implicit-def: $vgpr45
	s_and_saveexec_b64 s[18:19], s[2:3]
	s_xor_b64 s[2:3], exec, s[18:19]
; %bb.256:                              ;   in Loop: Header=BB335_132 Depth=1
	v_bfe_u32 v45, v44, 16, 1
	v_add3_u32 v45, v44, v45, s26
                                        ; implicit-def: $vgpr44
; %bb.257:                              ;   in Loop: Header=BB335_132 Depth=1
	s_andn2_saveexec_b64 s[18:19], s[2:3]
; %bb.258:                              ;   in Loop: Header=BB335_132 Depth=1
	v_or_b32_e32 v45, 0x10000, v44
	v_cmp_eq_u32_sdwa s[2:3], v44, v17 src0_sel:WORD_0 src1_sel:DWORD
	s_nop 1
	v_cndmask_b32_e64 v45, v45, v44, s[2:3]
; %bb.259:                              ;   in Loop: Header=BB335_132 Depth=1
	s_or_b64 exec, exec, s[18:19]
	v_lshrrev_b32_e32 v5, 24, v5
	v_cvt_f32_fp8_sdwa v5, v5 src0_sel:BYTE_0
                                        ; implicit-def: $vgpr46
	s_nop 0
	v_mul_f32_e32 v5, s27, v5
	v_and_b32_e32 v44, 0x7f800000, v5
	v_cmp_ne_u32_e64 s[2:3], s25, v44
	s_and_saveexec_b64 s[18:19], s[2:3]
	s_xor_b64 s[2:3], exec, s[18:19]
; %bb.260:                              ;   in Loop: Header=BB335_132 Depth=1
	v_bfe_u32 v44, v5, 16, 1
	v_add3_u32 v46, v5, v44, s26
                                        ; implicit-def: $vgpr5
; %bb.261:                              ;   in Loop: Header=BB335_132 Depth=1
	s_andn2_saveexec_b64 s[18:19], s[2:3]
; %bb.262:                              ;   in Loop: Header=BB335_132 Depth=1
	v_or_b32_e32 v44, 0x10000, v5
	v_cmp_eq_u32_sdwa s[2:3], v5, v17 src0_sel:WORD_0 src1_sel:DWORD
	s_nop 1
	v_cndmask_b32_e64 v46, v44, v5, s[2:3]
; %bb.263:                              ;   in Loop: Header=BB335_132 Depth=1
	s_or_b64 exec, exec, s[18:19]
	v_lshrrev_b32_e32 v41, 16, v41
	v_lshrrev_b32_e32 v43, 16, v43
	;; [unrolled: 1-line block ×8, first 2 shown]
	s_and_saveexec_b64 s[18:19], s[0:1]
	s_cbranch_execz .LBB335_265
; %bb.264:                              ;   in Loop: Header=BB335_132 Depth=1
	v_cmp_gt_i32_e64 s[2:3], s33, v6
	v_add_u32_e32 v45, 1, v6
	s_nop 0
	v_cndmask_b32_e64 v5, 0, v5, s[2:3]
	v_cmp_gt_i32_e64 s[2:3], s33, v45
	v_add_u32_e32 v45, 2, v6
	s_nop 0
	v_cndmask_b32_e64 v40, 0, v40, s[2:3]
	;; [unrolled: 4-line block ×7, first 2 shown]
	v_cmp_gt_i32_e64 s[2:3], s33, v45
	s_nop 1
	v_cndmask_b32_e64 v4, 0, v4, s[2:3]
.LBB335_265:                            ;   in Loop: Header=BB335_132 Depth=1
	s_or_b64 exec, exec, s[18:19]
	v_lshlrev_b32_e32 v5, 16, v5
	v_mul_f32_e32 v45, v7, v5
	v_and_b32_e32 v5, 0x7f800000, v45
	v_cmp_ne_u32_e64 s[2:3], s25, v5
                                        ; implicit-def: $vgpr5
	s_and_saveexec_b64 s[18:19], s[2:3]
	s_xor_b64 s[2:3], exec, s[18:19]
; %bb.266:                              ;   in Loop: Header=BB335_132 Depth=1
	v_bfe_u32 v5, v45, 16, 1
	v_add3_u32 v5, v45, v5, s26
                                        ; implicit-def: $vgpr45
; %bb.267:                              ;   in Loop: Header=BB335_132 Depth=1
	s_andn2_saveexec_b64 s[18:19], s[2:3]
; %bb.268:                              ;   in Loop: Header=BB335_132 Depth=1
	v_or_b32_e32 v5, 0x10000, v45
	v_cmp_eq_u32_sdwa s[2:3], v45, v17 src0_sel:WORD_0 src1_sel:DWORD
	s_nop 1
	v_cndmask_b32_e64 v5, v5, v45, s[2:3]
; %bb.269:                              ;   in Loop: Header=BB335_132 Depth=1
	s_or_b64 exec, exec, s[18:19]
	v_lshlrev_b32_e32 v40, 16, v40
	v_mul_f32_e32 v45, v8, v40
	v_and_b32_e32 v40, 0x7f800000, v45
	v_cmp_ne_u32_e64 s[2:3], s25, v40
                                        ; implicit-def: $vgpr40
	s_and_saveexec_b64 s[18:19], s[2:3]
	s_xor_b64 s[2:3], exec, s[18:19]
; %bb.270:                              ;   in Loop: Header=BB335_132 Depth=1
	v_bfe_u32 v40, v45, 16, 1
	v_add3_u32 v40, v45, v40, s26
                                        ; implicit-def: $vgpr45
; %bb.271:                              ;   in Loop: Header=BB335_132 Depth=1
	s_andn2_saveexec_b64 s[18:19], s[2:3]
; %bb.272:                              ;   in Loop: Header=BB335_132 Depth=1
	v_or_b32_e32 v40, 0x10000, v45
	v_cmp_eq_u32_sdwa s[2:3], v45, v17 src0_sel:WORD_0 src1_sel:DWORD
	s_nop 1
	v_cndmask_b32_e64 v40, v40, v45, s[2:3]
; %bb.273:                              ;   in Loop: Header=BB335_132 Depth=1
	s_or_b64 exec, exec, s[18:19]
	v_lshlrev_b32_e32 v42, 16, v42
	v_mul_f32_e32 v45, v9, v42
	v_and_b32_e32 v42, 0x7f800000, v45
	v_cmp_ne_u32_e64 s[2:3], s25, v42
                                        ; implicit-def: $vgpr42
	s_and_saveexec_b64 s[18:19], s[2:3]
	s_xor_b64 s[2:3], exec, s[18:19]
; %bb.274:                              ;   in Loop: Header=BB335_132 Depth=1
	v_bfe_u32 v42, v45, 16, 1
	v_add3_u32 v42, v45, v42, s26
                                        ; implicit-def: $vgpr45
; %bb.275:                              ;   in Loop: Header=BB335_132 Depth=1
	s_andn2_saveexec_b64 s[18:19], s[2:3]
; %bb.276:                              ;   in Loop: Header=BB335_132 Depth=1
	v_or_b32_e32 v42, 0x10000, v45
	v_cmp_eq_u32_sdwa s[2:3], v45, v17 src0_sel:WORD_0 src1_sel:DWORD
	s_nop 1
	v_cndmask_b32_e64 v42, v42, v45, s[2:3]
; %bb.277:                              ;   in Loop: Header=BB335_132 Depth=1
	s_or_b64 exec, exec, s[18:19]
	v_lshlrev_b32_e32 v44, 16, v44
	v_mul_f32_e32 v45, v26, v44
	v_and_b32_e32 v44, 0x7f800000, v45
	v_cmp_ne_u32_e64 s[2:3], s25, v44
                                        ; implicit-def: $vgpr44
	s_and_saveexec_b64 s[18:19], s[2:3]
	s_xor_b64 s[2:3], exec, s[18:19]
; %bb.278:                              ;   in Loop: Header=BB335_132 Depth=1
	v_bfe_u32 v44, v45, 16, 1
	v_add3_u32 v44, v45, v44, s26
                                        ; implicit-def: $vgpr45
; %bb.279:                              ;   in Loop: Header=BB335_132 Depth=1
	s_andn2_saveexec_b64 s[18:19], s[2:3]
; %bb.280:                              ;   in Loop: Header=BB335_132 Depth=1
	v_or_b32_e32 v44, 0x10000, v45
	v_cmp_eq_u32_sdwa s[2:3], v45, v17 src0_sel:WORD_0 src1_sel:DWORD
	s_nop 1
	v_cndmask_b32_e64 v44, v44, v45, s[2:3]
; %bb.281:                              ;   in Loop: Header=BB335_132 Depth=1
	s_or_b64 exec, exec, s[18:19]
	v_lshlrev_b32_e32 v43, 16, v43
	v_mul_f32_e32 v45, v27, v43
	v_and_b32_e32 v43, 0x7f800000, v45
	v_cmp_ne_u32_e64 s[2:3], s25, v43
                                        ; implicit-def: $vgpr43
	s_and_saveexec_b64 s[18:19], s[2:3]
	s_xor_b64 s[2:3], exec, s[18:19]
; %bb.282:                              ;   in Loop: Header=BB335_132 Depth=1
	v_bfe_u32 v43, v45, 16, 1
	v_add3_u32 v43, v45, v43, s26
                                        ; implicit-def: $vgpr45
; %bb.283:                              ;   in Loop: Header=BB335_132 Depth=1
	s_andn2_saveexec_b64 s[18:19], s[2:3]
; %bb.284:                              ;   in Loop: Header=BB335_132 Depth=1
	v_or_b32_e32 v43, 0x10000, v45
	v_cmp_eq_u32_sdwa s[2:3], v45, v17 src0_sel:WORD_0 src1_sel:DWORD
	s_nop 1
	v_cndmask_b32_e64 v43, v43, v45, s[2:3]
; %bb.285:                              ;   in Loop: Header=BB335_132 Depth=1
	s_or_b64 exec, exec, s[18:19]
	v_lshlrev_b32_e32 v41, 16, v41
	v_mul_f32_e32 v45, v28, v41
	v_and_b32_e32 v41, 0x7f800000, v45
	v_cmp_ne_u32_e64 s[2:3], s25, v41
                                        ; implicit-def: $vgpr41
	s_and_saveexec_b64 s[18:19], s[2:3]
	s_xor_b64 s[2:3], exec, s[18:19]
; %bb.286:                              ;   in Loop: Header=BB335_132 Depth=1
	v_bfe_u32 v41, v45, 16, 1
	v_add3_u32 v41, v45, v41, s26
                                        ; implicit-def: $vgpr45
; %bb.287:                              ;   in Loop: Header=BB335_132 Depth=1
	s_andn2_saveexec_b64 s[18:19], s[2:3]
; %bb.288:                              ;   in Loop: Header=BB335_132 Depth=1
	v_or_b32_e32 v41, 0x10000, v45
	v_cmp_eq_u32_sdwa s[2:3], v45, v17 src0_sel:WORD_0 src1_sel:DWORD
	s_nop 1
	v_cndmask_b32_e64 v41, v41, v45, s[2:3]
; %bb.289:                              ;   in Loop: Header=BB335_132 Depth=1
	s_or_b64 exec, exec, s[18:19]
	v_lshlrev_b32_e32 v39, 16, v39
	v_mul_f32_e32 v45, v29, v39
	v_and_b32_e32 v39, 0x7f800000, v45
	v_cmp_ne_u32_e64 s[2:3], s25, v39
                                        ; implicit-def: $vgpr39
	s_and_saveexec_b64 s[18:19], s[2:3]
	s_xor_b64 s[2:3], exec, s[18:19]
; %bb.290:                              ;   in Loop: Header=BB335_132 Depth=1
	v_bfe_u32 v39, v45, 16, 1
	v_add3_u32 v39, v45, v39, s26
                                        ; implicit-def: $vgpr45
; %bb.291:                              ;   in Loop: Header=BB335_132 Depth=1
	s_andn2_saveexec_b64 s[18:19], s[2:3]
; %bb.292:                              ;   in Loop: Header=BB335_132 Depth=1
	v_or_b32_e32 v39, 0x10000, v45
	v_cmp_eq_u32_sdwa s[2:3], v45, v17 src0_sel:WORD_0 src1_sel:DWORD
	s_nop 1
	v_cndmask_b32_e64 v39, v39, v45, s[2:3]
; %bb.293:                              ;   in Loop: Header=BB335_132 Depth=1
	s_or_b64 exec, exec, s[18:19]
	v_lshlrev_b32_e32 v4, 16, v4
	v_mul_f32_e32 v45, v30, v4
	v_and_b32_e32 v4, 0x7f800000, v45
	v_cmp_ne_u32_e64 s[2:3], s25, v4
                                        ; implicit-def: $vgpr4
	s_and_saveexec_b64 s[18:19], s[2:3]
	s_xor_b64 s[2:3], exec, s[18:19]
; %bb.294:                              ;   in Loop: Header=BB335_132 Depth=1
	v_bfe_u32 v4, v45, 16, 1
	v_add3_u32 v4, v45, v4, s26
                                        ; implicit-def: $vgpr45
; %bb.295:                              ;   in Loop: Header=BB335_132 Depth=1
	s_andn2_saveexec_b64 s[18:19], s[2:3]
; %bb.296:                              ;   in Loop: Header=BB335_132 Depth=1
	v_or_b32_e32 v4, 0x10000, v45
	v_cmp_eq_u32_sdwa s[2:3], v45, v17 src0_sel:WORD_0 src1_sel:DWORD
	s_nop 1
	v_cndmask_b32_e64 v4, v4, v45, s[2:3]
; %bb.297:                              ;   in Loop: Header=BB335_132 Depth=1
	s_or_b64 exec, exec, s[18:19]
	v_and_b32_e32 v46, 0xffff0000, v36
	v_and_b32_e32 v36, 0xffff0000, v35
	;; [unrolled: 1-line block ×8, first 2 shown]
	v_pk_add_f32 v[32:33], v[32:33], v[34:35]
	v_pk_add_f32 v[34:35], v[36:37], v[46:47]
	v_add_f32_e32 v31, v32, v33
	v_add_f32_e32 v31, v31, v34
	;; [unrolled: 1-line block ×3, first 2 shown]
	v_and_b32_e32 v35, 0xffff0000, v39
	v_and_b32_e32 v37, 0xffff0000, v44
	;; [unrolled: 1-line block ×8, first 2 shown]
	v_pk_add_f32 v[4:5], v[38:39], v[36:37]
	v_pk_add_f32 v[32:33], v[34:35], v[32:33]
	v_add_f32_e32 v4, v4, v5
	v_add_f32_e32 v4, v4, v32
	;; [unrolled: 1-line block ×5, first 2 shown]
	s_and_saveexec_b64 s[18:19], vcc
	s_cbranch_execz .LBB335_130
; %bb.298:                              ;   in Loop: Header=BB335_132 Depth=1
	v_lshl_add_u64 v[2:3], v[2:3], 0, v[18:19]
	global_load_dwordx2 v[2:3], v[2:3], off
	s_waitcnt vmcnt(0)
	v_and_b32_e32 v4, 0xff, v2
	v_cvt_f32_fp8_sdwa v4, v4 src0_sel:BYTE_0
	s_nop 0
	v_mul_f32_e32 v5, s27, v4
	v_and_b32_e32 v4, 0x7f800000, v5
	v_cmp_ne_u32_e64 s[2:3], s25, v4
                                        ; implicit-def: $vgpr4
	s_and_saveexec_b64 s[20:21], s[2:3]
	s_xor_b64 s[2:3], exec, s[20:21]
; %bb.299:                              ;   in Loop: Header=BB335_132 Depth=1
	v_bfe_u32 v4, v5, 16, 1
	v_add3_u32 v4, v5, v4, s26
                                        ; implicit-def: $vgpr5
; %bb.300:                              ;   in Loop: Header=BB335_132 Depth=1
	s_andn2_saveexec_b64 s[20:21], s[2:3]
; %bb.301:                              ;   in Loop: Header=BB335_132 Depth=1
	v_or_b32_e32 v4, 0x10000, v5
	v_cmp_eq_u32_sdwa s[2:3], v5, v17 src0_sel:WORD_0 src1_sel:DWORD
	s_nop 1
	v_cndmask_b32_e64 v4, v4, v5, s[2:3]
; %bb.302:                              ;   in Loop: Header=BB335_132 Depth=1
	s_or_b64 exec, exec, s[20:21]
	v_bfe_u32 v5, v2, 8, 8
	v_cvt_f32_fp8_sdwa v5, v5 src0_sel:BYTE_0
	s_nop 0
	v_mul_f32_e32 v31, s27, v5
	v_and_b32_e32 v5, 0x7f800000, v31
	v_cmp_ne_u32_e64 s[2:3], s25, v5
                                        ; implicit-def: $vgpr5
	s_and_saveexec_b64 s[20:21], s[2:3]
	s_xor_b64 s[2:3], exec, s[20:21]
; %bb.303:                              ;   in Loop: Header=BB335_132 Depth=1
	v_bfe_u32 v5, v31, 16, 1
	v_add3_u32 v5, v31, v5, s26
                                        ; implicit-def: $vgpr31
; %bb.304:                              ;   in Loop: Header=BB335_132 Depth=1
	s_andn2_saveexec_b64 s[20:21], s[2:3]
; %bb.305:                              ;   in Loop: Header=BB335_132 Depth=1
	v_or_b32_e32 v5, 0x10000, v31
	v_cmp_eq_u32_sdwa s[2:3], v31, v17 src0_sel:WORD_0 src1_sel:DWORD
	s_nop 1
	v_cndmask_b32_e64 v5, v5, v31, s[2:3]
; %bb.306:                              ;   in Loop: Header=BB335_132 Depth=1
	s_or_b64 exec, exec, s[20:21]
	v_bfe_u32 v31, v2, 16, 8
	v_cvt_f32_fp8_sdwa v31, v31 src0_sel:BYTE_0
	s_nop 0
	v_mul_f32_e32 v31, s27, v31
	v_and_b32_e32 v32, 0x7f800000, v31
	v_cmp_ne_u32_e64 s[2:3], s25, v32
                                        ; implicit-def: $vgpr32
	s_and_saveexec_b64 s[20:21], s[2:3]
	s_xor_b64 s[2:3], exec, s[20:21]
; %bb.307:                              ;   in Loop: Header=BB335_132 Depth=1
	v_bfe_u32 v32, v31, 16, 1
	v_add3_u32 v32, v31, v32, s26
                                        ; implicit-def: $vgpr31
; %bb.308:                              ;   in Loop: Header=BB335_132 Depth=1
	s_andn2_saveexec_b64 s[20:21], s[2:3]
; %bb.309:                              ;   in Loop: Header=BB335_132 Depth=1
	v_or_b32_e32 v32, 0x10000, v31
	v_cmp_eq_u32_sdwa s[2:3], v31, v17 src0_sel:WORD_0 src1_sel:DWORD
	s_nop 1
	v_cndmask_b32_e64 v32, v32, v31, s[2:3]
; %bb.310:                              ;   in Loop: Header=BB335_132 Depth=1
	s_or_b64 exec, exec, s[20:21]
	v_lshrrev_b32_e32 v2, 24, v2
	v_cvt_f32_fp8_sdwa v2, v2 src0_sel:BYTE_0
	s_nop 0
	v_mul_f32_e32 v31, s27, v2
	v_and_b32_e32 v2, 0x7f800000, v31
	v_cmp_ne_u32_e64 s[2:3], s25, v2
                                        ; implicit-def: $vgpr2
	s_and_saveexec_b64 s[20:21], s[2:3]
	s_xor_b64 s[2:3], exec, s[20:21]
; %bb.311:                              ;   in Loop: Header=BB335_132 Depth=1
	v_bfe_u32 v2, v31, 16, 1
	v_add3_u32 v2, v31, v2, s26
                                        ; implicit-def: $vgpr31
; %bb.312:                              ;   in Loop: Header=BB335_132 Depth=1
	s_andn2_saveexec_b64 s[20:21], s[2:3]
; %bb.313:                              ;   in Loop: Header=BB335_132 Depth=1
	v_or_b32_e32 v2, 0x10000, v31
	v_cmp_eq_u32_sdwa s[2:3], v31, v17 src0_sel:WORD_0 src1_sel:DWORD
	s_nop 1
	v_cndmask_b32_e64 v2, v2, v31, s[2:3]
; %bb.314:                              ;   in Loop: Header=BB335_132 Depth=1
	s_or_b64 exec, exec, s[20:21]
	v_and_b32_e32 v31, 0xff, v3
	v_cvt_f32_fp8_sdwa v31, v31 src0_sel:BYTE_0
	s_nop 0
	v_mul_f32_e32 v31, s27, v31
	v_and_b32_e32 v33, 0x7f800000, v31
	v_cmp_ne_u32_e64 s[2:3], s25, v33
                                        ; implicit-def: $vgpr33
	s_and_saveexec_b64 s[20:21], s[2:3]
	s_xor_b64 s[2:3], exec, s[20:21]
; %bb.315:                              ;   in Loop: Header=BB335_132 Depth=1
	v_bfe_u32 v33, v31, 16, 1
	v_add3_u32 v33, v31, v33, s26
                                        ; implicit-def: $vgpr31
; %bb.316:                              ;   in Loop: Header=BB335_132 Depth=1
	s_andn2_saveexec_b64 s[20:21], s[2:3]
; %bb.317:                              ;   in Loop: Header=BB335_132 Depth=1
	v_or_b32_e32 v33, 0x10000, v31
	v_cmp_eq_u32_sdwa s[2:3], v31, v17 src0_sel:WORD_0 src1_sel:DWORD
	s_nop 1
	v_cndmask_b32_e64 v33, v33, v31, s[2:3]
; %bb.318:                              ;   in Loop: Header=BB335_132 Depth=1
	s_or_b64 exec, exec, s[20:21]
	v_bfe_u32 v31, v3, 8, 8
	v_cvt_f32_fp8_sdwa v31, v31 src0_sel:BYTE_0
	s_nop 0
	v_mul_f32_e32 v34, s27, v31
	v_and_b32_e32 v31, 0x7f800000, v34
	v_cmp_ne_u32_e64 s[2:3], s25, v31
                                        ; implicit-def: $vgpr31
	s_and_saveexec_b64 s[20:21], s[2:3]
	s_xor_b64 s[2:3], exec, s[20:21]
; %bb.319:                              ;   in Loop: Header=BB335_132 Depth=1
	v_bfe_u32 v31, v34, 16, 1
	v_add3_u32 v31, v34, v31, s26
                                        ; implicit-def: $vgpr34
; %bb.320:                              ;   in Loop: Header=BB335_132 Depth=1
	s_andn2_saveexec_b64 s[20:21], s[2:3]
; %bb.321:                              ;   in Loop: Header=BB335_132 Depth=1
	v_or_b32_e32 v31, 0x10000, v34
	v_cmp_eq_u32_sdwa s[2:3], v34, v17 src0_sel:WORD_0 src1_sel:DWORD
	s_nop 1
	v_cndmask_b32_e64 v31, v31, v34, s[2:3]
; %bb.322:                              ;   in Loop: Header=BB335_132 Depth=1
	s_or_b64 exec, exec, s[20:21]
	v_bfe_u32 v34, v3, 16, 8
	v_cvt_f32_fp8_sdwa v34, v34 src0_sel:BYTE_0
	s_nop 0
	v_mul_f32_e32 v34, s27, v34
	v_and_b32_e32 v35, 0x7f800000, v34
	v_cmp_ne_u32_e64 s[2:3], s25, v35
                                        ; implicit-def: $vgpr35
	s_and_saveexec_b64 s[20:21], s[2:3]
	s_xor_b64 s[2:3], exec, s[20:21]
; %bb.323:                              ;   in Loop: Header=BB335_132 Depth=1
	v_bfe_u32 v35, v34, 16, 1
	v_add3_u32 v35, v34, v35, s26
                                        ; implicit-def: $vgpr34
; %bb.324:                              ;   in Loop: Header=BB335_132 Depth=1
	s_andn2_saveexec_b64 s[20:21], s[2:3]
; %bb.325:                              ;   in Loop: Header=BB335_132 Depth=1
	v_or_b32_e32 v35, 0x10000, v34
	v_cmp_eq_u32_sdwa s[2:3], v34, v17 src0_sel:WORD_0 src1_sel:DWORD
	s_nop 1
	v_cndmask_b32_e64 v35, v35, v34, s[2:3]
; %bb.326:                              ;   in Loop: Header=BB335_132 Depth=1
	s_or_b64 exec, exec, s[20:21]
	v_lshrrev_b32_e32 v3, 24, v3
	v_cvt_f32_fp8_sdwa v3, v3 src0_sel:BYTE_0
                                        ; implicit-def: $vgpr36
	s_nop 0
	v_mul_f32_e32 v3, s27, v3
	v_and_b32_e32 v34, 0x7f800000, v3
	v_cmp_ne_u32_e64 s[2:3], s25, v34
	s_and_saveexec_b64 s[20:21], s[2:3]
	s_xor_b64 s[2:3], exec, s[20:21]
; %bb.327:                              ;   in Loop: Header=BB335_132 Depth=1
	v_bfe_u32 v34, v3, 16, 1
	v_add3_u32 v36, v3, v34, s26
                                        ; implicit-def: $vgpr3
; %bb.328:                              ;   in Loop: Header=BB335_132 Depth=1
	s_andn2_saveexec_b64 s[20:21], s[2:3]
; %bb.329:                              ;   in Loop: Header=BB335_132 Depth=1
	v_or_b32_e32 v34, 0x10000, v3
	v_cmp_eq_u32_sdwa s[2:3], v3, v17 src0_sel:WORD_0 src1_sel:DWORD
	s_nop 1
	v_cndmask_b32_e64 v36, v34, v3, s[2:3]
; %bb.330:                              ;   in Loop: Header=BB335_132 Depth=1
	s_or_b64 exec, exec, s[20:21]
	v_lshrrev_b32_e32 v31, 16, v31
	v_lshrrev_b32_e32 v33, 16, v33
	;; [unrolled: 1-line block ×8, first 2 shown]
	s_and_saveexec_b64 s[2:3], s[0:1]
	s_cbranch_execz .LBB335_332
; %bb.331:                              ;   in Loop: Header=BB335_132 Depth=1
	v_cmp_gt_i32_e64 s[0:1], s33, v6
	v_add_u32_e32 v35, 1, v6
	s_nop 0
	v_cndmask_b32_e64 v3, 0, v3, s[0:1]
	v_cmp_gt_i32_e64 s[0:1], s33, v35
	v_add_u32_e32 v35, 2, v6
	s_nop 0
	v_cndmask_b32_e64 v5, 0, v5, s[0:1]
	;; [unrolled: 4-line block ×5, first 2 shown]
	v_cmp_gt_i32_e64 s[0:1], s33, v35
	v_add_u32_e32 v35, 6, v6
	v_add_u32_e32 v6, 7, v6
	v_cndmask_b32_e64 v31, 0, v31, s[0:1]
	v_cmp_gt_i32_e64 s[0:1], s33, v35
	s_nop 1
	v_cndmask_b32_e64 v4, 0, v4, s[0:1]
	v_cmp_gt_i32_e64 s[0:1], s33, v6
	s_nop 1
	v_cndmask_b32_e64 v2, 0, v2, s[0:1]
.LBB335_332:                            ;   in Loop: Header=BB335_132 Depth=1
	s_or_b64 exec, exec, s[2:3]
	v_lshlrev_b32_e32 v3, 16, v3
	v_mul_f32_e32 v6, v7, v3
	v_and_b32_e32 v3, 0x7f800000, v6
	v_cmp_ne_u32_e64 s[0:1], s25, v3
                                        ; implicit-def: $vgpr3
	s_and_saveexec_b64 s[2:3], s[0:1]
	s_xor_b64 s[0:1], exec, s[2:3]
; %bb.333:                              ;   in Loop: Header=BB335_132 Depth=1
	v_bfe_u32 v3, v6, 16, 1
	v_add3_u32 v3, v6, v3, s26
                                        ; implicit-def: $vgpr6
; %bb.334:                              ;   in Loop: Header=BB335_132 Depth=1
	s_andn2_saveexec_b64 s[2:3], s[0:1]
; %bb.335:                              ;   in Loop: Header=BB335_132 Depth=1
	v_or_b32_e32 v3, 0x10000, v6
	v_cmp_eq_u32_sdwa s[0:1], v6, v17 src0_sel:WORD_0 src1_sel:DWORD
	s_nop 1
	v_cndmask_b32_e64 v3, v3, v6, s[0:1]
; %bb.336:                              ;   in Loop: Header=BB335_132 Depth=1
	s_or_b64 exec, exec, s[2:3]
	v_lshlrev_b32_e32 v5, 16, v5
	v_mul_f32_e32 v6, v8, v5
	v_and_b32_e32 v5, 0x7f800000, v6
	v_cmp_ne_u32_e64 s[0:1], s25, v5
                                        ; implicit-def: $vgpr5
	s_and_saveexec_b64 s[2:3], s[0:1]
	s_xor_b64 s[0:1], exec, s[2:3]
; %bb.337:                              ;   in Loop: Header=BB335_132 Depth=1
	v_bfe_u32 v5, v6, 16, 1
	v_add3_u32 v5, v6, v5, s26
                                        ; implicit-def: $vgpr6
; %bb.338:                              ;   in Loop: Header=BB335_132 Depth=1
	s_andn2_saveexec_b64 s[2:3], s[0:1]
; %bb.339:                              ;   in Loop: Header=BB335_132 Depth=1
	v_or_b32_e32 v5, 0x10000, v6
	v_cmp_eq_u32_sdwa s[0:1], v6, v17 src0_sel:WORD_0 src1_sel:DWORD
	s_nop 1
	v_cndmask_b32_e64 v5, v5, v6, s[0:1]
; %bb.340:                              ;   in Loop: Header=BB335_132 Depth=1
	s_or_b64 exec, exec, s[2:3]
	v_lshlrev_b32_e32 v6, 16, v32
	v_mul_f32_e32 v7, v9, v6
	v_and_b32_e32 v6, 0x7f800000, v7
	v_cmp_ne_u32_e64 s[0:1], s25, v6
                                        ; implicit-def: $vgpr6
	s_and_saveexec_b64 s[2:3], s[0:1]
	s_xor_b64 s[0:1], exec, s[2:3]
; %bb.341:                              ;   in Loop: Header=BB335_132 Depth=1
	v_bfe_u32 v6, v7, 16, 1
	v_add3_u32 v6, v7, v6, s26
                                        ; implicit-def: $vgpr7
; %bb.342:                              ;   in Loop: Header=BB335_132 Depth=1
	s_andn2_saveexec_b64 s[2:3], s[0:1]
; %bb.343:                              ;   in Loop: Header=BB335_132 Depth=1
	v_or_b32_e32 v6, 0x10000, v7
	v_cmp_eq_u32_sdwa s[0:1], v7, v17 src0_sel:WORD_0 src1_sel:DWORD
	s_nop 1
	v_cndmask_b32_e64 v6, v6, v7, s[0:1]
; %bb.344:                              ;   in Loop: Header=BB335_132 Depth=1
	s_or_b64 exec, exec, s[2:3]
	v_lshlrev_b32_e32 v7, 16, v34
	v_mul_f32_e32 v8, v26, v7
	v_and_b32_e32 v7, 0x7f800000, v8
	v_cmp_ne_u32_e64 s[0:1], s25, v7
                                        ; implicit-def: $vgpr7
	s_and_saveexec_b64 s[2:3], s[0:1]
	s_xor_b64 s[0:1], exec, s[2:3]
; %bb.345:                              ;   in Loop: Header=BB335_132 Depth=1
	v_bfe_u32 v7, v8, 16, 1
	v_add3_u32 v7, v8, v7, s26
                                        ; implicit-def: $vgpr8
; %bb.346:                              ;   in Loop: Header=BB335_132 Depth=1
	s_andn2_saveexec_b64 s[2:3], s[0:1]
; %bb.347:                              ;   in Loop: Header=BB335_132 Depth=1
	v_or_b32_e32 v7, 0x10000, v8
	v_cmp_eq_u32_sdwa s[0:1], v8, v17 src0_sel:WORD_0 src1_sel:DWORD
	s_nop 1
	v_cndmask_b32_e64 v7, v7, v8, s[0:1]
; %bb.348:                              ;   in Loop: Header=BB335_132 Depth=1
	s_or_b64 exec, exec, s[2:3]
	v_lshlrev_b32_e32 v8, 16, v33
	v_mul_f32_e32 v9, v27, v8
	v_and_b32_e32 v8, 0x7f800000, v9
	v_cmp_ne_u32_e64 s[0:1], s25, v8
                                        ; implicit-def: $vgpr8
	s_and_saveexec_b64 s[2:3], s[0:1]
	s_xor_b64 s[0:1], exec, s[2:3]
; %bb.349:                              ;   in Loop: Header=BB335_132 Depth=1
	v_bfe_u32 v8, v9, 16, 1
	v_add3_u32 v8, v9, v8, s26
                                        ; implicit-def: $vgpr9
; %bb.350:                              ;   in Loop: Header=BB335_132 Depth=1
	s_andn2_saveexec_b64 s[2:3], s[0:1]
; %bb.351:                              ;   in Loop: Header=BB335_132 Depth=1
	v_or_b32_e32 v8, 0x10000, v9
	v_cmp_eq_u32_sdwa s[0:1], v9, v17 src0_sel:WORD_0 src1_sel:DWORD
	s_nop 1
	v_cndmask_b32_e64 v8, v8, v9, s[0:1]
; %bb.352:                              ;   in Loop: Header=BB335_132 Depth=1
	s_or_b64 exec, exec, s[2:3]
	v_lshlrev_b32_e32 v9, 16, v31
	v_mul_f32_e32 v26, v28, v9
	v_and_b32_e32 v9, 0x7f800000, v26
	v_cmp_ne_u32_e64 s[0:1], s25, v9
                                        ; implicit-def: $vgpr9
	s_and_saveexec_b64 s[2:3], s[0:1]
	s_xor_b64 s[0:1], exec, s[2:3]
; %bb.353:                              ;   in Loop: Header=BB335_132 Depth=1
	v_bfe_u32 v9, v26, 16, 1
	v_add3_u32 v9, v26, v9, s26
                                        ; implicit-def: $vgpr26
; %bb.354:                              ;   in Loop: Header=BB335_132 Depth=1
	s_andn2_saveexec_b64 s[2:3], s[0:1]
; %bb.355:                              ;   in Loop: Header=BB335_132 Depth=1
	v_or_b32_e32 v9, 0x10000, v26
	v_cmp_eq_u32_sdwa s[0:1], v26, v17 src0_sel:WORD_0 src1_sel:DWORD
	s_nop 1
	v_cndmask_b32_e64 v9, v9, v26, s[0:1]
; %bb.356:                              ;   in Loop: Header=BB335_132 Depth=1
	s_or_b64 exec, exec, s[2:3]
	v_lshlrev_b32_e32 v4, 16, v4
	v_mul_f32_e32 v26, v29, v4
	v_and_b32_e32 v4, 0x7f800000, v26
	v_cmp_ne_u32_e64 s[0:1], s25, v4
                                        ; implicit-def: $vgpr4
	s_and_saveexec_b64 s[2:3], s[0:1]
	s_xor_b64 s[0:1], exec, s[2:3]
; %bb.357:                              ;   in Loop: Header=BB335_132 Depth=1
	v_bfe_u32 v4, v26, 16, 1
	v_add3_u32 v4, v26, v4, s26
                                        ; implicit-def: $vgpr26
; %bb.358:                              ;   in Loop: Header=BB335_132 Depth=1
	s_andn2_saveexec_b64 s[2:3], s[0:1]
; %bb.359:                              ;   in Loop: Header=BB335_132 Depth=1
	v_or_b32_e32 v4, 0x10000, v26
	v_cmp_eq_u32_sdwa s[0:1], v26, v17 src0_sel:WORD_0 src1_sel:DWORD
	s_nop 1
	v_cndmask_b32_e64 v4, v4, v26, s[0:1]
; %bb.360:                              ;   in Loop: Header=BB335_132 Depth=1
	s_or_b64 exec, exec, s[2:3]
	v_lshlrev_b32_e32 v2, 16, v2
	v_mul_f32_e32 v2, v30, v2
	v_and_b32_e32 v26, 0x7f800000, v2
	v_cmp_ne_u32_e64 s[0:1], s25, v26
                                        ; implicit-def: $vgpr26
	s_and_saveexec_b64 s[2:3], s[0:1]
	s_xor_b64 s[0:1], exec, s[2:3]
; %bb.361:                              ;   in Loop: Header=BB335_132 Depth=1
	v_bfe_u32 v26, v2, 16, 1
	v_add3_u32 v26, v2, v26, s26
                                        ; implicit-def: $vgpr2
; %bb.362:                              ;   in Loop: Header=BB335_132 Depth=1
	s_andn2_saveexec_b64 s[2:3], s[0:1]
	s_cbranch_execz .LBB335_129
; %bb.363:                              ;   in Loop: Header=BB335_132 Depth=1
	v_or_b32_e32 v26, 0x10000, v2
	v_cmp_eq_u32_sdwa s[0:1], v2, v17 src0_sel:WORD_0 src1_sel:DWORD
	s_nop 1
	v_cndmask_b32_e64 v26, v26, v2, s[0:1]
	s_branch .LBB335_129
.LBB335_364:
	s_or_b64 exec, exec, s[12:13]
.LBB335_365:
	s_or_b64 exec, exec, s[10:11]
	ds_bpermute_b32 v2, v13, v10
	ds_bpermute_b32 v3, v13, v11
	;; [unrolled: 1-line block ×3, first 2 shown]
	s_waitcnt lgkmcnt(0)
	s_barrier
	v_pk_add_f32 v[4:5], v[10:11], v[2:3]
	v_add_f32_e32 v2, v12, v1
	v_and_b32_e32 v1, 0x3c0, v0
	v_cmp_eq_u32_e32 vcc, 64, v1
	s_and_saveexec_b64 s[2:3], vcc
	s_cbranch_execz .LBB335_370
; %bb.366:
	v_cmp_eq_u32_e32 vcc, 0, v22
	s_and_saveexec_b64 s[0:1], vcc
	s_cbranch_execz .LBB335_368
; %bb.367:
	v_mov_b32_e32 v1, 0xb0
	v_lshl_add_u32 v1, v23, 2, v1
	ds_write2_b32 v1, v4, v5 offset1:32
.LBB335_368:
	s_or_b64 exec, exec, s[0:1]
	v_or_b32_e32 v1, 64, v23
	s_movk_i32 s0, 0x50
	v_cmp_gt_u32_e64 s[0:1], s0, v1
	s_and_b64 s[0:1], vcc, s[0:1]
	s_and_b64 exec, exec, s[0:1]
	s_cbranch_execz .LBB335_370
; %bb.369:
	v_mov_b32_e32 v1, 0xb0
	v_lshl_add_u32 v1, v23, 2, v1
	ds_write_b32 v1, v2 offset:256
.LBB335_370:
	s_or_b64 exec, exec, s[2:3]
	v_cmp_gt_u32_e32 vcc, 64, v0
	v_cmp_lt_u32_e64 s[0:1], 63, v0
	s_waitcnt lgkmcnt(0)
	s_barrier
	s_and_saveexec_b64 s[2:3], s[0:1]
	s_xor_b64 s[0:1], exec, s[2:3]
	s_or_saveexec_b64 s[8:9], s[0:1]
	v_lshrrev_b32_e32 v3, 1, v0
	s_xor_b64 exec, exec, s[8:9]
	s_cbranch_execz .LBB335_378
; %bb.371:
	v_cmp_eq_u32_e64 s[0:1], 0, v22
	s_and_saveexec_b64 s[2:3], s[0:1]
	s_cbranch_execz .LBB335_373
; %bb.372:
	v_mov_b32_e32 v0, 0xb0
	v_lshl_add_u32 v0, v3, 2, v0
	ds_read_b32 v0, v0
	s_waitcnt lgkmcnt(0)
	v_add_f32_e32 v4, v4, v0
.LBB335_373:
	s_or_b64 exec, exec, s[2:3]
	s_and_saveexec_b64 s[2:3], s[0:1]
	s_cbranch_execz .LBB335_375
; %bb.374:
	v_mov_b32_e32 v0, 0xb0
	v_lshl_add_u32 v0, v3, 2, v0
	ds_read_b32 v0, v0 offset:128
	s_waitcnt lgkmcnt(0)
	v_add_f32_e32 v5, v5, v0
.LBB335_375:
	s_or_b64 exec, exec, s[2:3]
	v_or_b32_e32 v0, 64, v3
	s_movk_i32 s2, 0x50
	v_cmp_gt_u32_e64 s[2:3], s2, v0
	s_and_b64 s[2:3], s[0:1], s[2:3]
	s_and_saveexec_b64 s[0:1], s[2:3]
	s_cbranch_execz .LBB335_377
; %bb.376:
	v_mov_b32_e32 v0, 0xb0
	v_lshl_add_u32 v0, v3, 2, v0
	ds_read_b32 v0, v0 offset:256
	s_waitcnt lgkmcnt(0)
	v_add_f32_e32 v2, v2, v0
.LBB335_377:
	s_or_b64 exec, exec, s[0:1]
.LBB335_378:
	s_or_b64 exec, exec, s[8:9]
	s_barrier
	s_and_saveexec_b64 s[0:1], vcc
	s_cbranch_execz .LBB335_395
; %bb.379:
	s_mul_i32 s0, s6, 0x50
	s_ashr_i32 s1, s0, 31
	s_lshl_b64 s[0:1], s[0:1], 1
	s_add_u32 s2, s30, s0
	s_mul_i32 s0, s23, s28
	s_addc_u32 s3, s31, s1
	s_ashr_i32 s1, s0, 31
	s_lshl_b64 s[0:1], s[0:1], 1
	s_add_u32 s2, s2, s0
	s_mul_i32 s0, s4, 0x50
	s_addc_u32 s3, s3, s1
	s_ashr_i32 s1, s0, 31
	s_lshl_b64 s[0:1], s[0:1], 1
	s_add_u32 s2, s2, s0
	s_addc_u32 s3, s3, s1
	v_cmp_eq_u32_e32 vcc, 0, v22
	s_and_saveexec_b64 s[4:5], vcc
	s_cbranch_execz .LBB335_389
; %bb.380:
	s_mov_b32 s0, 0x7f800000
	v_and_b32_e32 v0, 0x7f800000, v4
	v_cmp_ne_u32_e64 s[0:1], s0, v0
                                        ; implicit-def: $vgpr6
	s_and_saveexec_b64 s[6:7], s[0:1]
	s_xor_b64 s[0:1], exec, s[6:7]
; %bb.381:
	v_bfe_u32 v0, v4, 16, 1
	s_movk_i32 s6, 0x7fff
	v_add3_u32 v6, v4, v0, s6
; %bb.382:
	s_andn2_saveexec_b64 s[6:7], s[0:1]
; %bb.383:
	v_mov_b32_e32 v0, 0
	v_or_b32_e32 v1, 0x10000, v4
	v_cmp_eq_u32_sdwa s[0:1], v4, v0 src0_sel:WORD_0 src1_sel:DWORD
	s_nop 1
	v_cndmask_b32_e64 v6, v1, v4, s[0:1]
; %bb.384:
	s_or_b64 exec, exec, s[6:7]
	s_mov_b32 s0, 0x7f800000
	v_and_b32_e32 v4, 0x7f800000, v5
	v_lshlrev_b32_e32 v0, 1, v3
	v_mov_b32_e32 v1, 0
	v_cmp_ne_u32_e64 s[0:1], s0, v4
	global_store_short_d16_hi v0, v6, s[2:3]
                                        ; implicit-def: $vgpr7
	s_and_saveexec_b64 s[6:7], s[0:1]
	s_xor_b64 s[0:1], exec, s[6:7]
; %bb.385:
	v_bfe_u32 v4, v5, 16, 1
	s_movk_i32 s6, 0x7fff
	v_add3_u32 v7, v5, v4, s6
                                        ; implicit-def: $vgpr4_vgpr5_vgpr6
; %bb.386:
	s_or_saveexec_b64 s[6:7], s[0:1]
	v_lshl_add_u64 v[0:1], s[2:3], 0, v[0:1]
	s_xor_b64 exec, exec, s[6:7]
; %bb.387:
	v_mov_b32_e32 v4, 0
	v_or_b32_e32 v6, 0x10000, v5
	v_cmp_eq_u32_sdwa s[0:1], v5, v4 src0_sel:WORD_0 src1_sel:DWORD
	s_nop 1
	v_cndmask_b32_e64 v7, v6, v5, s[0:1]
; %bb.388:
	s_or_b64 exec, exec, s[6:7]
	global_store_short_d16_hi v[0:1], v7, off offset:64
.LBB335_389:
	s_or_b64 exec, exec, s[4:5]
	v_or_b32_e32 v0, 64, v3
	s_movk_i32 s0, 0x50
	v_cmp_gt_u32_e64 s[0:1], s0, v0
	s_and_b64 s[0:1], vcc, s[0:1]
	s_and_b64 exec, exec, s[0:1]
	s_cbranch_execz .LBB335_395
; %bb.390:
	s_mov_b32 s0, 0x7f800000
	v_and_b32_e32 v0, 0x7f800000, v2
	v_cmp_ne_u32_e32 vcc, s0, v0
                                        ; implicit-def: $vgpr0
	s_and_saveexec_b64 s[0:1], vcc
	s_xor_b64 s[0:1], exec, s[0:1]
; %bb.391:
	v_bfe_u32 v0, v2, 16, 1
	s_movk_i32 s4, 0x7fff
	v_add3_u32 v0, v2, v0, s4
                                        ; implicit-def: $vgpr2
; %bb.392:
	s_andn2_saveexec_b64 s[0:1], s[0:1]
; %bb.393:
	v_mov_b32_e32 v0, 0
	v_or_b32_e32 v1, 0x10000, v2
	v_cmp_eq_u32_sdwa vcc, v2, v0 src0_sel:WORD_0 src1_sel:DWORD
	s_nop 1
	v_cndmask_b32_e32 v0, v1, v2, vcc
; %bb.394:
	s_or_b64 exec, exec, s[0:1]
	v_lshlrev_b32_e32 v1, 1, v3
	global_store_short_d16_hi v1, v0, s[2:3] offset:128
.LBB335_395:
	s_endpgm
	.section	.rodata,"a",@progbits
	.p2align	6, 0x0
	.amdhsa_kernel _ZN4vllm25paged_attention_v2_kernelI14__hip_bfloat16hLi80ELi16ELi128ELNS_18Fp8KVCacheDataTypeE1ELb1ELi512EEEvPfS3_PT_PKS4_PKT0_SA_ifPKiSC_iPKfiiiSE_SE_iiiii
		.amdhsa_group_segment_fixed_size 176
		.amdhsa_private_segment_fixed_size 0
		.amdhsa_kernarg_size 400
		.amdhsa_user_sgpr_count 2
		.amdhsa_user_sgpr_dispatch_ptr 0
		.amdhsa_user_sgpr_queue_ptr 0
		.amdhsa_user_sgpr_kernarg_segment_ptr 1
		.amdhsa_user_sgpr_dispatch_id 0
		.amdhsa_user_sgpr_kernarg_preload_length 0
		.amdhsa_user_sgpr_kernarg_preload_offset 0
		.amdhsa_user_sgpr_private_segment_size 0
		.amdhsa_uses_dynamic_stack 0
		.amdhsa_enable_private_segment 0
		.amdhsa_system_sgpr_workgroup_id_x 1
		.amdhsa_system_sgpr_workgroup_id_y 1
		.amdhsa_system_sgpr_workgroup_id_z 1
		.amdhsa_system_sgpr_workgroup_info 0
		.amdhsa_system_vgpr_workitem_id 0
		.amdhsa_next_free_vgpr 63
		.amdhsa_next_free_sgpr 60
		.amdhsa_accum_offset 64
		.amdhsa_reserve_vcc 1
		.amdhsa_float_round_mode_32 0
		.amdhsa_float_round_mode_16_64 0
		.amdhsa_float_denorm_mode_32 3
		.amdhsa_float_denorm_mode_16_64 3
		.amdhsa_dx10_clamp 1
		.amdhsa_ieee_mode 1
		.amdhsa_fp16_overflow 0
		.amdhsa_tg_split 0
		.amdhsa_exception_fp_ieee_invalid_op 0
		.amdhsa_exception_fp_denorm_src 0
		.amdhsa_exception_fp_ieee_div_zero 0
		.amdhsa_exception_fp_ieee_overflow 0
		.amdhsa_exception_fp_ieee_underflow 0
		.amdhsa_exception_fp_ieee_inexact 0
		.amdhsa_exception_int_div_zero 0
	.end_amdhsa_kernel
	.section	.text._ZN4vllm25paged_attention_v2_kernelI14__hip_bfloat16hLi80ELi16ELi128ELNS_18Fp8KVCacheDataTypeE1ELb1ELi512EEEvPfS3_PT_PKS4_PKT0_SA_ifPKiSC_iPKfiiiSE_SE_iiiii,"axG",@progbits,_ZN4vllm25paged_attention_v2_kernelI14__hip_bfloat16hLi80ELi16ELi128ELNS_18Fp8KVCacheDataTypeE1ELb1ELi512EEEvPfS3_PT_PKS4_PKT0_SA_ifPKiSC_iPKfiiiSE_SE_iiiii,comdat
.Lfunc_end335:
	.size	_ZN4vllm25paged_attention_v2_kernelI14__hip_bfloat16hLi80ELi16ELi128ELNS_18Fp8KVCacheDataTypeE1ELb1ELi512EEEvPfS3_PT_PKS4_PKT0_SA_ifPKiSC_iPKfiiiSE_SE_iiiii, .Lfunc_end335-_ZN4vllm25paged_attention_v2_kernelI14__hip_bfloat16hLi80ELi16ELi128ELNS_18Fp8KVCacheDataTypeE1ELb1ELi512EEEvPfS3_PT_PKS4_PKT0_SA_ifPKiSC_iPKfiiiSE_SE_iiiii
                                        ; -- End function
	.section	.AMDGPU.csdata,"",@progbits
; Kernel info:
; codeLenInByte = 13044
; NumSgprs: 66
; NumVgprs: 63
; NumAgprs: 0
; TotalNumVgprs: 63
; ScratchSize: 0
; MemoryBound: 0
; FloatMode: 240
; IeeeMode: 1
; LDSByteSize: 176 bytes/workgroup (compile time only)
; SGPRBlocks: 8
; VGPRBlocks: 7
; NumSGPRsForWavesPerEU: 66
; NumVGPRsForWavesPerEU: 63
; AccumOffset: 64
; Occupancy: 8
; WaveLimiterHint : 1
; COMPUTE_PGM_RSRC2:SCRATCH_EN: 0
; COMPUTE_PGM_RSRC2:USER_SGPR: 2
; COMPUTE_PGM_RSRC2:TRAP_HANDLER: 0
; COMPUTE_PGM_RSRC2:TGID_X_EN: 1
; COMPUTE_PGM_RSRC2:TGID_Y_EN: 1
; COMPUTE_PGM_RSRC2:TGID_Z_EN: 1
; COMPUTE_PGM_RSRC2:TIDIG_COMP_CNT: 0
; COMPUTE_PGM_RSRC3_GFX90A:ACCUM_OFFSET: 15
; COMPUTE_PGM_RSRC3_GFX90A:TG_SPLIT: 0
	.section	.text._ZN4vllm25paged_attention_v2_kernelI14__hip_bfloat16hLi96ELi16ELi128ELNS_18Fp8KVCacheDataTypeE1ELb1ELi512EEEvPfS3_PT_PKS4_PKT0_SA_ifPKiSC_iPKfiiiSE_SE_iiiii,"axG",@progbits,_ZN4vllm25paged_attention_v2_kernelI14__hip_bfloat16hLi96ELi16ELi128ELNS_18Fp8KVCacheDataTypeE1ELb1ELi512EEEvPfS3_PT_PKS4_PKT0_SA_ifPKiSC_iPKfiiiSE_SE_iiiii,comdat
	.protected	_ZN4vllm25paged_attention_v2_kernelI14__hip_bfloat16hLi96ELi16ELi128ELNS_18Fp8KVCacheDataTypeE1ELb1ELi512EEEvPfS3_PT_PKS4_PKT0_SA_ifPKiSC_iPKfiiiSE_SE_iiiii ; -- Begin function _ZN4vllm25paged_attention_v2_kernelI14__hip_bfloat16hLi96ELi16ELi128ELNS_18Fp8KVCacheDataTypeE1ELb1ELi512EEEvPfS3_PT_PKS4_PKT0_SA_ifPKiSC_iPKfiiiSE_SE_iiiii
	.globl	_ZN4vllm25paged_attention_v2_kernelI14__hip_bfloat16hLi96ELi16ELi128ELNS_18Fp8KVCacheDataTypeE1ELb1ELi512EEEvPfS3_PT_PKS4_PKT0_SA_ifPKiSC_iPKfiiiSE_SE_iiiii
	.p2align	8
	.type	_ZN4vllm25paged_attention_v2_kernelI14__hip_bfloat16hLi96ELi16ELi128ELNS_18Fp8KVCacheDataTypeE1ELb1ELi512EEEvPfS3_PT_PKS4_PKT0_SA_ifPKiSC_iPKfiiiSE_SE_iiiii,@function
_ZN4vllm25paged_attention_v2_kernelI14__hip_bfloat16hLi96ELi16ELi128ELNS_18Fp8KVCacheDataTypeE1ELb1ELi512EEEvPfS3_PT_PKS4_PKT0_SA_ifPKiSC_iPKfiiiSE_SE_iiiii: ; @_ZN4vllm25paged_attention_v2_kernelI14__hip_bfloat16hLi96ELi16ELi128ELNS_18Fp8KVCacheDataTypeE1ELb1ELi512EEEvPfS3_PT_PKS4_PKT0_SA_ifPKiSC_iPKfiiiSE_SE_iiiii
; %bb.0:
	s_load_dwordx2 s[6:7], s[0:1], 0x40
	s_mov_b32 s28, s3
	s_ashr_i32 s29, s3, 31
	s_lshl_b64 s[8:9], s[28:29], 2
	s_waitcnt lgkmcnt(0)
	s_add_u32 s6, s6, s8
	s_addc_u32 s7, s7, s9
	s_load_dword s33, s[6:7], 0x0
	s_lshl_b32 s5, s4, 9
	s_waitcnt lgkmcnt(0)
	s_cmp_ge_i32 s5, s33
	s_cbranch_scc1 .LBB336_402
; %bb.1:
	s_load_dword s29, s[0:1], 0x90
	s_load_dwordx2 s[42:43], s[0:1], 0x30
	s_mov_b32 s51, 0
	s_waitcnt lgkmcnt(0)
	s_abs_i32 s7, s29
	s_abs_i32 s3, s42
	v_cvt_f32_u32_e32 v1, s3
	s_sub_i32 s8, 0, s3
	s_xor_b32 s6, s29, s42
	s_ashr_i32 s6, s6, 31
	v_rcp_iflag_f32_e32 v1, v1
	s_nop 0
	v_mul_f32_e32 v1, 0x4f7ffffe, v1
	v_cvt_u32_f32_e32 v1, v1
	s_nop 0
	v_readfirstlane_b32 s9, v1
	s_mul_i32 s8, s8, s9
	s_mul_hi_u32 s8, s9, s8
	s_add_i32 s9, s9, s8
	s_mul_hi_u32 s8, s7, s9
	s_mul_i32 s9, s8, s3
	s_sub_i32 s7, s7, s9
	s_add_i32 s10, s8, 1
	s_sub_i32 s9, s7, s3
	s_cmp_ge_u32 s7, s3
	s_cselect_b32 s8, s10, s8
	s_cselect_b32 s7, s9, s7
	s_add_i32 s9, s8, 1
	s_cmp_ge_u32 s7, s3
	s_cselect_b32 s3, s9, s8
	s_xor_b32 s3, s3, s6
	s_sub_i32 s11, s3, s6
	s_abs_i32 s8, s11
	v_cvt_f32_u32_e32 v1, s8
	s_load_dwordx2 s[6:7], s[0:1], 0x50
	s_sub_i32 s3, 0, s8
	s_abs_i32 s9, s2
	v_rcp_iflag_f32_e32 v1, v1
	s_nop 0
	v_mul_f32_e32 v1, 0x4f7ffffe, v1
	v_cvt_u32_f32_e32 v1, v1
	s_nop 0
	v_readfirstlane_b32 s10, v1
	s_mul_i32 s3, s3, s10
	s_mul_hi_u32 s3, s10, s3
	s_add_i32 s10, s10, s3
	s_waitcnt lgkmcnt(0)
	s_cmp_eq_u64 s[6:7], 0
	s_mul_hi_u32 s10, s9, s10
	s_cbranch_scc1 .LBB336_3
; %bb.2:
	s_ashr_i32 s3, s2, 31
	s_lshl_b64 s[12:13], s[2:3], 2
	s_add_u32 s6, s6, s12
	s_addc_u32 s7, s7, s13
	s_load_dword s51, s[6:7], 0x0
.LBB336_3:
	s_load_dwordx4 s[16:19], s[0:1], 0x58
	s_ashr_i32 s3, s2, 31
	s_ashr_i32 s11, s11, 31
	v_and_b32_e32 v2, 3, v0
	s_mul_i32 s30, s2, 0x60
	v_cmp_gt_u32_e32 vcc, 48, v0
	s_and_saveexec_b64 s[6:7], vcc
	s_cbranch_execz .LBB336_5
; %bb.4:
	s_load_dwordx2 s[12:13], s[0:1], 0x18
	s_waitcnt lgkmcnt(0)
	s_mul_i32 s14, s28, s16
	s_ashr_i32 s15, s14, 31
	s_lshl_b64 s[14:15], s[14:15], 1
	v_lshlrev_b32_e32 v1, 2, v0
	s_add_u32 s14, s12, s14
	s_addc_u32 s15, s13, s15
	s_ashr_i32 s31, s30, 31
	s_lshl_b64 s[12:13], s[30:31], 1
	s_add_u32 s12, s14, s12
	s_addc_u32 s13, s15, s13
	global_load_dword v1, v1, s[12:13]
	v_and_b32_e32 v3, 0x3fc, v0
	v_mad_u32_u24 v3, v2, 48, v3
	s_waitcnt vmcnt(0)
	ds_write_b32 v3, v1
.LBB336_5:
	s_or_b64 exec, exec, s[6:7]
	s_mul_i32 s6, s10, s8
	s_sub_i32 s6, s9, s6
	s_xor_b32 s3, s3, s11
	s_add_i32 s7, s10, 1
	s_sub_i32 s9, s6, s8
	s_load_dwordx4 s[20:23], s[0:1], 0x78
	s_cmp_ge_u32 s6, s8
	s_cselect_b32 s7, s7, s10
	s_cselect_b32 s6, s9, s6
	s_add_i32 s9, s7, 1
	s_cmp_ge_u32 s6, s8
	s_cselect_b32 s6, s9, s7
	s_load_dword s9, s[0:1], 0x88
	s_waitcnt lgkmcnt(0)
	s_abs_i32 s31, s23
	v_cvt_f32_u32_e32 v1, s31
	s_xor_b32 s6, s6, s3
	s_sub_i32 s50, s6, s3
	s_sub_i32 s6, 0, s31
	v_rcp_iflag_f32_e32 v1, v1
	s_add_i32 s10, s33, -1
	s_abs_i32 s3, s10
	v_mul_f32_e32 v1, 0x4f7ffffe, v1
	v_cvt_u32_f32_e32 v1, v1
	s_barrier
	v_readfirstlane_b32 s48, v1
	s_mul_i32 s6, s6, s48
	s_mul_hi_u32 s6, s48, s6
	s_add_i32 s48, s48, s6
	s_cmp_lt_i32 s9, 0
	s_mul_hi_u32 s8, s3, s48
	s_cbranch_scc0 .LBB336_7
; %bb.6:
	s_mul_i32 s6, s20, s42
	s_add_i32 s6, s50, s6
	s_mul_i32 s6, s6, s9
	s_sub_i32 s42, 1, s6
	s_mov_b64 s[6:7], 0
	s_branch .LBB336_8
.LBB336_7:
	s_mov_b64 s[6:7], -1
                                        ; implicit-def: $sgpr42
.LBB336_8:
	s_load_dwordx2 s[36:37], s[0:1], 0x38
	s_ashr_i32 s10, s10, 31
	s_andn2_b64 vcc, exec, s[6:7]
	s_ashr_i32 s23, s23, 31
	s_cbranch_vccnz .LBB336_10
; %bb.9:
	s_mul_i32 s6, s29, s20
	s_add_i32 s6, s6, s2
	s_mul_i32 s6, s6, s9
	s_add_i32 s42, s6, 1
.LBB336_10:
	s_load_dwordx2 s[40:41], s[0:1], 0x28
	s_load_dword s6, s[0:1], 0x48
	s_load_dwordx4 s[24:27], s[0:1], 0x0
	s_load_dwordx2 s[34:35], s[0:1], 0x10
	s_load_dword s16, s[0:1], 0x98
	s_load_dwordx4 s[12:15], s[0:1], 0x68
	s_mul_i32 s7, s8, s31
	s_waitcnt lgkmcnt(0)
	s_mul_i32 s38, s28, s6
	s_sub_i32 s3, s3, s7
	s_ashr_i32 s39, s38, 31
	s_xor_b32 s6, s10, s23
	s_add_i32 s7, s8, 1
	s_sub_i32 s9, s3, s31
	s_cmp_ge_u32 s3, s31
	s_cselect_b32 s7, s7, s8
	s_cselect_b32 s3, s9, s3
	s_add_i32 s8, s7, 1
	s_cmp_ge_u32 s3, s31
	s_cselect_b32 s3, s8, s7
	s_xor_b32 s3, s3, s6
	s_sub_i32 s49, s3, s6
	s_add_i32 s3, s33, 15
	s_ashr_i32 s6, s3, 31
	s_lshr_b32 s6, s6, 28
	s_add_i32 s3, s3, s6
	s_lshl_b32 s52, s4, 5
	s_ashr_i32 s3, s3, 4
	s_add_i32 s6, s52, 32
	v_lshrrev_b32_e32 v25, 6, v0
	s_min_i32 s20, s6, s3
	v_or_b32_e32 v14, s52, v25
	v_cmp_gt_i32_e64 s[8:9], s20, v14
	v_mov_b32_e32 v28, 0xff7fffff
	s_mul_i32 s50, s50, s18
	v_ashrrev_i32_e32 v15, 31, v14
	v_lshl_add_u32 v1, v25, 4, s5
	v_mbcnt_lo_u32_b32 v24, -1, 0
	s_and_saveexec_b64 s[18:19], s[8:9]
	s_cbranch_execz .LBB336_116
; %bb.11:
	s_load_dwordx2 s[0:1], s[0:1], 0x20
	s_sub_i32 s53, s49, s21
	s_ashr_i32 s6, s50, 31
	v_bfe_u32 v26, v0, 2, 4
	v_mov_b32_e32 v17, 0
	s_waitcnt lgkmcnt(0)
	s_add_u32 s0, s0, s50
	s_addc_u32 s1, s1, s6
	s_abs_i32 s54, s22
	v_cvt_f32_u32_e32 v3, s54
	v_lshlrev_b32_e32 v16, 4, v26
	v_lshl_add_u64 v[18:19], s[0:1], 0, v[16:17]
	s_sub_i32 s0, 0, s54
	v_rcp_iflag_f32_e32 v3, v3
	v_cmp_eq_u32_e32 vcc, 0, v2
	v_mul_u32_u24_e32 v27, 48, v2
	v_lshlrev_b32_e32 v16, 1, v2
	v_mul_f32_e32 v3, 0x4f7ffffe, v3
	v_cvt_u32_f32_e32 v3, v3
	s_mov_b32 s55, s17
	v_cmp_neq_f32_e64 s[6:7], s51, 0
	v_lshl_add_u32 v30, v25, 4, s5
	v_mul_lo_u32 v2, s0, v3
	v_mul_hi_u32 v2, v3, v2
	v_add_u32_e32 v29, v3, v2
	s_lshl_b64 s[0:1], s[38:39], 2
	v_lshlrev_b32_e32 v2, 2, v26
	s_add_u32 s0, s36, s0
	v_lshl_or_b32 v2, v25, 6, v2
	s_addc_u32 s1, s37, s1
	v_add_u32_e32 v31, 0xd0, v2
	v_subrev_u32_e32 v2, s33, v26
	v_lshl_add_u64 v[20:21], v[14:15], 2, s[0:1]
	v_add_u32_e32 v32, 1, v2
	s_mov_b64 s[44:45], 0
	s_mov_b32 s56, 0xffff
	s_mov_b32 s57, 0x7f800000
	s_movk_i32 s58, 0x7fff
	v_mbcnt_hi_u32_b32 v33, -1, v24
	v_mov_b32_e32 v28, 0xff7fffff
	v_mov_b32_e32 v34, v14
	s_branch .LBB336_14
.LBB336_12:                             ;   in Loop: Header=BB336_14 Depth=1
	s_or_b64 exec, exec, s[46:47]
.LBB336_13:                             ;   in Loop: Header=BB336_14 Depth=1
	s_or_b64 exec, exec, s[10:11]
	v_add_u32_e32 v34, 2, v34
	v_cmp_le_i32_e64 s[0:1], s20, v34
	v_lshl_add_u64 v[20:21], v[20:21], 0, 8
	v_add_u32_e32 v30, 32, v30
	s_or_b64 s[44:45], s[0:1], s[44:45]
	v_add_u32_e32 v31, 0x80, v31
	s_andn2_b64 exec, exec, s[44:45]
	s_cbranch_execz .LBB336_115
.LBB336_14:                             ; =>This Inner Loop Header: Depth=1
	s_waitcnt lgkmcnt(0)
	v_sub_u32_e32 v3, 0, v30
	v_max_i32_e32 v3, v30, v3
	v_mul_hi_u32 v4, v3, s48
	v_mul_lo_u32 v5, v4, s31
	v_sub_u32_e32 v3, v3, v5
	v_add_u32_e32 v5, 1, v4
	v_cmp_le_u32_e64 s[0:1], s31, v3
	v_ashrrev_i32_e32 v2, 31, v30
	v_xor_b32_e32 v2, s23, v2
	v_cndmask_b32_e64 v4, v4, v5, s[0:1]
	v_subrev_u32_e32 v5, s31, v3
	v_cndmask_b32_e64 v3, v3, v5, s[0:1]
	v_add_u32_e32 v5, 1, v4
	v_cmp_le_u32_e64 s[0:1], s31, v3
	s_nop 1
	v_cndmask_b32_e64 v3, v4, v5, s[0:1]
	v_xor_b32_e32 v3, v3, v2
	v_sub_u32_e32 v2, v3, v2
	v_add_u32_e32 v3, s42, v2
	v_sub_u32_e32 v5, 0, v3
	v_ashrrev_i32_e32 v4, 31, v3
	v_max_i32_e32 v3, v3, v5
	v_mul_hi_u32 v5, v3, v29
	v_mul_lo_u32 v5, v5, s54
	v_sub_u32_e32 v3, v3, v5
	v_subrev_u32_e32 v5, s54, v3
	v_cmp_le_u32_e64 s[0:1], s54, v3
	v_cmp_ge_i32_e64 s[10:11], s53, v2
	s_nop 0
	v_cndmask_b32_e64 v3, v3, v5, s[0:1]
	v_subrev_u32_e32 v5, s54, v3
	v_cmp_le_u32_e64 s[0:1], s54, v3
	s_nop 1
	v_cndmask_b32_e64 v3, v3, v5, s[0:1]
	v_xor_b32_e32 v3, v3, v4
	v_sub_u32_e32 v3, v3, v4
	v_cmp_ne_u32_e64 s[0:1], 0, v3
	s_and_b64 s[0:1], s[0:1], s[10:11]
	s_and_b64 s[46:47], vcc, s[0:1]
	s_and_saveexec_b64 s[10:11], s[46:47]
	s_cbranch_execz .LBB336_16
; %bb.15:                               ;   in Loop: Header=BB336_14 Depth=1
	v_mov_b32_e32 v2, 0xff7fffff
	ds_write_b32 v31, v2
.LBB336_16:                             ;   in Loop: Header=BB336_14 Depth=1
	s_or_b64 exec, exec, s[10:11]
	s_xor_b64 s[0:1], s[0:1], -1
	s_and_saveexec_b64 s[10:11], s[0:1]
	s_cbranch_execz .LBB336_13
; %bb.17:                               ;   in Loop: Header=BB336_14 Depth=1
	global_load_dword v2, v[20:21], off
	s_load_dword s59, s[12:13], 0x0
	s_waitcnt vmcnt(0)
	v_mad_i64_i32 v[2:3], s[0:1], v2, s55, v[18:19]
	v_lshl_add_u64 v[22:23], v[2:3], 0, v[16:17]
	global_load_ushort v36, v[22:23], off
	s_waitcnt vmcnt(0)
	v_and_b32_sdwa v2, s56, v36 dst_sel:DWORD dst_unused:UNUSED_PAD src0_sel:DWORD src1_sel:BYTE_0
	v_cvt_f32_fp8_sdwa v35, v2 src0_sel:BYTE_0
	ds_read_b128 v[10:13], v27
	ds_read_b128 v[6:9], v27 offset:16
	ds_read_b128 v[2:5], v27 offset:32
	s_waitcnt lgkmcnt(0)
	v_mul_f32_e32 v37, s59, v35
	v_and_b32_e32 v35, 0x7f800000, v37
	v_cmp_ne_u32_e64 s[0:1], s57, v35
                                        ; implicit-def: $vgpr35
	s_and_saveexec_b64 s[46:47], s[0:1]
	s_xor_b64 s[0:1], exec, s[46:47]
; %bb.18:                               ;   in Loop: Header=BB336_14 Depth=1
	v_bfe_u32 v35, v37, 16, 1
	v_add3_u32 v35, v37, v35, s58
                                        ; implicit-def: $vgpr37
; %bb.19:                               ;   in Loop: Header=BB336_14 Depth=1
	s_andn2_saveexec_b64 s[46:47], s[0:1]
; %bb.20:                               ;   in Loop: Header=BB336_14 Depth=1
	v_or_b32_e32 v35, 0x10000, v37
	v_cmp_eq_u32_sdwa s[0:1], v37, v17 src0_sel:WORD_0 src1_sel:DWORD
	s_nop 1
	v_cndmask_b32_e64 v35, v35, v37, s[0:1]
; %bb.21:                               ;   in Loop: Header=BB336_14 Depth=1
	s_or_b64 exec, exec, s[46:47]
	v_lshrrev_b16_e32 v36, 8, v36
	v_cvt_f32_fp8_sdwa v36, v36 src0_sel:BYTE_0
	s_nop 0
	v_mul_f32_e32 v37, s59, v36
	v_and_b32_e32 v36, 0x7f800000, v37
	v_cmp_ne_u32_e64 s[0:1], s57, v36
                                        ; implicit-def: $vgpr36
	s_and_saveexec_b64 s[46:47], s[0:1]
	s_xor_b64 s[0:1], exec, s[46:47]
; %bb.22:                               ;   in Loop: Header=BB336_14 Depth=1
	v_bfe_u32 v36, v37, 16, 1
	v_add3_u32 v36, v37, v36, s58
                                        ; implicit-def: $vgpr37
; %bb.23:                               ;   in Loop: Header=BB336_14 Depth=1
	s_andn2_saveexec_b64 s[46:47], s[0:1]
; %bb.24:                               ;   in Loop: Header=BB336_14 Depth=1
	v_or_b32_e32 v36, 0x10000, v37
	v_cmp_eq_u32_sdwa s[0:1], v37, v17 src0_sel:WORD_0 src1_sel:DWORD
	s_nop 1
	v_cndmask_b32_e64 v36, v36, v37, s[0:1]
; %bb.25:                               ;   in Loop: Header=BB336_14 Depth=1
	s_or_b64 exec, exec, s[46:47]
	global_load_ushort v38, v[22:23], off offset:8
	s_waitcnt vmcnt(0)
	v_and_b32_sdwa v37, s56, v38 dst_sel:DWORD dst_unused:UNUSED_PAD src0_sel:DWORD src1_sel:BYTE_0
	v_cvt_f32_fp8_sdwa v37, v37 src0_sel:BYTE_0
	s_nop 0
	v_mul_f32_e32 v39, s59, v37
	v_and_b32_e32 v37, 0x7f800000, v39
	v_cmp_ne_u32_e64 s[0:1], s57, v37
                                        ; implicit-def: $vgpr37
	s_and_saveexec_b64 s[46:47], s[0:1]
	s_xor_b64 s[0:1], exec, s[46:47]
; %bb.26:                               ;   in Loop: Header=BB336_14 Depth=1
	v_bfe_u32 v37, v39, 16, 1
	v_add3_u32 v37, v39, v37, s58
                                        ; implicit-def: $vgpr39
; %bb.27:                               ;   in Loop: Header=BB336_14 Depth=1
	s_andn2_saveexec_b64 s[46:47], s[0:1]
; %bb.28:                               ;   in Loop: Header=BB336_14 Depth=1
	v_or_b32_e32 v37, 0x10000, v39
	v_cmp_eq_u32_sdwa s[0:1], v39, v17 src0_sel:WORD_0 src1_sel:DWORD
	s_nop 1
	v_cndmask_b32_e64 v37, v37, v39, s[0:1]
; %bb.29:                               ;   in Loop: Header=BB336_14 Depth=1
	s_or_b64 exec, exec, s[46:47]
	v_lshrrev_b16_e32 v38, 8, v38
	v_cvt_f32_fp8_sdwa v38, v38 src0_sel:BYTE_0
	s_nop 0
	v_mul_f32_e32 v39, s59, v38
	v_and_b32_e32 v38, 0x7f800000, v39
	v_cmp_ne_u32_e64 s[0:1], s57, v38
                                        ; implicit-def: $vgpr38
	s_and_saveexec_b64 s[46:47], s[0:1]
	s_xor_b64 s[0:1], exec, s[46:47]
; %bb.30:                               ;   in Loop: Header=BB336_14 Depth=1
	v_bfe_u32 v38, v39, 16, 1
	v_add3_u32 v38, v39, v38, s58
                                        ; implicit-def: $vgpr39
; %bb.31:                               ;   in Loop: Header=BB336_14 Depth=1
	s_andn2_saveexec_b64 s[46:47], s[0:1]
; %bb.32:                               ;   in Loop: Header=BB336_14 Depth=1
	v_or_b32_e32 v38, 0x10000, v39
	v_cmp_eq_u32_sdwa s[0:1], v39, v17 src0_sel:WORD_0 src1_sel:DWORD
	s_nop 1
	v_cndmask_b32_e64 v38, v38, v39, s[0:1]
; %bb.33:                               ;   in Loop: Header=BB336_14 Depth=1
	s_or_b64 exec, exec, s[46:47]
	global_load_ushort v40, v[22:23], off offset:256
	s_waitcnt vmcnt(0)
	v_and_b32_sdwa v39, s56, v40 dst_sel:DWORD dst_unused:UNUSED_PAD src0_sel:DWORD src1_sel:BYTE_0
	v_cvt_f32_fp8_sdwa v39, v39 src0_sel:BYTE_0
	s_nop 0
	v_mul_f32_e32 v41, s59, v39
	v_and_b32_e32 v39, 0x7f800000, v41
	v_cmp_ne_u32_e64 s[0:1], s57, v39
                                        ; implicit-def: $vgpr39
	s_and_saveexec_b64 s[46:47], s[0:1]
	s_xor_b64 s[0:1], exec, s[46:47]
; %bb.34:                               ;   in Loop: Header=BB336_14 Depth=1
	v_bfe_u32 v39, v41, 16, 1
	v_add3_u32 v39, v41, v39, s58
                                        ; implicit-def: $vgpr41
; %bb.35:                               ;   in Loop: Header=BB336_14 Depth=1
	s_andn2_saveexec_b64 s[46:47], s[0:1]
; %bb.36:                               ;   in Loop: Header=BB336_14 Depth=1
	v_or_b32_e32 v39, 0x10000, v41
	v_cmp_eq_u32_sdwa s[0:1], v41, v17 src0_sel:WORD_0 src1_sel:DWORD
	s_nop 1
	v_cndmask_b32_e64 v39, v39, v41, s[0:1]
; %bb.37:                               ;   in Loop: Header=BB336_14 Depth=1
	s_or_b64 exec, exec, s[46:47]
	v_lshrrev_b16_e32 v40, 8, v40
	v_cvt_f32_fp8_sdwa v40, v40 src0_sel:BYTE_0
	s_nop 0
	v_mul_f32_e32 v41, s59, v40
	v_and_b32_e32 v40, 0x7f800000, v41
	v_cmp_ne_u32_e64 s[0:1], s57, v40
                                        ; implicit-def: $vgpr40
	s_and_saveexec_b64 s[46:47], s[0:1]
	s_xor_b64 s[0:1], exec, s[46:47]
; %bb.38:                               ;   in Loop: Header=BB336_14 Depth=1
	v_bfe_u32 v40, v41, 16, 1
	v_add3_u32 v40, v41, v40, s58
                                        ; implicit-def: $vgpr41
; %bb.39:                               ;   in Loop: Header=BB336_14 Depth=1
	s_andn2_saveexec_b64 s[46:47], s[0:1]
; %bb.40:                               ;   in Loop: Header=BB336_14 Depth=1
	v_or_b32_e32 v40, 0x10000, v41
	v_cmp_eq_u32_sdwa s[0:1], v41, v17 src0_sel:WORD_0 src1_sel:DWORD
	s_nop 1
	v_cndmask_b32_e64 v40, v40, v41, s[0:1]
; %bb.41:                               ;   in Loop: Header=BB336_14 Depth=1
	s_or_b64 exec, exec, s[46:47]
	global_load_ushort v42, v[22:23], off offset:264
	s_waitcnt vmcnt(0)
	v_and_b32_sdwa v41, s56, v42 dst_sel:DWORD dst_unused:UNUSED_PAD src0_sel:DWORD src1_sel:BYTE_0
	v_cvt_f32_fp8_sdwa v41, v41 src0_sel:BYTE_0
	s_nop 0
	v_mul_f32_e32 v43, s59, v41
	v_and_b32_e32 v41, 0x7f800000, v43
	v_cmp_ne_u32_e64 s[0:1], s57, v41
                                        ; implicit-def: $vgpr41
	s_and_saveexec_b64 s[46:47], s[0:1]
	s_xor_b64 s[0:1], exec, s[46:47]
; %bb.42:                               ;   in Loop: Header=BB336_14 Depth=1
	v_bfe_u32 v41, v43, 16, 1
	v_add3_u32 v41, v43, v41, s58
                                        ; implicit-def: $vgpr43
; %bb.43:                               ;   in Loop: Header=BB336_14 Depth=1
	s_andn2_saveexec_b64 s[46:47], s[0:1]
; %bb.44:                               ;   in Loop: Header=BB336_14 Depth=1
	v_or_b32_e32 v41, 0x10000, v43
	v_cmp_eq_u32_sdwa s[0:1], v43, v17 src0_sel:WORD_0 src1_sel:DWORD
	s_nop 1
	v_cndmask_b32_e64 v41, v41, v43, s[0:1]
; %bb.45:                               ;   in Loop: Header=BB336_14 Depth=1
	s_or_b64 exec, exec, s[46:47]
	v_lshrrev_b16_e32 v42, 8, v42
	v_cvt_f32_fp8_sdwa v42, v42 src0_sel:BYTE_0
	s_nop 0
	v_mul_f32_e32 v43, s59, v42
	v_and_b32_e32 v42, 0x7f800000, v43
	v_cmp_ne_u32_e64 s[0:1], s57, v42
                                        ; implicit-def: $vgpr42
	s_and_saveexec_b64 s[46:47], s[0:1]
	s_xor_b64 s[0:1], exec, s[46:47]
; %bb.46:                               ;   in Loop: Header=BB336_14 Depth=1
	v_bfe_u32 v42, v43, 16, 1
	v_add3_u32 v42, v43, v42, s58
                                        ; implicit-def: $vgpr43
; %bb.47:                               ;   in Loop: Header=BB336_14 Depth=1
	s_andn2_saveexec_b64 s[46:47], s[0:1]
; %bb.48:                               ;   in Loop: Header=BB336_14 Depth=1
	v_or_b32_e32 v42, 0x10000, v43
	v_cmp_eq_u32_sdwa s[0:1], v43, v17 src0_sel:WORD_0 src1_sel:DWORD
	s_nop 1
	v_cndmask_b32_e64 v42, v42, v43, s[0:1]
; %bb.49:                               ;   in Loop: Header=BB336_14 Depth=1
	s_or_b64 exec, exec, s[46:47]
	global_load_ushort v44, v[22:23], off offset:512
	s_waitcnt vmcnt(0)
	v_and_b32_sdwa v43, s56, v44 dst_sel:DWORD dst_unused:UNUSED_PAD src0_sel:DWORD src1_sel:BYTE_0
	v_cvt_f32_fp8_sdwa v43, v43 src0_sel:BYTE_0
	s_nop 0
	v_mul_f32_e32 v45, s59, v43
	v_and_b32_e32 v43, 0x7f800000, v45
	v_cmp_ne_u32_e64 s[0:1], s57, v43
                                        ; implicit-def: $vgpr43
	s_and_saveexec_b64 s[46:47], s[0:1]
	s_xor_b64 s[0:1], exec, s[46:47]
; %bb.50:                               ;   in Loop: Header=BB336_14 Depth=1
	v_bfe_u32 v43, v45, 16, 1
	v_add3_u32 v43, v45, v43, s58
                                        ; implicit-def: $vgpr45
; %bb.51:                               ;   in Loop: Header=BB336_14 Depth=1
	s_andn2_saveexec_b64 s[46:47], s[0:1]
; %bb.52:                               ;   in Loop: Header=BB336_14 Depth=1
	v_or_b32_e32 v43, 0x10000, v45
	v_cmp_eq_u32_sdwa s[0:1], v45, v17 src0_sel:WORD_0 src1_sel:DWORD
	s_nop 1
	v_cndmask_b32_e64 v43, v43, v45, s[0:1]
; %bb.53:                               ;   in Loop: Header=BB336_14 Depth=1
	s_or_b64 exec, exec, s[46:47]
	v_lshrrev_b16_e32 v44, 8, v44
	v_cvt_f32_fp8_sdwa v44, v44 src0_sel:BYTE_0
	s_nop 0
	v_mul_f32_e32 v45, s59, v44
	v_and_b32_e32 v44, 0x7f800000, v45
	v_cmp_ne_u32_e64 s[0:1], s57, v44
                                        ; implicit-def: $vgpr44
	s_and_saveexec_b64 s[46:47], s[0:1]
	s_xor_b64 s[0:1], exec, s[46:47]
; %bb.54:                               ;   in Loop: Header=BB336_14 Depth=1
	v_bfe_u32 v44, v45, 16, 1
	v_add3_u32 v44, v45, v44, s58
                                        ; implicit-def: $vgpr45
; %bb.55:                               ;   in Loop: Header=BB336_14 Depth=1
	s_andn2_saveexec_b64 s[46:47], s[0:1]
; %bb.56:                               ;   in Loop: Header=BB336_14 Depth=1
	v_or_b32_e32 v44, 0x10000, v45
	v_cmp_eq_u32_sdwa s[0:1], v45, v17 src0_sel:WORD_0 src1_sel:DWORD
	s_nop 1
	v_cndmask_b32_e64 v44, v44, v45, s[0:1]
; %bb.57:                               ;   in Loop: Header=BB336_14 Depth=1
	s_or_b64 exec, exec, s[46:47]
	global_load_ushort v46, v[22:23], off offset:520
	s_waitcnt vmcnt(0)
	v_and_b32_sdwa v45, s56, v46 dst_sel:DWORD dst_unused:UNUSED_PAD src0_sel:DWORD src1_sel:BYTE_0
	v_cvt_f32_fp8_sdwa v45, v45 src0_sel:BYTE_0
	s_nop 0
	v_mul_f32_e32 v47, s59, v45
	v_and_b32_e32 v45, 0x7f800000, v47
	v_cmp_ne_u32_e64 s[0:1], s57, v45
                                        ; implicit-def: $vgpr45
	s_and_saveexec_b64 s[46:47], s[0:1]
	s_xor_b64 s[0:1], exec, s[46:47]
; %bb.58:                               ;   in Loop: Header=BB336_14 Depth=1
	v_bfe_u32 v45, v47, 16, 1
	v_add3_u32 v45, v47, v45, s58
                                        ; implicit-def: $vgpr47
; %bb.59:                               ;   in Loop: Header=BB336_14 Depth=1
	s_andn2_saveexec_b64 s[46:47], s[0:1]
; %bb.60:                               ;   in Loop: Header=BB336_14 Depth=1
	v_or_b32_e32 v45, 0x10000, v47
	v_cmp_eq_u32_sdwa s[0:1], v47, v17 src0_sel:WORD_0 src1_sel:DWORD
	s_nop 1
	v_cndmask_b32_e64 v45, v45, v47, s[0:1]
; %bb.61:                               ;   in Loop: Header=BB336_14 Depth=1
	s_or_b64 exec, exec, s[46:47]
	v_lshrrev_b16_e32 v46, 8, v46
	v_cvt_f32_fp8_sdwa v46, v46 src0_sel:BYTE_0
	s_nop 0
	v_mul_f32_e32 v47, s59, v46
	v_and_b32_e32 v46, 0x7f800000, v47
	v_cmp_ne_u32_e64 s[0:1], s57, v46
                                        ; implicit-def: $vgpr46
	s_and_saveexec_b64 s[46:47], s[0:1]
	s_xor_b64 s[0:1], exec, s[46:47]
; %bb.62:                               ;   in Loop: Header=BB336_14 Depth=1
	v_bfe_u32 v46, v47, 16, 1
	v_add3_u32 v46, v47, v46, s58
                                        ; implicit-def: $vgpr47
; %bb.63:                               ;   in Loop: Header=BB336_14 Depth=1
	s_andn2_saveexec_b64 s[46:47], s[0:1]
; %bb.64:                               ;   in Loop: Header=BB336_14 Depth=1
	v_or_b32_e32 v46, 0x10000, v47
	v_cmp_eq_u32_sdwa s[0:1], v47, v17 src0_sel:WORD_0 src1_sel:DWORD
	s_nop 1
	v_cndmask_b32_e64 v46, v46, v47, s[0:1]
; %bb.65:                               ;   in Loop: Header=BB336_14 Depth=1
	s_or_b64 exec, exec, s[46:47]
	global_load_ushort v48, v[22:23], off offset:768
	s_waitcnt vmcnt(0)
	v_and_b32_sdwa v47, s56, v48 dst_sel:DWORD dst_unused:UNUSED_PAD src0_sel:DWORD src1_sel:BYTE_0
	v_cvt_f32_fp8_sdwa v47, v47 src0_sel:BYTE_0
	s_nop 0
	v_mul_f32_e32 v49, s59, v47
	v_and_b32_e32 v47, 0x7f800000, v49
	v_cmp_ne_u32_e64 s[0:1], s57, v47
                                        ; implicit-def: $vgpr47
	s_and_saveexec_b64 s[46:47], s[0:1]
	s_xor_b64 s[0:1], exec, s[46:47]
; %bb.66:                               ;   in Loop: Header=BB336_14 Depth=1
	v_bfe_u32 v47, v49, 16, 1
	v_add3_u32 v47, v49, v47, s58
                                        ; implicit-def: $vgpr49
; %bb.67:                               ;   in Loop: Header=BB336_14 Depth=1
	s_andn2_saveexec_b64 s[46:47], s[0:1]
; %bb.68:                               ;   in Loop: Header=BB336_14 Depth=1
	v_or_b32_e32 v47, 0x10000, v49
	v_cmp_eq_u32_sdwa s[0:1], v49, v17 src0_sel:WORD_0 src1_sel:DWORD
	s_nop 1
	v_cndmask_b32_e64 v47, v47, v49, s[0:1]
; %bb.69:                               ;   in Loop: Header=BB336_14 Depth=1
	s_or_b64 exec, exec, s[46:47]
	v_lshrrev_b16_e32 v48, 8, v48
	v_cvt_f32_fp8_sdwa v48, v48 src0_sel:BYTE_0
	s_nop 0
	v_mul_f32_e32 v49, s59, v48
	v_and_b32_e32 v48, 0x7f800000, v49
	v_cmp_ne_u32_e64 s[0:1], s57, v48
                                        ; implicit-def: $vgpr48
	s_and_saveexec_b64 s[46:47], s[0:1]
	s_xor_b64 s[0:1], exec, s[46:47]
; %bb.70:                               ;   in Loop: Header=BB336_14 Depth=1
	v_bfe_u32 v48, v49, 16, 1
	v_add3_u32 v48, v49, v48, s58
                                        ; implicit-def: $vgpr49
; %bb.71:                               ;   in Loop: Header=BB336_14 Depth=1
	s_andn2_saveexec_b64 s[46:47], s[0:1]
; %bb.72:                               ;   in Loop: Header=BB336_14 Depth=1
	v_or_b32_e32 v48, 0x10000, v49
	v_cmp_eq_u32_sdwa s[0:1], v49, v17 src0_sel:WORD_0 src1_sel:DWORD
	s_nop 1
	v_cndmask_b32_e64 v48, v48, v49, s[0:1]
; %bb.73:                               ;   in Loop: Header=BB336_14 Depth=1
	s_or_b64 exec, exec, s[46:47]
	global_load_ushort v50, v[22:23], off offset:776
	s_waitcnt vmcnt(0)
	v_and_b32_sdwa v49, s56, v50 dst_sel:DWORD dst_unused:UNUSED_PAD src0_sel:DWORD src1_sel:BYTE_0
	v_cvt_f32_fp8_sdwa v49, v49 src0_sel:BYTE_0
	s_nop 0
	v_mul_f32_e32 v51, s59, v49
	v_and_b32_e32 v49, 0x7f800000, v51
	v_cmp_ne_u32_e64 s[0:1], s57, v49
                                        ; implicit-def: $vgpr49
	s_and_saveexec_b64 s[46:47], s[0:1]
	s_xor_b64 s[0:1], exec, s[46:47]
; %bb.74:                               ;   in Loop: Header=BB336_14 Depth=1
	v_bfe_u32 v49, v51, 16, 1
	v_add3_u32 v49, v51, v49, s58
                                        ; implicit-def: $vgpr51
; %bb.75:                               ;   in Loop: Header=BB336_14 Depth=1
	s_andn2_saveexec_b64 s[46:47], s[0:1]
; %bb.76:                               ;   in Loop: Header=BB336_14 Depth=1
	v_or_b32_e32 v49, 0x10000, v51
	v_cmp_eq_u32_sdwa s[0:1], v51, v17 src0_sel:WORD_0 src1_sel:DWORD
	s_nop 1
	v_cndmask_b32_e64 v49, v49, v51, s[0:1]
; %bb.77:                               ;   in Loop: Header=BB336_14 Depth=1
	s_or_b64 exec, exec, s[46:47]
	v_lshrrev_b16_e32 v50, 8, v50
	v_cvt_f32_fp8_sdwa v50, v50 src0_sel:BYTE_0
	s_nop 0
	v_mul_f32_e32 v51, s59, v50
	v_and_b32_e32 v50, 0x7f800000, v51
	v_cmp_ne_u32_e64 s[0:1], s57, v50
                                        ; implicit-def: $vgpr50
	s_and_saveexec_b64 s[46:47], s[0:1]
	s_xor_b64 s[0:1], exec, s[46:47]
; %bb.78:                               ;   in Loop: Header=BB336_14 Depth=1
	v_bfe_u32 v50, v51, 16, 1
	v_add3_u32 v50, v51, v50, s58
                                        ; implicit-def: $vgpr51
; %bb.79:                               ;   in Loop: Header=BB336_14 Depth=1
	s_andn2_saveexec_b64 s[46:47], s[0:1]
; %bb.80:                               ;   in Loop: Header=BB336_14 Depth=1
	v_or_b32_e32 v50, 0x10000, v51
	v_cmp_eq_u32_sdwa s[0:1], v51, v17 src0_sel:WORD_0 src1_sel:DWORD
	s_nop 1
	v_cndmask_b32_e64 v50, v50, v51, s[0:1]
; %bb.81:                               ;   in Loop: Header=BB336_14 Depth=1
	s_or_b64 exec, exec, s[46:47]
	global_load_ushort v52, v[22:23], off offset:1024
	s_waitcnt vmcnt(0)
	v_and_b32_sdwa v51, s56, v52 dst_sel:DWORD dst_unused:UNUSED_PAD src0_sel:DWORD src1_sel:BYTE_0
	v_cvt_f32_fp8_sdwa v51, v51 src0_sel:BYTE_0
	s_nop 0
	v_mul_f32_e32 v53, s59, v51
	v_and_b32_e32 v51, 0x7f800000, v53
	v_cmp_ne_u32_e64 s[0:1], s57, v51
                                        ; implicit-def: $vgpr51
	s_and_saveexec_b64 s[46:47], s[0:1]
	s_xor_b64 s[0:1], exec, s[46:47]
; %bb.82:                               ;   in Loop: Header=BB336_14 Depth=1
	v_bfe_u32 v51, v53, 16, 1
	v_add3_u32 v51, v53, v51, s58
                                        ; implicit-def: $vgpr53
; %bb.83:                               ;   in Loop: Header=BB336_14 Depth=1
	s_andn2_saveexec_b64 s[46:47], s[0:1]
; %bb.84:                               ;   in Loop: Header=BB336_14 Depth=1
	v_or_b32_e32 v51, 0x10000, v53
	v_cmp_eq_u32_sdwa s[0:1], v53, v17 src0_sel:WORD_0 src1_sel:DWORD
	s_nop 1
	v_cndmask_b32_e64 v51, v51, v53, s[0:1]
; %bb.85:                               ;   in Loop: Header=BB336_14 Depth=1
	s_or_b64 exec, exec, s[46:47]
	v_lshrrev_b16_e32 v52, 8, v52
	v_cvt_f32_fp8_sdwa v52, v52 src0_sel:BYTE_0
	s_nop 0
	v_mul_f32_e32 v53, s59, v52
	v_and_b32_e32 v52, 0x7f800000, v53
	v_cmp_ne_u32_e64 s[0:1], s57, v52
                                        ; implicit-def: $vgpr52
	s_and_saveexec_b64 s[46:47], s[0:1]
	s_xor_b64 s[0:1], exec, s[46:47]
; %bb.86:                               ;   in Loop: Header=BB336_14 Depth=1
	v_bfe_u32 v52, v53, 16, 1
	v_add3_u32 v52, v53, v52, s58
                                        ; implicit-def: $vgpr53
; %bb.87:                               ;   in Loop: Header=BB336_14 Depth=1
	s_andn2_saveexec_b64 s[46:47], s[0:1]
; %bb.88:                               ;   in Loop: Header=BB336_14 Depth=1
	v_or_b32_e32 v52, 0x10000, v53
	v_cmp_eq_u32_sdwa s[0:1], v53, v17 src0_sel:WORD_0 src1_sel:DWORD
	s_nop 1
	v_cndmask_b32_e64 v52, v52, v53, s[0:1]
; %bb.89:                               ;   in Loop: Header=BB336_14 Depth=1
	s_or_b64 exec, exec, s[46:47]
	global_load_ushort v54, v[22:23], off offset:1032
	s_waitcnt vmcnt(0)
	v_and_b32_sdwa v53, s56, v54 dst_sel:DWORD dst_unused:UNUSED_PAD src0_sel:DWORD src1_sel:BYTE_0
	v_cvt_f32_fp8_sdwa v53, v53 src0_sel:BYTE_0
	s_nop 0
	v_mul_f32_e32 v55, s59, v53
	v_and_b32_e32 v53, 0x7f800000, v55
	v_cmp_ne_u32_e64 s[0:1], s57, v53
                                        ; implicit-def: $vgpr53
	s_and_saveexec_b64 s[46:47], s[0:1]
	s_xor_b64 s[0:1], exec, s[46:47]
; %bb.90:                               ;   in Loop: Header=BB336_14 Depth=1
	v_bfe_u32 v53, v55, 16, 1
	v_add3_u32 v53, v55, v53, s58
                                        ; implicit-def: $vgpr55
; %bb.91:                               ;   in Loop: Header=BB336_14 Depth=1
	s_andn2_saveexec_b64 s[46:47], s[0:1]
; %bb.92:                               ;   in Loop: Header=BB336_14 Depth=1
	v_or_b32_e32 v53, 0x10000, v55
	v_cmp_eq_u32_sdwa s[0:1], v55, v17 src0_sel:WORD_0 src1_sel:DWORD
	s_nop 1
	v_cndmask_b32_e64 v53, v53, v55, s[0:1]
; %bb.93:                               ;   in Loop: Header=BB336_14 Depth=1
	s_or_b64 exec, exec, s[46:47]
	v_lshrrev_b16_e32 v54, 8, v54
	v_cvt_f32_fp8_sdwa v54, v54 src0_sel:BYTE_0
	s_nop 0
	v_mul_f32_e32 v55, s59, v54
	v_and_b32_e32 v54, 0x7f800000, v55
	v_cmp_ne_u32_e64 s[0:1], s57, v54
                                        ; implicit-def: $vgpr54
	s_and_saveexec_b64 s[46:47], s[0:1]
	s_xor_b64 s[0:1], exec, s[46:47]
; %bb.94:                               ;   in Loop: Header=BB336_14 Depth=1
	v_bfe_u32 v54, v55, 16, 1
	v_add3_u32 v54, v55, v54, s58
                                        ; implicit-def: $vgpr55
; %bb.95:                               ;   in Loop: Header=BB336_14 Depth=1
	s_andn2_saveexec_b64 s[46:47], s[0:1]
; %bb.96:                               ;   in Loop: Header=BB336_14 Depth=1
	v_or_b32_e32 v54, 0x10000, v55
	v_cmp_eq_u32_sdwa s[0:1], v55, v17 src0_sel:WORD_0 src1_sel:DWORD
	s_nop 1
	v_cndmask_b32_e64 v54, v54, v55, s[0:1]
; %bb.97:                               ;   in Loop: Header=BB336_14 Depth=1
	s_or_b64 exec, exec, s[46:47]
	global_load_ushort v56, v[22:23], off offset:1280
	s_waitcnt vmcnt(0)
	v_and_b32_sdwa v55, s56, v56 dst_sel:DWORD dst_unused:UNUSED_PAD src0_sel:DWORD src1_sel:BYTE_0
	v_cvt_f32_fp8_sdwa v55, v55 src0_sel:BYTE_0
	s_nop 0
	v_mul_f32_e32 v57, s59, v55
	v_and_b32_e32 v55, 0x7f800000, v57
	v_cmp_ne_u32_e64 s[0:1], s57, v55
                                        ; implicit-def: $vgpr55
	s_and_saveexec_b64 s[46:47], s[0:1]
	s_xor_b64 s[0:1], exec, s[46:47]
; %bb.98:                               ;   in Loop: Header=BB336_14 Depth=1
	v_bfe_u32 v55, v57, 16, 1
	v_add3_u32 v55, v57, v55, s58
                                        ; implicit-def: $vgpr57
; %bb.99:                               ;   in Loop: Header=BB336_14 Depth=1
	s_andn2_saveexec_b64 s[46:47], s[0:1]
; %bb.100:                              ;   in Loop: Header=BB336_14 Depth=1
	v_or_b32_e32 v55, 0x10000, v57
	v_cmp_eq_u32_sdwa s[0:1], v57, v17 src0_sel:WORD_0 src1_sel:DWORD
	s_nop 1
	v_cndmask_b32_e64 v55, v55, v57, s[0:1]
; %bb.101:                              ;   in Loop: Header=BB336_14 Depth=1
	s_or_b64 exec, exec, s[46:47]
	v_lshrrev_b16_e32 v56, 8, v56
	v_cvt_f32_fp8_sdwa v56, v56 src0_sel:BYTE_0
	s_nop 0
	v_mul_f32_e32 v57, s59, v56
	v_and_b32_e32 v56, 0x7f800000, v57
	v_cmp_ne_u32_e64 s[0:1], s57, v56
                                        ; implicit-def: $vgpr56
	s_and_saveexec_b64 s[46:47], s[0:1]
	s_xor_b64 s[0:1], exec, s[46:47]
; %bb.102:                              ;   in Loop: Header=BB336_14 Depth=1
	v_bfe_u32 v56, v57, 16, 1
	v_add3_u32 v56, v57, v56, s58
                                        ; implicit-def: $vgpr57
; %bb.103:                              ;   in Loop: Header=BB336_14 Depth=1
	s_andn2_saveexec_b64 s[46:47], s[0:1]
; %bb.104:                              ;   in Loop: Header=BB336_14 Depth=1
	v_or_b32_e32 v56, 0x10000, v57
	v_cmp_eq_u32_sdwa s[0:1], v57, v17 src0_sel:WORD_0 src1_sel:DWORD
	s_nop 1
	v_cndmask_b32_e64 v56, v56, v57, s[0:1]
; %bb.105:                              ;   in Loop: Header=BB336_14 Depth=1
	s_or_b64 exec, exec, s[46:47]
	global_load_ushort v22, v[22:23], off offset:1288
	s_waitcnt vmcnt(0)
	v_and_b32_sdwa v23, s56, v22 dst_sel:DWORD dst_unused:UNUSED_PAD src0_sel:DWORD src1_sel:BYTE_0
	v_cvt_f32_fp8_sdwa v23, v23 src0_sel:BYTE_0
	s_nop 0
	v_mul_f32_e32 v57, s59, v23
	v_and_b32_e32 v23, 0x7f800000, v57
	v_cmp_ne_u32_e64 s[0:1], s57, v23
                                        ; implicit-def: $vgpr23
	s_and_saveexec_b64 s[46:47], s[0:1]
	s_xor_b64 s[0:1], exec, s[46:47]
; %bb.106:                              ;   in Loop: Header=BB336_14 Depth=1
	v_bfe_u32 v23, v57, 16, 1
	v_add3_u32 v23, v57, v23, s58
                                        ; implicit-def: $vgpr57
; %bb.107:                              ;   in Loop: Header=BB336_14 Depth=1
	s_andn2_saveexec_b64 s[46:47], s[0:1]
; %bb.108:                              ;   in Loop: Header=BB336_14 Depth=1
	v_or_b32_e32 v23, 0x10000, v57
	v_cmp_eq_u32_sdwa s[0:1], v57, v17 src0_sel:WORD_0 src1_sel:DWORD
	s_nop 1
	v_cndmask_b32_e64 v23, v23, v57, s[0:1]
; %bb.109:                              ;   in Loop: Header=BB336_14 Depth=1
	s_or_b64 exec, exec, s[46:47]
	v_lshrrev_b16_e32 v22, 8, v22
	v_cvt_f32_fp8_sdwa v22, v22 src0_sel:BYTE_0
	s_nop 0
	v_mul_f32_e32 v57, s59, v22
	v_and_b32_e32 v22, 0x7f800000, v57
	v_cmp_ne_u32_e64 s[0:1], s57, v22
                                        ; implicit-def: $vgpr22
	s_and_saveexec_b64 s[46:47], s[0:1]
	s_xor_b64 s[0:1], exec, s[46:47]
; %bb.110:                              ;   in Loop: Header=BB336_14 Depth=1
	v_bfe_u32 v22, v57, 16, 1
	v_add3_u32 v22, v57, v22, s58
                                        ; implicit-def: $vgpr57
; %bb.111:                              ;   in Loop: Header=BB336_14 Depth=1
	s_andn2_saveexec_b64 s[46:47], s[0:1]
; %bb.112:                              ;   in Loop: Header=BB336_14 Depth=1
	v_or_b32_e32 v22, 0x10000, v57
	v_cmp_eq_u32_sdwa s[0:1], v57, v17 src0_sel:WORD_0 src1_sel:DWORD
	s_nop 1
	v_cndmask_b32_e64 v22, v22, v57, s[0:1]
; %bb.113:                              ;   in Loop: Header=BB336_14 Depth=1
	s_or_b64 exec, exec, s[46:47]
	v_and_b32_e32 v38, 0xffff0000, v38
	v_and_b32_e32 v37, 0xffff0000, v37
	v_lshlrev_b32_e32 v58, 16, v11
	v_and_b32_e32 v11, 0xffff0000, v11
	v_and_b32_e32 v36, 0xffff0000, v36
	v_and_b32_e32 v35, 0xffff0000, v35
	v_lshlrev_b32_e32 v57, 16, v10
	v_and_b32_e32 v10, 0xffff0000, v10
	v_mul_f32_e32 v37, v58, v37
	v_mul_f32_e32 v11, v11, v38
	v_and_b32_e32 v40, 0xffff0000, v40
	v_and_b32_e32 v39, 0xffff0000, v39
	v_lshlrev_b32_e32 v59, 16, v12
	v_and_b32_e32 v12, 0xffff0000, v12
	v_fmac_f32_e32 v37, v57, v35
	v_fmac_f32_e32 v11, v10, v36
	v_and_b32_e32 v42, 0xffff0000, v42
	v_and_b32_e32 v41, 0xffff0000, v41
	v_lshlrev_b32_e32 v60, 16, v13
	v_and_b32_e32 v13, 0xffff0000, v13
	v_fmac_f32_e32 v37, v59, v39
	v_fmac_f32_e32 v11, v12, v40
	;; [unrolled: 6-line block ×7, first 2 shown]
	v_and_b32_e32 v54, 0xffff0000, v54
	v_and_b32_e32 v53, 0xffff0000, v53
	v_lshlrev_b32_e32 v66, 16, v3
	v_and_b32_e32 v69, 64, v33
	v_and_b32_e32 v3, 0xffff0000, v3
	v_fmac_f32_e32 v37, v65, v51
	v_fmac_f32_e32 v11, v2, v52
	v_and_b32_e32 v56, 0xffff0000, v56
	v_and_b32_e32 v55, 0xffff0000, v55
	v_lshlrev_b32_e32 v67, 16, v4
	v_add_u32_e32 v69, 64, v69
	v_xor_b32_e32 v70, 2, v33
	v_and_b32_e32 v4, 0xffff0000, v4
	v_fmac_f32_e32 v37, v66, v53
	v_fmac_f32_e32 v11, v3, v54
	v_and_b32_e32 v23, 0xffff0000, v23
	v_lshlrev_b32_e32 v68, 16, v5
	v_cmp_lt_i32_e64 s[0:1], v70, v69
	v_and_b32_e32 v22, 0xffff0000, v22
	v_and_b32_e32 v5, 0xffff0000, v5
	v_fmac_f32_e32 v37, v67, v55
	v_fmac_f32_e32 v11, v4, v56
	v_cndmask_b32_e64 v70, v33, v70, s[0:1]
	v_fmac_f32_e32 v37, v68, v23
	v_fmac_f32_e32 v11, v5, v22
	v_lshlrev_b32_e32 v70, 2, v70
	v_add_f32_e32 v2, v37, v11
	ds_bpermute_b32 v3, v70, v2
	v_xor_b32_e32 v4, 1, v33
	v_cmp_lt_i32_e64 s[0:1], v4, v69
	s_waitcnt lgkmcnt(0)
	v_add_f32_e32 v2, v2, v3
	v_cndmask_b32_e64 v4, v33, v4, s[0:1]
	v_lshlrev_b32_e32 v4, 2, v4
	ds_bpermute_b32 v3, v4, v2
	s_and_saveexec_b64 s[46:47], vcc
	s_cbranch_execz .LBB336_12
; %bb.114:                              ;   in Loop: Header=BB336_14 Depth=1
	v_add_u32_e32 v4, v32, v30
	v_cvt_f32_i32_e32 v4, v4
	s_waitcnt lgkmcnt(0)
	v_add_f32_e32 v2, v2, v3
	v_add_u32_e32 v5, v26, v30
	v_cmp_gt_i32_e64 s[0:1], s33, v5
	v_mul_f32_e32 v3, s51, v4
	v_cndmask_b32_e64 v3, 0, v3, s[6:7]
	v_fmac_f32_e32 v3, s43, v2
	v_cndmask_b32_e64 v2, 0, v3, s[0:1]
	ds_write_b32 v31, v2
	v_max_f32_e32 v2, v28, v28
	v_max_f32_e32 v2, v2, v3
	v_cndmask_b32_e64 v28, v28, v2, s[0:1]
	s_branch .LBB336_12
.LBB336_115:
	s_or_b64 exec, exec, s[44:45]
.LBB336_116:
	s_or_b64 exec, exec, s[18:19]
	v_mbcnt_hi_u32_b32 v2, -1, v24
	s_waitcnt lgkmcnt(0)
	v_and_b32_e32 v3, 64, v2
	v_add_u32_e32 v3, 64, v3
	v_xor_b32_e32 v4, 32, v2
	v_cmp_lt_i32_e32 vcc, v4, v3
	v_xor_b32_e32 v7, 16, v2
	v_max_f32_e32 v6, v28, v28
	v_cndmask_b32_e32 v4, v2, v4, vcc
	v_lshlrev_b32_e32 v5, 2, v4
	ds_bpermute_b32 v4, v5, v28
	v_cmp_lt_i32_e32 vcc, v7, v3
	v_xor_b32_e32 v8, 8, v2
	v_and_b32_e32 v20, 63, v0
	s_waitcnt lgkmcnt(0)
	v_max_f32_e32 v4, v4, v4
	v_max_f32_e32 v4, v6, v4
	v_cndmask_b32_e32 v6, v2, v7, vcc
	v_lshlrev_b32_e32 v6, 2, v6
	ds_bpermute_b32 v7, v6, v4
	v_cmp_lt_i32_e32 vcc, v8, v3
	s_waitcnt lgkmcnt(0)
	v_max_f32_e32 v7, v7, v7
	v_max_f32_e32 v4, v4, v7
	v_cndmask_b32_e32 v7, v2, v8, vcc
	v_lshlrev_b32_e32 v9, 2, v7
	ds_bpermute_b32 v7, v9, v4
	v_xor_b32_e32 v8, 4, v2
	v_cmp_lt_i32_e32 vcc, v8, v3
	s_waitcnt lgkmcnt(0)
	v_max_f32_e32 v7, v7, v7
	v_max_f32_e32 v4, v4, v7
	v_cndmask_b32_e32 v7, v2, v8, vcc
	v_lshlrev_b32_e32 v10, 2, v7
	ds_bpermute_b32 v8, v10, v4
	v_cmp_eq_u32_e32 vcc, 0, v20
	v_lshlrev_b32_e32 v7, 2, v25
	s_and_saveexec_b64 s[0:1], vcc
	s_cbranch_execz .LBB336_118
; %bb.117:
	s_waitcnt lgkmcnt(0)
	v_max_f32_e32 v8, v8, v8
	v_max_f32_e32 v4, v4, v4
	;; [unrolled: 1-line block ×3, first 2 shown]
	ds_write_b32 v7, v4 offset:192
.LBB336_118:
	s_or_b64 exec, exec, s[0:1]
	v_cmp_gt_u32_e64 s[0:1], 2, v20
	v_mov_b32_e32 v4, 0xff7fffff
	s_waitcnt lgkmcnt(0)
	v_lshlrev_b32_e32 v8, 2, v20
	s_barrier
	s_and_saveexec_b64 s[6:7], s[0:1]
	s_cbranch_execz .LBB336_120
; %bb.119:
	ds_read_b32 v4, v8 offset:192
.LBB336_120:
	s_or_b64 exec, exec, s[6:7]
	v_xor_b32_e32 v11, 1, v2
	v_cmp_lt_i32_e64 s[6:7], v11, v3
	v_mov_b32_e32 v12, 0
	s_nop 0
	v_cndmask_b32_e64 v11, v2, v11, s[6:7]
	v_lshlrev_b32_e32 v21, 2, v11
	s_waitcnt lgkmcnt(0)
	ds_bpermute_b32 v11, v21, v4
	v_max_f32_e32 v4, v4, v4
	s_sub_i32 s6, s20, s52
	s_lshl_b32 s6, s6, 4
	s_add_i32 s6, s6, s5
	s_waitcnt lgkmcnt(0)
	v_max_f32_e32 v11, v11, v11
	v_max_f32_e32 v4, v4, v11
	v_lshlrev_b32_e32 v11, 2, v2
	v_and_b32_e32 v11, 0x100, v11
	ds_bpermute_b32 v4, v11, v4
	s_min_i32 s44, s6, s33
	s_sub_i32 s43, s44, s5
	v_cmp_gt_i32_e64 s[6:7], s43, v0
	s_and_saveexec_b64 s[12:13], s[6:7]
	s_cbranch_execz .LBB336_124
; %bb.121:
	v_mov_b32_e32 v12, 0xd0
	v_lshl_add_u32 v13, v0, 2, v12
	s_mov_b64 s[18:19], 0
	v_mov_b32_e32 v12, 0
	v_mov_b32_e32 v16, v0
.LBB336_122:                            ; =>This Inner Loop Header: Depth=1
	ds_read_b32 v17, v13
	v_add_u32_e32 v16, 0x80, v16
	v_cmp_le_i32_e64 s[10:11], s43, v16
	s_or_b64 s[18:19], s[10:11], s[18:19]
	s_waitcnt lgkmcnt(0)
	v_sub_f32_e32 v17, v17, v4
	v_mul_f32_e32 v17, 0x3fb8aa3b, v17
	v_exp_f32_e32 v17, v17
	ds_write_b32 v13, v17
	v_add_f32_e32 v12, v12, v17
	v_add_u32_e32 v13, 0x200, v13
	s_andn2_b64 exec, exec, s[18:19]
	s_cbranch_execnz .LBB336_122
; %bb.123:
	s_or_b64 exec, exec, s[18:19]
.LBB336_124:
	s_or_b64 exec, exec, s[12:13]
	ds_bpermute_b32 v5, v5, v12
	s_waitcnt lgkmcnt(0)
	v_add_f32_e32 v5, v12, v5
	ds_bpermute_b32 v6, v6, v5
	s_waitcnt lgkmcnt(0)
	v_add_f32_e32 v5, v5, v6
	ds_bpermute_b32 v6, v9, v5
	v_xor_b32_e32 v9, 2, v2
	v_cmp_lt_i32_e64 s[10:11], v9, v3
	s_waitcnt lgkmcnt(0)
	v_add_f32_e32 v5, v5, v6
	ds_bpermute_b32 v6, v10, v5
	v_cndmask_b32_e64 v2, v2, v9, s[10:11]
	v_lshlrev_b32_e32 v2, 2, v2
	s_waitcnt lgkmcnt(0)
	v_add_f32_e32 v3, v5, v6
	ds_bpermute_b32 v2, v2, v3
	s_waitcnt lgkmcnt(0)
	v_add_f32_e32 v2, v3, v2
	ds_bpermute_b32 v3, v21, v2
	s_waitcnt lgkmcnt(0)
	v_add_f32_e32 v2, v2, v3
	s_and_saveexec_b64 s[10:11], vcc
	s_cbranch_execz .LBB336_126
; %bb.125:
	ds_write_b32 v7, v2 offset:200
.LBB336_126:
	s_or_b64 exec, exec, s[10:11]
	s_waitcnt lgkmcnt(0)
	s_barrier
	s_and_saveexec_b64 s[10:11], s[0:1]
	s_cbranch_execz .LBB336_128
; %bb.127:
	ds_read_b32 v2, v8 offset:200
.LBB336_128:
	s_or_b64 exec, exec, s[10:11]
	s_waitcnt lgkmcnt(0)
	ds_bpermute_b32 v3, v21, v2
	s_waitcnt lgkmcnt(0)
	v_add_f32_e32 v2, v2, v3
	ds_bpermute_b32 v5, v11, v2
	s_and_saveexec_b64 s[0:1], s[6:7]
	s_cbranch_execz .LBB336_141
; %bb.129:
	s_waitcnt lgkmcnt(0)
	v_add_f32_e32 v2, 0x358637bd, v5
	v_div_scale_f32 v3, s[6:7], v2, v2, 1.0
	v_rcp_f32_e32 v6, v3
	v_div_scale_f32 v7, vcc, 1.0, v2, 1.0
	s_mov_b64 s[10:11], -1
	v_fma_f32 v8, -v3, v6, 1.0
	v_fmac_f32_e32 v6, v8, v6
	v_mul_f32_e32 v8, v7, v6
	v_fma_f32 v9, -v3, v8, v7
	v_fmac_f32_e32 v8, v9, v6
	v_fma_f32 v3, -v3, v8, v7
	v_div_fmas_f32 v3, v3, v6, v8
	v_div_fixup_f32 v2, v3, v2, 1.0
	v_xad_u32 v3, v0, -1, s44
	v_subrev_u32_e32 v6, s5, v3
	s_movk_i32 s5, 0x7f
	v_cmp_lt_u32_e32 vcc, s5, v6
	v_mov_b32_e32 v3, v0
	s_and_saveexec_b64 s[6:7], vcc
	s_cbranch_execz .LBB336_138
; %bb.130:
	v_lshrrev_b32_e32 v6, 7, v6
	v_add_u32_e32 v8, -1, v6
	v_lshrrev_b32_e32 v7, 1, v8
	v_mov_b32_e32 v3, v2
	v_add_u32_e32 v7, 1, v7
	v_cmp_lt_u32_e32 vcc, 13, v8
	v_mov_b32_e32 v10, 0
	s_and_saveexec_b64 s[10:11], vcc
	s_cbranch_execz .LBB336_134
; %bb.131:
	v_mov_b32_e32 v9, 0xd0
	v_and_b32_e32 v8, -8, v7
	v_lshl_add_u32 v9, v0, 2, v9
	s_mov_b32 s5, 0
	s_mov_b64 s[12:13], 0
.LBB336_132:                            ; =>This Inner Loop Header: Depth=1
	ds_read2st64_b32 v[10:11], v9 offset1:2
	ds_read2st64_b32 v[12:13], v9 offset0:4 offset1:6
	ds_read2st64_b32 v[16:17], v9 offset0:8 offset1:10
	;; [unrolled: 1-line block ×3, first 2 shown]
	v_add_u32_e32 v8, -8, v8
	s_waitcnt lgkmcnt(3)
	v_pk_mul_f32 v[10:11], v[2:3], v[10:11]
	s_waitcnt lgkmcnt(2)
	v_pk_mul_f32 v[12:13], v[2:3], v[12:13]
	ds_write2st64_b32 v9, v10, v11 offset1:2
	ds_write2st64_b32 v9, v12, v13 offset0:4 offset1:6
	ds_read2st64_b32 v[12:13], v9 offset0:16 offset1:18
	s_waitcnt lgkmcnt(4)
	v_pk_mul_f32 v[10:11], v[2:3], v[16:17]
	ds_write2st64_b32 v9, v10, v11 offset0:8 offset1:10
	s_waitcnt lgkmcnt(4)
	v_pk_mul_f32 v[10:11], v[2:3], v[18:19]
	ds_write2st64_b32 v9, v10, v11 offset0:12 offset1:14
	ds_read2st64_b32 v[10:11], v9 offset0:20 offset1:22
	s_waitcnt lgkmcnt(3)
	v_pk_mul_f32 v[12:13], v[2:3], v[12:13]
	ds_read2st64_b32 v[16:17], v9 offset0:24 offset1:26
	ds_write2st64_b32 v9, v12, v13 offset0:16 offset1:18
	ds_read2st64_b32 v[12:13], v9 offset0:28 offset1:30
	s_waitcnt lgkmcnt(3)
	v_pk_mul_f32 v[10:11], v[2:3], v[10:11]
	ds_write2st64_b32 v9, v10, v11 offset0:20 offset1:22
	s_waitcnt lgkmcnt(3)
	v_pk_mul_f32 v[10:11], v[2:3], v[16:17]
	ds_write2st64_b32 v9, v10, v11 offset0:24 offset1:26
	s_waitcnt lgkmcnt(2)
	v_pk_mul_f32 v[10:11], v[2:3], v[12:13]
	s_add_i32 s5, s5, 16
	v_cmp_eq_u32_e32 vcc, 0, v8
	ds_write2st64_b32 v9, v10, v11 offset0:28 offset1:30
	v_add_u32_e32 v9, 0x2000, v9
	s_or_b64 s[12:13], vcc, s[12:13]
	v_mov_b32_e32 v10, s5
	s_andn2_b64 exec, exec, s[12:13]
	s_cbranch_execnz .LBB336_132
; %bb.133:
	s_or_b64 exec, exec, s[12:13]
.LBB336_134:
	s_or_b64 exec, exec, s[10:11]
	v_and_b32_e32 v7, 7, v7
	v_cmp_ne_u32_e32 vcc, 0, v7
	s_and_saveexec_b64 s[10:11], vcc
	s_cbranch_execz .LBB336_137
; %bb.135:
	v_lshlrev_b32_e32 v8, 9, v10
	v_lshlrev_b32_e32 v9, 2, v0
	s_movk_i32 s5, 0xd0
	v_add3_u32 v8, v8, v9, s5
	s_mov_b64 s[12:13], 0
.LBB336_136:                            ; =>This Inner Loop Header: Depth=1
	ds_read2st64_b32 v[10:11], v8 offset1:2
	v_add_u32_e32 v7, -1, v7
	v_cmp_eq_u32_e32 vcc, 0, v7
	s_or_b64 s[12:13], vcc, s[12:13]
	s_waitcnt lgkmcnt(0)
	v_pk_mul_f32 v[10:11], v[2:3], v[10:11]
	ds_write2st64_b32 v8, v10, v11 offset1:2
	v_add_u32_e32 v8, 0x400, v8
	s_andn2_b64 exec, exec, s[12:13]
	s_cbranch_execnz .LBB336_136
.LBB336_137:
	s_or_b64 exec, exec, s[10:11]
	v_add_u32_e32 v6, 1, v6
	v_and_b32_e32 v7, 0x3fffffe, v6
	v_cmp_ne_u32_e32 vcc, v6, v7
	v_lshl_add_u32 v3, v7, 7, v0
	s_orn2_b64 s[10:11], vcc, exec
.LBB336_138:
	s_or_b64 exec, exec, s[6:7]
	s_and_b64 exec, exec, s[10:11]
	s_cbranch_execz .LBB336_141
; %bb.139:
	v_mov_b32_e32 v6, 0xd0
	v_lshl_add_u32 v6, v3, 2, v6
	s_mov_b64 s[6:7], 0
.LBB336_140:                            ; =>This Inner Loop Header: Depth=1
	ds_read_b32 v7, v6
	v_add_u32_e32 v3, 0x80, v3
	v_cmp_le_i32_e32 vcc, s43, v3
	s_or_b64 s[6:7], vcc, s[6:7]
	s_waitcnt lgkmcnt(0)
	v_mul_f32_e32 v7, v2, v7
	ds_write_b32 v6, v7
	v_add_u32_e32 v6, 0x200, v6
	s_andn2_b64 exec, exec, s[6:7]
	s_cbranch_execnz .LBB336_140
.LBB336_141:
	s_or_b64 exec, exec, s[0:1]
	v_cmp_eq_u32_e32 vcc, 0, v0
	s_waitcnt lgkmcnt(0)
	s_barrier
	s_and_saveexec_b64 s[0:1], vcc
	s_cbranch_execz .LBB336_143
; %bb.142:
	s_mul_i32 s5, s16, s28
	s_mul_i32 s6, s5, s29
	s_ashr_i32 s7, s6, 31
	s_lshl_b64 s[6:7], s[6:7], 2
	s_add_u32 s5, s26, s6
	s_mul_i32 s10, s16, s2
	s_addc_u32 s12, s27, s7
	s_ashr_i32 s11, s10, 31
	s_lshl_b64 s[10:11], s[10:11], 2
	s_add_u32 s2, s5, s10
	s_addc_u32 s19, s12, s11
	s_ashr_i32 s5, s4, 31
	s_lshl_b64 s[12:13], s[4:5], 2
	s_add_u32 s18, s2, s12
	s_addc_u32 s19, s19, s13
	s_add_u32 s2, s24, s6
	s_addc_u32 s5, s25, s7
	;; [unrolled: 2-line block ×3, first 2 shown]
	s_add_u32 s6, s2, s12
	v_mov_b32_e32 v2, 0
	s_addc_u32 s7, s5, s13
	global_store_dword v2, v4, s[18:19]
	global_store_dword v2, v5, s[6:7]
.LBB336_143:
	s_or_b64 exec, exec, s[0:1]
	s_mov_b32 s0, 0
	v_mov_b32_e32 v12, 0
	v_and_b32_e32 v22, 1, v0
	v_mov_b32_e32 v11, 0
	v_mov_b32_e32 v10, 0
	s_and_saveexec_b64 s[6:7], s[8:9]
	s_cbranch_execz .LBB336_379
; %bb.144:
	s_sub_i32 s5, s49, s21
	s_ashr_i32 s1, s50, 31
	s_add_u32 s8, s40, s50
	s_addc_u32 s9, s41, s1
	s_abs_i32 s12, s22
	v_cvt_f32_u32_e32 v2, s12
	v_lshlrev_b32_e32 v3, 3, v0
	s_mov_b32 s13, s17
	s_add_i32 s17, s3, -1
	v_rcp_iflag_f32_e32 v2, v2
	s_sub_i32 s1, 0, s12
	s_lshl_b64 s[2:3], s[38:39], 2
	v_and_b32_e32 v23, 8, v3
	v_mul_f32_e32 v2, 0x4f7ffffe, v2
	v_cvt_u32_f32_e32 v2, v2
	v_and_b32_e32 v12, 0x1f8, v3
	s_add_u32 s2, s36, s2
	s_addc_u32 s3, s37, s3
	v_mul_lo_u32 v3, s1, v2
	v_mul_hi_u32 v3, v2, v3
	v_mov_b32_e32 v13, 0
	v_add_u32_e32 v24, v2, v3
	v_lshl_add_u64 v[18:19], v[14:15], 2, s[2:3]
	v_lshlrev_b32_e32 v2, 5, v22
	s_mov_b32 s2, s0
	v_lshl_add_u64 v[16:17], s[8:9], 0, v[12:13]
	v_lshl_or_b32 v2, v25, 6, v2
	s_mov_b32 s1, s0
	v_mov_b32_e32 v12, s2
	v_add_u32_e32 v15, 0xd0, v2
	s_mov_b64 s[8:9], 0
	v_mov_b32_e32 v11, s1
	v_mov_b32_e32 v10, s0
	s_mov_b32 s18, 0x7f800000
	s_movk_i32 s19, 0x7fff
	s_branch .LBB336_147
.LBB336_145:                            ;   in Loop: Header=BB336_147 Depth=1
	s_or_b64 exec, exec, s[0:1]
	v_and_b32_e32 v35, 0xffff0000, v36
	v_and_b32_e32 v37, 0xffff0000, v9
	;; [unrolled: 1-line block ×8, first 2 shown]
	v_pk_add_f32 v[6:7], v[6:7], v[36:37]
	v_pk_add_f32 v[8:9], v[26:27], v[34:35]
	v_add_f32_e32 v6, v6, v7
	v_add_f32_e32 v6, v6, v8
	;; [unrolled: 1-line block ×3, first 2 shown]
	v_and_b32_e32 v27, 0xffff0000, v46
	v_and_b32_e32 v26, 0xffff0000, v5
	;; [unrolled: 1-line block ×4, first 2 shown]
	v_add_f32_e32 v10, v10, v6
	v_and_b32_e32 v7, 0xffff0000, v50
	v_and_b32_e32 v6, 0xffff0000, v48
	;; [unrolled: 1-line block ×4, first 2 shown]
	v_pk_add_f32 v[4:5], v[4:5], v[26:27]
	v_pk_add_f32 v[6:7], v[8:9], v[6:7]
	v_add_f32_e32 v4, v4, v5
	v_add_f32_e32 v4, v4, v6
	v_add_f32_e32 v4, v4, v7
	v_and_b32_e32 v5, 0xffff0000, v3
	v_and_b32_e32 v9, 0xffff0000, v30
	;; [unrolled: 1-line block ×5, first 2 shown]
	v_add_f32_e32 v11, v11, v4
	v_and_b32_e32 v4, 0xffff0000, v32
	v_and_b32_e32 v7, 0xffff0000, v33
	;; [unrolled: 1-line block ×3, first 2 shown]
	v_pk_add_f32 v[2:3], v[2:3], v[8:9]
	v_pk_add_f32 v[4:5], v[6:7], v[4:5]
	v_add_f32_e32 v2, v2, v3
	v_add_f32_e32 v2, v2, v4
	;; [unrolled: 1-line block ×4, first 2 shown]
.LBB336_146:                            ;   in Loop: Header=BB336_147 Depth=1
	s_or_b64 exec, exec, s[2:3]
	v_add_u32_e32 v14, 2, v14
	v_cmp_le_i32_e32 vcc, s20, v14
	v_lshl_add_u64 v[18:19], v[18:19], 0, 8
	v_add_u32_e32 v1, 32, v1
	s_or_b64 s[8:9], vcc, s[8:9]
	v_add_u32_e32 v15, 0x80, v15
	s_andn2_b64 exec, exec, s[8:9]
	s_cbranch_execz .LBB336_378
.LBB336_147:                            ; =>This Inner Loop Header: Depth=1
	v_sub_u32_e32 v3, 0, v1
	v_max_i32_e32 v3, v1, v3
	v_mul_hi_u32 v4, v3, s48
	v_mul_lo_u32 v5, v4, s31
	v_sub_u32_e32 v3, v3, v5
	v_add_u32_e32 v5, 1, v4
	v_cmp_le_u32_e32 vcc, s31, v3
	v_ashrrev_i32_e32 v2, 31, v1
	v_xor_b32_e32 v2, s23, v2
	v_cndmask_b32_e32 v4, v4, v5, vcc
	v_subrev_u32_e32 v5, s31, v3
	v_cndmask_b32_e32 v3, v3, v5, vcc
	v_add_u32_e32 v5, 1, v4
	v_cmp_le_u32_e32 vcc, s31, v3
	s_nop 1
	v_cndmask_b32_e32 v3, v4, v5, vcc
	v_xor_b32_e32 v3, v3, v2
	v_sub_u32_e32 v2, v3, v2
	v_add_u32_e32 v3, s42, v2
	v_sub_u32_e32 v5, 0, v3
	v_ashrrev_i32_e32 v4, 31, v3
	v_max_i32_e32 v3, v3, v5
	v_mul_hi_u32 v5, v3, v24
	v_mul_lo_u32 v5, v5, s12
	v_sub_u32_e32 v3, v3, v5
	v_subrev_u32_e32 v5, s12, v3
	v_cmp_le_u32_e32 vcc, s12, v3
	v_cmp_lt_i32_e64 s[0:1], s5, v2
	s_nop 0
	v_cndmask_b32_e32 v3, v3, v5, vcc
	v_subrev_u32_e32 v5, s12, v3
	v_cmp_le_u32_e32 vcc, s12, v3
	s_nop 1
	v_cndmask_b32_e32 v3, v3, v5, vcc
	v_xor_b32_e32 v3, v3, v4
	v_sub_u32_e32 v3, v3, v4
	v_cmp_eq_u32_e32 vcc, 0, v3
	s_or_b64 s[0:1], vcc, s[0:1]
	s_and_saveexec_b64 s[2:3], s[0:1]
	s_cbranch_execz .LBB336_146
; %bb.148:                              ;   in Loop: Header=BB336_147 Depth=1
	global_load_dword v28, v[18:19], off
	ds_read2_b64 v[6:9], v15 offset1:1
	ds_read2_b64 v[2:5], v15 offset0:2 offset1:3
                                        ; implicit-def: $vgpr37
	s_waitcnt lgkmcnt(1)
	v_and_b32_e32 v25, 0x7f800000, v6
	v_cmp_ne_u32_e32 vcc, s18, v25
	s_and_saveexec_b64 s[0:1], vcc
	s_xor_b64 s[0:1], exec, s[0:1]
; %bb.149:                              ;   in Loop: Header=BB336_147 Depth=1
	v_bfe_u32 v25, v6, 16, 1
	v_add3_u32 v37, v6, v25, s19
; %bb.150:                              ;   in Loop: Header=BB336_147 Depth=1
	s_andn2_saveexec_b64 s[0:1], s[0:1]
; %bb.151:                              ;   in Loop: Header=BB336_147 Depth=1
	v_or_b32_e32 v25, 0x10000, v6
	v_cmp_eq_u32_sdwa vcc, v6, v13 src0_sel:WORD_0 src1_sel:DWORD
	s_nop 1
	v_cndmask_b32_e32 v37, v25, v6, vcc
; %bb.152:                              ;   in Loop: Header=BB336_147 Depth=1
	s_or_b64 exec, exec, s[0:1]
	v_and_b32_e32 v6, 0x7f800000, v7
	v_cmp_ne_u32_e32 vcc, s18, v6
                                        ; implicit-def: $vgpr38
	s_and_saveexec_b64 s[0:1], vcc
	s_xor_b64 s[0:1], exec, s[0:1]
; %bb.153:                              ;   in Loop: Header=BB336_147 Depth=1
	v_bfe_u32 v6, v7, 16, 1
	v_add3_u32 v38, v7, v6, s19
; %bb.154:                              ;   in Loop: Header=BB336_147 Depth=1
	s_andn2_saveexec_b64 s[0:1], s[0:1]
; %bb.155:                              ;   in Loop: Header=BB336_147 Depth=1
	v_or_b32_e32 v6, 0x10000, v7
	v_cmp_eq_u32_sdwa vcc, v7, v13 src0_sel:WORD_0 src1_sel:DWORD
	s_nop 1
	v_cndmask_b32_e32 v38, v6, v7, vcc
; %bb.156:                              ;   in Loop: Header=BB336_147 Depth=1
	s_or_b64 exec, exec, s[0:1]
	v_and_b32_e32 v6, 0x7f800000, v8
	v_cmp_ne_u32_e32 vcc, s18, v6
                                        ; implicit-def: $vgpr39
	s_and_saveexec_b64 s[0:1], vcc
	s_xor_b64 s[0:1], exec, s[0:1]
; %bb.157:                              ;   in Loop: Header=BB336_147 Depth=1
	v_bfe_u32 v6, v8, 16, 1
	v_add3_u32 v39, v8, v6, s19
; %bb.158:                              ;   in Loop: Header=BB336_147 Depth=1
	s_andn2_saveexec_b64 s[0:1], s[0:1]
; %bb.159:                              ;   in Loop: Header=BB336_147 Depth=1
	v_or_b32_e32 v6, 0x10000, v8
	v_cmp_eq_u32_sdwa vcc, v8, v13 src0_sel:WORD_0 src1_sel:DWORD
	s_nop 1
	v_cndmask_b32_e32 v39, v6, v8, vcc
; %bb.160:                              ;   in Loop: Header=BB336_147 Depth=1
	s_or_b64 exec, exec, s[0:1]
	v_and_b32_e32 v6, 0x7f800000, v9
	v_cmp_ne_u32_e32 vcc, s18, v6
                                        ; implicit-def: $vgpr40
	s_and_saveexec_b64 s[0:1], vcc
	s_xor_b64 s[0:1], exec, s[0:1]
; %bb.161:                              ;   in Loop: Header=BB336_147 Depth=1
	v_bfe_u32 v6, v9, 16, 1
	v_add3_u32 v40, v9, v6, s19
                                        ; implicit-def: $vgpr6_vgpr7_vgpr8_vgpr9
; %bb.162:                              ;   in Loop: Header=BB336_147 Depth=1
	s_andn2_saveexec_b64 s[0:1], s[0:1]
; %bb.163:                              ;   in Loop: Header=BB336_147 Depth=1
	v_or_b32_e32 v6, 0x10000, v9
	v_cmp_eq_u32_sdwa vcc, v9, v13 src0_sel:WORD_0 src1_sel:DWORD
	s_nop 1
	v_cndmask_b32_e32 v40, v6, v9, vcc
; %bb.164:                              ;   in Loop: Header=BB336_147 Depth=1
	s_or_b64 exec, exec, s[0:1]
	s_waitcnt lgkmcnt(0)
	v_and_b32_e32 v6, 0x7f800000, v2
	v_cmp_ne_u32_e32 vcc, s18, v6
                                        ; implicit-def: $vgpr25
	s_and_saveexec_b64 s[0:1], vcc
	s_xor_b64 s[0:1], exec, s[0:1]
; %bb.165:                              ;   in Loop: Header=BB336_147 Depth=1
	v_bfe_u32 v6, v2, 16, 1
	v_add3_u32 v25, v2, v6, s19
; %bb.166:                              ;   in Loop: Header=BB336_147 Depth=1
	s_andn2_saveexec_b64 s[0:1], s[0:1]
; %bb.167:                              ;   in Loop: Header=BB336_147 Depth=1
	v_or_b32_e32 v6, 0x10000, v2
	v_cmp_eq_u32_sdwa vcc, v2, v13 src0_sel:WORD_0 src1_sel:DWORD
	s_nop 1
	v_cndmask_b32_e32 v25, v6, v2, vcc
; %bb.168:                              ;   in Loop: Header=BB336_147 Depth=1
	s_or_b64 exec, exec, s[0:1]
	v_and_b32_e32 v2, 0x7f800000, v3
	v_cmp_ne_u32_e32 vcc, s18, v2
                                        ; implicit-def: $vgpr26
	s_and_saveexec_b64 s[0:1], vcc
	s_xor_b64 s[0:1], exec, s[0:1]
; %bb.169:                              ;   in Loop: Header=BB336_147 Depth=1
	v_bfe_u32 v2, v3, 16, 1
	v_add3_u32 v26, v3, v2, s19
; %bb.170:                              ;   in Loop: Header=BB336_147 Depth=1
	s_andn2_saveexec_b64 s[0:1], s[0:1]
; %bb.171:                              ;   in Loop: Header=BB336_147 Depth=1
	v_or_b32_e32 v2, 0x10000, v3
	v_cmp_eq_u32_sdwa vcc, v3, v13 src0_sel:WORD_0 src1_sel:DWORD
	s_nop 1
	v_cndmask_b32_e32 v26, v2, v3, vcc
; %bb.172:                              ;   in Loop: Header=BB336_147 Depth=1
	s_or_b64 exec, exec, s[0:1]
	v_and_b32_e32 v2, 0x7f800000, v4
	v_cmp_ne_u32_e32 vcc, s18, v2
                                        ; implicit-def: $vgpr27
	s_and_saveexec_b64 s[0:1], vcc
	s_xor_b64 s[0:1], exec, s[0:1]
; %bb.173:                              ;   in Loop: Header=BB336_147 Depth=1
	v_bfe_u32 v2, v4, 16, 1
	v_add3_u32 v27, v4, v2, s19
; %bb.174:                              ;   in Loop: Header=BB336_147 Depth=1
	s_andn2_saveexec_b64 s[0:1], s[0:1]
; %bb.175:                              ;   in Loop: Header=BB336_147 Depth=1
	v_or_b32_e32 v2, 0x10000, v4
	v_cmp_eq_u32_sdwa vcc, v4, v13 src0_sel:WORD_0 src1_sel:DWORD
	s_nop 1
	v_cndmask_b32_e32 v27, v2, v4, vcc
; %bb.176:                              ;   in Loop: Header=BB336_147 Depth=1
	s_or_b64 exec, exec, s[0:1]
	v_and_b32_e32 v2, 0x7f800000, v5
	v_cmp_ne_u32_e32 vcc, s18, v2
                                        ; implicit-def: $vgpr36
	s_and_saveexec_b64 s[0:1], vcc
	s_xor_b64 s[0:1], exec, s[0:1]
; %bb.177:                              ;   in Loop: Header=BB336_147 Depth=1
	v_bfe_u32 v2, v5, 16, 1
	v_add3_u32 v36, v5, v2, s19
                                        ; implicit-def: $vgpr2_vgpr3_vgpr4_vgpr5
; %bb.178:                              ;   in Loop: Header=BB336_147 Depth=1
	s_andn2_saveexec_b64 s[0:1], s[0:1]
; %bb.179:                              ;   in Loop: Header=BB336_147 Depth=1
	v_or_b32_e32 v2, 0x10000, v5
	v_cmp_eq_u32_sdwa vcc, v5, v13 src0_sel:WORD_0 src1_sel:DWORD
	s_nop 1
	v_cndmask_b32_e32 v36, v2, v5, vcc
; %bb.180:                              ;   in Loop: Header=BB336_147 Depth=1
	s_or_b64 exec, exec, s[0:1]
	s_waitcnt vmcnt(0)
	v_mad_i64_i32 v[2:3], s[0:1], v28, s13, v[16:17]
	global_load_dwordx2 v[4:5], v[2:3], off
	s_load_dword s21, s[14:15], 0x0
	s_waitcnt vmcnt(0)
	v_and_b32_e32 v6, 0xff, v4
	v_cvt_f32_fp8_sdwa v6, v6 src0_sel:BYTE_0
	s_waitcnt lgkmcnt(0)
	v_mul_f32_e32 v7, s21, v6
	v_and_b32_e32 v6, 0x7f800000, v7
	v_cmp_ne_u32_e32 vcc, s18, v6
                                        ; implicit-def: $vgpr6
	s_and_saveexec_b64 s[0:1], vcc
	s_xor_b64 s[0:1], exec, s[0:1]
; %bb.181:                              ;   in Loop: Header=BB336_147 Depth=1
	v_bfe_u32 v6, v7, 16, 1
	v_add3_u32 v6, v7, v6, s19
                                        ; implicit-def: $vgpr7
; %bb.182:                              ;   in Loop: Header=BB336_147 Depth=1
	s_andn2_saveexec_b64 s[0:1], s[0:1]
; %bb.183:                              ;   in Loop: Header=BB336_147 Depth=1
	v_or_b32_e32 v6, 0x10000, v7
	v_cmp_eq_u32_sdwa vcc, v7, v13 src0_sel:WORD_0 src1_sel:DWORD
	s_nop 1
	v_cndmask_b32_e32 v6, v6, v7, vcc
; %bb.184:                              ;   in Loop: Header=BB336_147 Depth=1
	s_or_b64 exec, exec, s[0:1]
	v_bfe_u32 v7, v4, 8, 8
	v_cvt_f32_fp8_sdwa v7, v7 src0_sel:BYTE_0
	s_nop 0
	v_mul_f32_e32 v8, s21, v7
	v_and_b32_e32 v7, 0x7f800000, v8
	v_cmp_ne_u32_e32 vcc, s18, v7
                                        ; implicit-def: $vgpr7
	s_and_saveexec_b64 s[0:1], vcc
	s_xor_b64 s[0:1], exec, s[0:1]
; %bb.185:                              ;   in Loop: Header=BB336_147 Depth=1
	v_bfe_u32 v7, v8, 16, 1
	v_add3_u32 v7, v8, v7, s19
                                        ; implicit-def: $vgpr8
; %bb.186:                              ;   in Loop: Header=BB336_147 Depth=1
	s_andn2_saveexec_b64 s[0:1], s[0:1]
; %bb.187:                              ;   in Loop: Header=BB336_147 Depth=1
	v_or_b32_e32 v7, 0x10000, v8
	v_cmp_eq_u32_sdwa vcc, v8, v13 src0_sel:WORD_0 src1_sel:DWORD
	s_nop 1
	v_cndmask_b32_e32 v7, v7, v8, vcc
; %bb.188:                              ;   in Loop: Header=BB336_147 Depth=1
	s_or_b64 exec, exec, s[0:1]
	v_bfe_u32 v8, v4, 16, 8
	v_cvt_f32_fp8_sdwa v8, v8 src0_sel:BYTE_0
	s_nop 0
	v_mul_f32_e32 v9, s21, v8
	v_and_b32_e32 v8, 0x7f800000, v9
	v_cmp_ne_u32_e32 vcc, s18, v8
                                        ; implicit-def: $vgpr8
	s_and_saveexec_b64 s[0:1], vcc
	s_xor_b64 s[0:1], exec, s[0:1]
; %bb.189:                              ;   in Loop: Header=BB336_147 Depth=1
	v_bfe_u32 v8, v9, 16, 1
	v_add3_u32 v8, v9, v8, s19
                                        ; implicit-def: $vgpr9
; %bb.190:                              ;   in Loop: Header=BB336_147 Depth=1
	s_andn2_saveexec_b64 s[0:1], s[0:1]
; %bb.191:                              ;   in Loop: Header=BB336_147 Depth=1
	v_or_b32_e32 v8, 0x10000, v9
	v_cmp_eq_u32_sdwa vcc, v9, v13 src0_sel:WORD_0 src1_sel:DWORD
	s_nop 1
	v_cndmask_b32_e32 v8, v8, v9, vcc
; %bb.192:                              ;   in Loop: Header=BB336_147 Depth=1
	s_or_b64 exec, exec, s[0:1]
	v_lshrrev_b32_e32 v4, 24, v4
	v_cvt_f32_fp8_sdwa v4, v4 src0_sel:BYTE_0
	s_nop 0
	v_mul_f32_e32 v9, s21, v4
	v_and_b32_e32 v4, 0x7f800000, v9
	v_cmp_ne_u32_e32 vcc, s18, v4
                                        ; implicit-def: $vgpr4
	s_and_saveexec_b64 s[0:1], vcc
	s_xor_b64 s[0:1], exec, s[0:1]
; %bb.193:                              ;   in Loop: Header=BB336_147 Depth=1
	v_bfe_u32 v4, v9, 16, 1
	v_add3_u32 v4, v9, v4, s19
                                        ; implicit-def: $vgpr9
; %bb.194:                              ;   in Loop: Header=BB336_147 Depth=1
	s_andn2_saveexec_b64 s[0:1], s[0:1]
; %bb.195:                              ;   in Loop: Header=BB336_147 Depth=1
	v_or_b32_e32 v4, 0x10000, v9
	v_cmp_eq_u32_sdwa vcc, v9, v13 src0_sel:WORD_0 src1_sel:DWORD
	s_nop 1
	v_cndmask_b32_e32 v4, v4, v9, vcc
; %bb.196:                              ;   in Loop: Header=BB336_147 Depth=1
	s_or_b64 exec, exec, s[0:1]
	v_and_b32_e32 v9, 0xff, v5
	v_cvt_f32_fp8_sdwa v9, v9 src0_sel:BYTE_0
	s_nop 0
	v_mul_f32_e32 v28, s21, v9
	v_and_b32_e32 v9, 0x7f800000, v28
	v_cmp_ne_u32_e32 vcc, s18, v9
                                        ; implicit-def: $vgpr9
	s_and_saveexec_b64 s[0:1], vcc
	s_xor_b64 s[0:1], exec, s[0:1]
; %bb.197:                              ;   in Loop: Header=BB336_147 Depth=1
	v_bfe_u32 v9, v28, 16, 1
	v_add3_u32 v9, v28, v9, s19
                                        ; implicit-def: $vgpr28
; %bb.198:                              ;   in Loop: Header=BB336_147 Depth=1
	s_andn2_saveexec_b64 s[0:1], s[0:1]
; %bb.199:                              ;   in Loop: Header=BB336_147 Depth=1
	v_or_b32_e32 v9, 0x10000, v28
	v_cmp_eq_u32_sdwa vcc, v28, v13 src0_sel:WORD_0 src1_sel:DWORD
	s_nop 1
	v_cndmask_b32_e32 v9, v9, v28, vcc
; %bb.200:                              ;   in Loop: Header=BB336_147 Depth=1
	s_or_b64 exec, exec, s[0:1]
	v_bfe_u32 v28, v5, 8, 8
	v_cvt_f32_fp8_sdwa v28, v28 src0_sel:BYTE_0
	s_nop 0
	v_mul_f32_e32 v28, s21, v28
	v_and_b32_e32 v29, 0x7f800000, v28
	v_cmp_ne_u32_e32 vcc, s18, v29
                                        ; implicit-def: $vgpr29
	s_and_saveexec_b64 s[0:1], vcc
	s_xor_b64 s[0:1], exec, s[0:1]
; %bb.201:                              ;   in Loop: Header=BB336_147 Depth=1
	v_bfe_u32 v29, v28, 16, 1
	v_add3_u32 v29, v28, v29, s19
                                        ; implicit-def: $vgpr28
; %bb.202:                              ;   in Loop: Header=BB336_147 Depth=1
	s_andn2_saveexec_b64 s[0:1], s[0:1]
; %bb.203:                              ;   in Loop: Header=BB336_147 Depth=1
	v_or_b32_e32 v29, 0x10000, v28
	v_cmp_eq_u32_sdwa vcc, v28, v13 src0_sel:WORD_0 src1_sel:DWORD
	s_nop 1
	v_cndmask_b32_e32 v29, v29, v28, vcc
; %bb.204:                              ;   in Loop: Header=BB336_147 Depth=1
	s_or_b64 exec, exec, s[0:1]
	v_bfe_u32 v28, v5, 16, 8
	v_cvt_f32_fp8_sdwa v28, v28 src0_sel:BYTE_0
	s_nop 0
	v_mul_f32_e32 v28, s21, v28
	v_and_b32_e32 v30, 0x7f800000, v28
	v_cmp_ne_u32_e32 vcc, s18, v30
                                        ; implicit-def: $vgpr30
	s_and_saveexec_b64 s[0:1], vcc
	s_xor_b64 s[0:1], exec, s[0:1]
; %bb.205:                              ;   in Loop: Header=BB336_147 Depth=1
	v_bfe_u32 v30, v28, 16, 1
	v_add3_u32 v30, v28, v30, s19
                                        ; implicit-def: $vgpr28
; %bb.206:                              ;   in Loop: Header=BB336_147 Depth=1
	s_andn2_saveexec_b64 s[0:1], s[0:1]
; %bb.207:                              ;   in Loop: Header=BB336_147 Depth=1
	v_or_b32_e32 v30, 0x10000, v28
	v_cmp_eq_u32_sdwa vcc, v28, v13 src0_sel:WORD_0 src1_sel:DWORD
	s_nop 1
	v_cndmask_b32_e32 v30, v30, v28, vcc
; %bb.208:                              ;   in Loop: Header=BB336_147 Depth=1
	s_or_b64 exec, exec, s[0:1]
	v_lshrrev_b32_e32 v5, 24, v5
	v_cvt_f32_fp8_sdwa v5, v5 src0_sel:BYTE_0
                                        ; implicit-def: $vgpr31
	s_nop 0
	v_mul_f32_e32 v5, s21, v5
	v_and_b32_e32 v28, 0x7f800000, v5
	v_cmp_ne_u32_e32 vcc, s18, v28
	s_and_saveexec_b64 s[0:1], vcc
	s_xor_b64 s[0:1], exec, s[0:1]
; %bb.209:                              ;   in Loop: Header=BB336_147 Depth=1
	v_bfe_u32 v28, v5, 16, 1
	v_add3_u32 v31, v5, v28, s19
                                        ; implicit-def: $vgpr5
; %bb.210:                              ;   in Loop: Header=BB336_147 Depth=1
	s_andn2_saveexec_b64 s[0:1], s[0:1]
; %bb.211:                              ;   in Loop: Header=BB336_147 Depth=1
	v_or_b32_e32 v28, 0x10000, v5
	v_cmp_eq_u32_sdwa vcc, v5, v13 src0_sel:WORD_0 src1_sel:DWORD
	s_nop 1
	v_cndmask_b32_e32 v31, v28, v5, vcc
; %bb.212:                              ;   in Loop: Header=BB336_147 Depth=1
	s_or_b64 exec, exec, s[0:1]
	v_add_u32_e32 v28, v23, v1
	v_cmp_eq_u32_e32 vcc, s17, v14
	v_lshrrev_b32_e32 v43, 16, v29
	v_lshrrev_b32_e32 v42, 16, v9
	;; [unrolled: 1-line block ×8, first 2 shown]
	v_add_u32_e32 v35, 1, v28
	v_add_u32_e32 v34, 2, v28
	;; [unrolled: 1-line block ×7, first 2 shown]
	s_and_saveexec_b64 s[10:11], vcc
	s_cbranch_execz .LBB336_214
; %bb.213:                              ;   in Loop: Header=BB336_147 Depth=1
	v_cmp_gt_i32_e64 s[0:1], s33, v28
	s_nop 1
	v_cndmask_b32_e64 v6, 0, v6, s[0:1]
	v_cmp_gt_i32_e64 s[0:1], s33, v35
	s_nop 1
	v_cndmask_b32_e64 v7, 0, v7, s[0:1]
	;; [unrolled: 3-line block ×8, first 2 shown]
.LBB336_214:                            ;   in Loop: Header=BB336_147 Depth=1
	s_or_b64 exec, exec, s[10:11]
	v_and_b32_e32 v37, 0xffff0000, v37
	v_lshlrev_b32_e32 v6, 16, v6
	v_mul_f32_e32 v41, v37, v6
	v_and_b32_e32 v6, 0x7f800000, v41
	v_cmp_ne_u32_e64 s[0:1], s18, v6
                                        ; implicit-def: $vgpr6
	s_and_saveexec_b64 s[10:11], s[0:1]
	s_xor_b64 s[0:1], exec, s[10:11]
; %bb.215:                              ;   in Loop: Header=BB336_147 Depth=1
	v_bfe_u32 v6, v41, 16, 1
	v_add3_u32 v6, v41, v6, s19
                                        ; implicit-def: $vgpr41
; %bb.216:                              ;   in Loop: Header=BB336_147 Depth=1
	s_andn2_saveexec_b64 s[10:11], s[0:1]
; %bb.217:                              ;   in Loop: Header=BB336_147 Depth=1
	v_or_b32_e32 v6, 0x10000, v41
	v_cmp_eq_u32_sdwa s[0:1], v41, v13 src0_sel:WORD_0 src1_sel:DWORD
	s_nop 1
	v_cndmask_b32_e64 v6, v6, v41, s[0:1]
; %bb.218:                              ;   in Loop: Header=BB336_147 Depth=1
	s_or_b64 exec, exec, s[10:11]
	v_and_b32_e32 v38, 0xffff0000, v38
	v_lshlrev_b32_e32 v7, 16, v7
	v_mul_f32_e32 v41, v38, v7
	v_and_b32_e32 v7, 0x7f800000, v41
	v_cmp_ne_u32_e64 s[0:1], s18, v7
                                        ; implicit-def: $vgpr7
	s_and_saveexec_b64 s[10:11], s[0:1]
	s_xor_b64 s[0:1], exec, s[10:11]
; %bb.219:                              ;   in Loop: Header=BB336_147 Depth=1
	v_bfe_u32 v7, v41, 16, 1
	v_add3_u32 v7, v41, v7, s19
                                        ; implicit-def: $vgpr41
; %bb.220:                              ;   in Loop: Header=BB336_147 Depth=1
	s_andn2_saveexec_b64 s[10:11], s[0:1]
; %bb.221:                              ;   in Loop: Header=BB336_147 Depth=1
	v_or_b32_e32 v7, 0x10000, v41
	v_cmp_eq_u32_sdwa s[0:1], v41, v13 src0_sel:WORD_0 src1_sel:DWORD
	s_nop 1
	v_cndmask_b32_e64 v7, v7, v41, s[0:1]
; %bb.222:                              ;   in Loop: Header=BB336_147 Depth=1
	s_or_b64 exec, exec, s[10:11]
	v_and_b32_e32 v39, 0xffff0000, v39
	v_lshlrev_b32_e32 v8, 16, v8
	v_mul_f32_e32 v41, v39, v8
	v_and_b32_e32 v8, 0x7f800000, v41
	v_cmp_ne_u32_e64 s[0:1], s18, v8
                                        ; implicit-def: $vgpr8
	s_and_saveexec_b64 s[10:11], s[0:1]
	s_xor_b64 s[0:1], exec, s[10:11]
; %bb.223:                              ;   in Loop: Header=BB336_147 Depth=1
	v_bfe_u32 v8, v41, 16, 1
	v_add3_u32 v8, v41, v8, s19
                                        ; implicit-def: $vgpr41
; %bb.224:                              ;   in Loop: Header=BB336_147 Depth=1
	s_andn2_saveexec_b64 s[10:11], s[0:1]
; %bb.225:                              ;   in Loop: Header=BB336_147 Depth=1
	v_or_b32_e32 v8, 0x10000, v41
	v_cmp_eq_u32_sdwa s[0:1], v41, v13 src0_sel:WORD_0 src1_sel:DWORD
	s_nop 1
	v_cndmask_b32_e64 v8, v8, v41, s[0:1]
; %bb.226:                              ;   in Loop: Header=BB336_147 Depth=1
	s_or_b64 exec, exec, s[10:11]
	v_and_b32_e32 v40, 0xffff0000, v40
	v_lshlrev_b32_e32 v9, 16, v9
	v_mul_f32_e32 v41, v40, v9
	v_and_b32_e32 v9, 0x7f800000, v41
	v_cmp_ne_u32_e64 s[0:1], s18, v9
                                        ; implicit-def: $vgpr9
	s_and_saveexec_b64 s[10:11], s[0:1]
	s_xor_b64 s[0:1], exec, s[10:11]
; %bb.227:                              ;   in Loop: Header=BB336_147 Depth=1
	v_bfe_u32 v9, v41, 16, 1
	v_add3_u32 v9, v41, v9, s19
                                        ; implicit-def: $vgpr41
; %bb.228:                              ;   in Loop: Header=BB336_147 Depth=1
	s_andn2_saveexec_b64 s[10:11], s[0:1]
; %bb.229:                              ;   in Loop: Header=BB336_147 Depth=1
	v_or_b32_e32 v9, 0x10000, v41
	v_cmp_eq_u32_sdwa s[0:1], v41, v13 src0_sel:WORD_0 src1_sel:DWORD
	s_nop 1
	v_cndmask_b32_e64 v9, v9, v41, s[0:1]
; %bb.230:                              ;   in Loop: Header=BB336_147 Depth=1
	s_or_b64 exec, exec, s[10:11]
	v_and_b32_e32 v41, 0xffff0000, v25
	v_lshlrev_b32_e32 v25, 16, v42
	v_mul_f32_e32 v42, v41, v25
	v_and_b32_e32 v25, 0x7f800000, v42
	v_cmp_ne_u32_e64 s[0:1], s18, v25
                                        ; implicit-def: $vgpr25
	s_and_saveexec_b64 s[10:11], s[0:1]
	s_xor_b64 s[0:1], exec, s[10:11]
; %bb.231:                              ;   in Loop: Header=BB336_147 Depth=1
	v_bfe_u32 v25, v42, 16, 1
	v_add3_u32 v25, v42, v25, s19
                                        ; implicit-def: $vgpr42
; %bb.232:                              ;   in Loop: Header=BB336_147 Depth=1
	s_andn2_saveexec_b64 s[10:11], s[0:1]
; %bb.233:                              ;   in Loop: Header=BB336_147 Depth=1
	v_or_b32_e32 v25, 0x10000, v42
	v_cmp_eq_u32_sdwa s[0:1], v42, v13 src0_sel:WORD_0 src1_sel:DWORD
	s_nop 1
	v_cndmask_b32_e64 v25, v25, v42, s[0:1]
; %bb.234:                              ;   in Loop: Header=BB336_147 Depth=1
	s_or_b64 exec, exec, s[10:11]
	v_and_b32_e32 v42, 0xffff0000, v26
	v_lshlrev_b32_e32 v26, 16, v43
	v_mul_f32_e32 v43, v42, v26
	v_and_b32_e32 v26, 0x7f800000, v43
	v_cmp_ne_u32_e64 s[0:1], s18, v26
                                        ; implicit-def: $vgpr26
	s_and_saveexec_b64 s[10:11], s[0:1]
	s_xor_b64 s[0:1], exec, s[10:11]
; %bb.235:                              ;   in Loop: Header=BB336_147 Depth=1
	v_bfe_u32 v26, v43, 16, 1
	v_add3_u32 v26, v43, v26, s19
                                        ; implicit-def: $vgpr43
; %bb.236:                              ;   in Loop: Header=BB336_147 Depth=1
	s_andn2_saveexec_b64 s[10:11], s[0:1]
; %bb.237:                              ;   in Loop: Header=BB336_147 Depth=1
	v_or_b32_e32 v26, 0x10000, v43
	v_cmp_eq_u32_sdwa s[0:1], v43, v13 src0_sel:WORD_0 src1_sel:DWORD
	s_nop 1
	v_cndmask_b32_e64 v26, v26, v43, s[0:1]
; %bb.238:                              ;   in Loop: Header=BB336_147 Depth=1
	s_or_b64 exec, exec, s[10:11]
	v_and_b32_e32 v43, 0xffff0000, v27
	v_lshlrev_b32_e32 v5, 16, v5
	v_mul_f32_e32 v5, v43, v5
	v_and_b32_e32 v27, 0x7f800000, v5
	v_cmp_ne_u32_e64 s[0:1], s18, v27
                                        ; implicit-def: $vgpr27
	s_and_saveexec_b64 s[10:11], s[0:1]
	s_xor_b64 s[0:1], exec, s[10:11]
; %bb.239:                              ;   in Loop: Header=BB336_147 Depth=1
	v_bfe_u32 v27, v5, 16, 1
	v_add3_u32 v27, v5, v27, s19
                                        ; implicit-def: $vgpr5
; %bb.240:                              ;   in Loop: Header=BB336_147 Depth=1
	s_andn2_saveexec_b64 s[10:11], s[0:1]
; %bb.241:                              ;   in Loop: Header=BB336_147 Depth=1
	v_or_b32_e32 v27, 0x10000, v5
	v_cmp_eq_u32_sdwa s[0:1], v5, v13 src0_sel:WORD_0 src1_sel:DWORD
	s_nop 1
	v_cndmask_b32_e64 v27, v27, v5, s[0:1]
; %bb.242:                              ;   in Loop: Header=BB336_147 Depth=1
	s_or_b64 exec, exec, s[10:11]
	v_and_b32_e32 v44, 0xffff0000, v36
	v_lshlrev_b32_e32 v4, 16, v4
	v_mul_f32_e32 v4, v44, v4
	v_and_b32_e32 v5, 0x7f800000, v4
	v_cmp_ne_u32_e64 s[0:1], s18, v5
                                        ; implicit-def: $vgpr36
	s_and_saveexec_b64 s[10:11], s[0:1]
	s_xor_b64 s[0:1], exec, s[10:11]
; %bb.243:                              ;   in Loop: Header=BB336_147 Depth=1
	v_bfe_u32 v5, v4, 16, 1
	v_add3_u32 v36, v4, v5, s19
                                        ; implicit-def: $vgpr4
; %bb.244:                              ;   in Loop: Header=BB336_147 Depth=1
	s_andn2_saveexec_b64 s[10:11], s[0:1]
; %bb.245:                              ;   in Loop: Header=BB336_147 Depth=1
	v_or_b32_e32 v5, 0x10000, v4
	v_cmp_eq_u32_sdwa s[0:1], v4, v13 src0_sel:WORD_0 src1_sel:DWORD
	s_nop 1
	v_cndmask_b32_e64 v36, v5, v4, s[0:1]
; %bb.246:                              ;   in Loop: Header=BB336_147 Depth=1
	s_or_b64 exec, exec, s[10:11]
	global_load_dwordx2 v[4:5], v[2:3], off offset:512
	s_waitcnt vmcnt(0)
	v_and_b32_e32 v45, 0xff, v4
	v_cvt_f32_fp8_sdwa v45, v45 src0_sel:BYTE_0
	s_nop 0
	v_mul_f32_e32 v46, s21, v45
	v_and_b32_e32 v45, 0x7f800000, v46
	v_cmp_ne_u32_e64 s[0:1], s18, v45
                                        ; implicit-def: $vgpr45
	s_and_saveexec_b64 s[10:11], s[0:1]
	s_xor_b64 s[0:1], exec, s[10:11]
; %bb.247:                              ;   in Loop: Header=BB336_147 Depth=1
	v_bfe_u32 v45, v46, 16, 1
	v_add3_u32 v45, v46, v45, s19
                                        ; implicit-def: $vgpr46
; %bb.248:                              ;   in Loop: Header=BB336_147 Depth=1
	s_andn2_saveexec_b64 s[10:11], s[0:1]
; %bb.249:                              ;   in Loop: Header=BB336_147 Depth=1
	v_or_b32_e32 v45, 0x10000, v46
	v_cmp_eq_u32_sdwa s[0:1], v46, v13 src0_sel:WORD_0 src1_sel:DWORD
	s_nop 1
	v_cndmask_b32_e64 v45, v45, v46, s[0:1]
; %bb.250:                              ;   in Loop: Header=BB336_147 Depth=1
	s_or_b64 exec, exec, s[10:11]
	v_bfe_u32 v46, v4, 8, 8
	v_cvt_f32_fp8_sdwa v46, v46 src0_sel:BYTE_0
	s_nop 0
	v_mul_f32_e32 v47, s21, v46
	v_and_b32_e32 v46, 0x7f800000, v47
	v_cmp_ne_u32_e64 s[0:1], s18, v46
                                        ; implicit-def: $vgpr46
	s_and_saveexec_b64 s[10:11], s[0:1]
	s_xor_b64 s[0:1], exec, s[10:11]
; %bb.251:                              ;   in Loop: Header=BB336_147 Depth=1
	v_bfe_u32 v46, v47, 16, 1
	v_add3_u32 v46, v47, v46, s19
                                        ; implicit-def: $vgpr47
; %bb.252:                              ;   in Loop: Header=BB336_147 Depth=1
	s_andn2_saveexec_b64 s[10:11], s[0:1]
; %bb.253:                              ;   in Loop: Header=BB336_147 Depth=1
	v_or_b32_e32 v46, 0x10000, v47
	v_cmp_eq_u32_sdwa s[0:1], v47, v13 src0_sel:WORD_0 src1_sel:DWORD
	s_nop 1
	v_cndmask_b32_e64 v46, v46, v47, s[0:1]
; %bb.254:                              ;   in Loop: Header=BB336_147 Depth=1
	s_or_b64 exec, exec, s[10:11]
	v_bfe_u32 v47, v4, 16, 8
	v_cvt_f32_fp8_sdwa v47, v47 src0_sel:BYTE_0
	s_nop 0
	v_mul_f32_e32 v48, s21, v47
	v_and_b32_e32 v47, 0x7f800000, v48
	v_cmp_ne_u32_e64 s[0:1], s18, v47
                                        ; implicit-def: $vgpr47
	s_and_saveexec_b64 s[10:11], s[0:1]
	s_xor_b64 s[0:1], exec, s[10:11]
; %bb.255:                              ;   in Loop: Header=BB336_147 Depth=1
	v_bfe_u32 v47, v48, 16, 1
	v_add3_u32 v47, v48, v47, s19
                                        ; implicit-def: $vgpr48
; %bb.256:                              ;   in Loop: Header=BB336_147 Depth=1
	s_andn2_saveexec_b64 s[10:11], s[0:1]
; %bb.257:                              ;   in Loop: Header=BB336_147 Depth=1
	v_or_b32_e32 v47, 0x10000, v48
	v_cmp_eq_u32_sdwa s[0:1], v48, v13 src0_sel:WORD_0 src1_sel:DWORD
	s_nop 1
	v_cndmask_b32_e64 v47, v47, v48, s[0:1]
; %bb.258:                              ;   in Loop: Header=BB336_147 Depth=1
	s_or_b64 exec, exec, s[10:11]
	v_lshrrev_b32_e32 v4, 24, v4
	v_cvt_f32_fp8_sdwa v4, v4 src0_sel:BYTE_0
	s_nop 0
	v_mul_f32_e32 v48, s21, v4
	v_and_b32_e32 v4, 0x7f800000, v48
	v_cmp_ne_u32_e64 s[0:1], s18, v4
                                        ; implicit-def: $vgpr4
	s_and_saveexec_b64 s[10:11], s[0:1]
	s_xor_b64 s[0:1], exec, s[10:11]
; %bb.259:                              ;   in Loop: Header=BB336_147 Depth=1
	v_bfe_u32 v4, v48, 16, 1
	v_add3_u32 v4, v48, v4, s19
                                        ; implicit-def: $vgpr48
; %bb.260:                              ;   in Loop: Header=BB336_147 Depth=1
	s_andn2_saveexec_b64 s[10:11], s[0:1]
; %bb.261:                              ;   in Loop: Header=BB336_147 Depth=1
	v_or_b32_e32 v4, 0x10000, v48
	v_cmp_eq_u32_sdwa s[0:1], v48, v13 src0_sel:WORD_0 src1_sel:DWORD
	s_nop 1
	v_cndmask_b32_e64 v4, v4, v48, s[0:1]
; %bb.262:                              ;   in Loop: Header=BB336_147 Depth=1
	s_or_b64 exec, exec, s[10:11]
	v_and_b32_e32 v48, 0xff, v5
	v_cvt_f32_fp8_sdwa v48, v48 src0_sel:BYTE_0
	s_nop 0
	v_mul_f32_e32 v48, s21, v48
	v_and_b32_e32 v49, 0x7f800000, v48
	v_cmp_ne_u32_e64 s[0:1], s18, v49
                                        ; implicit-def: $vgpr49
	s_and_saveexec_b64 s[10:11], s[0:1]
	s_xor_b64 s[0:1], exec, s[10:11]
; %bb.263:                              ;   in Loop: Header=BB336_147 Depth=1
	v_bfe_u32 v49, v48, 16, 1
	v_add3_u32 v49, v48, v49, s19
                                        ; implicit-def: $vgpr48
; %bb.264:                              ;   in Loop: Header=BB336_147 Depth=1
	s_andn2_saveexec_b64 s[10:11], s[0:1]
; %bb.265:                              ;   in Loop: Header=BB336_147 Depth=1
	v_or_b32_e32 v49, 0x10000, v48
	v_cmp_eq_u32_sdwa s[0:1], v48, v13 src0_sel:WORD_0 src1_sel:DWORD
	s_nop 1
	v_cndmask_b32_e64 v49, v49, v48, s[0:1]
; %bb.266:                              ;   in Loop: Header=BB336_147 Depth=1
	s_or_b64 exec, exec, s[10:11]
	v_bfe_u32 v48, v5, 8, 8
	v_cvt_f32_fp8_sdwa v48, v48 src0_sel:BYTE_0
	s_nop 0
	v_mul_f32_e32 v50, s21, v48
	v_and_b32_e32 v48, 0x7f800000, v50
	v_cmp_ne_u32_e64 s[0:1], s18, v48
                                        ; implicit-def: $vgpr48
	s_and_saveexec_b64 s[10:11], s[0:1]
	s_xor_b64 s[0:1], exec, s[10:11]
; %bb.267:                              ;   in Loop: Header=BB336_147 Depth=1
	v_bfe_u32 v48, v50, 16, 1
	v_add3_u32 v48, v50, v48, s19
                                        ; implicit-def: $vgpr50
; %bb.268:                              ;   in Loop: Header=BB336_147 Depth=1
	s_andn2_saveexec_b64 s[10:11], s[0:1]
; %bb.269:                              ;   in Loop: Header=BB336_147 Depth=1
	v_or_b32_e32 v48, 0x10000, v50
	v_cmp_eq_u32_sdwa s[0:1], v50, v13 src0_sel:WORD_0 src1_sel:DWORD
	s_nop 1
	v_cndmask_b32_e64 v48, v48, v50, s[0:1]
; %bb.270:                              ;   in Loop: Header=BB336_147 Depth=1
	s_or_b64 exec, exec, s[10:11]
	v_bfe_u32 v50, v5, 16, 8
	v_cvt_f32_fp8_sdwa v50, v50 src0_sel:BYTE_0
	s_nop 0
	v_mul_f32_e32 v51, s21, v50
	v_and_b32_e32 v50, 0x7f800000, v51
	v_cmp_ne_u32_e64 s[0:1], s18, v50
                                        ; implicit-def: $vgpr50
	s_and_saveexec_b64 s[10:11], s[0:1]
	s_xor_b64 s[0:1], exec, s[10:11]
; %bb.271:                              ;   in Loop: Header=BB336_147 Depth=1
	v_bfe_u32 v50, v51, 16, 1
	v_add3_u32 v50, v51, v50, s19
                                        ; implicit-def: $vgpr51
; %bb.272:                              ;   in Loop: Header=BB336_147 Depth=1
	s_andn2_saveexec_b64 s[10:11], s[0:1]
; %bb.273:                              ;   in Loop: Header=BB336_147 Depth=1
	v_or_b32_e32 v50, 0x10000, v51
	v_cmp_eq_u32_sdwa s[0:1], v51, v13 src0_sel:WORD_0 src1_sel:DWORD
	s_nop 1
	v_cndmask_b32_e64 v50, v50, v51, s[0:1]
; %bb.274:                              ;   in Loop: Header=BB336_147 Depth=1
	s_or_b64 exec, exec, s[10:11]
	v_lshrrev_b32_e32 v5, 24, v5
	v_cvt_f32_fp8_sdwa v5, v5 src0_sel:BYTE_0
                                        ; implicit-def: $vgpr53
	s_nop 0
	v_mul_f32_e32 v5, s21, v5
	v_and_b32_e32 v51, 0x7f800000, v5
	v_cmp_ne_u32_e64 s[0:1], s18, v51
	s_and_saveexec_b64 s[10:11], s[0:1]
	s_xor_b64 s[0:1], exec, s[10:11]
; %bb.275:                              ;   in Loop: Header=BB336_147 Depth=1
	v_bfe_u32 v51, v5, 16, 1
	v_add3_u32 v53, v5, v51, s19
                                        ; implicit-def: $vgpr5
; %bb.276:                              ;   in Loop: Header=BB336_147 Depth=1
	s_andn2_saveexec_b64 s[10:11], s[0:1]
; %bb.277:                              ;   in Loop: Header=BB336_147 Depth=1
	v_or_b32_e32 v51, 0x10000, v5
	v_cmp_eq_u32_sdwa s[0:1], v5, v13 src0_sel:WORD_0 src1_sel:DWORD
	s_nop 1
	v_cndmask_b32_e64 v53, v51, v5, s[0:1]
; %bb.278:                              ;   in Loop: Header=BB336_147 Depth=1
	s_or_b64 exec, exec, s[10:11]
	v_lshrrev_b32_e32 v48, 16, v48
	v_lshrrev_b32_e32 v51, 16, v49
	;; [unrolled: 1-line block ×8, first 2 shown]
	s_and_saveexec_b64 s[10:11], vcc
	s_cbranch_execz .LBB336_280
; %bb.279:                              ;   in Loop: Header=BB336_147 Depth=1
	v_cmp_gt_i32_e64 s[0:1], s33, v28
	s_nop 1
	v_cndmask_b32_e64 v4, 0, v4, s[0:1]
	v_cmp_gt_i32_e64 s[0:1], s33, v35
	s_nop 1
	v_cndmask_b32_e64 v5, 0, v5, s[0:1]
	v_cmp_gt_i32_e64 s[0:1], s33, v34
	s_nop 1
	v_cndmask_b32_e64 v47, 0, v47, s[0:1]
	v_cmp_gt_i32_e64 s[0:1], s33, v33
	s_nop 1
	v_cndmask_b32_e64 v52, 0, v52, s[0:1]
	v_cmp_gt_i32_e64 s[0:1], s33, v32
	s_nop 1
	v_cndmask_b32_e64 v51, 0, v51, s[0:1]
	v_cmp_gt_i32_e64 s[0:1], s33, v31
	s_nop 1
	v_cndmask_b32_e64 v48, 0, v48, s[0:1]
	v_cmp_gt_i32_e64 s[0:1], s33, v30
	s_nop 1
	v_cndmask_b32_e64 v49, 0, v49, s[0:1]
	v_cmp_gt_i32_e64 s[0:1], s33, v29
	s_nop 1
	v_cndmask_b32_e64 v50, 0, v50, s[0:1]
.LBB336_280:                            ;   in Loop: Header=BB336_147 Depth=1
	s_or_b64 exec, exec, s[10:11]
	v_lshlrev_b32_e32 v4, 16, v4
	v_mul_f32_e32 v45, v37, v4
	v_and_b32_e32 v4, 0x7f800000, v45
	v_cmp_ne_u32_e64 s[0:1], s18, v4
                                        ; implicit-def: $vgpr4
	s_and_saveexec_b64 s[10:11], s[0:1]
	s_xor_b64 s[0:1], exec, s[10:11]
; %bb.281:                              ;   in Loop: Header=BB336_147 Depth=1
	v_bfe_u32 v4, v45, 16, 1
	v_add3_u32 v4, v45, v4, s19
                                        ; implicit-def: $vgpr45
; %bb.282:                              ;   in Loop: Header=BB336_147 Depth=1
	s_andn2_saveexec_b64 s[10:11], s[0:1]
; %bb.283:                              ;   in Loop: Header=BB336_147 Depth=1
	v_or_b32_e32 v4, 0x10000, v45
	v_cmp_eq_u32_sdwa s[0:1], v45, v13 src0_sel:WORD_0 src1_sel:DWORD
	s_nop 1
	v_cndmask_b32_e64 v4, v4, v45, s[0:1]
; %bb.284:                              ;   in Loop: Header=BB336_147 Depth=1
	s_or_b64 exec, exec, s[10:11]
	v_lshlrev_b32_e32 v5, 16, v5
	v_mul_f32_e32 v45, v38, v5
	v_and_b32_e32 v5, 0x7f800000, v45
	v_cmp_ne_u32_e64 s[0:1], s18, v5
                                        ; implicit-def: $vgpr5
	s_and_saveexec_b64 s[10:11], s[0:1]
	s_xor_b64 s[0:1], exec, s[10:11]
; %bb.285:                              ;   in Loop: Header=BB336_147 Depth=1
	v_bfe_u32 v5, v45, 16, 1
	v_add3_u32 v5, v45, v5, s19
                                        ; implicit-def: $vgpr45
; %bb.286:                              ;   in Loop: Header=BB336_147 Depth=1
	s_andn2_saveexec_b64 s[10:11], s[0:1]
; %bb.287:                              ;   in Loop: Header=BB336_147 Depth=1
	v_or_b32_e32 v5, 0x10000, v45
	v_cmp_eq_u32_sdwa s[0:1], v45, v13 src0_sel:WORD_0 src1_sel:DWORD
	s_nop 1
	v_cndmask_b32_e64 v5, v5, v45, s[0:1]
; %bb.288:                              ;   in Loop: Header=BB336_147 Depth=1
	s_or_b64 exec, exec, s[10:11]
	v_lshlrev_b32_e32 v45, 16, v47
	v_mul_f32_e32 v46, v39, v45
	v_and_b32_e32 v45, 0x7f800000, v46
	v_cmp_ne_u32_e64 s[0:1], s18, v45
                                        ; implicit-def: $vgpr45
	s_and_saveexec_b64 s[10:11], s[0:1]
	s_xor_b64 s[0:1], exec, s[10:11]
; %bb.289:                              ;   in Loop: Header=BB336_147 Depth=1
	v_bfe_u32 v45, v46, 16, 1
	v_add3_u32 v45, v46, v45, s19
                                        ; implicit-def: $vgpr46
; %bb.290:                              ;   in Loop: Header=BB336_147 Depth=1
	s_andn2_saveexec_b64 s[10:11], s[0:1]
; %bb.291:                              ;   in Loop: Header=BB336_147 Depth=1
	v_or_b32_e32 v45, 0x10000, v46
	v_cmp_eq_u32_sdwa s[0:1], v46, v13 src0_sel:WORD_0 src1_sel:DWORD
	s_nop 1
	v_cndmask_b32_e64 v45, v45, v46, s[0:1]
; %bb.292:                              ;   in Loop: Header=BB336_147 Depth=1
	s_or_b64 exec, exec, s[10:11]
	v_lshlrev_b32_e32 v46, 16, v52
	v_mul_f32_e32 v47, v40, v46
	v_and_b32_e32 v46, 0x7f800000, v47
	v_cmp_ne_u32_e64 s[0:1], s18, v46
                                        ; implicit-def: $vgpr46
	s_and_saveexec_b64 s[10:11], s[0:1]
	s_xor_b64 s[0:1], exec, s[10:11]
; %bb.293:                              ;   in Loop: Header=BB336_147 Depth=1
	v_bfe_u32 v46, v47, 16, 1
	v_add3_u32 v46, v47, v46, s19
                                        ; implicit-def: $vgpr47
; %bb.294:                              ;   in Loop: Header=BB336_147 Depth=1
	s_andn2_saveexec_b64 s[10:11], s[0:1]
; %bb.295:                              ;   in Loop: Header=BB336_147 Depth=1
	v_or_b32_e32 v46, 0x10000, v47
	v_cmp_eq_u32_sdwa s[0:1], v47, v13 src0_sel:WORD_0 src1_sel:DWORD
	s_nop 1
	v_cndmask_b32_e64 v46, v46, v47, s[0:1]
; %bb.296:                              ;   in Loop: Header=BB336_147 Depth=1
	s_or_b64 exec, exec, s[10:11]
	v_lshlrev_b32_e32 v47, 16, v51
	v_mul_f32_e32 v51, v41, v47
	v_and_b32_e32 v47, 0x7f800000, v51
	v_cmp_ne_u32_e64 s[0:1], s18, v47
                                        ; implicit-def: $vgpr47
	s_and_saveexec_b64 s[10:11], s[0:1]
	s_xor_b64 s[0:1], exec, s[10:11]
; %bb.297:                              ;   in Loop: Header=BB336_147 Depth=1
	v_bfe_u32 v47, v51, 16, 1
	v_add3_u32 v47, v51, v47, s19
                                        ; implicit-def: $vgpr51
; %bb.298:                              ;   in Loop: Header=BB336_147 Depth=1
	s_andn2_saveexec_b64 s[10:11], s[0:1]
; %bb.299:                              ;   in Loop: Header=BB336_147 Depth=1
	v_or_b32_e32 v47, 0x10000, v51
	v_cmp_eq_u32_sdwa s[0:1], v51, v13 src0_sel:WORD_0 src1_sel:DWORD
	s_nop 1
	v_cndmask_b32_e64 v47, v47, v51, s[0:1]
; %bb.300:                              ;   in Loop: Header=BB336_147 Depth=1
	s_or_b64 exec, exec, s[10:11]
	v_lshlrev_b32_e32 v48, 16, v48
	v_mul_f32_e32 v51, v42, v48
	v_and_b32_e32 v48, 0x7f800000, v51
	v_cmp_ne_u32_e64 s[0:1], s18, v48
                                        ; implicit-def: $vgpr48
	s_and_saveexec_b64 s[10:11], s[0:1]
	s_xor_b64 s[0:1], exec, s[10:11]
; %bb.301:                              ;   in Loop: Header=BB336_147 Depth=1
	v_bfe_u32 v48, v51, 16, 1
	v_add3_u32 v48, v51, v48, s19
                                        ; implicit-def: $vgpr51
; %bb.302:                              ;   in Loop: Header=BB336_147 Depth=1
	s_andn2_saveexec_b64 s[10:11], s[0:1]
; %bb.303:                              ;   in Loop: Header=BB336_147 Depth=1
	v_or_b32_e32 v48, 0x10000, v51
	v_cmp_eq_u32_sdwa s[0:1], v51, v13 src0_sel:WORD_0 src1_sel:DWORD
	s_nop 1
	v_cndmask_b32_e64 v48, v48, v51, s[0:1]
; %bb.304:                              ;   in Loop: Header=BB336_147 Depth=1
	s_or_b64 exec, exec, s[10:11]
	v_lshlrev_b32_e32 v49, 16, v49
	v_mul_f32_e32 v51, v43, v49
	v_and_b32_e32 v49, 0x7f800000, v51
	v_cmp_ne_u32_e64 s[0:1], s18, v49
                                        ; implicit-def: $vgpr49
	s_and_saveexec_b64 s[10:11], s[0:1]
	s_xor_b64 s[0:1], exec, s[10:11]
; %bb.305:                              ;   in Loop: Header=BB336_147 Depth=1
	v_bfe_u32 v49, v51, 16, 1
	v_add3_u32 v49, v51, v49, s19
                                        ; implicit-def: $vgpr51
; %bb.306:                              ;   in Loop: Header=BB336_147 Depth=1
	s_andn2_saveexec_b64 s[10:11], s[0:1]
; %bb.307:                              ;   in Loop: Header=BB336_147 Depth=1
	v_or_b32_e32 v49, 0x10000, v51
	v_cmp_eq_u32_sdwa s[0:1], v51, v13 src0_sel:WORD_0 src1_sel:DWORD
	s_nop 1
	v_cndmask_b32_e64 v49, v49, v51, s[0:1]
; %bb.308:                              ;   in Loop: Header=BB336_147 Depth=1
	s_or_b64 exec, exec, s[10:11]
	v_lshlrev_b32_e32 v50, 16, v50
	v_mul_f32_e32 v51, v44, v50
	v_and_b32_e32 v50, 0x7f800000, v51
	v_cmp_ne_u32_e64 s[0:1], s18, v50
                                        ; implicit-def: $vgpr50
	s_and_saveexec_b64 s[10:11], s[0:1]
	s_xor_b64 s[0:1], exec, s[10:11]
; %bb.309:                              ;   in Loop: Header=BB336_147 Depth=1
	v_bfe_u32 v50, v51, 16, 1
	v_add3_u32 v50, v51, v50, s19
                                        ; implicit-def: $vgpr51
; %bb.310:                              ;   in Loop: Header=BB336_147 Depth=1
	s_andn2_saveexec_b64 s[10:11], s[0:1]
; %bb.311:                              ;   in Loop: Header=BB336_147 Depth=1
	v_or_b32_e32 v50, 0x10000, v51
	v_cmp_eq_u32_sdwa s[0:1], v51, v13 src0_sel:WORD_0 src1_sel:DWORD
	s_nop 1
	v_cndmask_b32_e64 v50, v50, v51, s[0:1]
; %bb.312:                              ;   in Loop: Header=BB336_147 Depth=1
	s_or_b64 exec, exec, s[10:11]
	global_load_dwordx2 v[2:3], v[2:3], off offset:1024
	s_waitcnt vmcnt(0)
	v_and_b32_e32 v51, 0xff, v2
	v_cvt_f32_fp8_sdwa v51, v51 src0_sel:BYTE_0
	s_nop 0
	v_mul_f32_e32 v52, s21, v51
	v_and_b32_e32 v51, 0x7f800000, v52
	v_cmp_ne_u32_e64 s[0:1], s18, v51
                                        ; implicit-def: $vgpr51
	s_and_saveexec_b64 s[10:11], s[0:1]
	s_xor_b64 s[0:1], exec, s[10:11]
; %bb.313:                              ;   in Loop: Header=BB336_147 Depth=1
	v_bfe_u32 v51, v52, 16, 1
	v_add3_u32 v51, v52, v51, s19
                                        ; implicit-def: $vgpr52
; %bb.314:                              ;   in Loop: Header=BB336_147 Depth=1
	s_andn2_saveexec_b64 s[10:11], s[0:1]
; %bb.315:                              ;   in Loop: Header=BB336_147 Depth=1
	v_or_b32_e32 v51, 0x10000, v52
	v_cmp_eq_u32_sdwa s[0:1], v52, v13 src0_sel:WORD_0 src1_sel:DWORD
	s_nop 1
	v_cndmask_b32_e64 v51, v51, v52, s[0:1]
; %bb.316:                              ;   in Loop: Header=BB336_147 Depth=1
	s_or_b64 exec, exec, s[10:11]
	v_bfe_u32 v52, v2, 8, 8
	v_cvt_f32_fp8_sdwa v52, v52 src0_sel:BYTE_0
	s_nop 0
	v_mul_f32_e32 v53, s21, v52
	v_and_b32_e32 v52, 0x7f800000, v53
	v_cmp_ne_u32_e64 s[0:1], s18, v52
                                        ; implicit-def: $vgpr52
	s_and_saveexec_b64 s[10:11], s[0:1]
	s_xor_b64 s[0:1], exec, s[10:11]
; %bb.317:                              ;   in Loop: Header=BB336_147 Depth=1
	v_bfe_u32 v52, v53, 16, 1
	v_add3_u32 v52, v53, v52, s19
                                        ; implicit-def: $vgpr53
; %bb.318:                              ;   in Loop: Header=BB336_147 Depth=1
	s_andn2_saveexec_b64 s[10:11], s[0:1]
; %bb.319:                              ;   in Loop: Header=BB336_147 Depth=1
	v_or_b32_e32 v52, 0x10000, v53
	v_cmp_eq_u32_sdwa s[0:1], v53, v13 src0_sel:WORD_0 src1_sel:DWORD
	s_nop 1
	v_cndmask_b32_e64 v52, v52, v53, s[0:1]
; %bb.320:                              ;   in Loop: Header=BB336_147 Depth=1
	s_or_b64 exec, exec, s[10:11]
	v_bfe_u32 v53, v2, 16, 8
	v_cvt_f32_fp8_sdwa v53, v53 src0_sel:BYTE_0
	s_nop 0
	v_mul_f32_e32 v53, s21, v53
	v_and_b32_e32 v54, 0x7f800000, v53
	v_cmp_ne_u32_e64 s[0:1], s18, v54
                                        ; implicit-def: $vgpr54
	s_and_saveexec_b64 s[10:11], s[0:1]
	s_xor_b64 s[0:1], exec, s[10:11]
; %bb.321:                              ;   in Loop: Header=BB336_147 Depth=1
	v_bfe_u32 v54, v53, 16, 1
	v_add3_u32 v54, v53, v54, s19
                                        ; implicit-def: $vgpr53
; %bb.322:                              ;   in Loop: Header=BB336_147 Depth=1
	s_andn2_saveexec_b64 s[10:11], s[0:1]
; %bb.323:                              ;   in Loop: Header=BB336_147 Depth=1
	v_or_b32_e32 v54, 0x10000, v53
	v_cmp_eq_u32_sdwa s[0:1], v53, v13 src0_sel:WORD_0 src1_sel:DWORD
	s_nop 1
	v_cndmask_b32_e64 v54, v54, v53, s[0:1]
; %bb.324:                              ;   in Loop: Header=BB336_147 Depth=1
	s_or_b64 exec, exec, s[10:11]
	v_lshrrev_b32_e32 v2, 24, v2
	v_cvt_f32_fp8_sdwa v2, v2 src0_sel:BYTE_0
	s_nop 0
	v_mul_f32_e32 v53, s21, v2
	v_and_b32_e32 v2, 0x7f800000, v53
	v_cmp_ne_u32_e64 s[0:1], s18, v2
                                        ; implicit-def: $vgpr2
	s_and_saveexec_b64 s[10:11], s[0:1]
	s_xor_b64 s[0:1], exec, s[10:11]
; %bb.325:                              ;   in Loop: Header=BB336_147 Depth=1
	v_bfe_u32 v2, v53, 16, 1
	v_add3_u32 v2, v53, v2, s19
                                        ; implicit-def: $vgpr53
; %bb.326:                              ;   in Loop: Header=BB336_147 Depth=1
	s_andn2_saveexec_b64 s[10:11], s[0:1]
; %bb.327:                              ;   in Loop: Header=BB336_147 Depth=1
	v_or_b32_e32 v2, 0x10000, v53
	v_cmp_eq_u32_sdwa s[0:1], v53, v13 src0_sel:WORD_0 src1_sel:DWORD
	s_nop 1
	v_cndmask_b32_e64 v2, v2, v53, s[0:1]
; %bb.328:                              ;   in Loop: Header=BB336_147 Depth=1
	s_or_b64 exec, exec, s[10:11]
	v_and_b32_e32 v53, 0xff, v3
	v_cvt_f32_fp8_sdwa v53, v53 src0_sel:BYTE_0
	s_nop 0
	v_mul_f32_e32 v53, s21, v53
	v_and_b32_e32 v55, 0x7f800000, v53
	v_cmp_ne_u32_e64 s[0:1], s18, v55
                                        ; implicit-def: $vgpr55
	s_and_saveexec_b64 s[10:11], s[0:1]
	s_xor_b64 s[0:1], exec, s[10:11]
; %bb.329:                              ;   in Loop: Header=BB336_147 Depth=1
	v_bfe_u32 v55, v53, 16, 1
	v_add3_u32 v55, v53, v55, s19
                                        ; implicit-def: $vgpr53
; %bb.330:                              ;   in Loop: Header=BB336_147 Depth=1
	s_andn2_saveexec_b64 s[10:11], s[0:1]
; %bb.331:                              ;   in Loop: Header=BB336_147 Depth=1
	v_or_b32_e32 v55, 0x10000, v53
	v_cmp_eq_u32_sdwa s[0:1], v53, v13 src0_sel:WORD_0 src1_sel:DWORD
	s_nop 1
	v_cndmask_b32_e64 v55, v55, v53, s[0:1]
; %bb.332:                              ;   in Loop: Header=BB336_147 Depth=1
	s_or_b64 exec, exec, s[10:11]
	v_bfe_u32 v53, v3, 8, 8
	v_cvt_f32_fp8_sdwa v53, v53 src0_sel:BYTE_0
	s_nop 0
	v_mul_f32_e32 v56, s21, v53
	v_and_b32_e32 v53, 0x7f800000, v56
	v_cmp_ne_u32_e64 s[0:1], s18, v53
                                        ; implicit-def: $vgpr53
	s_and_saveexec_b64 s[10:11], s[0:1]
	s_xor_b64 s[0:1], exec, s[10:11]
; %bb.333:                              ;   in Loop: Header=BB336_147 Depth=1
	v_bfe_u32 v53, v56, 16, 1
	v_add3_u32 v53, v56, v53, s19
                                        ; implicit-def: $vgpr56
; %bb.334:                              ;   in Loop: Header=BB336_147 Depth=1
	s_andn2_saveexec_b64 s[10:11], s[0:1]
; %bb.335:                              ;   in Loop: Header=BB336_147 Depth=1
	v_or_b32_e32 v53, 0x10000, v56
	v_cmp_eq_u32_sdwa s[0:1], v56, v13 src0_sel:WORD_0 src1_sel:DWORD
	s_nop 1
	v_cndmask_b32_e64 v53, v53, v56, s[0:1]
; %bb.336:                              ;   in Loop: Header=BB336_147 Depth=1
	s_or_b64 exec, exec, s[10:11]
	v_bfe_u32 v56, v3, 16, 8
	v_cvt_f32_fp8_sdwa v56, v56 src0_sel:BYTE_0
	s_nop 0
	v_mul_f32_e32 v56, s21, v56
	v_and_b32_e32 v57, 0x7f800000, v56
	v_cmp_ne_u32_e64 s[0:1], s18, v57
                                        ; implicit-def: $vgpr57
	s_and_saveexec_b64 s[10:11], s[0:1]
	s_xor_b64 s[0:1], exec, s[10:11]
; %bb.337:                              ;   in Loop: Header=BB336_147 Depth=1
	v_bfe_u32 v57, v56, 16, 1
	v_add3_u32 v57, v56, v57, s19
                                        ; implicit-def: $vgpr56
; %bb.338:                              ;   in Loop: Header=BB336_147 Depth=1
	s_andn2_saveexec_b64 s[10:11], s[0:1]
; %bb.339:                              ;   in Loop: Header=BB336_147 Depth=1
	v_or_b32_e32 v57, 0x10000, v56
	v_cmp_eq_u32_sdwa s[0:1], v56, v13 src0_sel:WORD_0 src1_sel:DWORD
	s_nop 1
	v_cndmask_b32_e64 v57, v57, v56, s[0:1]
; %bb.340:                              ;   in Loop: Header=BB336_147 Depth=1
	s_or_b64 exec, exec, s[10:11]
	v_lshrrev_b32_e32 v3, 24, v3
	v_cvt_f32_fp8_sdwa v3, v3 src0_sel:BYTE_0
	s_nop 0
	v_mul_f32_e32 v56, s21, v3
	v_and_b32_e32 v3, 0x7f800000, v56
	v_cmp_ne_u32_e64 s[0:1], s18, v3
                                        ; implicit-def: $vgpr3
	s_and_saveexec_b64 s[10:11], s[0:1]
	s_xor_b64 s[0:1], exec, s[10:11]
; %bb.341:                              ;   in Loop: Header=BB336_147 Depth=1
	v_bfe_u32 v3, v56, 16, 1
	v_add3_u32 v3, v56, v3, s19
                                        ; implicit-def: $vgpr56
; %bb.342:                              ;   in Loop: Header=BB336_147 Depth=1
	s_andn2_saveexec_b64 s[10:11], s[0:1]
; %bb.343:                              ;   in Loop: Header=BB336_147 Depth=1
	v_or_b32_e32 v3, 0x10000, v56
	v_cmp_eq_u32_sdwa s[0:1], v56, v13 src0_sel:WORD_0 src1_sel:DWORD
	s_nop 1
	v_cndmask_b32_e64 v3, v3, v56, s[0:1]
; %bb.344:                              ;   in Loop: Header=BB336_147 Depth=1
	s_or_b64 exec, exec, s[10:11]
	v_lshrrev_b32_e32 v53, 16, v53
	v_lshrrev_b32_e32 v55, 16, v55
	v_lshrrev_b32_e32 v56, 16, v2
	v_lshrrev_b32_e32 v54, 16, v54
	v_lshrrev_b32_e32 v52, 16, v52
	v_lshrrev_b32_e32 v2, 16, v51
	v_lshrrev_b32_e32 v51, 16, v57
	v_lshrrev_b32_e32 v3, 16, v3
	s_and_saveexec_b64 s[0:1], vcc
	s_cbranch_execz .LBB336_346
; %bb.345:                              ;   in Loop: Header=BB336_147 Depth=1
	v_cmp_gt_i32_e32 vcc, s33, v28
	s_nop 1
	v_cndmask_b32_e32 v2, 0, v2, vcc
	v_cmp_gt_i32_e32 vcc, s33, v35
	s_nop 1
	v_cndmask_b32_e32 v52, 0, v52, vcc
	;; [unrolled: 3-line block ×8, first 2 shown]
.LBB336_346:                            ;   in Loop: Header=BB336_147 Depth=1
	s_or_b64 exec, exec, s[0:1]
	v_lshlrev_b32_e32 v2, 16, v2
	v_mul_f32_e32 v28, v37, v2
	v_and_b32_e32 v2, 0x7f800000, v28
	v_cmp_ne_u32_e32 vcc, s18, v2
                                        ; implicit-def: $vgpr2
	s_and_saveexec_b64 s[0:1], vcc
	s_xor_b64 s[0:1], exec, s[0:1]
; %bb.347:                              ;   in Loop: Header=BB336_147 Depth=1
	v_bfe_u32 v2, v28, 16, 1
	v_add3_u32 v2, v28, v2, s19
                                        ; implicit-def: $vgpr28
; %bb.348:                              ;   in Loop: Header=BB336_147 Depth=1
	s_andn2_saveexec_b64 s[0:1], s[0:1]
; %bb.349:                              ;   in Loop: Header=BB336_147 Depth=1
	v_or_b32_e32 v2, 0x10000, v28
	v_cmp_eq_u32_sdwa vcc, v28, v13 src0_sel:WORD_0 src1_sel:DWORD
	s_nop 1
	v_cndmask_b32_e32 v2, v2, v28, vcc
; %bb.350:                              ;   in Loop: Header=BB336_147 Depth=1
	s_or_b64 exec, exec, s[0:1]
	v_lshlrev_b32_e32 v28, 16, v52
	v_mul_f32_e32 v29, v38, v28
	v_and_b32_e32 v28, 0x7f800000, v29
	v_cmp_ne_u32_e32 vcc, s18, v28
                                        ; implicit-def: $vgpr28
	s_and_saveexec_b64 s[0:1], vcc
	s_xor_b64 s[0:1], exec, s[0:1]
; %bb.351:                              ;   in Loop: Header=BB336_147 Depth=1
	v_bfe_u32 v28, v29, 16, 1
	v_add3_u32 v28, v29, v28, s19
                                        ; implicit-def: $vgpr29
; %bb.352:                              ;   in Loop: Header=BB336_147 Depth=1
	s_andn2_saveexec_b64 s[0:1], s[0:1]
; %bb.353:                              ;   in Loop: Header=BB336_147 Depth=1
	v_or_b32_e32 v28, 0x10000, v29
	v_cmp_eq_u32_sdwa vcc, v29, v13 src0_sel:WORD_0 src1_sel:DWORD
	s_nop 1
	v_cndmask_b32_e32 v28, v28, v29, vcc
; %bb.354:                              ;   in Loop: Header=BB336_147 Depth=1
	s_or_b64 exec, exec, s[0:1]
	v_lshlrev_b32_e32 v29, 16, v54
	v_mul_f32_e32 v30, v39, v29
	v_and_b32_e32 v29, 0x7f800000, v30
	v_cmp_ne_u32_e32 vcc, s18, v29
                                        ; implicit-def: $vgpr29
	s_and_saveexec_b64 s[0:1], vcc
	s_xor_b64 s[0:1], exec, s[0:1]
; %bb.355:                              ;   in Loop: Header=BB336_147 Depth=1
	v_bfe_u32 v29, v30, 16, 1
	v_add3_u32 v29, v30, v29, s19
                                        ; implicit-def: $vgpr30
; %bb.356:                              ;   in Loop: Header=BB336_147 Depth=1
	s_andn2_saveexec_b64 s[0:1], s[0:1]
; %bb.357:                              ;   in Loop: Header=BB336_147 Depth=1
	v_or_b32_e32 v29, 0x10000, v30
	v_cmp_eq_u32_sdwa vcc, v30, v13 src0_sel:WORD_0 src1_sel:DWORD
	s_nop 1
	v_cndmask_b32_e32 v29, v29, v30, vcc
; %bb.358:                              ;   in Loop: Header=BB336_147 Depth=1
	s_or_b64 exec, exec, s[0:1]
	v_lshlrev_b32_e32 v30, 16, v56
	v_mul_f32_e32 v31, v40, v30
	v_and_b32_e32 v30, 0x7f800000, v31
	v_cmp_ne_u32_e32 vcc, s18, v30
                                        ; implicit-def: $vgpr30
	s_and_saveexec_b64 s[0:1], vcc
	s_xor_b64 s[0:1], exec, s[0:1]
; %bb.359:                              ;   in Loop: Header=BB336_147 Depth=1
	v_bfe_u32 v30, v31, 16, 1
	v_add3_u32 v30, v31, v30, s19
                                        ; implicit-def: $vgpr31
; %bb.360:                              ;   in Loop: Header=BB336_147 Depth=1
	s_andn2_saveexec_b64 s[0:1], s[0:1]
; %bb.361:                              ;   in Loop: Header=BB336_147 Depth=1
	v_or_b32_e32 v30, 0x10000, v31
	v_cmp_eq_u32_sdwa vcc, v31, v13 src0_sel:WORD_0 src1_sel:DWORD
	s_nop 1
	v_cndmask_b32_e32 v30, v30, v31, vcc
; %bb.362:                              ;   in Loop: Header=BB336_147 Depth=1
	s_or_b64 exec, exec, s[0:1]
	v_lshlrev_b32_e32 v31, 16, v55
	v_mul_f32_e32 v32, v41, v31
	v_and_b32_e32 v31, 0x7f800000, v32
	v_cmp_ne_u32_e32 vcc, s18, v31
                                        ; implicit-def: $vgpr31
	s_and_saveexec_b64 s[0:1], vcc
	s_xor_b64 s[0:1], exec, s[0:1]
; %bb.363:                              ;   in Loop: Header=BB336_147 Depth=1
	v_bfe_u32 v31, v32, 16, 1
	v_add3_u32 v31, v32, v31, s19
                                        ; implicit-def: $vgpr32
; %bb.364:                              ;   in Loop: Header=BB336_147 Depth=1
	s_andn2_saveexec_b64 s[0:1], s[0:1]
; %bb.365:                              ;   in Loop: Header=BB336_147 Depth=1
	v_or_b32_e32 v31, 0x10000, v32
	v_cmp_eq_u32_sdwa vcc, v32, v13 src0_sel:WORD_0 src1_sel:DWORD
	s_nop 1
	v_cndmask_b32_e32 v31, v31, v32, vcc
; %bb.366:                              ;   in Loop: Header=BB336_147 Depth=1
	s_or_b64 exec, exec, s[0:1]
	v_lshlrev_b32_e32 v32, 16, v53
	v_mul_f32_e32 v33, v42, v32
	v_and_b32_e32 v32, 0x7f800000, v33
	v_cmp_ne_u32_e32 vcc, s18, v32
                                        ; implicit-def: $vgpr32
	s_and_saveexec_b64 s[0:1], vcc
	s_xor_b64 s[0:1], exec, s[0:1]
; %bb.367:                              ;   in Loop: Header=BB336_147 Depth=1
	v_bfe_u32 v32, v33, 16, 1
	v_add3_u32 v32, v33, v32, s19
                                        ; implicit-def: $vgpr33
; %bb.368:                              ;   in Loop: Header=BB336_147 Depth=1
	s_andn2_saveexec_b64 s[0:1], s[0:1]
; %bb.369:                              ;   in Loop: Header=BB336_147 Depth=1
	v_or_b32_e32 v32, 0x10000, v33
	v_cmp_eq_u32_sdwa vcc, v33, v13 src0_sel:WORD_0 src1_sel:DWORD
	s_nop 1
	v_cndmask_b32_e32 v32, v32, v33, vcc
; %bb.370:                              ;   in Loop: Header=BB336_147 Depth=1
	s_or_b64 exec, exec, s[0:1]
	v_lshlrev_b32_e32 v33, 16, v51
	v_mul_f32_e32 v34, v43, v33
	v_and_b32_e32 v33, 0x7f800000, v34
	v_cmp_ne_u32_e32 vcc, s18, v33
                                        ; implicit-def: $vgpr33
	s_and_saveexec_b64 s[0:1], vcc
	s_xor_b64 s[0:1], exec, s[0:1]
; %bb.371:                              ;   in Loop: Header=BB336_147 Depth=1
	v_bfe_u32 v33, v34, 16, 1
	v_add3_u32 v33, v34, v33, s19
                                        ; implicit-def: $vgpr34
; %bb.372:                              ;   in Loop: Header=BB336_147 Depth=1
	s_andn2_saveexec_b64 s[0:1], s[0:1]
; %bb.373:                              ;   in Loop: Header=BB336_147 Depth=1
	v_or_b32_e32 v33, 0x10000, v34
	v_cmp_eq_u32_sdwa vcc, v34, v13 src0_sel:WORD_0 src1_sel:DWORD
	s_nop 1
	v_cndmask_b32_e32 v33, v33, v34, vcc
; %bb.374:                              ;   in Loop: Header=BB336_147 Depth=1
	s_or_b64 exec, exec, s[0:1]
	v_lshlrev_b32_e32 v3, 16, v3
	v_mul_f32_e32 v34, v44, v3
	v_and_b32_e32 v3, 0x7f800000, v34
	v_cmp_ne_u32_e32 vcc, s18, v3
                                        ; implicit-def: $vgpr3
	s_and_saveexec_b64 s[0:1], vcc
	s_xor_b64 s[0:1], exec, s[0:1]
; %bb.375:                              ;   in Loop: Header=BB336_147 Depth=1
	v_bfe_u32 v3, v34, 16, 1
	v_add3_u32 v3, v34, v3, s19
                                        ; implicit-def: $vgpr34
; %bb.376:                              ;   in Loop: Header=BB336_147 Depth=1
	s_andn2_saveexec_b64 s[0:1], s[0:1]
	s_cbranch_execz .LBB336_145
; %bb.377:                              ;   in Loop: Header=BB336_147 Depth=1
	v_or_b32_e32 v3, 0x10000, v34
	v_cmp_eq_u32_sdwa vcc, v34, v13 src0_sel:WORD_0 src1_sel:DWORD
	s_nop 1
	v_cndmask_b32_e32 v3, v3, v34, vcc
	s_branch .LBB336_145
.LBB336_378:
	s_or_b64 exec, exec, s[8:9]
.LBB336_379:
	s_or_b64 exec, exec, s[6:7]
	ds_bpermute_b32 v2, v21, v10
	ds_bpermute_b32 v3, v21, v11
	;; [unrolled: 1-line block ×3, first 2 shown]
	s_waitcnt lgkmcnt(0)
	s_barrier
	v_pk_add_f32 v[4:5], v[10:11], v[2:3]
	v_add_f32_e32 v2, v12, v1
	v_and_b32_e32 v1, 0x3c1, v0
	v_cmp_eq_u32_e32 vcc, 64, v1
	s_and_saveexec_b64 s[0:1], vcc
	s_cbranch_execz .LBB336_381
; %bb.380:
	v_mov_b32_e32 v1, 0xd0
	v_lshl_add_u32 v1, v20, 1, v1
	ds_write2_b32 v1, v4, v5 offset1:32
	ds_write_b32 v1, v2 offset:256
.LBB336_381:
	s_or_b64 exec, exec, s[0:1]
	v_cmp_gt_u32_e32 vcc, 64, v0
	v_cmp_lt_u32_e64 s[0:1], 63, v0
	s_waitcnt lgkmcnt(0)
	s_barrier
	s_and_saveexec_b64 s[2:3], s[0:1]
	s_xor_b64 s[0:1], exec, s[2:3]
	s_andn2_saveexec_b64 s[2:3], s[0:1]
	s_cbranch_execz .LBB336_387
; %bb.382:
	v_cmp_eq_u32_e64 s[0:1], 0, v22
	v_lshrrev_b32_e32 v1, 1, v0
	s_and_saveexec_b64 s[6:7], s[0:1]
	s_cbranch_execnz .LBB336_403
; %bb.383:
	s_or_b64 exec, exec, s[6:7]
	s_and_saveexec_b64 s[6:7], s[0:1]
	s_cbranch_execnz .LBB336_404
.LBB336_384:
	s_or_b64 exec, exec, s[6:7]
	s_and_saveexec_b64 s[6:7], s[0:1]
	s_cbranch_execz .LBB336_386
.LBB336_385:
	v_mov_b32_e32 v3, 0xd0
	v_lshl_add_u32 v1, v1, 2, v3
	ds_read_b32 v1, v1 offset:256
	s_waitcnt lgkmcnt(0)
	v_add_f32_e32 v2, v2, v1
.LBB336_386:
	s_or_b64 exec, exec, s[6:7]
.LBB336_387:
	s_or_b64 exec, exec, s[2:3]
	s_barrier
	s_and_saveexec_b64 s[0:1], vcc
	s_cbranch_execz .LBB336_402
; %bb.388:
	v_cmp_eq_u32_e32 vcc, 0, v22
	s_and_b64 exec, exec, vcc
	s_cbranch_execz .LBB336_402
; %bb.389:
	s_mov_b32 s0, 0x7f800000
	v_and_b32_e32 v1, 0x7f800000, v4
	v_cmp_ne_u32_e32 vcc, s0, v1
                                        ; implicit-def: $vgpr3
	s_and_saveexec_b64 s[0:1], vcc
	s_xor_b64 s[0:1], exec, s[0:1]
; %bb.390:
	v_bfe_u32 v1, v4, 16, 1
	s_movk_i32 s2, 0x7fff
	v_add3_u32 v3, v4, v1, s2
; %bb.391:
	s_andn2_saveexec_b64 s[0:1], s[0:1]
; %bb.392:
	v_mov_b32_e32 v1, 0
	v_or_b32_e32 v3, 0x10000, v4
	v_cmp_eq_u32_sdwa vcc, v4, v1 src0_sel:WORD_0 src1_sel:DWORD
	s_nop 1
	v_cndmask_b32_e32 v3, v3, v4, vcc
; %bb.393:
	s_or_b64 exec, exec, s[0:1]
	s_mul_i32 s0, s16, s28
	s_mul_i32 s0, s0, s29
	s_mulk_i32 s0, 0x60
	s_ashr_i32 s1, s0, 31
	s_lshl_b64 s[0:1], s[0:1], 1
	s_add_u32 s2, s34, s0
	s_mul_i32 s0, s16, s30
	s_addc_u32 s3, s35, s1
	s_ashr_i32 s1, s0, 31
	s_lshl_b64 s[0:1], s[0:1], 1
	s_add_u32 s2, s2, s0
	s_mul_i32 s0, s4, 0x60
	s_addc_u32 s3, s3, s1
	s_ashr_i32 s1, s0, 31
	s_lshl_b64 s[0:1], s[0:1], 1
	s_add_u32 s0, s2, s0
	s_addc_u32 s1, s3, s1
	v_and_b32_e32 v0, 0x3fe, v0
	global_store_short_d16_hi v0, v3, s[0:1]
	s_mov_b32 s2, 0x7f800000
	v_and_b32_e32 v3, 0x7f800000, v5
	v_mov_b32_e32 v1, 0
	v_cmp_ne_u32_e32 vcc, s2, v3
                                        ; implicit-def: $vgpr3
	s_and_saveexec_b64 s[2:3], vcc
	s_xor_b64 s[2:3], exec, s[2:3]
; %bb.394:
	v_bfe_u32 v3, v5, 16, 1
	s_movk_i32 s4, 0x7fff
	v_add3_u32 v3, v5, v3, s4
                                        ; implicit-def: $vgpr4_vgpr5_vgpr6
; %bb.395:
	s_or_saveexec_b64 s[2:3], s[2:3]
	v_lshl_add_u64 v[0:1], s[0:1], 0, v[0:1]
	s_xor_b64 exec, exec, s[2:3]
; %bb.396:
	v_mov_b32_e32 v3, 0
	v_or_b32_e32 v4, 0x10000, v5
	v_cmp_eq_u32_sdwa vcc, v5, v3 src0_sel:WORD_0 src1_sel:DWORD
	s_nop 1
	v_cndmask_b32_e32 v3, v4, v5, vcc
; %bb.397:
	s_or_b64 exec, exec, s[2:3]
	global_store_short_d16_hi v[0:1], v3, off offset:64
	s_mov_b32 s0, 0x7f800000
	v_and_b32_e32 v3, 0x7f800000, v2
	v_cmp_ne_u32_e32 vcc, s0, v3
                                        ; implicit-def: $vgpr3
	s_and_saveexec_b64 s[0:1], vcc
	s_xor_b64 s[0:1], exec, s[0:1]
; %bb.398:
	v_bfe_u32 v3, v2, 16, 1
	s_movk_i32 s2, 0x7fff
	v_add3_u32 v3, v2, v3, s2
                                        ; implicit-def: $vgpr2
; %bb.399:
	s_andn2_saveexec_b64 s[0:1], s[0:1]
; %bb.400:
	v_mov_b32_e32 v3, 0
	v_or_b32_e32 v4, 0x10000, v2
	v_cmp_eq_u32_sdwa vcc, v2, v3 src0_sel:WORD_0 src1_sel:DWORD
	s_nop 1
	v_cndmask_b32_e32 v3, v4, v2, vcc
; %bb.401:
	s_or_b64 exec, exec, s[0:1]
	global_store_short_d16_hi v[0:1], v3, off offset:128
.LBB336_402:
	s_endpgm
.LBB336_403:
	v_mov_b32_e32 v3, 0xd0
	v_lshl_add_u32 v3, v1, 2, v3
	ds_read_b32 v3, v3
	s_waitcnt lgkmcnt(0)
	v_add_f32_e32 v4, v4, v3
	s_or_b64 exec, exec, s[6:7]
	s_and_saveexec_b64 s[6:7], s[0:1]
	s_cbranch_execz .LBB336_384
.LBB336_404:
	v_mov_b32_e32 v3, 0xd0
	v_lshl_add_u32 v3, v1, 2, v3
	ds_read_b32 v3, v3 offset:128
	s_waitcnt lgkmcnt(0)
	v_add_f32_e32 v5, v5, v3
	s_or_b64 exec, exec, s[6:7]
	s_and_saveexec_b64 s[6:7], s[0:1]
	s_cbranch_execnz .LBB336_385
	s_branch .LBB336_386
	.section	.rodata,"a",@progbits
	.p2align	6, 0x0
	.amdhsa_kernel _ZN4vllm25paged_attention_v2_kernelI14__hip_bfloat16hLi96ELi16ELi128ELNS_18Fp8KVCacheDataTypeE1ELb1ELi512EEEvPfS3_PT_PKS4_PKT0_SA_ifPKiSC_iPKfiiiSE_SE_iiiii
		.amdhsa_group_segment_fixed_size 208
		.amdhsa_private_segment_fixed_size 0
		.amdhsa_kernarg_size 400
		.amdhsa_user_sgpr_count 2
		.amdhsa_user_sgpr_dispatch_ptr 0
		.amdhsa_user_sgpr_queue_ptr 0
		.amdhsa_user_sgpr_kernarg_segment_ptr 1
		.amdhsa_user_sgpr_dispatch_id 0
		.amdhsa_user_sgpr_kernarg_preload_length 0
		.amdhsa_user_sgpr_kernarg_preload_offset 0
		.amdhsa_user_sgpr_private_segment_size 0
		.amdhsa_uses_dynamic_stack 0
		.amdhsa_enable_private_segment 0
		.amdhsa_system_sgpr_workgroup_id_x 1
		.amdhsa_system_sgpr_workgroup_id_y 1
		.amdhsa_system_sgpr_workgroup_id_z 1
		.amdhsa_system_sgpr_workgroup_info 0
		.amdhsa_system_vgpr_workitem_id 0
		.amdhsa_next_free_vgpr 71
		.amdhsa_next_free_sgpr 60
		.amdhsa_accum_offset 72
		.amdhsa_reserve_vcc 1
		.amdhsa_float_round_mode_32 0
		.amdhsa_float_round_mode_16_64 0
		.amdhsa_float_denorm_mode_32 3
		.amdhsa_float_denorm_mode_16_64 3
		.amdhsa_dx10_clamp 1
		.amdhsa_ieee_mode 1
		.amdhsa_fp16_overflow 0
		.amdhsa_tg_split 0
		.amdhsa_exception_fp_ieee_invalid_op 0
		.amdhsa_exception_fp_denorm_src 0
		.amdhsa_exception_fp_ieee_div_zero 0
		.amdhsa_exception_fp_ieee_overflow 0
		.amdhsa_exception_fp_ieee_underflow 0
		.amdhsa_exception_fp_ieee_inexact 0
		.amdhsa_exception_int_div_zero 0
	.end_amdhsa_kernel
	.section	.text._ZN4vllm25paged_attention_v2_kernelI14__hip_bfloat16hLi96ELi16ELi128ELNS_18Fp8KVCacheDataTypeE1ELb1ELi512EEEvPfS3_PT_PKS4_PKT0_SA_ifPKiSC_iPKfiiiSE_SE_iiiii,"axG",@progbits,_ZN4vllm25paged_attention_v2_kernelI14__hip_bfloat16hLi96ELi16ELi128ELNS_18Fp8KVCacheDataTypeE1ELb1ELi512EEEvPfS3_PT_PKS4_PKT0_SA_ifPKiSC_iPKfiiiSE_SE_iiiii,comdat
.Lfunc_end336:
	.size	_ZN4vllm25paged_attention_v2_kernelI14__hip_bfloat16hLi96ELi16ELi128ELNS_18Fp8KVCacheDataTypeE1ELb1ELi512EEEvPfS3_PT_PKS4_PKT0_SA_ifPKiSC_iPKfiiiSE_SE_iiiii, .Lfunc_end336-_ZN4vllm25paged_attention_v2_kernelI14__hip_bfloat16hLi96ELi16ELi128ELNS_18Fp8KVCacheDataTypeE1ELb1ELi512EEEvPfS3_PT_PKS4_PKT0_SA_ifPKiSC_iPKfiiiSE_SE_iiiii
                                        ; -- End function
	.section	.AMDGPU.csdata,"",@progbits
; Kernel info:
; codeLenInByte = 13024
; NumSgprs: 66
; NumVgprs: 71
; NumAgprs: 0
; TotalNumVgprs: 71
; ScratchSize: 0
; MemoryBound: 0
; FloatMode: 240
; IeeeMode: 1
; LDSByteSize: 208 bytes/workgroup (compile time only)
; SGPRBlocks: 8
; VGPRBlocks: 8
; NumSGPRsForWavesPerEU: 66
; NumVGPRsForWavesPerEU: 71
; AccumOffset: 72
; Occupancy: 7
; WaveLimiterHint : 1
; COMPUTE_PGM_RSRC2:SCRATCH_EN: 0
; COMPUTE_PGM_RSRC2:USER_SGPR: 2
; COMPUTE_PGM_RSRC2:TRAP_HANDLER: 0
; COMPUTE_PGM_RSRC2:TGID_X_EN: 1
; COMPUTE_PGM_RSRC2:TGID_Y_EN: 1
; COMPUTE_PGM_RSRC2:TGID_Z_EN: 1
; COMPUTE_PGM_RSRC2:TIDIG_COMP_CNT: 0
; COMPUTE_PGM_RSRC3_GFX90A:ACCUM_OFFSET: 17
; COMPUTE_PGM_RSRC3_GFX90A:TG_SPLIT: 0
	.section	.text._ZN4vllm25paged_attention_v2_kernelI14__hip_bfloat16hLi112ELi16ELi128ELNS_18Fp8KVCacheDataTypeE1ELb1ELi512EEEvPfS3_PT_PKS4_PKT0_SA_ifPKiSC_iPKfiiiSE_SE_iiiii,"axG",@progbits,_ZN4vllm25paged_attention_v2_kernelI14__hip_bfloat16hLi112ELi16ELi128ELNS_18Fp8KVCacheDataTypeE1ELb1ELi512EEEvPfS3_PT_PKS4_PKT0_SA_ifPKiSC_iPKfiiiSE_SE_iiiii,comdat
	.protected	_ZN4vllm25paged_attention_v2_kernelI14__hip_bfloat16hLi112ELi16ELi128ELNS_18Fp8KVCacheDataTypeE1ELb1ELi512EEEvPfS3_PT_PKS4_PKT0_SA_ifPKiSC_iPKfiiiSE_SE_iiiii ; -- Begin function _ZN4vllm25paged_attention_v2_kernelI14__hip_bfloat16hLi112ELi16ELi128ELNS_18Fp8KVCacheDataTypeE1ELb1ELi512EEEvPfS3_PT_PKS4_PKT0_SA_ifPKiSC_iPKfiiiSE_SE_iiiii
	.globl	_ZN4vllm25paged_attention_v2_kernelI14__hip_bfloat16hLi112ELi16ELi128ELNS_18Fp8KVCacheDataTypeE1ELb1ELi512EEEvPfS3_PT_PKS4_PKT0_SA_ifPKiSC_iPKfiiiSE_SE_iiiii
	.p2align	8
	.type	_ZN4vllm25paged_attention_v2_kernelI14__hip_bfloat16hLi112ELi16ELi128ELNS_18Fp8KVCacheDataTypeE1ELb1ELi512EEEvPfS3_PT_PKS4_PKT0_SA_ifPKiSC_iPKfiiiSE_SE_iiiii,@function
_ZN4vllm25paged_attention_v2_kernelI14__hip_bfloat16hLi112ELi16ELi128ELNS_18Fp8KVCacheDataTypeE1ELb1ELi512EEEvPfS3_PT_PKS4_PKT0_SA_ifPKiSC_iPKfiiiSE_SE_iiiii: ; @_ZN4vllm25paged_attention_v2_kernelI14__hip_bfloat16hLi112ELi16ELi128ELNS_18Fp8KVCacheDataTypeE1ELb1ELi512EEEvPfS3_PT_PKS4_PKT0_SA_ifPKiSC_iPKfiiiSE_SE_iiiii
; %bb.0:
	s_load_dwordx2 s[6:7], s[0:1], 0x40
	s_mov_b32 s34, s3
	s_ashr_i32 s35, s3, 31
	s_lshl_b64 s[8:9], s[34:35], 2
	s_waitcnt lgkmcnt(0)
	s_add_u32 s6, s6, s8
	s_addc_u32 s7, s7, s9
	s_load_dword s33, s[6:7], 0x0
	s_lshl_b32 s50, s4, 9
	s_waitcnt lgkmcnt(0)
	s_cmp_ge_i32 s50, s33
	s_cbranch_scc1 .LBB337_497
; %bb.1:
	s_load_dword s5, s[0:1], 0x90
	s_load_dwordx2 s[42:43], s[0:1], 0x30
	s_mov_b32 s51, 0
	s_waitcnt lgkmcnt(0)
	s_abs_i32 s7, s5
	s_abs_i32 s3, s42
	v_cvt_f32_u32_e32 v1, s3
	s_sub_i32 s8, 0, s3
	s_xor_b32 s6, s5, s42
	s_ashr_i32 s6, s6, 31
	v_rcp_iflag_f32_e32 v1, v1
	s_nop 0
	v_mul_f32_e32 v1, 0x4f7ffffe, v1
	v_cvt_u32_f32_e32 v1, v1
	s_nop 0
	v_readfirstlane_b32 s9, v1
	s_mul_i32 s8, s8, s9
	s_mul_hi_u32 s8, s9, s8
	s_add_i32 s9, s9, s8
	s_mul_hi_u32 s8, s7, s9
	s_mul_i32 s9, s8, s3
	s_sub_i32 s7, s7, s9
	s_add_i32 s10, s8, 1
	s_sub_i32 s9, s7, s3
	s_cmp_ge_u32 s7, s3
	s_cselect_b32 s8, s10, s8
	s_cselect_b32 s7, s9, s7
	s_add_i32 s9, s8, 1
	s_cmp_ge_u32 s7, s3
	s_cselect_b32 s3, s9, s8
	s_xor_b32 s3, s3, s6
	s_sub_i32 s11, s3, s6
	s_abs_i32 s8, s11
	v_cvt_f32_u32_e32 v1, s8
	s_load_dwordx2 s[6:7], s[0:1], 0x50
	s_sub_i32 s3, 0, s8
	s_abs_i32 s9, s2
	v_rcp_iflag_f32_e32 v1, v1
	s_nop 0
	v_mul_f32_e32 v1, 0x4f7ffffe, v1
	v_cvt_u32_f32_e32 v1, v1
	s_nop 0
	v_readfirstlane_b32 s10, v1
	s_mul_i32 s3, s3, s10
	s_mul_hi_u32 s3, s10, s3
	s_add_i32 s10, s10, s3
	s_waitcnt lgkmcnt(0)
	s_cmp_eq_u64 s[6:7], 0
	s_mul_hi_u32 s10, s9, s10
	s_cbranch_scc1 .LBB337_3
; %bb.2:
	s_ashr_i32 s3, s2, 31
	s_lshl_b64 s[12:13], s[2:3], 2
	s_add_u32 s6, s6, s12
	s_addc_u32 s7, s7, s13
	s_load_dword s51, s[6:7], 0x0
.LBB337_3:
	s_load_dwordx4 s[16:19], s[0:1], 0x58
	s_ashr_i32 s3, s2, 31
	s_ashr_i32 s11, s11, 31
	v_and_b32_e32 v2, 3, v0
	s_mul_i32 s28, s2, 0x70
	v_cmp_gt_u32_e32 vcc, 56, v0
	s_and_saveexec_b64 s[6:7], vcc
	s_cbranch_execz .LBB337_5
; %bb.4:
	s_load_dwordx2 s[12:13], s[0:1], 0x18
	s_waitcnt lgkmcnt(0)
	s_mul_i32 s14, s34, s16
	s_ashr_i32 s15, s14, 31
	s_lshl_b64 s[14:15], s[14:15], 1
	v_lshlrev_b32_e32 v1, 2, v0
	s_add_u32 s14, s12, s14
	s_addc_u32 s15, s13, s15
	s_ashr_i32 s29, s28, 31
	s_lshl_b64 s[12:13], s[28:29], 1
	s_add_u32 s12, s14, s12
	s_addc_u32 s13, s15, s13
	global_load_dword v1, v1, s[12:13]
	v_and_b32_e32 v3, 0x3fc, v0
	v_mad_u32_u24 v3, v2, 56, v3
	s_waitcnt vmcnt(0)
	ds_write_b32 v3, v1
.LBB337_5:
	s_or_b64 exec, exec, s[6:7]
	s_mul_i32 s6, s10, s8
	s_sub_i32 s6, s9, s6
	s_xor_b32 s3, s3, s11
	s_add_i32 s7, s10, 1
	s_sub_i32 s9, s6, s8
	s_load_dwordx4 s[20:23], s[0:1], 0x78
	s_cmp_ge_u32 s6, s8
	s_cselect_b32 s7, s7, s10
	s_cselect_b32 s6, s9, s6
	s_add_i32 s9, s7, 1
	s_cmp_ge_u32 s6, s8
	s_cselect_b32 s6, s9, s7
	s_load_dword s9, s[0:1], 0x88
	s_waitcnt lgkmcnt(0)
	s_abs_i32 s29, s23
	v_cvt_f32_u32_e32 v1, s29
	s_xor_b32 s6, s6, s3
	s_sub_i32 s10, s6, s3
	s_sub_i32 s6, 0, s29
	v_rcp_iflag_f32_e32 v1, v1
	s_add_i32 s11, s33, -1
	s_abs_i32 s3, s11
	v_mul_f32_e32 v1, 0x4f7ffffe, v1
	v_cvt_u32_f32_e32 v1, v1
	s_barrier
	v_readfirstlane_b32 s35, v1
	s_mul_i32 s6, s6, s35
	s_mul_hi_u32 s6, s35, s6
	s_add_i32 s35, s35, s6
	s_cmp_lt_i32 s9, 0
	s_mul_hi_u32 s8, s3, s35
	s_cbranch_scc0 .LBB337_7
; %bb.6:
	s_mul_i32 s6, s20, s42
	s_add_i32 s6, s10, s6
	s_mul_i32 s6, s6, s9
	s_sub_i32 s42, 1, s6
	s_mov_b64 s[6:7], 0
	s_branch .LBB337_8
.LBB337_7:
	s_mov_b64 s[6:7], -1
                                        ; implicit-def: $sgpr42
.LBB337_8:
	s_load_dwordx2 s[36:37], s[0:1], 0x38
	s_ashr_i32 s11, s11, 31
	s_andn2_b64 vcc, exec, s[6:7]
	s_ashr_i32 s48, s23, 31
	s_cbranch_vccnz .LBB337_10
; %bb.9:
	s_mul_i32 s6, s5, s20
	s_add_i32 s6, s6, s2
	s_mul_i32 s6, s6, s9
	s_add_i32 s42, s6, 1
.LBB337_10:
	s_load_dwordx2 s[40:41], s[0:1], 0x28
	s_load_dword s6, s[0:1], 0x48
	s_load_dwordx4 s[24:27], s[0:1], 0x0
	s_load_dwordx2 s[30:31], s[0:1], 0x10
	s_load_dword s23, s[0:1], 0x98
	s_load_dwordx4 s[12:15], s[0:1], 0x68
	s_mul_i32 s7, s8, s29
	s_waitcnt lgkmcnt(0)
	s_mul_i32 s38, s34, s6
	s_sub_i32 s3, s3, s7
	s_ashr_i32 s39, s38, 31
	s_xor_b32 s6, s11, s48
	s_add_i32 s7, s8, 1
	s_sub_i32 s9, s3, s29
	s_cmp_ge_u32 s3, s29
	s_cselect_b32 s7, s7, s8
	s_cselect_b32 s3, s9, s3
	s_add_i32 s8, s7, 1
	s_cmp_ge_u32 s3, s29
	s_cselect_b32 s3, s8, s7
	s_xor_b32 s3, s3, s6
	s_sub_i32 s16, s3, s6
	s_add_i32 s3, s33, 15
	s_ashr_i32 s6, s3, 31
	s_lshr_b32 s6, s6, 28
	s_add_i32 s3, s3, s6
	s_lshl_b32 s52, s4, 5
	s_ashr_i32 s3, s3, 4
	s_add_i32 s6, s52, 32
	v_lshrrev_b32_e32 v27, 6, v0
	s_min_i32 s49, s6, s3
	v_or_b32_e32 v14, s52, v27
	v_cmp_gt_i32_e64 s[8:9], s49, v14
	v_mov_b32_e32 v30, 0xff7fffff
	s_mul_i32 s20, s10, s18
	v_ashrrev_i32_e32 v15, 31, v14
	v_lshl_add_u32 v1, v27, 4, s50
	v_mbcnt_lo_u32_b32 v26, -1, 0
	s_and_saveexec_b64 s[18:19], s[8:9]
	s_cbranch_execz .LBB337_132
; %bb.11:
	s_load_dwordx2 s[0:1], s[0:1], 0x20
	s_sub_i32 s53, s16, s21
	s_ashr_i32 s6, s20, 31
	v_bfe_u32 v28, v0, 2, 4
	v_mov_b32_e32 v17, 0
	s_waitcnt lgkmcnt(0)
	s_add_u32 s0, s0, s20
	s_addc_u32 s1, s1, s6
	s_abs_i32 s54, s22
	v_cvt_f32_u32_e32 v3, s54
	v_lshlrev_b32_e32 v16, 4, v28
	v_lshl_add_u64 v[18:19], s[0:1], 0, v[16:17]
	s_sub_i32 s0, 0, s54
	v_rcp_iflag_f32_e32 v3, v3
	v_cmp_eq_u32_e32 vcc, 0, v2
	v_mul_u32_u24_e32 v29, 56, v2
	v_lshlrev_b32_e32 v16, 1, v2
	v_mul_f32_e32 v3, 0x4f7ffffe, v3
	v_cvt_u32_f32_e32 v3, v3
	s_mov_b32 s55, s17
	v_cmp_neq_f32_e64 s[6:7], s51, 0
	v_lshl_add_u32 v32, v27, 4, s50
	v_mul_lo_u32 v2, s0, v3
	v_mul_hi_u32 v2, v3, v2
	v_add_u32_e32 v31, v3, v2
	s_lshl_b64 s[0:1], s[38:39], 2
	v_lshlrev_b32_e32 v2, 2, v28
	s_add_u32 s0, s36, s0
	v_lshl_or_b32 v2, v27, 6, v2
	s_addc_u32 s1, s37, s1
	v_add_u32_e32 v33, 0xf0, v2
	v_subrev_u32_e32 v2, s33, v28
	v_lshl_add_u64 v[20:21], v[14:15], 2, s[0:1]
	v_add_u32_e32 v34, 1, v2
	s_mov_b64 s[44:45], 0
	s_mov_b32 s56, 0xffff
	s_mov_b32 s57, 0x7f800000
	s_movk_i32 s58, 0x7fff
	v_mbcnt_hi_u32_b32 v35, -1, v26
	v_mov_b32_e32 v30, 0xff7fffff
	v_mov_b32_e32 v36, v14
	s_branch .LBB337_14
.LBB337_12:                             ;   in Loop: Header=BB337_14 Depth=1
	s_or_b64 exec, exec, s[46:47]
.LBB337_13:                             ;   in Loop: Header=BB337_14 Depth=1
	s_or_b64 exec, exec, s[10:11]
	v_add_u32_e32 v36, 2, v36
	v_cmp_le_i32_e64 s[0:1], s49, v36
	v_lshl_add_u64 v[20:21], v[20:21], 0, 8
	v_add_u32_e32 v32, 32, v32
	s_or_b64 s[44:45], s[0:1], s[44:45]
	v_add_u32_e32 v33, 0x80, v33
	s_andn2_b64 exec, exec, s[44:45]
	s_cbranch_execz .LBB337_131
.LBB337_14:                             ; =>This Inner Loop Header: Depth=1
	s_waitcnt lgkmcnt(0)
	v_sub_u32_e32 v3, 0, v32
	v_max_i32_e32 v3, v32, v3
	v_mul_hi_u32 v4, v3, s35
	v_mul_lo_u32 v5, v4, s29
	v_sub_u32_e32 v3, v3, v5
	v_add_u32_e32 v5, 1, v4
	v_cmp_le_u32_e64 s[0:1], s29, v3
	v_ashrrev_i32_e32 v2, 31, v32
	v_xor_b32_e32 v2, s48, v2
	v_cndmask_b32_e64 v4, v4, v5, s[0:1]
	v_subrev_u32_e32 v5, s29, v3
	v_cndmask_b32_e64 v3, v3, v5, s[0:1]
	v_add_u32_e32 v5, 1, v4
	v_cmp_le_u32_e64 s[0:1], s29, v3
	s_nop 1
	v_cndmask_b32_e64 v3, v4, v5, s[0:1]
	v_xor_b32_e32 v3, v3, v2
	v_sub_u32_e32 v2, v3, v2
	v_add_u32_e32 v3, s42, v2
	v_sub_u32_e32 v5, 0, v3
	v_ashrrev_i32_e32 v4, 31, v3
	v_max_i32_e32 v3, v3, v5
	v_mul_hi_u32 v5, v3, v31
	v_mul_lo_u32 v5, v5, s54
	v_sub_u32_e32 v3, v3, v5
	v_subrev_u32_e32 v5, s54, v3
	v_cmp_le_u32_e64 s[0:1], s54, v3
	v_cmp_ge_i32_e64 s[10:11], s53, v2
	s_nop 0
	v_cndmask_b32_e64 v3, v3, v5, s[0:1]
	v_subrev_u32_e32 v5, s54, v3
	v_cmp_le_u32_e64 s[0:1], s54, v3
	s_nop 1
	v_cndmask_b32_e64 v3, v3, v5, s[0:1]
	v_xor_b32_e32 v3, v3, v4
	v_sub_u32_e32 v3, v3, v4
	v_cmp_ne_u32_e64 s[0:1], 0, v3
	s_and_b64 s[0:1], s[0:1], s[10:11]
	s_and_b64 s[46:47], vcc, s[0:1]
	s_and_saveexec_b64 s[10:11], s[46:47]
	s_cbranch_execz .LBB337_16
; %bb.15:                               ;   in Loop: Header=BB337_14 Depth=1
	v_mov_b32_e32 v2, 0xff7fffff
	ds_write_b32 v33, v2
.LBB337_16:                             ;   in Loop: Header=BB337_14 Depth=1
	s_or_b64 exec, exec, s[10:11]
	s_xor_b64 s[0:1], s[0:1], -1
	s_and_saveexec_b64 s[10:11], s[0:1]
	s_cbranch_execz .LBB337_13
; %bb.17:                               ;   in Loop: Header=BB337_14 Depth=1
	global_load_dword v2, v[20:21], off
	s_waitcnt vmcnt(0)
	v_mad_i64_i32 v[2:3], s[0:1], v2, s55, v[18:19]
	v_lshl_add_u64 v[24:25], v[2:3], 0, v[16:17]
	global_load_ushort v38, v[24:25], off
	ds_read2_b64 v[10:13], v29 offset1:1
	ds_read2_b64 v[2:5], v29 offset0:2 offset1:3
	s_load_dword s59, s[12:13], 0x0
	s_waitcnt vmcnt(0)
	v_and_b32_sdwa v6, s56, v38 dst_sel:DWORD dst_unused:UNUSED_PAD src0_sel:DWORD src1_sel:BYTE_0
	v_cvt_f32_fp8_sdwa v37, v6 src0_sel:BYTE_0
	ds_read2_b64 v[6:9], v29 offset0:4 offset1:5
	ds_read_b64 v[22:23], v29 offset:48
	s_waitcnt lgkmcnt(0)
	v_mul_f32_e32 v39, s59, v37
	v_and_b32_e32 v37, 0x7f800000, v39
	v_cmp_ne_u32_e64 s[0:1], s57, v37
                                        ; implicit-def: $vgpr37
	s_and_saveexec_b64 s[46:47], s[0:1]
	s_xor_b64 s[0:1], exec, s[46:47]
; %bb.18:                               ;   in Loop: Header=BB337_14 Depth=1
	v_bfe_u32 v37, v39, 16, 1
	v_add3_u32 v37, v39, v37, s58
                                        ; implicit-def: $vgpr39
; %bb.19:                               ;   in Loop: Header=BB337_14 Depth=1
	s_andn2_saveexec_b64 s[46:47], s[0:1]
; %bb.20:                               ;   in Loop: Header=BB337_14 Depth=1
	v_or_b32_e32 v37, 0x10000, v39
	v_cmp_eq_u32_sdwa s[0:1], v39, v17 src0_sel:WORD_0 src1_sel:DWORD
	s_nop 1
	v_cndmask_b32_e64 v37, v37, v39, s[0:1]
; %bb.21:                               ;   in Loop: Header=BB337_14 Depth=1
	s_or_b64 exec, exec, s[46:47]
	v_lshrrev_b16_e32 v38, 8, v38
	v_cvt_f32_fp8_sdwa v38, v38 src0_sel:BYTE_0
	s_nop 0
	v_mul_f32_e32 v39, s59, v38
	v_and_b32_e32 v38, 0x7f800000, v39
	v_cmp_ne_u32_e64 s[0:1], s57, v38
                                        ; implicit-def: $vgpr38
	s_and_saveexec_b64 s[46:47], s[0:1]
	s_xor_b64 s[0:1], exec, s[46:47]
; %bb.22:                               ;   in Loop: Header=BB337_14 Depth=1
	v_bfe_u32 v38, v39, 16, 1
	v_add3_u32 v38, v39, v38, s58
                                        ; implicit-def: $vgpr39
; %bb.23:                               ;   in Loop: Header=BB337_14 Depth=1
	s_andn2_saveexec_b64 s[46:47], s[0:1]
; %bb.24:                               ;   in Loop: Header=BB337_14 Depth=1
	v_or_b32_e32 v38, 0x10000, v39
	v_cmp_eq_u32_sdwa s[0:1], v39, v17 src0_sel:WORD_0 src1_sel:DWORD
	s_nop 1
	v_cndmask_b32_e64 v38, v38, v39, s[0:1]
; %bb.25:                               ;   in Loop: Header=BB337_14 Depth=1
	s_or_b64 exec, exec, s[46:47]
	global_load_ushort v40, v[24:25], off offset:8
	s_waitcnt vmcnt(0)
	v_and_b32_sdwa v39, s56, v40 dst_sel:DWORD dst_unused:UNUSED_PAD src0_sel:DWORD src1_sel:BYTE_0
	v_cvt_f32_fp8_sdwa v39, v39 src0_sel:BYTE_0
	s_nop 0
	v_mul_f32_e32 v41, s59, v39
	v_and_b32_e32 v39, 0x7f800000, v41
	v_cmp_ne_u32_e64 s[0:1], s57, v39
                                        ; implicit-def: $vgpr39
	s_and_saveexec_b64 s[46:47], s[0:1]
	s_xor_b64 s[0:1], exec, s[46:47]
; %bb.26:                               ;   in Loop: Header=BB337_14 Depth=1
	v_bfe_u32 v39, v41, 16, 1
	v_add3_u32 v39, v41, v39, s58
                                        ; implicit-def: $vgpr41
; %bb.27:                               ;   in Loop: Header=BB337_14 Depth=1
	s_andn2_saveexec_b64 s[46:47], s[0:1]
; %bb.28:                               ;   in Loop: Header=BB337_14 Depth=1
	v_or_b32_e32 v39, 0x10000, v41
	v_cmp_eq_u32_sdwa s[0:1], v41, v17 src0_sel:WORD_0 src1_sel:DWORD
	s_nop 1
	v_cndmask_b32_e64 v39, v39, v41, s[0:1]
; %bb.29:                               ;   in Loop: Header=BB337_14 Depth=1
	s_or_b64 exec, exec, s[46:47]
	v_lshrrev_b16_e32 v40, 8, v40
	v_cvt_f32_fp8_sdwa v40, v40 src0_sel:BYTE_0
	s_nop 0
	v_mul_f32_e32 v41, s59, v40
	v_and_b32_e32 v40, 0x7f800000, v41
	v_cmp_ne_u32_e64 s[0:1], s57, v40
                                        ; implicit-def: $vgpr40
	s_and_saveexec_b64 s[46:47], s[0:1]
	s_xor_b64 s[0:1], exec, s[46:47]
; %bb.30:                               ;   in Loop: Header=BB337_14 Depth=1
	v_bfe_u32 v40, v41, 16, 1
	v_add3_u32 v40, v41, v40, s58
                                        ; implicit-def: $vgpr41
; %bb.31:                               ;   in Loop: Header=BB337_14 Depth=1
	s_andn2_saveexec_b64 s[46:47], s[0:1]
; %bb.32:                               ;   in Loop: Header=BB337_14 Depth=1
	v_or_b32_e32 v40, 0x10000, v41
	v_cmp_eq_u32_sdwa s[0:1], v41, v17 src0_sel:WORD_0 src1_sel:DWORD
	s_nop 1
	v_cndmask_b32_e64 v40, v40, v41, s[0:1]
; %bb.33:                               ;   in Loop: Header=BB337_14 Depth=1
	s_or_b64 exec, exec, s[46:47]
	global_load_ushort v42, v[24:25], off offset:256
	s_waitcnt vmcnt(0)
	v_and_b32_sdwa v41, s56, v42 dst_sel:DWORD dst_unused:UNUSED_PAD src0_sel:DWORD src1_sel:BYTE_0
	v_cvt_f32_fp8_sdwa v41, v41 src0_sel:BYTE_0
	s_nop 0
	v_mul_f32_e32 v43, s59, v41
	v_and_b32_e32 v41, 0x7f800000, v43
	v_cmp_ne_u32_e64 s[0:1], s57, v41
                                        ; implicit-def: $vgpr41
	s_and_saveexec_b64 s[46:47], s[0:1]
	s_xor_b64 s[0:1], exec, s[46:47]
; %bb.34:                               ;   in Loop: Header=BB337_14 Depth=1
	v_bfe_u32 v41, v43, 16, 1
	v_add3_u32 v41, v43, v41, s58
                                        ; implicit-def: $vgpr43
; %bb.35:                               ;   in Loop: Header=BB337_14 Depth=1
	s_andn2_saveexec_b64 s[46:47], s[0:1]
; %bb.36:                               ;   in Loop: Header=BB337_14 Depth=1
	v_or_b32_e32 v41, 0x10000, v43
	v_cmp_eq_u32_sdwa s[0:1], v43, v17 src0_sel:WORD_0 src1_sel:DWORD
	s_nop 1
	v_cndmask_b32_e64 v41, v41, v43, s[0:1]
; %bb.37:                               ;   in Loop: Header=BB337_14 Depth=1
	s_or_b64 exec, exec, s[46:47]
	v_lshrrev_b16_e32 v42, 8, v42
	v_cvt_f32_fp8_sdwa v42, v42 src0_sel:BYTE_0
	s_nop 0
	v_mul_f32_e32 v43, s59, v42
	v_and_b32_e32 v42, 0x7f800000, v43
	v_cmp_ne_u32_e64 s[0:1], s57, v42
                                        ; implicit-def: $vgpr42
	s_and_saveexec_b64 s[46:47], s[0:1]
	s_xor_b64 s[0:1], exec, s[46:47]
; %bb.38:                               ;   in Loop: Header=BB337_14 Depth=1
	v_bfe_u32 v42, v43, 16, 1
	v_add3_u32 v42, v43, v42, s58
                                        ; implicit-def: $vgpr43
; %bb.39:                               ;   in Loop: Header=BB337_14 Depth=1
	s_andn2_saveexec_b64 s[46:47], s[0:1]
; %bb.40:                               ;   in Loop: Header=BB337_14 Depth=1
	v_or_b32_e32 v42, 0x10000, v43
	v_cmp_eq_u32_sdwa s[0:1], v43, v17 src0_sel:WORD_0 src1_sel:DWORD
	s_nop 1
	v_cndmask_b32_e64 v42, v42, v43, s[0:1]
; %bb.41:                               ;   in Loop: Header=BB337_14 Depth=1
	s_or_b64 exec, exec, s[46:47]
	global_load_ushort v44, v[24:25], off offset:264
	s_waitcnt vmcnt(0)
	v_and_b32_sdwa v43, s56, v44 dst_sel:DWORD dst_unused:UNUSED_PAD src0_sel:DWORD src1_sel:BYTE_0
	v_cvt_f32_fp8_sdwa v43, v43 src0_sel:BYTE_0
	s_nop 0
	v_mul_f32_e32 v45, s59, v43
	v_and_b32_e32 v43, 0x7f800000, v45
	v_cmp_ne_u32_e64 s[0:1], s57, v43
                                        ; implicit-def: $vgpr43
	s_and_saveexec_b64 s[46:47], s[0:1]
	s_xor_b64 s[0:1], exec, s[46:47]
; %bb.42:                               ;   in Loop: Header=BB337_14 Depth=1
	v_bfe_u32 v43, v45, 16, 1
	v_add3_u32 v43, v45, v43, s58
                                        ; implicit-def: $vgpr45
; %bb.43:                               ;   in Loop: Header=BB337_14 Depth=1
	s_andn2_saveexec_b64 s[46:47], s[0:1]
; %bb.44:                               ;   in Loop: Header=BB337_14 Depth=1
	v_or_b32_e32 v43, 0x10000, v45
	v_cmp_eq_u32_sdwa s[0:1], v45, v17 src0_sel:WORD_0 src1_sel:DWORD
	s_nop 1
	v_cndmask_b32_e64 v43, v43, v45, s[0:1]
; %bb.45:                               ;   in Loop: Header=BB337_14 Depth=1
	s_or_b64 exec, exec, s[46:47]
	v_lshrrev_b16_e32 v44, 8, v44
	v_cvt_f32_fp8_sdwa v44, v44 src0_sel:BYTE_0
	s_nop 0
	v_mul_f32_e32 v45, s59, v44
	v_and_b32_e32 v44, 0x7f800000, v45
	v_cmp_ne_u32_e64 s[0:1], s57, v44
                                        ; implicit-def: $vgpr44
	s_and_saveexec_b64 s[46:47], s[0:1]
	s_xor_b64 s[0:1], exec, s[46:47]
; %bb.46:                               ;   in Loop: Header=BB337_14 Depth=1
	v_bfe_u32 v44, v45, 16, 1
	v_add3_u32 v44, v45, v44, s58
                                        ; implicit-def: $vgpr45
; %bb.47:                               ;   in Loop: Header=BB337_14 Depth=1
	s_andn2_saveexec_b64 s[46:47], s[0:1]
; %bb.48:                               ;   in Loop: Header=BB337_14 Depth=1
	v_or_b32_e32 v44, 0x10000, v45
	v_cmp_eq_u32_sdwa s[0:1], v45, v17 src0_sel:WORD_0 src1_sel:DWORD
	s_nop 1
	v_cndmask_b32_e64 v44, v44, v45, s[0:1]
; %bb.49:                               ;   in Loop: Header=BB337_14 Depth=1
	s_or_b64 exec, exec, s[46:47]
	global_load_ushort v46, v[24:25], off offset:512
	s_waitcnt vmcnt(0)
	v_and_b32_sdwa v45, s56, v46 dst_sel:DWORD dst_unused:UNUSED_PAD src0_sel:DWORD src1_sel:BYTE_0
	v_cvt_f32_fp8_sdwa v45, v45 src0_sel:BYTE_0
	s_nop 0
	v_mul_f32_e32 v47, s59, v45
	v_and_b32_e32 v45, 0x7f800000, v47
	v_cmp_ne_u32_e64 s[0:1], s57, v45
                                        ; implicit-def: $vgpr45
	s_and_saveexec_b64 s[46:47], s[0:1]
	s_xor_b64 s[0:1], exec, s[46:47]
; %bb.50:                               ;   in Loop: Header=BB337_14 Depth=1
	v_bfe_u32 v45, v47, 16, 1
	v_add3_u32 v45, v47, v45, s58
                                        ; implicit-def: $vgpr47
; %bb.51:                               ;   in Loop: Header=BB337_14 Depth=1
	s_andn2_saveexec_b64 s[46:47], s[0:1]
; %bb.52:                               ;   in Loop: Header=BB337_14 Depth=1
	v_or_b32_e32 v45, 0x10000, v47
	v_cmp_eq_u32_sdwa s[0:1], v47, v17 src0_sel:WORD_0 src1_sel:DWORD
	s_nop 1
	v_cndmask_b32_e64 v45, v45, v47, s[0:1]
; %bb.53:                               ;   in Loop: Header=BB337_14 Depth=1
	s_or_b64 exec, exec, s[46:47]
	v_lshrrev_b16_e32 v46, 8, v46
	v_cvt_f32_fp8_sdwa v46, v46 src0_sel:BYTE_0
	s_nop 0
	v_mul_f32_e32 v47, s59, v46
	v_and_b32_e32 v46, 0x7f800000, v47
	v_cmp_ne_u32_e64 s[0:1], s57, v46
                                        ; implicit-def: $vgpr46
	s_and_saveexec_b64 s[46:47], s[0:1]
	s_xor_b64 s[0:1], exec, s[46:47]
; %bb.54:                               ;   in Loop: Header=BB337_14 Depth=1
	v_bfe_u32 v46, v47, 16, 1
	v_add3_u32 v46, v47, v46, s58
                                        ; implicit-def: $vgpr47
; %bb.55:                               ;   in Loop: Header=BB337_14 Depth=1
	s_andn2_saveexec_b64 s[46:47], s[0:1]
; %bb.56:                               ;   in Loop: Header=BB337_14 Depth=1
	v_or_b32_e32 v46, 0x10000, v47
	v_cmp_eq_u32_sdwa s[0:1], v47, v17 src0_sel:WORD_0 src1_sel:DWORD
	s_nop 1
	v_cndmask_b32_e64 v46, v46, v47, s[0:1]
; %bb.57:                               ;   in Loop: Header=BB337_14 Depth=1
	s_or_b64 exec, exec, s[46:47]
	global_load_ushort v48, v[24:25], off offset:520
	s_waitcnt vmcnt(0)
	v_and_b32_sdwa v47, s56, v48 dst_sel:DWORD dst_unused:UNUSED_PAD src0_sel:DWORD src1_sel:BYTE_0
	v_cvt_f32_fp8_sdwa v47, v47 src0_sel:BYTE_0
	s_nop 0
	v_mul_f32_e32 v49, s59, v47
	v_and_b32_e32 v47, 0x7f800000, v49
	v_cmp_ne_u32_e64 s[0:1], s57, v47
                                        ; implicit-def: $vgpr47
	s_and_saveexec_b64 s[46:47], s[0:1]
	s_xor_b64 s[0:1], exec, s[46:47]
; %bb.58:                               ;   in Loop: Header=BB337_14 Depth=1
	v_bfe_u32 v47, v49, 16, 1
	v_add3_u32 v47, v49, v47, s58
                                        ; implicit-def: $vgpr49
; %bb.59:                               ;   in Loop: Header=BB337_14 Depth=1
	s_andn2_saveexec_b64 s[46:47], s[0:1]
; %bb.60:                               ;   in Loop: Header=BB337_14 Depth=1
	v_or_b32_e32 v47, 0x10000, v49
	v_cmp_eq_u32_sdwa s[0:1], v49, v17 src0_sel:WORD_0 src1_sel:DWORD
	s_nop 1
	v_cndmask_b32_e64 v47, v47, v49, s[0:1]
; %bb.61:                               ;   in Loop: Header=BB337_14 Depth=1
	s_or_b64 exec, exec, s[46:47]
	v_lshrrev_b16_e32 v48, 8, v48
	v_cvt_f32_fp8_sdwa v48, v48 src0_sel:BYTE_0
	s_nop 0
	v_mul_f32_e32 v49, s59, v48
	v_and_b32_e32 v48, 0x7f800000, v49
	v_cmp_ne_u32_e64 s[0:1], s57, v48
                                        ; implicit-def: $vgpr48
	s_and_saveexec_b64 s[46:47], s[0:1]
	s_xor_b64 s[0:1], exec, s[46:47]
; %bb.62:                               ;   in Loop: Header=BB337_14 Depth=1
	v_bfe_u32 v48, v49, 16, 1
	v_add3_u32 v48, v49, v48, s58
                                        ; implicit-def: $vgpr49
; %bb.63:                               ;   in Loop: Header=BB337_14 Depth=1
	s_andn2_saveexec_b64 s[46:47], s[0:1]
; %bb.64:                               ;   in Loop: Header=BB337_14 Depth=1
	v_or_b32_e32 v48, 0x10000, v49
	v_cmp_eq_u32_sdwa s[0:1], v49, v17 src0_sel:WORD_0 src1_sel:DWORD
	s_nop 1
	v_cndmask_b32_e64 v48, v48, v49, s[0:1]
; %bb.65:                               ;   in Loop: Header=BB337_14 Depth=1
	s_or_b64 exec, exec, s[46:47]
	global_load_ushort v50, v[24:25], off offset:768
	s_waitcnt vmcnt(0)
	v_and_b32_sdwa v49, s56, v50 dst_sel:DWORD dst_unused:UNUSED_PAD src0_sel:DWORD src1_sel:BYTE_0
	v_cvt_f32_fp8_sdwa v49, v49 src0_sel:BYTE_0
	s_nop 0
	v_mul_f32_e32 v51, s59, v49
	v_and_b32_e32 v49, 0x7f800000, v51
	v_cmp_ne_u32_e64 s[0:1], s57, v49
                                        ; implicit-def: $vgpr49
	s_and_saveexec_b64 s[46:47], s[0:1]
	s_xor_b64 s[0:1], exec, s[46:47]
; %bb.66:                               ;   in Loop: Header=BB337_14 Depth=1
	v_bfe_u32 v49, v51, 16, 1
	v_add3_u32 v49, v51, v49, s58
                                        ; implicit-def: $vgpr51
; %bb.67:                               ;   in Loop: Header=BB337_14 Depth=1
	s_andn2_saveexec_b64 s[46:47], s[0:1]
; %bb.68:                               ;   in Loop: Header=BB337_14 Depth=1
	v_or_b32_e32 v49, 0x10000, v51
	v_cmp_eq_u32_sdwa s[0:1], v51, v17 src0_sel:WORD_0 src1_sel:DWORD
	s_nop 1
	v_cndmask_b32_e64 v49, v49, v51, s[0:1]
; %bb.69:                               ;   in Loop: Header=BB337_14 Depth=1
	s_or_b64 exec, exec, s[46:47]
	v_lshrrev_b16_e32 v50, 8, v50
	v_cvt_f32_fp8_sdwa v50, v50 src0_sel:BYTE_0
	s_nop 0
	v_mul_f32_e32 v51, s59, v50
	v_and_b32_e32 v50, 0x7f800000, v51
	v_cmp_ne_u32_e64 s[0:1], s57, v50
                                        ; implicit-def: $vgpr50
	s_and_saveexec_b64 s[46:47], s[0:1]
	s_xor_b64 s[0:1], exec, s[46:47]
; %bb.70:                               ;   in Loop: Header=BB337_14 Depth=1
	v_bfe_u32 v50, v51, 16, 1
	v_add3_u32 v50, v51, v50, s58
                                        ; implicit-def: $vgpr51
; %bb.71:                               ;   in Loop: Header=BB337_14 Depth=1
	s_andn2_saveexec_b64 s[46:47], s[0:1]
; %bb.72:                               ;   in Loop: Header=BB337_14 Depth=1
	v_or_b32_e32 v50, 0x10000, v51
	v_cmp_eq_u32_sdwa s[0:1], v51, v17 src0_sel:WORD_0 src1_sel:DWORD
	s_nop 1
	v_cndmask_b32_e64 v50, v50, v51, s[0:1]
; %bb.73:                               ;   in Loop: Header=BB337_14 Depth=1
	s_or_b64 exec, exec, s[46:47]
	global_load_ushort v52, v[24:25], off offset:776
	s_waitcnt vmcnt(0)
	v_and_b32_sdwa v51, s56, v52 dst_sel:DWORD dst_unused:UNUSED_PAD src0_sel:DWORD src1_sel:BYTE_0
	v_cvt_f32_fp8_sdwa v51, v51 src0_sel:BYTE_0
	s_nop 0
	v_mul_f32_e32 v53, s59, v51
	v_and_b32_e32 v51, 0x7f800000, v53
	v_cmp_ne_u32_e64 s[0:1], s57, v51
                                        ; implicit-def: $vgpr51
	s_and_saveexec_b64 s[46:47], s[0:1]
	s_xor_b64 s[0:1], exec, s[46:47]
; %bb.74:                               ;   in Loop: Header=BB337_14 Depth=1
	v_bfe_u32 v51, v53, 16, 1
	v_add3_u32 v51, v53, v51, s58
                                        ; implicit-def: $vgpr53
; %bb.75:                               ;   in Loop: Header=BB337_14 Depth=1
	s_andn2_saveexec_b64 s[46:47], s[0:1]
; %bb.76:                               ;   in Loop: Header=BB337_14 Depth=1
	v_or_b32_e32 v51, 0x10000, v53
	v_cmp_eq_u32_sdwa s[0:1], v53, v17 src0_sel:WORD_0 src1_sel:DWORD
	s_nop 1
	v_cndmask_b32_e64 v51, v51, v53, s[0:1]
; %bb.77:                               ;   in Loop: Header=BB337_14 Depth=1
	s_or_b64 exec, exec, s[46:47]
	v_lshrrev_b16_e32 v52, 8, v52
	v_cvt_f32_fp8_sdwa v52, v52 src0_sel:BYTE_0
	s_nop 0
	v_mul_f32_e32 v53, s59, v52
	v_and_b32_e32 v52, 0x7f800000, v53
	v_cmp_ne_u32_e64 s[0:1], s57, v52
                                        ; implicit-def: $vgpr52
	s_and_saveexec_b64 s[46:47], s[0:1]
	s_xor_b64 s[0:1], exec, s[46:47]
; %bb.78:                               ;   in Loop: Header=BB337_14 Depth=1
	v_bfe_u32 v52, v53, 16, 1
	v_add3_u32 v52, v53, v52, s58
                                        ; implicit-def: $vgpr53
; %bb.79:                               ;   in Loop: Header=BB337_14 Depth=1
	s_andn2_saveexec_b64 s[46:47], s[0:1]
; %bb.80:                               ;   in Loop: Header=BB337_14 Depth=1
	v_or_b32_e32 v52, 0x10000, v53
	v_cmp_eq_u32_sdwa s[0:1], v53, v17 src0_sel:WORD_0 src1_sel:DWORD
	s_nop 1
	v_cndmask_b32_e64 v52, v52, v53, s[0:1]
; %bb.81:                               ;   in Loop: Header=BB337_14 Depth=1
	s_or_b64 exec, exec, s[46:47]
	global_load_ushort v54, v[24:25], off offset:1024
	s_waitcnt vmcnt(0)
	v_and_b32_sdwa v53, s56, v54 dst_sel:DWORD dst_unused:UNUSED_PAD src0_sel:DWORD src1_sel:BYTE_0
	v_cvt_f32_fp8_sdwa v53, v53 src0_sel:BYTE_0
	s_nop 0
	v_mul_f32_e32 v55, s59, v53
	v_and_b32_e32 v53, 0x7f800000, v55
	v_cmp_ne_u32_e64 s[0:1], s57, v53
                                        ; implicit-def: $vgpr53
	s_and_saveexec_b64 s[46:47], s[0:1]
	s_xor_b64 s[0:1], exec, s[46:47]
; %bb.82:                               ;   in Loop: Header=BB337_14 Depth=1
	v_bfe_u32 v53, v55, 16, 1
	v_add3_u32 v53, v55, v53, s58
                                        ; implicit-def: $vgpr55
; %bb.83:                               ;   in Loop: Header=BB337_14 Depth=1
	s_andn2_saveexec_b64 s[46:47], s[0:1]
; %bb.84:                               ;   in Loop: Header=BB337_14 Depth=1
	v_or_b32_e32 v53, 0x10000, v55
	v_cmp_eq_u32_sdwa s[0:1], v55, v17 src0_sel:WORD_0 src1_sel:DWORD
	s_nop 1
	v_cndmask_b32_e64 v53, v53, v55, s[0:1]
; %bb.85:                               ;   in Loop: Header=BB337_14 Depth=1
	s_or_b64 exec, exec, s[46:47]
	v_lshrrev_b16_e32 v54, 8, v54
	v_cvt_f32_fp8_sdwa v54, v54 src0_sel:BYTE_0
	s_nop 0
	v_mul_f32_e32 v55, s59, v54
	v_and_b32_e32 v54, 0x7f800000, v55
	v_cmp_ne_u32_e64 s[0:1], s57, v54
                                        ; implicit-def: $vgpr54
	s_and_saveexec_b64 s[46:47], s[0:1]
	s_xor_b64 s[0:1], exec, s[46:47]
; %bb.86:                               ;   in Loop: Header=BB337_14 Depth=1
	v_bfe_u32 v54, v55, 16, 1
	v_add3_u32 v54, v55, v54, s58
                                        ; implicit-def: $vgpr55
; %bb.87:                               ;   in Loop: Header=BB337_14 Depth=1
	s_andn2_saveexec_b64 s[46:47], s[0:1]
; %bb.88:                               ;   in Loop: Header=BB337_14 Depth=1
	v_or_b32_e32 v54, 0x10000, v55
	v_cmp_eq_u32_sdwa s[0:1], v55, v17 src0_sel:WORD_0 src1_sel:DWORD
	s_nop 1
	v_cndmask_b32_e64 v54, v54, v55, s[0:1]
; %bb.89:                               ;   in Loop: Header=BB337_14 Depth=1
	s_or_b64 exec, exec, s[46:47]
	global_load_ushort v56, v[24:25], off offset:1032
	s_waitcnt vmcnt(0)
	v_and_b32_sdwa v55, s56, v56 dst_sel:DWORD dst_unused:UNUSED_PAD src0_sel:DWORD src1_sel:BYTE_0
	v_cvt_f32_fp8_sdwa v55, v55 src0_sel:BYTE_0
	s_nop 0
	v_mul_f32_e32 v57, s59, v55
	v_and_b32_e32 v55, 0x7f800000, v57
	v_cmp_ne_u32_e64 s[0:1], s57, v55
                                        ; implicit-def: $vgpr55
	s_and_saveexec_b64 s[46:47], s[0:1]
	s_xor_b64 s[0:1], exec, s[46:47]
; %bb.90:                               ;   in Loop: Header=BB337_14 Depth=1
	v_bfe_u32 v55, v57, 16, 1
	v_add3_u32 v55, v57, v55, s58
                                        ; implicit-def: $vgpr57
; %bb.91:                               ;   in Loop: Header=BB337_14 Depth=1
	s_andn2_saveexec_b64 s[46:47], s[0:1]
; %bb.92:                               ;   in Loop: Header=BB337_14 Depth=1
	v_or_b32_e32 v55, 0x10000, v57
	v_cmp_eq_u32_sdwa s[0:1], v57, v17 src0_sel:WORD_0 src1_sel:DWORD
	s_nop 1
	v_cndmask_b32_e64 v55, v55, v57, s[0:1]
; %bb.93:                               ;   in Loop: Header=BB337_14 Depth=1
	s_or_b64 exec, exec, s[46:47]
	v_lshrrev_b16_e32 v56, 8, v56
	v_cvt_f32_fp8_sdwa v56, v56 src0_sel:BYTE_0
	s_nop 0
	v_mul_f32_e32 v57, s59, v56
	v_and_b32_e32 v56, 0x7f800000, v57
	v_cmp_ne_u32_e64 s[0:1], s57, v56
                                        ; implicit-def: $vgpr56
	s_and_saveexec_b64 s[46:47], s[0:1]
	s_xor_b64 s[0:1], exec, s[46:47]
; %bb.94:                               ;   in Loop: Header=BB337_14 Depth=1
	v_bfe_u32 v56, v57, 16, 1
	v_add3_u32 v56, v57, v56, s58
                                        ; implicit-def: $vgpr57
; %bb.95:                               ;   in Loop: Header=BB337_14 Depth=1
	s_andn2_saveexec_b64 s[46:47], s[0:1]
; %bb.96:                               ;   in Loop: Header=BB337_14 Depth=1
	v_or_b32_e32 v56, 0x10000, v57
	v_cmp_eq_u32_sdwa s[0:1], v57, v17 src0_sel:WORD_0 src1_sel:DWORD
	s_nop 1
	v_cndmask_b32_e64 v56, v56, v57, s[0:1]
; %bb.97:                               ;   in Loop: Header=BB337_14 Depth=1
	s_or_b64 exec, exec, s[46:47]
	global_load_ushort v58, v[24:25], off offset:1280
	s_waitcnt vmcnt(0)
	v_and_b32_sdwa v57, s56, v58 dst_sel:DWORD dst_unused:UNUSED_PAD src0_sel:DWORD src1_sel:BYTE_0
	v_cvt_f32_fp8_sdwa v57, v57 src0_sel:BYTE_0
	s_nop 0
	v_mul_f32_e32 v59, s59, v57
	v_and_b32_e32 v57, 0x7f800000, v59
	v_cmp_ne_u32_e64 s[0:1], s57, v57
                                        ; implicit-def: $vgpr57
	s_and_saveexec_b64 s[46:47], s[0:1]
	s_xor_b64 s[0:1], exec, s[46:47]
; %bb.98:                               ;   in Loop: Header=BB337_14 Depth=1
	v_bfe_u32 v57, v59, 16, 1
	v_add3_u32 v57, v59, v57, s58
                                        ; implicit-def: $vgpr59
; %bb.99:                               ;   in Loop: Header=BB337_14 Depth=1
	s_andn2_saveexec_b64 s[46:47], s[0:1]
; %bb.100:                              ;   in Loop: Header=BB337_14 Depth=1
	v_or_b32_e32 v57, 0x10000, v59
	v_cmp_eq_u32_sdwa s[0:1], v59, v17 src0_sel:WORD_0 src1_sel:DWORD
	s_nop 1
	v_cndmask_b32_e64 v57, v57, v59, s[0:1]
; %bb.101:                              ;   in Loop: Header=BB337_14 Depth=1
	s_or_b64 exec, exec, s[46:47]
	v_lshrrev_b16_e32 v58, 8, v58
	v_cvt_f32_fp8_sdwa v58, v58 src0_sel:BYTE_0
	s_nop 0
	v_mul_f32_e32 v59, s59, v58
	v_and_b32_e32 v58, 0x7f800000, v59
	v_cmp_ne_u32_e64 s[0:1], s57, v58
                                        ; implicit-def: $vgpr58
	s_and_saveexec_b64 s[46:47], s[0:1]
	s_xor_b64 s[0:1], exec, s[46:47]
; %bb.102:                              ;   in Loop: Header=BB337_14 Depth=1
	v_bfe_u32 v58, v59, 16, 1
	v_add3_u32 v58, v59, v58, s58
                                        ; implicit-def: $vgpr59
; %bb.103:                              ;   in Loop: Header=BB337_14 Depth=1
	s_andn2_saveexec_b64 s[46:47], s[0:1]
; %bb.104:                              ;   in Loop: Header=BB337_14 Depth=1
	v_or_b32_e32 v58, 0x10000, v59
	v_cmp_eq_u32_sdwa s[0:1], v59, v17 src0_sel:WORD_0 src1_sel:DWORD
	s_nop 1
	v_cndmask_b32_e64 v58, v58, v59, s[0:1]
; %bb.105:                              ;   in Loop: Header=BB337_14 Depth=1
	s_or_b64 exec, exec, s[46:47]
	global_load_ushort v60, v[24:25], off offset:1288
	s_waitcnt vmcnt(0)
	v_and_b32_sdwa v59, s56, v60 dst_sel:DWORD dst_unused:UNUSED_PAD src0_sel:DWORD src1_sel:BYTE_0
	v_cvt_f32_fp8_sdwa v59, v59 src0_sel:BYTE_0
	s_nop 0
	v_mul_f32_e32 v61, s59, v59
	v_and_b32_e32 v59, 0x7f800000, v61
	v_cmp_ne_u32_e64 s[0:1], s57, v59
                                        ; implicit-def: $vgpr59
	s_and_saveexec_b64 s[46:47], s[0:1]
	s_xor_b64 s[0:1], exec, s[46:47]
; %bb.106:                              ;   in Loop: Header=BB337_14 Depth=1
	v_bfe_u32 v59, v61, 16, 1
	v_add3_u32 v59, v61, v59, s58
                                        ; implicit-def: $vgpr61
; %bb.107:                              ;   in Loop: Header=BB337_14 Depth=1
	s_andn2_saveexec_b64 s[46:47], s[0:1]
; %bb.108:                              ;   in Loop: Header=BB337_14 Depth=1
	v_or_b32_e32 v59, 0x10000, v61
	v_cmp_eq_u32_sdwa s[0:1], v61, v17 src0_sel:WORD_0 src1_sel:DWORD
	s_nop 1
	v_cndmask_b32_e64 v59, v59, v61, s[0:1]
; %bb.109:                              ;   in Loop: Header=BB337_14 Depth=1
	s_or_b64 exec, exec, s[46:47]
	v_lshrrev_b16_e32 v60, 8, v60
	v_cvt_f32_fp8_sdwa v60, v60 src0_sel:BYTE_0
	s_nop 0
	v_mul_f32_e32 v61, s59, v60
	v_and_b32_e32 v60, 0x7f800000, v61
	v_cmp_ne_u32_e64 s[0:1], s57, v60
                                        ; implicit-def: $vgpr60
	s_and_saveexec_b64 s[46:47], s[0:1]
	s_xor_b64 s[0:1], exec, s[46:47]
; %bb.110:                              ;   in Loop: Header=BB337_14 Depth=1
	v_bfe_u32 v60, v61, 16, 1
	v_add3_u32 v60, v61, v60, s58
                                        ; implicit-def: $vgpr61
; %bb.111:                              ;   in Loop: Header=BB337_14 Depth=1
	s_andn2_saveexec_b64 s[46:47], s[0:1]
; %bb.112:                              ;   in Loop: Header=BB337_14 Depth=1
	v_or_b32_e32 v60, 0x10000, v61
	v_cmp_eq_u32_sdwa s[0:1], v61, v17 src0_sel:WORD_0 src1_sel:DWORD
	s_nop 1
	v_cndmask_b32_e64 v60, v60, v61, s[0:1]
; %bb.113:                              ;   in Loop: Header=BB337_14 Depth=1
	s_or_b64 exec, exec, s[46:47]
	global_load_ushort v62, v[24:25], off offset:1536
	s_waitcnt vmcnt(0)
	v_and_b32_sdwa v61, s56, v62 dst_sel:DWORD dst_unused:UNUSED_PAD src0_sel:DWORD src1_sel:BYTE_0
	v_cvt_f32_fp8_sdwa v61, v61 src0_sel:BYTE_0
	s_nop 0
	v_mul_f32_e32 v63, s59, v61
	v_and_b32_e32 v61, 0x7f800000, v63
	v_cmp_ne_u32_e64 s[0:1], s57, v61
                                        ; implicit-def: $vgpr61
	s_and_saveexec_b64 s[46:47], s[0:1]
	s_xor_b64 s[0:1], exec, s[46:47]
; %bb.114:                              ;   in Loop: Header=BB337_14 Depth=1
	v_bfe_u32 v61, v63, 16, 1
	v_add3_u32 v61, v63, v61, s58
                                        ; implicit-def: $vgpr63
; %bb.115:                              ;   in Loop: Header=BB337_14 Depth=1
	s_andn2_saveexec_b64 s[46:47], s[0:1]
; %bb.116:                              ;   in Loop: Header=BB337_14 Depth=1
	v_or_b32_e32 v61, 0x10000, v63
	v_cmp_eq_u32_sdwa s[0:1], v63, v17 src0_sel:WORD_0 src1_sel:DWORD
	s_nop 1
	v_cndmask_b32_e64 v61, v61, v63, s[0:1]
; %bb.117:                              ;   in Loop: Header=BB337_14 Depth=1
	s_or_b64 exec, exec, s[46:47]
	v_lshrrev_b16_e32 v62, 8, v62
	v_cvt_f32_fp8_sdwa v62, v62 src0_sel:BYTE_0
	s_nop 0
	v_mul_f32_e32 v63, s59, v62
	v_and_b32_e32 v62, 0x7f800000, v63
	v_cmp_ne_u32_e64 s[0:1], s57, v62
                                        ; implicit-def: $vgpr62
	s_and_saveexec_b64 s[46:47], s[0:1]
	s_xor_b64 s[0:1], exec, s[46:47]
; %bb.118:                              ;   in Loop: Header=BB337_14 Depth=1
	v_bfe_u32 v62, v63, 16, 1
	v_add3_u32 v62, v63, v62, s58
                                        ; implicit-def: $vgpr63
; %bb.119:                              ;   in Loop: Header=BB337_14 Depth=1
	s_andn2_saveexec_b64 s[46:47], s[0:1]
; %bb.120:                              ;   in Loop: Header=BB337_14 Depth=1
	v_or_b32_e32 v62, 0x10000, v63
	v_cmp_eq_u32_sdwa s[0:1], v63, v17 src0_sel:WORD_0 src1_sel:DWORD
	s_nop 1
	v_cndmask_b32_e64 v62, v62, v63, s[0:1]
; %bb.121:                              ;   in Loop: Header=BB337_14 Depth=1
	s_or_b64 exec, exec, s[46:47]
	global_load_ushort v24, v[24:25], off offset:1544
	s_waitcnt vmcnt(0)
	v_and_b32_sdwa v25, s56, v24 dst_sel:DWORD dst_unused:UNUSED_PAD src0_sel:DWORD src1_sel:BYTE_0
	v_cvt_f32_fp8_sdwa v25, v25 src0_sel:BYTE_0
	s_nop 0
	v_mul_f32_e32 v63, s59, v25
	v_and_b32_e32 v25, 0x7f800000, v63
	v_cmp_ne_u32_e64 s[0:1], s57, v25
                                        ; implicit-def: $vgpr25
	s_and_saveexec_b64 s[46:47], s[0:1]
	s_xor_b64 s[0:1], exec, s[46:47]
; %bb.122:                              ;   in Loop: Header=BB337_14 Depth=1
	v_bfe_u32 v25, v63, 16, 1
	v_add3_u32 v25, v63, v25, s58
                                        ; implicit-def: $vgpr63
; %bb.123:                              ;   in Loop: Header=BB337_14 Depth=1
	s_andn2_saveexec_b64 s[46:47], s[0:1]
; %bb.124:                              ;   in Loop: Header=BB337_14 Depth=1
	v_or_b32_e32 v25, 0x10000, v63
	v_cmp_eq_u32_sdwa s[0:1], v63, v17 src0_sel:WORD_0 src1_sel:DWORD
	s_nop 1
	v_cndmask_b32_e64 v25, v25, v63, s[0:1]
; %bb.125:                              ;   in Loop: Header=BB337_14 Depth=1
	s_or_b64 exec, exec, s[46:47]
	v_lshrrev_b16_e32 v24, 8, v24
	v_cvt_f32_fp8_sdwa v24, v24 src0_sel:BYTE_0
	s_nop 0
	v_mul_f32_e32 v63, s59, v24
	v_and_b32_e32 v24, 0x7f800000, v63
	v_cmp_ne_u32_e64 s[0:1], s57, v24
                                        ; implicit-def: $vgpr24
	s_and_saveexec_b64 s[46:47], s[0:1]
	s_xor_b64 s[0:1], exec, s[46:47]
; %bb.126:                              ;   in Loop: Header=BB337_14 Depth=1
	v_bfe_u32 v24, v63, 16, 1
	v_add3_u32 v24, v63, v24, s58
                                        ; implicit-def: $vgpr63
; %bb.127:                              ;   in Loop: Header=BB337_14 Depth=1
	s_andn2_saveexec_b64 s[46:47], s[0:1]
; %bb.128:                              ;   in Loop: Header=BB337_14 Depth=1
	v_or_b32_e32 v24, 0x10000, v63
	v_cmp_eq_u32_sdwa s[0:1], v63, v17 src0_sel:WORD_0 src1_sel:DWORD
	s_nop 1
	v_cndmask_b32_e64 v24, v24, v63, s[0:1]
; %bb.129:                              ;   in Loop: Header=BB337_14 Depth=1
	s_or_b64 exec, exec, s[46:47]
	v_and_b32_e32 v40, 0xffff0000, v40
	v_and_b32_e32 v39, 0xffff0000, v39
	v_lshlrev_b32_e32 v64, 16, v11
	v_and_b32_e32 v11, 0xffff0000, v11
	v_and_b32_e32 v38, 0xffff0000, v38
	;; [unrolled: 1-line block ×3, first 2 shown]
	v_lshlrev_b32_e32 v63, 16, v10
	v_and_b32_e32 v10, 0xffff0000, v10
	v_mul_f32_e32 v39, v64, v39
	v_mul_f32_e32 v11, v11, v40
	v_and_b32_e32 v42, 0xffff0000, v42
	v_and_b32_e32 v41, 0xffff0000, v41
	v_lshlrev_b32_e32 v65, 16, v12
	v_and_b32_e32 v12, 0xffff0000, v12
	v_fmac_f32_e32 v39, v63, v37
	v_fmac_f32_e32 v11, v10, v38
	v_and_b32_e32 v44, 0xffff0000, v44
	v_and_b32_e32 v43, 0xffff0000, v43
	v_lshlrev_b32_e32 v66, 16, v13
	v_and_b32_e32 v13, 0xffff0000, v13
	v_fmac_f32_e32 v39, v65, v41
	v_fmac_f32_e32 v11, v12, v42
	;; [unrolled: 6-line block ×9, first 2 shown]
	v_and_b32_e32 v60, 0xffff0000, v60
	v_and_b32_e32 v59, 0xffff0000, v59
	v_lshlrev_b32_e32 v74, 16, v9
	v_and_b32_e32 v77, 64, v35
	v_and_b32_e32 v9, 0xffff0000, v9
	v_fmac_f32_e32 v39, v73, v57
	v_fmac_f32_e32 v11, v8, v58
	v_and_b32_e32 v62, 0xffff0000, v62
	v_and_b32_e32 v61, 0xffff0000, v61
	v_lshlrev_b32_e32 v75, 16, v22
	v_add_u32_e32 v77, 64, v77
	v_xor_b32_e32 v78, 2, v35
	v_and_b32_e32 v22, 0xffff0000, v22
	v_fmac_f32_e32 v39, v74, v59
	v_fmac_f32_e32 v11, v9, v60
	v_and_b32_e32 v25, 0xffff0000, v25
	v_lshlrev_b32_e32 v76, 16, v23
	v_cmp_lt_i32_e64 s[0:1], v78, v77
	v_and_b32_e32 v24, 0xffff0000, v24
	v_and_b32_e32 v23, 0xffff0000, v23
	v_fmac_f32_e32 v39, v75, v61
	v_fmac_f32_e32 v11, v22, v62
	v_cndmask_b32_e64 v78, v35, v78, s[0:1]
	v_fmac_f32_e32 v39, v76, v25
	v_fmac_f32_e32 v11, v23, v24
	v_lshlrev_b32_e32 v78, 2, v78
	v_add_f32_e32 v2, v39, v11
	ds_bpermute_b32 v3, v78, v2
	v_xor_b32_e32 v4, 1, v35
	v_cmp_lt_i32_e64 s[0:1], v4, v77
	s_waitcnt lgkmcnt(0)
	v_add_f32_e32 v2, v2, v3
	v_cndmask_b32_e64 v4, v35, v4, s[0:1]
	v_lshlrev_b32_e32 v4, 2, v4
	ds_bpermute_b32 v3, v4, v2
	s_and_saveexec_b64 s[46:47], vcc
	s_cbranch_execz .LBB337_12
; %bb.130:                              ;   in Loop: Header=BB337_14 Depth=1
	v_add_u32_e32 v4, v34, v32
	v_cvt_f32_i32_e32 v4, v4
	s_waitcnt lgkmcnt(0)
	v_add_f32_e32 v2, v2, v3
	v_add_u32_e32 v5, v28, v32
	v_cmp_gt_i32_e64 s[0:1], s33, v5
	v_mul_f32_e32 v3, s51, v4
	v_cndmask_b32_e64 v3, 0, v3, s[6:7]
	v_fmac_f32_e32 v3, s43, v2
	v_cndmask_b32_e64 v2, 0, v3, s[0:1]
	ds_write_b32 v33, v2
	v_max_f32_e32 v2, v30, v30
	v_max_f32_e32 v2, v2, v3
	v_cndmask_b32_e64 v30, v30, v2, s[0:1]
	s_branch .LBB337_12
.LBB337_131:
	s_or_b64 exec, exec, s[44:45]
.LBB337_132:
	s_or_b64 exec, exec, s[18:19]
	v_mbcnt_hi_u32_b32 v2, -1, v26
	s_waitcnt lgkmcnt(0)
	v_and_b32_e32 v3, 64, v2
	v_add_u32_e32 v3, 64, v3
	v_xor_b32_e32 v4, 32, v2
	v_cmp_lt_i32_e32 vcc, v4, v3
	v_xor_b32_e32 v7, 16, v2
	v_max_f32_e32 v5, v30, v30
	v_cndmask_b32_e32 v4, v2, v4, vcc
	v_lshlrev_b32_e32 v6, 2, v4
	ds_bpermute_b32 v4, v6, v30
	v_cmp_lt_i32_e32 vcc, v7, v3
	v_xor_b32_e32 v8, 8, v2
	s_waitcnt lgkmcnt(0)
	v_max_f32_e32 v4, v4, v4
	v_max_f32_e32 v4, v5, v4
	v_cndmask_b32_e32 v5, v2, v7, vcc
	v_lshlrev_b32_e32 v7, 2, v5
	ds_bpermute_b32 v5, v7, v4
	v_cmp_lt_i32_e32 vcc, v8, v3
	s_waitcnt lgkmcnt(0)
	v_max_f32_e32 v5, v5, v5
	v_max_f32_e32 v4, v4, v5
	v_cndmask_b32_e32 v5, v2, v8, vcc
	v_lshlrev_b32_e32 v10, 2, v5
	ds_bpermute_b32 v5, v10, v4
	v_xor_b32_e32 v8, 4, v2
	v_cmp_lt_i32_e32 vcc, v8, v3
	s_waitcnt lgkmcnt(0)
	v_max_f32_e32 v5, v5, v5
	v_max_f32_e32 v5, v4, v5
	v_cndmask_b32_e32 v4, v2, v8, vcc
	v_lshlrev_b32_e32 v11, 2, v4
	ds_bpermute_b32 v9, v11, v5
	v_and_b32_e32 v4, 63, v0
	v_cmp_eq_u32_e32 vcc, 0, v4
	v_lshlrev_b32_e32 v8, 2, v27
	s_and_saveexec_b64 s[0:1], vcc
	s_cbranch_execz .LBB337_134
; %bb.133:
	s_waitcnt lgkmcnt(0)
	v_max_f32_e32 v9, v9, v9
	v_max_f32_e32 v5, v5, v5
	;; [unrolled: 1-line block ×3, first 2 shown]
	ds_write_b32 v8, v5 offset:224
.LBB337_134:
	s_or_b64 exec, exec, s[0:1]
	v_cmp_gt_u32_e64 s[0:1], 2, v4
	v_mov_b32_e32 v5, 0xff7fffff
	s_waitcnt lgkmcnt(0)
	v_lshlrev_b32_e32 v9, 2, v4
	s_barrier
	s_and_saveexec_b64 s[6:7], s[0:1]
	s_cbranch_execz .LBB337_136
; %bb.135:
	ds_read_b32 v5, v9 offset:224
.LBB337_136:
	s_or_b64 exec, exec, s[6:7]
	v_xor_b32_e32 v12, 1, v2
	v_cmp_lt_i32_e64 s[6:7], v12, v3
	v_mov_b32_e32 v13, 0
	s_nop 0
	v_cndmask_b32_e64 v12, v2, v12, s[6:7]
	v_lshlrev_b32_e32 v22, 2, v12
	s_waitcnt lgkmcnt(0)
	ds_bpermute_b32 v12, v22, v5
	v_max_f32_e32 v5, v5, v5
	s_sub_i32 s6, s49, s52
	s_lshl_b32 s6, s6, 4
	s_add_i32 s6, s6, s50
	s_waitcnt lgkmcnt(0)
	v_max_f32_e32 v12, v12, v12
	v_max_f32_e32 v5, v5, v12
	v_lshlrev_b32_e32 v12, 2, v2
	v_and_b32_e32 v12, 0x100, v12
	ds_bpermute_b32 v5, v12, v5
	s_min_i32 s44, s6, s33
	s_sub_i32 s43, s44, s50
	v_cmp_gt_i32_e64 s[6:7], s43, v0
	s_and_saveexec_b64 s[12:13], s[6:7]
	s_cbranch_execz .LBB337_140
; %bb.137:
	v_mov_b32_e32 v13, 0xf0
	v_lshl_add_u32 v16, v0, 2, v13
	s_mov_b64 s[18:19], 0
	v_mov_b32_e32 v13, 0
	v_mov_b32_e32 v17, v0
.LBB337_138:                            ; =>This Inner Loop Header: Depth=1
	ds_read_b32 v18, v16
	v_add_u32_e32 v17, 0x80, v17
	v_cmp_le_i32_e64 s[10:11], s43, v17
	s_or_b64 s[18:19], s[10:11], s[18:19]
	s_waitcnt lgkmcnt(0)
	v_sub_f32_e32 v18, v18, v5
	v_mul_f32_e32 v18, 0x3fb8aa3b, v18
	v_exp_f32_e32 v18, v18
	ds_write_b32 v16, v18
	v_add_f32_e32 v13, v13, v18
	v_add_u32_e32 v16, 0x200, v16
	s_andn2_b64 exec, exec, s[18:19]
	s_cbranch_execnz .LBB337_138
; %bb.139:
	s_or_b64 exec, exec, s[18:19]
.LBB337_140:
	s_or_b64 exec, exec, s[12:13]
	ds_bpermute_b32 v6, v6, v13
	s_waitcnt lgkmcnt(0)
	v_add_f32_e32 v6, v13, v6
	ds_bpermute_b32 v7, v7, v6
	s_waitcnt lgkmcnt(0)
	v_add_f32_e32 v6, v6, v7
	ds_bpermute_b32 v7, v10, v6
	v_xor_b32_e32 v10, 2, v2
	v_cmp_lt_i32_e64 s[10:11], v10, v3
	s_waitcnt lgkmcnt(0)
	v_add_f32_e32 v6, v6, v7
	ds_bpermute_b32 v7, v11, v6
	v_cndmask_b32_e64 v2, v2, v10, s[10:11]
	v_lshlrev_b32_e32 v2, 2, v2
	s_waitcnt lgkmcnt(0)
	v_add_f32_e32 v3, v6, v7
	ds_bpermute_b32 v2, v2, v3
	s_waitcnt lgkmcnt(0)
	v_add_f32_e32 v2, v3, v2
	ds_bpermute_b32 v3, v22, v2
	s_waitcnt lgkmcnt(0)
	v_add_f32_e32 v2, v2, v3
	s_and_saveexec_b64 s[10:11], vcc
	s_cbranch_execz .LBB337_142
; %bb.141:
	ds_write_b32 v8, v2 offset:232
.LBB337_142:
	s_or_b64 exec, exec, s[10:11]
	s_waitcnt lgkmcnt(0)
	s_barrier
	s_and_saveexec_b64 s[10:11], s[0:1]
	s_cbranch_execz .LBB337_144
; %bb.143:
	ds_read_b32 v2, v9 offset:232
.LBB337_144:
	s_or_b64 exec, exec, s[10:11]
	s_waitcnt lgkmcnt(0)
	ds_bpermute_b32 v3, v22, v2
	s_waitcnt lgkmcnt(0)
	v_add_f32_e32 v2, v2, v3
	ds_bpermute_b32 v6, v12, v2
	s_and_saveexec_b64 s[0:1], s[6:7]
	s_cbranch_execz .LBB337_157
; %bb.145:
	s_waitcnt lgkmcnt(0)
	v_add_f32_e32 v2, 0x358637bd, v6
	v_div_scale_f32 v3, s[6:7], v2, v2, 1.0
	v_rcp_f32_e32 v7, v3
	v_div_scale_f32 v8, vcc, 1.0, v2, 1.0
	s_movk_i32 s6, 0x7f
	v_fma_f32 v9, -v3, v7, 1.0
	v_fmac_f32_e32 v7, v9, v7
	v_mul_f32_e32 v9, v8, v7
	v_fma_f32 v10, -v3, v9, v8
	v_fmac_f32_e32 v9, v10, v7
	v_fma_f32 v3, -v3, v9, v8
	v_div_fmas_f32 v3, v3, v7, v9
	v_div_fixup_f32 v2, v3, v2, 1.0
	v_xad_u32 v3, v0, -1, s44
	v_subrev_u32_e32 v7, s50, v3
	v_cmp_lt_u32_e32 vcc, s6, v7
	s_mov_b64 s[10:11], -1
	v_mov_b32_e32 v3, v0
	s_and_saveexec_b64 s[6:7], vcc
	s_cbranch_execz .LBB337_154
; %bb.146:
	v_lshrrev_b32_e32 v7, 7, v7
	v_add_u32_e32 v9, -1, v7
	v_lshrrev_b32_e32 v8, 1, v9
	v_mov_b32_e32 v3, v2
	v_add_u32_e32 v8, 1, v8
	v_cmp_lt_u32_e32 vcc, 13, v9
	v_mov_b32_e32 v11, 0
	s_and_saveexec_b64 s[10:11], vcc
	s_cbranch_execz .LBB337_150
; %bb.147:
	v_mov_b32_e32 v10, 0xf0
	v_and_b32_e32 v9, -8, v8
	v_lshl_add_u32 v10, v0, 2, v10
	s_mov_b32 s18, 0
	s_mov_b64 s[12:13], 0
.LBB337_148:                            ; =>This Inner Loop Header: Depth=1
	ds_read2st64_b32 v[12:13], v10 offset1:2
	ds_read2st64_b32 v[16:17], v10 offset0:4 offset1:6
	ds_read2st64_b32 v[18:19], v10 offset0:8 offset1:10
	;; [unrolled: 1-line block ×3, first 2 shown]
	v_add_u32_e32 v9, -8, v9
	s_waitcnt lgkmcnt(3)
	v_pk_mul_f32 v[12:13], v[2:3], v[12:13]
	s_waitcnt lgkmcnt(2)
	v_pk_mul_f32 v[16:17], v[2:3], v[16:17]
	ds_write2st64_b32 v10, v12, v13 offset1:2
	ds_write2st64_b32 v10, v16, v17 offset0:4 offset1:6
	ds_read2st64_b32 v[16:17], v10 offset0:16 offset1:18
	s_waitcnt lgkmcnt(4)
	v_pk_mul_f32 v[12:13], v[2:3], v[18:19]
	ds_write2st64_b32 v10, v12, v13 offset0:8 offset1:10
	s_waitcnt lgkmcnt(4)
	v_pk_mul_f32 v[12:13], v[2:3], v[20:21]
	ds_write2st64_b32 v10, v12, v13 offset0:12 offset1:14
	ds_read2st64_b32 v[12:13], v10 offset0:20 offset1:22
	s_waitcnt lgkmcnt(3)
	v_pk_mul_f32 v[16:17], v[2:3], v[16:17]
	ds_read2st64_b32 v[18:19], v10 offset0:24 offset1:26
	ds_write2st64_b32 v10, v16, v17 offset0:16 offset1:18
	ds_read2st64_b32 v[16:17], v10 offset0:28 offset1:30
	s_waitcnt lgkmcnt(3)
	v_pk_mul_f32 v[12:13], v[2:3], v[12:13]
	ds_write2st64_b32 v10, v12, v13 offset0:20 offset1:22
	s_waitcnt lgkmcnt(3)
	v_pk_mul_f32 v[12:13], v[2:3], v[18:19]
	ds_write2st64_b32 v10, v12, v13 offset0:24 offset1:26
	s_waitcnt lgkmcnt(2)
	v_pk_mul_f32 v[12:13], v[2:3], v[16:17]
	s_add_i32 s18, s18, 16
	v_cmp_eq_u32_e32 vcc, 0, v9
	ds_write2st64_b32 v10, v12, v13 offset0:28 offset1:30
	v_add_u32_e32 v10, 0x2000, v10
	s_or_b64 s[12:13], vcc, s[12:13]
	v_mov_b32_e32 v11, s18
	s_andn2_b64 exec, exec, s[12:13]
	s_cbranch_execnz .LBB337_148
; %bb.149:
	s_or_b64 exec, exec, s[12:13]
.LBB337_150:
	s_or_b64 exec, exec, s[10:11]
	v_and_b32_e32 v8, 7, v8
	v_cmp_ne_u32_e32 vcc, 0, v8
	s_and_saveexec_b64 s[10:11], vcc
	s_cbranch_execz .LBB337_153
; %bb.151:
	v_lshlrev_b32_e32 v9, 9, v11
	v_lshlrev_b32_e32 v10, 2, v0
	s_movk_i32 s12, 0xf0
	v_add3_u32 v9, v9, v10, s12
	s_mov_b64 s[12:13], 0
.LBB337_152:                            ; =>This Inner Loop Header: Depth=1
	ds_read2st64_b32 v[10:11], v9 offset1:2
	v_add_u32_e32 v8, -1, v8
	v_cmp_eq_u32_e32 vcc, 0, v8
	s_or_b64 s[12:13], vcc, s[12:13]
	s_waitcnt lgkmcnt(0)
	v_pk_mul_f32 v[10:11], v[2:3], v[10:11]
	ds_write2st64_b32 v9, v10, v11 offset1:2
	v_add_u32_e32 v9, 0x400, v9
	s_andn2_b64 exec, exec, s[12:13]
	s_cbranch_execnz .LBB337_152
.LBB337_153:
	s_or_b64 exec, exec, s[10:11]
	v_add_u32_e32 v7, 1, v7
	v_and_b32_e32 v8, 0x3fffffe, v7
	v_cmp_ne_u32_e32 vcc, v7, v8
	v_lshl_add_u32 v3, v8, 7, v0
	s_orn2_b64 s[10:11], vcc, exec
.LBB337_154:
	s_or_b64 exec, exec, s[6:7]
	s_and_b64 exec, exec, s[10:11]
	s_cbranch_execz .LBB337_157
; %bb.155:
	v_mov_b32_e32 v7, 0xf0
	v_lshl_add_u32 v7, v3, 2, v7
	s_mov_b64 s[6:7], 0
.LBB337_156:                            ; =>This Inner Loop Header: Depth=1
	ds_read_b32 v8, v7
	v_add_u32_e32 v3, 0x80, v3
	v_cmp_le_i32_e32 vcc, s43, v3
	s_or_b64 s[6:7], vcc, s[6:7]
	s_waitcnt lgkmcnt(0)
	v_mul_f32_e32 v8, v2, v8
	ds_write_b32 v7, v8
	v_add_u32_e32 v7, 0x200, v7
	s_andn2_b64 exec, exec, s[6:7]
	s_cbranch_execnz .LBB337_156
.LBB337_157:
	s_or_b64 exec, exec, s[0:1]
	s_mul_i32 s0, s23, s34
	v_cmp_eq_u32_e32 vcc, 0, v0
	s_mul_i32 s6, s0, s5
	s_waitcnt lgkmcnt(0)
	s_barrier
	s_and_saveexec_b64 s[0:1], vcc
	s_cbranch_execz .LBB337_159
; %bb.158:
	s_ashr_i32 s7, s6, 31
	s_lshl_b64 s[10:11], s[6:7], 2
	s_add_u32 s5, s26, s10
	s_mul_i32 s12, s23, s2
	s_addc_u32 s7, s27, s11
	s_ashr_i32 s13, s12, 31
	s_lshl_b64 s[12:13], s[12:13], 2
	s_add_u32 s2, s5, s12
	s_addc_u32 s7, s7, s13
	s_ashr_i32 s5, s4, 31
	s_lshl_b64 s[18:19], s[4:5], 2
	s_add_u32 s26, s2, s18
	s_addc_u32 s27, s7, s19
	s_add_u32 s2, s24, s10
	s_addc_u32 s5, s25, s11
	;; [unrolled: 2-line block ×3, first 2 shown]
	s_add_u32 s10, s2, s18
	v_mov_b32_e32 v2, 0
	s_addc_u32 s11, s5, s19
	global_store_dword v2, v5, s[26:27]
	global_store_dword v2, v6, s[10:11]
.LBB337_159:
	s_or_b64 exec, exec, s[0:1]
	v_mov_b32_e32 v11, 0
	v_lshrrev_b32_e32 v24, 1, v4
	v_and_b32_e32 v23, 1, v0
	v_mov_b32_e32 v10, 0
	v_mov_b32_e32 v17, 0
	;; [unrolled: 1-line block ×3, first 2 shown]
	s_and_saveexec_b64 s[10:11], s[8:9]
	s_cbranch_execz .LBB337_463
; %bb.160:
	s_sub_i32 s5, s16, s21
	s_ashr_i32 s0, s20, 31
	s_add_u32 s8, s40, s20
	v_lshlrev_b32_e32 v2, 3, v0
	s_addc_u32 s9, s41, s0
	s_abs_i32 s22, s22
	v_and_b32_e32 v25, 8, v2
	v_cvt_f32_u32_e32 v2, s22
	v_or_b32_e32 v3, 0x60, v24
	s_movk_i32 s0, 0x70
	v_cmp_gt_u32_e32 vcc, s0, v3
	v_rcp_iflag_f32_e32 v2, v2
	s_sub_i32 s0, 0, s22
	v_lshl_or_b32 v18, v3, 4, v25
	s_add_i32 s24, s3, -1
	v_mul_f32_e32 v2, 0x4f7ffffe, v2
	v_cvt_u32_f32_e32 v2, v2
	v_mov_b32_e32 v13, 0
	s_mov_b32 s7, s17
	v_lshl_or_b32 v12, v24, 4, v25
	v_mul_lo_u32 v3, s0, v2
	v_mul_hi_u32 v3, v2, v3
	s_lshl_b64 s[0:1], s[38:39], 2
	v_add_u32_e32 v26, v2, v3
	s_add_u32 s0, s36, s0
	v_lshlrev_b32_e32 v2, 5, v23
	s_addc_u32 s1, s37, s1
	v_lshl_or_b32 v2, v27, 6, v2
	v_mov_b32_e32 v19, v13
	v_lshl_add_u64 v[20:21], v[14:15], 2, s[0:1]
	v_add_u32_e32 v15, 0xf0, v2
	s_mov_b64 s[12:13], 0
	s_mov_b32 s25, 0x7f800000
	s_movk_i32 s26, 0x7fff
	v_mov_b32_e32 v16, v13
	v_mov_b32_e32 v17, v13
	;; [unrolled: 1-line block ×4, first 2 shown]
	s_branch .LBB337_164
.LBB337_161:                            ;   in Loop: Header=BB337_164 Depth=1
	s_or_b64 exec, exec, s[2:3]
	v_and_b32_e32 v41, 0xffff0000, v39
	v_and_b32_e32 v40, 0xffff0000, v37
	;; [unrolled: 1-line block ×8, first 2 shown]
	v_pk_add_f32 v[2:3], v[34:35], v[38:39]
	v_pk_add_f32 v[34:35], v[36:37], v[40:41]
	v_add_f32_e32 v2, v2, v3
	v_add_f32_e32 v2, v2, v34
	;; [unrolled: 1-line block ×4, first 2 shown]
.LBB337_162:                            ;   in Loop: Header=BB337_164 Depth=1
	s_or_b64 exec, exec, s[18:19]
	v_and_b32_e32 v2, 0xffff0000, v30
	v_and_b32_e32 v30, 0xffff0000, v29
	;; [unrolled: 1-line block ×8, first 2 shown]
	v_pk_add_f32 v[8:9], v[8:9], v[28:29]
	v_pk_add_f32 v[2:3], v[30:31], v[2:3]
	v_add_f32_e32 v8, v8, v9
	v_add_f32_e32 v2, v8, v2
	;; [unrolled: 1-line block ×3, first 2 shown]
	v_and_b32_e32 v29, 0xffff0000, v43
	v_and_b32_e32 v28, 0xffff0000, v7
	;; [unrolled: 1-line block ×4, first 2 shown]
	v_add_f32_e32 v16, v16, v2
	v_and_b32_e32 v3, 0xffff0000, v47
	v_and_b32_e32 v2, 0xffff0000, v45
	;; [unrolled: 1-line block ×4, first 2 shown]
	v_pk_add_f32 v[6:7], v[6:7], v[28:29]
	v_pk_add_f32 v[2:3], v[8:9], v[2:3]
	v_add_f32_e32 v6, v6, v7
	v_add_f32_e32 v2, v6, v2
	;; [unrolled: 1-line block ×3, first 2 shown]
	v_and_b32_e32 v9, 0xffff0000, v49
	v_and_b32_e32 v8, 0xffff0000, v5
	;; [unrolled: 1-line block ×4, first 2 shown]
	v_add_f32_e32 v17, v17, v2
	v_and_b32_e32 v3, 0xffff0000, v53
	v_and_b32_e32 v2, 0xffff0000, v51
	;; [unrolled: 1-line block ×4, first 2 shown]
	v_pk_add_f32 v[4:5], v[4:5], v[8:9]
	v_pk_add_f32 v[2:3], v[6:7], v[2:3]
	v_add_f32_e32 v4, v4, v5
	v_add_f32_e32 v2, v4, v2
	;; [unrolled: 1-line block ×4, first 2 shown]
.LBB337_163:                            ;   in Loop: Header=BB337_164 Depth=1
	s_or_b64 exec, exec, s[16:17]
	v_add_u32_e32 v14, 2, v14
	v_cmp_le_i32_e64 s[0:1], s49, v14
	v_lshl_add_u64 v[20:21], v[20:21], 0, 8
	v_add_u32_e32 v1, 32, v1
	s_or_b64 s[12:13], s[0:1], s[12:13]
	v_add_u32_e32 v15, 0x80, v15
	s_andn2_b64 exec, exec, s[12:13]
	s_cbranch_execz .LBB337_462
.LBB337_164:                            ; =>This Inner Loop Header: Depth=1
	v_sub_u32_e32 v3, 0, v1
	v_max_i32_e32 v3, v1, v3
	v_mul_hi_u32 v4, v3, s35
	v_mul_lo_u32 v5, v4, s29
	v_sub_u32_e32 v3, v3, v5
	v_add_u32_e32 v5, 1, v4
	v_cmp_le_u32_e64 s[0:1], s29, v3
	v_ashrrev_i32_e32 v2, 31, v1
	v_xor_b32_e32 v2, s48, v2
	v_cndmask_b32_e64 v4, v4, v5, s[0:1]
	v_subrev_u32_e32 v5, s29, v3
	v_cndmask_b32_e64 v3, v3, v5, s[0:1]
	v_add_u32_e32 v5, 1, v4
	v_cmp_le_u32_e64 s[0:1], s29, v3
	s_nop 1
	v_cndmask_b32_e64 v3, v4, v5, s[0:1]
	v_xor_b32_e32 v3, v3, v2
	v_sub_u32_e32 v2, v3, v2
	v_add_u32_e32 v3, s42, v2
	v_sub_u32_e32 v5, 0, v3
	v_ashrrev_i32_e32 v4, 31, v3
	v_max_i32_e32 v3, v3, v5
	v_mul_hi_u32 v5, v3, v26
	v_mul_lo_u32 v5, v5, s22
	v_sub_u32_e32 v3, v3, v5
	v_subrev_u32_e32 v5, s22, v3
	v_cmp_le_u32_e64 s[0:1], s22, v3
	v_cmp_lt_i32_e64 s[2:3], s5, v2
	s_nop 0
	v_cndmask_b32_e64 v3, v3, v5, s[0:1]
	v_subrev_u32_e32 v5, s22, v3
	v_cmp_le_u32_e64 s[0:1], s22, v3
	s_nop 1
	v_cndmask_b32_e64 v3, v3, v5, s[0:1]
	v_xor_b32_e32 v3, v3, v4
	v_sub_u32_e32 v3, v3, v4
	v_cmp_eq_u32_e64 s[0:1], 0, v3
	s_or_b64 s[0:1], s[0:1], s[2:3]
	s_and_saveexec_b64 s[16:17], s[0:1]
	s_cbranch_execz .LBB337_163
; %bb.165:                              ;   in Loop: Header=BB337_164 Depth=1
	global_load_dword v33, v[20:21], off
	ds_read2_b64 v[6:9], v15 offset1:1
	ds_read2_b64 v[2:5], v15 offset0:2 offset1:3
                                        ; implicit-def: $vgpr34
	s_waitcnt lgkmcnt(1)
	v_and_b32_e32 v27, 0x7f800000, v6
	v_cmp_ne_u32_e64 s[0:1], s25, v27
	s_and_saveexec_b64 s[2:3], s[0:1]
	s_xor_b64 s[0:1], exec, s[2:3]
; %bb.166:                              ;   in Loop: Header=BB337_164 Depth=1
	v_bfe_u32 v27, v6, 16, 1
	v_add3_u32 v34, v6, v27, s26
; %bb.167:                              ;   in Loop: Header=BB337_164 Depth=1
	s_andn2_saveexec_b64 s[2:3], s[0:1]
; %bb.168:                              ;   in Loop: Header=BB337_164 Depth=1
	v_or_b32_e32 v27, 0x10000, v6
	v_cmp_eq_u32_sdwa s[0:1], v6, v13 src0_sel:WORD_0 src1_sel:DWORD
	s_nop 1
	v_cndmask_b32_e64 v34, v27, v6, s[0:1]
; %bb.169:                              ;   in Loop: Header=BB337_164 Depth=1
	s_or_b64 exec, exec, s[2:3]
	v_and_b32_e32 v6, 0x7f800000, v7
	v_cmp_ne_u32_e64 s[0:1], s25, v6
                                        ; implicit-def: $vgpr35
	s_and_saveexec_b64 s[2:3], s[0:1]
	s_xor_b64 s[0:1], exec, s[2:3]
; %bb.170:                              ;   in Loop: Header=BB337_164 Depth=1
	v_bfe_u32 v6, v7, 16, 1
	v_add3_u32 v35, v7, v6, s26
; %bb.171:                              ;   in Loop: Header=BB337_164 Depth=1
	s_andn2_saveexec_b64 s[2:3], s[0:1]
; %bb.172:                              ;   in Loop: Header=BB337_164 Depth=1
	v_or_b32_e32 v6, 0x10000, v7
	v_cmp_eq_u32_sdwa s[0:1], v7, v13 src0_sel:WORD_0 src1_sel:DWORD
	s_nop 1
	v_cndmask_b32_e64 v35, v6, v7, s[0:1]
; %bb.173:                              ;   in Loop: Header=BB337_164 Depth=1
	s_or_b64 exec, exec, s[2:3]
	v_and_b32_e32 v6, 0x7f800000, v8
	v_cmp_ne_u32_e64 s[0:1], s25, v6
                                        ; implicit-def: $vgpr27
	s_and_saveexec_b64 s[2:3], s[0:1]
	s_xor_b64 s[0:1], exec, s[2:3]
; %bb.174:                              ;   in Loop: Header=BB337_164 Depth=1
	v_bfe_u32 v6, v8, 16, 1
	v_add3_u32 v27, v8, v6, s26
; %bb.175:                              ;   in Loop: Header=BB337_164 Depth=1
	s_andn2_saveexec_b64 s[2:3], s[0:1]
; %bb.176:                              ;   in Loop: Header=BB337_164 Depth=1
	v_or_b32_e32 v6, 0x10000, v8
	v_cmp_eq_u32_sdwa s[0:1], v8, v13 src0_sel:WORD_0 src1_sel:DWORD
	s_nop 1
	v_cndmask_b32_e64 v27, v6, v8, s[0:1]
; %bb.177:                              ;   in Loop: Header=BB337_164 Depth=1
	s_or_b64 exec, exec, s[2:3]
	v_and_b32_e32 v6, 0x7f800000, v9
	v_cmp_ne_u32_e64 s[0:1], s25, v6
                                        ; implicit-def: $vgpr28
	s_and_saveexec_b64 s[2:3], s[0:1]
	s_xor_b64 s[0:1], exec, s[2:3]
; %bb.178:                              ;   in Loop: Header=BB337_164 Depth=1
	v_bfe_u32 v6, v9, 16, 1
	v_add3_u32 v28, v9, v6, s26
                                        ; implicit-def: $vgpr6_vgpr7_vgpr8_vgpr9
; %bb.179:                              ;   in Loop: Header=BB337_164 Depth=1
	s_andn2_saveexec_b64 s[2:3], s[0:1]
; %bb.180:                              ;   in Loop: Header=BB337_164 Depth=1
	v_or_b32_e32 v6, 0x10000, v9
	v_cmp_eq_u32_sdwa s[0:1], v9, v13 src0_sel:WORD_0 src1_sel:DWORD
	s_nop 1
	v_cndmask_b32_e64 v28, v6, v9, s[0:1]
; %bb.181:                              ;   in Loop: Header=BB337_164 Depth=1
	s_or_b64 exec, exec, s[2:3]
	s_waitcnt lgkmcnt(0)
	v_and_b32_e32 v6, 0x7f800000, v2
	v_cmp_ne_u32_e64 s[0:1], s25, v6
                                        ; implicit-def: $vgpr29
	s_and_saveexec_b64 s[2:3], s[0:1]
	s_xor_b64 s[0:1], exec, s[2:3]
; %bb.182:                              ;   in Loop: Header=BB337_164 Depth=1
	v_bfe_u32 v6, v2, 16, 1
	v_add3_u32 v29, v2, v6, s26
; %bb.183:                              ;   in Loop: Header=BB337_164 Depth=1
	s_andn2_saveexec_b64 s[2:3], s[0:1]
; %bb.184:                              ;   in Loop: Header=BB337_164 Depth=1
	v_or_b32_e32 v6, 0x10000, v2
	v_cmp_eq_u32_sdwa s[0:1], v2, v13 src0_sel:WORD_0 src1_sel:DWORD
	s_nop 1
	v_cndmask_b32_e64 v29, v6, v2, s[0:1]
; %bb.185:                              ;   in Loop: Header=BB337_164 Depth=1
	s_or_b64 exec, exec, s[2:3]
	v_and_b32_e32 v2, 0x7f800000, v3
	v_cmp_ne_u32_e64 s[0:1], s25, v2
                                        ; implicit-def: $vgpr30
	s_and_saveexec_b64 s[2:3], s[0:1]
	s_xor_b64 s[0:1], exec, s[2:3]
; %bb.186:                              ;   in Loop: Header=BB337_164 Depth=1
	v_bfe_u32 v2, v3, 16, 1
	v_add3_u32 v30, v3, v2, s26
; %bb.187:                              ;   in Loop: Header=BB337_164 Depth=1
	s_andn2_saveexec_b64 s[2:3], s[0:1]
; %bb.188:                              ;   in Loop: Header=BB337_164 Depth=1
	v_or_b32_e32 v2, 0x10000, v3
	v_cmp_eq_u32_sdwa s[0:1], v3, v13 src0_sel:WORD_0 src1_sel:DWORD
	s_nop 1
	v_cndmask_b32_e64 v30, v2, v3, s[0:1]
; %bb.189:                              ;   in Loop: Header=BB337_164 Depth=1
	s_or_b64 exec, exec, s[2:3]
	v_and_b32_e32 v2, 0x7f800000, v4
	v_cmp_ne_u32_e64 s[0:1], s25, v2
                                        ; implicit-def: $vgpr31
	s_and_saveexec_b64 s[2:3], s[0:1]
	s_xor_b64 s[0:1], exec, s[2:3]
; %bb.190:                              ;   in Loop: Header=BB337_164 Depth=1
	v_bfe_u32 v2, v4, 16, 1
	v_add3_u32 v31, v4, v2, s26
; %bb.191:                              ;   in Loop: Header=BB337_164 Depth=1
	s_andn2_saveexec_b64 s[2:3], s[0:1]
; %bb.192:                              ;   in Loop: Header=BB337_164 Depth=1
	v_or_b32_e32 v2, 0x10000, v4
	v_cmp_eq_u32_sdwa s[0:1], v4, v13 src0_sel:WORD_0 src1_sel:DWORD
	s_nop 1
	v_cndmask_b32_e64 v31, v2, v4, s[0:1]
; %bb.193:                              ;   in Loop: Header=BB337_164 Depth=1
	s_or_b64 exec, exec, s[2:3]
	v_and_b32_e32 v2, 0x7f800000, v5
	v_cmp_ne_u32_e64 s[0:1], s25, v2
                                        ; implicit-def: $vgpr32
	s_and_saveexec_b64 s[2:3], s[0:1]
	s_xor_b64 s[0:1], exec, s[2:3]
; %bb.194:                              ;   in Loop: Header=BB337_164 Depth=1
	v_bfe_u32 v2, v5, 16, 1
	v_add3_u32 v32, v5, v2, s26
                                        ; implicit-def: $vgpr2_vgpr3_vgpr4_vgpr5
; %bb.195:                              ;   in Loop: Header=BB337_164 Depth=1
	s_andn2_saveexec_b64 s[2:3], s[0:1]
; %bb.196:                              ;   in Loop: Header=BB337_164 Depth=1
	v_or_b32_e32 v2, 0x10000, v5
	v_cmp_eq_u32_sdwa s[0:1], v5, v13 src0_sel:WORD_0 src1_sel:DWORD
	s_nop 1
	v_cndmask_b32_e64 v32, v2, v5, s[0:1]
; %bb.197:                              ;   in Loop: Header=BB337_164 Depth=1
	s_or_b64 exec, exec, s[2:3]
	v_mov_b64_e32 v[2:3], s[8:9]
	s_waitcnt vmcnt(0)
	v_mad_i64_i32 v[2:3], s[0:1], v33, s7, v[2:3]
	v_lshl_add_u64 v[4:5], v[2:3], 0, v[12:13]
	global_load_dwordx2 v[6:7], v[4:5], off
	s_load_dword s27, s[14:15], 0x0
	s_waitcnt vmcnt(0)
	v_and_b32_e32 v8, 0xff, v6
	v_cvt_f32_fp8_sdwa v8, v8 src0_sel:BYTE_0
	s_waitcnt lgkmcnt(0)
	v_mul_f32_e32 v9, s27, v8
	v_and_b32_e32 v8, 0x7f800000, v9
	v_cmp_ne_u32_e64 s[0:1], s25, v8
                                        ; implicit-def: $vgpr8
	s_and_saveexec_b64 s[2:3], s[0:1]
	s_xor_b64 s[0:1], exec, s[2:3]
; %bb.198:                              ;   in Loop: Header=BB337_164 Depth=1
	v_bfe_u32 v8, v9, 16, 1
	v_add3_u32 v8, v9, v8, s26
                                        ; implicit-def: $vgpr9
; %bb.199:                              ;   in Loop: Header=BB337_164 Depth=1
	s_andn2_saveexec_b64 s[2:3], s[0:1]
; %bb.200:                              ;   in Loop: Header=BB337_164 Depth=1
	v_or_b32_e32 v8, 0x10000, v9
	v_cmp_eq_u32_sdwa s[0:1], v9, v13 src0_sel:WORD_0 src1_sel:DWORD
	s_nop 1
	v_cndmask_b32_e64 v8, v8, v9, s[0:1]
; %bb.201:                              ;   in Loop: Header=BB337_164 Depth=1
	s_or_b64 exec, exec, s[2:3]
	v_bfe_u32 v9, v6, 8, 8
	v_cvt_f32_fp8_sdwa v9, v9 src0_sel:BYTE_0
	s_nop 0
	v_mul_f32_e32 v33, s27, v9
	v_and_b32_e32 v9, 0x7f800000, v33
	v_cmp_ne_u32_e64 s[0:1], s25, v9
                                        ; implicit-def: $vgpr9
	s_and_saveexec_b64 s[2:3], s[0:1]
	s_xor_b64 s[0:1], exec, s[2:3]
; %bb.202:                              ;   in Loop: Header=BB337_164 Depth=1
	v_bfe_u32 v9, v33, 16, 1
	v_add3_u32 v9, v33, v9, s26
                                        ; implicit-def: $vgpr33
; %bb.203:                              ;   in Loop: Header=BB337_164 Depth=1
	s_andn2_saveexec_b64 s[2:3], s[0:1]
; %bb.204:                              ;   in Loop: Header=BB337_164 Depth=1
	v_or_b32_e32 v9, 0x10000, v33
	v_cmp_eq_u32_sdwa s[0:1], v33, v13 src0_sel:WORD_0 src1_sel:DWORD
	s_nop 1
	v_cndmask_b32_e64 v9, v9, v33, s[0:1]
; %bb.205:                              ;   in Loop: Header=BB337_164 Depth=1
	s_or_b64 exec, exec, s[2:3]
	v_bfe_u32 v33, v6, 16, 8
	v_cvt_f32_fp8_sdwa v33, v33 src0_sel:BYTE_0
	s_nop 0
	v_mul_f32_e32 v33, s27, v33
	v_and_b32_e32 v36, 0x7f800000, v33
	v_cmp_ne_u32_e64 s[0:1], s25, v36
                                        ; implicit-def: $vgpr36
	s_and_saveexec_b64 s[2:3], s[0:1]
	s_xor_b64 s[0:1], exec, s[2:3]
; %bb.206:                              ;   in Loop: Header=BB337_164 Depth=1
	v_bfe_u32 v36, v33, 16, 1
	v_add3_u32 v36, v33, v36, s26
                                        ; implicit-def: $vgpr33
; %bb.207:                              ;   in Loop: Header=BB337_164 Depth=1
	s_andn2_saveexec_b64 s[2:3], s[0:1]
; %bb.208:                              ;   in Loop: Header=BB337_164 Depth=1
	v_or_b32_e32 v36, 0x10000, v33
	v_cmp_eq_u32_sdwa s[0:1], v33, v13 src0_sel:WORD_0 src1_sel:DWORD
	s_nop 1
	v_cndmask_b32_e64 v36, v36, v33, s[0:1]
; %bb.209:                              ;   in Loop: Header=BB337_164 Depth=1
	s_or_b64 exec, exec, s[2:3]
	v_lshrrev_b32_e32 v6, 24, v6
	v_cvt_f32_fp8_sdwa v6, v6 src0_sel:BYTE_0
	s_nop 0
	v_mul_f32_e32 v33, s27, v6
	v_and_b32_e32 v6, 0x7f800000, v33
	v_cmp_ne_u32_e64 s[0:1], s25, v6
                                        ; implicit-def: $vgpr6
	s_and_saveexec_b64 s[2:3], s[0:1]
	s_xor_b64 s[0:1], exec, s[2:3]
; %bb.210:                              ;   in Loop: Header=BB337_164 Depth=1
	v_bfe_u32 v6, v33, 16, 1
	v_add3_u32 v6, v33, v6, s26
                                        ; implicit-def: $vgpr33
; %bb.211:                              ;   in Loop: Header=BB337_164 Depth=1
	s_andn2_saveexec_b64 s[2:3], s[0:1]
; %bb.212:                              ;   in Loop: Header=BB337_164 Depth=1
	v_or_b32_e32 v6, 0x10000, v33
	v_cmp_eq_u32_sdwa s[0:1], v33, v13 src0_sel:WORD_0 src1_sel:DWORD
	s_nop 1
	v_cndmask_b32_e64 v6, v6, v33, s[0:1]
; %bb.213:                              ;   in Loop: Header=BB337_164 Depth=1
	s_or_b64 exec, exec, s[2:3]
	v_and_b32_e32 v33, 0xff, v7
	v_cvt_f32_fp8_sdwa v33, v33 src0_sel:BYTE_0
	s_nop 0
	v_mul_f32_e32 v33, s27, v33
	v_and_b32_e32 v37, 0x7f800000, v33
	v_cmp_ne_u32_e64 s[0:1], s25, v37
                                        ; implicit-def: $vgpr37
	s_and_saveexec_b64 s[2:3], s[0:1]
	s_xor_b64 s[0:1], exec, s[2:3]
; %bb.214:                              ;   in Loop: Header=BB337_164 Depth=1
	v_bfe_u32 v37, v33, 16, 1
	v_add3_u32 v37, v33, v37, s26
                                        ; implicit-def: $vgpr33
; %bb.215:                              ;   in Loop: Header=BB337_164 Depth=1
	s_andn2_saveexec_b64 s[2:3], s[0:1]
; %bb.216:                              ;   in Loop: Header=BB337_164 Depth=1
	v_or_b32_e32 v37, 0x10000, v33
	v_cmp_eq_u32_sdwa s[0:1], v33, v13 src0_sel:WORD_0 src1_sel:DWORD
	s_nop 1
	v_cndmask_b32_e64 v37, v37, v33, s[0:1]
; %bb.217:                              ;   in Loop: Header=BB337_164 Depth=1
	s_or_b64 exec, exec, s[2:3]
	v_bfe_u32 v33, v7, 8, 8
	v_cvt_f32_fp8_sdwa v33, v33 src0_sel:BYTE_0
	s_nop 0
	v_mul_f32_e32 v33, s27, v33
	v_and_b32_e32 v38, 0x7f800000, v33
	v_cmp_ne_u32_e64 s[0:1], s25, v38
                                        ; implicit-def: $vgpr38
	s_and_saveexec_b64 s[2:3], s[0:1]
	s_xor_b64 s[0:1], exec, s[2:3]
; %bb.218:                              ;   in Loop: Header=BB337_164 Depth=1
	v_bfe_u32 v38, v33, 16, 1
	v_add3_u32 v38, v33, v38, s26
                                        ; implicit-def: $vgpr33
; %bb.219:                              ;   in Loop: Header=BB337_164 Depth=1
	s_andn2_saveexec_b64 s[2:3], s[0:1]
; %bb.220:                              ;   in Loop: Header=BB337_164 Depth=1
	v_or_b32_e32 v38, 0x10000, v33
	v_cmp_eq_u32_sdwa s[0:1], v33, v13 src0_sel:WORD_0 src1_sel:DWORD
	s_nop 1
	v_cndmask_b32_e64 v38, v38, v33, s[0:1]
; %bb.221:                              ;   in Loop: Header=BB337_164 Depth=1
	s_or_b64 exec, exec, s[2:3]
	v_bfe_u32 v33, v7, 16, 8
	v_cvt_f32_fp8_sdwa v33, v33 src0_sel:BYTE_0
                                        ; implicit-def: $vgpr41
	s_nop 0
	v_mul_f32_e32 v33, s27, v33
	v_and_b32_e32 v39, 0x7f800000, v33
	v_cmp_ne_u32_e64 s[0:1], s25, v39
	s_and_saveexec_b64 s[2:3], s[0:1]
	s_xor_b64 s[0:1], exec, s[2:3]
; %bb.222:                              ;   in Loop: Header=BB337_164 Depth=1
	v_bfe_u32 v39, v33, 16, 1
	v_add3_u32 v41, v33, v39, s26
                                        ; implicit-def: $vgpr33
; %bb.223:                              ;   in Loop: Header=BB337_164 Depth=1
	s_andn2_saveexec_b64 s[2:3], s[0:1]
; %bb.224:                              ;   in Loop: Header=BB337_164 Depth=1
	v_or_b32_e32 v39, 0x10000, v33
	v_cmp_eq_u32_sdwa s[0:1], v33, v13 src0_sel:WORD_0 src1_sel:DWORD
	s_nop 1
	v_cndmask_b32_e64 v41, v39, v33, s[0:1]
; %bb.225:                              ;   in Loop: Header=BB337_164 Depth=1
	s_or_b64 exec, exec, s[2:3]
	v_lshrrev_b32_e32 v7, 24, v7
	v_cvt_f32_fp8_sdwa v7, v7 src0_sel:BYTE_0
                                        ; implicit-def: $vgpr42
	s_nop 0
	v_mul_f32_e32 v7, s27, v7
	v_and_b32_e32 v33, 0x7f800000, v7
	v_cmp_ne_u32_e64 s[0:1], s25, v33
	s_and_saveexec_b64 s[2:3], s[0:1]
	s_xor_b64 s[0:1], exec, s[2:3]
; %bb.226:                              ;   in Loop: Header=BB337_164 Depth=1
	v_bfe_u32 v33, v7, 16, 1
	v_add3_u32 v42, v7, v33, s26
                                        ; implicit-def: $vgpr7
; %bb.227:                              ;   in Loop: Header=BB337_164 Depth=1
	s_andn2_saveexec_b64 s[2:3], s[0:1]
; %bb.228:                              ;   in Loop: Header=BB337_164 Depth=1
	v_or_b32_e32 v33, 0x10000, v7
	v_cmp_eq_u32_sdwa s[0:1], v7, v13 src0_sel:WORD_0 src1_sel:DWORD
	s_nop 1
	v_cndmask_b32_e64 v42, v33, v7, s[0:1]
; %bb.229:                              ;   in Loop: Header=BB337_164 Depth=1
	s_or_b64 exec, exec, s[2:3]
	v_cmp_eq_u32_e64 s[0:1], s24, v14
	v_add_u32_e32 v33, v25, v1
	v_lshrrev_b32_e32 v40, 16, v38
	v_lshrrev_b32_e32 v39, 16, v37
	;; [unrolled: 1-line block ×8, first 2 shown]
	s_and_saveexec_b64 s[18:19], s[0:1]
	s_cbranch_execz .LBB337_231
; %bb.230:                              ;   in Loop: Header=BB337_164 Depth=1
	v_cmp_gt_i32_e64 s[2:3], s33, v33
	v_add_u32_e32 v36, 1, v33
	s_nop 0
	v_cndmask_b32_e64 v8, 0, v8, s[2:3]
	v_cmp_gt_i32_e64 s[2:3], s33, v36
	v_add_u32_e32 v36, 2, v33
	s_nop 0
	v_cndmask_b32_e64 v9, 0, v9, s[2:3]
	;; [unrolled: 4-line block ×7, first 2 shown]
	v_cmp_gt_i32_e64 s[2:3], s33, v36
	s_nop 1
	v_cndmask_b32_e64 v6, 0, v6, s[2:3]
.LBB337_231:                            ;   in Loop: Header=BB337_164 Depth=1
	s_or_b64 exec, exec, s[18:19]
	v_and_b32_e32 v34, 0xffff0000, v34
	v_lshlrev_b32_e32 v8, 16, v8
	v_mul_f32_e32 v36, v34, v8
	v_and_b32_e32 v8, 0x7f800000, v36
	v_cmp_ne_u32_e64 s[2:3], s25, v8
                                        ; implicit-def: $vgpr8
	s_and_saveexec_b64 s[18:19], s[2:3]
	s_xor_b64 s[2:3], exec, s[18:19]
; %bb.232:                              ;   in Loop: Header=BB337_164 Depth=1
	v_bfe_u32 v8, v36, 16, 1
	v_add3_u32 v8, v36, v8, s26
                                        ; implicit-def: $vgpr36
; %bb.233:                              ;   in Loop: Header=BB337_164 Depth=1
	s_andn2_saveexec_b64 s[18:19], s[2:3]
; %bb.234:                              ;   in Loop: Header=BB337_164 Depth=1
	v_or_b32_e32 v8, 0x10000, v36
	v_cmp_eq_u32_sdwa s[2:3], v36, v13 src0_sel:WORD_0 src1_sel:DWORD
	s_nop 1
	v_cndmask_b32_e64 v8, v8, v36, s[2:3]
; %bb.235:                              ;   in Loop: Header=BB337_164 Depth=1
	s_or_b64 exec, exec, s[18:19]
	v_and_b32_e32 v35, 0xffff0000, v35
	v_lshlrev_b32_e32 v9, 16, v9
	v_mul_f32_e32 v36, v35, v9
	v_and_b32_e32 v9, 0x7f800000, v36
	v_cmp_ne_u32_e64 s[2:3], s25, v9
                                        ; implicit-def: $vgpr9
	s_and_saveexec_b64 s[18:19], s[2:3]
	s_xor_b64 s[2:3], exec, s[18:19]
; %bb.236:                              ;   in Loop: Header=BB337_164 Depth=1
	v_bfe_u32 v9, v36, 16, 1
	v_add3_u32 v9, v36, v9, s26
                                        ; implicit-def: $vgpr36
; %bb.237:                              ;   in Loop: Header=BB337_164 Depth=1
	s_andn2_saveexec_b64 s[18:19], s[2:3]
; %bb.238:                              ;   in Loop: Header=BB337_164 Depth=1
	v_or_b32_e32 v9, 0x10000, v36
	v_cmp_eq_u32_sdwa s[2:3], v36, v13 src0_sel:WORD_0 src1_sel:DWORD
	s_nop 1
	v_cndmask_b32_e64 v9, v9, v36, s[2:3]
; %bb.239:                              ;   in Loop: Header=BB337_164 Depth=1
	s_or_b64 exec, exec, s[18:19]
	v_and_b32_e32 v36, 0xffff0000, v27
	v_lshlrev_b32_e32 v27, 16, v37
	v_mul_f32_e32 v37, v36, v27
	v_and_b32_e32 v27, 0x7f800000, v37
	v_cmp_ne_u32_e64 s[2:3], s25, v27
                                        ; implicit-def: $vgpr27
	s_and_saveexec_b64 s[18:19], s[2:3]
	s_xor_b64 s[2:3], exec, s[18:19]
; %bb.240:                              ;   in Loop: Header=BB337_164 Depth=1
	v_bfe_u32 v27, v37, 16, 1
	v_add3_u32 v27, v37, v27, s26
                                        ; implicit-def: $vgpr37
; %bb.241:                              ;   in Loop: Header=BB337_164 Depth=1
	s_andn2_saveexec_b64 s[18:19], s[2:3]
; %bb.242:                              ;   in Loop: Header=BB337_164 Depth=1
	v_or_b32_e32 v27, 0x10000, v37
	v_cmp_eq_u32_sdwa s[2:3], v37, v13 src0_sel:WORD_0 src1_sel:DWORD
	s_nop 1
	v_cndmask_b32_e64 v27, v27, v37, s[2:3]
; %bb.243:                              ;   in Loop: Header=BB337_164 Depth=1
	s_or_b64 exec, exec, s[18:19]
	v_and_b32_e32 v37, 0xffff0000, v28
	v_lshlrev_b32_e32 v28, 16, v38
	v_mul_f32_e32 v38, v37, v28
	v_and_b32_e32 v28, 0x7f800000, v38
	v_cmp_ne_u32_e64 s[2:3], s25, v28
                                        ; implicit-def: $vgpr28
	s_and_saveexec_b64 s[18:19], s[2:3]
	s_xor_b64 s[2:3], exec, s[18:19]
; %bb.244:                              ;   in Loop: Header=BB337_164 Depth=1
	v_bfe_u32 v28, v38, 16, 1
	v_add3_u32 v28, v38, v28, s26
                                        ; implicit-def: $vgpr38
; %bb.245:                              ;   in Loop: Header=BB337_164 Depth=1
	s_andn2_saveexec_b64 s[18:19], s[2:3]
; %bb.246:                              ;   in Loop: Header=BB337_164 Depth=1
	v_or_b32_e32 v28, 0x10000, v38
	v_cmp_eq_u32_sdwa s[2:3], v38, v13 src0_sel:WORD_0 src1_sel:DWORD
	s_nop 1
	v_cndmask_b32_e64 v28, v28, v38, s[2:3]
; %bb.247:                              ;   in Loop: Header=BB337_164 Depth=1
	s_or_b64 exec, exec, s[18:19]
	v_and_b32_e32 v38, 0xffff0000, v29
	v_lshlrev_b32_e32 v29, 16, v39
	v_mul_f32_e32 v39, v38, v29
	v_and_b32_e32 v29, 0x7f800000, v39
	v_cmp_ne_u32_e64 s[2:3], s25, v29
                                        ; implicit-def: $vgpr29
	s_and_saveexec_b64 s[18:19], s[2:3]
	s_xor_b64 s[2:3], exec, s[18:19]
; %bb.248:                              ;   in Loop: Header=BB337_164 Depth=1
	v_bfe_u32 v29, v39, 16, 1
	v_add3_u32 v29, v39, v29, s26
                                        ; implicit-def: $vgpr39
; %bb.249:                              ;   in Loop: Header=BB337_164 Depth=1
	s_andn2_saveexec_b64 s[18:19], s[2:3]
; %bb.250:                              ;   in Loop: Header=BB337_164 Depth=1
	v_or_b32_e32 v29, 0x10000, v39
	v_cmp_eq_u32_sdwa s[2:3], v39, v13 src0_sel:WORD_0 src1_sel:DWORD
	s_nop 1
	v_cndmask_b32_e64 v29, v29, v39, s[2:3]
; %bb.251:                              ;   in Loop: Header=BB337_164 Depth=1
	s_or_b64 exec, exec, s[18:19]
	v_and_b32_e32 v39, 0xffff0000, v30
	v_lshlrev_b32_e32 v30, 16, v40
	v_mul_f32_e32 v40, v39, v30
	v_and_b32_e32 v30, 0x7f800000, v40
	v_cmp_ne_u32_e64 s[2:3], s25, v30
                                        ; implicit-def: $vgpr30
	s_and_saveexec_b64 s[18:19], s[2:3]
	s_xor_b64 s[2:3], exec, s[18:19]
; %bb.252:                              ;   in Loop: Header=BB337_164 Depth=1
	v_bfe_u32 v30, v40, 16, 1
	v_add3_u32 v30, v40, v30, s26
                                        ; implicit-def: $vgpr40
; %bb.253:                              ;   in Loop: Header=BB337_164 Depth=1
	s_andn2_saveexec_b64 s[18:19], s[2:3]
; %bb.254:                              ;   in Loop: Header=BB337_164 Depth=1
	v_or_b32_e32 v30, 0x10000, v40
	v_cmp_eq_u32_sdwa s[2:3], v40, v13 src0_sel:WORD_0 src1_sel:DWORD
	s_nop 1
	v_cndmask_b32_e64 v30, v30, v40, s[2:3]
; %bb.255:                              ;   in Loop: Header=BB337_164 Depth=1
	s_or_b64 exec, exec, s[18:19]
	v_and_b32_e32 v40, 0xffff0000, v31
	v_lshlrev_b32_e32 v7, 16, v7
	v_mul_f32_e32 v7, v40, v7
	v_and_b32_e32 v31, 0x7f800000, v7
	v_cmp_ne_u32_e64 s[2:3], s25, v31
                                        ; implicit-def: $vgpr31
	s_and_saveexec_b64 s[18:19], s[2:3]
	s_xor_b64 s[2:3], exec, s[18:19]
; %bb.256:                              ;   in Loop: Header=BB337_164 Depth=1
	v_bfe_u32 v31, v7, 16, 1
	v_add3_u32 v31, v7, v31, s26
                                        ; implicit-def: $vgpr7
; %bb.257:                              ;   in Loop: Header=BB337_164 Depth=1
	s_andn2_saveexec_b64 s[18:19], s[2:3]
; %bb.258:                              ;   in Loop: Header=BB337_164 Depth=1
	v_or_b32_e32 v31, 0x10000, v7
	v_cmp_eq_u32_sdwa s[2:3], v7, v13 src0_sel:WORD_0 src1_sel:DWORD
	s_nop 1
	v_cndmask_b32_e64 v31, v31, v7, s[2:3]
; %bb.259:                              ;   in Loop: Header=BB337_164 Depth=1
	s_or_b64 exec, exec, s[18:19]
	v_and_b32_e32 v41, 0xffff0000, v32
	v_lshlrev_b32_e32 v6, 16, v6
	v_mul_f32_e32 v6, v41, v6
	v_and_b32_e32 v7, 0x7f800000, v6
	v_cmp_ne_u32_e64 s[2:3], s25, v7
                                        ; implicit-def: $vgpr32
	s_and_saveexec_b64 s[18:19], s[2:3]
	s_xor_b64 s[2:3], exec, s[18:19]
; %bb.260:                              ;   in Loop: Header=BB337_164 Depth=1
	v_bfe_u32 v7, v6, 16, 1
	v_add3_u32 v32, v6, v7, s26
                                        ; implicit-def: $vgpr6
; %bb.261:                              ;   in Loop: Header=BB337_164 Depth=1
	s_andn2_saveexec_b64 s[18:19], s[2:3]
; %bb.262:                              ;   in Loop: Header=BB337_164 Depth=1
	v_or_b32_e32 v7, 0x10000, v6
	v_cmp_eq_u32_sdwa s[2:3], v6, v13 src0_sel:WORD_0 src1_sel:DWORD
	s_nop 1
	v_cndmask_b32_e64 v32, v7, v6, s[2:3]
; %bb.263:                              ;   in Loop: Header=BB337_164 Depth=1
	s_or_b64 exec, exec, s[18:19]
	global_load_dwordx2 v[6:7], v[4:5], off offset:512
	s_waitcnt vmcnt(0)
	v_and_b32_e32 v42, 0xff, v6
	v_cvt_f32_fp8_sdwa v42, v42 src0_sel:BYTE_0
	s_nop 0
	v_mul_f32_e32 v43, s27, v42
	v_and_b32_e32 v42, 0x7f800000, v43
	v_cmp_ne_u32_e64 s[2:3], s25, v42
                                        ; implicit-def: $vgpr42
	s_and_saveexec_b64 s[18:19], s[2:3]
	s_xor_b64 s[2:3], exec, s[18:19]
; %bb.264:                              ;   in Loop: Header=BB337_164 Depth=1
	v_bfe_u32 v42, v43, 16, 1
	v_add3_u32 v42, v43, v42, s26
                                        ; implicit-def: $vgpr43
; %bb.265:                              ;   in Loop: Header=BB337_164 Depth=1
	s_andn2_saveexec_b64 s[18:19], s[2:3]
; %bb.266:                              ;   in Loop: Header=BB337_164 Depth=1
	v_or_b32_e32 v42, 0x10000, v43
	v_cmp_eq_u32_sdwa s[2:3], v43, v13 src0_sel:WORD_0 src1_sel:DWORD
	s_nop 1
	v_cndmask_b32_e64 v42, v42, v43, s[2:3]
; %bb.267:                              ;   in Loop: Header=BB337_164 Depth=1
	s_or_b64 exec, exec, s[18:19]
	v_bfe_u32 v43, v6, 8, 8
	v_cvt_f32_fp8_sdwa v43, v43 src0_sel:BYTE_0
	s_nop 0
	v_mul_f32_e32 v44, s27, v43
	v_and_b32_e32 v43, 0x7f800000, v44
	v_cmp_ne_u32_e64 s[2:3], s25, v43
                                        ; implicit-def: $vgpr43
	s_and_saveexec_b64 s[18:19], s[2:3]
	s_xor_b64 s[2:3], exec, s[18:19]
; %bb.268:                              ;   in Loop: Header=BB337_164 Depth=1
	v_bfe_u32 v43, v44, 16, 1
	v_add3_u32 v43, v44, v43, s26
                                        ; implicit-def: $vgpr44
; %bb.269:                              ;   in Loop: Header=BB337_164 Depth=1
	s_andn2_saveexec_b64 s[18:19], s[2:3]
; %bb.270:                              ;   in Loop: Header=BB337_164 Depth=1
	v_or_b32_e32 v43, 0x10000, v44
	v_cmp_eq_u32_sdwa s[2:3], v44, v13 src0_sel:WORD_0 src1_sel:DWORD
	s_nop 1
	v_cndmask_b32_e64 v43, v43, v44, s[2:3]
; %bb.271:                              ;   in Loop: Header=BB337_164 Depth=1
	s_or_b64 exec, exec, s[18:19]
	v_bfe_u32 v44, v6, 16, 8
	v_cvt_f32_fp8_sdwa v44, v44 src0_sel:BYTE_0
	s_nop 0
	v_mul_f32_e32 v45, s27, v44
	v_and_b32_e32 v44, 0x7f800000, v45
	v_cmp_ne_u32_e64 s[2:3], s25, v44
                                        ; implicit-def: $vgpr44
	s_and_saveexec_b64 s[18:19], s[2:3]
	s_xor_b64 s[2:3], exec, s[18:19]
; %bb.272:                              ;   in Loop: Header=BB337_164 Depth=1
	v_bfe_u32 v44, v45, 16, 1
	v_add3_u32 v44, v45, v44, s26
                                        ; implicit-def: $vgpr45
; %bb.273:                              ;   in Loop: Header=BB337_164 Depth=1
	s_andn2_saveexec_b64 s[18:19], s[2:3]
; %bb.274:                              ;   in Loop: Header=BB337_164 Depth=1
	v_or_b32_e32 v44, 0x10000, v45
	v_cmp_eq_u32_sdwa s[2:3], v45, v13 src0_sel:WORD_0 src1_sel:DWORD
	s_nop 1
	v_cndmask_b32_e64 v44, v44, v45, s[2:3]
; %bb.275:                              ;   in Loop: Header=BB337_164 Depth=1
	s_or_b64 exec, exec, s[18:19]
	v_lshrrev_b32_e32 v6, 24, v6
	v_cvt_f32_fp8_sdwa v6, v6 src0_sel:BYTE_0
	s_nop 0
	v_mul_f32_e32 v45, s27, v6
	v_and_b32_e32 v6, 0x7f800000, v45
	v_cmp_ne_u32_e64 s[2:3], s25, v6
                                        ; implicit-def: $vgpr6
	s_and_saveexec_b64 s[18:19], s[2:3]
	s_xor_b64 s[2:3], exec, s[18:19]
; %bb.276:                              ;   in Loop: Header=BB337_164 Depth=1
	v_bfe_u32 v6, v45, 16, 1
	v_add3_u32 v6, v45, v6, s26
                                        ; implicit-def: $vgpr45
; %bb.277:                              ;   in Loop: Header=BB337_164 Depth=1
	s_andn2_saveexec_b64 s[18:19], s[2:3]
; %bb.278:                              ;   in Loop: Header=BB337_164 Depth=1
	v_or_b32_e32 v6, 0x10000, v45
	v_cmp_eq_u32_sdwa s[2:3], v45, v13 src0_sel:WORD_0 src1_sel:DWORD
	s_nop 1
	v_cndmask_b32_e64 v6, v6, v45, s[2:3]
; %bb.279:                              ;   in Loop: Header=BB337_164 Depth=1
	s_or_b64 exec, exec, s[18:19]
	v_and_b32_e32 v45, 0xff, v7
	v_cvt_f32_fp8_sdwa v45, v45 src0_sel:BYTE_0
	s_nop 0
	v_mul_f32_e32 v45, s27, v45
	v_and_b32_e32 v46, 0x7f800000, v45
	v_cmp_ne_u32_e64 s[2:3], s25, v46
                                        ; implicit-def: $vgpr46
	s_and_saveexec_b64 s[18:19], s[2:3]
	s_xor_b64 s[2:3], exec, s[18:19]
; %bb.280:                              ;   in Loop: Header=BB337_164 Depth=1
	v_bfe_u32 v46, v45, 16, 1
	v_add3_u32 v46, v45, v46, s26
                                        ; implicit-def: $vgpr45
; %bb.281:                              ;   in Loop: Header=BB337_164 Depth=1
	s_andn2_saveexec_b64 s[18:19], s[2:3]
; %bb.282:                              ;   in Loop: Header=BB337_164 Depth=1
	v_or_b32_e32 v46, 0x10000, v45
	v_cmp_eq_u32_sdwa s[2:3], v45, v13 src0_sel:WORD_0 src1_sel:DWORD
	s_nop 1
	v_cndmask_b32_e64 v46, v46, v45, s[2:3]
; %bb.283:                              ;   in Loop: Header=BB337_164 Depth=1
	s_or_b64 exec, exec, s[18:19]
	v_bfe_u32 v45, v7, 8, 8
	v_cvt_f32_fp8_sdwa v45, v45 src0_sel:BYTE_0
	s_nop 0
	v_mul_f32_e32 v47, s27, v45
	v_and_b32_e32 v45, 0x7f800000, v47
	v_cmp_ne_u32_e64 s[2:3], s25, v45
                                        ; implicit-def: $vgpr45
	s_and_saveexec_b64 s[18:19], s[2:3]
	s_xor_b64 s[2:3], exec, s[18:19]
; %bb.284:                              ;   in Loop: Header=BB337_164 Depth=1
	v_bfe_u32 v45, v47, 16, 1
	v_add3_u32 v45, v47, v45, s26
                                        ; implicit-def: $vgpr47
; %bb.285:                              ;   in Loop: Header=BB337_164 Depth=1
	s_andn2_saveexec_b64 s[18:19], s[2:3]
; %bb.286:                              ;   in Loop: Header=BB337_164 Depth=1
	v_or_b32_e32 v45, 0x10000, v47
	v_cmp_eq_u32_sdwa s[2:3], v47, v13 src0_sel:WORD_0 src1_sel:DWORD
	s_nop 1
	v_cndmask_b32_e64 v45, v45, v47, s[2:3]
; %bb.287:                              ;   in Loop: Header=BB337_164 Depth=1
	s_or_b64 exec, exec, s[18:19]
	v_bfe_u32 v47, v7, 16, 8
	v_cvt_f32_fp8_sdwa v47, v47 src0_sel:BYTE_0
	s_nop 0
	v_mul_f32_e32 v48, s27, v47
	v_and_b32_e32 v47, 0x7f800000, v48
	v_cmp_ne_u32_e64 s[2:3], s25, v47
                                        ; implicit-def: $vgpr47
	s_and_saveexec_b64 s[18:19], s[2:3]
	s_xor_b64 s[2:3], exec, s[18:19]
; %bb.288:                              ;   in Loop: Header=BB337_164 Depth=1
	v_bfe_u32 v47, v48, 16, 1
	v_add3_u32 v47, v48, v47, s26
                                        ; implicit-def: $vgpr48
; %bb.289:                              ;   in Loop: Header=BB337_164 Depth=1
	s_andn2_saveexec_b64 s[18:19], s[2:3]
; %bb.290:                              ;   in Loop: Header=BB337_164 Depth=1
	v_or_b32_e32 v47, 0x10000, v48
	v_cmp_eq_u32_sdwa s[2:3], v48, v13 src0_sel:WORD_0 src1_sel:DWORD
	s_nop 1
	v_cndmask_b32_e64 v47, v47, v48, s[2:3]
; %bb.291:                              ;   in Loop: Header=BB337_164 Depth=1
	s_or_b64 exec, exec, s[18:19]
	v_lshrrev_b32_e32 v7, 24, v7
	v_cvt_f32_fp8_sdwa v7, v7 src0_sel:BYTE_0
                                        ; implicit-def: $vgpr50
	s_nop 0
	v_mul_f32_e32 v7, s27, v7
	v_and_b32_e32 v48, 0x7f800000, v7
	v_cmp_ne_u32_e64 s[2:3], s25, v48
	s_and_saveexec_b64 s[18:19], s[2:3]
	s_xor_b64 s[2:3], exec, s[18:19]
; %bb.292:                              ;   in Loop: Header=BB337_164 Depth=1
	v_bfe_u32 v48, v7, 16, 1
	v_add3_u32 v50, v7, v48, s26
                                        ; implicit-def: $vgpr7
; %bb.293:                              ;   in Loop: Header=BB337_164 Depth=1
	s_andn2_saveexec_b64 s[18:19], s[2:3]
; %bb.294:                              ;   in Loop: Header=BB337_164 Depth=1
	v_or_b32_e32 v48, 0x10000, v7
	v_cmp_eq_u32_sdwa s[2:3], v7, v13 src0_sel:WORD_0 src1_sel:DWORD
	s_nop 1
	v_cndmask_b32_e64 v50, v48, v7, s[2:3]
; %bb.295:                              ;   in Loop: Header=BB337_164 Depth=1
	s_or_b64 exec, exec, s[18:19]
	v_lshrrev_b32_e32 v45, 16, v45
	v_lshrrev_b32_e32 v48, 16, v46
	;; [unrolled: 1-line block ×8, first 2 shown]
	s_and_saveexec_b64 s[18:19], s[0:1]
	s_cbranch_execz .LBB337_297
; %bb.296:                              ;   in Loop: Header=BB337_164 Depth=1
	v_cmp_gt_i32_e64 s[2:3], s33, v33
	v_add_u32_e32 v42, 1, v33
	s_nop 0
	v_cndmask_b32_e64 v6, 0, v6, s[2:3]
	v_cmp_gt_i32_e64 s[2:3], s33, v42
	v_add_u32_e32 v42, 2, v33
	s_nop 0
	v_cndmask_b32_e64 v7, 0, v7, s[2:3]
	;; [unrolled: 4-line block ×7, first 2 shown]
	v_cmp_gt_i32_e64 s[2:3], s33, v42
	s_nop 1
	v_cndmask_b32_e64 v47, 0, v47, s[2:3]
.LBB337_297:                            ;   in Loop: Header=BB337_164 Depth=1
	s_or_b64 exec, exec, s[18:19]
	v_lshlrev_b32_e32 v6, 16, v6
	v_mul_f32_e32 v42, v34, v6
	v_and_b32_e32 v6, 0x7f800000, v42
	v_cmp_ne_u32_e64 s[2:3], s25, v6
                                        ; implicit-def: $vgpr6
	s_and_saveexec_b64 s[18:19], s[2:3]
	s_xor_b64 s[2:3], exec, s[18:19]
; %bb.298:                              ;   in Loop: Header=BB337_164 Depth=1
	v_bfe_u32 v6, v42, 16, 1
	v_add3_u32 v6, v42, v6, s26
                                        ; implicit-def: $vgpr42
; %bb.299:                              ;   in Loop: Header=BB337_164 Depth=1
	s_andn2_saveexec_b64 s[18:19], s[2:3]
; %bb.300:                              ;   in Loop: Header=BB337_164 Depth=1
	v_or_b32_e32 v6, 0x10000, v42
	v_cmp_eq_u32_sdwa s[2:3], v42, v13 src0_sel:WORD_0 src1_sel:DWORD
	s_nop 1
	v_cndmask_b32_e64 v6, v6, v42, s[2:3]
; %bb.301:                              ;   in Loop: Header=BB337_164 Depth=1
	s_or_b64 exec, exec, s[18:19]
	v_lshlrev_b32_e32 v7, 16, v7
	v_mul_f32_e32 v42, v35, v7
	v_and_b32_e32 v7, 0x7f800000, v42
	v_cmp_ne_u32_e64 s[2:3], s25, v7
                                        ; implicit-def: $vgpr7
	s_and_saveexec_b64 s[18:19], s[2:3]
	s_xor_b64 s[2:3], exec, s[18:19]
; %bb.302:                              ;   in Loop: Header=BB337_164 Depth=1
	v_bfe_u32 v7, v42, 16, 1
	v_add3_u32 v7, v42, v7, s26
                                        ; implicit-def: $vgpr42
; %bb.303:                              ;   in Loop: Header=BB337_164 Depth=1
	s_andn2_saveexec_b64 s[18:19], s[2:3]
; %bb.304:                              ;   in Loop: Header=BB337_164 Depth=1
	v_or_b32_e32 v7, 0x10000, v42
	v_cmp_eq_u32_sdwa s[2:3], v42, v13 src0_sel:WORD_0 src1_sel:DWORD
	s_nop 1
	v_cndmask_b32_e64 v7, v7, v42, s[2:3]
; %bb.305:                              ;   in Loop: Header=BB337_164 Depth=1
	s_or_b64 exec, exec, s[18:19]
	v_lshlrev_b32_e32 v42, 16, v44
	v_mul_f32_e32 v43, v36, v42
	v_and_b32_e32 v42, 0x7f800000, v43
	v_cmp_ne_u32_e64 s[2:3], s25, v42
                                        ; implicit-def: $vgpr42
	s_and_saveexec_b64 s[18:19], s[2:3]
	s_xor_b64 s[2:3], exec, s[18:19]
; %bb.306:                              ;   in Loop: Header=BB337_164 Depth=1
	v_bfe_u32 v42, v43, 16, 1
	v_add3_u32 v42, v43, v42, s26
                                        ; implicit-def: $vgpr43
; %bb.307:                              ;   in Loop: Header=BB337_164 Depth=1
	s_andn2_saveexec_b64 s[18:19], s[2:3]
; %bb.308:                              ;   in Loop: Header=BB337_164 Depth=1
	v_or_b32_e32 v42, 0x10000, v43
	v_cmp_eq_u32_sdwa s[2:3], v43, v13 src0_sel:WORD_0 src1_sel:DWORD
	s_nop 1
	v_cndmask_b32_e64 v42, v42, v43, s[2:3]
; %bb.309:                              ;   in Loop: Header=BB337_164 Depth=1
	s_or_b64 exec, exec, s[18:19]
	v_lshlrev_b32_e32 v43, 16, v49
	v_mul_f32_e32 v44, v37, v43
	v_and_b32_e32 v43, 0x7f800000, v44
	v_cmp_ne_u32_e64 s[2:3], s25, v43
                                        ; implicit-def: $vgpr43
	s_and_saveexec_b64 s[18:19], s[2:3]
	s_xor_b64 s[2:3], exec, s[18:19]
; %bb.310:                              ;   in Loop: Header=BB337_164 Depth=1
	v_bfe_u32 v43, v44, 16, 1
	v_add3_u32 v43, v44, v43, s26
                                        ; implicit-def: $vgpr44
; %bb.311:                              ;   in Loop: Header=BB337_164 Depth=1
	s_andn2_saveexec_b64 s[18:19], s[2:3]
; %bb.312:                              ;   in Loop: Header=BB337_164 Depth=1
	v_or_b32_e32 v43, 0x10000, v44
	v_cmp_eq_u32_sdwa s[2:3], v44, v13 src0_sel:WORD_0 src1_sel:DWORD
	s_nop 1
	v_cndmask_b32_e64 v43, v43, v44, s[2:3]
; %bb.313:                              ;   in Loop: Header=BB337_164 Depth=1
	s_or_b64 exec, exec, s[18:19]
	v_lshlrev_b32_e32 v44, 16, v48
	v_mul_f32_e32 v48, v38, v44
	v_and_b32_e32 v44, 0x7f800000, v48
	v_cmp_ne_u32_e64 s[2:3], s25, v44
                                        ; implicit-def: $vgpr44
	s_and_saveexec_b64 s[18:19], s[2:3]
	s_xor_b64 s[2:3], exec, s[18:19]
; %bb.314:                              ;   in Loop: Header=BB337_164 Depth=1
	v_bfe_u32 v44, v48, 16, 1
	v_add3_u32 v44, v48, v44, s26
                                        ; implicit-def: $vgpr48
; %bb.315:                              ;   in Loop: Header=BB337_164 Depth=1
	s_andn2_saveexec_b64 s[18:19], s[2:3]
; %bb.316:                              ;   in Loop: Header=BB337_164 Depth=1
	v_or_b32_e32 v44, 0x10000, v48
	v_cmp_eq_u32_sdwa s[2:3], v48, v13 src0_sel:WORD_0 src1_sel:DWORD
	s_nop 1
	v_cndmask_b32_e64 v44, v44, v48, s[2:3]
; %bb.317:                              ;   in Loop: Header=BB337_164 Depth=1
	s_or_b64 exec, exec, s[18:19]
	v_lshlrev_b32_e32 v45, 16, v45
	v_mul_f32_e32 v48, v39, v45
	v_and_b32_e32 v45, 0x7f800000, v48
	v_cmp_ne_u32_e64 s[2:3], s25, v45
                                        ; implicit-def: $vgpr45
	s_and_saveexec_b64 s[18:19], s[2:3]
	s_xor_b64 s[2:3], exec, s[18:19]
; %bb.318:                              ;   in Loop: Header=BB337_164 Depth=1
	v_bfe_u32 v45, v48, 16, 1
	v_add3_u32 v45, v48, v45, s26
                                        ; implicit-def: $vgpr48
; %bb.319:                              ;   in Loop: Header=BB337_164 Depth=1
	s_andn2_saveexec_b64 s[18:19], s[2:3]
; %bb.320:                              ;   in Loop: Header=BB337_164 Depth=1
	v_or_b32_e32 v45, 0x10000, v48
	v_cmp_eq_u32_sdwa s[2:3], v48, v13 src0_sel:WORD_0 src1_sel:DWORD
	s_nop 1
	v_cndmask_b32_e64 v45, v45, v48, s[2:3]
; %bb.321:                              ;   in Loop: Header=BB337_164 Depth=1
	s_or_b64 exec, exec, s[18:19]
	v_lshlrev_b32_e32 v46, 16, v46
	v_mul_f32_e32 v48, v40, v46
	v_and_b32_e32 v46, 0x7f800000, v48
	v_cmp_ne_u32_e64 s[2:3], s25, v46
                                        ; implicit-def: $vgpr46
	s_and_saveexec_b64 s[18:19], s[2:3]
	s_xor_b64 s[2:3], exec, s[18:19]
; %bb.322:                              ;   in Loop: Header=BB337_164 Depth=1
	v_bfe_u32 v46, v48, 16, 1
	v_add3_u32 v46, v48, v46, s26
                                        ; implicit-def: $vgpr48
; %bb.323:                              ;   in Loop: Header=BB337_164 Depth=1
	s_andn2_saveexec_b64 s[18:19], s[2:3]
; %bb.324:                              ;   in Loop: Header=BB337_164 Depth=1
	v_or_b32_e32 v46, 0x10000, v48
	v_cmp_eq_u32_sdwa s[2:3], v48, v13 src0_sel:WORD_0 src1_sel:DWORD
	s_nop 1
	v_cndmask_b32_e64 v46, v46, v48, s[2:3]
; %bb.325:                              ;   in Loop: Header=BB337_164 Depth=1
	s_or_b64 exec, exec, s[18:19]
	v_lshlrev_b32_e32 v47, 16, v47
	v_mul_f32_e32 v48, v41, v47
	v_and_b32_e32 v47, 0x7f800000, v48
	v_cmp_ne_u32_e64 s[2:3], s25, v47
                                        ; implicit-def: $vgpr47
	s_and_saveexec_b64 s[18:19], s[2:3]
	s_xor_b64 s[2:3], exec, s[18:19]
; %bb.326:                              ;   in Loop: Header=BB337_164 Depth=1
	v_bfe_u32 v47, v48, 16, 1
	v_add3_u32 v47, v48, v47, s26
                                        ; implicit-def: $vgpr48
; %bb.327:                              ;   in Loop: Header=BB337_164 Depth=1
	s_andn2_saveexec_b64 s[18:19], s[2:3]
; %bb.328:                              ;   in Loop: Header=BB337_164 Depth=1
	v_or_b32_e32 v47, 0x10000, v48
	v_cmp_eq_u32_sdwa s[2:3], v48, v13 src0_sel:WORD_0 src1_sel:DWORD
	s_nop 1
	v_cndmask_b32_e64 v47, v47, v48, s[2:3]
; %bb.329:                              ;   in Loop: Header=BB337_164 Depth=1
	s_or_b64 exec, exec, s[18:19]
	global_load_dwordx2 v[4:5], v[4:5], off offset:1024
	s_waitcnt vmcnt(0)
	v_and_b32_e32 v48, 0xff, v4
	v_cvt_f32_fp8_sdwa v48, v48 src0_sel:BYTE_0
	s_nop 0
	v_mul_f32_e32 v49, s27, v48
	v_and_b32_e32 v48, 0x7f800000, v49
	v_cmp_ne_u32_e64 s[2:3], s25, v48
                                        ; implicit-def: $vgpr48
	s_and_saveexec_b64 s[18:19], s[2:3]
	s_xor_b64 s[2:3], exec, s[18:19]
; %bb.330:                              ;   in Loop: Header=BB337_164 Depth=1
	v_bfe_u32 v48, v49, 16, 1
	v_add3_u32 v48, v49, v48, s26
                                        ; implicit-def: $vgpr49
; %bb.331:                              ;   in Loop: Header=BB337_164 Depth=1
	s_andn2_saveexec_b64 s[18:19], s[2:3]
; %bb.332:                              ;   in Loop: Header=BB337_164 Depth=1
	v_or_b32_e32 v48, 0x10000, v49
	v_cmp_eq_u32_sdwa s[2:3], v49, v13 src0_sel:WORD_0 src1_sel:DWORD
	s_nop 1
	v_cndmask_b32_e64 v48, v48, v49, s[2:3]
; %bb.333:                              ;   in Loop: Header=BB337_164 Depth=1
	s_or_b64 exec, exec, s[18:19]
	v_bfe_u32 v49, v4, 8, 8
	v_cvt_f32_fp8_sdwa v49, v49 src0_sel:BYTE_0
	s_nop 0
	v_mul_f32_e32 v50, s27, v49
	v_and_b32_e32 v49, 0x7f800000, v50
	v_cmp_ne_u32_e64 s[2:3], s25, v49
                                        ; implicit-def: $vgpr49
	s_and_saveexec_b64 s[18:19], s[2:3]
	s_xor_b64 s[2:3], exec, s[18:19]
; %bb.334:                              ;   in Loop: Header=BB337_164 Depth=1
	v_bfe_u32 v49, v50, 16, 1
	v_add3_u32 v49, v50, v49, s26
                                        ; implicit-def: $vgpr50
; %bb.335:                              ;   in Loop: Header=BB337_164 Depth=1
	s_andn2_saveexec_b64 s[18:19], s[2:3]
; %bb.336:                              ;   in Loop: Header=BB337_164 Depth=1
	v_or_b32_e32 v49, 0x10000, v50
	v_cmp_eq_u32_sdwa s[2:3], v50, v13 src0_sel:WORD_0 src1_sel:DWORD
	s_nop 1
	v_cndmask_b32_e64 v49, v49, v50, s[2:3]
; %bb.337:                              ;   in Loop: Header=BB337_164 Depth=1
	s_or_b64 exec, exec, s[18:19]
	v_bfe_u32 v50, v4, 16, 8
	v_cvt_f32_fp8_sdwa v50, v50 src0_sel:BYTE_0
	s_nop 0
	v_mul_f32_e32 v51, s27, v50
	v_and_b32_e32 v50, 0x7f800000, v51
	v_cmp_ne_u32_e64 s[2:3], s25, v50
                                        ; implicit-def: $vgpr50
	s_and_saveexec_b64 s[18:19], s[2:3]
	s_xor_b64 s[2:3], exec, s[18:19]
; %bb.338:                              ;   in Loop: Header=BB337_164 Depth=1
	v_bfe_u32 v50, v51, 16, 1
	v_add3_u32 v50, v51, v50, s26
                                        ; implicit-def: $vgpr51
; %bb.339:                              ;   in Loop: Header=BB337_164 Depth=1
	s_andn2_saveexec_b64 s[18:19], s[2:3]
; %bb.340:                              ;   in Loop: Header=BB337_164 Depth=1
	v_or_b32_e32 v50, 0x10000, v51
	v_cmp_eq_u32_sdwa s[2:3], v51, v13 src0_sel:WORD_0 src1_sel:DWORD
	s_nop 1
	v_cndmask_b32_e64 v50, v50, v51, s[2:3]
; %bb.341:                              ;   in Loop: Header=BB337_164 Depth=1
	s_or_b64 exec, exec, s[18:19]
	v_lshrrev_b32_e32 v4, 24, v4
	v_cvt_f32_fp8_sdwa v4, v4 src0_sel:BYTE_0
	s_nop 0
	v_mul_f32_e32 v51, s27, v4
	v_and_b32_e32 v4, 0x7f800000, v51
	v_cmp_ne_u32_e64 s[2:3], s25, v4
                                        ; implicit-def: $vgpr4
	s_and_saveexec_b64 s[18:19], s[2:3]
	s_xor_b64 s[2:3], exec, s[18:19]
; %bb.342:                              ;   in Loop: Header=BB337_164 Depth=1
	v_bfe_u32 v4, v51, 16, 1
	v_add3_u32 v4, v51, v4, s26
                                        ; implicit-def: $vgpr51
; %bb.343:                              ;   in Loop: Header=BB337_164 Depth=1
	s_andn2_saveexec_b64 s[18:19], s[2:3]
; %bb.344:                              ;   in Loop: Header=BB337_164 Depth=1
	v_or_b32_e32 v4, 0x10000, v51
	v_cmp_eq_u32_sdwa s[2:3], v51, v13 src0_sel:WORD_0 src1_sel:DWORD
	s_nop 1
	v_cndmask_b32_e64 v4, v4, v51, s[2:3]
; %bb.345:                              ;   in Loop: Header=BB337_164 Depth=1
	s_or_b64 exec, exec, s[18:19]
	v_and_b32_e32 v51, 0xff, v5
	v_cvt_f32_fp8_sdwa v51, v51 src0_sel:BYTE_0
	s_nop 0
	v_mul_f32_e32 v51, s27, v51
	v_and_b32_e32 v52, 0x7f800000, v51
	v_cmp_ne_u32_e64 s[2:3], s25, v52
                                        ; implicit-def: $vgpr52
	s_and_saveexec_b64 s[18:19], s[2:3]
	s_xor_b64 s[2:3], exec, s[18:19]
; %bb.346:                              ;   in Loop: Header=BB337_164 Depth=1
	v_bfe_u32 v52, v51, 16, 1
	v_add3_u32 v52, v51, v52, s26
                                        ; implicit-def: $vgpr51
; %bb.347:                              ;   in Loop: Header=BB337_164 Depth=1
	s_andn2_saveexec_b64 s[18:19], s[2:3]
; %bb.348:                              ;   in Loop: Header=BB337_164 Depth=1
	v_or_b32_e32 v52, 0x10000, v51
	v_cmp_eq_u32_sdwa s[2:3], v51, v13 src0_sel:WORD_0 src1_sel:DWORD
	s_nop 1
	v_cndmask_b32_e64 v52, v52, v51, s[2:3]
; %bb.349:                              ;   in Loop: Header=BB337_164 Depth=1
	s_or_b64 exec, exec, s[18:19]
	v_bfe_u32 v51, v5, 8, 8
	v_cvt_f32_fp8_sdwa v51, v51 src0_sel:BYTE_0
	s_nop 0
	v_mul_f32_e32 v53, s27, v51
	v_and_b32_e32 v51, 0x7f800000, v53
	v_cmp_ne_u32_e64 s[2:3], s25, v51
                                        ; implicit-def: $vgpr51
	s_and_saveexec_b64 s[18:19], s[2:3]
	s_xor_b64 s[2:3], exec, s[18:19]
; %bb.350:                              ;   in Loop: Header=BB337_164 Depth=1
	v_bfe_u32 v51, v53, 16, 1
	v_add3_u32 v51, v53, v51, s26
                                        ; implicit-def: $vgpr53
; %bb.351:                              ;   in Loop: Header=BB337_164 Depth=1
	s_andn2_saveexec_b64 s[18:19], s[2:3]
; %bb.352:                              ;   in Loop: Header=BB337_164 Depth=1
	v_or_b32_e32 v51, 0x10000, v53
	v_cmp_eq_u32_sdwa s[2:3], v53, v13 src0_sel:WORD_0 src1_sel:DWORD
	s_nop 1
	v_cndmask_b32_e64 v51, v51, v53, s[2:3]
; %bb.353:                              ;   in Loop: Header=BB337_164 Depth=1
	s_or_b64 exec, exec, s[18:19]
	v_bfe_u32 v53, v5, 16, 8
	v_cvt_f32_fp8_sdwa v53, v53 src0_sel:BYTE_0
	s_nop 0
	v_mul_f32_e32 v54, s27, v53
	v_and_b32_e32 v53, 0x7f800000, v54
	v_cmp_ne_u32_e64 s[2:3], s25, v53
                                        ; implicit-def: $vgpr53
	s_and_saveexec_b64 s[18:19], s[2:3]
	s_xor_b64 s[2:3], exec, s[18:19]
; %bb.354:                              ;   in Loop: Header=BB337_164 Depth=1
	v_bfe_u32 v53, v54, 16, 1
	v_add3_u32 v53, v54, v53, s26
                                        ; implicit-def: $vgpr54
; %bb.355:                              ;   in Loop: Header=BB337_164 Depth=1
	s_andn2_saveexec_b64 s[18:19], s[2:3]
; %bb.356:                              ;   in Loop: Header=BB337_164 Depth=1
	v_or_b32_e32 v53, 0x10000, v54
	v_cmp_eq_u32_sdwa s[2:3], v54, v13 src0_sel:WORD_0 src1_sel:DWORD
	s_nop 1
	v_cndmask_b32_e64 v53, v53, v54, s[2:3]
; %bb.357:                              ;   in Loop: Header=BB337_164 Depth=1
	s_or_b64 exec, exec, s[18:19]
	v_lshrrev_b32_e32 v5, 24, v5
	v_cvt_f32_fp8_sdwa v5, v5 src0_sel:BYTE_0
                                        ; implicit-def: $vgpr56
	s_nop 0
	v_mul_f32_e32 v5, s27, v5
	v_and_b32_e32 v54, 0x7f800000, v5
	v_cmp_ne_u32_e64 s[2:3], s25, v54
	s_and_saveexec_b64 s[18:19], s[2:3]
	s_xor_b64 s[2:3], exec, s[18:19]
; %bb.358:                              ;   in Loop: Header=BB337_164 Depth=1
	v_bfe_u32 v54, v5, 16, 1
	v_add3_u32 v56, v5, v54, s26
                                        ; implicit-def: $vgpr5
; %bb.359:                              ;   in Loop: Header=BB337_164 Depth=1
	s_andn2_saveexec_b64 s[18:19], s[2:3]
; %bb.360:                              ;   in Loop: Header=BB337_164 Depth=1
	v_or_b32_e32 v54, 0x10000, v5
	v_cmp_eq_u32_sdwa s[2:3], v5, v13 src0_sel:WORD_0 src1_sel:DWORD
	s_nop 1
	v_cndmask_b32_e64 v56, v54, v5, s[2:3]
; %bb.361:                              ;   in Loop: Header=BB337_164 Depth=1
	s_or_b64 exec, exec, s[18:19]
	v_lshrrev_b32_e32 v51, 16, v51
	v_lshrrev_b32_e32 v54, 16, v52
	;; [unrolled: 1-line block ×8, first 2 shown]
	s_and_saveexec_b64 s[18:19], s[0:1]
	s_cbranch_execz .LBB337_363
; %bb.362:                              ;   in Loop: Header=BB337_164 Depth=1
	v_cmp_gt_i32_e64 s[2:3], s33, v33
	v_add_u32_e32 v48, 1, v33
	s_nop 0
	v_cndmask_b32_e64 v4, 0, v4, s[2:3]
	v_cmp_gt_i32_e64 s[2:3], s33, v48
	v_add_u32_e32 v48, 2, v33
	s_nop 0
	v_cndmask_b32_e64 v5, 0, v5, s[2:3]
	;; [unrolled: 4-line block ×7, first 2 shown]
	v_cmp_gt_i32_e64 s[2:3], s33, v48
	s_nop 1
	v_cndmask_b32_e64 v53, 0, v53, s[2:3]
.LBB337_363:                            ;   in Loop: Header=BB337_164 Depth=1
	s_or_b64 exec, exec, s[18:19]
	v_lshlrev_b32_e32 v4, 16, v4
	v_mul_f32_e32 v48, v34, v4
	v_and_b32_e32 v4, 0x7f800000, v48
	v_cmp_ne_u32_e64 s[2:3], s25, v4
                                        ; implicit-def: $vgpr4
	s_and_saveexec_b64 s[18:19], s[2:3]
	s_xor_b64 s[2:3], exec, s[18:19]
; %bb.364:                              ;   in Loop: Header=BB337_164 Depth=1
	v_bfe_u32 v4, v48, 16, 1
	v_add3_u32 v4, v48, v4, s26
                                        ; implicit-def: $vgpr48
; %bb.365:                              ;   in Loop: Header=BB337_164 Depth=1
	s_andn2_saveexec_b64 s[18:19], s[2:3]
; %bb.366:                              ;   in Loop: Header=BB337_164 Depth=1
	v_or_b32_e32 v4, 0x10000, v48
	v_cmp_eq_u32_sdwa s[2:3], v48, v13 src0_sel:WORD_0 src1_sel:DWORD
	s_nop 1
	v_cndmask_b32_e64 v4, v4, v48, s[2:3]
; %bb.367:                              ;   in Loop: Header=BB337_164 Depth=1
	s_or_b64 exec, exec, s[18:19]
	v_lshlrev_b32_e32 v5, 16, v5
	v_mul_f32_e32 v48, v35, v5
	v_and_b32_e32 v5, 0x7f800000, v48
	v_cmp_ne_u32_e64 s[2:3], s25, v5
                                        ; implicit-def: $vgpr5
	s_and_saveexec_b64 s[18:19], s[2:3]
	s_xor_b64 s[2:3], exec, s[18:19]
; %bb.368:                              ;   in Loop: Header=BB337_164 Depth=1
	v_bfe_u32 v5, v48, 16, 1
	v_add3_u32 v5, v48, v5, s26
                                        ; implicit-def: $vgpr48
; %bb.369:                              ;   in Loop: Header=BB337_164 Depth=1
	s_andn2_saveexec_b64 s[18:19], s[2:3]
; %bb.370:                              ;   in Loop: Header=BB337_164 Depth=1
	v_or_b32_e32 v5, 0x10000, v48
	v_cmp_eq_u32_sdwa s[2:3], v48, v13 src0_sel:WORD_0 src1_sel:DWORD
	s_nop 1
	v_cndmask_b32_e64 v5, v5, v48, s[2:3]
; %bb.371:                              ;   in Loop: Header=BB337_164 Depth=1
	s_or_b64 exec, exec, s[18:19]
	v_lshlrev_b32_e32 v48, 16, v50
	v_mul_f32_e32 v49, v36, v48
	v_and_b32_e32 v48, 0x7f800000, v49
	v_cmp_ne_u32_e64 s[2:3], s25, v48
                                        ; implicit-def: $vgpr48
	s_and_saveexec_b64 s[18:19], s[2:3]
	s_xor_b64 s[2:3], exec, s[18:19]
; %bb.372:                              ;   in Loop: Header=BB337_164 Depth=1
	v_bfe_u32 v48, v49, 16, 1
	v_add3_u32 v48, v49, v48, s26
                                        ; implicit-def: $vgpr49
; %bb.373:                              ;   in Loop: Header=BB337_164 Depth=1
	s_andn2_saveexec_b64 s[18:19], s[2:3]
; %bb.374:                              ;   in Loop: Header=BB337_164 Depth=1
	v_or_b32_e32 v48, 0x10000, v49
	v_cmp_eq_u32_sdwa s[2:3], v49, v13 src0_sel:WORD_0 src1_sel:DWORD
	s_nop 1
	v_cndmask_b32_e64 v48, v48, v49, s[2:3]
; %bb.375:                              ;   in Loop: Header=BB337_164 Depth=1
	s_or_b64 exec, exec, s[18:19]
	v_lshlrev_b32_e32 v49, 16, v55
	v_mul_f32_e32 v50, v37, v49
	v_and_b32_e32 v49, 0x7f800000, v50
	v_cmp_ne_u32_e64 s[2:3], s25, v49
                                        ; implicit-def: $vgpr49
	s_and_saveexec_b64 s[18:19], s[2:3]
	s_xor_b64 s[2:3], exec, s[18:19]
; %bb.376:                              ;   in Loop: Header=BB337_164 Depth=1
	v_bfe_u32 v49, v50, 16, 1
	v_add3_u32 v49, v50, v49, s26
                                        ; implicit-def: $vgpr50
; %bb.377:                              ;   in Loop: Header=BB337_164 Depth=1
	s_andn2_saveexec_b64 s[18:19], s[2:3]
; %bb.378:                              ;   in Loop: Header=BB337_164 Depth=1
	v_or_b32_e32 v49, 0x10000, v50
	v_cmp_eq_u32_sdwa s[2:3], v50, v13 src0_sel:WORD_0 src1_sel:DWORD
	s_nop 1
	v_cndmask_b32_e64 v49, v49, v50, s[2:3]
; %bb.379:                              ;   in Loop: Header=BB337_164 Depth=1
	s_or_b64 exec, exec, s[18:19]
	v_lshlrev_b32_e32 v50, 16, v54
	v_mul_f32_e32 v54, v38, v50
	v_and_b32_e32 v50, 0x7f800000, v54
	v_cmp_ne_u32_e64 s[2:3], s25, v50
                                        ; implicit-def: $vgpr50
	s_and_saveexec_b64 s[18:19], s[2:3]
	s_xor_b64 s[2:3], exec, s[18:19]
; %bb.380:                              ;   in Loop: Header=BB337_164 Depth=1
	v_bfe_u32 v50, v54, 16, 1
	v_add3_u32 v50, v54, v50, s26
                                        ; implicit-def: $vgpr54
; %bb.381:                              ;   in Loop: Header=BB337_164 Depth=1
	s_andn2_saveexec_b64 s[18:19], s[2:3]
; %bb.382:                              ;   in Loop: Header=BB337_164 Depth=1
	v_or_b32_e32 v50, 0x10000, v54
	v_cmp_eq_u32_sdwa s[2:3], v54, v13 src0_sel:WORD_0 src1_sel:DWORD
	s_nop 1
	v_cndmask_b32_e64 v50, v50, v54, s[2:3]
; %bb.383:                              ;   in Loop: Header=BB337_164 Depth=1
	s_or_b64 exec, exec, s[18:19]
	v_lshlrev_b32_e32 v51, 16, v51
	v_mul_f32_e32 v54, v39, v51
	v_and_b32_e32 v51, 0x7f800000, v54
	v_cmp_ne_u32_e64 s[2:3], s25, v51
                                        ; implicit-def: $vgpr51
	s_and_saveexec_b64 s[18:19], s[2:3]
	s_xor_b64 s[2:3], exec, s[18:19]
; %bb.384:                              ;   in Loop: Header=BB337_164 Depth=1
	v_bfe_u32 v51, v54, 16, 1
	v_add3_u32 v51, v54, v51, s26
                                        ; implicit-def: $vgpr54
; %bb.385:                              ;   in Loop: Header=BB337_164 Depth=1
	s_andn2_saveexec_b64 s[18:19], s[2:3]
; %bb.386:                              ;   in Loop: Header=BB337_164 Depth=1
	v_or_b32_e32 v51, 0x10000, v54
	v_cmp_eq_u32_sdwa s[2:3], v54, v13 src0_sel:WORD_0 src1_sel:DWORD
	s_nop 1
	v_cndmask_b32_e64 v51, v51, v54, s[2:3]
; %bb.387:                              ;   in Loop: Header=BB337_164 Depth=1
	s_or_b64 exec, exec, s[18:19]
	v_lshlrev_b32_e32 v52, 16, v52
	v_mul_f32_e32 v54, v40, v52
	v_and_b32_e32 v52, 0x7f800000, v54
	v_cmp_ne_u32_e64 s[2:3], s25, v52
                                        ; implicit-def: $vgpr52
	s_and_saveexec_b64 s[18:19], s[2:3]
	s_xor_b64 s[2:3], exec, s[18:19]
; %bb.388:                              ;   in Loop: Header=BB337_164 Depth=1
	v_bfe_u32 v52, v54, 16, 1
	v_add3_u32 v52, v54, v52, s26
                                        ; implicit-def: $vgpr54
; %bb.389:                              ;   in Loop: Header=BB337_164 Depth=1
	s_andn2_saveexec_b64 s[18:19], s[2:3]
; %bb.390:                              ;   in Loop: Header=BB337_164 Depth=1
	v_or_b32_e32 v52, 0x10000, v54
	v_cmp_eq_u32_sdwa s[2:3], v54, v13 src0_sel:WORD_0 src1_sel:DWORD
	s_nop 1
	v_cndmask_b32_e64 v52, v52, v54, s[2:3]
; %bb.391:                              ;   in Loop: Header=BB337_164 Depth=1
	s_or_b64 exec, exec, s[18:19]
	v_lshlrev_b32_e32 v53, 16, v53
	v_mul_f32_e32 v54, v41, v53
	v_and_b32_e32 v53, 0x7f800000, v54
	v_cmp_ne_u32_e64 s[2:3], s25, v53
                                        ; implicit-def: $vgpr53
	s_and_saveexec_b64 s[18:19], s[2:3]
	s_xor_b64 s[2:3], exec, s[18:19]
	s_cbranch_execnz .LBB337_394
; %bb.392:                              ;   in Loop: Header=BB337_164 Depth=1
	s_andn2_saveexec_b64 s[18:19], s[2:3]
	s_cbranch_execnz .LBB337_395
.LBB337_393:                            ;   in Loop: Header=BB337_164 Depth=1
	s_or_b64 exec, exec, s[18:19]
	s_and_saveexec_b64 s[18:19], vcc
	s_cbranch_execz .LBB337_162
	s_branch .LBB337_396
.LBB337_394:                            ;   in Loop: Header=BB337_164 Depth=1
	v_bfe_u32 v53, v54, 16, 1
	v_add3_u32 v53, v54, v53, s26
                                        ; implicit-def: $vgpr54
	s_andn2_saveexec_b64 s[18:19], s[2:3]
	s_cbranch_execz .LBB337_393
.LBB337_395:                            ;   in Loop: Header=BB337_164 Depth=1
	v_or_b32_e32 v53, 0x10000, v54
	v_cmp_eq_u32_sdwa s[2:3], v54, v13 src0_sel:WORD_0 src1_sel:DWORD
	s_nop 1
	v_cndmask_b32_e64 v53, v53, v54, s[2:3]
	s_or_b64 exec, exec, s[18:19]
	s_and_saveexec_b64 s[18:19], vcc
	s_cbranch_execz .LBB337_162
.LBB337_396:                            ;   in Loop: Header=BB337_164 Depth=1
	v_lshl_add_u64 v[2:3], v[2:3], 0, v[18:19]
	global_load_dwordx2 v[2:3], v[2:3], off
	s_waitcnt vmcnt(0)
	v_and_b32_e32 v54, 0xff, v2
	v_cvt_f32_fp8_sdwa v54, v54 src0_sel:BYTE_0
	s_nop 0
	v_mul_f32_e32 v55, s27, v54
	v_and_b32_e32 v54, 0x7f800000, v55
	v_cmp_ne_u32_e64 s[2:3], s25, v54
                                        ; implicit-def: $vgpr54
	s_and_saveexec_b64 s[20:21], s[2:3]
	s_xor_b64 s[2:3], exec, s[20:21]
; %bb.397:                              ;   in Loop: Header=BB337_164 Depth=1
	v_bfe_u32 v54, v55, 16, 1
	v_add3_u32 v54, v55, v54, s26
                                        ; implicit-def: $vgpr55
; %bb.398:                              ;   in Loop: Header=BB337_164 Depth=1
	s_andn2_saveexec_b64 s[20:21], s[2:3]
; %bb.399:                              ;   in Loop: Header=BB337_164 Depth=1
	v_or_b32_e32 v54, 0x10000, v55
	v_cmp_eq_u32_sdwa s[2:3], v55, v13 src0_sel:WORD_0 src1_sel:DWORD
	s_nop 1
	v_cndmask_b32_e64 v54, v54, v55, s[2:3]
; %bb.400:                              ;   in Loop: Header=BB337_164 Depth=1
	s_or_b64 exec, exec, s[20:21]
	v_bfe_u32 v55, v2, 8, 8
	v_cvt_f32_fp8_sdwa v55, v55 src0_sel:BYTE_0
	s_nop 0
	v_mul_f32_e32 v56, s27, v55
	v_and_b32_e32 v55, 0x7f800000, v56
	v_cmp_ne_u32_e64 s[2:3], s25, v55
                                        ; implicit-def: $vgpr55
	s_and_saveexec_b64 s[20:21], s[2:3]
	s_xor_b64 s[2:3], exec, s[20:21]
; %bb.401:                              ;   in Loop: Header=BB337_164 Depth=1
	v_bfe_u32 v55, v56, 16, 1
	v_add3_u32 v55, v56, v55, s26
                                        ; implicit-def: $vgpr56
; %bb.402:                              ;   in Loop: Header=BB337_164 Depth=1
	s_andn2_saveexec_b64 s[20:21], s[2:3]
; %bb.403:                              ;   in Loop: Header=BB337_164 Depth=1
	v_or_b32_e32 v55, 0x10000, v56
	v_cmp_eq_u32_sdwa s[2:3], v56, v13 src0_sel:WORD_0 src1_sel:DWORD
	s_nop 1
	v_cndmask_b32_e64 v55, v55, v56, s[2:3]
; %bb.404:                              ;   in Loop: Header=BB337_164 Depth=1
	s_or_b64 exec, exec, s[20:21]
	v_bfe_u32 v56, v2, 16, 8
	v_cvt_f32_fp8_sdwa v56, v56 src0_sel:BYTE_0
	s_nop 0
	v_mul_f32_e32 v56, s27, v56
	v_and_b32_e32 v57, 0x7f800000, v56
	v_cmp_ne_u32_e64 s[2:3], s25, v57
                                        ; implicit-def: $vgpr57
	s_and_saveexec_b64 s[20:21], s[2:3]
	s_xor_b64 s[2:3], exec, s[20:21]
; %bb.405:                              ;   in Loop: Header=BB337_164 Depth=1
	v_bfe_u32 v57, v56, 16, 1
	v_add3_u32 v57, v56, v57, s26
                                        ; implicit-def: $vgpr56
; %bb.406:                              ;   in Loop: Header=BB337_164 Depth=1
	s_andn2_saveexec_b64 s[20:21], s[2:3]
; %bb.407:                              ;   in Loop: Header=BB337_164 Depth=1
	v_or_b32_e32 v57, 0x10000, v56
	v_cmp_eq_u32_sdwa s[2:3], v56, v13 src0_sel:WORD_0 src1_sel:DWORD
	s_nop 1
	v_cndmask_b32_e64 v57, v57, v56, s[2:3]
; %bb.408:                              ;   in Loop: Header=BB337_164 Depth=1
	s_or_b64 exec, exec, s[20:21]
	v_lshrrev_b32_e32 v2, 24, v2
	v_cvt_f32_fp8_sdwa v2, v2 src0_sel:BYTE_0
	s_nop 0
	v_mul_f32_e32 v56, s27, v2
	v_and_b32_e32 v2, 0x7f800000, v56
	v_cmp_ne_u32_e64 s[2:3], s25, v2
                                        ; implicit-def: $vgpr2
	s_and_saveexec_b64 s[20:21], s[2:3]
	s_xor_b64 s[2:3], exec, s[20:21]
; %bb.409:                              ;   in Loop: Header=BB337_164 Depth=1
	v_bfe_u32 v2, v56, 16, 1
	v_add3_u32 v2, v56, v2, s26
                                        ; implicit-def: $vgpr56
; %bb.410:                              ;   in Loop: Header=BB337_164 Depth=1
	s_andn2_saveexec_b64 s[20:21], s[2:3]
; %bb.411:                              ;   in Loop: Header=BB337_164 Depth=1
	v_or_b32_e32 v2, 0x10000, v56
	v_cmp_eq_u32_sdwa s[2:3], v56, v13 src0_sel:WORD_0 src1_sel:DWORD
	s_nop 1
	v_cndmask_b32_e64 v2, v2, v56, s[2:3]
; %bb.412:                              ;   in Loop: Header=BB337_164 Depth=1
	s_or_b64 exec, exec, s[20:21]
	v_and_b32_e32 v56, 0xff, v3
	v_cvt_f32_fp8_sdwa v56, v56 src0_sel:BYTE_0
	s_nop 0
	v_mul_f32_e32 v56, s27, v56
	v_and_b32_e32 v58, 0x7f800000, v56
	v_cmp_ne_u32_e64 s[2:3], s25, v58
                                        ; implicit-def: $vgpr58
	s_and_saveexec_b64 s[20:21], s[2:3]
	s_xor_b64 s[2:3], exec, s[20:21]
; %bb.413:                              ;   in Loop: Header=BB337_164 Depth=1
	v_bfe_u32 v58, v56, 16, 1
	v_add3_u32 v58, v56, v58, s26
                                        ; implicit-def: $vgpr56
; %bb.414:                              ;   in Loop: Header=BB337_164 Depth=1
	s_andn2_saveexec_b64 s[20:21], s[2:3]
; %bb.415:                              ;   in Loop: Header=BB337_164 Depth=1
	v_or_b32_e32 v58, 0x10000, v56
	v_cmp_eq_u32_sdwa s[2:3], v56, v13 src0_sel:WORD_0 src1_sel:DWORD
	s_nop 1
	v_cndmask_b32_e64 v58, v58, v56, s[2:3]
; %bb.416:                              ;   in Loop: Header=BB337_164 Depth=1
	s_or_b64 exec, exec, s[20:21]
	v_bfe_u32 v56, v3, 8, 8
	v_cvt_f32_fp8_sdwa v56, v56 src0_sel:BYTE_0
	s_nop 0
	v_mul_f32_e32 v59, s27, v56
	v_and_b32_e32 v56, 0x7f800000, v59
	v_cmp_ne_u32_e64 s[2:3], s25, v56
                                        ; implicit-def: $vgpr56
	s_and_saveexec_b64 s[20:21], s[2:3]
	s_xor_b64 s[2:3], exec, s[20:21]
; %bb.417:                              ;   in Loop: Header=BB337_164 Depth=1
	v_bfe_u32 v56, v59, 16, 1
	v_add3_u32 v56, v59, v56, s26
                                        ; implicit-def: $vgpr59
; %bb.418:                              ;   in Loop: Header=BB337_164 Depth=1
	s_andn2_saveexec_b64 s[20:21], s[2:3]
; %bb.419:                              ;   in Loop: Header=BB337_164 Depth=1
	v_or_b32_e32 v56, 0x10000, v59
	v_cmp_eq_u32_sdwa s[2:3], v59, v13 src0_sel:WORD_0 src1_sel:DWORD
	s_nop 1
	v_cndmask_b32_e64 v56, v56, v59, s[2:3]
; %bb.420:                              ;   in Loop: Header=BB337_164 Depth=1
	s_or_b64 exec, exec, s[20:21]
	v_bfe_u32 v59, v3, 16, 8
	v_cvt_f32_fp8_sdwa v59, v59 src0_sel:BYTE_0
	s_nop 0
	v_mul_f32_e32 v59, s27, v59
	v_and_b32_e32 v60, 0x7f800000, v59
	v_cmp_ne_u32_e64 s[2:3], s25, v60
                                        ; implicit-def: $vgpr60
	s_and_saveexec_b64 s[20:21], s[2:3]
	s_xor_b64 s[2:3], exec, s[20:21]
; %bb.421:                              ;   in Loop: Header=BB337_164 Depth=1
	v_bfe_u32 v60, v59, 16, 1
	v_add3_u32 v60, v59, v60, s26
                                        ; implicit-def: $vgpr59
; %bb.422:                              ;   in Loop: Header=BB337_164 Depth=1
	s_andn2_saveexec_b64 s[20:21], s[2:3]
; %bb.423:                              ;   in Loop: Header=BB337_164 Depth=1
	v_or_b32_e32 v60, 0x10000, v59
	v_cmp_eq_u32_sdwa s[2:3], v59, v13 src0_sel:WORD_0 src1_sel:DWORD
	s_nop 1
	v_cndmask_b32_e64 v60, v60, v59, s[2:3]
; %bb.424:                              ;   in Loop: Header=BB337_164 Depth=1
	s_or_b64 exec, exec, s[20:21]
	v_lshrrev_b32_e32 v3, 24, v3
	v_cvt_f32_fp8_sdwa v3, v3 src0_sel:BYTE_0
                                        ; implicit-def: $vgpr61
	s_nop 0
	v_mul_f32_e32 v3, s27, v3
	v_and_b32_e32 v59, 0x7f800000, v3
	v_cmp_ne_u32_e64 s[2:3], s25, v59
	s_and_saveexec_b64 s[20:21], s[2:3]
	s_xor_b64 s[2:3], exec, s[20:21]
; %bb.425:                              ;   in Loop: Header=BB337_164 Depth=1
	v_bfe_u32 v59, v3, 16, 1
	v_add3_u32 v61, v3, v59, s26
                                        ; implicit-def: $vgpr3
; %bb.426:                              ;   in Loop: Header=BB337_164 Depth=1
	s_andn2_saveexec_b64 s[20:21], s[2:3]
; %bb.427:                              ;   in Loop: Header=BB337_164 Depth=1
	v_or_b32_e32 v59, 0x10000, v3
	v_cmp_eq_u32_sdwa s[2:3], v3, v13 src0_sel:WORD_0 src1_sel:DWORD
	s_nop 1
	v_cndmask_b32_e64 v61, v59, v3, s[2:3]
; %bb.428:                              ;   in Loop: Header=BB337_164 Depth=1
	s_or_b64 exec, exec, s[20:21]
	v_lshrrev_b32_e32 v56, 16, v56
	v_lshrrev_b32_e32 v58, 16, v58
	;; [unrolled: 1-line block ×8, first 2 shown]
	s_and_saveexec_b64 s[2:3], s[0:1]
	s_cbranch_execz .LBB337_430
; %bb.429:                              ;   in Loop: Header=BB337_164 Depth=1
	v_cmp_gt_i32_e64 s[0:1], s33, v33
	v_add_u32_e32 v60, 1, v33
	s_nop 0
	v_cndmask_b32_e64 v3, 0, v3, s[0:1]
	v_cmp_gt_i32_e64 s[0:1], s33, v60
	v_add_u32_e32 v60, 2, v33
	s_nop 0
	v_cndmask_b32_e64 v55, 0, v55, s[0:1]
	;; [unrolled: 4-line block ×5, first 2 shown]
	v_cmp_gt_i32_e64 s[0:1], s33, v60
	v_add_u32_e32 v60, 6, v33
	v_add_u32_e32 v33, 7, v33
	v_cndmask_b32_e64 v56, 0, v56, s[0:1]
	v_cmp_gt_i32_e64 s[0:1], s33, v60
	s_nop 1
	v_cndmask_b32_e64 v54, 0, v54, s[0:1]
	v_cmp_gt_i32_e64 s[0:1], s33, v33
	s_nop 1
	v_cndmask_b32_e64 v2, 0, v2, s[0:1]
.LBB337_430:                            ;   in Loop: Header=BB337_164 Depth=1
	s_or_b64 exec, exec, s[2:3]
	v_lshlrev_b32_e32 v3, 16, v3
	v_mul_f32_e32 v33, v34, v3
	v_and_b32_e32 v3, 0x7f800000, v33
	v_cmp_ne_u32_e64 s[0:1], s25, v3
                                        ; implicit-def: $vgpr3
	s_and_saveexec_b64 s[2:3], s[0:1]
	s_xor_b64 s[0:1], exec, s[2:3]
; %bb.431:                              ;   in Loop: Header=BB337_164 Depth=1
	v_bfe_u32 v3, v33, 16, 1
	v_add3_u32 v3, v33, v3, s26
                                        ; implicit-def: $vgpr33
; %bb.432:                              ;   in Loop: Header=BB337_164 Depth=1
	s_andn2_saveexec_b64 s[2:3], s[0:1]
; %bb.433:                              ;   in Loop: Header=BB337_164 Depth=1
	v_or_b32_e32 v3, 0x10000, v33
	v_cmp_eq_u32_sdwa s[0:1], v33, v13 src0_sel:WORD_0 src1_sel:DWORD
	s_nop 1
	v_cndmask_b32_e64 v3, v3, v33, s[0:1]
; %bb.434:                              ;   in Loop: Header=BB337_164 Depth=1
	s_or_b64 exec, exec, s[2:3]
	v_lshlrev_b32_e32 v33, 16, v55
	v_mul_f32_e32 v34, v35, v33
	v_and_b32_e32 v33, 0x7f800000, v34
	v_cmp_ne_u32_e64 s[0:1], s25, v33
                                        ; implicit-def: $vgpr33
	s_and_saveexec_b64 s[2:3], s[0:1]
	s_xor_b64 s[0:1], exec, s[2:3]
; %bb.435:                              ;   in Loop: Header=BB337_164 Depth=1
	v_bfe_u32 v33, v34, 16, 1
	v_add3_u32 v33, v34, v33, s26
                                        ; implicit-def: $vgpr34
; %bb.436:                              ;   in Loop: Header=BB337_164 Depth=1
	s_andn2_saveexec_b64 s[2:3], s[0:1]
; %bb.437:                              ;   in Loop: Header=BB337_164 Depth=1
	v_or_b32_e32 v33, 0x10000, v34
	v_cmp_eq_u32_sdwa s[0:1], v34, v13 src0_sel:WORD_0 src1_sel:DWORD
	s_nop 1
	v_cndmask_b32_e64 v33, v33, v34, s[0:1]
; %bb.438:                              ;   in Loop: Header=BB337_164 Depth=1
	s_or_b64 exec, exec, s[2:3]
	v_lshlrev_b32_e32 v34, 16, v57
	v_mul_f32_e32 v35, v36, v34
	v_and_b32_e32 v34, 0x7f800000, v35
	v_cmp_ne_u32_e64 s[0:1], s25, v34
                                        ; implicit-def: $vgpr34
	s_and_saveexec_b64 s[2:3], s[0:1]
	s_xor_b64 s[0:1], exec, s[2:3]
; %bb.439:                              ;   in Loop: Header=BB337_164 Depth=1
	v_bfe_u32 v34, v35, 16, 1
	v_add3_u32 v34, v35, v34, s26
                                        ; implicit-def: $vgpr35
; %bb.440:                              ;   in Loop: Header=BB337_164 Depth=1
	s_andn2_saveexec_b64 s[2:3], s[0:1]
; %bb.441:                              ;   in Loop: Header=BB337_164 Depth=1
	v_or_b32_e32 v34, 0x10000, v35
	v_cmp_eq_u32_sdwa s[0:1], v35, v13 src0_sel:WORD_0 src1_sel:DWORD
	s_nop 1
	v_cndmask_b32_e64 v34, v34, v35, s[0:1]
; %bb.442:                              ;   in Loop: Header=BB337_164 Depth=1
	s_or_b64 exec, exec, s[2:3]
	v_lshlrev_b32_e32 v35, 16, v59
	v_mul_f32_e32 v36, v37, v35
	v_and_b32_e32 v35, 0x7f800000, v36
	v_cmp_ne_u32_e64 s[0:1], s25, v35
                                        ; implicit-def: $vgpr35
	s_and_saveexec_b64 s[2:3], s[0:1]
	s_xor_b64 s[0:1], exec, s[2:3]
; %bb.443:                              ;   in Loop: Header=BB337_164 Depth=1
	v_bfe_u32 v35, v36, 16, 1
	v_add3_u32 v35, v36, v35, s26
                                        ; implicit-def: $vgpr36
; %bb.444:                              ;   in Loop: Header=BB337_164 Depth=1
	s_andn2_saveexec_b64 s[2:3], s[0:1]
; %bb.445:                              ;   in Loop: Header=BB337_164 Depth=1
	v_or_b32_e32 v35, 0x10000, v36
	v_cmp_eq_u32_sdwa s[0:1], v36, v13 src0_sel:WORD_0 src1_sel:DWORD
	s_nop 1
	v_cndmask_b32_e64 v35, v35, v36, s[0:1]
; %bb.446:                              ;   in Loop: Header=BB337_164 Depth=1
	s_or_b64 exec, exec, s[2:3]
	v_lshlrev_b32_e32 v36, 16, v58
	v_mul_f32_e32 v37, v38, v36
	v_and_b32_e32 v36, 0x7f800000, v37
	v_cmp_ne_u32_e64 s[0:1], s25, v36
                                        ; implicit-def: $vgpr36
	s_and_saveexec_b64 s[2:3], s[0:1]
	s_xor_b64 s[0:1], exec, s[2:3]
; %bb.447:                              ;   in Loop: Header=BB337_164 Depth=1
	v_bfe_u32 v36, v37, 16, 1
	v_add3_u32 v36, v37, v36, s26
                                        ; implicit-def: $vgpr37
; %bb.448:                              ;   in Loop: Header=BB337_164 Depth=1
	s_andn2_saveexec_b64 s[2:3], s[0:1]
; %bb.449:                              ;   in Loop: Header=BB337_164 Depth=1
	v_or_b32_e32 v36, 0x10000, v37
	v_cmp_eq_u32_sdwa s[0:1], v37, v13 src0_sel:WORD_0 src1_sel:DWORD
	s_nop 1
	v_cndmask_b32_e64 v36, v36, v37, s[0:1]
; %bb.450:                              ;   in Loop: Header=BB337_164 Depth=1
	s_or_b64 exec, exec, s[2:3]
	v_lshlrev_b32_e32 v37, 16, v56
	v_mul_f32_e32 v38, v39, v37
	v_and_b32_e32 v37, 0x7f800000, v38
	v_cmp_ne_u32_e64 s[0:1], s25, v37
                                        ; implicit-def: $vgpr37
	s_and_saveexec_b64 s[2:3], s[0:1]
	s_xor_b64 s[0:1], exec, s[2:3]
; %bb.451:                              ;   in Loop: Header=BB337_164 Depth=1
	v_bfe_u32 v37, v38, 16, 1
	v_add3_u32 v37, v38, v37, s26
                                        ; implicit-def: $vgpr38
; %bb.452:                              ;   in Loop: Header=BB337_164 Depth=1
	s_andn2_saveexec_b64 s[2:3], s[0:1]
; %bb.453:                              ;   in Loop: Header=BB337_164 Depth=1
	v_or_b32_e32 v37, 0x10000, v38
	v_cmp_eq_u32_sdwa s[0:1], v38, v13 src0_sel:WORD_0 src1_sel:DWORD
	s_nop 1
	v_cndmask_b32_e64 v37, v37, v38, s[0:1]
; %bb.454:                              ;   in Loop: Header=BB337_164 Depth=1
	s_or_b64 exec, exec, s[2:3]
	v_lshlrev_b32_e32 v38, 16, v54
	v_mul_f32_e32 v39, v40, v38
	v_and_b32_e32 v38, 0x7f800000, v39
	v_cmp_ne_u32_e64 s[0:1], s25, v38
                                        ; implicit-def: $vgpr38
	s_and_saveexec_b64 s[2:3], s[0:1]
	s_xor_b64 s[0:1], exec, s[2:3]
; %bb.455:                              ;   in Loop: Header=BB337_164 Depth=1
	v_bfe_u32 v38, v39, 16, 1
	v_add3_u32 v38, v39, v38, s26
                                        ; implicit-def: $vgpr39
; %bb.456:                              ;   in Loop: Header=BB337_164 Depth=1
	s_andn2_saveexec_b64 s[2:3], s[0:1]
; %bb.457:                              ;   in Loop: Header=BB337_164 Depth=1
	v_or_b32_e32 v38, 0x10000, v39
	v_cmp_eq_u32_sdwa s[0:1], v39, v13 src0_sel:WORD_0 src1_sel:DWORD
	s_nop 1
	v_cndmask_b32_e64 v38, v38, v39, s[0:1]
; %bb.458:                              ;   in Loop: Header=BB337_164 Depth=1
	s_or_b64 exec, exec, s[2:3]
	v_lshlrev_b32_e32 v2, 16, v2
	v_mul_f32_e32 v2, v41, v2
	v_and_b32_e32 v39, 0x7f800000, v2
	v_cmp_ne_u32_e64 s[0:1], s25, v39
                                        ; implicit-def: $vgpr39
	s_and_saveexec_b64 s[2:3], s[0:1]
	s_xor_b64 s[0:1], exec, s[2:3]
; %bb.459:                              ;   in Loop: Header=BB337_164 Depth=1
	v_bfe_u32 v39, v2, 16, 1
	v_add3_u32 v39, v2, v39, s26
                                        ; implicit-def: $vgpr2
; %bb.460:                              ;   in Loop: Header=BB337_164 Depth=1
	s_andn2_saveexec_b64 s[2:3], s[0:1]
	s_cbranch_execz .LBB337_161
; %bb.461:                              ;   in Loop: Header=BB337_164 Depth=1
	v_or_b32_e32 v39, 0x10000, v2
	v_cmp_eq_u32_sdwa s[0:1], v2, v13 src0_sel:WORD_0 src1_sel:DWORD
	s_nop 1
	v_cndmask_b32_e64 v39, v39, v2, s[0:1]
	s_branch .LBB337_161
.LBB337_462:
	s_or_b64 exec, exec, s[12:13]
.LBB337_463:
	s_or_b64 exec, exec, s[10:11]
	ds_bpermute_b32 v2, v22, v16
	ds_bpermute_b32 v3, v22, v17
	;; [unrolled: 1-line block ×4, first 2 shown]
	v_and_b32_e32 v1, 0x3c0, v0
	v_cmp_eq_u32_e32 vcc, 64, v1
	s_waitcnt lgkmcnt(2)
	v_pk_add_f32 v[4:5], v[16:17], v[2:3]
	s_waitcnt lgkmcnt(0)
	v_pk_add_f32 v[2:3], v[10:11], v[6:7]
	s_barrier
	s_and_saveexec_b64 s[2:3], vcc
	s_cbranch_execz .LBB337_468
; %bb.464:
	v_cmp_eq_u32_e32 vcc, 0, v23
	s_and_saveexec_b64 s[0:1], vcc
	s_cbranch_execz .LBB337_466
; %bb.465:
	v_mov_b32_e32 v1, 0xf0
	v_lshl_add_u32 v1, v24, 2, v1
	ds_write2_b32 v1, v4, v5 offset1:32
	ds_write_b32 v1, v2 offset:256
.LBB337_466:
	s_or_b64 exec, exec, s[0:1]
	v_or_b32_e32 v1, 0x60, v24
	s_movk_i32 s0, 0x70
	v_cmp_gt_u32_e64 s[0:1], s0, v1
	s_and_b64 s[0:1], vcc, s[0:1]
	s_and_b64 exec, exec, s[0:1]
	s_cbranch_execz .LBB337_468
; %bb.467:
	v_mov_b32_e32 v1, 0xf0
	v_lshl_add_u32 v1, v24, 2, v1
	ds_write_b32 v1, v3 offset:384
.LBB337_468:
	s_or_b64 exec, exec, s[2:3]
	v_cmp_gt_u32_e32 vcc, 64, v0
	v_lshrrev_b32_e32 v6, 1, v0
	s_waitcnt lgkmcnt(0)
	s_barrier
	s_and_saveexec_b64 s[8:9], vcc
	s_cbranch_execz .LBB337_476
; %bb.469:
	v_cmp_eq_u32_e64 s[0:1], 0, v23
	s_and_saveexec_b64 s[2:3], s[0:1]
	s_cbranch_execnz .LBB337_498
; %bb.470:
	s_or_b64 exec, exec, s[2:3]
	s_and_saveexec_b64 s[2:3], s[0:1]
	s_cbranch_execnz .LBB337_499
.LBB337_471:
	s_or_b64 exec, exec, s[2:3]
	s_and_saveexec_b64 s[2:3], s[0:1]
	s_cbranch_execz .LBB337_473
.LBB337_472:
	v_mov_b32_e32 v0, 0xf0
	v_lshl_add_u32 v0, v6, 2, v0
	ds_read_b32 v0, v0 offset:256
	s_waitcnt lgkmcnt(0)
	v_add_f32_e32 v2, v2, v0
.LBB337_473:
	s_or_b64 exec, exec, s[2:3]
	v_or_b32_e32 v0, 0x60, v6
	s_movk_i32 s2, 0x70
	v_cmp_gt_u32_e64 s[2:3], s2, v0
	s_and_b64 s[2:3], s[0:1], s[2:3]
	s_and_saveexec_b64 s[0:1], s[2:3]
	s_cbranch_execz .LBB337_475
; %bb.474:
	v_mov_b32_e32 v0, 0xf0
	v_lshl_add_u32 v0, v6, 2, v0
	ds_read_b32 v0, v0 offset:384
	s_waitcnt lgkmcnt(0)
	v_add_f32_e32 v3, v3, v0
.LBB337_475:
	s_or_b64 exec, exec, s[0:1]
.LBB337_476:
	s_or_b64 exec, exec, s[8:9]
	s_barrier
	s_and_saveexec_b64 s[0:1], vcc
	s_cbranch_execz .LBB337_497
; %bb.477:
	s_mul_i32 s0, s6, 0x70
	s_ashr_i32 s1, s0, 31
	s_lshl_b64 s[0:1], s[0:1], 1
	s_add_u32 s2, s30, s0
	s_mul_i32 s0, s23, s28
	s_addc_u32 s3, s31, s1
	s_ashr_i32 s1, s0, 31
	s_lshl_b64 s[0:1], s[0:1], 1
	s_add_u32 s2, s2, s0
	s_mul_i32 s0, s4, 0x70
	s_addc_u32 s3, s3, s1
	s_ashr_i32 s1, s0, 31
	s_lshl_b64 s[0:1], s[0:1], 1
	s_add_u32 s2, s2, s0
	s_addc_u32 s3, s3, s1
	v_cmp_eq_u32_e32 vcc, 0, v23
	s_and_saveexec_b64 s[4:5], vcc
	s_cbranch_execz .LBB337_491
; %bb.478:
	s_mov_b32 s0, 0x7f800000
	v_and_b32_e32 v0, 0x7f800000, v4
	v_cmp_ne_u32_e64 s[0:1], s0, v0
                                        ; implicit-def: $vgpr7
	s_and_saveexec_b64 s[6:7], s[0:1]
	s_xor_b64 s[0:1], exec, s[6:7]
; %bb.479:
	v_bfe_u32 v0, v4, 16, 1
	s_movk_i32 s6, 0x7fff
	v_add3_u32 v7, v4, v0, s6
; %bb.480:
	s_andn2_saveexec_b64 s[6:7], s[0:1]
; %bb.481:
	v_mov_b32_e32 v0, 0
	v_or_b32_e32 v1, 0x10000, v4
	v_cmp_eq_u32_sdwa s[0:1], v4, v0 src0_sel:WORD_0 src1_sel:DWORD
	s_nop 1
	v_cndmask_b32_e64 v7, v1, v4, s[0:1]
; %bb.482:
	s_or_b64 exec, exec, s[6:7]
	s_mov_b32 s0, 0x7f800000
	v_and_b32_e32 v4, 0x7f800000, v5
	v_lshlrev_b32_e32 v0, 1, v6
	v_mov_b32_e32 v1, 0
	v_cmp_ne_u32_e64 s[0:1], s0, v4
	global_store_short_d16_hi v0, v7, s[2:3]
                                        ; implicit-def: $vgpr4
	s_and_saveexec_b64 s[6:7], s[0:1]
	s_xor_b64 s[0:1], exec, s[6:7]
; %bb.483:
	v_bfe_u32 v4, v5, 16, 1
	s_movk_i32 s6, 0x7fff
	v_add3_u32 v4, v5, v4, s6
; %bb.484:
	s_or_saveexec_b64 s[6:7], s[0:1]
	v_lshl_add_u64 v[0:1], s[2:3], 0, v[0:1]
	s_xor_b64 exec, exec, s[6:7]
; %bb.485:
	v_mov_b32_e32 v4, 0
	v_or_b32_e32 v7, 0x10000, v5
	v_cmp_eq_u32_sdwa s[0:1], v5, v4 src0_sel:WORD_0 src1_sel:DWORD
	s_nop 1
	v_cndmask_b32_e64 v4, v7, v5, s[0:1]
; %bb.486:
	s_or_b64 exec, exec, s[6:7]
	global_store_short_d16_hi v[0:1], v4, off offset:64
	s_mov_b32 s0, 0x7f800000
	v_and_b32_e32 v4, 0x7f800000, v2
	v_cmp_ne_u32_e64 s[0:1], s0, v4
                                        ; implicit-def: $vgpr4
	s_and_saveexec_b64 s[6:7], s[0:1]
	s_xor_b64 s[0:1], exec, s[6:7]
; %bb.487:
	v_bfe_u32 v4, v2, 16, 1
	s_movk_i32 s6, 0x7fff
	v_add3_u32 v4, v2, v4, s6
; %bb.488:
	s_andn2_saveexec_b64 s[6:7], s[0:1]
; %bb.489:
	v_mov_b32_e32 v4, 0
	v_or_b32_e32 v5, 0x10000, v2
	v_cmp_eq_u32_sdwa s[0:1], v2, v4 src0_sel:WORD_0 src1_sel:DWORD
	s_nop 1
	v_cndmask_b32_e64 v4, v5, v2, s[0:1]
; %bb.490:
	s_or_b64 exec, exec, s[6:7]
	global_store_short_d16_hi v[0:1], v4, off offset:128
.LBB337_491:
	s_or_b64 exec, exec, s[4:5]
	v_or_b32_e32 v0, 0x60, v6
	s_movk_i32 s0, 0x70
	v_cmp_gt_u32_e64 s[0:1], s0, v0
	s_and_b64 s[0:1], vcc, s[0:1]
	s_and_b64 exec, exec, s[0:1]
	s_cbranch_execz .LBB337_497
; %bb.492:
	s_mov_b32 s0, 0x7f800000
	v_and_b32_e32 v0, 0x7f800000, v3
	v_cmp_ne_u32_e32 vcc, s0, v0
                                        ; implicit-def: $vgpr4
	s_and_saveexec_b64 s[0:1], vcc
	s_xor_b64 s[0:1], exec, s[0:1]
; %bb.493:
	v_bfe_u32 v0, v3, 16, 1
	s_movk_i32 s4, 0x7fff
	v_add3_u32 v4, v3, v0, s4
                                        ; implicit-def: $vgpr0_vgpr1_vgpr2_vgpr3
; %bb.494:
	s_andn2_saveexec_b64 s[0:1], s[0:1]
; %bb.495:
	v_mov_b32_e32 v0, 0
	v_or_b32_e32 v1, 0x10000, v3
	v_cmp_eq_u32_sdwa vcc, v3, v0 src0_sel:WORD_0 src1_sel:DWORD
	s_nop 1
	v_cndmask_b32_e32 v4, v1, v3, vcc
; %bb.496:
	s_or_b64 exec, exec, s[0:1]
	v_lshlrev_b32_e32 v0, 1, v6
	global_store_short_d16_hi v0, v4, s[2:3] offset:192
.LBB337_497:
	s_endpgm
.LBB337_498:
	v_mov_b32_e32 v0, 0xf0
	v_lshl_add_u32 v0, v6, 2, v0
	ds_read_b32 v0, v0
	s_waitcnt lgkmcnt(0)
	v_add_f32_e32 v4, v4, v0
	s_or_b64 exec, exec, s[2:3]
	s_and_saveexec_b64 s[2:3], s[0:1]
	s_cbranch_execz .LBB337_471
.LBB337_499:
	v_mov_b32_e32 v0, 0xf0
	v_lshl_add_u32 v0, v6, 2, v0
	ds_read_b32 v0, v0 offset:128
	s_waitcnt lgkmcnt(0)
	v_add_f32_e32 v5, v5, v0
	s_or_b64 exec, exec, s[2:3]
	s_and_saveexec_b64 s[2:3], s[0:1]
	s_cbranch_execnz .LBB337_472
	s_branch .LBB337_473
	.section	.rodata,"a",@progbits
	.p2align	6, 0x0
	.amdhsa_kernel _ZN4vllm25paged_attention_v2_kernelI14__hip_bfloat16hLi112ELi16ELi128ELNS_18Fp8KVCacheDataTypeE1ELb1ELi512EEEvPfS3_PT_PKS4_PKT0_SA_ifPKiSC_iPKfiiiSE_SE_iiiii
		.amdhsa_group_segment_fixed_size 240
		.amdhsa_private_segment_fixed_size 0
		.amdhsa_kernarg_size 400
		.amdhsa_user_sgpr_count 2
		.amdhsa_user_sgpr_dispatch_ptr 0
		.amdhsa_user_sgpr_queue_ptr 0
		.amdhsa_user_sgpr_kernarg_segment_ptr 1
		.amdhsa_user_sgpr_dispatch_id 0
		.amdhsa_user_sgpr_kernarg_preload_length 0
		.amdhsa_user_sgpr_kernarg_preload_offset 0
		.amdhsa_user_sgpr_private_segment_size 0
		.amdhsa_uses_dynamic_stack 0
		.amdhsa_enable_private_segment 0
		.amdhsa_system_sgpr_workgroup_id_x 1
		.amdhsa_system_sgpr_workgroup_id_y 1
		.amdhsa_system_sgpr_workgroup_id_z 1
		.amdhsa_system_sgpr_workgroup_info 0
		.amdhsa_system_vgpr_workitem_id 0
		.amdhsa_next_free_vgpr 79
		.amdhsa_next_free_sgpr 60
		.amdhsa_accum_offset 80
		.amdhsa_reserve_vcc 1
		.amdhsa_float_round_mode_32 0
		.amdhsa_float_round_mode_16_64 0
		.amdhsa_float_denorm_mode_32 3
		.amdhsa_float_denorm_mode_16_64 3
		.amdhsa_dx10_clamp 1
		.amdhsa_ieee_mode 1
		.amdhsa_fp16_overflow 0
		.amdhsa_tg_split 0
		.amdhsa_exception_fp_ieee_invalid_op 0
		.amdhsa_exception_fp_denorm_src 0
		.amdhsa_exception_fp_ieee_div_zero 0
		.amdhsa_exception_fp_ieee_overflow 0
		.amdhsa_exception_fp_ieee_underflow 0
		.amdhsa_exception_fp_ieee_inexact 0
		.amdhsa_exception_int_div_zero 0
	.end_amdhsa_kernel
	.section	.text._ZN4vllm25paged_attention_v2_kernelI14__hip_bfloat16hLi112ELi16ELi128ELNS_18Fp8KVCacheDataTypeE1ELb1ELi512EEEvPfS3_PT_PKS4_PKT0_SA_ifPKiSC_iPKfiiiSE_SE_iiiii,"axG",@progbits,_ZN4vllm25paged_attention_v2_kernelI14__hip_bfloat16hLi112ELi16ELi128ELNS_18Fp8KVCacheDataTypeE1ELb1ELi512EEEvPfS3_PT_PKS4_PKT0_SA_ifPKiSC_iPKfiiiSE_SE_iiiii,comdat
.Lfunc_end337:
	.size	_ZN4vllm25paged_attention_v2_kernelI14__hip_bfloat16hLi112ELi16ELi128ELNS_18Fp8KVCacheDataTypeE1ELb1ELi512EEEvPfS3_PT_PKS4_PKT0_SA_ifPKiSC_iPKfiiiSE_SE_iiiii, .Lfunc_end337-_ZN4vllm25paged_attention_v2_kernelI14__hip_bfloat16hLi112ELi16ELi128ELNS_18Fp8KVCacheDataTypeE1ELb1ELi512EEEvPfS3_PT_PKS4_PKT0_SA_ifPKiSC_iPKfiiiSE_SE_iiiii
                                        ; -- End function
	.section	.AMDGPU.csdata,"",@progbits
; Kernel info:
; codeLenInByte = 16052
; NumSgprs: 66
; NumVgprs: 79
; NumAgprs: 0
; TotalNumVgprs: 79
; ScratchSize: 0
; MemoryBound: 0
; FloatMode: 240
; IeeeMode: 1
; LDSByteSize: 240 bytes/workgroup (compile time only)
; SGPRBlocks: 8
; VGPRBlocks: 9
; NumSGPRsForWavesPerEU: 66
; NumVGPRsForWavesPerEU: 79
; AccumOffset: 80
; Occupancy: 6
; WaveLimiterHint : 1
; COMPUTE_PGM_RSRC2:SCRATCH_EN: 0
; COMPUTE_PGM_RSRC2:USER_SGPR: 2
; COMPUTE_PGM_RSRC2:TRAP_HANDLER: 0
; COMPUTE_PGM_RSRC2:TGID_X_EN: 1
; COMPUTE_PGM_RSRC2:TGID_Y_EN: 1
; COMPUTE_PGM_RSRC2:TGID_Z_EN: 1
; COMPUTE_PGM_RSRC2:TIDIG_COMP_CNT: 0
; COMPUTE_PGM_RSRC3_GFX90A:ACCUM_OFFSET: 19
; COMPUTE_PGM_RSRC3_GFX90A:TG_SPLIT: 0
	.section	.text._ZN4vllm25paged_attention_v2_kernelI14__hip_bfloat16hLi120ELi16ELi128ELNS_18Fp8KVCacheDataTypeE1ELb1ELi512EEEvPfS3_PT_PKS4_PKT0_SA_ifPKiSC_iPKfiiiSE_SE_iiiii,"axG",@progbits,_ZN4vllm25paged_attention_v2_kernelI14__hip_bfloat16hLi120ELi16ELi128ELNS_18Fp8KVCacheDataTypeE1ELb1ELi512EEEvPfS3_PT_PKS4_PKT0_SA_ifPKiSC_iPKfiiiSE_SE_iiiii,comdat
	.protected	_ZN4vllm25paged_attention_v2_kernelI14__hip_bfloat16hLi120ELi16ELi128ELNS_18Fp8KVCacheDataTypeE1ELb1ELi512EEEvPfS3_PT_PKS4_PKT0_SA_ifPKiSC_iPKfiiiSE_SE_iiiii ; -- Begin function _ZN4vllm25paged_attention_v2_kernelI14__hip_bfloat16hLi120ELi16ELi128ELNS_18Fp8KVCacheDataTypeE1ELb1ELi512EEEvPfS3_PT_PKS4_PKT0_SA_ifPKiSC_iPKfiiiSE_SE_iiiii
	.globl	_ZN4vllm25paged_attention_v2_kernelI14__hip_bfloat16hLi120ELi16ELi128ELNS_18Fp8KVCacheDataTypeE1ELb1ELi512EEEvPfS3_PT_PKS4_PKT0_SA_ifPKiSC_iPKfiiiSE_SE_iiiii
	.p2align	8
	.type	_ZN4vllm25paged_attention_v2_kernelI14__hip_bfloat16hLi120ELi16ELi128ELNS_18Fp8KVCacheDataTypeE1ELb1ELi512EEEvPfS3_PT_PKS4_PKT0_SA_ifPKiSC_iPKfiiiSE_SE_iiiii,@function
_ZN4vllm25paged_attention_v2_kernelI14__hip_bfloat16hLi120ELi16ELi128ELNS_18Fp8KVCacheDataTypeE1ELb1ELi512EEEvPfS3_PT_PKS4_PKT0_SA_ifPKiSC_iPKfiiiSE_SE_iiiii: ; @_ZN4vllm25paged_attention_v2_kernelI14__hip_bfloat16hLi120ELi16ELi128ELNS_18Fp8KVCacheDataTypeE1ELb1ELi512EEEvPfS3_PT_PKS4_PKT0_SA_ifPKiSC_iPKfiiiSE_SE_iiiii
; %bb.0:
	s_load_dwordx2 s[6:7], s[0:1], 0x40
	s_mov_b32 s34, s3
	s_ashr_i32 s35, s3, 31
	s_lshl_b64 s[8:9], s[34:35], 2
	s_waitcnt lgkmcnt(0)
	s_add_u32 s6, s6, s8
	s_addc_u32 s7, s7, s9
	s_load_dword s33, s[6:7], 0x0
	s_lshl_b32 s50, s4, 9
	s_waitcnt lgkmcnt(0)
	s_cmp_ge_i32 s50, s33
	s_cbranch_scc1 .LBB338_505
; %bb.1:
	s_load_dword s5, s[0:1], 0x90
	s_load_dwordx2 s[42:43], s[0:1], 0x30
	s_mov_b32 s51, 0
	s_waitcnt lgkmcnt(0)
	s_abs_i32 s7, s5
	s_abs_i32 s3, s42
	v_cvt_f32_u32_e32 v1, s3
	s_sub_i32 s8, 0, s3
	s_xor_b32 s6, s5, s42
	s_ashr_i32 s6, s6, 31
	v_rcp_iflag_f32_e32 v1, v1
	s_nop 0
	v_mul_f32_e32 v1, 0x4f7ffffe, v1
	v_cvt_u32_f32_e32 v1, v1
	s_nop 0
	v_readfirstlane_b32 s9, v1
	s_mul_i32 s8, s8, s9
	s_mul_hi_u32 s8, s9, s8
	s_add_i32 s9, s9, s8
	s_mul_hi_u32 s8, s7, s9
	s_mul_i32 s9, s8, s3
	s_sub_i32 s7, s7, s9
	s_add_i32 s10, s8, 1
	s_sub_i32 s9, s7, s3
	s_cmp_ge_u32 s7, s3
	s_cselect_b32 s8, s10, s8
	s_cselect_b32 s7, s9, s7
	s_add_i32 s9, s8, 1
	s_cmp_ge_u32 s7, s3
	s_cselect_b32 s3, s9, s8
	s_xor_b32 s3, s3, s6
	s_sub_i32 s11, s3, s6
	s_abs_i32 s8, s11
	v_cvt_f32_u32_e32 v1, s8
	s_load_dwordx2 s[6:7], s[0:1], 0x50
	s_sub_i32 s3, 0, s8
	s_abs_i32 s9, s2
	v_rcp_iflag_f32_e32 v1, v1
	s_nop 0
	v_mul_f32_e32 v1, 0x4f7ffffe, v1
	v_cvt_u32_f32_e32 v1, v1
	s_nop 0
	v_readfirstlane_b32 s10, v1
	s_mul_i32 s3, s3, s10
	s_mul_hi_u32 s3, s10, s3
	s_add_i32 s10, s10, s3
	s_waitcnt lgkmcnt(0)
	s_cmp_eq_u64 s[6:7], 0
	s_mul_hi_u32 s10, s9, s10
	s_cbranch_scc1 .LBB338_3
; %bb.2:
	s_ashr_i32 s3, s2, 31
	s_lshl_b64 s[12:13], s[2:3], 2
	s_add_u32 s6, s6, s12
	s_addc_u32 s7, s7, s13
	s_load_dword s51, s[6:7], 0x0
.LBB338_3:
	s_load_dwordx4 s[16:19], s[0:1], 0x58
	s_ashr_i32 s3, s2, 31
	s_ashr_i32 s11, s11, 31
	v_and_b32_e32 v6, 3, v0
	s_mul_i32 s28, s2, 0x78
	v_cmp_gt_u32_e32 vcc, 60, v0
	s_and_saveexec_b64 s[6:7], vcc
	s_cbranch_execz .LBB338_5
; %bb.4:
	s_load_dwordx2 s[12:13], s[0:1], 0x18
	s_waitcnt lgkmcnt(0)
	s_mul_i32 s14, s34, s16
	s_ashr_i32 s15, s14, 31
	s_lshl_b64 s[14:15], s[14:15], 1
	v_lshlrev_b32_e32 v1, 2, v0
	s_add_u32 s14, s12, s14
	s_addc_u32 s15, s13, s15
	s_ashr_i32 s29, s28, 31
	s_lshl_b64 s[12:13], s[28:29], 1
	s_add_u32 s12, s14, s12
	s_addc_u32 s13, s15, s13
	global_load_dword v1, v1, s[12:13]
	v_and_b32_e32 v2, 0x3fc, v0
	v_mad_u32_u24 v2, v6, 60, v2
	s_waitcnt vmcnt(0)
	ds_write_b32 v2, v1
.LBB338_5:
	s_or_b64 exec, exec, s[6:7]
	s_mul_i32 s6, s10, s8
	s_sub_i32 s6, s9, s6
	s_xor_b32 s3, s3, s11
	s_add_i32 s7, s10, 1
	s_sub_i32 s9, s6, s8
	s_load_dwordx4 s[20:23], s[0:1], 0x78
	s_cmp_ge_u32 s6, s8
	s_cselect_b32 s7, s7, s10
	s_cselect_b32 s6, s9, s6
	s_add_i32 s9, s7, 1
	s_cmp_ge_u32 s6, s8
	s_cselect_b32 s6, s9, s7
	s_load_dword s9, s[0:1], 0x88
	s_waitcnt lgkmcnt(0)
	s_abs_i32 s29, s23
	v_cvt_f32_u32_e32 v1, s29
	s_xor_b32 s6, s6, s3
	s_sub_i32 s10, s6, s3
	s_sub_i32 s6, 0, s29
	v_rcp_iflag_f32_e32 v1, v1
	s_add_i32 s11, s33, -1
	s_abs_i32 s3, s11
	v_mul_f32_e32 v1, 0x4f7ffffe, v1
	v_cvt_u32_f32_e32 v1, v1
	s_barrier
	v_readfirstlane_b32 s35, v1
	s_mul_i32 s6, s6, s35
	s_mul_hi_u32 s6, s35, s6
	s_add_i32 s35, s35, s6
	s_cmp_lt_i32 s9, 0
	s_mul_hi_u32 s8, s3, s35
	s_cbranch_scc0 .LBB338_7
; %bb.6:
	s_mul_i32 s6, s20, s42
	s_add_i32 s6, s10, s6
	s_mul_i32 s6, s6, s9
	s_sub_i32 s42, 1, s6
	s_mov_b64 s[6:7], 0
	s_branch .LBB338_8
.LBB338_7:
	s_mov_b64 s[6:7], -1
                                        ; implicit-def: $sgpr42
.LBB338_8:
	s_load_dwordx2 s[36:37], s[0:1], 0x38
	s_ashr_i32 s11, s11, 31
	s_andn2_b64 vcc, exec, s[6:7]
	s_ashr_i32 s48, s23, 31
	s_cbranch_vccnz .LBB338_10
; %bb.9:
	s_mul_i32 s6, s5, s20
	s_add_i32 s6, s6, s2
	s_mul_i32 s6, s6, s9
	s_add_i32 s42, s6, 1
.LBB338_10:
	s_load_dwordx2 s[40:41], s[0:1], 0x28
	s_load_dword s6, s[0:1], 0x48
	s_load_dwordx4 s[24:27], s[0:1], 0x0
	s_load_dwordx2 s[30:31], s[0:1], 0x10
	s_load_dword s23, s[0:1], 0x98
	s_load_dwordx4 s[12:15], s[0:1], 0x68
	s_mul_i32 s7, s8, s29
	s_waitcnt lgkmcnt(0)
	s_mul_i32 s38, s34, s6
	s_sub_i32 s3, s3, s7
	s_ashr_i32 s39, s38, 31
	s_xor_b32 s6, s11, s48
	s_add_i32 s7, s8, 1
	s_sub_i32 s9, s3, s29
	s_cmp_ge_u32 s3, s29
	s_cselect_b32 s7, s7, s8
	s_cselect_b32 s3, s9, s3
	s_add_i32 s8, s7, 1
	s_cmp_ge_u32 s3, s29
	s_cselect_b32 s3, s8, s7
	s_xor_b32 s3, s3, s6
	s_sub_i32 s16, s3, s6
	s_add_i32 s3, s33, 15
	s_ashr_i32 s6, s3, 31
	s_lshr_b32 s6, s6, 28
	s_add_i32 s3, s3, s6
	s_lshl_b32 s52, s4, 5
	s_ashr_i32 s3, s3, 4
	s_add_i32 s6, s52, 32
	v_lshrrev_b32_e32 v27, 6, v0
	s_min_i32 s49, s6, s3
	v_or_b32_e32 v10, s52, v27
	v_cmp_gt_i32_e64 s[8:9], s49, v10
	v_mov_b32_e32 v30, 0xff7fffff
	s_mul_i32 s20, s10, s18
	v_ashrrev_i32_e32 v11, 31, v10
	v_lshl_add_u32 v1, v27, 4, s50
	v_mbcnt_lo_u32_b32 v26, -1, 0
	s_and_saveexec_b64 s[18:19], s[8:9]
	s_cbranch_execz .LBB338_140
; %bb.11:
	s_load_dwordx2 s[0:1], s[0:1], 0x20
	s_sub_i32 s53, s16, s21
	s_ashr_i32 s6, s20, 31
	v_bfe_u32 v28, v0, 2, 4
	v_mov_b32_e32 v3, 0
	s_waitcnt lgkmcnt(0)
	s_add_u32 s0, s0, s20
	s_addc_u32 s1, s1, s6
	s_abs_i32 s54, s22
	v_cvt_f32_u32_e32 v2, s54
	v_cmp_eq_u32_e32 vcc, 0, v6
	v_mul_u32_u24_e32 v29, 60, v6
	v_lshlrev_b32_e32 v8, 2, v28
	v_rcp_iflag_f32_e32 v4, v2
	v_lshlrev_b32_e32 v2, 4, v28
	v_lshl_or_b32 v8, v27, 6, v8
	v_add_u32_e32 v33, 0x100, v8
	v_mul_f32_e32 v4, 0x4f7ffffe, v4
	v_cvt_u32_f32_e32 v7, v4
	v_lshl_add_u64 v[4:5], s[0:1], 0, v[2:3]
	s_sub_i32 s0, 0, s54
	v_lshlrev_b32_e32 v2, 1, v6
	v_mul_lo_u32 v6, s0, v7
	s_lshl_b64 s[0:1], s[38:39], 2
	s_add_u32 s0, s36, s0
	v_mul_hi_u32 v6, v7, v6
	s_addc_u32 s1, s37, s1
	v_subrev_u32_e32 v8, s33, v28
	s_mov_b32 s55, s17
	v_cmp_neq_f32_e64 s[6:7], s51, 0
	v_add_u32_e32 v31, v7, v6
	v_lshl_add_u64 v[6:7], v[10:11], 2, s[0:1]
	v_lshl_add_u32 v32, v27, 4, s50
	v_add_u32_e32 v34, 1, v8
	s_mov_b64 s[44:45], 0
	v_mov_b32_e32 v35, 0xff7fffff
	s_mov_b32 s56, 0xffff
	s_mov_b32 s57, 0x7f800000
	s_movk_i32 s58, 0x7fff
	v_mbcnt_hi_u32_b32 v36, -1, v26
	v_mov_b32_e32 v30, 0xff7fffff
	v_mov_b32_e32 v37, v10
	s_branch .LBB338_14
.LBB338_12:                             ;   in Loop: Header=BB338_14 Depth=1
	s_or_b64 exec, exec, s[46:47]
.LBB338_13:                             ;   in Loop: Header=BB338_14 Depth=1
	s_or_b64 exec, exec, s[10:11]
	v_add_u32_e32 v37, 2, v37
	v_cmp_le_i32_e64 s[0:1], s49, v37
	v_lshl_add_u64 v[6:7], v[6:7], 0, 8
	v_add_u32_e32 v32, 32, v32
	s_or_b64 s[44:45], s[0:1], s[44:45]
	v_add_u32_e32 v33, 0x80, v33
	s_andn2_b64 exec, exec, s[44:45]
	s_cbranch_execz .LBB338_139
.LBB338_14:                             ; =>This Inner Loop Header: Depth=1
	s_waitcnt lgkmcnt(0)
	v_sub_u32_e32 v9, 0, v32
	v_max_i32_e32 v9, v32, v9
	v_mul_hi_u32 v12, v9, s35
	v_mul_lo_u32 v13, v12, s29
	v_sub_u32_e32 v9, v9, v13
	v_add_u32_e32 v13, 1, v12
	v_cmp_le_u32_e64 s[0:1], s29, v9
	v_ashrrev_i32_e32 v8, 31, v32
	v_xor_b32_e32 v8, s48, v8
	v_cndmask_b32_e64 v12, v12, v13, s[0:1]
	v_subrev_u32_e32 v13, s29, v9
	v_cndmask_b32_e64 v9, v9, v13, s[0:1]
	v_add_u32_e32 v13, 1, v12
	v_cmp_le_u32_e64 s[0:1], s29, v9
	s_nop 1
	v_cndmask_b32_e64 v9, v12, v13, s[0:1]
	v_xor_b32_e32 v9, v9, v8
	v_sub_u32_e32 v8, v9, v8
	v_add_u32_e32 v9, s42, v8
	v_sub_u32_e32 v13, 0, v9
	v_ashrrev_i32_e32 v12, 31, v9
	v_max_i32_e32 v9, v9, v13
	v_mul_hi_u32 v13, v9, v31
	v_mul_lo_u32 v13, v13, s54
	v_sub_u32_e32 v9, v9, v13
	v_subrev_u32_e32 v13, s54, v9
	v_cmp_le_u32_e64 s[0:1], s54, v9
	v_cmp_ge_i32_e64 s[10:11], s53, v8
	s_nop 0
	v_cndmask_b32_e64 v9, v9, v13, s[0:1]
	v_subrev_u32_e32 v13, s54, v9
	v_cmp_le_u32_e64 s[0:1], s54, v9
	s_nop 1
	v_cndmask_b32_e64 v9, v9, v13, s[0:1]
	v_xor_b32_e32 v9, v9, v12
	v_sub_u32_e32 v9, v9, v12
	v_cmp_ne_u32_e64 s[0:1], 0, v9
	s_and_b64 s[0:1], s[0:1], s[10:11]
	s_and_b64 s[46:47], vcc, s[0:1]
	s_and_saveexec_b64 s[10:11], s[46:47]
	s_cbranch_execz .LBB338_16
; %bb.15:                               ;   in Loop: Header=BB338_14 Depth=1
	ds_write_b32 v33, v35
.LBB338_16:                             ;   in Loop: Header=BB338_14 Depth=1
	s_or_b64 exec, exec, s[10:11]
	s_xor_b64 s[0:1], s[0:1], -1
	s_and_saveexec_b64 s[10:11], s[0:1]
	s_cbranch_execz .LBB338_13
; %bb.17:                               ;   in Loop: Header=BB338_14 Depth=1
	global_load_dword v8, v[6:7], off
	s_waitcnt vmcnt(0)
	v_mad_i64_i32 v[8:9], s[0:1], v8, s55, v[4:5]
	v_lshl_add_u64 v[24:25], v[8:9], 0, v[2:3]
	global_load_ushort v40, v[24:25], off
	ds_read2_b32 v[22:23], v29 offset1:1
	ds_read2_b32 v[18:19], v29 offset0:2 offset1:3
	ds_read2_b32 v[14:15], v29 offset0:4 offset1:5
	;; [unrolled: 1-line block ×3, first 2 shown]
	s_load_dword s59, s[12:13], 0x0
	s_waitcnt vmcnt(0)
	v_and_b32_sdwa v12, s56, v40 dst_sel:DWORD dst_unused:UNUSED_PAD src0_sel:DWORD src1_sel:BYTE_0
	v_cvt_f32_fp8_sdwa v39, v12 src0_sel:BYTE_0
	ds_read2_b32 v[20:21], v29 offset0:8 offset1:9
	ds_read2_b32 v[16:17], v29 offset0:10 offset1:11
	;; [unrolled: 1-line block ×3, first 2 shown]
	ds_read_b32 v38, v29 offset:56
	s_waitcnt lgkmcnt(0)
	v_mul_f32_e32 v41, s59, v39
	v_and_b32_e32 v39, 0x7f800000, v41
	v_cmp_ne_u32_e64 s[0:1], s57, v39
                                        ; implicit-def: $vgpr39
	s_and_saveexec_b64 s[46:47], s[0:1]
	s_xor_b64 s[0:1], exec, s[46:47]
; %bb.18:                               ;   in Loop: Header=BB338_14 Depth=1
	v_bfe_u32 v39, v41, 16, 1
	v_add3_u32 v39, v41, v39, s58
                                        ; implicit-def: $vgpr41
; %bb.19:                               ;   in Loop: Header=BB338_14 Depth=1
	s_andn2_saveexec_b64 s[46:47], s[0:1]
; %bb.20:                               ;   in Loop: Header=BB338_14 Depth=1
	v_or_b32_e32 v39, 0x10000, v41
	v_cmp_eq_u32_sdwa s[0:1], v41, v3 src0_sel:WORD_0 src1_sel:DWORD
	s_nop 1
	v_cndmask_b32_e64 v39, v39, v41, s[0:1]
; %bb.21:                               ;   in Loop: Header=BB338_14 Depth=1
	s_or_b64 exec, exec, s[46:47]
	v_lshrrev_b16_e32 v40, 8, v40
	v_cvt_f32_fp8_sdwa v40, v40 src0_sel:BYTE_0
	s_nop 0
	v_mul_f32_e32 v41, s59, v40
	v_and_b32_e32 v40, 0x7f800000, v41
	v_cmp_ne_u32_e64 s[0:1], s57, v40
                                        ; implicit-def: $vgpr40
	s_and_saveexec_b64 s[46:47], s[0:1]
	s_xor_b64 s[0:1], exec, s[46:47]
; %bb.22:                               ;   in Loop: Header=BB338_14 Depth=1
	v_bfe_u32 v40, v41, 16, 1
	v_add3_u32 v40, v41, v40, s58
                                        ; implicit-def: $vgpr41
; %bb.23:                               ;   in Loop: Header=BB338_14 Depth=1
	s_andn2_saveexec_b64 s[46:47], s[0:1]
; %bb.24:                               ;   in Loop: Header=BB338_14 Depth=1
	v_or_b32_e32 v40, 0x10000, v41
	v_cmp_eq_u32_sdwa s[0:1], v41, v3 src0_sel:WORD_0 src1_sel:DWORD
	s_nop 1
	v_cndmask_b32_e64 v40, v40, v41, s[0:1]
; %bb.25:                               ;   in Loop: Header=BB338_14 Depth=1
	s_or_b64 exec, exec, s[46:47]
	global_load_ushort v42, v[24:25], off offset:8
	s_waitcnt vmcnt(0)
	v_and_b32_sdwa v41, s56, v42 dst_sel:DWORD dst_unused:UNUSED_PAD src0_sel:DWORD src1_sel:BYTE_0
	v_cvt_f32_fp8_sdwa v41, v41 src0_sel:BYTE_0
	s_nop 0
	v_mul_f32_e32 v43, s59, v41
	v_and_b32_e32 v41, 0x7f800000, v43
	v_cmp_ne_u32_e64 s[0:1], s57, v41
                                        ; implicit-def: $vgpr41
	s_and_saveexec_b64 s[46:47], s[0:1]
	s_xor_b64 s[0:1], exec, s[46:47]
; %bb.26:                               ;   in Loop: Header=BB338_14 Depth=1
	v_bfe_u32 v41, v43, 16, 1
	v_add3_u32 v41, v43, v41, s58
                                        ; implicit-def: $vgpr43
; %bb.27:                               ;   in Loop: Header=BB338_14 Depth=1
	s_andn2_saveexec_b64 s[46:47], s[0:1]
; %bb.28:                               ;   in Loop: Header=BB338_14 Depth=1
	v_or_b32_e32 v41, 0x10000, v43
	v_cmp_eq_u32_sdwa s[0:1], v43, v3 src0_sel:WORD_0 src1_sel:DWORD
	s_nop 1
	v_cndmask_b32_e64 v41, v41, v43, s[0:1]
; %bb.29:                               ;   in Loop: Header=BB338_14 Depth=1
	s_or_b64 exec, exec, s[46:47]
	v_lshrrev_b16_e32 v42, 8, v42
	v_cvt_f32_fp8_sdwa v42, v42 src0_sel:BYTE_0
	s_nop 0
	v_mul_f32_e32 v43, s59, v42
	v_and_b32_e32 v42, 0x7f800000, v43
	v_cmp_ne_u32_e64 s[0:1], s57, v42
                                        ; implicit-def: $vgpr42
	s_and_saveexec_b64 s[46:47], s[0:1]
	s_xor_b64 s[0:1], exec, s[46:47]
; %bb.30:                               ;   in Loop: Header=BB338_14 Depth=1
	v_bfe_u32 v42, v43, 16, 1
	v_add3_u32 v42, v43, v42, s58
                                        ; implicit-def: $vgpr43
; %bb.31:                               ;   in Loop: Header=BB338_14 Depth=1
	s_andn2_saveexec_b64 s[46:47], s[0:1]
; %bb.32:                               ;   in Loop: Header=BB338_14 Depth=1
	v_or_b32_e32 v42, 0x10000, v43
	v_cmp_eq_u32_sdwa s[0:1], v43, v3 src0_sel:WORD_0 src1_sel:DWORD
	s_nop 1
	v_cndmask_b32_e64 v42, v42, v43, s[0:1]
; %bb.33:                               ;   in Loop: Header=BB338_14 Depth=1
	s_or_b64 exec, exec, s[46:47]
	global_load_ushort v44, v[24:25], off offset:256
	s_waitcnt vmcnt(0)
	v_and_b32_sdwa v43, s56, v44 dst_sel:DWORD dst_unused:UNUSED_PAD src0_sel:DWORD src1_sel:BYTE_0
	v_cvt_f32_fp8_sdwa v43, v43 src0_sel:BYTE_0
	s_nop 0
	v_mul_f32_e32 v45, s59, v43
	v_and_b32_e32 v43, 0x7f800000, v45
	v_cmp_ne_u32_e64 s[0:1], s57, v43
                                        ; implicit-def: $vgpr43
	s_and_saveexec_b64 s[46:47], s[0:1]
	s_xor_b64 s[0:1], exec, s[46:47]
; %bb.34:                               ;   in Loop: Header=BB338_14 Depth=1
	v_bfe_u32 v43, v45, 16, 1
	v_add3_u32 v43, v45, v43, s58
                                        ; implicit-def: $vgpr45
; %bb.35:                               ;   in Loop: Header=BB338_14 Depth=1
	s_andn2_saveexec_b64 s[46:47], s[0:1]
; %bb.36:                               ;   in Loop: Header=BB338_14 Depth=1
	v_or_b32_e32 v43, 0x10000, v45
	v_cmp_eq_u32_sdwa s[0:1], v45, v3 src0_sel:WORD_0 src1_sel:DWORD
	s_nop 1
	v_cndmask_b32_e64 v43, v43, v45, s[0:1]
; %bb.37:                               ;   in Loop: Header=BB338_14 Depth=1
	s_or_b64 exec, exec, s[46:47]
	v_lshrrev_b16_e32 v44, 8, v44
	v_cvt_f32_fp8_sdwa v44, v44 src0_sel:BYTE_0
	s_nop 0
	v_mul_f32_e32 v45, s59, v44
	v_and_b32_e32 v44, 0x7f800000, v45
	v_cmp_ne_u32_e64 s[0:1], s57, v44
                                        ; implicit-def: $vgpr44
	s_and_saveexec_b64 s[46:47], s[0:1]
	s_xor_b64 s[0:1], exec, s[46:47]
; %bb.38:                               ;   in Loop: Header=BB338_14 Depth=1
	v_bfe_u32 v44, v45, 16, 1
	v_add3_u32 v44, v45, v44, s58
                                        ; implicit-def: $vgpr45
; %bb.39:                               ;   in Loop: Header=BB338_14 Depth=1
	s_andn2_saveexec_b64 s[46:47], s[0:1]
; %bb.40:                               ;   in Loop: Header=BB338_14 Depth=1
	v_or_b32_e32 v44, 0x10000, v45
	v_cmp_eq_u32_sdwa s[0:1], v45, v3 src0_sel:WORD_0 src1_sel:DWORD
	s_nop 1
	v_cndmask_b32_e64 v44, v44, v45, s[0:1]
; %bb.41:                               ;   in Loop: Header=BB338_14 Depth=1
	s_or_b64 exec, exec, s[46:47]
	global_load_ushort v46, v[24:25], off offset:264
	s_waitcnt vmcnt(0)
	v_and_b32_sdwa v45, s56, v46 dst_sel:DWORD dst_unused:UNUSED_PAD src0_sel:DWORD src1_sel:BYTE_0
	v_cvt_f32_fp8_sdwa v45, v45 src0_sel:BYTE_0
	s_nop 0
	v_mul_f32_e32 v47, s59, v45
	v_and_b32_e32 v45, 0x7f800000, v47
	v_cmp_ne_u32_e64 s[0:1], s57, v45
                                        ; implicit-def: $vgpr45
	s_and_saveexec_b64 s[46:47], s[0:1]
	s_xor_b64 s[0:1], exec, s[46:47]
; %bb.42:                               ;   in Loop: Header=BB338_14 Depth=1
	v_bfe_u32 v45, v47, 16, 1
	v_add3_u32 v45, v47, v45, s58
                                        ; implicit-def: $vgpr47
; %bb.43:                               ;   in Loop: Header=BB338_14 Depth=1
	s_andn2_saveexec_b64 s[46:47], s[0:1]
; %bb.44:                               ;   in Loop: Header=BB338_14 Depth=1
	v_or_b32_e32 v45, 0x10000, v47
	v_cmp_eq_u32_sdwa s[0:1], v47, v3 src0_sel:WORD_0 src1_sel:DWORD
	s_nop 1
	v_cndmask_b32_e64 v45, v45, v47, s[0:1]
; %bb.45:                               ;   in Loop: Header=BB338_14 Depth=1
	s_or_b64 exec, exec, s[46:47]
	v_lshrrev_b16_e32 v46, 8, v46
	v_cvt_f32_fp8_sdwa v46, v46 src0_sel:BYTE_0
	s_nop 0
	v_mul_f32_e32 v47, s59, v46
	v_and_b32_e32 v46, 0x7f800000, v47
	v_cmp_ne_u32_e64 s[0:1], s57, v46
                                        ; implicit-def: $vgpr46
	s_and_saveexec_b64 s[46:47], s[0:1]
	s_xor_b64 s[0:1], exec, s[46:47]
; %bb.46:                               ;   in Loop: Header=BB338_14 Depth=1
	v_bfe_u32 v46, v47, 16, 1
	v_add3_u32 v46, v47, v46, s58
                                        ; implicit-def: $vgpr47
; %bb.47:                               ;   in Loop: Header=BB338_14 Depth=1
	s_andn2_saveexec_b64 s[46:47], s[0:1]
; %bb.48:                               ;   in Loop: Header=BB338_14 Depth=1
	v_or_b32_e32 v46, 0x10000, v47
	v_cmp_eq_u32_sdwa s[0:1], v47, v3 src0_sel:WORD_0 src1_sel:DWORD
	s_nop 1
	v_cndmask_b32_e64 v46, v46, v47, s[0:1]
; %bb.49:                               ;   in Loop: Header=BB338_14 Depth=1
	s_or_b64 exec, exec, s[46:47]
	global_load_ushort v48, v[24:25], off offset:512
	s_waitcnt vmcnt(0)
	v_and_b32_sdwa v47, s56, v48 dst_sel:DWORD dst_unused:UNUSED_PAD src0_sel:DWORD src1_sel:BYTE_0
	v_cvt_f32_fp8_sdwa v47, v47 src0_sel:BYTE_0
	s_nop 0
	v_mul_f32_e32 v49, s59, v47
	v_and_b32_e32 v47, 0x7f800000, v49
	v_cmp_ne_u32_e64 s[0:1], s57, v47
                                        ; implicit-def: $vgpr47
	s_and_saveexec_b64 s[46:47], s[0:1]
	s_xor_b64 s[0:1], exec, s[46:47]
; %bb.50:                               ;   in Loop: Header=BB338_14 Depth=1
	v_bfe_u32 v47, v49, 16, 1
	v_add3_u32 v47, v49, v47, s58
                                        ; implicit-def: $vgpr49
; %bb.51:                               ;   in Loop: Header=BB338_14 Depth=1
	s_andn2_saveexec_b64 s[46:47], s[0:1]
; %bb.52:                               ;   in Loop: Header=BB338_14 Depth=1
	v_or_b32_e32 v47, 0x10000, v49
	v_cmp_eq_u32_sdwa s[0:1], v49, v3 src0_sel:WORD_0 src1_sel:DWORD
	s_nop 1
	v_cndmask_b32_e64 v47, v47, v49, s[0:1]
; %bb.53:                               ;   in Loop: Header=BB338_14 Depth=1
	s_or_b64 exec, exec, s[46:47]
	v_lshrrev_b16_e32 v48, 8, v48
	v_cvt_f32_fp8_sdwa v48, v48 src0_sel:BYTE_0
	s_nop 0
	v_mul_f32_e32 v49, s59, v48
	v_and_b32_e32 v48, 0x7f800000, v49
	v_cmp_ne_u32_e64 s[0:1], s57, v48
                                        ; implicit-def: $vgpr48
	s_and_saveexec_b64 s[46:47], s[0:1]
	s_xor_b64 s[0:1], exec, s[46:47]
; %bb.54:                               ;   in Loop: Header=BB338_14 Depth=1
	v_bfe_u32 v48, v49, 16, 1
	v_add3_u32 v48, v49, v48, s58
                                        ; implicit-def: $vgpr49
; %bb.55:                               ;   in Loop: Header=BB338_14 Depth=1
	s_andn2_saveexec_b64 s[46:47], s[0:1]
; %bb.56:                               ;   in Loop: Header=BB338_14 Depth=1
	v_or_b32_e32 v48, 0x10000, v49
	v_cmp_eq_u32_sdwa s[0:1], v49, v3 src0_sel:WORD_0 src1_sel:DWORD
	s_nop 1
	v_cndmask_b32_e64 v48, v48, v49, s[0:1]
; %bb.57:                               ;   in Loop: Header=BB338_14 Depth=1
	s_or_b64 exec, exec, s[46:47]
	global_load_ushort v50, v[24:25], off offset:520
	s_waitcnt vmcnt(0)
	v_and_b32_sdwa v49, s56, v50 dst_sel:DWORD dst_unused:UNUSED_PAD src0_sel:DWORD src1_sel:BYTE_0
	v_cvt_f32_fp8_sdwa v49, v49 src0_sel:BYTE_0
	s_nop 0
	v_mul_f32_e32 v51, s59, v49
	v_and_b32_e32 v49, 0x7f800000, v51
	v_cmp_ne_u32_e64 s[0:1], s57, v49
                                        ; implicit-def: $vgpr49
	s_and_saveexec_b64 s[46:47], s[0:1]
	s_xor_b64 s[0:1], exec, s[46:47]
; %bb.58:                               ;   in Loop: Header=BB338_14 Depth=1
	v_bfe_u32 v49, v51, 16, 1
	v_add3_u32 v49, v51, v49, s58
                                        ; implicit-def: $vgpr51
; %bb.59:                               ;   in Loop: Header=BB338_14 Depth=1
	s_andn2_saveexec_b64 s[46:47], s[0:1]
; %bb.60:                               ;   in Loop: Header=BB338_14 Depth=1
	v_or_b32_e32 v49, 0x10000, v51
	v_cmp_eq_u32_sdwa s[0:1], v51, v3 src0_sel:WORD_0 src1_sel:DWORD
	s_nop 1
	v_cndmask_b32_e64 v49, v49, v51, s[0:1]
; %bb.61:                               ;   in Loop: Header=BB338_14 Depth=1
	s_or_b64 exec, exec, s[46:47]
	v_lshrrev_b16_e32 v50, 8, v50
	v_cvt_f32_fp8_sdwa v50, v50 src0_sel:BYTE_0
	s_nop 0
	v_mul_f32_e32 v51, s59, v50
	v_and_b32_e32 v50, 0x7f800000, v51
	v_cmp_ne_u32_e64 s[0:1], s57, v50
                                        ; implicit-def: $vgpr50
	s_and_saveexec_b64 s[46:47], s[0:1]
	s_xor_b64 s[0:1], exec, s[46:47]
; %bb.62:                               ;   in Loop: Header=BB338_14 Depth=1
	v_bfe_u32 v50, v51, 16, 1
	v_add3_u32 v50, v51, v50, s58
                                        ; implicit-def: $vgpr51
; %bb.63:                               ;   in Loop: Header=BB338_14 Depth=1
	s_andn2_saveexec_b64 s[46:47], s[0:1]
; %bb.64:                               ;   in Loop: Header=BB338_14 Depth=1
	v_or_b32_e32 v50, 0x10000, v51
	v_cmp_eq_u32_sdwa s[0:1], v51, v3 src0_sel:WORD_0 src1_sel:DWORD
	s_nop 1
	v_cndmask_b32_e64 v50, v50, v51, s[0:1]
; %bb.65:                               ;   in Loop: Header=BB338_14 Depth=1
	s_or_b64 exec, exec, s[46:47]
	global_load_ushort v52, v[24:25], off offset:768
	s_waitcnt vmcnt(0)
	v_and_b32_sdwa v51, s56, v52 dst_sel:DWORD dst_unused:UNUSED_PAD src0_sel:DWORD src1_sel:BYTE_0
	v_cvt_f32_fp8_sdwa v51, v51 src0_sel:BYTE_0
	s_nop 0
	v_mul_f32_e32 v53, s59, v51
	v_and_b32_e32 v51, 0x7f800000, v53
	v_cmp_ne_u32_e64 s[0:1], s57, v51
                                        ; implicit-def: $vgpr51
	s_and_saveexec_b64 s[46:47], s[0:1]
	s_xor_b64 s[0:1], exec, s[46:47]
; %bb.66:                               ;   in Loop: Header=BB338_14 Depth=1
	v_bfe_u32 v51, v53, 16, 1
	v_add3_u32 v51, v53, v51, s58
                                        ; implicit-def: $vgpr53
; %bb.67:                               ;   in Loop: Header=BB338_14 Depth=1
	s_andn2_saveexec_b64 s[46:47], s[0:1]
; %bb.68:                               ;   in Loop: Header=BB338_14 Depth=1
	v_or_b32_e32 v51, 0x10000, v53
	v_cmp_eq_u32_sdwa s[0:1], v53, v3 src0_sel:WORD_0 src1_sel:DWORD
	s_nop 1
	v_cndmask_b32_e64 v51, v51, v53, s[0:1]
; %bb.69:                               ;   in Loop: Header=BB338_14 Depth=1
	s_or_b64 exec, exec, s[46:47]
	v_lshrrev_b16_e32 v52, 8, v52
	v_cvt_f32_fp8_sdwa v52, v52 src0_sel:BYTE_0
	s_nop 0
	v_mul_f32_e32 v53, s59, v52
	v_and_b32_e32 v52, 0x7f800000, v53
	v_cmp_ne_u32_e64 s[0:1], s57, v52
                                        ; implicit-def: $vgpr52
	s_and_saveexec_b64 s[46:47], s[0:1]
	s_xor_b64 s[0:1], exec, s[46:47]
; %bb.70:                               ;   in Loop: Header=BB338_14 Depth=1
	v_bfe_u32 v52, v53, 16, 1
	v_add3_u32 v52, v53, v52, s58
                                        ; implicit-def: $vgpr53
; %bb.71:                               ;   in Loop: Header=BB338_14 Depth=1
	s_andn2_saveexec_b64 s[46:47], s[0:1]
; %bb.72:                               ;   in Loop: Header=BB338_14 Depth=1
	v_or_b32_e32 v52, 0x10000, v53
	v_cmp_eq_u32_sdwa s[0:1], v53, v3 src0_sel:WORD_0 src1_sel:DWORD
	s_nop 1
	v_cndmask_b32_e64 v52, v52, v53, s[0:1]
; %bb.73:                               ;   in Loop: Header=BB338_14 Depth=1
	s_or_b64 exec, exec, s[46:47]
	global_load_ushort v54, v[24:25], off offset:776
	s_waitcnt vmcnt(0)
	v_and_b32_sdwa v53, s56, v54 dst_sel:DWORD dst_unused:UNUSED_PAD src0_sel:DWORD src1_sel:BYTE_0
	v_cvt_f32_fp8_sdwa v53, v53 src0_sel:BYTE_0
	s_nop 0
	v_mul_f32_e32 v55, s59, v53
	v_and_b32_e32 v53, 0x7f800000, v55
	v_cmp_ne_u32_e64 s[0:1], s57, v53
                                        ; implicit-def: $vgpr53
	s_and_saveexec_b64 s[46:47], s[0:1]
	s_xor_b64 s[0:1], exec, s[46:47]
; %bb.74:                               ;   in Loop: Header=BB338_14 Depth=1
	v_bfe_u32 v53, v55, 16, 1
	v_add3_u32 v53, v55, v53, s58
                                        ; implicit-def: $vgpr55
; %bb.75:                               ;   in Loop: Header=BB338_14 Depth=1
	s_andn2_saveexec_b64 s[46:47], s[0:1]
; %bb.76:                               ;   in Loop: Header=BB338_14 Depth=1
	v_or_b32_e32 v53, 0x10000, v55
	v_cmp_eq_u32_sdwa s[0:1], v55, v3 src0_sel:WORD_0 src1_sel:DWORD
	s_nop 1
	v_cndmask_b32_e64 v53, v53, v55, s[0:1]
; %bb.77:                               ;   in Loop: Header=BB338_14 Depth=1
	s_or_b64 exec, exec, s[46:47]
	v_lshrrev_b16_e32 v54, 8, v54
	v_cvt_f32_fp8_sdwa v54, v54 src0_sel:BYTE_0
	s_nop 0
	v_mul_f32_e32 v55, s59, v54
	v_and_b32_e32 v54, 0x7f800000, v55
	v_cmp_ne_u32_e64 s[0:1], s57, v54
                                        ; implicit-def: $vgpr54
	s_and_saveexec_b64 s[46:47], s[0:1]
	s_xor_b64 s[0:1], exec, s[46:47]
; %bb.78:                               ;   in Loop: Header=BB338_14 Depth=1
	v_bfe_u32 v54, v55, 16, 1
	v_add3_u32 v54, v55, v54, s58
                                        ; implicit-def: $vgpr55
; %bb.79:                               ;   in Loop: Header=BB338_14 Depth=1
	s_andn2_saveexec_b64 s[46:47], s[0:1]
; %bb.80:                               ;   in Loop: Header=BB338_14 Depth=1
	v_or_b32_e32 v54, 0x10000, v55
	v_cmp_eq_u32_sdwa s[0:1], v55, v3 src0_sel:WORD_0 src1_sel:DWORD
	s_nop 1
	v_cndmask_b32_e64 v54, v54, v55, s[0:1]
; %bb.81:                               ;   in Loop: Header=BB338_14 Depth=1
	s_or_b64 exec, exec, s[46:47]
	global_load_ushort v56, v[24:25], off offset:1024
	s_waitcnt vmcnt(0)
	v_and_b32_sdwa v55, s56, v56 dst_sel:DWORD dst_unused:UNUSED_PAD src0_sel:DWORD src1_sel:BYTE_0
	v_cvt_f32_fp8_sdwa v55, v55 src0_sel:BYTE_0
	s_nop 0
	v_mul_f32_e32 v57, s59, v55
	v_and_b32_e32 v55, 0x7f800000, v57
	v_cmp_ne_u32_e64 s[0:1], s57, v55
                                        ; implicit-def: $vgpr55
	s_and_saveexec_b64 s[46:47], s[0:1]
	s_xor_b64 s[0:1], exec, s[46:47]
; %bb.82:                               ;   in Loop: Header=BB338_14 Depth=1
	v_bfe_u32 v55, v57, 16, 1
	v_add3_u32 v55, v57, v55, s58
                                        ; implicit-def: $vgpr57
; %bb.83:                               ;   in Loop: Header=BB338_14 Depth=1
	s_andn2_saveexec_b64 s[46:47], s[0:1]
; %bb.84:                               ;   in Loop: Header=BB338_14 Depth=1
	v_or_b32_e32 v55, 0x10000, v57
	v_cmp_eq_u32_sdwa s[0:1], v57, v3 src0_sel:WORD_0 src1_sel:DWORD
	s_nop 1
	v_cndmask_b32_e64 v55, v55, v57, s[0:1]
; %bb.85:                               ;   in Loop: Header=BB338_14 Depth=1
	s_or_b64 exec, exec, s[46:47]
	v_lshrrev_b16_e32 v56, 8, v56
	v_cvt_f32_fp8_sdwa v56, v56 src0_sel:BYTE_0
	s_nop 0
	v_mul_f32_e32 v57, s59, v56
	v_and_b32_e32 v56, 0x7f800000, v57
	v_cmp_ne_u32_e64 s[0:1], s57, v56
                                        ; implicit-def: $vgpr56
	s_and_saveexec_b64 s[46:47], s[0:1]
	s_xor_b64 s[0:1], exec, s[46:47]
; %bb.86:                               ;   in Loop: Header=BB338_14 Depth=1
	v_bfe_u32 v56, v57, 16, 1
	v_add3_u32 v56, v57, v56, s58
                                        ; implicit-def: $vgpr57
; %bb.87:                               ;   in Loop: Header=BB338_14 Depth=1
	s_andn2_saveexec_b64 s[46:47], s[0:1]
; %bb.88:                               ;   in Loop: Header=BB338_14 Depth=1
	v_or_b32_e32 v56, 0x10000, v57
	v_cmp_eq_u32_sdwa s[0:1], v57, v3 src0_sel:WORD_0 src1_sel:DWORD
	s_nop 1
	v_cndmask_b32_e64 v56, v56, v57, s[0:1]
; %bb.89:                               ;   in Loop: Header=BB338_14 Depth=1
	s_or_b64 exec, exec, s[46:47]
	global_load_ushort v58, v[24:25], off offset:1032
	s_waitcnt vmcnt(0)
	v_and_b32_sdwa v57, s56, v58 dst_sel:DWORD dst_unused:UNUSED_PAD src0_sel:DWORD src1_sel:BYTE_0
	v_cvt_f32_fp8_sdwa v57, v57 src0_sel:BYTE_0
	s_nop 0
	v_mul_f32_e32 v59, s59, v57
	v_and_b32_e32 v57, 0x7f800000, v59
	v_cmp_ne_u32_e64 s[0:1], s57, v57
                                        ; implicit-def: $vgpr57
	s_and_saveexec_b64 s[46:47], s[0:1]
	s_xor_b64 s[0:1], exec, s[46:47]
; %bb.90:                               ;   in Loop: Header=BB338_14 Depth=1
	v_bfe_u32 v57, v59, 16, 1
	v_add3_u32 v57, v59, v57, s58
                                        ; implicit-def: $vgpr59
; %bb.91:                               ;   in Loop: Header=BB338_14 Depth=1
	s_andn2_saveexec_b64 s[46:47], s[0:1]
; %bb.92:                               ;   in Loop: Header=BB338_14 Depth=1
	v_or_b32_e32 v57, 0x10000, v59
	v_cmp_eq_u32_sdwa s[0:1], v59, v3 src0_sel:WORD_0 src1_sel:DWORD
	s_nop 1
	v_cndmask_b32_e64 v57, v57, v59, s[0:1]
; %bb.93:                               ;   in Loop: Header=BB338_14 Depth=1
	s_or_b64 exec, exec, s[46:47]
	v_lshrrev_b16_e32 v58, 8, v58
	v_cvt_f32_fp8_sdwa v58, v58 src0_sel:BYTE_0
	s_nop 0
	v_mul_f32_e32 v59, s59, v58
	v_and_b32_e32 v58, 0x7f800000, v59
	v_cmp_ne_u32_e64 s[0:1], s57, v58
                                        ; implicit-def: $vgpr58
	s_and_saveexec_b64 s[46:47], s[0:1]
	s_xor_b64 s[0:1], exec, s[46:47]
; %bb.94:                               ;   in Loop: Header=BB338_14 Depth=1
	v_bfe_u32 v58, v59, 16, 1
	v_add3_u32 v58, v59, v58, s58
                                        ; implicit-def: $vgpr59
; %bb.95:                               ;   in Loop: Header=BB338_14 Depth=1
	s_andn2_saveexec_b64 s[46:47], s[0:1]
; %bb.96:                               ;   in Loop: Header=BB338_14 Depth=1
	v_or_b32_e32 v58, 0x10000, v59
	v_cmp_eq_u32_sdwa s[0:1], v59, v3 src0_sel:WORD_0 src1_sel:DWORD
	s_nop 1
	v_cndmask_b32_e64 v58, v58, v59, s[0:1]
; %bb.97:                               ;   in Loop: Header=BB338_14 Depth=1
	s_or_b64 exec, exec, s[46:47]
	global_load_ushort v60, v[24:25], off offset:1280
	s_waitcnt vmcnt(0)
	v_and_b32_sdwa v59, s56, v60 dst_sel:DWORD dst_unused:UNUSED_PAD src0_sel:DWORD src1_sel:BYTE_0
	v_cvt_f32_fp8_sdwa v59, v59 src0_sel:BYTE_0
	s_nop 0
	v_mul_f32_e32 v61, s59, v59
	v_and_b32_e32 v59, 0x7f800000, v61
	v_cmp_ne_u32_e64 s[0:1], s57, v59
                                        ; implicit-def: $vgpr59
	s_and_saveexec_b64 s[46:47], s[0:1]
	s_xor_b64 s[0:1], exec, s[46:47]
; %bb.98:                               ;   in Loop: Header=BB338_14 Depth=1
	v_bfe_u32 v59, v61, 16, 1
	v_add3_u32 v59, v61, v59, s58
                                        ; implicit-def: $vgpr61
; %bb.99:                               ;   in Loop: Header=BB338_14 Depth=1
	s_andn2_saveexec_b64 s[46:47], s[0:1]
; %bb.100:                              ;   in Loop: Header=BB338_14 Depth=1
	v_or_b32_e32 v59, 0x10000, v61
	v_cmp_eq_u32_sdwa s[0:1], v61, v3 src0_sel:WORD_0 src1_sel:DWORD
	s_nop 1
	v_cndmask_b32_e64 v59, v59, v61, s[0:1]
; %bb.101:                              ;   in Loop: Header=BB338_14 Depth=1
	s_or_b64 exec, exec, s[46:47]
	v_lshrrev_b16_e32 v60, 8, v60
	v_cvt_f32_fp8_sdwa v60, v60 src0_sel:BYTE_0
	s_nop 0
	v_mul_f32_e32 v61, s59, v60
	v_and_b32_e32 v60, 0x7f800000, v61
	v_cmp_ne_u32_e64 s[0:1], s57, v60
                                        ; implicit-def: $vgpr60
	s_and_saveexec_b64 s[46:47], s[0:1]
	s_xor_b64 s[0:1], exec, s[46:47]
; %bb.102:                              ;   in Loop: Header=BB338_14 Depth=1
	v_bfe_u32 v60, v61, 16, 1
	v_add3_u32 v60, v61, v60, s58
                                        ; implicit-def: $vgpr61
; %bb.103:                              ;   in Loop: Header=BB338_14 Depth=1
	s_andn2_saveexec_b64 s[46:47], s[0:1]
; %bb.104:                              ;   in Loop: Header=BB338_14 Depth=1
	v_or_b32_e32 v60, 0x10000, v61
	v_cmp_eq_u32_sdwa s[0:1], v61, v3 src0_sel:WORD_0 src1_sel:DWORD
	s_nop 1
	v_cndmask_b32_e64 v60, v60, v61, s[0:1]
; %bb.105:                              ;   in Loop: Header=BB338_14 Depth=1
	s_or_b64 exec, exec, s[46:47]
	global_load_ushort v62, v[24:25], off offset:1288
	s_waitcnt vmcnt(0)
	v_and_b32_sdwa v61, s56, v62 dst_sel:DWORD dst_unused:UNUSED_PAD src0_sel:DWORD src1_sel:BYTE_0
	v_cvt_f32_fp8_sdwa v61, v61 src0_sel:BYTE_0
	s_nop 0
	v_mul_f32_e32 v63, s59, v61
	v_and_b32_e32 v61, 0x7f800000, v63
	v_cmp_ne_u32_e64 s[0:1], s57, v61
                                        ; implicit-def: $vgpr61
	s_and_saveexec_b64 s[46:47], s[0:1]
	s_xor_b64 s[0:1], exec, s[46:47]
; %bb.106:                              ;   in Loop: Header=BB338_14 Depth=1
	v_bfe_u32 v61, v63, 16, 1
	v_add3_u32 v61, v63, v61, s58
                                        ; implicit-def: $vgpr63
; %bb.107:                              ;   in Loop: Header=BB338_14 Depth=1
	s_andn2_saveexec_b64 s[46:47], s[0:1]
; %bb.108:                              ;   in Loop: Header=BB338_14 Depth=1
	v_or_b32_e32 v61, 0x10000, v63
	v_cmp_eq_u32_sdwa s[0:1], v63, v3 src0_sel:WORD_0 src1_sel:DWORD
	s_nop 1
	v_cndmask_b32_e64 v61, v61, v63, s[0:1]
; %bb.109:                              ;   in Loop: Header=BB338_14 Depth=1
	s_or_b64 exec, exec, s[46:47]
	v_lshrrev_b16_e32 v62, 8, v62
	v_cvt_f32_fp8_sdwa v62, v62 src0_sel:BYTE_0
	s_nop 0
	v_mul_f32_e32 v63, s59, v62
	v_and_b32_e32 v62, 0x7f800000, v63
	v_cmp_ne_u32_e64 s[0:1], s57, v62
                                        ; implicit-def: $vgpr62
	s_and_saveexec_b64 s[46:47], s[0:1]
	s_xor_b64 s[0:1], exec, s[46:47]
; %bb.110:                              ;   in Loop: Header=BB338_14 Depth=1
	v_bfe_u32 v62, v63, 16, 1
	v_add3_u32 v62, v63, v62, s58
                                        ; implicit-def: $vgpr63
; %bb.111:                              ;   in Loop: Header=BB338_14 Depth=1
	s_andn2_saveexec_b64 s[46:47], s[0:1]
; %bb.112:                              ;   in Loop: Header=BB338_14 Depth=1
	v_or_b32_e32 v62, 0x10000, v63
	v_cmp_eq_u32_sdwa s[0:1], v63, v3 src0_sel:WORD_0 src1_sel:DWORD
	s_nop 1
	v_cndmask_b32_e64 v62, v62, v63, s[0:1]
; %bb.113:                              ;   in Loop: Header=BB338_14 Depth=1
	s_or_b64 exec, exec, s[46:47]
	global_load_ushort v64, v[24:25], off offset:1536
	s_waitcnt vmcnt(0)
	v_and_b32_sdwa v63, s56, v64 dst_sel:DWORD dst_unused:UNUSED_PAD src0_sel:DWORD src1_sel:BYTE_0
	v_cvt_f32_fp8_sdwa v63, v63 src0_sel:BYTE_0
	s_nop 0
	v_mul_f32_e32 v65, s59, v63
	v_and_b32_e32 v63, 0x7f800000, v65
	v_cmp_ne_u32_e64 s[0:1], s57, v63
                                        ; implicit-def: $vgpr63
	s_and_saveexec_b64 s[46:47], s[0:1]
	s_xor_b64 s[0:1], exec, s[46:47]
; %bb.114:                              ;   in Loop: Header=BB338_14 Depth=1
	v_bfe_u32 v63, v65, 16, 1
	v_add3_u32 v63, v65, v63, s58
                                        ; implicit-def: $vgpr65
; %bb.115:                              ;   in Loop: Header=BB338_14 Depth=1
	s_andn2_saveexec_b64 s[46:47], s[0:1]
; %bb.116:                              ;   in Loop: Header=BB338_14 Depth=1
	v_or_b32_e32 v63, 0x10000, v65
	v_cmp_eq_u32_sdwa s[0:1], v65, v3 src0_sel:WORD_0 src1_sel:DWORD
	s_nop 1
	v_cndmask_b32_e64 v63, v63, v65, s[0:1]
; %bb.117:                              ;   in Loop: Header=BB338_14 Depth=1
	s_or_b64 exec, exec, s[46:47]
	v_lshrrev_b16_e32 v64, 8, v64
	v_cvt_f32_fp8_sdwa v64, v64 src0_sel:BYTE_0
	s_nop 0
	v_mul_f32_e32 v65, s59, v64
	v_and_b32_e32 v64, 0x7f800000, v65
	v_cmp_ne_u32_e64 s[0:1], s57, v64
                                        ; implicit-def: $vgpr64
	s_and_saveexec_b64 s[46:47], s[0:1]
	s_xor_b64 s[0:1], exec, s[46:47]
; %bb.118:                              ;   in Loop: Header=BB338_14 Depth=1
	v_bfe_u32 v64, v65, 16, 1
	v_add3_u32 v64, v65, v64, s58
                                        ; implicit-def: $vgpr65
; %bb.119:                              ;   in Loop: Header=BB338_14 Depth=1
	s_andn2_saveexec_b64 s[46:47], s[0:1]
; %bb.120:                              ;   in Loop: Header=BB338_14 Depth=1
	v_or_b32_e32 v64, 0x10000, v65
	v_cmp_eq_u32_sdwa s[0:1], v65, v3 src0_sel:WORD_0 src1_sel:DWORD
	s_nop 1
	v_cndmask_b32_e64 v64, v64, v65, s[0:1]
; %bb.121:                              ;   in Loop: Header=BB338_14 Depth=1
	s_or_b64 exec, exec, s[46:47]
	global_load_ushort v66, v[24:25], off offset:1544
	s_waitcnt vmcnt(0)
	v_and_b32_sdwa v65, s56, v66 dst_sel:DWORD dst_unused:UNUSED_PAD src0_sel:DWORD src1_sel:BYTE_0
	v_cvt_f32_fp8_sdwa v65, v65 src0_sel:BYTE_0
	s_nop 0
	v_mul_f32_e32 v67, s59, v65
	v_and_b32_e32 v65, 0x7f800000, v67
	v_cmp_ne_u32_e64 s[0:1], s57, v65
                                        ; implicit-def: $vgpr65
	s_and_saveexec_b64 s[46:47], s[0:1]
	s_xor_b64 s[0:1], exec, s[46:47]
; %bb.122:                              ;   in Loop: Header=BB338_14 Depth=1
	v_bfe_u32 v65, v67, 16, 1
	v_add3_u32 v65, v67, v65, s58
                                        ; implicit-def: $vgpr67
; %bb.123:                              ;   in Loop: Header=BB338_14 Depth=1
	s_andn2_saveexec_b64 s[46:47], s[0:1]
; %bb.124:                              ;   in Loop: Header=BB338_14 Depth=1
	v_or_b32_e32 v65, 0x10000, v67
	v_cmp_eq_u32_sdwa s[0:1], v67, v3 src0_sel:WORD_0 src1_sel:DWORD
	s_nop 1
	v_cndmask_b32_e64 v65, v65, v67, s[0:1]
; %bb.125:                              ;   in Loop: Header=BB338_14 Depth=1
	s_or_b64 exec, exec, s[46:47]
	v_lshrrev_b16_e32 v66, 8, v66
	v_cvt_f32_fp8_sdwa v66, v66 src0_sel:BYTE_0
	s_nop 0
	v_mul_f32_e32 v67, s59, v66
	v_and_b32_e32 v66, 0x7f800000, v67
	v_cmp_ne_u32_e64 s[0:1], s57, v66
                                        ; implicit-def: $vgpr66
	s_and_saveexec_b64 s[46:47], s[0:1]
	s_xor_b64 s[0:1], exec, s[46:47]
; %bb.126:                              ;   in Loop: Header=BB338_14 Depth=1
	v_bfe_u32 v66, v67, 16, 1
	v_add3_u32 v66, v67, v66, s58
                                        ; implicit-def: $vgpr67
; %bb.127:                              ;   in Loop: Header=BB338_14 Depth=1
	s_andn2_saveexec_b64 s[46:47], s[0:1]
; %bb.128:                              ;   in Loop: Header=BB338_14 Depth=1
	v_or_b32_e32 v66, 0x10000, v67
	v_cmp_eq_u32_sdwa s[0:1], v67, v3 src0_sel:WORD_0 src1_sel:DWORD
	s_nop 1
	v_cndmask_b32_e64 v66, v66, v67, s[0:1]
; %bb.129:                              ;   in Loop: Header=BB338_14 Depth=1
	s_or_b64 exec, exec, s[46:47]
	global_load_ushort v24, v[24:25], off offset:1792
	s_waitcnt vmcnt(0)
	v_and_b32_sdwa v25, s56, v24 dst_sel:DWORD dst_unused:UNUSED_PAD src0_sel:DWORD src1_sel:BYTE_0
	v_cvt_f32_fp8_sdwa v25, v25 src0_sel:BYTE_0
	s_nop 0
	v_mul_f32_e32 v67, s59, v25
	v_and_b32_e32 v25, 0x7f800000, v67
	v_cmp_ne_u32_e64 s[0:1], s57, v25
                                        ; implicit-def: $vgpr25
	s_and_saveexec_b64 s[46:47], s[0:1]
	s_xor_b64 s[0:1], exec, s[46:47]
; %bb.130:                              ;   in Loop: Header=BB338_14 Depth=1
	v_bfe_u32 v25, v67, 16, 1
	v_add3_u32 v25, v67, v25, s58
                                        ; implicit-def: $vgpr67
; %bb.131:                              ;   in Loop: Header=BB338_14 Depth=1
	s_andn2_saveexec_b64 s[46:47], s[0:1]
; %bb.132:                              ;   in Loop: Header=BB338_14 Depth=1
	v_or_b32_e32 v25, 0x10000, v67
	v_cmp_eq_u32_sdwa s[0:1], v67, v3 src0_sel:WORD_0 src1_sel:DWORD
	s_nop 1
	v_cndmask_b32_e64 v25, v25, v67, s[0:1]
; %bb.133:                              ;   in Loop: Header=BB338_14 Depth=1
	s_or_b64 exec, exec, s[46:47]
	v_lshrrev_b16_e32 v24, 8, v24
	v_cvt_f32_fp8_sdwa v24, v24 src0_sel:BYTE_0
	s_nop 0
	v_mul_f32_e32 v67, s59, v24
	v_and_b32_e32 v24, 0x7f800000, v67
	v_cmp_ne_u32_e64 s[0:1], s57, v24
                                        ; implicit-def: $vgpr24
	s_and_saveexec_b64 s[46:47], s[0:1]
	s_xor_b64 s[0:1], exec, s[46:47]
; %bb.134:                              ;   in Loop: Header=BB338_14 Depth=1
	v_bfe_u32 v24, v67, 16, 1
	v_add3_u32 v24, v67, v24, s58
                                        ; implicit-def: $vgpr67
; %bb.135:                              ;   in Loop: Header=BB338_14 Depth=1
	s_andn2_saveexec_b64 s[46:47], s[0:1]
; %bb.136:                              ;   in Loop: Header=BB338_14 Depth=1
	v_or_b32_e32 v24, 0x10000, v67
	v_cmp_eq_u32_sdwa s[0:1], v67, v3 src0_sel:WORD_0 src1_sel:DWORD
	s_nop 1
	v_cndmask_b32_e64 v24, v24, v67, s[0:1]
; %bb.137:                              ;   in Loop: Header=BB338_14 Depth=1
	s_or_b64 exec, exec, s[46:47]
	v_and_b32_e32 v42, 0xffff0000, v42
	v_and_b32_e32 v41, 0xffff0000, v41
	v_lshlrev_b32_e32 v68, 16, v23
	v_and_b32_e32 v23, 0xffff0000, v23
	v_and_b32_e32 v40, 0xffff0000, v40
	v_and_b32_e32 v39, 0xffff0000, v39
	v_lshlrev_b32_e32 v67, 16, v22
	v_and_b32_e32 v22, 0xffff0000, v22
	v_mul_f32_e32 v41, v68, v41
	v_mul_f32_e32 v23, v23, v42
	v_and_b32_e32 v44, 0xffff0000, v44
	v_and_b32_e32 v43, 0xffff0000, v43
	v_lshlrev_b32_e32 v69, 16, v18
	v_and_b32_e32 v18, 0xffff0000, v18
	v_fmac_f32_e32 v41, v67, v39
	v_fmac_f32_e32 v23, v22, v40
	v_and_b32_e32 v46, 0xffff0000, v46
	v_and_b32_e32 v45, 0xffff0000, v45
	v_lshlrev_b32_e32 v70, 16, v19
	v_and_b32_e32 v19, 0xffff0000, v19
	v_fmac_f32_e32 v41, v69, v43
	v_fmac_f32_e32 v23, v18, v44
	;; [unrolled: 6-line block ×10, first 2 shown]
	v_and_b32_e32 v64, 0xffff0000, v64
	v_and_b32_e32 v63, 0xffff0000, v63
	v_lshlrev_b32_e32 v79, 16, v12
	v_and_b32_e32 v82, 64, v36
	v_and_b32_e32 v12, 0xffff0000, v12
	v_fmac_f32_e32 v41, v78, v61
	v_fmac_f32_e32 v23, v17, v62
	v_and_b32_e32 v66, 0xffff0000, v66
	v_and_b32_e32 v65, 0xffff0000, v65
	v_lshlrev_b32_e32 v80, 16, v13
	v_add_u32_e32 v82, 64, v82
	v_xor_b32_e32 v83, 2, v36
	v_and_b32_e32 v13, 0xffff0000, v13
	v_fmac_f32_e32 v41, v79, v63
	v_fmac_f32_e32 v23, v12, v64
	v_and_b32_e32 v25, 0xffff0000, v25
	v_lshlrev_b32_e32 v81, 16, v38
	v_cmp_lt_i32_e64 s[0:1], v83, v82
	v_and_b32_e32 v24, 0xffff0000, v24
	v_and_b32_e32 v38, 0xffff0000, v38
	v_fmac_f32_e32 v41, v80, v65
	v_fmac_f32_e32 v23, v13, v66
	v_cndmask_b32_e64 v83, v36, v83, s[0:1]
	v_fmac_f32_e32 v41, v81, v25
	v_fmac_f32_e32 v23, v38, v24
	v_lshlrev_b32_e32 v83, 2, v83
	v_add_f32_e32 v8, v41, v23
	ds_bpermute_b32 v9, v83, v8
	v_xor_b32_e32 v12, 1, v36
	v_cmp_lt_i32_e64 s[0:1], v12, v82
	s_waitcnt lgkmcnt(0)
	v_add_f32_e32 v8, v8, v9
	v_cndmask_b32_e64 v12, v36, v12, s[0:1]
	v_lshlrev_b32_e32 v12, 2, v12
	ds_bpermute_b32 v9, v12, v8
	s_and_saveexec_b64 s[46:47], vcc
	s_cbranch_execz .LBB338_12
; %bb.138:                              ;   in Loop: Header=BB338_14 Depth=1
	v_add_u32_e32 v12, v34, v32
	v_cvt_f32_i32_e32 v12, v12
	s_waitcnt lgkmcnt(0)
	v_add_f32_e32 v8, v8, v9
	v_add_u32_e32 v13, v28, v32
	v_cmp_gt_i32_e64 s[0:1], s33, v13
	v_mul_f32_e32 v9, s51, v12
	v_cndmask_b32_e64 v9, 0, v9, s[6:7]
	v_fmac_f32_e32 v9, s43, v8
	v_cndmask_b32_e64 v8, 0, v9, s[0:1]
	ds_write_b32 v33, v8
	v_max_f32_e32 v8, v30, v30
	v_max_f32_e32 v8, v8, v9
	v_cndmask_b32_e64 v30, v30, v8, s[0:1]
	s_branch .LBB338_12
.LBB338_139:
	s_or_b64 exec, exec, s[44:45]
.LBB338_140:
	s_or_b64 exec, exec, s[18:19]
	v_mbcnt_hi_u32_b32 v2, -1, v26
	v_and_b32_e32 v3, 64, v2
	v_add_u32_e32 v3, 64, v3
	v_xor_b32_e32 v4, 32, v2
	v_cmp_lt_i32_e32 vcc, v4, v3
	v_xor_b32_e32 v7, 16, v2
	v_max_f32_e32 v5, v30, v30
	v_cndmask_b32_e32 v4, v2, v4, vcc
	v_lshlrev_b32_e32 v6, 2, v4
	ds_bpermute_b32 v4, v6, v30
	v_cmp_lt_i32_e32 vcc, v7, v3
	v_xor_b32_e32 v8, 8, v2
	s_waitcnt lgkmcnt(0)
	v_max_f32_e32 v4, v4, v4
	v_max_f32_e32 v4, v5, v4
	v_cndmask_b32_e32 v5, v2, v7, vcc
	v_lshlrev_b32_e32 v7, 2, v5
	ds_bpermute_b32 v5, v7, v4
	v_cmp_lt_i32_e32 vcc, v8, v3
	s_waitcnt lgkmcnt(0)
	v_max_f32_e32 v5, v5, v5
	v_max_f32_e32 v4, v4, v5
	v_cndmask_b32_e32 v5, v2, v8, vcc
	v_lshlrev_b32_e32 v12, 2, v5
	ds_bpermute_b32 v5, v12, v4
	v_xor_b32_e32 v8, 4, v2
	v_cmp_lt_i32_e32 vcc, v8, v3
	s_waitcnt lgkmcnt(0)
	v_max_f32_e32 v5, v5, v5
	v_max_f32_e32 v5, v4, v5
	v_cndmask_b32_e32 v4, v2, v8, vcc
	v_lshlrev_b32_e32 v13, 2, v4
	ds_bpermute_b32 v9, v13, v5
	v_and_b32_e32 v4, 63, v0
	v_cmp_eq_u32_e32 vcc, 0, v4
	v_lshlrev_b32_e32 v8, 2, v27
	s_and_saveexec_b64 s[0:1], vcc
	s_cbranch_execz .LBB338_142
; %bb.141:
	s_waitcnt lgkmcnt(0)
	v_max_f32_e32 v9, v9, v9
	v_max_f32_e32 v5, v5, v5
	;; [unrolled: 1-line block ×3, first 2 shown]
	ds_write_b32 v8, v5 offset:240
.LBB338_142:
	s_or_b64 exec, exec, s[0:1]
	v_cmp_gt_u32_e64 s[0:1], 2, v4
	v_mov_b32_e32 v5, 0xff7fffff
	s_waitcnt lgkmcnt(0)
	v_lshlrev_b32_e32 v9, 2, v4
	s_barrier
	s_and_saveexec_b64 s[6:7], s[0:1]
	s_cbranch_execz .LBB338_144
; %bb.143:
	ds_read_b32 v5, v9 offset:240
.LBB338_144:
	s_or_b64 exec, exec, s[6:7]
	v_xor_b32_e32 v14, 1, v2
	v_cmp_lt_i32_e64 s[6:7], v14, v3
	v_mov_b32_e32 v15, 0
	s_nop 0
	v_cndmask_b32_e64 v14, v2, v14, s[6:7]
	v_lshlrev_b32_e32 v22, 2, v14
	s_waitcnt lgkmcnt(0)
	ds_bpermute_b32 v14, v22, v5
	v_max_f32_e32 v5, v5, v5
	s_sub_i32 s6, s49, s52
	s_lshl_b32 s6, s6, 4
	s_add_i32 s6, s6, s50
	s_waitcnt lgkmcnt(0)
	v_max_f32_e32 v14, v14, v14
	v_max_f32_e32 v5, v5, v14
	v_lshlrev_b32_e32 v14, 2, v2
	v_and_b32_e32 v14, 0x100, v14
	ds_bpermute_b32 v5, v14, v5
	s_min_i32 s44, s6, s33
	s_sub_i32 s43, s44, s50
	v_cmp_gt_i32_e64 s[6:7], s43, v0
	s_and_saveexec_b64 s[12:13], s[6:7]
	s_cbranch_execz .LBB338_148
; %bb.145:
	v_mov_b32_e32 v15, 0x100
	v_lshl_add_u32 v16, v0, 2, v15
	s_mov_b64 s[18:19], 0
	v_mov_b32_e32 v15, 0
	v_mov_b32_e32 v17, v0
.LBB338_146:                            ; =>This Inner Loop Header: Depth=1
	ds_read_b32 v18, v16
	v_add_u32_e32 v17, 0x80, v17
	v_cmp_le_i32_e64 s[10:11], s43, v17
	s_or_b64 s[18:19], s[10:11], s[18:19]
	s_waitcnt lgkmcnt(0)
	v_sub_f32_e32 v18, v18, v5
	v_mul_f32_e32 v18, 0x3fb8aa3b, v18
	v_exp_f32_e32 v18, v18
	ds_write_b32 v16, v18
	v_add_f32_e32 v15, v15, v18
	v_add_u32_e32 v16, 0x200, v16
	s_andn2_b64 exec, exec, s[18:19]
	s_cbranch_execnz .LBB338_146
; %bb.147:
	s_or_b64 exec, exec, s[18:19]
.LBB338_148:
	s_or_b64 exec, exec, s[12:13]
	ds_bpermute_b32 v6, v6, v15
	s_waitcnt lgkmcnt(0)
	v_add_f32_e32 v6, v15, v6
	ds_bpermute_b32 v7, v7, v6
	s_waitcnt lgkmcnt(0)
	v_add_f32_e32 v6, v6, v7
	ds_bpermute_b32 v7, v12, v6
	v_xor_b32_e32 v12, 2, v2
	v_cmp_lt_i32_e64 s[10:11], v12, v3
	s_waitcnt lgkmcnt(0)
	v_add_f32_e32 v6, v6, v7
	ds_bpermute_b32 v7, v13, v6
	v_cndmask_b32_e64 v2, v2, v12, s[10:11]
	v_lshlrev_b32_e32 v2, 2, v2
	s_waitcnt lgkmcnt(0)
	v_add_f32_e32 v3, v6, v7
	ds_bpermute_b32 v2, v2, v3
	s_waitcnt lgkmcnt(0)
	v_add_f32_e32 v2, v3, v2
	ds_bpermute_b32 v3, v22, v2
	s_waitcnt lgkmcnt(0)
	v_add_f32_e32 v2, v2, v3
	s_and_saveexec_b64 s[10:11], vcc
	s_cbranch_execz .LBB338_150
; %bb.149:
	ds_write_b32 v8, v2 offset:248
.LBB338_150:
	s_or_b64 exec, exec, s[10:11]
	s_waitcnt lgkmcnt(0)
	s_barrier
	s_and_saveexec_b64 s[10:11], s[0:1]
	s_cbranch_execz .LBB338_152
; %bb.151:
	ds_read_b32 v2, v9 offset:248
.LBB338_152:
	s_or_b64 exec, exec, s[10:11]
	s_waitcnt lgkmcnt(0)
	ds_bpermute_b32 v3, v22, v2
	s_waitcnt lgkmcnt(0)
	v_add_f32_e32 v2, v2, v3
	ds_bpermute_b32 v6, v14, v2
	s_and_saveexec_b64 s[0:1], s[6:7]
	s_cbranch_execz .LBB338_165
; %bb.153:
	s_waitcnt lgkmcnt(0)
	v_add_f32_e32 v2, 0x358637bd, v6
	v_div_scale_f32 v3, s[6:7], v2, v2, 1.0
	v_rcp_f32_e32 v7, v3
	v_div_scale_f32 v8, vcc, 1.0, v2, 1.0
	s_movk_i32 s6, 0x7f
	v_fma_f32 v9, -v3, v7, 1.0
	v_fmac_f32_e32 v7, v9, v7
	v_mul_f32_e32 v9, v8, v7
	v_fma_f32 v12, -v3, v9, v8
	v_fmac_f32_e32 v9, v12, v7
	v_fma_f32 v3, -v3, v9, v8
	v_div_fmas_f32 v3, v3, v7, v9
	v_div_fixup_f32 v2, v3, v2, 1.0
	v_xad_u32 v3, v0, -1, s44
	v_subrev_u32_e32 v7, s50, v3
	v_cmp_lt_u32_e32 vcc, s6, v7
	s_mov_b64 s[10:11], -1
	v_mov_b32_e32 v3, v0
	s_and_saveexec_b64 s[6:7], vcc
	s_cbranch_execz .LBB338_162
; %bb.154:
	v_lshrrev_b32_e32 v7, 7, v7
	v_add_u32_e32 v9, -1, v7
	v_lshrrev_b32_e32 v8, 1, v9
	v_mov_b32_e32 v3, v2
	v_add_u32_e32 v8, 1, v8
	v_cmp_lt_u32_e32 vcc, 13, v9
	v_mov_b32_e32 v13, 0
	s_and_saveexec_b64 s[10:11], vcc
	s_cbranch_execz .LBB338_158
; %bb.155:
	v_mov_b32_e32 v12, 0x100
	v_and_b32_e32 v9, -8, v8
	v_lshl_add_u32 v12, v0, 2, v12
	s_mov_b32 s18, 0
	s_mov_b64 s[12:13], 0
.LBB338_156:                            ; =>This Inner Loop Header: Depth=1
	ds_read2st64_b32 v[14:15], v12 offset1:2
	ds_read2st64_b32 v[16:17], v12 offset0:4 offset1:6
	ds_read2st64_b32 v[18:19], v12 offset0:8 offset1:10
	;; [unrolled: 1-line block ×3, first 2 shown]
	v_add_u32_e32 v9, -8, v9
	s_waitcnt lgkmcnt(3)
	v_pk_mul_f32 v[14:15], v[2:3], v[14:15]
	s_waitcnt lgkmcnt(2)
	v_pk_mul_f32 v[16:17], v[2:3], v[16:17]
	ds_write2st64_b32 v12, v14, v15 offset1:2
	ds_write2st64_b32 v12, v16, v17 offset0:4 offset1:6
	ds_read2st64_b32 v[16:17], v12 offset0:16 offset1:18
	s_waitcnt lgkmcnt(4)
	v_pk_mul_f32 v[14:15], v[2:3], v[18:19]
	ds_write2st64_b32 v12, v14, v15 offset0:8 offset1:10
	s_waitcnt lgkmcnt(4)
	v_pk_mul_f32 v[14:15], v[2:3], v[20:21]
	ds_write2st64_b32 v12, v14, v15 offset0:12 offset1:14
	ds_read2st64_b32 v[14:15], v12 offset0:20 offset1:22
	s_waitcnt lgkmcnt(3)
	v_pk_mul_f32 v[16:17], v[2:3], v[16:17]
	ds_read2st64_b32 v[18:19], v12 offset0:24 offset1:26
	ds_write2st64_b32 v12, v16, v17 offset0:16 offset1:18
	ds_read2st64_b32 v[16:17], v12 offset0:28 offset1:30
	s_waitcnt lgkmcnt(3)
	v_pk_mul_f32 v[14:15], v[2:3], v[14:15]
	ds_write2st64_b32 v12, v14, v15 offset0:20 offset1:22
	s_waitcnt lgkmcnt(3)
	v_pk_mul_f32 v[14:15], v[2:3], v[18:19]
	ds_write2st64_b32 v12, v14, v15 offset0:24 offset1:26
	s_waitcnt lgkmcnt(2)
	v_pk_mul_f32 v[14:15], v[2:3], v[16:17]
	s_add_i32 s18, s18, 16
	v_cmp_eq_u32_e32 vcc, 0, v9
	ds_write2st64_b32 v12, v14, v15 offset0:28 offset1:30
	v_add_u32_e32 v12, 0x2000, v12
	s_or_b64 s[12:13], vcc, s[12:13]
	v_mov_b32_e32 v13, s18
	s_andn2_b64 exec, exec, s[12:13]
	s_cbranch_execnz .LBB338_156
; %bb.157:
	s_or_b64 exec, exec, s[12:13]
.LBB338_158:
	s_or_b64 exec, exec, s[10:11]
	v_and_b32_e32 v8, 7, v8
	v_cmp_ne_u32_e32 vcc, 0, v8
	s_and_saveexec_b64 s[10:11], vcc
	s_cbranch_execz .LBB338_161
; %bb.159:
	v_lshlrev_b32_e32 v9, 9, v13
	v_lshlrev_b32_e32 v12, 2, v0
	s_movk_i32 s12, 0x100
	v_add3_u32 v9, v9, v12, s12
	s_mov_b64 s[12:13], 0
.LBB338_160:                            ; =>This Inner Loop Header: Depth=1
	ds_read2st64_b32 v[12:13], v9 offset1:2
	v_add_u32_e32 v8, -1, v8
	v_cmp_eq_u32_e32 vcc, 0, v8
	s_or_b64 s[12:13], vcc, s[12:13]
	s_waitcnt lgkmcnt(0)
	v_pk_mul_f32 v[12:13], v[2:3], v[12:13]
	ds_write2st64_b32 v9, v12, v13 offset1:2
	v_add_u32_e32 v9, 0x400, v9
	s_andn2_b64 exec, exec, s[12:13]
	s_cbranch_execnz .LBB338_160
.LBB338_161:
	s_or_b64 exec, exec, s[10:11]
	v_add_u32_e32 v7, 1, v7
	v_and_b32_e32 v8, 0x3fffffe, v7
	v_cmp_ne_u32_e32 vcc, v7, v8
	v_lshl_add_u32 v3, v8, 7, v0
	s_orn2_b64 s[10:11], vcc, exec
.LBB338_162:
	s_or_b64 exec, exec, s[6:7]
	s_and_b64 exec, exec, s[10:11]
	s_cbranch_execz .LBB338_165
; %bb.163:
	v_mov_b32_e32 v7, 0x100
	v_lshl_add_u32 v7, v3, 2, v7
	s_mov_b64 s[6:7], 0
.LBB338_164:                            ; =>This Inner Loop Header: Depth=1
	ds_read_b32 v8, v7
	v_add_u32_e32 v3, 0x80, v3
	v_cmp_le_i32_e32 vcc, s43, v3
	s_or_b64 s[6:7], vcc, s[6:7]
	s_waitcnt lgkmcnt(0)
	v_mul_f32_e32 v8, v2, v8
	ds_write_b32 v7, v8
	v_add_u32_e32 v7, 0x200, v7
	s_andn2_b64 exec, exec, s[6:7]
	s_cbranch_execnz .LBB338_164
.LBB338_165:
	s_or_b64 exec, exec, s[0:1]
	s_mul_i32 s0, s23, s34
	v_cmp_eq_u32_e32 vcc, 0, v0
	s_mul_i32 s6, s0, s5
	s_waitcnt lgkmcnt(0)
	s_barrier
	s_and_saveexec_b64 s[0:1], vcc
	s_cbranch_execz .LBB338_167
; %bb.166:
	s_ashr_i32 s7, s6, 31
	s_lshl_b64 s[10:11], s[6:7], 2
	s_add_u32 s5, s26, s10
	s_mul_i32 s12, s23, s2
	s_addc_u32 s7, s27, s11
	s_ashr_i32 s13, s12, 31
	s_lshl_b64 s[12:13], s[12:13], 2
	s_add_u32 s2, s5, s12
	s_addc_u32 s7, s7, s13
	s_ashr_i32 s5, s4, 31
	s_lshl_b64 s[18:19], s[4:5], 2
	s_add_u32 s26, s2, s18
	s_addc_u32 s27, s7, s19
	s_add_u32 s2, s24, s10
	s_addc_u32 s5, s25, s11
	;; [unrolled: 2-line block ×3, first 2 shown]
	s_add_u32 s10, s2, s18
	v_mov_b32_e32 v2, 0
	s_addc_u32 s11, s5, s19
	global_store_dword v2, v5, s[26:27]
	global_store_dword v2, v6, s[10:11]
.LBB338_167:
	s_or_b64 exec, exec, s[0:1]
	v_mov_b32_e32 v13, 0
	v_lshrrev_b32_e32 v24, 1, v4
	v_and_b32_e32 v23, 1, v0
	v_mov_b32_e32 v12, 0
	v_mov_b32_e32 v17, 0
	;; [unrolled: 1-line block ×3, first 2 shown]
	s_and_saveexec_b64 s[10:11], s[8:9]
	s_cbranch_execz .LBB338_471
; %bb.168:
	s_sub_i32 s5, s16, s21
	s_ashr_i32 s0, s20, 31
	s_add_u32 s8, s40, s20
	v_lshlrev_b32_e32 v2, 3, v0
	s_addc_u32 s9, s41, s0
	s_abs_i32 s22, s22
	v_and_b32_e32 v25, 8, v2
	v_cvt_f32_u32_e32 v2, s22
	v_or_b32_e32 v3, 0x60, v24
	s_movk_i32 s0, 0x78
	v_cmp_gt_u32_e32 vcc, s0, v3
	v_rcp_iflag_f32_e32 v2, v2
	s_sub_i32 s0, 0, s22
	v_lshl_or_b32 v18, v3, 4, v25
	s_add_i32 s24, s3, -1
	v_mul_f32_e32 v2, 0x4f7ffffe, v2
	v_cvt_u32_f32_e32 v2, v2
	v_mov_b32_e32 v15, 0
	s_mov_b32 s7, s17
	v_lshl_or_b32 v14, v24, 4, v25
	v_mul_lo_u32 v3, s0, v2
	v_mul_hi_u32 v3, v2, v3
	s_lshl_b64 s[0:1], s[38:39], 2
	v_add_u32_e32 v26, v2, v3
	s_add_u32 s0, s36, s0
	v_lshlrev_b32_e32 v2, 5, v23
	s_addc_u32 s1, s37, s1
	v_lshl_or_b32 v2, v27, 6, v2
	v_mov_b32_e32 v19, v15
	v_lshl_add_u64 v[20:21], v[10:11], 2, s[0:1]
	v_add_u32_e32 v11, 0x100, v2
	s_mov_b64 s[12:13], 0
	s_mov_b32 s25, 0x7f800000
	s_movk_i32 s26, 0x7fff
	v_mov_b32_e32 v16, v15
	v_mov_b32_e32 v17, v15
	;; [unrolled: 1-line block ×4, first 2 shown]
	s_branch .LBB338_172
.LBB338_169:                            ;   in Loop: Header=BB338_172 Depth=1
	s_or_b64 exec, exec, s[2:3]
	v_and_b32_e32 v41, 0xffff0000, v39
	v_and_b32_e32 v40, 0xffff0000, v37
	;; [unrolled: 1-line block ×8, first 2 shown]
	v_pk_add_f32 v[2:3], v[34:35], v[38:39]
	v_pk_add_f32 v[34:35], v[36:37], v[40:41]
	v_add_f32_e32 v2, v2, v3
	v_add_f32_e32 v2, v2, v34
	;; [unrolled: 1-line block ×4, first 2 shown]
.LBB338_170:                            ;   in Loop: Header=BB338_172 Depth=1
	s_or_b64 exec, exec, s[18:19]
	v_and_b32_e32 v2, 0xffff0000, v30
	v_and_b32_e32 v30, 0xffff0000, v29
	;; [unrolled: 1-line block ×8, first 2 shown]
	v_pk_add_f32 v[8:9], v[8:9], v[28:29]
	v_pk_add_f32 v[2:3], v[30:31], v[2:3]
	v_add_f32_e32 v8, v8, v9
	v_add_f32_e32 v2, v8, v2
	;; [unrolled: 1-line block ×3, first 2 shown]
	v_and_b32_e32 v29, 0xffff0000, v43
	v_and_b32_e32 v28, 0xffff0000, v7
	;; [unrolled: 1-line block ×4, first 2 shown]
	v_add_f32_e32 v16, v16, v2
	v_and_b32_e32 v3, 0xffff0000, v47
	v_and_b32_e32 v2, 0xffff0000, v45
	;; [unrolled: 1-line block ×4, first 2 shown]
	v_pk_add_f32 v[6:7], v[6:7], v[28:29]
	v_pk_add_f32 v[2:3], v[8:9], v[2:3]
	v_add_f32_e32 v6, v6, v7
	v_add_f32_e32 v2, v6, v2
	;; [unrolled: 1-line block ×3, first 2 shown]
	v_and_b32_e32 v9, 0xffff0000, v49
	v_and_b32_e32 v8, 0xffff0000, v5
	;; [unrolled: 1-line block ×4, first 2 shown]
	v_add_f32_e32 v17, v17, v2
	v_and_b32_e32 v3, 0xffff0000, v53
	v_and_b32_e32 v2, 0xffff0000, v51
	v_and_b32_e32 v7, 0xffff0000, v52
	v_and_b32_e32 v6, 0xffff0000, v50
	v_pk_add_f32 v[4:5], v[4:5], v[8:9]
	v_pk_add_f32 v[2:3], v[6:7], v[2:3]
	v_add_f32_e32 v4, v4, v5
	v_add_f32_e32 v2, v4, v2
	;; [unrolled: 1-line block ×4, first 2 shown]
.LBB338_171:                            ;   in Loop: Header=BB338_172 Depth=1
	s_or_b64 exec, exec, s[16:17]
	v_add_u32_e32 v10, 2, v10
	v_cmp_le_i32_e64 s[0:1], s49, v10
	v_lshl_add_u64 v[20:21], v[20:21], 0, 8
	v_add_u32_e32 v1, 32, v1
	s_or_b64 s[12:13], s[0:1], s[12:13]
	v_add_u32_e32 v11, 0x80, v11
	s_andn2_b64 exec, exec, s[12:13]
	s_cbranch_execz .LBB338_470
.LBB338_172:                            ; =>This Inner Loop Header: Depth=1
	v_sub_u32_e32 v3, 0, v1
	v_max_i32_e32 v3, v1, v3
	v_mul_hi_u32 v4, v3, s35
	v_mul_lo_u32 v5, v4, s29
	v_sub_u32_e32 v3, v3, v5
	v_add_u32_e32 v5, 1, v4
	v_cmp_le_u32_e64 s[0:1], s29, v3
	v_ashrrev_i32_e32 v2, 31, v1
	v_xor_b32_e32 v2, s48, v2
	v_cndmask_b32_e64 v4, v4, v5, s[0:1]
	v_subrev_u32_e32 v5, s29, v3
	v_cndmask_b32_e64 v3, v3, v5, s[0:1]
	v_add_u32_e32 v5, 1, v4
	v_cmp_le_u32_e64 s[0:1], s29, v3
	s_nop 1
	v_cndmask_b32_e64 v3, v4, v5, s[0:1]
	v_xor_b32_e32 v3, v3, v2
	v_sub_u32_e32 v2, v3, v2
	v_add_u32_e32 v3, s42, v2
	v_sub_u32_e32 v5, 0, v3
	v_ashrrev_i32_e32 v4, 31, v3
	v_max_i32_e32 v3, v3, v5
	v_mul_hi_u32 v5, v3, v26
	v_mul_lo_u32 v5, v5, s22
	v_sub_u32_e32 v3, v3, v5
	v_subrev_u32_e32 v5, s22, v3
	v_cmp_le_u32_e64 s[0:1], s22, v3
	v_cmp_lt_i32_e64 s[2:3], s5, v2
	s_nop 0
	v_cndmask_b32_e64 v3, v3, v5, s[0:1]
	v_subrev_u32_e32 v5, s22, v3
	v_cmp_le_u32_e64 s[0:1], s22, v3
	s_nop 1
	v_cndmask_b32_e64 v3, v3, v5, s[0:1]
	v_xor_b32_e32 v3, v3, v4
	v_sub_u32_e32 v3, v3, v4
	v_cmp_eq_u32_e64 s[0:1], 0, v3
	s_or_b64 s[0:1], s[0:1], s[2:3]
	s_and_saveexec_b64 s[16:17], s[0:1]
	s_cbranch_execz .LBB338_171
; %bb.173:                              ;   in Loop: Header=BB338_172 Depth=1
	global_load_dword v33, v[20:21], off
	ds_read2_b64 v[6:9], v11 offset1:1
	ds_read2_b64 v[2:5], v11 offset0:2 offset1:3
                                        ; implicit-def: $vgpr34
	s_waitcnt lgkmcnt(1)
	v_and_b32_e32 v27, 0x7f800000, v6
	v_cmp_ne_u32_e64 s[0:1], s25, v27
	s_and_saveexec_b64 s[2:3], s[0:1]
	s_xor_b64 s[0:1], exec, s[2:3]
; %bb.174:                              ;   in Loop: Header=BB338_172 Depth=1
	v_bfe_u32 v27, v6, 16, 1
	v_add3_u32 v34, v6, v27, s26
; %bb.175:                              ;   in Loop: Header=BB338_172 Depth=1
	s_andn2_saveexec_b64 s[2:3], s[0:1]
; %bb.176:                              ;   in Loop: Header=BB338_172 Depth=1
	v_or_b32_e32 v27, 0x10000, v6
	v_cmp_eq_u32_sdwa s[0:1], v6, v15 src0_sel:WORD_0 src1_sel:DWORD
	s_nop 1
	v_cndmask_b32_e64 v34, v27, v6, s[0:1]
; %bb.177:                              ;   in Loop: Header=BB338_172 Depth=1
	s_or_b64 exec, exec, s[2:3]
	v_and_b32_e32 v6, 0x7f800000, v7
	v_cmp_ne_u32_e64 s[0:1], s25, v6
                                        ; implicit-def: $vgpr35
	s_and_saveexec_b64 s[2:3], s[0:1]
	s_xor_b64 s[0:1], exec, s[2:3]
; %bb.178:                              ;   in Loop: Header=BB338_172 Depth=1
	v_bfe_u32 v6, v7, 16, 1
	v_add3_u32 v35, v7, v6, s26
; %bb.179:                              ;   in Loop: Header=BB338_172 Depth=1
	s_andn2_saveexec_b64 s[2:3], s[0:1]
; %bb.180:                              ;   in Loop: Header=BB338_172 Depth=1
	v_or_b32_e32 v6, 0x10000, v7
	v_cmp_eq_u32_sdwa s[0:1], v7, v15 src0_sel:WORD_0 src1_sel:DWORD
	s_nop 1
	v_cndmask_b32_e64 v35, v6, v7, s[0:1]
; %bb.181:                              ;   in Loop: Header=BB338_172 Depth=1
	s_or_b64 exec, exec, s[2:3]
	v_and_b32_e32 v6, 0x7f800000, v8
	v_cmp_ne_u32_e64 s[0:1], s25, v6
                                        ; implicit-def: $vgpr27
	s_and_saveexec_b64 s[2:3], s[0:1]
	s_xor_b64 s[0:1], exec, s[2:3]
; %bb.182:                              ;   in Loop: Header=BB338_172 Depth=1
	v_bfe_u32 v6, v8, 16, 1
	v_add3_u32 v27, v8, v6, s26
; %bb.183:                              ;   in Loop: Header=BB338_172 Depth=1
	s_andn2_saveexec_b64 s[2:3], s[0:1]
; %bb.184:                              ;   in Loop: Header=BB338_172 Depth=1
	v_or_b32_e32 v6, 0x10000, v8
	v_cmp_eq_u32_sdwa s[0:1], v8, v15 src0_sel:WORD_0 src1_sel:DWORD
	s_nop 1
	v_cndmask_b32_e64 v27, v6, v8, s[0:1]
; %bb.185:                              ;   in Loop: Header=BB338_172 Depth=1
	s_or_b64 exec, exec, s[2:3]
	v_and_b32_e32 v6, 0x7f800000, v9
	v_cmp_ne_u32_e64 s[0:1], s25, v6
                                        ; implicit-def: $vgpr28
	s_and_saveexec_b64 s[2:3], s[0:1]
	s_xor_b64 s[0:1], exec, s[2:3]
; %bb.186:                              ;   in Loop: Header=BB338_172 Depth=1
	v_bfe_u32 v6, v9, 16, 1
	v_add3_u32 v28, v9, v6, s26
                                        ; implicit-def: $vgpr6_vgpr7_vgpr8_vgpr9
; %bb.187:                              ;   in Loop: Header=BB338_172 Depth=1
	s_andn2_saveexec_b64 s[2:3], s[0:1]
; %bb.188:                              ;   in Loop: Header=BB338_172 Depth=1
	v_or_b32_e32 v6, 0x10000, v9
	v_cmp_eq_u32_sdwa s[0:1], v9, v15 src0_sel:WORD_0 src1_sel:DWORD
	s_nop 1
	v_cndmask_b32_e64 v28, v6, v9, s[0:1]
; %bb.189:                              ;   in Loop: Header=BB338_172 Depth=1
	s_or_b64 exec, exec, s[2:3]
	s_waitcnt lgkmcnt(0)
	v_and_b32_e32 v6, 0x7f800000, v2
	v_cmp_ne_u32_e64 s[0:1], s25, v6
                                        ; implicit-def: $vgpr29
	s_and_saveexec_b64 s[2:3], s[0:1]
	s_xor_b64 s[0:1], exec, s[2:3]
; %bb.190:                              ;   in Loop: Header=BB338_172 Depth=1
	v_bfe_u32 v6, v2, 16, 1
	v_add3_u32 v29, v2, v6, s26
; %bb.191:                              ;   in Loop: Header=BB338_172 Depth=1
	s_andn2_saveexec_b64 s[2:3], s[0:1]
; %bb.192:                              ;   in Loop: Header=BB338_172 Depth=1
	v_or_b32_e32 v6, 0x10000, v2
	v_cmp_eq_u32_sdwa s[0:1], v2, v15 src0_sel:WORD_0 src1_sel:DWORD
	s_nop 1
	v_cndmask_b32_e64 v29, v6, v2, s[0:1]
; %bb.193:                              ;   in Loop: Header=BB338_172 Depth=1
	s_or_b64 exec, exec, s[2:3]
	v_and_b32_e32 v2, 0x7f800000, v3
	v_cmp_ne_u32_e64 s[0:1], s25, v2
                                        ; implicit-def: $vgpr30
	s_and_saveexec_b64 s[2:3], s[0:1]
	s_xor_b64 s[0:1], exec, s[2:3]
; %bb.194:                              ;   in Loop: Header=BB338_172 Depth=1
	v_bfe_u32 v2, v3, 16, 1
	v_add3_u32 v30, v3, v2, s26
; %bb.195:                              ;   in Loop: Header=BB338_172 Depth=1
	s_andn2_saveexec_b64 s[2:3], s[0:1]
; %bb.196:                              ;   in Loop: Header=BB338_172 Depth=1
	v_or_b32_e32 v2, 0x10000, v3
	v_cmp_eq_u32_sdwa s[0:1], v3, v15 src0_sel:WORD_0 src1_sel:DWORD
	s_nop 1
	v_cndmask_b32_e64 v30, v2, v3, s[0:1]
; %bb.197:                              ;   in Loop: Header=BB338_172 Depth=1
	s_or_b64 exec, exec, s[2:3]
	v_and_b32_e32 v2, 0x7f800000, v4
	v_cmp_ne_u32_e64 s[0:1], s25, v2
                                        ; implicit-def: $vgpr31
	s_and_saveexec_b64 s[2:3], s[0:1]
	s_xor_b64 s[0:1], exec, s[2:3]
; %bb.198:                              ;   in Loop: Header=BB338_172 Depth=1
	v_bfe_u32 v2, v4, 16, 1
	v_add3_u32 v31, v4, v2, s26
; %bb.199:                              ;   in Loop: Header=BB338_172 Depth=1
	s_andn2_saveexec_b64 s[2:3], s[0:1]
; %bb.200:                              ;   in Loop: Header=BB338_172 Depth=1
	v_or_b32_e32 v2, 0x10000, v4
	v_cmp_eq_u32_sdwa s[0:1], v4, v15 src0_sel:WORD_0 src1_sel:DWORD
	s_nop 1
	v_cndmask_b32_e64 v31, v2, v4, s[0:1]
; %bb.201:                              ;   in Loop: Header=BB338_172 Depth=1
	s_or_b64 exec, exec, s[2:3]
	v_and_b32_e32 v2, 0x7f800000, v5
	v_cmp_ne_u32_e64 s[0:1], s25, v2
                                        ; implicit-def: $vgpr32
	s_and_saveexec_b64 s[2:3], s[0:1]
	s_xor_b64 s[0:1], exec, s[2:3]
; %bb.202:                              ;   in Loop: Header=BB338_172 Depth=1
	v_bfe_u32 v2, v5, 16, 1
	v_add3_u32 v32, v5, v2, s26
                                        ; implicit-def: $vgpr2_vgpr3_vgpr4_vgpr5
; %bb.203:                              ;   in Loop: Header=BB338_172 Depth=1
	s_andn2_saveexec_b64 s[2:3], s[0:1]
; %bb.204:                              ;   in Loop: Header=BB338_172 Depth=1
	v_or_b32_e32 v2, 0x10000, v5
	v_cmp_eq_u32_sdwa s[0:1], v5, v15 src0_sel:WORD_0 src1_sel:DWORD
	s_nop 1
	v_cndmask_b32_e64 v32, v2, v5, s[0:1]
; %bb.205:                              ;   in Loop: Header=BB338_172 Depth=1
	s_or_b64 exec, exec, s[2:3]
	v_mov_b64_e32 v[2:3], s[8:9]
	s_waitcnt vmcnt(0)
	v_mad_i64_i32 v[2:3], s[0:1], v33, s7, v[2:3]
	v_lshl_add_u64 v[4:5], v[2:3], 0, v[14:15]
	global_load_dwordx2 v[6:7], v[4:5], off
	s_load_dword s27, s[14:15], 0x0
	s_waitcnt vmcnt(0)
	v_and_b32_e32 v8, 0xff, v6
	v_cvt_f32_fp8_sdwa v8, v8 src0_sel:BYTE_0
	s_waitcnt lgkmcnt(0)
	v_mul_f32_e32 v9, s27, v8
	v_and_b32_e32 v8, 0x7f800000, v9
	v_cmp_ne_u32_e64 s[0:1], s25, v8
                                        ; implicit-def: $vgpr8
	s_and_saveexec_b64 s[2:3], s[0:1]
	s_xor_b64 s[0:1], exec, s[2:3]
; %bb.206:                              ;   in Loop: Header=BB338_172 Depth=1
	v_bfe_u32 v8, v9, 16, 1
	v_add3_u32 v8, v9, v8, s26
                                        ; implicit-def: $vgpr9
; %bb.207:                              ;   in Loop: Header=BB338_172 Depth=1
	s_andn2_saveexec_b64 s[2:3], s[0:1]
; %bb.208:                              ;   in Loop: Header=BB338_172 Depth=1
	v_or_b32_e32 v8, 0x10000, v9
	v_cmp_eq_u32_sdwa s[0:1], v9, v15 src0_sel:WORD_0 src1_sel:DWORD
	s_nop 1
	v_cndmask_b32_e64 v8, v8, v9, s[0:1]
; %bb.209:                              ;   in Loop: Header=BB338_172 Depth=1
	s_or_b64 exec, exec, s[2:3]
	v_bfe_u32 v9, v6, 8, 8
	v_cvt_f32_fp8_sdwa v9, v9 src0_sel:BYTE_0
	s_nop 0
	v_mul_f32_e32 v33, s27, v9
	v_and_b32_e32 v9, 0x7f800000, v33
	v_cmp_ne_u32_e64 s[0:1], s25, v9
                                        ; implicit-def: $vgpr9
	s_and_saveexec_b64 s[2:3], s[0:1]
	s_xor_b64 s[0:1], exec, s[2:3]
; %bb.210:                              ;   in Loop: Header=BB338_172 Depth=1
	v_bfe_u32 v9, v33, 16, 1
	v_add3_u32 v9, v33, v9, s26
                                        ; implicit-def: $vgpr33
; %bb.211:                              ;   in Loop: Header=BB338_172 Depth=1
	s_andn2_saveexec_b64 s[2:3], s[0:1]
; %bb.212:                              ;   in Loop: Header=BB338_172 Depth=1
	v_or_b32_e32 v9, 0x10000, v33
	v_cmp_eq_u32_sdwa s[0:1], v33, v15 src0_sel:WORD_0 src1_sel:DWORD
	s_nop 1
	v_cndmask_b32_e64 v9, v9, v33, s[0:1]
; %bb.213:                              ;   in Loop: Header=BB338_172 Depth=1
	s_or_b64 exec, exec, s[2:3]
	v_bfe_u32 v33, v6, 16, 8
	v_cvt_f32_fp8_sdwa v33, v33 src0_sel:BYTE_0
	s_nop 0
	v_mul_f32_e32 v33, s27, v33
	v_and_b32_e32 v36, 0x7f800000, v33
	v_cmp_ne_u32_e64 s[0:1], s25, v36
                                        ; implicit-def: $vgpr36
	s_and_saveexec_b64 s[2:3], s[0:1]
	s_xor_b64 s[0:1], exec, s[2:3]
; %bb.214:                              ;   in Loop: Header=BB338_172 Depth=1
	v_bfe_u32 v36, v33, 16, 1
	v_add3_u32 v36, v33, v36, s26
                                        ; implicit-def: $vgpr33
; %bb.215:                              ;   in Loop: Header=BB338_172 Depth=1
	s_andn2_saveexec_b64 s[2:3], s[0:1]
; %bb.216:                              ;   in Loop: Header=BB338_172 Depth=1
	v_or_b32_e32 v36, 0x10000, v33
	v_cmp_eq_u32_sdwa s[0:1], v33, v15 src0_sel:WORD_0 src1_sel:DWORD
	s_nop 1
	v_cndmask_b32_e64 v36, v36, v33, s[0:1]
; %bb.217:                              ;   in Loop: Header=BB338_172 Depth=1
	s_or_b64 exec, exec, s[2:3]
	v_lshrrev_b32_e32 v6, 24, v6
	v_cvt_f32_fp8_sdwa v6, v6 src0_sel:BYTE_0
	s_nop 0
	v_mul_f32_e32 v33, s27, v6
	v_and_b32_e32 v6, 0x7f800000, v33
	v_cmp_ne_u32_e64 s[0:1], s25, v6
                                        ; implicit-def: $vgpr6
	s_and_saveexec_b64 s[2:3], s[0:1]
	s_xor_b64 s[0:1], exec, s[2:3]
; %bb.218:                              ;   in Loop: Header=BB338_172 Depth=1
	v_bfe_u32 v6, v33, 16, 1
	v_add3_u32 v6, v33, v6, s26
                                        ; implicit-def: $vgpr33
; %bb.219:                              ;   in Loop: Header=BB338_172 Depth=1
	s_andn2_saveexec_b64 s[2:3], s[0:1]
; %bb.220:                              ;   in Loop: Header=BB338_172 Depth=1
	v_or_b32_e32 v6, 0x10000, v33
	v_cmp_eq_u32_sdwa s[0:1], v33, v15 src0_sel:WORD_0 src1_sel:DWORD
	s_nop 1
	v_cndmask_b32_e64 v6, v6, v33, s[0:1]
; %bb.221:                              ;   in Loop: Header=BB338_172 Depth=1
	s_or_b64 exec, exec, s[2:3]
	v_and_b32_e32 v33, 0xff, v7
	v_cvt_f32_fp8_sdwa v33, v33 src0_sel:BYTE_0
	s_nop 0
	v_mul_f32_e32 v33, s27, v33
	v_and_b32_e32 v37, 0x7f800000, v33
	v_cmp_ne_u32_e64 s[0:1], s25, v37
                                        ; implicit-def: $vgpr37
	s_and_saveexec_b64 s[2:3], s[0:1]
	s_xor_b64 s[0:1], exec, s[2:3]
; %bb.222:                              ;   in Loop: Header=BB338_172 Depth=1
	v_bfe_u32 v37, v33, 16, 1
	v_add3_u32 v37, v33, v37, s26
                                        ; implicit-def: $vgpr33
; %bb.223:                              ;   in Loop: Header=BB338_172 Depth=1
	s_andn2_saveexec_b64 s[2:3], s[0:1]
; %bb.224:                              ;   in Loop: Header=BB338_172 Depth=1
	v_or_b32_e32 v37, 0x10000, v33
	v_cmp_eq_u32_sdwa s[0:1], v33, v15 src0_sel:WORD_0 src1_sel:DWORD
	s_nop 1
	v_cndmask_b32_e64 v37, v37, v33, s[0:1]
; %bb.225:                              ;   in Loop: Header=BB338_172 Depth=1
	s_or_b64 exec, exec, s[2:3]
	v_bfe_u32 v33, v7, 8, 8
	v_cvt_f32_fp8_sdwa v33, v33 src0_sel:BYTE_0
	s_nop 0
	v_mul_f32_e32 v33, s27, v33
	v_and_b32_e32 v38, 0x7f800000, v33
	v_cmp_ne_u32_e64 s[0:1], s25, v38
                                        ; implicit-def: $vgpr38
	s_and_saveexec_b64 s[2:3], s[0:1]
	s_xor_b64 s[0:1], exec, s[2:3]
; %bb.226:                              ;   in Loop: Header=BB338_172 Depth=1
	v_bfe_u32 v38, v33, 16, 1
	v_add3_u32 v38, v33, v38, s26
                                        ; implicit-def: $vgpr33
; %bb.227:                              ;   in Loop: Header=BB338_172 Depth=1
	s_andn2_saveexec_b64 s[2:3], s[0:1]
; %bb.228:                              ;   in Loop: Header=BB338_172 Depth=1
	v_or_b32_e32 v38, 0x10000, v33
	v_cmp_eq_u32_sdwa s[0:1], v33, v15 src0_sel:WORD_0 src1_sel:DWORD
	s_nop 1
	v_cndmask_b32_e64 v38, v38, v33, s[0:1]
; %bb.229:                              ;   in Loop: Header=BB338_172 Depth=1
	s_or_b64 exec, exec, s[2:3]
	v_bfe_u32 v33, v7, 16, 8
	v_cvt_f32_fp8_sdwa v33, v33 src0_sel:BYTE_0
                                        ; implicit-def: $vgpr41
	s_nop 0
	v_mul_f32_e32 v33, s27, v33
	v_and_b32_e32 v39, 0x7f800000, v33
	v_cmp_ne_u32_e64 s[0:1], s25, v39
	s_and_saveexec_b64 s[2:3], s[0:1]
	s_xor_b64 s[0:1], exec, s[2:3]
; %bb.230:                              ;   in Loop: Header=BB338_172 Depth=1
	v_bfe_u32 v39, v33, 16, 1
	v_add3_u32 v41, v33, v39, s26
                                        ; implicit-def: $vgpr33
; %bb.231:                              ;   in Loop: Header=BB338_172 Depth=1
	s_andn2_saveexec_b64 s[2:3], s[0:1]
; %bb.232:                              ;   in Loop: Header=BB338_172 Depth=1
	v_or_b32_e32 v39, 0x10000, v33
	v_cmp_eq_u32_sdwa s[0:1], v33, v15 src0_sel:WORD_0 src1_sel:DWORD
	s_nop 1
	v_cndmask_b32_e64 v41, v39, v33, s[0:1]
; %bb.233:                              ;   in Loop: Header=BB338_172 Depth=1
	s_or_b64 exec, exec, s[2:3]
	v_lshrrev_b32_e32 v7, 24, v7
	v_cvt_f32_fp8_sdwa v7, v7 src0_sel:BYTE_0
                                        ; implicit-def: $vgpr42
	s_nop 0
	v_mul_f32_e32 v7, s27, v7
	v_and_b32_e32 v33, 0x7f800000, v7
	v_cmp_ne_u32_e64 s[0:1], s25, v33
	s_and_saveexec_b64 s[2:3], s[0:1]
	s_xor_b64 s[0:1], exec, s[2:3]
; %bb.234:                              ;   in Loop: Header=BB338_172 Depth=1
	v_bfe_u32 v33, v7, 16, 1
	v_add3_u32 v42, v7, v33, s26
                                        ; implicit-def: $vgpr7
; %bb.235:                              ;   in Loop: Header=BB338_172 Depth=1
	s_andn2_saveexec_b64 s[2:3], s[0:1]
; %bb.236:                              ;   in Loop: Header=BB338_172 Depth=1
	v_or_b32_e32 v33, 0x10000, v7
	v_cmp_eq_u32_sdwa s[0:1], v7, v15 src0_sel:WORD_0 src1_sel:DWORD
	s_nop 1
	v_cndmask_b32_e64 v42, v33, v7, s[0:1]
; %bb.237:                              ;   in Loop: Header=BB338_172 Depth=1
	s_or_b64 exec, exec, s[2:3]
	v_cmp_eq_u32_e64 s[0:1], s24, v10
	v_add_u32_e32 v33, v25, v1
	v_lshrrev_b32_e32 v40, 16, v38
	v_lshrrev_b32_e32 v39, 16, v37
	;; [unrolled: 1-line block ×8, first 2 shown]
	s_and_saveexec_b64 s[18:19], s[0:1]
	s_cbranch_execz .LBB338_239
; %bb.238:                              ;   in Loop: Header=BB338_172 Depth=1
	v_cmp_gt_i32_e64 s[2:3], s33, v33
	v_add_u32_e32 v36, 1, v33
	s_nop 0
	v_cndmask_b32_e64 v8, 0, v8, s[2:3]
	v_cmp_gt_i32_e64 s[2:3], s33, v36
	v_add_u32_e32 v36, 2, v33
	s_nop 0
	v_cndmask_b32_e64 v9, 0, v9, s[2:3]
	;; [unrolled: 4-line block ×7, first 2 shown]
	v_cmp_gt_i32_e64 s[2:3], s33, v36
	s_nop 1
	v_cndmask_b32_e64 v6, 0, v6, s[2:3]
.LBB338_239:                            ;   in Loop: Header=BB338_172 Depth=1
	s_or_b64 exec, exec, s[18:19]
	v_and_b32_e32 v34, 0xffff0000, v34
	v_lshlrev_b32_e32 v8, 16, v8
	v_mul_f32_e32 v36, v34, v8
	v_and_b32_e32 v8, 0x7f800000, v36
	v_cmp_ne_u32_e64 s[2:3], s25, v8
                                        ; implicit-def: $vgpr8
	s_and_saveexec_b64 s[18:19], s[2:3]
	s_xor_b64 s[2:3], exec, s[18:19]
; %bb.240:                              ;   in Loop: Header=BB338_172 Depth=1
	v_bfe_u32 v8, v36, 16, 1
	v_add3_u32 v8, v36, v8, s26
                                        ; implicit-def: $vgpr36
; %bb.241:                              ;   in Loop: Header=BB338_172 Depth=1
	s_andn2_saveexec_b64 s[18:19], s[2:3]
; %bb.242:                              ;   in Loop: Header=BB338_172 Depth=1
	v_or_b32_e32 v8, 0x10000, v36
	v_cmp_eq_u32_sdwa s[2:3], v36, v15 src0_sel:WORD_0 src1_sel:DWORD
	s_nop 1
	v_cndmask_b32_e64 v8, v8, v36, s[2:3]
; %bb.243:                              ;   in Loop: Header=BB338_172 Depth=1
	s_or_b64 exec, exec, s[18:19]
	v_and_b32_e32 v35, 0xffff0000, v35
	v_lshlrev_b32_e32 v9, 16, v9
	v_mul_f32_e32 v36, v35, v9
	v_and_b32_e32 v9, 0x7f800000, v36
	v_cmp_ne_u32_e64 s[2:3], s25, v9
                                        ; implicit-def: $vgpr9
	s_and_saveexec_b64 s[18:19], s[2:3]
	s_xor_b64 s[2:3], exec, s[18:19]
; %bb.244:                              ;   in Loop: Header=BB338_172 Depth=1
	v_bfe_u32 v9, v36, 16, 1
	v_add3_u32 v9, v36, v9, s26
                                        ; implicit-def: $vgpr36
; %bb.245:                              ;   in Loop: Header=BB338_172 Depth=1
	s_andn2_saveexec_b64 s[18:19], s[2:3]
; %bb.246:                              ;   in Loop: Header=BB338_172 Depth=1
	v_or_b32_e32 v9, 0x10000, v36
	v_cmp_eq_u32_sdwa s[2:3], v36, v15 src0_sel:WORD_0 src1_sel:DWORD
	s_nop 1
	v_cndmask_b32_e64 v9, v9, v36, s[2:3]
; %bb.247:                              ;   in Loop: Header=BB338_172 Depth=1
	s_or_b64 exec, exec, s[18:19]
	v_and_b32_e32 v36, 0xffff0000, v27
	v_lshlrev_b32_e32 v27, 16, v37
	v_mul_f32_e32 v37, v36, v27
	v_and_b32_e32 v27, 0x7f800000, v37
	v_cmp_ne_u32_e64 s[2:3], s25, v27
                                        ; implicit-def: $vgpr27
	s_and_saveexec_b64 s[18:19], s[2:3]
	s_xor_b64 s[2:3], exec, s[18:19]
; %bb.248:                              ;   in Loop: Header=BB338_172 Depth=1
	v_bfe_u32 v27, v37, 16, 1
	v_add3_u32 v27, v37, v27, s26
                                        ; implicit-def: $vgpr37
; %bb.249:                              ;   in Loop: Header=BB338_172 Depth=1
	s_andn2_saveexec_b64 s[18:19], s[2:3]
; %bb.250:                              ;   in Loop: Header=BB338_172 Depth=1
	v_or_b32_e32 v27, 0x10000, v37
	v_cmp_eq_u32_sdwa s[2:3], v37, v15 src0_sel:WORD_0 src1_sel:DWORD
	s_nop 1
	v_cndmask_b32_e64 v27, v27, v37, s[2:3]
; %bb.251:                              ;   in Loop: Header=BB338_172 Depth=1
	s_or_b64 exec, exec, s[18:19]
	v_and_b32_e32 v37, 0xffff0000, v28
	v_lshlrev_b32_e32 v28, 16, v38
	v_mul_f32_e32 v38, v37, v28
	v_and_b32_e32 v28, 0x7f800000, v38
	v_cmp_ne_u32_e64 s[2:3], s25, v28
                                        ; implicit-def: $vgpr28
	s_and_saveexec_b64 s[18:19], s[2:3]
	s_xor_b64 s[2:3], exec, s[18:19]
; %bb.252:                              ;   in Loop: Header=BB338_172 Depth=1
	v_bfe_u32 v28, v38, 16, 1
	v_add3_u32 v28, v38, v28, s26
                                        ; implicit-def: $vgpr38
; %bb.253:                              ;   in Loop: Header=BB338_172 Depth=1
	s_andn2_saveexec_b64 s[18:19], s[2:3]
; %bb.254:                              ;   in Loop: Header=BB338_172 Depth=1
	v_or_b32_e32 v28, 0x10000, v38
	v_cmp_eq_u32_sdwa s[2:3], v38, v15 src0_sel:WORD_0 src1_sel:DWORD
	s_nop 1
	v_cndmask_b32_e64 v28, v28, v38, s[2:3]
; %bb.255:                              ;   in Loop: Header=BB338_172 Depth=1
	s_or_b64 exec, exec, s[18:19]
	v_and_b32_e32 v38, 0xffff0000, v29
	v_lshlrev_b32_e32 v29, 16, v39
	v_mul_f32_e32 v39, v38, v29
	v_and_b32_e32 v29, 0x7f800000, v39
	v_cmp_ne_u32_e64 s[2:3], s25, v29
                                        ; implicit-def: $vgpr29
	s_and_saveexec_b64 s[18:19], s[2:3]
	s_xor_b64 s[2:3], exec, s[18:19]
; %bb.256:                              ;   in Loop: Header=BB338_172 Depth=1
	v_bfe_u32 v29, v39, 16, 1
	v_add3_u32 v29, v39, v29, s26
                                        ; implicit-def: $vgpr39
; %bb.257:                              ;   in Loop: Header=BB338_172 Depth=1
	s_andn2_saveexec_b64 s[18:19], s[2:3]
; %bb.258:                              ;   in Loop: Header=BB338_172 Depth=1
	v_or_b32_e32 v29, 0x10000, v39
	v_cmp_eq_u32_sdwa s[2:3], v39, v15 src0_sel:WORD_0 src1_sel:DWORD
	s_nop 1
	v_cndmask_b32_e64 v29, v29, v39, s[2:3]
; %bb.259:                              ;   in Loop: Header=BB338_172 Depth=1
	s_or_b64 exec, exec, s[18:19]
	v_and_b32_e32 v39, 0xffff0000, v30
	v_lshlrev_b32_e32 v30, 16, v40
	v_mul_f32_e32 v40, v39, v30
	v_and_b32_e32 v30, 0x7f800000, v40
	v_cmp_ne_u32_e64 s[2:3], s25, v30
                                        ; implicit-def: $vgpr30
	s_and_saveexec_b64 s[18:19], s[2:3]
	s_xor_b64 s[2:3], exec, s[18:19]
; %bb.260:                              ;   in Loop: Header=BB338_172 Depth=1
	v_bfe_u32 v30, v40, 16, 1
	v_add3_u32 v30, v40, v30, s26
                                        ; implicit-def: $vgpr40
; %bb.261:                              ;   in Loop: Header=BB338_172 Depth=1
	s_andn2_saveexec_b64 s[18:19], s[2:3]
; %bb.262:                              ;   in Loop: Header=BB338_172 Depth=1
	v_or_b32_e32 v30, 0x10000, v40
	v_cmp_eq_u32_sdwa s[2:3], v40, v15 src0_sel:WORD_0 src1_sel:DWORD
	s_nop 1
	v_cndmask_b32_e64 v30, v30, v40, s[2:3]
; %bb.263:                              ;   in Loop: Header=BB338_172 Depth=1
	s_or_b64 exec, exec, s[18:19]
	v_and_b32_e32 v40, 0xffff0000, v31
	v_lshlrev_b32_e32 v7, 16, v7
	v_mul_f32_e32 v7, v40, v7
	v_and_b32_e32 v31, 0x7f800000, v7
	v_cmp_ne_u32_e64 s[2:3], s25, v31
                                        ; implicit-def: $vgpr31
	s_and_saveexec_b64 s[18:19], s[2:3]
	s_xor_b64 s[2:3], exec, s[18:19]
; %bb.264:                              ;   in Loop: Header=BB338_172 Depth=1
	v_bfe_u32 v31, v7, 16, 1
	v_add3_u32 v31, v7, v31, s26
                                        ; implicit-def: $vgpr7
; %bb.265:                              ;   in Loop: Header=BB338_172 Depth=1
	s_andn2_saveexec_b64 s[18:19], s[2:3]
; %bb.266:                              ;   in Loop: Header=BB338_172 Depth=1
	v_or_b32_e32 v31, 0x10000, v7
	v_cmp_eq_u32_sdwa s[2:3], v7, v15 src0_sel:WORD_0 src1_sel:DWORD
	s_nop 1
	v_cndmask_b32_e64 v31, v31, v7, s[2:3]
; %bb.267:                              ;   in Loop: Header=BB338_172 Depth=1
	s_or_b64 exec, exec, s[18:19]
	v_and_b32_e32 v41, 0xffff0000, v32
	v_lshlrev_b32_e32 v6, 16, v6
	v_mul_f32_e32 v6, v41, v6
	v_and_b32_e32 v7, 0x7f800000, v6
	v_cmp_ne_u32_e64 s[2:3], s25, v7
                                        ; implicit-def: $vgpr32
	s_and_saveexec_b64 s[18:19], s[2:3]
	s_xor_b64 s[2:3], exec, s[18:19]
; %bb.268:                              ;   in Loop: Header=BB338_172 Depth=1
	v_bfe_u32 v7, v6, 16, 1
	v_add3_u32 v32, v6, v7, s26
                                        ; implicit-def: $vgpr6
; %bb.269:                              ;   in Loop: Header=BB338_172 Depth=1
	s_andn2_saveexec_b64 s[18:19], s[2:3]
; %bb.270:                              ;   in Loop: Header=BB338_172 Depth=1
	v_or_b32_e32 v7, 0x10000, v6
	v_cmp_eq_u32_sdwa s[2:3], v6, v15 src0_sel:WORD_0 src1_sel:DWORD
	s_nop 1
	v_cndmask_b32_e64 v32, v7, v6, s[2:3]
; %bb.271:                              ;   in Loop: Header=BB338_172 Depth=1
	s_or_b64 exec, exec, s[18:19]
	global_load_dwordx2 v[6:7], v[4:5], off offset:512
	s_waitcnt vmcnt(0)
	v_and_b32_e32 v42, 0xff, v6
	v_cvt_f32_fp8_sdwa v42, v42 src0_sel:BYTE_0
	s_nop 0
	v_mul_f32_e32 v43, s27, v42
	v_and_b32_e32 v42, 0x7f800000, v43
	v_cmp_ne_u32_e64 s[2:3], s25, v42
                                        ; implicit-def: $vgpr42
	s_and_saveexec_b64 s[18:19], s[2:3]
	s_xor_b64 s[2:3], exec, s[18:19]
; %bb.272:                              ;   in Loop: Header=BB338_172 Depth=1
	v_bfe_u32 v42, v43, 16, 1
	v_add3_u32 v42, v43, v42, s26
                                        ; implicit-def: $vgpr43
; %bb.273:                              ;   in Loop: Header=BB338_172 Depth=1
	s_andn2_saveexec_b64 s[18:19], s[2:3]
; %bb.274:                              ;   in Loop: Header=BB338_172 Depth=1
	v_or_b32_e32 v42, 0x10000, v43
	v_cmp_eq_u32_sdwa s[2:3], v43, v15 src0_sel:WORD_0 src1_sel:DWORD
	s_nop 1
	v_cndmask_b32_e64 v42, v42, v43, s[2:3]
; %bb.275:                              ;   in Loop: Header=BB338_172 Depth=1
	s_or_b64 exec, exec, s[18:19]
	v_bfe_u32 v43, v6, 8, 8
	v_cvt_f32_fp8_sdwa v43, v43 src0_sel:BYTE_0
	s_nop 0
	v_mul_f32_e32 v44, s27, v43
	v_and_b32_e32 v43, 0x7f800000, v44
	v_cmp_ne_u32_e64 s[2:3], s25, v43
                                        ; implicit-def: $vgpr43
	s_and_saveexec_b64 s[18:19], s[2:3]
	s_xor_b64 s[2:3], exec, s[18:19]
; %bb.276:                              ;   in Loop: Header=BB338_172 Depth=1
	v_bfe_u32 v43, v44, 16, 1
	v_add3_u32 v43, v44, v43, s26
                                        ; implicit-def: $vgpr44
; %bb.277:                              ;   in Loop: Header=BB338_172 Depth=1
	s_andn2_saveexec_b64 s[18:19], s[2:3]
; %bb.278:                              ;   in Loop: Header=BB338_172 Depth=1
	v_or_b32_e32 v43, 0x10000, v44
	v_cmp_eq_u32_sdwa s[2:3], v44, v15 src0_sel:WORD_0 src1_sel:DWORD
	s_nop 1
	v_cndmask_b32_e64 v43, v43, v44, s[2:3]
; %bb.279:                              ;   in Loop: Header=BB338_172 Depth=1
	s_or_b64 exec, exec, s[18:19]
	v_bfe_u32 v44, v6, 16, 8
	v_cvt_f32_fp8_sdwa v44, v44 src0_sel:BYTE_0
	s_nop 0
	v_mul_f32_e32 v45, s27, v44
	v_and_b32_e32 v44, 0x7f800000, v45
	v_cmp_ne_u32_e64 s[2:3], s25, v44
                                        ; implicit-def: $vgpr44
	s_and_saveexec_b64 s[18:19], s[2:3]
	s_xor_b64 s[2:3], exec, s[18:19]
; %bb.280:                              ;   in Loop: Header=BB338_172 Depth=1
	v_bfe_u32 v44, v45, 16, 1
	v_add3_u32 v44, v45, v44, s26
                                        ; implicit-def: $vgpr45
; %bb.281:                              ;   in Loop: Header=BB338_172 Depth=1
	s_andn2_saveexec_b64 s[18:19], s[2:3]
; %bb.282:                              ;   in Loop: Header=BB338_172 Depth=1
	v_or_b32_e32 v44, 0x10000, v45
	v_cmp_eq_u32_sdwa s[2:3], v45, v15 src0_sel:WORD_0 src1_sel:DWORD
	s_nop 1
	v_cndmask_b32_e64 v44, v44, v45, s[2:3]
; %bb.283:                              ;   in Loop: Header=BB338_172 Depth=1
	s_or_b64 exec, exec, s[18:19]
	v_lshrrev_b32_e32 v6, 24, v6
	v_cvt_f32_fp8_sdwa v6, v6 src0_sel:BYTE_0
	s_nop 0
	v_mul_f32_e32 v45, s27, v6
	v_and_b32_e32 v6, 0x7f800000, v45
	v_cmp_ne_u32_e64 s[2:3], s25, v6
                                        ; implicit-def: $vgpr6
	s_and_saveexec_b64 s[18:19], s[2:3]
	s_xor_b64 s[2:3], exec, s[18:19]
; %bb.284:                              ;   in Loop: Header=BB338_172 Depth=1
	v_bfe_u32 v6, v45, 16, 1
	v_add3_u32 v6, v45, v6, s26
                                        ; implicit-def: $vgpr45
; %bb.285:                              ;   in Loop: Header=BB338_172 Depth=1
	s_andn2_saveexec_b64 s[18:19], s[2:3]
; %bb.286:                              ;   in Loop: Header=BB338_172 Depth=1
	v_or_b32_e32 v6, 0x10000, v45
	v_cmp_eq_u32_sdwa s[2:3], v45, v15 src0_sel:WORD_0 src1_sel:DWORD
	s_nop 1
	v_cndmask_b32_e64 v6, v6, v45, s[2:3]
; %bb.287:                              ;   in Loop: Header=BB338_172 Depth=1
	s_or_b64 exec, exec, s[18:19]
	v_and_b32_e32 v45, 0xff, v7
	v_cvt_f32_fp8_sdwa v45, v45 src0_sel:BYTE_0
	s_nop 0
	v_mul_f32_e32 v45, s27, v45
	v_and_b32_e32 v46, 0x7f800000, v45
	v_cmp_ne_u32_e64 s[2:3], s25, v46
                                        ; implicit-def: $vgpr46
	s_and_saveexec_b64 s[18:19], s[2:3]
	s_xor_b64 s[2:3], exec, s[18:19]
; %bb.288:                              ;   in Loop: Header=BB338_172 Depth=1
	v_bfe_u32 v46, v45, 16, 1
	v_add3_u32 v46, v45, v46, s26
                                        ; implicit-def: $vgpr45
; %bb.289:                              ;   in Loop: Header=BB338_172 Depth=1
	s_andn2_saveexec_b64 s[18:19], s[2:3]
; %bb.290:                              ;   in Loop: Header=BB338_172 Depth=1
	v_or_b32_e32 v46, 0x10000, v45
	v_cmp_eq_u32_sdwa s[2:3], v45, v15 src0_sel:WORD_0 src1_sel:DWORD
	s_nop 1
	v_cndmask_b32_e64 v46, v46, v45, s[2:3]
; %bb.291:                              ;   in Loop: Header=BB338_172 Depth=1
	s_or_b64 exec, exec, s[18:19]
	v_bfe_u32 v45, v7, 8, 8
	v_cvt_f32_fp8_sdwa v45, v45 src0_sel:BYTE_0
	s_nop 0
	v_mul_f32_e32 v47, s27, v45
	v_and_b32_e32 v45, 0x7f800000, v47
	v_cmp_ne_u32_e64 s[2:3], s25, v45
                                        ; implicit-def: $vgpr45
	s_and_saveexec_b64 s[18:19], s[2:3]
	s_xor_b64 s[2:3], exec, s[18:19]
; %bb.292:                              ;   in Loop: Header=BB338_172 Depth=1
	v_bfe_u32 v45, v47, 16, 1
	v_add3_u32 v45, v47, v45, s26
                                        ; implicit-def: $vgpr47
; %bb.293:                              ;   in Loop: Header=BB338_172 Depth=1
	s_andn2_saveexec_b64 s[18:19], s[2:3]
; %bb.294:                              ;   in Loop: Header=BB338_172 Depth=1
	v_or_b32_e32 v45, 0x10000, v47
	v_cmp_eq_u32_sdwa s[2:3], v47, v15 src0_sel:WORD_0 src1_sel:DWORD
	s_nop 1
	v_cndmask_b32_e64 v45, v45, v47, s[2:3]
; %bb.295:                              ;   in Loop: Header=BB338_172 Depth=1
	s_or_b64 exec, exec, s[18:19]
	v_bfe_u32 v47, v7, 16, 8
	v_cvt_f32_fp8_sdwa v47, v47 src0_sel:BYTE_0
	s_nop 0
	v_mul_f32_e32 v48, s27, v47
	v_and_b32_e32 v47, 0x7f800000, v48
	v_cmp_ne_u32_e64 s[2:3], s25, v47
                                        ; implicit-def: $vgpr47
	s_and_saveexec_b64 s[18:19], s[2:3]
	s_xor_b64 s[2:3], exec, s[18:19]
; %bb.296:                              ;   in Loop: Header=BB338_172 Depth=1
	v_bfe_u32 v47, v48, 16, 1
	v_add3_u32 v47, v48, v47, s26
                                        ; implicit-def: $vgpr48
; %bb.297:                              ;   in Loop: Header=BB338_172 Depth=1
	s_andn2_saveexec_b64 s[18:19], s[2:3]
; %bb.298:                              ;   in Loop: Header=BB338_172 Depth=1
	v_or_b32_e32 v47, 0x10000, v48
	v_cmp_eq_u32_sdwa s[2:3], v48, v15 src0_sel:WORD_0 src1_sel:DWORD
	s_nop 1
	v_cndmask_b32_e64 v47, v47, v48, s[2:3]
; %bb.299:                              ;   in Loop: Header=BB338_172 Depth=1
	s_or_b64 exec, exec, s[18:19]
	v_lshrrev_b32_e32 v7, 24, v7
	v_cvt_f32_fp8_sdwa v7, v7 src0_sel:BYTE_0
                                        ; implicit-def: $vgpr50
	s_nop 0
	v_mul_f32_e32 v7, s27, v7
	v_and_b32_e32 v48, 0x7f800000, v7
	v_cmp_ne_u32_e64 s[2:3], s25, v48
	s_and_saveexec_b64 s[18:19], s[2:3]
	s_xor_b64 s[2:3], exec, s[18:19]
; %bb.300:                              ;   in Loop: Header=BB338_172 Depth=1
	v_bfe_u32 v48, v7, 16, 1
	v_add3_u32 v50, v7, v48, s26
                                        ; implicit-def: $vgpr7
; %bb.301:                              ;   in Loop: Header=BB338_172 Depth=1
	s_andn2_saveexec_b64 s[18:19], s[2:3]
; %bb.302:                              ;   in Loop: Header=BB338_172 Depth=1
	v_or_b32_e32 v48, 0x10000, v7
	v_cmp_eq_u32_sdwa s[2:3], v7, v15 src0_sel:WORD_0 src1_sel:DWORD
	s_nop 1
	v_cndmask_b32_e64 v50, v48, v7, s[2:3]
; %bb.303:                              ;   in Loop: Header=BB338_172 Depth=1
	s_or_b64 exec, exec, s[18:19]
	v_lshrrev_b32_e32 v45, 16, v45
	v_lshrrev_b32_e32 v48, 16, v46
	;; [unrolled: 1-line block ×8, first 2 shown]
	s_and_saveexec_b64 s[18:19], s[0:1]
	s_cbranch_execz .LBB338_305
; %bb.304:                              ;   in Loop: Header=BB338_172 Depth=1
	v_cmp_gt_i32_e64 s[2:3], s33, v33
	v_add_u32_e32 v42, 1, v33
	s_nop 0
	v_cndmask_b32_e64 v6, 0, v6, s[2:3]
	v_cmp_gt_i32_e64 s[2:3], s33, v42
	v_add_u32_e32 v42, 2, v33
	s_nop 0
	v_cndmask_b32_e64 v7, 0, v7, s[2:3]
	;; [unrolled: 4-line block ×7, first 2 shown]
	v_cmp_gt_i32_e64 s[2:3], s33, v42
	s_nop 1
	v_cndmask_b32_e64 v47, 0, v47, s[2:3]
.LBB338_305:                            ;   in Loop: Header=BB338_172 Depth=1
	s_or_b64 exec, exec, s[18:19]
	v_lshlrev_b32_e32 v6, 16, v6
	v_mul_f32_e32 v42, v34, v6
	v_and_b32_e32 v6, 0x7f800000, v42
	v_cmp_ne_u32_e64 s[2:3], s25, v6
                                        ; implicit-def: $vgpr6
	s_and_saveexec_b64 s[18:19], s[2:3]
	s_xor_b64 s[2:3], exec, s[18:19]
; %bb.306:                              ;   in Loop: Header=BB338_172 Depth=1
	v_bfe_u32 v6, v42, 16, 1
	v_add3_u32 v6, v42, v6, s26
                                        ; implicit-def: $vgpr42
; %bb.307:                              ;   in Loop: Header=BB338_172 Depth=1
	s_andn2_saveexec_b64 s[18:19], s[2:3]
; %bb.308:                              ;   in Loop: Header=BB338_172 Depth=1
	v_or_b32_e32 v6, 0x10000, v42
	v_cmp_eq_u32_sdwa s[2:3], v42, v15 src0_sel:WORD_0 src1_sel:DWORD
	s_nop 1
	v_cndmask_b32_e64 v6, v6, v42, s[2:3]
; %bb.309:                              ;   in Loop: Header=BB338_172 Depth=1
	s_or_b64 exec, exec, s[18:19]
	v_lshlrev_b32_e32 v7, 16, v7
	v_mul_f32_e32 v42, v35, v7
	v_and_b32_e32 v7, 0x7f800000, v42
	v_cmp_ne_u32_e64 s[2:3], s25, v7
                                        ; implicit-def: $vgpr7
	s_and_saveexec_b64 s[18:19], s[2:3]
	s_xor_b64 s[2:3], exec, s[18:19]
; %bb.310:                              ;   in Loop: Header=BB338_172 Depth=1
	v_bfe_u32 v7, v42, 16, 1
	v_add3_u32 v7, v42, v7, s26
                                        ; implicit-def: $vgpr42
; %bb.311:                              ;   in Loop: Header=BB338_172 Depth=1
	s_andn2_saveexec_b64 s[18:19], s[2:3]
; %bb.312:                              ;   in Loop: Header=BB338_172 Depth=1
	v_or_b32_e32 v7, 0x10000, v42
	v_cmp_eq_u32_sdwa s[2:3], v42, v15 src0_sel:WORD_0 src1_sel:DWORD
	s_nop 1
	v_cndmask_b32_e64 v7, v7, v42, s[2:3]
; %bb.313:                              ;   in Loop: Header=BB338_172 Depth=1
	s_or_b64 exec, exec, s[18:19]
	v_lshlrev_b32_e32 v42, 16, v44
	v_mul_f32_e32 v43, v36, v42
	v_and_b32_e32 v42, 0x7f800000, v43
	v_cmp_ne_u32_e64 s[2:3], s25, v42
                                        ; implicit-def: $vgpr42
	s_and_saveexec_b64 s[18:19], s[2:3]
	s_xor_b64 s[2:3], exec, s[18:19]
; %bb.314:                              ;   in Loop: Header=BB338_172 Depth=1
	v_bfe_u32 v42, v43, 16, 1
	v_add3_u32 v42, v43, v42, s26
                                        ; implicit-def: $vgpr43
; %bb.315:                              ;   in Loop: Header=BB338_172 Depth=1
	s_andn2_saveexec_b64 s[18:19], s[2:3]
; %bb.316:                              ;   in Loop: Header=BB338_172 Depth=1
	v_or_b32_e32 v42, 0x10000, v43
	v_cmp_eq_u32_sdwa s[2:3], v43, v15 src0_sel:WORD_0 src1_sel:DWORD
	s_nop 1
	v_cndmask_b32_e64 v42, v42, v43, s[2:3]
; %bb.317:                              ;   in Loop: Header=BB338_172 Depth=1
	s_or_b64 exec, exec, s[18:19]
	v_lshlrev_b32_e32 v43, 16, v49
	v_mul_f32_e32 v44, v37, v43
	v_and_b32_e32 v43, 0x7f800000, v44
	v_cmp_ne_u32_e64 s[2:3], s25, v43
                                        ; implicit-def: $vgpr43
	s_and_saveexec_b64 s[18:19], s[2:3]
	s_xor_b64 s[2:3], exec, s[18:19]
; %bb.318:                              ;   in Loop: Header=BB338_172 Depth=1
	v_bfe_u32 v43, v44, 16, 1
	v_add3_u32 v43, v44, v43, s26
                                        ; implicit-def: $vgpr44
; %bb.319:                              ;   in Loop: Header=BB338_172 Depth=1
	s_andn2_saveexec_b64 s[18:19], s[2:3]
; %bb.320:                              ;   in Loop: Header=BB338_172 Depth=1
	v_or_b32_e32 v43, 0x10000, v44
	v_cmp_eq_u32_sdwa s[2:3], v44, v15 src0_sel:WORD_0 src1_sel:DWORD
	s_nop 1
	v_cndmask_b32_e64 v43, v43, v44, s[2:3]
; %bb.321:                              ;   in Loop: Header=BB338_172 Depth=1
	s_or_b64 exec, exec, s[18:19]
	v_lshlrev_b32_e32 v44, 16, v48
	v_mul_f32_e32 v48, v38, v44
	v_and_b32_e32 v44, 0x7f800000, v48
	v_cmp_ne_u32_e64 s[2:3], s25, v44
                                        ; implicit-def: $vgpr44
	s_and_saveexec_b64 s[18:19], s[2:3]
	s_xor_b64 s[2:3], exec, s[18:19]
; %bb.322:                              ;   in Loop: Header=BB338_172 Depth=1
	v_bfe_u32 v44, v48, 16, 1
	v_add3_u32 v44, v48, v44, s26
                                        ; implicit-def: $vgpr48
; %bb.323:                              ;   in Loop: Header=BB338_172 Depth=1
	s_andn2_saveexec_b64 s[18:19], s[2:3]
; %bb.324:                              ;   in Loop: Header=BB338_172 Depth=1
	v_or_b32_e32 v44, 0x10000, v48
	v_cmp_eq_u32_sdwa s[2:3], v48, v15 src0_sel:WORD_0 src1_sel:DWORD
	s_nop 1
	v_cndmask_b32_e64 v44, v44, v48, s[2:3]
; %bb.325:                              ;   in Loop: Header=BB338_172 Depth=1
	s_or_b64 exec, exec, s[18:19]
	v_lshlrev_b32_e32 v45, 16, v45
	v_mul_f32_e32 v48, v39, v45
	v_and_b32_e32 v45, 0x7f800000, v48
	v_cmp_ne_u32_e64 s[2:3], s25, v45
                                        ; implicit-def: $vgpr45
	s_and_saveexec_b64 s[18:19], s[2:3]
	s_xor_b64 s[2:3], exec, s[18:19]
; %bb.326:                              ;   in Loop: Header=BB338_172 Depth=1
	v_bfe_u32 v45, v48, 16, 1
	v_add3_u32 v45, v48, v45, s26
                                        ; implicit-def: $vgpr48
; %bb.327:                              ;   in Loop: Header=BB338_172 Depth=1
	s_andn2_saveexec_b64 s[18:19], s[2:3]
; %bb.328:                              ;   in Loop: Header=BB338_172 Depth=1
	v_or_b32_e32 v45, 0x10000, v48
	v_cmp_eq_u32_sdwa s[2:3], v48, v15 src0_sel:WORD_0 src1_sel:DWORD
	s_nop 1
	v_cndmask_b32_e64 v45, v45, v48, s[2:3]
; %bb.329:                              ;   in Loop: Header=BB338_172 Depth=1
	s_or_b64 exec, exec, s[18:19]
	v_lshlrev_b32_e32 v46, 16, v46
	v_mul_f32_e32 v48, v40, v46
	v_and_b32_e32 v46, 0x7f800000, v48
	v_cmp_ne_u32_e64 s[2:3], s25, v46
                                        ; implicit-def: $vgpr46
	s_and_saveexec_b64 s[18:19], s[2:3]
	s_xor_b64 s[2:3], exec, s[18:19]
; %bb.330:                              ;   in Loop: Header=BB338_172 Depth=1
	v_bfe_u32 v46, v48, 16, 1
	v_add3_u32 v46, v48, v46, s26
                                        ; implicit-def: $vgpr48
; %bb.331:                              ;   in Loop: Header=BB338_172 Depth=1
	s_andn2_saveexec_b64 s[18:19], s[2:3]
; %bb.332:                              ;   in Loop: Header=BB338_172 Depth=1
	v_or_b32_e32 v46, 0x10000, v48
	v_cmp_eq_u32_sdwa s[2:3], v48, v15 src0_sel:WORD_0 src1_sel:DWORD
	s_nop 1
	v_cndmask_b32_e64 v46, v46, v48, s[2:3]
; %bb.333:                              ;   in Loop: Header=BB338_172 Depth=1
	s_or_b64 exec, exec, s[18:19]
	v_lshlrev_b32_e32 v47, 16, v47
	v_mul_f32_e32 v48, v41, v47
	v_and_b32_e32 v47, 0x7f800000, v48
	v_cmp_ne_u32_e64 s[2:3], s25, v47
                                        ; implicit-def: $vgpr47
	s_and_saveexec_b64 s[18:19], s[2:3]
	s_xor_b64 s[2:3], exec, s[18:19]
; %bb.334:                              ;   in Loop: Header=BB338_172 Depth=1
	v_bfe_u32 v47, v48, 16, 1
	v_add3_u32 v47, v48, v47, s26
                                        ; implicit-def: $vgpr48
; %bb.335:                              ;   in Loop: Header=BB338_172 Depth=1
	s_andn2_saveexec_b64 s[18:19], s[2:3]
; %bb.336:                              ;   in Loop: Header=BB338_172 Depth=1
	v_or_b32_e32 v47, 0x10000, v48
	v_cmp_eq_u32_sdwa s[2:3], v48, v15 src0_sel:WORD_0 src1_sel:DWORD
	s_nop 1
	v_cndmask_b32_e64 v47, v47, v48, s[2:3]
; %bb.337:                              ;   in Loop: Header=BB338_172 Depth=1
	s_or_b64 exec, exec, s[18:19]
	global_load_dwordx2 v[4:5], v[4:5], off offset:1024
	s_waitcnt vmcnt(0)
	v_and_b32_e32 v48, 0xff, v4
	v_cvt_f32_fp8_sdwa v48, v48 src0_sel:BYTE_0
	s_nop 0
	v_mul_f32_e32 v49, s27, v48
	v_and_b32_e32 v48, 0x7f800000, v49
	v_cmp_ne_u32_e64 s[2:3], s25, v48
                                        ; implicit-def: $vgpr48
	s_and_saveexec_b64 s[18:19], s[2:3]
	s_xor_b64 s[2:3], exec, s[18:19]
; %bb.338:                              ;   in Loop: Header=BB338_172 Depth=1
	v_bfe_u32 v48, v49, 16, 1
	v_add3_u32 v48, v49, v48, s26
                                        ; implicit-def: $vgpr49
; %bb.339:                              ;   in Loop: Header=BB338_172 Depth=1
	s_andn2_saveexec_b64 s[18:19], s[2:3]
; %bb.340:                              ;   in Loop: Header=BB338_172 Depth=1
	v_or_b32_e32 v48, 0x10000, v49
	v_cmp_eq_u32_sdwa s[2:3], v49, v15 src0_sel:WORD_0 src1_sel:DWORD
	s_nop 1
	v_cndmask_b32_e64 v48, v48, v49, s[2:3]
; %bb.341:                              ;   in Loop: Header=BB338_172 Depth=1
	s_or_b64 exec, exec, s[18:19]
	v_bfe_u32 v49, v4, 8, 8
	v_cvt_f32_fp8_sdwa v49, v49 src0_sel:BYTE_0
	s_nop 0
	v_mul_f32_e32 v50, s27, v49
	v_and_b32_e32 v49, 0x7f800000, v50
	v_cmp_ne_u32_e64 s[2:3], s25, v49
                                        ; implicit-def: $vgpr49
	s_and_saveexec_b64 s[18:19], s[2:3]
	s_xor_b64 s[2:3], exec, s[18:19]
; %bb.342:                              ;   in Loop: Header=BB338_172 Depth=1
	v_bfe_u32 v49, v50, 16, 1
	v_add3_u32 v49, v50, v49, s26
                                        ; implicit-def: $vgpr50
; %bb.343:                              ;   in Loop: Header=BB338_172 Depth=1
	s_andn2_saveexec_b64 s[18:19], s[2:3]
; %bb.344:                              ;   in Loop: Header=BB338_172 Depth=1
	v_or_b32_e32 v49, 0x10000, v50
	v_cmp_eq_u32_sdwa s[2:3], v50, v15 src0_sel:WORD_0 src1_sel:DWORD
	s_nop 1
	v_cndmask_b32_e64 v49, v49, v50, s[2:3]
; %bb.345:                              ;   in Loop: Header=BB338_172 Depth=1
	s_or_b64 exec, exec, s[18:19]
	v_bfe_u32 v50, v4, 16, 8
	v_cvt_f32_fp8_sdwa v50, v50 src0_sel:BYTE_0
	s_nop 0
	v_mul_f32_e32 v51, s27, v50
	v_and_b32_e32 v50, 0x7f800000, v51
	v_cmp_ne_u32_e64 s[2:3], s25, v50
                                        ; implicit-def: $vgpr50
	s_and_saveexec_b64 s[18:19], s[2:3]
	s_xor_b64 s[2:3], exec, s[18:19]
; %bb.346:                              ;   in Loop: Header=BB338_172 Depth=1
	v_bfe_u32 v50, v51, 16, 1
	v_add3_u32 v50, v51, v50, s26
                                        ; implicit-def: $vgpr51
; %bb.347:                              ;   in Loop: Header=BB338_172 Depth=1
	s_andn2_saveexec_b64 s[18:19], s[2:3]
; %bb.348:                              ;   in Loop: Header=BB338_172 Depth=1
	v_or_b32_e32 v50, 0x10000, v51
	v_cmp_eq_u32_sdwa s[2:3], v51, v15 src0_sel:WORD_0 src1_sel:DWORD
	s_nop 1
	v_cndmask_b32_e64 v50, v50, v51, s[2:3]
; %bb.349:                              ;   in Loop: Header=BB338_172 Depth=1
	s_or_b64 exec, exec, s[18:19]
	v_lshrrev_b32_e32 v4, 24, v4
	v_cvt_f32_fp8_sdwa v4, v4 src0_sel:BYTE_0
	s_nop 0
	v_mul_f32_e32 v51, s27, v4
	v_and_b32_e32 v4, 0x7f800000, v51
	v_cmp_ne_u32_e64 s[2:3], s25, v4
                                        ; implicit-def: $vgpr4
	s_and_saveexec_b64 s[18:19], s[2:3]
	s_xor_b64 s[2:3], exec, s[18:19]
; %bb.350:                              ;   in Loop: Header=BB338_172 Depth=1
	v_bfe_u32 v4, v51, 16, 1
	v_add3_u32 v4, v51, v4, s26
                                        ; implicit-def: $vgpr51
; %bb.351:                              ;   in Loop: Header=BB338_172 Depth=1
	s_andn2_saveexec_b64 s[18:19], s[2:3]
; %bb.352:                              ;   in Loop: Header=BB338_172 Depth=1
	v_or_b32_e32 v4, 0x10000, v51
	v_cmp_eq_u32_sdwa s[2:3], v51, v15 src0_sel:WORD_0 src1_sel:DWORD
	s_nop 1
	v_cndmask_b32_e64 v4, v4, v51, s[2:3]
; %bb.353:                              ;   in Loop: Header=BB338_172 Depth=1
	s_or_b64 exec, exec, s[18:19]
	v_and_b32_e32 v51, 0xff, v5
	v_cvt_f32_fp8_sdwa v51, v51 src0_sel:BYTE_0
	s_nop 0
	v_mul_f32_e32 v51, s27, v51
	v_and_b32_e32 v52, 0x7f800000, v51
	v_cmp_ne_u32_e64 s[2:3], s25, v52
                                        ; implicit-def: $vgpr52
	s_and_saveexec_b64 s[18:19], s[2:3]
	s_xor_b64 s[2:3], exec, s[18:19]
; %bb.354:                              ;   in Loop: Header=BB338_172 Depth=1
	v_bfe_u32 v52, v51, 16, 1
	v_add3_u32 v52, v51, v52, s26
                                        ; implicit-def: $vgpr51
; %bb.355:                              ;   in Loop: Header=BB338_172 Depth=1
	s_andn2_saveexec_b64 s[18:19], s[2:3]
; %bb.356:                              ;   in Loop: Header=BB338_172 Depth=1
	v_or_b32_e32 v52, 0x10000, v51
	v_cmp_eq_u32_sdwa s[2:3], v51, v15 src0_sel:WORD_0 src1_sel:DWORD
	s_nop 1
	v_cndmask_b32_e64 v52, v52, v51, s[2:3]
; %bb.357:                              ;   in Loop: Header=BB338_172 Depth=1
	s_or_b64 exec, exec, s[18:19]
	v_bfe_u32 v51, v5, 8, 8
	v_cvt_f32_fp8_sdwa v51, v51 src0_sel:BYTE_0
	s_nop 0
	v_mul_f32_e32 v53, s27, v51
	v_and_b32_e32 v51, 0x7f800000, v53
	v_cmp_ne_u32_e64 s[2:3], s25, v51
                                        ; implicit-def: $vgpr51
	s_and_saveexec_b64 s[18:19], s[2:3]
	s_xor_b64 s[2:3], exec, s[18:19]
; %bb.358:                              ;   in Loop: Header=BB338_172 Depth=1
	v_bfe_u32 v51, v53, 16, 1
	v_add3_u32 v51, v53, v51, s26
                                        ; implicit-def: $vgpr53
; %bb.359:                              ;   in Loop: Header=BB338_172 Depth=1
	s_andn2_saveexec_b64 s[18:19], s[2:3]
; %bb.360:                              ;   in Loop: Header=BB338_172 Depth=1
	v_or_b32_e32 v51, 0x10000, v53
	v_cmp_eq_u32_sdwa s[2:3], v53, v15 src0_sel:WORD_0 src1_sel:DWORD
	s_nop 1
	v_cndmask_b32_e64 v51, v51, v53, s[2:3]
; %bb.361:                              ;   in Loop: Header=BB338_172 Depth=1
	s_or_b64 exec, exec, s[18:19]
	v_bfe_u32 v53, v5, 16, 8
	v_cvt_f32_fp8_sdwa v53, v53 src0_sel:BYTE_0
	s_nop 0
	v_mul_f32_e32 v54, s27, v53
	v_and_b32_e32 v53, 0x7f800000, v54
	v_cmp_ne_u32_e64 s[2:3], s25, v53
                                        ; implicit-def: $vgpr53
	s_and_saveexec_b64 s[18:19], s[2:3]
	s_xor_b64 s[2:3], exec, s[18:19]
; %bb.362:                              ;   in Loop: Header=BB338_172 Depth=1
	v_bfe_u32 v53, v54, 16, 1
	v_add3_u32 v53, v54, v53, s26
                                        ; implicit-def: $vgpr54
; %bb.363:                              ;   in Loop: Header=BB338_172 Depth=1
	s_andn2_saveexec_b64 s[18:19], s[2:3]
; %bb.364:                              ;   in Loop: Header=BB338_172 Depth=1
	v_or_b32_e32 v53, 0x10000, v54
	v_cmp_eq_u32_sdwa s[2:3], v54, v15 src0_sel:WORD_0 src1_sel:DWORD
	s_nop 1
	v_cndmask_b32_e64 v53, v53, v54, s[2:3]
; %bb.365:                              ;   in Loop: Header=BB338_172 Depth=1
	s_or_b64 exec, exec, s[18:19]
	v_lshrrev_b32_e32 v5, 24, v5
	v_cvt_f32_fp8_sdwa v5, v5 src0_sel:BYTE_0
                                        ; implicit-def: $vgpr56
	s_nop 0
	v_mul_f32_e32 v5, s27, v5
	v_and_b32_e32 v54, 0x7f800000, v5
	v_cmp_ne_u32_e64 s[2:3], s25, v54
	s_and_saveexec_b64 s[18:19], s[2:3]
	s_xor_b64 s[2:3], exec, s[18:19]
; %bb.366:                              ;   in Loop: Header=BB338_172 Depth=1
	v_bfe_u32 v54, v5, 16, 1
	v_add3_u32 v56, v5, v54, s26
                                        ; implicit-def: $vgpr5
; %bb.367:                              ;   in Loop: Header=BB338_172 Depth=1
	s_andn2_saveexec_b64 s[18:19], s[2:3]
; %bb.368:                              ;   in Loop: Header=BB338_172 Depth=1
	v_or_b32_e32 v54, 0x10000, v5
	v_cmp_eq_u32_sdwa s[2:3], v5, v15 src0_sel:WORD_0 src1_sel:DWORD
	s_nop 1
	v_cndmask_b32_e64 v56, v54, v5, s[2:3]
; %bb.369:                              ;   in Loop: Header=BB338_172 Depth=1
	s_or_b64 exec, exec, s[18:19]
	v_lshrrev_b32_e32 v51, 16, v51
	v_lshrrev_b32_e32 v54, 16, v52
	;; [unrolled: 1-line block ×8, first 2 shown]
	s_and_saveexec_b64 s[18:19], s[0:1]
	s_cbranch_execz .LBB338_371
; %bb.370:                              ;   in Loop: Header=BB338_172 Depth=1
	v_cmp_gt_i32_e64 s[2:3], s33, v33
	v_add_u32_e32 v48, 1, v33
	s_nop 0
	v_cndmask_b32_e64 v4, 0, v4, s[2:3]
	v_cmp_gt_i32_e64 s[2:3], s33, v48
	v_add_u32_e32 v48, 2, v33
	s_nop 0
	v_cndmask_b32_e64 v5, 0, v5, s[2:3]
	;; [unrolled: 4-line block ×7, first 2 shown]
	v_cmp_gt_i32_e64 s[2:3], s33, v48
	s_nop 1
	v_cndmask_b32_e64 v53, 0, v53, s[2:3]
.LBB338_371:                            ;   in Loop: Header=BB338_172 Depth=1
	s_or_b64 exec, exec, s[18:19]
	v_lshlrev_b32_e32 v4, 16, v4
	v_mul_f32_e32 v48, v34, v4
	v_and_b32_e32 v4, 0x7f800000, v48
	v_cmp_ne_u32_e64 s[2:3], s25, v4
                                        ; implicit-def: $vgpr4
	s_and_saveexec_b64 s[18:19], s[2:3]
	s_xor_b64 s[2:3], exec, s[18:19]
; %bb.372:                              ;   in Loop: Header=BB338_172 Depth=1
	v_bfe_u32 v4, v48, 16, 1
	v_add3_u32 v4, v48, v4, s26
                                        ; implicit-def: $vgpr48
; %bb.373:                              ;   in Loop: Header=BB338_172 Depth=1
	s_andn2_saveexec_b64 s[18:19], s[2:3]
; %bb.374:                              ;   in Loop: Header=BB338_172 Depth=1
	v_or_b32_e32 v4, 0x10000, v48
	v_cmp_eq_u32_sdwa s[2:3], v48, v15 src0_sel:WORD_0 src1_sel:DWORD
	s_nop 1
	v_cndmask_b32_e64 v4, v4, v48, s[2:3]
; %bb.375:                              ;   in Loop: Header=BB338_172 Depth=1
	s_or_b64 exec, exec, s[18:19]
	v_lshlrev_b32_e32 v5, 16, v5
	v_mul_f32_e32 v48, v35, v5
	v_and_b32_e32 v5, 0x7f800000, v48
	v_cmp_ne_u32_e64 s[2:3], s25, v5
                                        ; implicit-def: $vgpr5
	s_and_saveexec_b64 s[18:19], s[2:3]
	s_xor_b64 s[2:3], exec, s[18:19]
; %bb.376:                              ;   in Loop: Header=BB338_172 Depth=1
	v_bfe_u32 v5, v48, 16, 1
	v_add3_u32 v5, v48, v5, s26
                                        ; implicit-def: $vgpr48
; %bb.377:                              ;   in Loop: Header=BB338_172 Depth=1
	s_andn2_saveexec_b64 s[18:19], s[2:3]
; %bb.378:                              ;   in Loop: Header=BB338_172 Depth=1
	v_or_b32_e32 v5, 0x10000, v48
	v_cmp_eq_u32_sdwa s[2:3], v48, v15 src0_sel:WORD_0 src1_sel:DWORD
	s_nop 1
	v_cndmask_b32_e64 v5, v5, v48, s[2:3]
; %bb.379:                              ;   in Loop: Header=BB338_172 Depth=1
	s_or_b64 exec, exec, s[18:19]
	v_lshlrev_b32_e32 v48, 16, v50
	v_mul_f32_e32 v49, v36, v48
	v_and_b32_e32 v48, 0x7f800000, v49
	v_cmp_ne_u32_e64 s[2:3], s25, v48
                                        ; implicit-def: $vgpr48
	s_and_saveexec_b64 s[18:19], s[2:3]
	s_xor_b64 s[2:3], exec, s[18:19]
; %bb.380:                              ;   in Loop: Header=BB338_172 Depth=1
	v_bfe_u32 v48, v49, 16, 1
	v_add3_u32 v48, v49, v48, s26
                                        ; implicit-def: $vgpr49
; %bb.381:                              ;   in Loop: Header=BB338_172 Depth=1
	s_andn2_saveexec_b64 s[18:19], s[2:3]
; %bb.382:                              ;   in Loop: Header=BB338_172 Depth=1
	v_or_b32_e32 v48, 0x10000, v49
	v_cmp_eq_u32_sdwa s[2:3], v49, v15 src0_sel:WORD_0 src1_sel:DWORD
	s_nop 1
	v_cndmask_b32_e64 v48, v48, v49, s[2:3]
; %bb.383:                              ;   in Loop: Header=BB338_172 Depth=1
	s_or_b64 exec, exec, s[18:19]
	v_lshlrev_b32_e32 v49, 16, v55
	v_mul_f32_e32 v50, v37, v49
	v_and_b32_e32 v49, 0x7f800000, v50
	v_cmp_ne_u32_e64 s[2:3], s25, v49
                                        ; implicit-def: $vgpr49
	s_and_saveexec_b64 s[18:19], s[2:3]
	s_xor_b64 s[2:3], exec, s[18:19]
; %bb.384:                              ;   in Loop: Header=BB338_172 Depth=1
	v_bfe_u32 v49, v50, 16, 1
	v_add3_u32 v49, v50, v49, s26
                                        ; implicit-def: $vgpr50
; %bb.385:                              ;   in Loop: Header=BB338_172 Depth=1
	s_andn2_saveexec_b64 s[18:19], s[2:3]
; %bb.386:                              ;   in Loop: Header=BB338_172 Depth=1
	v_or_b32_e32 v49, 0x10000, v50
	v_cmp_eq_u32_sdwa s[2:3], v50, v15 src0_sel:WORD_0 src1_sel:DWORD
	s_nop 1
	v_cndmask_b32_e64 v49, v49, v50, s[2:3]
; %bb.387:                              ;   in Loop: Header=BB338_172 Depth=1
	s_or_b64 exec, exec, s[18:19]
	v_lshlrev_b32_e32 v50, 16, v54
	v_mul_f32_e32 v54, v38, v50
	v_and_b32_e32 v50, 0x7f800000, v54
	v_cmp_ne_u32_e64 s[2:3], s25, v50
                                        ; implicit-def: $vgpr50
	s_and_saveexec_b64 s[18:19], s[2:3]
	s_xor_b64 s[2:3], exec, s[18:19]
; %bb.388:                              ;   in Loop: Header=BB338_172 Depth=1
	v_bfe_u32 v50, v54, 16, 1
	v_add3_u32 v50, v54, v50, s26
                                        ; implicit-def: $vgpr54
; %bb.389:                              ;   in Loop: Header=BB338_172 Depth=1
	s_andn2_saveexec_b64 s[18:19], s[2:3]
; %bb.390:                              ;   in Loop: Header=BB338_172 Depth=1
	v_or_b32_e32 v50, 0x10000, v54
	v_cmp_eq_u32_sdwa s[2:3], v54, v15 src0_sel:WORD_0 src1_sel:DWORD
	s_nop 1
	v_cndmask_b32_e64 v50, v50, v54, s[2:3]
; %bb.391:                              ;   in Loop: Header=BB338_172 Depth=1
	s_or_b64 exec, exec, s[18:19]
	v_lshlrev_b32_e32 v51, 16, v51
	v_mul_f32_e32 v54, v39, v51
	v_and_b32_e32 v51, 0x7f800000, v54
	v_cmp_ne_u32_e64 s[2:3], s25, v51
                                        ; implicit-def: $vgpr51
	s_and_saveexec_b64 s[18:19], s[2:3]
	s_xor_b64 s[2:3], exec, s[18:19]
; %bb.392:                              ;   in Loop: Header=BB338_172 Depth=1
	v_bfe_u32 v51, v54, 16, 1
	v_add3_u32 v51, v54, v51, s26
                                        ; implicit-def: $vgpr54
; %bb.393:                              ;   in Loop: Header=BB338_172 Depth=1
	s_andn2_saveexec_b64 s[18:19], s[2:3]
; %bb.394:                              ;   in Loop: Header=BB338_172 Depth=1
	v_or_b32_e32 v51, 0x10000, v54
	v_cmp_eq_u32_sdwa s[2:3], v54, v15 src0_sel:WORD_0 src1_sel:DWORD
	s_nop 1
	v_cndmask_b32_e64 v51, v51, v54, s[2:3]
; %bb.395:                              ;   in Loop: Header=BB338_172 Depth=1
	s_or_b64 exec, exec, s[18:19]
	v_lshlrev_b32_e32 v52, 16, v52
	v_mul_f32_e32 v54, v40, v52
	v_and_b32_e32 v52, 0x7f800000, v54
	v_cmp_ne_u32_e64 s[2:3], s25, v52
                                        ; implicit-def: $vgpr52
	s_and_saveexec_b64 s[18:19], s[2:3]
	s_xor_b64 s[2:3], exec, s[18:19]
; %bb.396:                              ;   in Loop: Header=BB338_172 Depth=1
	v_bfe_u32 v52, v54, 16, 1
	v_add3_u32 v52, v54, v52, s26
                                        ; implicit-def: $vgpr54
; %bb.397:                              ;   in Loop: Header=BB338_172 Depth=1
	s_andn2_saveexec_b64 s[18:19], s[2:3]
; %bb.398:                              ;   in Loop: Header=BB338_172 Depth=1
	v_or_b32_e32 v52, 0x10000, v54
	v_cmp_eq_u32_sdwa s[2:3], v54, v15 src0_sel:WORD_0 src1_sel:DWORD
	s_nop 1
	v_cndmask_b32_e64 v52, v52, v54, s[2:3]
; %bb.399:                              ;   in Loop: Header=BB338_172 Depth=1
	s_or_b64 exec, exec, s[18:19]
	v_lshlrev_b32_e32 v53, 16, v53
	v_mul_f32_e32 v54, v41, v53
	v_and_b32_e32 v53, 0x7f800000, v54
	v_cmp_ne_u32_e64 s[2:3], s25, v53
                                        ; implicit-def: $vgpr53
	s_and_saveexec_b64 s[18:19], s[2:3]
	s_xor_b64 s[2:3], exec, s[18:19]
	s_cbranch_execnz .LBB338_402
; %bb.400:                              ;   in Loop: Header=BB338_172 Depth=1
	s_andn2_saveexec_b64 s[18:19], s[2:3]
	s_cbranch_execnz .LBB338_403
.LBB338_401:                            ;   in Loop: Header=BB338_172 Depth=1
	s_or_b64 exec, exec, s[18:19]
	s_and_saveexec_b64 s[18:19], vcc
	s_cbranch_execz .LBB338_170
	s_branch .LBB338_404
.LBB338_402:                            ;   in Loop: Header=BB338_172 Depth=1
	v_bfe_u32 v53, v54, 16, 1
	v_add3_u32 v53, v54, v53, s26
                                        ; implicit-def: $vgpr54
	s_andn2_saveexec_b64 s[18:19], s[2:3]
	s_cbranch_execz .LBB338_401
.LBB338_403:                            ;   in Loop: Header=BB338_172 Depth=1
	v_or_b32_e32 v53, 0x10000, v54
	v_cmp_eq_u32_sdwa s[2:3], v54, v15 src0_sel:WORD_0 src1_sel:DWORD
	s_nop 1
	v_cndmask_b32_e64 v53, v53, v54, s[2:3]
	s_or_b64 exec, exec, s[18:19]
	s_and_saveexec_b64 s[18:19], vcc
	s_cbranch_execz .LBB338_170
.LBB338_404:                            ;   in Loop: Header=BB338_172 Depth=1
	v_lshl_add_u64 v[2:3], v[2:3], 0, v[18:19]
	global_load_dwordx2 v[2:3], v[2:3], off
	s_waitcnt vmcnt(0)
	v_and_b32_e32 v54, 0xff, v2
	v_cvt_f32_fp8_sdwa v54, v54 src0_sel:BYTE_0
	s_nop 0
	v_mul_f32_e32 v55, s27, v54
	v_and_b32_e32 v54, 0x7f800000, v55
	v_cmp_ne_u32_e64 s[2:3], s25, v54
                                        ; implicit-def: $vgpr54
	s_and_saveexec_b64 s[20:21], s[2:3]
	s_xor_b64 s[2:3], exec, s[20:21]
; %bb.405:                              ;   in Loop: Header=BB338_172 Depth=1
	v_bfe_u32 v54, v55, 16, 1
	v_add3_u32 v54, v55, v54, s26
                                        ; implicit-def: $vgpr55
; %bb.406:                              ;   in Loop: Header=BB338_172 Depth=1
	s_andn2_saveexec_b64 s[20:21], s[2:3]
; %bb.407:                              ;   in Loop: Header=BB338_172 Depth=1
	v_or_b32_e32 v54, 0x10000, v55
	v_cmp_eq_u32_sdwa s[2:3], v55, v15 src0_sel:WORD_0 src1_sel:DWORD
	s_nop 1
	v_cndmask_b32_e64 v54, v54, v55, s[2:3]
; %bb.408:                              ;   in Loop: Header=BB338_172 Depth=1
	s_or_b64 exec, exec, s[20:21]
	v_bfe_u32 v55, v2, 8, 8
	v_cvt_f32_fp8_sdwa v55, v55 src0_sel:BYTE_0
	s_nop 0
	v_mul_f32_e32 v56, s27, v55
	v_and_b32_e32 v55, 0x7f800000, v56
	v_cmp_ne_u32_e64 s[2:3], s25, v55
                                        ; implicit-def: $vgpr55
	s_and_saveexec_b64 s[20:21], s[2:3]
	s_xor_b64 s[2:3], exec, s[20:21]
; %bb.409:                              ;   in Loop: Header=BB338_172 Depth=1
	v_bfe_u32 v55, v56, 16, 1
	v_add3_u32 v55, v56, v55, s26
                                        ; implicit-def: $vgpr56
; %bb.410:                              ;   in Loop: Header=BB338_172 Depth=1
	s_andn2_saveexec_b64 s[20:21], s[2:3]
; %bb.411:                              ;   in Loop: Header=BB338_172 Depth=1
	v_or_b32_e32 v55, 0x10000, v56
	v_cmp_eq_u32_sdwa s[2:3], v56, v15 src0_sel:WORD_0 src1_sel:DWORD
	s_nop 1
	v_cndmask_b32_e64 v55, v55, v56, s[2:3]
; %bb.412:                              ;   in Loop: Header=BB338_172 Depth=1
	s_or_b64 exec, exec, s[20:21]
	v_bfe_u32 v56, v2, 16, 8
	v_cvt_f32_fp8_sdwa v56, v56 src0_sel:BYTE_0
	s_nop 0
	v_mul_f32_e32 v56, s27, v56
	v_and_b32_e32 v57, 0x7f800000, v56
	v_cmp_ne_u32_e64 s[2:3], s25, v57
                                        ; implicit-def: $vgpr57
	s_and_saveexec_b64 s[20:21], s[2:3]
	s_xor_b64 s[2:3], exec, s[20:21]
; %bb.413:                              ;   in Loop: Header=BB338_172 Depth=1
	v_bfe_u32 v57, v56, 16, 1
	v_add3_u32 v57, v56, v57, s26
                                        ; implicit-def: $vgpr56
; %bb.414:                              ;   in Loop: Header=BB338_172 Depth=1
	s_andn2_saveexec_b64 s[20:21], s[2:3]
; %bb.415:                              ;   in Loop: Header=BB338_172 Depth=1
	v_or_b32_e32 v57, 0x10000, v56
	v_cmp_eq_u32_sdwa s[2:3], v56, v15 src0_sel:WORD_0 src1_sel:DWORD
	s_nop 1
	v_cndmask_b32_e64 v57, v57, v56, s[2:3]
; %bb.416:                              ;   in Loop: Header=BB338_172 Depth=1
	s_or_b64 exec, exec, s[20:21]
	v_lshrrev_b32_e32 v2, 24, v2
	v_cvt_f32_fp8_sdwa v2, v2 src0_sel:BYTE_0
	s_nop 0
	v_mul_f32_e32 v56, s27, v2
	v_and_b32_e32 v2, 0x7f800000, v56
	v_cmp_ne_u32_e64 s[2:3], s25, v2
                                        ; implicit-def: $vgpr2
	s_and_saveexec_b64 s[20:21], s[2:3]
	s_xor_b64 s[2:3], exec, s[20:21]
; %bb.417:                              ;   in Loop: Header=BB338_172 Depth=1
	v_bfe_u32 v2, v56, 16, 1
	v_add3_u32 v2, v56, v2, s26
                                        ; implicit-def: $vgpr56
; %bb.418:                              ;   in Loop: Header=BB338_172 Depth=1
	s_andn2_saveexec_b64 s[20:21], s[2:3]
; %bb.419:                              ;   in Loop: Header=BB338_172 Depth=1
	v_or_b32_e32 v2, 0x10000, v56
	v_cmp_eq_u32_sdwa s[2:3], v56, v15 src0_sel:WORD_0 src1_sel:DWORD
	s_nop 1
	v_cndmask_b32_e64 v2, v2, v56, s[2:3]
; %bb.420:                              ;   in Loop: Header=BB338_172 Depth=1
	s_or_b64 exec, exec, s[20:21]
	v_and_b32_e32 v56, 0xff, v3
	v_cvt_f32_fp8_sdwa v56, v56 src0_sel:BYTE_0
	s_nop 0
	v_mul_f32_e32 v56, s27, v56
	v_and_b32_e32 v58, 0x7f800000, v56
	v_cmp_ne_u32_e64 s[2:3], s25, v58
                                        ; implicit-def: $vgpr58
	s_and_saveexec_b64 s[20:21], s[2:3]
	s_xor_b64 s[2:3], exec, s[20:21]
; %bb.421:                              ;   in Loop: Header=BB338_172 Depth=1
	v_bfe_u32 v58, v56, 16, 1
	v_add3_u32 v58, v56, v58, s26
                                        ; implicit-def: $vgpr56
; %bb.422:                              ;   in Loop: Header=BB338_172 Depth=1
	s_andn2_saveexec_b64 s[20:21], s[2:3]
; %bb.423:                              ;   in Loop: Header=BB338_172 Depth=1
	v_or_b32_e32 v58, 0x10000, v56
	v_cmp_eq_u32_sdwa s[2:3], v56, v15 src0_sel:WORD_0 src1_sel:DWORD
	s_nop 1
	v_cndmask_b32_e64 v58, v58, v56, s[2:3]
; %bb.424:                              ;   in Loop: Header=BB338_172 Depth=1
	s_or_b64 exec, exec, s[20:21]
	v_bfe_u32 v56, v3, 8, 8
	v_cvt_f32_fp8_sdwa v56, v56 src0_sel:BYTE_0
	s_nop 0
	v_mul_f32_e32 v59, s27, v56
	v_and_b32_e32 v56, 0x7f800000, v59
	v_cmp_ne_u32_e64 s[2:3], s25, v56
                                        ; implicit-def: $vgpr56
	s_and_saveexec_b64 s[20:21], s[2:3]
	s_xor_b64 s[2:3], exec, s[20:21]
; %bb.425:                              ;   in Loop: Header=BB338_172 Depth=1
	v_bfe_u32 v56, v59, 16, 1
	v_add3_u32 v56, v59, v56, s26
                                        ; implicit-def: $vgpr59
; %bb.426:                              ;   in Loop: Header=BB338_172 Depth=1
	s_andn2_saveexec_b64 s[20:21], s[2:3]
; %bb.427:                              ;   in Loop: Header=BB338_172 Depth=1
	v_or_b32_e32 v56, 0x10000, v59
	v_cmp_eq_u32_sdwa s[2:3], v59, v15 src0_sel:WORD_0 src1_sel:DWORD
	s_nop 1
	v_cndmask_b32_e64 v56, v56, v59, s[2:3]
; %bb.428:                              ;   in Loop: Header=BB338_172 Depth=1
	s_or_b64 exec, exec, s[20:21]
	v_bfe_u32 v59, v3, 16, 8
	v_cvt_f32_fp8_sdwa v59, v59 src0_sel:BYTE_0
	s_nop 0
	v_mul_f32_e32 v59, s27, v59
	v_and_b32_e32 v60, 0x7f800000, v59
	v_cmp_ne_u32_e64 s[2:3], s25, v60
                                        ; implicit-def: $vgpr60
	s_and_saveexec_b64 s[20:21], s[2:3]
	s_xor_b64 s[2:3], exec, s[20:21]
; %bb.429:                              ;   in Loop: Header=BB338_172 Depth=1
	v_bfe_u32 v60, v59, 16, 1
	v_add3_u32 v60, v59, v60, s26
                                        ; implicit-def: $vgpr59
; %bb.430:                              ;   in Loop: Header=BB338_172 Depth=1
	s_andn2_saveexec_b64 s[20:21], s[2:3]
; %bb.431:                              ;   in Loop: Header=BB338_172 Depth=1
	v_or_b32_e32 v60, 0x10000, v59
	v_cmp_eq_u32_sdwa s[2:3], v59, v15 src0_sel:WORD_0 src1_sel:DWORD
	s_nop 1
	v_cndmask_b32_e64 v60, v60, v59, s[2:3]
; %bb.432:                              ;   in Loop: Header=BB338_172 Depth=1
	s_or_b64 exec, exec, s[20:21]
	v_lshrrev_b32_e32 v3, 24, v3
	v_cvt_f32_fp8_sdwa v3, v3 src0_sel:BYTE_0
                                        ; implicit-def: $vgpr61
	s_nop 0
	v_mul_f32_e32 v3, s27, v3
	v_and_b32_e32 v59, 0x7f800000, v3
	v_cmp_ne_u32_e64 s[2:3], s25, v59
	s_and_saveexec_b64 s[20:21], s[2:3]
	s_xor_b64 s[2:3], exec, s[20:21]
; %bb.433:                              ;   in Loop: Header=BB338_172 Depth=1
	v_bfe_u32 v59, v3, 16, 1
	v_add3_u32 v61, v3, v59, s26
                                        ; implicit-def: $vgpr3
; %bb.434:                              ;   in Loop: Header=BB338_172 Depth=1
	s_andn2_saveexec_b64 s[20:21], s[2:3]
; %bb.435:                              ;   in Loop: Header=BB338_172 Depth=1
	v_or_b32_e32 v59, 0x10000, v3
	v_cmp_eq_u32_sdwa s[2:3], v3, v15 src0_sel:WORD_0 src1_sel:DWORD
	s_nop 1
	v_cndmask_b32_e64 v61, v59, v3, s[2:3]
; %bb.436:                              ;   in Loop: Header=BB338_172 Depth=1
	s_or_b64 exec, exec, s[20:21]
	v_lshrrev_b32_e32 v56, 16, v56
	v_lshrrev_b32_e32 v58, 16, v58
	;; [unrolled: 1-line block ×8, first 2 shown]
	s_and_saveexec_b64 s[2:3], s[0:1]
	s_cbranch_execz .LBB338_438
; %bb.437:                              ;   in Loop: Header=BB338_172 Depth=1
	v_cmp_gt_i32_e64 s[0:1], s33, v33
	v_add_u32_e32 v60, 1, v33
	s_nop 0
	v_cndmask_b32_e64 v3, 0, v3, s[0:1]
	v_cmp_gt_i32_e64 s[0:1], s33, v60
	v_add_u32_e32 v60, 2, v33
	s_nop 0
	v_cndmask_b32_e64 v55, 0, v55, s[0:1]
	;; [unrolled: 4-line block ×5, first 2 shown]
	v_cmp_gt_i32_e64 s[0:1], s33, v60
	v_add_u32_e32 v60, 6, v33
	v_add_u32_e32 v33, 7, v33
	v_cndmask_b32_e64 v56, 0, v56, s[0:1]
	v_cmp_gt_i32_e64 s[0:1], s33, v60
	s_nop 1
	v_cndmask_b32_e64 v54, 0, v54, s[0:1]
	v_cmp_gt_i32_e64 s[0:1], s33, v33
	s_nop 1
	v_cndmask_b32_e64 v2, 0, v2, s[0:1]
.LBB338_438:                            ;   in Loop: Header=BB338_172 Depth=1
	s_or_b64 exec, exec, s[2:3]
	v_lshlrev_b32_e32 v3, 16, v3
	v_mul_f32_e32 v33, v34, v3
	v_and_b32_e32 v3, 0x7f800000, v33
	v_cmp_ne_u32_e64 s[0:1], s25, v3
                                        ; implicit-def: $vgpr3
	s_and_saveexec_b64 s[2:3], s[0:1]
	s_xor_b64 s[0:1], exec, s[2:3]
; %bb.439:                              ;   in Loop: Header=BB338_172 Depth=1
	v_bfe_u32 v3, v33, 16, 1
	v_add3_u32 v3, v33, v3, s26
                                        ; implicit-def: $vgpr33
; %bb.440:                              ;   in Loop: Header=BB338_172 Depth=1
	s_andn2_saveexec_b64 s[2:3], s[0:1]
; %bb.441:                              ;   in Loop: Header=BB338_172 Depth=1
	v_or_b32_e32 v3, 0x10000, v33
	v_cmp_eq_u32_sdwa s[0:1], v33, v15 src0_sel:WORD_0 src1_sel:DWORD
	s_nop 1
	v_cndmask_b32_e64 v3, v3, v33, s[0:1]
; %bb.442:                              ;   in Loop: Header=BB338_172 Depth=1
	s_or_b64 exec, exec, s[2:3]
	v_lshlrev_b32_e32 v33, 16, v55
	v_mul_f32_e32 v34, v35, v33
	v_and_b32_e32 v33, 0x7f800000, v34
	v_cmp_ne_u32_e64 s[0:1], s25, v33
                                        ; implicit-def: $vgpr33
	s_and_saveexec_b64 s[2:3], s[0:1]
	s_xor_b64 s[0:1], exec, s[2:3]
; %bb.443:                              ;   in Loop: Header=BB338_172 Depth=1
	v_bfe_u32 v33, v34, 16, 1
	v_add3_u32 v33, v34, v33, s26
                                        ; implicit-def: $vgpr34
; %bb.444:                              ;   in Loop: Header=BB338_172 Depth=1
	s_andn2_saveexec_b64 s[2:3], s[0:1]
; %bb.445:                              ;   in Loop: Header=BB338_172 Depth=1
	v_or_b32_e32 v33, 0x10000, v34
	v_cmp_eq_u32_sdwa s[0:1], v34, v15 src0_sel:WORD_0 src1_sel:DWORD
	s_nop 1
	v_cndmask_b32_e64 v33, v33, v34, s[0:1]
; %bb.446:                              ;   in Loop: Header=BB338_172 Depth=1
	s_or_b64 exec, exec, s[2:3]
	v_lshlrev_b32_e32 v34, 16, v57
	v_mul_f32_e32 v35, v36, v34
	v_and_b32_e32 v34, 0x7f800000, v35
	v_cmp_ne_u32_e64 s[0:1], s25, v34
                                        ; implicit-def: $vgpr34
	s_and_saveexec_b64 s[2:3], s[0:1]
	s_xor_b64 s[0:1], exec, s[2:3]
; %bb.447:                              ;   in Loop: Header=BB338_172 Depth=1
	v_bfe_u32 v34, v35, 16, 1
	v_add3_u32 v34, v35, v34, s26
                                        ; implicit-def: $vgpr35
; %bb.448:                              ;   in Loop: Header=BB338_172 Depth=1
	s_andn2_saveexec_b64 s[2:3], s[0:1]
; %bb.449:                              ;   in Loop: Header=BB338_172 Depth=1
	v_or_b32_e32 v34, 0x10000, v35
	v_cmp_eq_u32_sdwa s[0:1], v35, v15 src0_sel:WORD_0 src1_sel:DWORD
	s_nop 1
	v_cndmask_b32_e64 v34, v34, v35, s[0:1]
; %bb.450:                              ;   in Loop: Header=BB338_172 Depth=1
	s_or_b64 exec, exec, s[2:3]
	v_lshlrev_b32_e32 v35, 16, v59
	v_mul_f32_e32 v36, v37, v35
	v_and_b32_e32 v35, 0x7f800000, v36
	v_cmp_ne_u32_e64 s[0:1], s25, v35
                                        ; implicit-def: $vgpr35
	s_and_saveexec_b64 s[2:3], s[0:1]
	s_xor_b64 s[0:1], exec, s[2:3]
; %bb.451:                              ;   in Loop: Header=BB338_172 Depth=1
	v_bfe_u32 v35, v36, 16, 1
	v_add3_u32 v35, v36, v35, s26
                                        ; implicit-def: $vgpr36
; %bb.452:                              ;   in Loop: Header=BB338_172 Depth=1
	s_andn2_saveexec_b64 s[2:3], s[0:1]
; %bb.453:                              ;   in Loop: Header=BB338_172 Depth=1
	v_or_b32_e32 v35, 0x10000, v36
	v_cmp_eq_u32_sdwa s[0:1], v36, v15 src0_sel:WORD_0 src1_sel:DWORD
	s_nop 1
	v_cndmask_b32_e64 v35, v35, v36, s[0:1]
; %bb.454:                              ;   in Loop: Header=BB338_172 Depth=1
	s_or_b64 exec, exec, s[2:3]
	v_lshlrev_b32_e32 v36, 16, v58
	v_mul_f32_e32 v37, v38, v36
	v_and_b32_e32 v36, 0x7f800000, v37
	v_cmp_ne_u32_e64 s[0:1], s25, v36
                                        ; implicit-def: $vgpr36
	s_and_saveexec_b64 s[2:3], s[0:1]
	s_xor_b64 s[0:1], exec, s[2:3]
; %bb.455:                              ;   in Loop: Header=BB338_172 Depth=1
	v_bfe_u32 v36, v37, 16, 1
	v_add3_u32 v36, v37, v36, s26
                                        ; implicit-def: $vgpr37
; %bb.456:                              ;   in Loop: Header=BB338_172 Depth=1
	s_andn2_saveexec_b64 s[2:3], s[0:1]
; %bb.457:                              ;   in Loop: Header=BB338_172 Depth=1
	v_or_b32_e32 v36, 0x10000, v37
	v_cmp_eq_u32_sdwa s[0:1], v37, v15 src0_sel:WORD_0 src1_sel:DWORD
	s_nop 1
	v_cndmask_b32_e64 v36, v36, v37, s[0:1]
; %bb.458:                              ;   in Loop: Header=BB338_172 Depth=1
	s_or_b64 exec, exec, s[2:3]
	v_lshlrev_b32_e32 v37, 16, v56
	v_mul_f32_e32 v38, v39, v37
	v_and_b32_e32 v37, 0x7f800000, v38
	v_cmp_ne_u32_e64 s[0:1], s25, v37
                                        ; implicit-def: $vgpr37
	s_and_saveexec_b64 s[2:3], s[0:1]
	s_xor_b64 s[0:1], exec, s[2:3]
; %bb.459:                              ;   in Loop: Header=BB338_172 Depth=1
	v_bfe_u32 v37, v38, 16, 1
	v_add3_u32 v37, v38, v37, s26
                                        ; implicit-def: $vgpr38
; %bb.460:                              ;   in Loop: Header=BB338_172 Depth=1
	s_andn2_saveexec_b64 s[2:3], s[0:1]
; %bb.461:                              ;   in Loop: Header=BB338_172 Depth=1
	v_or_b32_e32 v37, 0x10000, v38
	v_cmp_eq_u32_sdwa s[0:1], v38, v15 src0_sel:WORD_0 src1_sel:DWORD
	s_nop 1
	v_cndmask_b32_e64 v37, v37, v38, s[0:1]
; %bb.462:                              ;   in Loop: Header=BB338_172 Depth=1
	s_or_b64 exec, exec, s[2:3]
	v_lshlrev_b32_e32 v38, 16, v54
	v_mul_f32_e32 v39, v40, v38
	v_and_b32_e32 v38, 0x7f800000, v39
	v_cmp_ne_u32_e64 s[0:1], s25, v38
                                        ; implicit-def: $vgpr38
	s_and_saveexec_b64 s[2:3], s[0:1]
	s_xor_b64 s[0:1], exec, s[2:3]
; %bb.463:                              ;   in Loop: Header=BB338_172 Depth=1
	v_bfe_u32 v38, v39, 16, 1
	v_add3_u32 v38, v39, v38, s26
                                        ; implicit-def: $vgpr39
; %bb.464:                              ;   in Loop: Header=BB338_172 Depth=1
	s_andn2_saveexec_b64 s[2:3], s[0:1]
; %bb.465:                              ;   in Loop: Header=BB338_172 Depth=1
	v_or_b32_e32 v38, 0x10000, v39
	v_cmp_eq_u32_sdwa s[0:1], v39, v15 src0_sel:WORD_0 src1_sel:DWORD
	s_nop 1
	v_cndmask_b32_e64 v38, v38, v39, s[0:1]
; %bb.466:                              ;   in Loop: Header=BB338_172 Depth=1
	s_or_b64 exec, exec, s[2:3]
	v_lshlrev_b32_e32 v2, 16, v2
	v_mul_f32_e32 v2, v41, v2
	v_and_b32_e32 v39, 0x7f800000, v2
	v_cmp_ne_u32_e64 s[0:1], s25, v39
                                        ; implicit-def: $vgpr39
	s_and_saveexec_b64 s[2:3], s[0:1]
	s_xor_b64 s[0:1], exec, s[2:3]
; %bb.467:                              ;   in Loop: Header=BB338_172 Depth=1
	v_bfe_u32 v39, v2, 16, 1
	v_add3_u32 v39, v2, v39, s26
                                        ; implicit-def: $vgpr2
; %bb.468:                              ;   in Loop: Header=BB338_172 Depth=1
	s_andn2_saveexec_b64 s[2:3], s[0:1]
	s_cbranch_execz .LBB338_169
; %bb.469:                              ;   in Loop: Header=BB338_172 Depth=1
	v_or_b32_e32 v39, 0x10000, v2
	v_cmp_eq_u32_sdwa s[0:1], v2, v15 src0_sel:WORD_0 src1_sel:DWORD
	s_nop 1
	v_cndmask_b32_e64 v39, v39, v2, s[0:1]
	s_branch .LBB338_169
.LBB338_470:
	s_or_b64 exec, exec, s[12:13]
.LBB338_471:
	s_or_b64 exec, exec, s[10:11]
	ds_bpermute_b32 v2, v22, v16
	ds_bpermute_b32 v3, v22, v17
	;; [unrolled: 1-line block ×4, first 2 shown]
	v_and_b32_e32 v1, 0x3c0, v0
	v_cmp_eq_u32_e32 vcc, 64, v1
	s_waitcnt lgkmcnt(2)
	v_pk_add_f32 v[4:5], v[16:17], v[2:3]
	s_waitcnt lgkmcnt(0)
	v_pk_add_f32 v[2:3], v[12:13], v[6:7]
	s_barrier
	s_and_saveexec_b64 s[2:3], vcc
	s_cbranch_execz .LBB338_476
; %bb.472:
	v_cmp_eq_u32_e32 vcc, 0, v23
	s_and_saveexec_b64 s[0:1], vcc
	s_cbranch_execz .LBB338_474
; %bb.473:
	v_mov_b32_e32 v1, 0x100
	v_lshl_add_u32 v1, v24, 2, v1
	ds_write2_b32 v1, v4, v5 offset1:32
	ds_write_b32 v1, v2 offset:256
.LBB338_474:
	s_or_b64 exec, exec, s[0:1]
	v_or_b32_e32 v1, 0x60, v24
	s_movk_i32 s0, 0x78
	v_cmp_gt_u32_e64 s[0:1], s0, v1
	s_and_b64 s[0:1], vcc, s[0:1]
	s_and_b64 exec, exec, s[0:1]
	s_cbranch_execz .LBB338_476
; %bb.475:
	v_mov_b32_e32 v1, 0x100
	v_lshl_add_u32 v1, v24, 2, v1
	ds_write_b32 v1, v3 offset:384
.LBB338_476:
	s_or_b64 exec, exec, s[2:3]
	v_cmp_gt_u32_e32 vcc, 64, v0
	v_lshrrev_b32_e32 v6, 1, v0
	s_waitcnt lgkmcnt(0)
	s_barrier
	s_and_saveexec_b64 s[8:9], vcc
	s_cbranch_execz .LBB338_484
; %bb.477:
	v_cmp_eq_u32_e64 s[0:1], 0, v23
	s_and_saveexec_b64 s[2:3], s[0:1]
	s_cbranch_execnz .LBB338_506
; %bb.478:
	s_or_b64 exec, exec, s[2:3]
	s_and_saveexec_b64 s[2:3], s[0:1]
	s_cbranch_execnz .LBB338_507
.LBB338_479:
	s_or_b64 exec, exec, s[2:3]
	s_and_saveexec_b64 s[2:3], s[0:1]
	s_cbranch_execz .LBB338_481
.LBB338_480:
	v_mov_b32_e32 v0, 0x100
	v_lshl_add_u32 v0, v6, 2, v0
	ds_read_b32 v0, v0 offset:256
	s_waitcnt lgkmcnt(0)
	v_add_f32_e32 v2, v2, v0
.LBB338_481:
	s_or_b64 exec, exec, s[2:3]
	v_or_b32_e32 v0, 0x60, v6
	s_movk_i32 s2, 0x78
	v_cmp_gt_u32_e64 s[2:3], s2, v0
	s_and_b64 s[2:3], s[0:1], s[2:3]
	s_and_saveexec_b64 s[0:1], s[2:3]
	s_cbranch_execz .LBB338_483
; %bb.482:
	v_mov_b32_e32 v0, 0x100
	v_lshl_add_u32 v0, v6, 2, v0
	ds_read_b32 v0, v0 offset:384
	s_waitcnt lgkmcnt(0)
	v_add_f32_e32 v3, v3, v0
.LBB338_483:
	s_or_b64 exec, exec, s[0:1]
.LBB338_484:
	s_or_b64 exec, exec, s[8:9]
	s_barrier
	s_and_saveexec_b64 s[0:1], vcc
	s_cbranch_execz .LBB338_505
; %bb.485:
	s_mul_i32 s0, s6, 0x78
	s_ashr_i32 s1, s0, 31
	s_lshl_b64 s[0:1], s[0:1], 1
	s_add_u32 s2, s30, s0
	s_mul_i32 s0, s23, s28
	s_addc_u32 s3, s31, s1
	s_ashr_i32 s1, s0, 31
	s_lshl_b64 s[0:1], s[0:1], 1
	s_add_u32 s2, s2, s0
	s_mul_i32 s0, s4, 0x78
	s_addc_u32 s3, s3, s1
	s_ashr_i32 s1, s0, 31
	s_lshl_b64 s[0:1], s[0:1], 1
	s_add_u32 s2, s2, s0
	s_addc_u32 s3, s3, s1
	v_cmp_eq_u32_e32 vcc, 0, v23
	s_and_saveexec_b64 s[4:5], vcc
	s_cbranch_execz .LBB338_499
; %bb.486:
	s_mov_b32 s0, 0x7f800000
	v_and_b32_e32 v0, 0x7f800000, v4
	v_cmp_ne_u32_e64 s[0:1], s0, v0
                                        ; implicit-def: $vgpr7
	s_and_saveexec_b64 s[6:7], s[0:1]
	s_xor_b64 s[0:1], exec, s[6:7]
; %bb.487:
	v_bfe_u32 v0, v4, 16, 1
	s_movk_i32 s6, 0x7fff
	v_add3_u32 v7, v4, v0, s6
; %bb.488:
	s_andn2_saveexec_b64 s[6:7], s[0:1]
; %bb.489:
	v_mov_b32_e32 v0, 0
	v_or_b32_e32 v1, 0x10000, v4
	v_cmp_eq_u32_sdwa s[0:1], v4, v0 src0_sel:WORD_0 src1_sel:DWORD
	s_nop 1
	v_cndmask_b32_e64 v7, v1, v4, s[0:1]
; %bb.490:
	s_or_b64 exec, exec, s[6:7]
	s_mov_b32 s0, 0x7f800000
	v_and_b32_e32 v4, 0x7f800000, v5
	v_lshlrev_b32_e32 v0, 1, v6
	v_mov_b32_e32 v1, 0
	v_cmp_ne_u32_e64 s[0:1], s0, v4
	global_store_short_d16_hi v0, v7, s[2:3]
                                        ; implicit-def: $vgpr4
	s_and_saveexec_b64 s[6:7], s[0:1]
	s_xor_b64 s[0:1], exec, s[6:7]
; %bb.491:
	v_bfe_u32 v4, v5, 16, 1
	s_movk_i32 s6, 0x7fff
	v_add3_u32 v4, v5, v4, s6
; %bb.492:
	s_or_saveexec_b64 s[6:7], s[0:1]
	v_lshl_add_u64 v[0:1], s[2:3], 0, v[0:1]
	s_xor_b64 exec, exec, s[6:7]
; %bb.493:
	v_mov_b32_e32 v4, 0
	v_or_b32_e32 v7, 0x10000, v5
	v_cmp_eq_u32_sdwa s[0:1], v5, v4 src0_sel:WORD_0 src1_sel:DWORD
	s_nop 1
	v_cndmask_b32_e64 v4, v7, v5, s[0:1]
; %bb.494:
	s_or_b64 exec, exec, s[6:7]
	global_store_short_d16_hi v[0:1], v4, off offset:64
	s_mov_b32 s0, 0x7f800000
	v_and_b32_e32 v4, 0x7f800000, v2
	v_cmp_ne_u32_e64 s[0:1], s0, v4
                                        ; implicit-def: $vgpr4
	s_and_saveexec_b64 s[6:7], s[0:1]
	s_xor_b64 s[0:1], exec, s[6:7]
; %bb.495:
	v_bfe_u32 v4, v2, 16, 1
	s_movk_i32 s6, 0x7fff
	v_add3_u32 v4, v2, v4, s6
; %bb.496:
	s_andn2_saveexec_b64 s[6:7], s[0:1]
; %bb.497:
	v_mov_b32_e32 v4, 0
	v_or_b32_e32 v5, 0x10000, v2
	v_cmp_eq_u32_sdwa s[0:1], v2, v4 src0_sel:WORD_0 src1_sel:DWORD
	s_nop 1
	v_cndmask_b32_e64 v4, v5, v2, s[0:1]
; %bb.498:
	s_or_b64 exec, exec, s[6:7]
	global_store_short_d16_hi v[0:1], v4, off offset:128
.LBB338_499:
	s_or_b64 exec, exec, s[4:5]
	v_or_b32_e32 v0, 0x60, v6
	s_movk_i32 s0, 0x78
	v_cmp_gt_u32_e64 s[0:1], s0, v0
	s_and_b64 s[0:1], vcc, s[0:1]
	s_and_b64 exec, exec, s[0:1]
	s_cbranch_execz .LBB338_505
; %bb.500:
	s_mov_b32 s0, 0x7f800000
	v_and_b32_e32 v0, 0x7f800000, v3
	v_cmp_ne_u32_e32 vcc, s0, v0
                                        ; implicit-def: $vgpr4
	s_and_saveexec_b64 s[0:1], vcc
	s_xor_b64 s[0:1], exec, s[0:1]
; %bb.501:
	v_bfe_u32 v0, v3, 16, 1
	s_movk_i32 s4, 0x7fff
	v_add3_u32 v4, v3, v0, s4
                                        ; implicit-def: $vgpr0_vgpr1_vgpr2_vgpr3
; %bb.502:
	s_andn2_saveexec_b64 s[0:1], s[0:1]
; %bb.503:
	v_mov_b32_e32 v0, 0
	v_or_b32_e32 v1, 0x10000, v3
	v_cmp_eq_u32_sdwa vcc, v3, v0 src0_sel:WORD_0 src1_sel:DWORD
	s_nop 1
	v_cndmask_b32_e32 v4, v1, v3, vcc
; %bb.504:
	s_or_b64 exec, exec, s[0:1]
	v_lshlrev_b32_e32 v0, 1, v6
	global_store_short_d16_hi v0, v4, s[2:3] offset:192
.LBB338_505:
	s_endpgm
.LBB338_506:
	v_mov_b32_e32 v0, 0x100
	v_lshl_add_u32 v0, v6, 2, v0
	ds_read_b32 v0, v0
	s_waitcnt lgkmcnt(0)
	v_add_f32_e32 v4, v4, v0
	s_or_b64 exec, exec, s[2:3]
	s_and_saveexec_b64 s[2:3], s[0:1]
	s_cbranch_execz .LBB338_479
.LBB338_507:
	v_mov_b32_e32 v0, 0x100
	v_lshl_add_u32 v0, v6, 2, v0
	ds_read_b32 v0, v0 offset:128
	s_waitcnt lgkmcnt(0)
	v_add_f32_e32 v5, v5, v0
	s_or_b64 exec, exec, s[2:3]
	s_and_saveexec_b64 s[2:3], s[0:1]
	s_cbranch_execnz .LBB338_480
	s_branch .LBB338_481
	.section	.rodata,"a",@progbits
	.p2align	6, 0x0
	.amdhsa_kernel _ZN4vllm25paged_attention_v2_kernelI14__hip_bfloat16hLi120ELi16ELi128ELNS_18Fp8KVCacheDataTypeE1ELb1ELi512EEEvPfS3_PT_PKS4_PKT0_SA_ifPKiSC_iPKfiiiSE_SE_iiiii
		.amdhsa_group_segment_fixed_size 256
		.amdhsa_private_segment_fixed_size 0
		.amdhsa_kernarg_size 400
		.amdhsa_user_sgpr_count 2
		.amdhsa_user_sgpr_dispatch_ptr 0
		.amdhsa_user_sgpr_queue_ptr 0
		.amdhsa_user_sgpr_kernarg_segment_ptr 1
		.amdhsa_user_sgpr_dispatch_id 0
		.amdhsa_user_sgpr_kernarg_preload_length 0
		.amdhsa_user_sgpr_kernarg_preload_offset 0
		.amdhsa_user_sgpr_private_segment_size 0
		.amdhsa_uses_dynamic_stack 0
		.amdhsa_enable_private_segment 0
		.amdhsa_system_sgpr_workgroup_id_x 1
		.amdhsa_system_sgpr_workgroup_id_y 1
		.amdhsa_system_sgpr_workgroup_id_z 1
		.amdhsa_system_sgpr_workgroup_info 0
		.amdhsa_system_vgpr_workitem_id 0
		.amdhsa_next_free_vgpr 84
		.amdhsa_next_free_sgpr 60
		.amdhsa_accum_offset 84
		.amdhsa_reserve_vcc 1
		.amdhsa_float_round_mode_32 0
		.amdhsa_float_round_mode_16_64 0
		.amdhsa_float_denorm_mode_32 3
		.amdhsa_float_denorm_mode_16_64 3
		.amdhsa_dx10_clamp 1
		.amdhsa_ieee_mode 1
		.amdhsa_fp16_overflow 0
		.amdhsa_tg_split 0
		.amdhsa_exception_fp_ieee_invalid_op 0
		.amdhsa_exception_fp_denorm_src 0
		.amdhsa_exception_fp_ieee_div_zero 0
		.amdhsa_exception_fp_ieee_overflow 0
		.amdhsa_exception_fp_ieee_underflow 0
		.amdhsa_exception_fp_ieee_inexact 0
		.amdhsa_exception_int_div_zero 0
	.end_amdhsa_kernel
	.section	.text._ZN4vllm25paged_attention_v2_kernelI14__hip_bfloat16hLi120ELi16ELi128ELNS_18Fp8KVCacheDataTypeE1ELb1ELi512EEEvPfS3_PT_PKS4_PKT0_SA_ifPKiSC_iPKfiiiSE_SE_iiiii,"axG",@progbits,_ZN4vllm25paged_attention_v2_kernelI14__hip_bfloat16hLi120ELi16ELi128ELNS_18Fp8KVCacheDataTypeE1ELb1ELi512EEEvPfS3_PT_PKS4_PKT0_SA_ifPKiSC_iPKfiiiSE_SE_iiiii,comdat
.Lfunc_end338:
	.size	_ZN4vllm25paged_attention_v2_kernelI14__hip_bfloat16hLi120ELi16ELi128ELNS_18Fp8KVCacheDataTypeE1ELb1ELi512EEEvPfS3_PT_PKS4_PKT0_SA_ifPKiSC_iPKfiiiSE_SE_iiiii, .Lfunc_end338-_ZN4vllm25paged_attention_v2_kernelI14__hip_bfloat16hLi120ELi16ELi128ELNS_18Fp8KVCacheDataTypeE1ELb1ELi512EEEvPfS3_PT_PKS4_PKT0_SA_ifPKiSC_iPKfiiiSE_SE_iiiii
                                        ; -- End function
	.section	.AMDGPU.csdata,"",@progbits
; Kernel info:
; codeLenInByte = 16324
; NumSgprs: 66
; NumVgprs: 84
; NumAgprs: 0
; TotalNumVgprs: 84
; ScratchSize: 0
; MemoryBound: 0
; FloatMode: 240
; IeeeMode: 1
; LDSByteSize: 256 bytes/workgroup (compile time only)
; SGPRBlocks: 8
; VGPRBlocks: 10
; NumSGPRsForWavesPerEU: 66
; NumVGPRsForWavesPerEU: 84
; AccumOffset: 84
; Occupancy: 5
; WaveLimiterHint : 1
; COMPUTE_PGM_RSRC2:SCRATCH_EN: 0
; COMPUTE_PGM_RSRC2:USER_SGPR: 2
; COMPUTE_PGM_RSRC2:TRAP_HANDLER: 0
; COMPUTE_PGM_RSRC2:TGID_X_EN: 1
; COMPUTE_PGM_RSRC2:TGID_Y_EN: 1
; COMPUTE_PGM_RSRC2:TGID_Z_EN: 1
; COMPUTE_PGM_RSRC2:TIDIG_COMP_CNT: 0
; COMPUTE_PGM_RSRC3_GFX90A:ACCUM_OFFSET: 20
; COMPUTE_PGM_RSRC3_GFX90A:TG_SPLIT: 0
	.section	.text._ZN4vllm25paged_attention_v2_kernelI14__hip_bfloat16hLi128ELi16ELi128ELNS_18Fp8KVCacheDataTypeE1ELb1ELi512EEEvPfS3_PT_PKS4_PKT0_SA_ifPKiSC_iPKfiiiSE_SE_iiiii,"axG",@progbits,_ZN4vllm25paged_attention_v2_kernelI14__hip_bfloat16hLi128ELi16ELi128ELNS_18Fp8KVCacheDataTypeE1ELb1ELi512EEEvPfS3_PT_PKS4_PKT0_SA_ifPKiSC_iPKfiiiSE_SE_iiiii,comdat
	.protected	_ZN4vllm25paged_attention_v2_kernelI14__hip_bfloat16hLi128ELi16ELi128ELNS_18Fp8KVCacheDataTypeE1ELb1ELi512EEEvPfS3_PT_PKS4_PKT0_SA_ifPKiSC_iPKfiiiSE_SE_iiiii ; -- Begin function _ZN4vllm25paged_attention_v2_kernelI14__hip_bfloat16hLi128ELi16ELi128ELNS_18Fp8KVCacheDataTypeE1ELb1ELi512EEEvPfS3_PT_PKS4_PKT0_SA_ifPKiSC_iPKfiiiSE_SE_iiiii
	.globl	_ZN4vllm25paged_attention_v2_kernelI14__hip_bfloat16hLi128ELi16ELi128ELNS_18Fp8KVCacheDataTypeE1ELb1ELi512EEEvPfS3_PT_PKS4_PKT0_SA_ifPKiSC_iPKfiiiSE_SE_iiiii
	.p2align	8
	.type	_ZN4vllm25paged_attention_v2_kernelI14__hip_bfloat16hLi128ELi16ELi128ELNS_18Fp8KVCacheDataTypeE1ELb1ELi512EEEvPfS3_PT_PKS4_PKT0_SA_ifPKiSC_iPKfiiiSE_SE_iiiii,@function
_ZN4vllm25paged_attention_v2_kernelI14__hip_bfloat16hLi128ELi16ELi128ELNS_18Fp8KVCacheDataTypeE1ELb1ELi512EEEvPfS3_PT_PKS4_PKT0_SA_ifPKiSC_iPKfiiiSE_SE_iiiii: ; @_ZN4vllm25paged_attention_v2_kernelI14__hip_bfloat16hLi128ELi16ELi128ELNS_18Fp8KVCacheDataTypeE1ELb1ELi512EEEvPfS3_PT_PKS4_PKT0_SA_ifPKiSC_iPKfiiiSE_SE_iiiii
; %bb.0:
	s_load_dwordx2 s[6:7], s[0:1], 0x40
	s_mov_b32 s14, s3
	s_ashr_i32 s15, s3, 31
	s_lshl_b64 s[8:9], s[14:15], 2
	s_waitcnt lgkmcnt(0)
	s_add_u32 s6, s6, s8
	s_addc_u32 s7, s7, s9
	s_load_dword s33, s[6:7], 0x0
	s_lshl_b32 s5, s4, 9
	s_waitcnt lgkmcnt(0)
	s_cmp_ge_i32 s5, s33
	s_cbranch_scc1 .LBB339_505
; %bb.1:
	s_load_dword s15, s[0:1], 0x90
	s_load_dwordx2 s[44:45], s[0:1], 0x30
	s_mov_b32 s53, 0
	s_waitcnt lgkmcnt(0)
	s_abs_i32 s7, s15
	s_abs_i32 s3, s44
	v_cvt_f32_u32_e32 v1, s3
	s_sub_i32 s8, 0, s3
	s_xor_b32 s6, s15, s44
	s_ashr_i32 s6, s6, 31
	v_rcp_iflag_f32_e32 v1, v1
	s_nop 0
	v_mul_f32_e32 v1, 0x4f7ffffe, v1
	v_cvt_u32_f32_e32 v1, v1
	s_nop 0
	v_readfirstlane_b32 s9, v1
	s_mul_i32 s8, s8, s9
	s_mul_hi_u32 s8, s9, s8
	s_add_i32 s9, s9, s8
	s_mul_hi_u32 s8, s7, s9
	s_mul_i32 s9, s8, s3
	s_sub_i32 s7, s7, s9
	s_add_i32 s10, s8, 1
	s_sub_i32 s9, s7, s3
	s_cmp_ge_u32 s7, s3
	s_cselect_b32 s8, s10, s8
	s_cselect_b32 s7, s9, s7
	s_add_i32 s9, s8, 1
	s_cmp_ge_u32 s7, s3
	s_cselect_b32 s3, s9, s8
	s_xor_b32 s3, s3, s6
	s_sub_i32 s10, s3, s6
	s_abs_i32 s8, s10
	v_cvt_f32_u32_e32 v1, s8
	s_load_dwordx2 s[6:7], s[0:1], 0x50
	s_sub_i32 s3, 0, s8
	s_abs_i32 s9, s2
	v_rcp_iflag_f32_e32 v1, v1
	s_nop 0
	v_mul_f32_e32 v1, 0x4f7ffffe, v1
	v_cvt_u32_f32_e32 v1, v1
	s_nop 0
	v_readfirstlane_b32 s11, v1
	s_mul_i32 s3, s3, s11
	s_mul_hi_u32 s3, s11, s3
	s_add_i32 s11, s11, s3
	s_waitcnt lgkmcnt(0)
	s_cmp_eq_u64 s[6:7], 0
	s_mul_hi_u32 s12, s9, s11
	s_cbranch_scc1 .LBB339_3
; %bb.2:
	s_ashr_i32 s3, s2, 31
	s_lshl_b64 s[16:17], s[2:3], 2
	s_add_u32 s6, s6, s16
	s_addc_u32 s7, s7, s17
	s_load_dword s53, s[6:7], 0x0
.LBB339_3:
	s_load_dwordx4 s[20:23], s[0:1], 0x58
	s_ashr_i32 s3, s2, 31
	s_ashr_i32 s13, s10, 31
	v_and_b32_e32 v2, 3, v0
	s_lshl_b32 s34, s2, 7
	v_cmp_gt_u32_e64 s[10:11], 64, v0
	s_and_saveexec_b64 s[6:7], s[10:11]
	s_cbranch_execz .LBB339_5
; %bb.4:
	s_load_dwordx2 s[16:17], s[0:1], 0x18
	s_waitcnt lgkmcnt(0)
	s_mul_i32 s18, s14, s20
	s_ashr_i32 s19, s18, 31
	s_lshl_b64 s[18:19], s[18:19], 1
	v_lshlrev_b32_e32 v1, 2, v0
	s_add_u32 s18, s16, s18
	s_addc_u32 s19, s17, s19
	s_ashr_i32 s35, s34, 31
	s_lshl_b64 s[16:17], s[34:35], 1
	s_add_u32 s16, s18, s16
	s_addc_u32 s17, s19, s17
	global_load_dword v1, v1, s[16:17]
	v_and_b32_e32 v3, 0x3fc, v0
	v_lshl_add_u32 v3, v2, 6, v3
	s_waitcnt vmcnt(0)
	ds_write_b32 v3, v1
.LBB339_5:
	s_or_b64 exec, exec, s[6:7]
	s_mul_i32 s6, s12, s8
	s_sub_i32 s6, s9, s6
	s_xor_b32 s3, s3, s13
	s_add_i32 s7, s12, 1
	s_sub_i32 s9, s6, s8
	s_load_dwordx4 s[24:27], s[0:1], 0x78
	s_cmp_ge_u32 s6, s8
	s_cselect_b32 s7, s7, s12
	s_cselect_b32 s6, s9, s6
	s_add_i32 s9, s7, 1
	s_cmp_ge_u32 s6, s8
	s_cselect_b32 s6, s9, s7
	s_load_dword s9, s[0:1], 0x88
	s_waitcnt lgkmcnt(0)
	s_abs_i32 s35, s27
	v_cvt_f32_u32_e32 v1, s35
	s_xor_b32 s6, s6, s3
	s_sub_i32 s52, s6, s3
	s_sub_i32 s6, 0, s35
	v_rcp_iflag_f32_e32 v1, v1
	s_add_i32 s12, s33, -1
	s_abs_i32 s3, s12
	v_mul_f32_e32 v1, 0x4f7ffffe, v1
	v_cvt_u32_f32_e32 v1, v1
	s_barrier
	v_readfirstlane_b32 s50, v1
	s_mul_i32 s6, s6, s50
	s_mul_hi_u32 s6, s50, s6
	s_add_i32 s50, s50, s6
	s_cmp_lt_i32 s9, 0
	s_mul_hi_u32 s8, s3, s50
	s_cbranch_scc0 .LBB339_7
; %bb.6:
	s_mul_i32 s6, s24, s44
	s_add_i32 s6, s52, s6
	s_mul_i32 s6, s6, s9
	s_sub_i32 s44, 1, s6
	s_mov_b64 s[6:7], 0
	s_branch .LBB339_8
.LBB339_7:
	s_mov_b64 s[6:7], -1
                                        ; implicit-def: $sgpr44
.LBB339_8:
	s_load_dwordx2 s[38:39], s[0:1], 0x38
	s_ashr_i32 s12, s12, 31
	s_andn2_b64 vcc, exec, s[6:7]
	s_ashr_i32 s27, s27, 31
	s_cbranch_vccnz .LBB339_10
; %bb.9:
	s_mul_i32 s6, s15, s24
	s_add_i32 s6, s6, s2
	s_mul_i32 s6, s6, s9
	s_add_i32 s44, s6, 1
.LBB339_10:
	s_load_dwordx2 s[42:43], s[0:1], 0x28
	s_load_dword s6, s[0:1], 0x48
	s_load_dwordx4 s[28:31], s[0:1], 0x0
	s_load_dwordx2 s[36:37], s[0:1], 0x10
	s_load_dword s20, s[0:1], 0x98
	s_load_dwordx4 s[16:19], s[0:1], 0x68
	s_mul_i32 s7, s8, s35
	s_waitcnt lgkmcnt(0)
	s_mul_i32 s40, s14, s6
	s_sub_i32 s3, s3, s7
	s_ashr_i32 s41, s40, 31
	s_xor_b32 s6, s12, s27
	s_add_i32 s7, s8, 1
	s_sub_i32 s9, s3, s35
	s_cmp_ge_u32 s3, s35
	s_cselect_b32 s7, s7, s8
	s_cselect_b32 s3, s9, s3
	s_add_i32 s8, s7, 1
	s_cmp_ge_u32 s3, s35
	s_cselect_b32 s3, s8, s7
	s_xor_b32 s3, s3, s6
	s_sub_i32 s51, s3, s6
	s_add_i32 s3, s33, 15
	s_ashr_i32 s6, s3, 31
	s_lshr_b32 s6, s6, 28
	s_add_i32 s3, s3, s6
	s_lshl_b32 s54, s4, 5
	s_ashr_i32 s3, s3, 4
	s_add_i32 s6, s54, 32
	v_lshrrev_b32_e32 v28, 6, v0
	s_min_i32 s24, s6, s3
	v_or_b32_e32 v18, s54, v28
	v_cmp_gt_i32_e64 s[6:7], s24, v18
	v_mov_b32_e32 v32, 0xff7fffff
	s_mul_i32 s52, s52, s22
	v_ashrrev_i32_e32 v19, 31, v18
	v_lshl_add_u32 v1, v28, 4, s5
	v_mbcnt_lo_u32_b32 v29, -1, 0
	s_and_saveexec_b64 s[22:23], s[6:7]
	s_cbranch_execz .LBB339_148
; %bb.11:
	s_load_dwordx2 s[0:1], s[0:1], 0x20
	s_sub_i32 s55, s51, s25
	s_ashr_i32 s8, s52, 31
	v_bfe_u32 v30, v0, 2, 4
	v_mov_b32_e32 v21, 0
	s_waitcnt lgkmcnt(0)
	s_add_u32 s0, s0, s52
	s_addc_u32 s1, s1, s8
	s_abs_i32 s56, s26
	v_cvt_f32_u32_e32 v3, s56
	v_lshlrev_b32_e32 v20, 4, v30
	v_lshl_add_u64 v[22:23], s[0:1], 0, v[20:21]
	s_sub_i32 s0, 0, s56
	v_rcp_iflag_f32_e32 v3, v3
	v_cmp_eq_u32_e32 vcc, 0, v2
	v_lshlrev_b32_e32 v31, 6, v2
	v_lshlrev_b32_e32 v20, 1, v2
	v_mul_f32_e32 v3, 0x4f7ffffe, v3
	v_cvt_u32_f32_e32 v3, v3
	s_mov_b32 s57, s21
	v_cmp_neq_f32_e64 s[8:9], s53, 0
	v_lshl_add_u32 v34, v28, 4, s5
	v_mul_lo_u32 v2, s0, v3
	v_mul_hi_u32 v2, v3, v2
	v_add_u32_e32 v33, v3, v2
	s_lshl_b64 s[0:1], s[40:41], 2
	v_lshlrev_b32_e32 v2, 2, v30
	s_add_u32 s0, s38, s0
	v_lshl_or_b32 v2, v28, 6, v2
	s_addc_u32 s1, s39, s1
	v_add_u32_e32 v35, 0x110, v2
	v_subrev_u32_e32 v2, s33, v30
	v_lshl_add_u64 v[24:25], v[18:19], 2, s[0:1]
	v_add_u32_e32 v36, 1, v2
	s_mov_b64 s[46:47], 0
	v_mov_b32_e32 v37, 0xff7fffff
	s_mov_b32 s58, 0xffff
	s_mov_b32 s59, 0x7f800000
	s_movk_i32 s60, 0x7fff
	v_mbcnt_hi_u32_b32 v38, -1, v29
	v_mov_b32_e32 v32, 0xff7fffff
	v_mov_b32_e32 v39, v18
	s_branch .LBB339_14
.LBB339_12:                             ;   in Loop: Header=BB339_14 Depth=1
	s_or_b64 exec, exec, s[48:49]
.LBB339_13:                             ;   in Loop: Header=BB339_14 Depth=1
	s_or_b64 exec, exec, s[12:13]
	v_add_u32_e32 v39, 2, v39
	v_cmp_le_i32_e64 s[0:1], s24, v39
	v_lshl_add_u64 v[24:25], v[24:25], 0, 8
	v_add_u32_e32 v34, 32, v34
	s_or_b64 s[46:47], s[0:1], s[46:47]
	v_add_u32_e32 v35, 0x80, v35
	s_andn2_b64 exec, exec, s[46:47]
	s_cbranch_execz .LBB339_147
.LBB339_14:                             ; =>This Inner Loop Header: Depth=1
	s_waitcnt lgkmcnt(0)
	v_sub_u32_e32 v3, 0, v34
	v_max_i32_e32 v3, v34, v3
	v_mul_hi_u32 v4, v3, s50
	v_mul_lo_u32 v5, v4, s35
	v_sub_u32_e32 v3, v3, v5
	v_add_u32_e32 v5, 1, v4
	v_cmp_le_u32_e64 s[0:1], s35, v3
	v_ashrrev_i32_e32 v2, 31, v34
	v_xor_b32_e32 v2, s27, v2
	v_cndmask_b32_e64 v4, v4, v5, s[0:1]
	v_subrev_u32_e32 v5, s35, v3
	v_cndmask_b32_e64 v3, v3, v5, s[0:1]
	v_add_u32_e32 v5, 1, v4
	v_cmp_le_u32_e64 s[0:1], s35, v3
	s_nop 1
	v_cndmask_b32_e64 v3, v4, v5, s[0:1]
	v_xor_b32_e32 v3, v3, v2
	v_sub_u32_e32 v2, v3, v2
	v_add_u32_e32 v3, s44, v2
	v_sub_u32_e32 v5, 0, v3
	v_ashrrev_i32_e32 v4, 31, v3
	v_max_i32_e32 v3, v3, v5
	v_mul_hi_u32 v5, v3, v33
	v_mul_lo_u32 v5, v5, s56
	v_sub_u32_e32 v3, v3, v5
	v_subrev_u32_e32 v5, s56, v3
	v_cmp_le_u32_e64 s[0:1], s56, v3
	v_cmp_ge_i32_e64 s[12:13], s55, v2
	s_nop 0
	v_cndmask_b32_e64 v3, v3, v5, s[0:1]
	v_subrev_u32_e32 v5, s56, v3
	v_cmp_le_u32_e64 s[0:1], s56, v3
	s_nop 1
	v_cndmask_b32_e64 v3, v3, v5, s[0:1]
	v_xor_b32_e32 v3, v3, v4
	v_sub_u32_e32 v3, v3, v4
	v_cmp_ne_u32_e64 s[0:1], 0, v3
	s_and_b64 s[0:1], s[0:1], s[12:13]
	s_and_b64 s[48:49], vcc, s[0:1]
	s_and_saveexec_b64 s[12:13], s[48:49]
	s_cbranch_execz .LBB339_16
; %bb.15:                               ;   in Loop: Header=BB339_14 Depth=1
	ds_write_b32 v35, v37
.LBB339_16:                             ;   in Loop: Header=BB339_14 Depth=1
	s_or_b64 exec, exec, s[12:13]
	s_xor_b64 s[0:1], s[0:1], -1
	s_and_saveexec_b64 s[12:13], s[0:1]
	s_cbranch_execz .LBB339_13
; %bb.17:                               ;   in Loop: Header=BB339_14 Depth=1
	global_load_dword v2, v[24:25], off
	s_waitcnt vmcnt(0)
	v_mad_i64_i32 v[2:3], s[0:1], v2, s57, v[22:23]
	v_lshl_add_u64 v[26:27], v[2:3], 0, v[20:21]
	global_load_ushort v41, v[26:27], off
	ds_read_b128 v[14:17], v31
	ds_read_b128 v[6:9], v31 offset:16
	s_load_dword s61, s[16:17], 0x0
	s_waitcnt vmcnt(0)
	v_and_b32_sdwa v2, s58, v41 dst_sel:DWORD dst_unused:UNUSED_PAD src0_sel:DWORD src1_sel:BYTE_0
	v_cvt_f32_fp8_sdwa v40, v2 src0_sel:BYTE_0
	ds_read_b128 v[10:13], v31 offset:32
	ds_read_b128 v[2:5], v31 offset:48
	s_waitcnt lgkmcnt(0)
	v_mul_f32_e32 v42, s61, v40
	v_and_b32_e32 v40, 0x7f800000, v42
	v_cmp_ne_u32_e64 s[0:1], s59, v40
                                        ; implicit-def: $vgpr40
	s_and_saveexec_b64 s[48:49], s[0:1]
	s_xor_b64 s[0:1], exec, s[48:49]
; %bb.18:                               ;   in Loop: Header=BB339_14 Depth=1
	v_bfe_u32 v40, v42, 16, 1
	v_add3_u32 v40, v42, v40, s60
                                        ; implicit-def: $vgpr42
; %bb.19:                               ;   in Loop: Header=BB339_14 Depth=1
	s_andn2_saveexec_b64 s[48:49], s[0:1]
; %bb.20:                               ;   in Loop: Header=BB339_14 Depth=1
	v_or_b32_e32 v40, 0x10000, v42
	v_cmp_eq_u32_sdwa s[0:1], v42, v21 src0_sel:WORD_0 src1_sel:DWORD
	s_nop 1
	v_cndmask_b32_e64 v40, v40, v42, s[0:1]
; %bb.21:                               ;   in Loop: Header=BB339_14 Depth=1
	s_or_b64 exec, exec, s[48:49]
	v_lshrrev_b16_e32 v41, 8, v41
	v_cvt_f32_fp8_sdwa v41, v41 src0_sel:BYTE_0
	s_nop 0
	v_mul_f32_e32 v42, s61, v41
	v_and_b32_e32 v41, 0x7f800000, v42
	v_cmp_ne_u32_e64 s[0:1], s59, v41
                                        ; implicit-def: $vgpr41
	s_and_saveexec_b64 s[48:49], s[0:1]
	s_xor_b64 s[0:1], exec, s[48:49]
; %bb.22:                               ;   in Loop: Header=BB339_14 Depth=1
	v_bfe_u32 v41, v42, 16, 1
	v_add3_u32 v41, v42, v41, s60
                                        ; implicit-def: $vgpr42
; %bb.23:                               ;   in Loop: Header=BB339_14 Depth=1
	s_andn2_saveexec_b64 s[48:49], s[0:1]
; %bb.24:                               ;   in Loop: Header=BB339_14 Depth=1
	v_or_b32_e32 v41, 0x10000, v42
	v_cmp_eq_u32_sdwa s[0:1], v42, v21 src0_sel:WORD_0 src1_sel:DWORD
	s_nop 1
	v_cndmask_b32_e64 v41, v41, v42, s[0:1]
; %bb.25:                               ;   in Loop: Header=BB339_14 Depth=1
	s_or_b64 exec, exec, s[48:49]
	global_load_ushort v43, v[26:27], off offset:8
	s_waitcnt vmcnt(0)
	v_and_b32_sdwa v42, s58, v43 dst_sel:DWORD dst_unused:UNUSED_PAD src0_sel:DWORD src1_sel:BYTE_0
	v_cvt_f32_fp8_sdwa v42, v42 src0_sel:BYTE_0
	s_nop 0
	v_mul_f32_e32 v44, s61, v42
	v_and_b32_e32 v42, 0x7f800000, v44
	v_cmp_ne_u32_e64 s[0:1], s59, v42
                                        ; implicit-def: $vgpr42
	s_and_saveexec_b64 s[48:49], s[0:1]
	s_xor_b64 s[0:1], exec, s[48:49]
; %bb.26:                               ;   in Loop: Header=BB339_14 Depth=1
	v_bfe_u32 v42, v44, 16, 1
	v_add3_u32 v42, v44, v42, s60
                                        ; implicit-def: $vgpr44
; %bb.27:                               ;   in Loop: Header=BB339_14 Depth=1
	s_andn2_saveexec_b64 s[48:49], s[0:1]
; %bb.28:                               ;   in Loop: Header=BB339_14 Depth=1
	v_or_b32_e32 v42, 0x10000, v44
	v_cmp_eq_u32_sdwa s[0:1], v44, v21 src0_sel:WORD_0 src1_sel:DWORD
	s_nop 1
	v_cndmask_b32_e64 v42, v42, v44, s[0:1]
; %bb.29:                               ;   in Loop: Header=BB339_14 Depth=1
	s_or_b64 exec, exec, s[48:49]
	v_lshrrev_b16_e32 v43, 8, v43
	v_cvt_f32_fp8_sdwa v43, v43 src0_sel:BYTE_0
	s_nop 0
	v_mul_f32_e32 v44, s61, v43
	v_and_b32_e32 v43, 0x7f800000, v44
	v_cmp_ne_u32_e64 s[0:1], s59, v43
                                        ; implicit-def: $vgpr43
	s_and_saveexec_b64 s[48:49], s[0:1]
	s_xor_b64 s[0:1], exec, s[48:49]
; %bb.30:                               ;   in Loop: Header=BB339_14 Depth=1
	v_bfe_u32 v43, v44, 16, 1
	v_add3_u32 v43, v44, v43, s60
                                        ; implicit-def: $vgpr44
; %bb.31:                               ;   in Loop: Header=BB339_14 Depth=1
	s_andn2_saveexec_b64 s[48:49], s[0:1]
; %bb.32:                               ;   in Loop: Header=BB339_14 Depth=1
	v_or_b32_e32 v43, 0x10000, v44
	v_cmp_eq_u32_sdwa s[0:1], v44, v21 src0_sel:WORD_0 src1_sel:DWORD
	s_nop 1
	v_cndmask_b32_e64 v43, v43, v44, s[0:1]
; %bb.33:                               ;   in Loop: Header=BB339_14 Depth=1
	s_or_b64 exec, exec, s[48:49]
	global_load_ushort v45, v[26:27], off offset:256
	s_waitcnt vmcnt(0)
	v_and_b32_sdwa v44, s58, v45 dst_sel:DWORD dst_unused:UNUSED_PAD src0_sel:DWORD src1_sel:BYTE_0
	v_cvt_f32_fp8_sdwa v44, v44 src0_sel:BYTE_0
	s_nop 0
	v_mul_f32_e32 v46, s61, v44
	v_and_b32_e32 v44, 0x7f800000, v46
	v_cmp_ne_u32_e64 s[0:1], s59, v44
                                        ; implicit-def: $vgpr44
	s_and_saveexec_b64 s[48:49], s[0:1]
	s_xor_b64 s[0:1], exec, s[48:49]
; %bb.34:                               ;   in Loop: Header=BB339_14 Depth=1
	v_bfe_u32 v44, v46, 16, 1
	v_add3_u32 v44, v46, v44, s60
                                        ; implicit-def: $vgpr46
; %bb.35:                               ;   in Loop: Header=BB339_14 Depth=1
	s_andn2_saveexec_b64 s[48:49], s[0:1]
; %bb.36:                               ;   in Loop: Header=BB339_14 Depth=1
	v_or_b32_e32 v44, 0x10000, v46
	v_cmp_eq_u32_sdwa s[0:1], v46, v21 src0_sel:WORD_0 src1_sel:DWORD
	s_nop 1
	v_cndmask_b32_e64 v44, v44, v46, s[0:1]
; %bb.37:                               ;   in Loop: Header=BB339_14 Depth=1
	s_or_b64 exec, exec, s[48:49]
	v_lshrrev_b16_e32 v45, 8, v45
	v_cvt_f32_fp8_sdwa v45, v45 src0_sel:BYTE_0
	s_nop 0
	v_mul_f32_e32 v46, s61, v45
	v_and_b32_e32 v45, 0x7f800000, v46
	v_cmp_ne_u32_e64 s[0:1], s59, v45
                                        ; implicit-def: $vgpr45
	s_and_saveexec_b64 s[48:49], s[0:1]
	s_xor_b64 s[0:1], exec, s[48:49]
; %bb.38:                               ;   in Loop: Header=BB339_14 Depth=1
	v_bfe_u32 v45, v46, 16, 1
	v_add3_u32 v45, v46, v45, s60
                                        ; implicit-def: $vgpr46
; %bb.39:                               ;   in Loop: Header=BB339_14 Depth=1
	s_andn2_saveexec_b64 s[48:49], s[0:1]
; %bb.40:                               ;   in Loop: Header=BB339_14 Depth=1
	v_or_b32_e32 v45, 0x10000, v46
	v_cmp_eq_u32_sdwa s[0:1], v46, v21 src0_sel:WORD_0 src1_sel:DWORD
	s_nop 1
	v_cndmask_b32_e64 v45, v45, v46, s[0:1]
; %bb.41:                               ;   in Loop: Header=BB339_14 Depth=1
	s_or_b64 exec, exec, s[48:49]
	global_load_ushort v47, v[26:27], off offset:264
	s_waitcnt vmcnt(0)
	v_and_b32_sdwa v46, s58, v47 dst_sel:DWORD dst_unused:UNUSED_PAD src0_sel:DWORD src1_sel:BYTE_0
	v_cvt_f32_fp8_sdwa v46, v46 src0_sel:BYTE_0
	s_nop 0
	v_mul_f32_e32 v48, s61, v46
	v_and_b32_e32 v46, 0x7f800000, v48
	v_cmp_ne_u32_e64 s[0:1], s59, v46
                                        ; implicit-def: $vgpr46
	s_and_saveexec_b64 s[48:49], s[0:1]
	s_xor_b64 s[0:1], exec, s[48:49]
; %bb.42:                               ;   in Loop: Header=BB339_14 Depth=1
	v_bfe_u32 v46, v48, 16, 1
	v_add3_u32 v46, v48, v46, s60
                                        ; implicit-def: $vgpr48
; %bb.43:                               ;   in Loop: Header=BB339_14 Depth=1
	s_andn2_saveexec_b64 s[48:49], s[0:1]
; %bb.44:                               ;   in Loop: Header=BB339_14 Depth=1
	v_or_b32_e32 v46, 0x10000, v48
	v_cmp_eq_u32_sdwa s[0:1], v48, v21 src0_sel:WORD_0 src1_sel:DWORD
	s_nop 1
	v_cndmask_b32_e64 v46, v46, v48, s[0:1]
; %bb.45:                               ;   in Loop: Header=BB339_14 Depth=1
	s_or_b64 exec, exec, s[48:49]
	v_lshrrev_b16_e32 v47, 8, v47
	v_cvt_f32_fp8_sdwa v47, v47 src0_sel:BYTE_0
	s_nop 0
	v_mul_f32_e32 v48, s61, v47
	v_and_b32_e32 v47, 0x7f800000, v48
	v_cmp_ne_u32_e64 s[0:1], s59, v47
                                        ; implicit-def: $vgpr47
	s_and_saveexec_b64 s[48:49], s[0:1]
	s_xor_b64 s[0:1], exec, s[48:49]
; %bb.46:                               ;   in Loop: Header=BB339_14 Depth=1
	v_bfe_u32 v47, v48, 16, 1
	v_add3_u32 v47, v48, v47, s60
                                        ; implicit-def: $vgpr48
; %bb.47:                               ;   in Loop: Header=BB339_14 Depth=1
	s_andn2_saveexec_b64 s[48:49], s[0:1]
; %bb.48:                               ;   in Loop: Header=BB339_14 Depth=1
	v_or_b32_e32 v47, 0x10000, v48
	v_cmp_eq_u32_sdwa s[0:1], v48, v21 src0_sel:WORD_0 src1_sel:DWORD
	s_nop 1
	v_cndmask_b32_e64 v47, v47, v48, s[0:1]
; %bb.49:                               ;   in Loop: Header=BB339_14 Depth=1
	s_or_b64 exec, exec, s[48:49]
	global_load_ushort v49, v[26:27], off offset:512
	s_waitcnt vmcnt(0)
	v_and_b32_sdwa v48, s58, v49 dst_sel:DWORD dst_unused:UNUSED_PAD src0_sel:DWORD src1_sel:BYTE_0
	v_cvt_f32_fp8_sdwa v48, v48 src0_sel:BYTE_0
	s_nop 0
	v_mul_f32_e32 v50, s61, v48
	v_and_b32_e32 v48, 0x7f800000, v50
	v_cmp_ne_u32_e64 s[0:1], s59, v48
                                        ; implicit-def: $vgpr48
	s_and_saveexec_b64 s[48:49], s[0:1]
	s_xor_b64 s[0:1], exec, s[48:49]
; %bb.50:                               ;   in Loop: Header=BB339_14 Depth=1
	v_bfe_u32 v48, v50, 16, 1
	v_add3_u32 v48, v50, v48, s60
                                        ; implicit-def: $vgpr50
; %bb.51:                               ;   in Loop: Header=BB339_14 Depth=1
	s_andn2_saveexec_b64 s[48:49], s[0:1]
; %bb.52:                               ;   in Loop: Header=BB339_14 Depth=1
	v_or_b32_e32 v48, 0x10000, v50
	v_cmp_eq_u32_sdwa s[0:1], v50, v21 src0_sel:WORD_0 src1_sel:DWORD
	s_nop 1
	v_cndmask_b32_e64 v48, v48, v50, s[0:1]
; %bb.53:                               ;   in Loop: Header=BB339_14 Depth=1
	s_or_b64 exec, exec, s[48:49]
	v_lshrrev_b16_e32 v49, 8, v49
	v_cvt_f32_fp8_sdwa v49, v49 src0_sel:BYTE_0
	s_nop 0
	v_mul_f32_e32 v50, s61, v49
	v_and_b32_e32 v49, 0x7f800000, v50
	v_cmp_ne_u32_e64 s[0:1], s59, v49
                                        ; implicit-def: $vgpr49
	s_and_saveexec_b64 s[48:49], s[0:1]
	s_xor_b64 s[0:1], exec, s[48:49]
; %bb.54:                               ;   in Loop: Header=BB339_14 Depth=1
	v_bfe_u32 v49, v50, 16, 1
	v_add3_u32 v49, v50, v49, s60
                                        ; implicit-def: $vgpr50
; %bb.55:                               ;   in Loop: Header=BB339_14 Depth=1
	s_andn2_saveexec_b64 s[48:49], s[0:1]
; %bb.56:                               ;   in Loop: Header=BB339_14 Depth=1
	v_or_b32_e32 v49, 0x10000, v50
	v_cmp_eq_u32_sdwa s[0:1], v50, v21 src0_sel:WORD_0 src1_sel:DWORD
	s_nop 1
	v_cndmask_b32_e64 v49, v49, v50, s[0:1]
; %bb.57:                               ;   in Loop: Header=BB339_14 Depth=1
	s_or_b64 exec, exec, s[48:49]
	global_load_ushort v51, v[26:27], off offset:520
	s_waitcnt vmcnt(0)
	v_and_b32_sdwa v50, s58, v51 dst_sel:DWORD dst_unused:UNUSED_PAD src0_sel:DWORD src1_sel:BYTE_0
	v_cvt_f32_fp8_sdwa v50, v50 src0_sel:BYTE_0
	s_nop 0
	v_mul_f32_e32 v52, s61, v50
	v_and_b32_e32 v50, 0x7f800000, v52
	v_cmp_ne_u32_e64 s[0:1], s59, v50
                                        ; implicit-def: $vgpr50
	s_and_saveexec_b64 s[48:49], s[0:1]
	s_xor_b64 s[0:1], exec, s[48:49]
; %bb.58:                               ;   in Loop: Header=BB339_14 Depth=1
	v_bfe_u32 v50, v52, 16, 1
	v_add3_u32 v50, v52, v50, s60
                                        ; implicit-def: $vgpr52
; %bb.59:                               ;   in Loop: Header=BB339_14 Depth=1
	s_andn2_saveexec_b64 s[48:49], s[0:1]
; %bb.60:                               ;   in Loop: Header=BB339_14 Depth=1
	v_or_b32_e32 v50, 0x10000, v52
	v_cmp_eq_u32_sdwa s[0:1], v52, v21 src0_sel:WORD_0 src1_sel:DWORD
	s_nop 1
	v_cndmask_b32_e64 v50, v50, v52, s[0:1]
; %bb.61:                               ;   in Loop: Header=BB339_14 Depth=1
	s_or_b64 exec, exec, s[48:49]
	v_lshrrev_b16_e32 v51, 8, v51
	v_cvt_f32_fp8_sdwa v51, v51 src0_sel:BYTE_0
	s_nop 0
	v_mul_f32_e32 v52, s61, v51
	v_and_b32_e32 v51, 0x7f800000, v52
	v_cmp_ne_u32_e64 s[0:1], s59, v51
                                        ; implicit-def: $vgpr51
	s_and_saveexec_b64 s[48:49], s[0:1]
	s_xor_b64 s[0:1], exec, s[48:49]
; %bb.62:                               ;   in Loop: Header=BB339_14 Depth=1
	v_bfe_u32 v51, v52, 16, 1
	v_add3_u32 v51, v52, v51, s60
                                        ; implicit-def: $vgpr52
; %bb.63:                               ;   in Loop: Header=BB339_14 Depth=1
	s_andn2_saveexec_b64 s[48:49], s[0:1]
; %bb.64:                               ;   in Loop: Header=BB339_14 Depth=1
	v_or_b32_e32 v51, 0x10000, v52
	v_cmp_eq_u32_sdwa s[0:1], v52, v21 src0_sel:WORD_0 src1_sel:DWORD
	s_nop 1
	v_cndmask_b32_e64 v51, v51, v52, s[0:1]
; %bb.65:                               ;   in Loop: Header=BB339_14 Depth=1
	s_or_b64 exec, exec, s[48:49]
	global_load_ushort v53, v[26:27], off offset:768
	s_waitcnt vmcnt(0)
	v_and_b32_sdwa v52, s58, v53 dst_sel:DWORD dst_unused:UNUSED_PAD src0_sel:DWORD src1_sel:BYTE_0
	v_cvt_f32_fp8_sdwa v52, v52 src0_sel:BYTE_0
	s_nop 0
	v_mul_f32_e32 v54, s61, v52
	v_and_b32_e32 v52, 0x7f800000, v54
	v_cmp_ne_u32_e64 s[0:1], s59, v52
                                        ; implicit-def: $vgpr52
	s_and_saveexec_b64 s[48:49], s[0:1]
	s_xor_b64 s[0:1], exec, s[48:49]
; %bb.66:                               ;   in Loop: Header=BB339_14 Depth=1
	v_bfe_u32 v52, v54, 16, 1
	v_add3_u32 v52, v54, v52, s60
                                        ; implicit-def: $vgpr54
; %bb.67:                               ;   in Loop: Header=BB339_14 Depth=1
	s_andn2_saveexec_b64 s[48:49], s[0:1]
; %bb.68:                               ;   in Loop: Header=BB339_14 Depth=1
	v_or_b32_e32 v52, 0x10000, v54
	v_cmp_eq_u32_sdwa s[0:1], v54, v21 src0_sel:WORD_0 src1_sel:DWORD
	s_nop 1
	v_cndmask_b32_e64 v52, v52, v54, s[0:1]
; %bb.69:                               ;   in Loop: Header=BB339_14 Depth=1
	s_or_b64 exec, exec, s[48:49]
	v_lshrrev_b16_e32 v53, 8, v53
	v_cvt_f32_fp8_sdwa v53, v53 src0_sel:BYTE_0
	s_nop 0
	v_mul_f32_e32 v54, s61, v53
	v_and_b32_e32 v53, 0x7f800000, v54
	v_cmp_ne_u32_e64 s[0:1], s59, v53
                                        ; implicit-def: $vgpr53
	s_and_saveexec_b64 s[48:49], s[0:1]
	s_xor_b64 s[0:1], exec, s[48:49]
; %bb.70:                               ;   in Loop: Header=BB339_14 Depth=1
	v_bfe_u32 v53, v54, 16, 1
	v_add3_u32 v53, v54, v53, s60
                                        ; implicit-def: $vgpr54
; %bb.71:                               ;   in Loop: Header=BB339_14 Depth=1
	s_andn2_saveexec_b64 s[48:49], s[0:1]
; %bb.72:                               ;   in Loop: Header=BB339_14 Depth=1
	v_or_b32_e32 v53, 0x10000, v54
	v_cmp_eq_u32_sdwa s[0:1], v54, v21 src0_sel:WORD_0 src1_sel:DWORD
	s_nop 1
	v_cndmask_b32_e64 v53, v53, v54, s[0:1]
; %bb.73:                               ;   in Loop: Header=BB339_14 Depth=1
	s_or_b64 exec, exec, s[48:49]
	global_load_ushort v55, v[26:27], off offset:776
	s_waitcnt vmcnt(0)
	v_and_b32_sdwa v54, s58, v55 dst_sel:DWORD dst_unused:UNUSED_PAD src0_sel:DWORD src1_sel:BYTE_0
	v_cvt_f32_fp8_sdwa v54, v54 src0_sel:BYTE_0
	s_nop 0
	v_mul_f32_e32 v56, s61, v54
	v_and_b32_e32 v54, 0x7f800000, v56
	v_cmp_ne_u32_e64 s[0:1], s59, v54
                                        ; implicit-def: $vgpr54
	s_and_saveexec_b64 s[48:49], s[0:1]
	s_xor_b64 s[0:1], exec, s[48:49]
; %bb.74:                               ;   in Loop: Header=BB339_14 Depth=1
	v_bfe_u32 v54, v56, 16, 1
	v_add3_u32 v54, v56, v54, s60
                                        ; implicit-def: $vgpr56
; %bb.75:                               ;   in Loop: Header=BB339_14 Depth=1
	s_andn2_saveexec_b64 s[48:49], s[0:1]
; %bb.76:                               ;   in Loop: Header=BB339_14 Depth=1
	v_or_b32_e32 v54, 0x10000, v56
	v_cmp_eq_u32_sdwa s[0:1], v56, v21 src0_sel:WORD_0 src1_sel:DWORD
	s_nop 1
	v_cndmask_b32_e64 v54, v54, v56, s[0:1]
; %bb.77:                               ;   in Loop: Header=BB339_14 Depth=1
	s_or_b64 exec, exec, s[48:49]
	v_lshrrev_b16_e32 v55, 8, v55
	v_cvt_f32_fp8_sdwa v55, v55 src0_sel:BYTE_0
	s_nop 0
	v_mul_f32_e32 v56, s61, v55
	v_and_b32_e32 v55, 0x7f800000, v56
	v_cmp_ne_u32_e64 s[0:1], s59, v55
                                        ; implicit-def: $vgpr55
	s_and_saveexec_b64 s[48:49], s[0:1]
	s_xor_b64 s[0:1], exec, s[48:49]
; %bb.78:                               ;   in Loop: Header=BB339_14 Depth=1
	v_bfe_u32 v55, v56, 16, 1
	v_add3_u32 v55, v56, v55, s60
                                        ; implicit-def: $vgpr56
; %bb.79:                               ;   in Loop: Header=BB339_14 Depth=1
	s_andn2_saveexec_b64 s[48:49], s[0:1]
; %bb.80:                               ;   in Loop: Header=BB339_14 Depth=1
	v_or_b32_e32 v55, 0x10000, v56
	v_cmp_eq_u32_sdwa s[0:1], v56, v21 src0_sel:WORD_0 src1_sel:DWORD
	s_nop 1
	v_cndmask_b32_e64 v55, v55, v56, s[0:1]
; %bb.81:                               ;   in Loop: Header=BB339_14 Depth=1
	s_or_b64 exec, exec, s[48:49]
	global_load_ushort v57, v[26:27], off offset:1024
	s_waitcnt vmcnt(0)
	v_and_b32_sdwa v56, s58, v57 dst_sel:DWORD dst_unused:UNUSED_PAD src0_sel:DWORD src1_sel:BYTE_0
	v_cvt_f32_fp8_sdwa v56, v56 src0_sel:BYTE_0
	s_nop 0
	v_mul_f32_e32 v58, s61, v56
	v_and_b32_e32 v56, 0x7f800000, v58
	v_cmp_ne_u32_e64 s[0:1], s59, v56
                                        ; implicit-def: $vgpr56
	s_and_saveexec_b64 s[48:49], s[0:1]
	s_xor_b64 s[0:1], exec, s[48:49]
; %bb.82:                               ;   in Loop: Header=BB339_14 Depth=1
	v_bfe_u32 v56, v58, 16, 1
	v_add3_u32 v56, v58, v56, s60
                                        ; implicit-def: $vgpr58
; %bb.83:                               ;   in Loop: Header=BB339_14 Depth=1
	s_andn2_saveexec_b64 s[48:49], s[0:1]
; %bb.84:                               ;   in Loop: Header=BB339_14 Depth=1
	v_or_b32_e32 v56, 0x10000, v58
	v_cmp_eq_u32_sdwa s[0:1], v58, v21 src0_sel:WORD_0 src1_sel:DWORD
	s_nop 1
	v_cndmask_b32_e64 v56, v56, v58, s[0:1]
; %bb.85:                               ;   in Loop: Header=BB339_14 Depth=1
	s_or_b64 exec, exec, s[48:49]
	v_lshrrev_b16_e32 v57, 8, v57
	v_cvt_f32_fp8_sdwa v57, v57 src0_sel:BYTE_0
	s_nop 0
	v_mul_f32_e32 v58, s61, v57
	v_and_b32_e32 v57, 0x7f800000, v58
	v_cmp_ne_u32_e64 s[0:1], s59, v57
                                        ; implicit-def: $vgpr57
	s_and_saveexec_b64 s[48:49], s[0:1]
	s_xor_b64 s[0:1], exec, s[48:49]
; %bb.86:                               ;   in Loop: Header=BB339_14 Depth=1
	v_bfe_u32 v57, v58, 16, 1
	v_add3_u32 v57, v58, v57, s60
                                        ; implicit-def: $vgpr58
; %bb.87:                               ;   in Loop: Header=BB339_14 Depth=1
	s_andn2_saveexec_b64 s[48:49], s[0:1]
; %bb.88:                               ;   in Loop: Header=BB339_14 Depth=1
	v_or_b32_e32 v57, 0x10000, v58
	v_cmp_eq_u32_sdwa s[0:1], v58, v21 src0_sel:WORD_0 src1_sel:DWORD
	s_nop 1
	v_cndmask_b32_e64 v57, v57, v58, s[0:1]
; %bb.89:                               ;   in Loop: Header=BB339_14 Depth=1
	s_or_b64 exec, exec, s[48:49]
	global_load_ushort v59, v[26:27], off offset:1032
	s_waitcnt vmcnt(0)
	v_and_b32_sdwa v58, s58, v59 dst_sel:DWORD dst_unused:UNUSED_PAD src0_sel:DWORD src1_sel:BYTE_0
	v_cvt_f32_fp8_sdwa v58, v58 src0_sel:BYTE_0
	s_nop 0
	v_mul_f32_e32 v60, s61, v58
	v_and_b32_e32 v58, 0x7f800000, v60
	v_cmp_ne_u32_e64 s[0:1], s59, v58
                                        ; implicit-def: $vgpr58
	s_and_saveexec_b64 s[48:49], s[0:1]
	s_xor_b64 s[0:1], exec, s[48:49]
; %bb.90:                               ;   in Loop: Header=BB339_14 Depth=1
	v_bfe_u32 v58, v60, 16, 1
	v_add3_u32 v58, v60, v58, s60
                                        ; implicit-def: $vgpr60
; %bb.91:                               ;   in Loop: Header=BB339_14 Depth=1
	s_andn2_saveexec_b64 s[48:49], s[0:1]
; %bb.92:                               ;   in Loop: Header=BB339_14 Depth=1
	v_or_b32_e32 v58, 0x10000, v60
	v_cmp_eq_u32_sdwa s[0:1], v60, v21 src0_sel:WORD_0 src1_sel:DWORD
	s_nop 1
	v_cndmask_b32_e64 v58, v58, v60, s[0:1]
; %bb.93:                               ;   in Loop: Header=BB339_14 Depth=1
	s_or_b64 exec, exec, s[48:49]
	v_lshrrev_b16_e32 v59, 8, v59
	v_cvt_f32_fp8_sdwa v59, v59 src0_sel:BYTE_0
	s_nop 0
	v_mul_f32_e32 v60, s61, v59
	v_and_b32_e32 v59, 0x7f800000, v60
	v_cmp_ne_u32_e64 s[0:1], s59, v59
                                        ; implicit-def: $vgpr59
	s_and_saveexec_b64 s[48:49], s[0:1]
	s_xor_b64 s[0:1], exec, s[48:49]
; %bb.94:                               ;   in Loop: Header=BB339_14 Depth=1
	v_bfe_u32 v59, v60, 16, 1
	v_add3_u32 v59, v60, v59, s60
                                        ; implicit-def: $vgpr60
; %bb.95:                               ;   in Loop: Header=BB339_14 Depth=1
	s_andn2_saveexec_b64 s[48:49], s[0:1]
; %bb.96:                               ;   in Loop: Header=BB339_14 Depth=1
	v_or_b32_e32 v59, 0x10000, v60
	v_cmp_eq_u32_sdwa s[0:1], v60, v21 src0_sel:WORD_0 src1_sel:DWORD
	s_nop 1
	v_cndmask_b32_e64 v59, v59, v60, s[0:1]
; %bb.97:                               ;   in Loop: Header=BB339_14 Depth=1
	s_or_b64 exec, exec, s[48:49]
	global_load_ushort v61, v[26:27], off offset:1280
	s_waitcnt vmcnt(0)
	v_and_b32_sdwa v60, s58, v61 dst_sel:DWORD dst_unused:UNUSED_PAD src0_sel:DWORD src1_sel:BYTE_0
	v_cvt_f32_fp8_sdwa v60, v60 src0_sel:BYTE_0
	s_nop 0
	v_mul_f32_e32 v62, s61, v60
	v_and_b32_e32 v60, 0x7f800000, v62
	v_cmp_ne_u32_e64 s[0:1], s59, v60
                                        ; implicit-def: $vgpr60
	s_and_saveexec_b64 s[48:49], s[0:1]
	s_xor_b64 s[0:1], exec, s[48:49]
; %bb.98:                               ;   in Loop: Header=BB339_14 Depth=1
	v_bfe_u32 v60, v62, 16, 1
	v_add3_u32 v60, v62, v60, s60
                                        ; implicit-def: $vgpr62
; %bb.99:                               ;   in Loop: Header=BB339_14 Depth=1
	s_andn2_saveexec_b64 s[48:49], s[0:1]
; %bb.100:                              ;   in Loop: Header=BB339_14 Depth=1
	v_or_b32_e32 v60, 0x10000, v62
	v_cmp_eq_u32_sdwa s[0:1], v62, v21 src0_sel:WORD_0 src1_sel:DWORD
	s_nop 1
	v_cndmask_b32_e64 v60, v60, v62, s[0:1]
; %bb.101:                              ;   in Loop: Header=BB339_14 Depth=1
	s_or_b64 exec, exec, s[48:49]
	v_lshrrev_b16_e32 v61, 8, v61
	v_cvt_f32_fp8_sdwa v61, v61 src0_sel:BYTE_0
	s_nop 0
	v_mul_f32_e32 v62, s61, v61
	v_and_b32_e32 v61, 0x7f800000, v62
	v_cmp_ne_u32_e64 s[0:1], s59, v61
                                        ; implicit-def: $vgpr61
	s_and_saveexec_b64 s[48:49], s[0:1]
	s_xor_b64 s[0:1], exec, s[48:49]
; %bb.102:                              ;   in Loop: Header=BB339_14 Depth=1
	v_bfe_u32 v61, v62, 16, 1
	v_add3_u32 v61, v62, v61, s60
                                        ; implicit-def: $vgpr62
; %bb.103:                              ;   in Loop: Header=BB339_14 Depth=1
	s_andn2_saveexec_b64 s[48:49], s[0:1]
; %bb.104:                              ;   in Loop: Header=BB339_14 Depth=1
	v_or_b32_e32 v61, 0x10000, v62
	v_cmp_eq_u32_sdwa s[0:1], v62, v21 src0_sel:WORD_0 src1_sel:DWORD
	s_nop 1
	v_cndmask_b32_e64 v61, v61, v62, s[0:1]
; %bb.105:                              ;   in Loop: Header=BB339_14 Depth=1
	s_or_b64 exec, exec, s[48:49]
	global_load_ushort v63, v[26:27], off offset:1288
	s_waitcnt vmcnt(0)
	v_and_b32_sdwa v62, s58, v63 dst_sel:DWORD dst_unused:UNUSED_PAD src0_sel:DWORD src1_sel:BYTE_0
	v_cvt_f32_fp8_sdwa v62, v62 src0_sel:BYTE_0
	s_nop 0
	v_mul_f32_e32 v64, s61, v62
	v_and_b32_e32 v62, 0x7f800000, v64
	v_cmp_ne_u32_e64 s[0:1], s59, v62
                                        ; implicit-def: $vgpr62
	s_and_saveexec_b64 s[48:49], s[0:1]
	s_xor_b64 s[0:1], exec, s[48:49]
; %bb.106:                              ;   in Loop: Header=BB339_14 Depth=1
	v_bfe_u32 v62, v64, 16, 1
	v_add3_u32 v62, v64, v62, s60
                                        ; implicit-def: $vgpr64
; %bb.107:                              ;   in Loop: Header=BB339_14 Depth=1
	s_andn2_saveexec_b64 s[48:49], s[0:1]
; %bb.108:                              ;   in Loop: Header=BB339_14 Depth=1
	v_or_b32_e32 v62, 0x10000, v64
	v_cmp_eq_u32_sdwa s[0:1], v64, v21 src0_sel:WORD_0 src1_sel:DWORD
	s_nop 1
	v_cndmask_b32_e64 v62, v62, v64, s[0:1]
; %bb.109:                              ;   in Loop: Header=BB339_14 Depth=1
	s_or_b64 exec, exec, s[48:49]
	v_lshrrev_b16_e32 v63, 8, v63
	v_cvt_f32_fp8_sdwa v63, v63 src0_sel:BYTE_0
	s_nop 0
	v_mul_f32_e32 v64, s61, v63
	v_and_b32_e32 v63, 0x7f800000, v64
	v_cmp_ne_u32_e64 s[0:1], s59, v63
                                        ; implicit-def: $vgpr63
	s_and_saveexec_b64 s[48:49], s[0:1]
	s_xor_b64 s[0:1], exec, s[48:49]
; %bb.110:                              ;   in Loop: Header=BB339_14 Depth=1
	v_bfe_u32 v63, v64, 16, 1
	v_add3_u32 v63, v64, v63, s60
                                        ; implicit-def: $vgpr64
; %bb.111:                              ;   in Loop: Header=BB339_14 Depth=1
	s_andn2_saveexec_b64 s[48:49], s[0:1]
; %bb.112:                              ;   in Loop: Header=BB339_14 Depth=1
	v_or_b32_e32 v63, 0x10000, v64
	v_cmp_eq_u32_sdwa s[0:1], v64, v21 src0_sel:WORD_0 src1_sel:DWORD
	s_nop 1
	v_cndmask_b32_e64 v63, v63, v64, s[0:1]
; %bb.113:                              ;   in Loop: Header=BB339_14 Depth=1
	s_or_b64 exec, exec, s[48:49]
	global_load_ushort v65, v[26:27], off offset:1536
	s_waitcnt vmcnt(0)
	v_and_b32_sdwa v64, s58, v65 dst_sel:DWORD dst_unused:UNUSED_PAD src0_sel:DWORD src1_sel:BYTE_0
	v_cvt_f32_fp8_sdwa v64, v64 src0_sel:BYTE_0
	s_nop 0
	v_mul_f32_e32 v66, s61, v64
	v_and_b32_e32 v64, 0x7f800000, v66
	v_cmp_ne_u32_e64 s[0:1], s59, v64
                                        ; implicit-def: $vgpr64
	s_and_saveexec_b64 s[48:49], s[0:1]
	s_xor_b64 s[0:1], exec, s[48:49]
; %bb.114:                              ;   in Loop: Header=BB339_14 Depth=1
	v_bfe_u32 v64, v66, 16, 1
	v_add3_u32 v64, v66, v64, s60
                                        ; implicit-def: $vgpr66
; %bb.115:                              ;   in Loop: Header=BB339_14 Depth=1
	s_andn2_saveexec_b64 s[48:49], s[0:1]
; %bb.116:                              ;   in Loop: Header=BB339_14 Depth=1
	v_or_b32_e32 v64, 0x10000, v66
	v_cmp_eq_u32_sdwa s[0:1], v66, v21 src0_sel:WORD_0 src1_sel:DWORD
	s_nop 1
	v_cndmask_b32_e64 v64, v64, v66, s[0:1]
; %bb.117:                              ;   in Loop: Header=BB339_14 Depth=1
	s_or_b64 exec, exec, s[48:49]
	v_lshrrev_b16_e32 v65, 8, v65
	v_cvt_f32_fp8_sdwa v65, v65 src0_sel:BYTE_0
	s_nop 0
	v_mul_f32_e32 v66, s61, v65
	v_and_b32_e32 v65, 0x7f800000, v66
	v_cmp_ne_u32_e64 s[0:1], s59, v65
                                        ; implicit-def: $vgpr65
	s_and_saveexec_b64 s[48:49], s[0:1]
	s_xor_b64 s[0:1], exec, s[48:49]
; %bb.118:                              ;   in Loop: Header=BB339_14 Depth=1
	v_bfe_u32 v65, v66, 16, 1
	v_add3_u32 v65, v66, v65, s60
                                        ; implicit-def: $vgpr66
; %bb.119:                              ;   in Loop: Header=BB339_14 Depth=1
	s_andn2_saveexec_b64 s[48:49], s[0:1]
; %bb.120:                              ;   in Loop: Header=BB339_14 Depth=1
	v_or_b32_e32 v65, 0x10000, v66
	v_cmp_eq_u32_sdwa s[0:1], v66, v21 src0_sel:WORD_0 src1_sel:DWORD
	s_nop 1
	v_cndmask_b32_e64 v65, v65, v66, s[0:1]
; %bb.121:                              ;   in Loop: Header=BB339_14 Depth=1
	s_or_b64 exec, exec, s[48:49]
	global_load_ushort v67, v[26:27], off offset:1544
	s_waitcnt vmcnt(0)
	v_and_b32_sdwa v66, s58, v67 dst_sel:DWORD dst_unused:UNUSED_PAD src0_sel:DWORD src1_sel:BYTE_0
	v_cvt_f32_fp8_sdwa v66, v66 src0_sel:BYTE_0
	s_nop 0
	v_mul_f32_e32 v68, s61, v66
	v_and_b32_e32 v66, 0x7f800000, v68
	v_cmp_ne_u32_e64 s[0:1], s59, v66
                                        ; implicit-def: $vgpr66
	s_and_saveexec_b64 s[48:49], s[0:1]
	s_xor_b64 s[0:1], exec, s[48:49]
; %bb.122:                              ;   in Loop: Header=BB339_14 Depth=1
	v_bfe_u32 v66, v68, 16, 1
	v_add3_u32 v66, v68, v66, s60
                                        ; implicit-def: $vgpr68
; %bb.123:                              ;   in Loop: Header=BB339_14 Depth=1
	s_andn2_saveexec_b64 s[48:49], s[0:1]
; %bb.124:                              ;   in Loop: Header=BB339_14 Depth=1
	v_or_b32_e32 v66, 0x10000, v68
	v_cmp_eq_u32_sdwa s[0:1], v68, v21 src0_sel:WORD_0 src1_sel:DWORD
	s_nop 1
	v_cndmask_b32_e64 v66, v66, v68, s[0:1]
; %bb.125:                              ;   in Loop: Header=BB339_14 Depth=1
	s_or_b64 exec, exec, s[48:49]
	v_lshrrev_b16_e32 v67, 8, v67
	v_cvt_f32_fp8_sdwa v67, v67 src0_sel:BYTE_0
	s_nop 0
	v_mul_f32_e32 v68, s61, v67
	v_and_b32_e32 v67, 0x7f800000, v68
	v_cmp_ne_u32_e64 s[0:1], s59, v67
                                        ; implicit-def: $vgpr67
	s_and_saveexec_b64 s[48:49], s[0:1]
	s_xor_b64 s[0:1], exec, s[48:49]
; %bb.126:                              ;   in Loop: Header=BB339_14 Depth=1
	v_bfe_u32 v67, v68, 16, 1
	v_add3_u32 v67, v68, v67, s60
                                        ; implicit-def: $vgpr68
; %bb.127:                              ;   in Loop: Header=BB339_14 Depth=1
	s_andn2_saveexec_b64 s[48:49], s[0:1]
; %bb.128:                              ;   in Loop: Header=BB339_14 Depth=1
	v_or_b32_e32 v67, 0x10000, v68
	v_cmp_eq_u32_sdwa s[0:1], v68, v21 src0_sel:WORD_0 src1_sel:DWORD
	s_nop 1
	v_cndmask_b32_e64 v67, v67, v68, s[0:1]
; %bb.129:                              ;   in Loop: Header=BB339_14 Depth=1
	s_or_b64 exec, exec, s[48:49]
	global_load_ushort v69, v[26:27], off offset:1792
	s_waitcnt vmcnt(0)
	v_and_b32_sdwa v68, s58, v69 dst_sel:DWORD dst_unused:UNUSED_PAD src0_sel:DWORD src1_sel:BYTE_0
	v_cvt_f32_fp8_sdwa v68, v68 src0_sel:BYTE_0
	s_nop 0
	v_mul_f32_e32 v70, s61, v68
	v_and_b32_e32 v68, 0x7f800000, v70
	v_cmp_ne_u32_e64 s[0:1], s59, v68
                                        ; implicit-def: $vgpr68
	s_and_saveexec_b64 s[48:49], s[0:1]
	s_xor_b64 s[0:1], exec, s[48:49]
; %bb.130:                              ;   in Loop: Header=BB339_14 Depth=1
	v_bfe_u32 v68, v70, 16, 1
	v_add3_u32 v68, v70, v68, s60
                                        ; implicit-def: $vgpr70
; %bb.131:                              ;   in Loop: Header=BB339_14 Depth=1
	s_andn2_saveexec_b64 s[48:49], s[0:1]
; %bb.132:                              ;   in Loop: Header=BB339_14 Depth=1
	v_or_b32_e32 v68, 0x10000, v70
	v_cmp_eq_u32_sdwa s[0:1], v70, v21 src0_sel:WORD_0 src1_sel:DWORD
	s_nop 1
	v_cndmask_b32_e64 v68, v68, v70, s[0:1]
; %bb.133:                              ;   in Loop: Header=BB339_14 Depth=1
	s_or_b64 exec, exec, s[48:49]
	v_lshrrev_b16_e32 v69, 8, v69
	v_cvt_f32_fp8_sdwa v69, v69 src0_sel:BYTE_0
	s_nop 0
	v_mul_f32_e32 v70, s61, v69
	v_and_b32_e32 v69, 0x7f800000, v70
	v_cmp_ne_u32_e64 s[0:1], s59, v69
                                        ; implicit-def: $vgpr69
	s_and_saveexec_b64 s[48:49], s[0:1]
	s_xor_b64 s[0:1], exec, s[48:49]
; %bb.134:                              ;   in Loop: Header=BB339_14 Depth=1
	v_bfe_u32 v69, v70, 16, 1
	v_add3_u32 v69, v70, v69, s60
                                        ; implicit-def: $vgpr70
; %bb.135:                              ;   in Loop: Header=BB339_14 Depth=1
	s_andn2_saveexec_b64 s[48:49], s[0:1]
; %bb.136:                              ;   in Loop: Header=BB339_14 Depth=1
	v_or_b32_e32 v69, 0x10000, v70
	v_cmp_eq_u32_sdwa s[0:1], v70, v21 src0_sel:WORD_0 src1_sel:DWORD
	s_nop 1
	v_cndmask_b32_e64 v69, v69, v70, s[0:1]
; %bb.137:                              ;   in Loop: Header=BB339_14 Depth=1
	s_or_b64 exec, exec, s[48:49]
	global_load_ushort v26, v[26:27], off offset:1800
	s_waitcnt vmcnt(0)
	v_and_b32_sdwa v27, s58, v26 dst_sel:DWORD dst_unused:UNUSED_PAD src0_sel:DWORD src1_sel:BYTE_0
	v_cvt_f32_fp8_sdwa v27, v27 src0_sel:BYTE_0
	s_nop 0
	v_mul_f32_e32 v70, s61, v27
	v_and_b32_e32 v27, 0x7f800000, v70
	v_cmp_ne_u32_e64 s[0:1], s59, v27
                                        ; implicit-def: $vgpr27
	s_and_saveexec_b64 s[48:49], s[0:1]
	s_xor_b64 s[0:1], exec, s[48:49]
; %bb.138:                              ;   in Loop: Header=BB339_14 Depth=1
	v_bfe_u32 v27, v70, 16, 1
	v_add3_u32 v27, v70, v27, s60
                                        ; implicit-def: $vgpr70
; %bb.139:                              ;   in Loop: Header=BB339_14 Depth=1
	s_andn2_saveexec_b64 s[48:49], s[0:1]
; %bb.140:                              ;   in Loop: Header=BB339_14 Depth=1
	v_or_b32_e32 v27, 0x10000, v70
	v_cmp_eq_u32_sdwa s[0:1], v70, v21 src0_sel:WORD_0 src1_sel:DWORD
	s_nop 1
	v_cndmask_b32_e64 v27, v27, v70, s[0:1]
; %bb.141:                              ;   in Loop: Header=BB339_14 Depth=1
	s_or_b64 exec, exec, s[48:49]
	v_lshrrev_b16_e32 v26, 8, v26
	v_cvt_f32_fp8_sdwa v26, v26 src0_sel:BYTE_0
	s_nop 0
	v_mul_f32_e32 v70, s61, v26
	v_and_b32_e32 v26, 0x7f800000, v70
	v_cmp_ne_u32_e64 s[0:1], s59, v26
                                        ; implicit-def: $vgpr26
	s_and_saveexec_b64 s[48:49], s[0:1]
	s_xor_b64 s[0:1], exec, s[48:49]
; %bb.142:                              ;   in Loop: Header=BB339_14 Depth=1
	v_bfe_u32 v26, v70, 16, 1
	v_add3_u32 v26, v70, v26, s60
                                        ; implicit-def: $vgpr70
; %bb.143:                              ;   in Loop: Header=BB339_14 Depth=1
	s_andn2_saveexec_b64 s[48:49], s[0:1]
; %bb.144:                              ;   in Loop: Header=BB339_14 Depth=1
	v_or_b32_e32 v26, 0x10000, v70
	v_cmp_eq_u32_sdwa s[0:1], v70, v21 src0_sel:WORD_0 src1_sel:DWORD
	s_nop 1
	v_cndmask_b32_e64 v26, v26, v70, s[0:1]
; %bb.145:                              ;   in Loop: Header=BB339_14 Depth=1
	s_or_b64 exec, exec, s[48:49]
	v_and_b32_e32 v43, 0xffff0000, v43
	v_and_b32_e32 v42, 0xffff0000, v42
	v_lshlrev_b32_e32 v71, 16, v15
	v_and_b32_e32 v15, 0xffff0000, v15
	v_and_b32_e32 v41, 0xffff0000, v41
	;; [unrolled: 1-line block ×3, first 2 shown]
	v_lshlrev_b32_e32 v70, 16, v14
	v_and_b32_e32 v14, 0xffff0000, v14
	v_mul_f32_e32 v42, v71, v42
	v_mul_f32_e32 v15, v15, v43
	v_and_b32_e32 v45, 0xffff0000, v45
	v_and_b32_e32 v44, 0xffff0000, v44
	v_lshlrev_b32_e32 v72, 16, v16
	v_and_b32_e32 v16, 0xffff0000, v16
	v_fmac_f32_e32 v42, v70, v40
	v_fmac_f32_e32 v15, v14, v41
	v_and_b32_e32 v47, 0xffff0000, v47
	v_and_b32_e32 v46, 0xffff0000, v46
	v_lshlrev_b32_e32 v73, 16, v17
	v_and_b32_e32 v17, 0xffff0000, v17
	v_fmac_f32_e32 v42, v72, v44
	v_fmac_f32_e32 v15, v16, v45
	;; [unrolled: 6-line block ×11, first 2 shown]
	v_and_b32_e32 v67, 0xffff0000, v67
	v_and_b32_e32 v66, 0xffff0000, v66
	v_lshlrev_b32_e32 v83, 16, v3
	v_and_b32_e32 v3, 0xffff0000, v3
	v_and_b32_e32 v86, 64, v38
	v_fmac_f32_e32 v42, v82, v64
	v_fmac_f32_e32 v15, v2, v65
	v_and_b32_e32 v69, 0xffff0000, v69
	v_and_b32_e32 v68, 0xffff0000, v68
	v_lshlrev_b32_e32 v84, 16, v4
	v_and_b32_e32 v4, 0xffff0000, v4
	v_add_u32_e32 v86, 64, v86
	v_xor_b32_e32 v87, 2, v38
	v_fmac_f32_e32 v42, v83, v66
	v_fmac_f32_e32 v15, v3, v67
	v_and_b32_e32 v27, 0xffff0000, v27
	v_lshlrev_b32_e32 v85, 16, v5
	v_and_b32_e32 v5, 0xffff0000, v5
	v_cmp_lt_i32_e64 s[0:1], v87, v86
	v_and_b32_e32 v26, 0xffff0000, v26
	v_fmac_f32_e32 v42, v84, v68
	v_fmac_f32_e32 v15, v4, v69
	v_cndmask_b32_e64 v87, v38, v87, s[0:1]
	v_fmac_f32_e32 v42, v85, v27
	v_fmac_f32_e32 v15, v5, v26
	v_lshlrev_b32_e32 v87, 2, v87
	v_add_f32_e32 v2, v42, v15
	ds_bpermute_b32 v3, v87, v2
	v_xor_b32_e32 v4, 1, v38
	v_cmp_lt_i32_e64 s[0:1], v4, v86
	s_waitcnt lgkmcnt(0)
	v_add_f32_e32 v2, v2, v3
	v_cndmask_b32_e64 v4, v38, v4, s[0:1]
	v_lshlrev_b32_e32 v4, 2, v4
	ds_bpermute_b32 v3, v4, v2
	s_and_saveexec_b64 s[48:49], vcc
	s_cbranch_execz .LBB339_12
; %bb.146:                              ;   in Loop: Header=BB339_14 Depth=1
	v_add_u32_e32 v4, v36, v34
	v_cvt_f32_i32_e32 v4, v4
	s_waitcnt lgkmcnt(0)
	v_add_f32_e32 v2, v2, v3
	v_add_u32_e32 v5, v30, v34
	v_cmp_gt_i32_e64 s[0:1], s33, v5
	v_mul_f32_e32 v3, s53, v4
	v_cndmask_b32_e64 v3, 0, v3, s[8:9]
	v_fmac_f32_e32 v3, s45, v2
	v_cndmask_b32_e64 v2, 0, v3, s[0:1]
	ds_write_b32 v35, v2
	v_max_f32_e32 v2, v32, v32
	v_max_f32_e32 v2, v2, v3
	v_cndmask_b32_e64 v32, v32, v2, s[0:1]
	s_branch .LBB339_12
.LBB339_147:
	s_or_b64 exec, exec, s[46:47]
.LBB339_148:
	s_or_b64 exec, exec, s[22:23]
	v_mbcnt_hi_u32_b32 v2, -1, v29
	s_waitcnt lgkmcnt(0)
	v_and_b32_e32 v3, 64, v2
	v_add_u32_e32 v3, 64, v3
	v_xor_b32_e32 v4, 32, v2
	v_cmp_lt_i32_e32 vcc, v4, v3
	v_xor_b32_e32 v7, 16, v2
	v_max_f32_e32 v6, v32, v32
	v_cndmask_b32_e32 v4, v2, v4, vcc
	v_lshlrev_b32_e32 v5, 2, v4
	ds_bpermute_b32 v4, v5, v32
	v_cmp_lt_i32_e32 vcc, v7, v3
	v_xor_b32_e32 v8, 8, v2
	v_and_b32_e32 v22, 63, v0
	s_waitcnt lgkmcnt(0)
	v_max_f32_e32 v4, v4, v4
	v_max_f32_e32 v4, v6, v4
	v_cndmask_b32_e32 v6, v2, v7, vcc
	v_lshlrev_b32_e32 v6, 2, v6
	ds_bpermute_b32 v7, v6, v4
	v_cmp_lt_i32_e32 vcc, v8, v3
	s_waitcnt lgkmcnt(0)
	v_max_f32_e32 v7, v7, v7
	v_max_f32_e32 v4, v4, v7
	v_cndmask_b32_e32 v7, v2, v8, vcc
	v_lshlrev_b32_e32 v9, 2, v7
	ds_bpermute_b32 v7, v9, v4
	v_xor_b32_e32 v8, 4, v2
	v_cmp_lt_i32_e32 vcc, v8, v3
	s_waitcnt lgkmcnt(0)
	v_max_f32_e32 v7, v7, v7
	v_max_f32_e32 v4, v4, v7
	v_cndmask_b32_e32 v7, v2, v8, vcc
	v_lshlrev_b32_e32 v10, 2, v7
	ds_bpermute_b32 v8, v10, v4
	v_cmp_eq_u32_e32 vcc, 0, v22
	v_lshlrev_b32_e32 v7, 2, v28
	s_and_saveexec_b64 s[0:1], vcc
	s_cbranch_execz .LBB339_150
; %bb.149:
	s_waitcnt lgkmcnt(0)
	v_max_f32_e32 v8, v8, v8
	v_max_f32_e32 v4, v4, v4
	;; [unrolled: 1-line block ×3, first 2 shown]
	ds_write_b32 v7, v4 offset:256
.LBB339_150:
	s_or_b64 exec, exec, s[0:1]
	v_cmp_gt_u32_e64 s[0:1], 2, v22
	v_mov_b32_e32 v4, 0xff7fffff
	s_waitcnt lgkmcnt(0)
	v_lshlrev_b32_e32 v8, 2, v22
	s_barrier
	s_and_saveexec_b64 s[8:9], s[0:1]
	s_cbranch_execz .LBB339_152
; %bb.151:
	ds_read_b32 v4, v8 offset:256
.LBB339_152:
	s_or_b64 exec, exec, s[8:9]
	v_xor_b32_e32 v11, 1, v2
	v_cmp_lt_i32_e64 s[8:9], v11, v3
	v_mov_b32_e32 v12, 0
	s_nop 0
	v_cndmask_b32_e64 v11, v2, v11, s[8:9]
	v_lshlrev_b32_e32 v23, 2, v11
	s_waitcnt lgkmcnt(0)
	ds_bpermute_b32 v11, v23, v4
	v_max_f32_e32 v4, v4, v4
	s_sub_i32 s8, s24, s54
	s_lshl_b32 s8, s8, 4
	s_add_i32 s8, s8, s5
	s_waitcnt lgkmcnt(0)
	v_max_f32_e32 v11, v11, v11
	v_max_f32_e32 v4, v4, v11
	v_lshlrev_b32_e32 v11, 2, v2
	v_and_b32_e32 v11, 0x100, v11
	ds_bpermute_b32 v4, v11, v4
	s_min_i32 s46, s8, s33
	s_sub_i32 s45, s46, s5
	v_cmp_gt_i32_e64 s[8:9], s45, v0
	s_and_saveexec_b64 s[16:17], s[8:9]
	s_cbranch_execz .LBB339_156
; %bb.153:
	v_mov_b32_e32 v12, 0x110
	v_lshl_add_u32 v13, v0, 2, v12
	s_mov_b64 s[22:23], 0
	v_mov_b32_e32 v12, 0
	v_mov_b32_e32 v14, v0
.LBB339_154:                            ; =>This Inner Loop Header: Depth=1
	ds_read_b32 v15, v13
	v_add_u32_e32 v14, 0x80, v14
	v_cmp_le_i32_e64 s[12:13], s45, v14
	s_or_b64 s[22:23], s[12:13], s[22:23]
	s_waitcnt lgkmcnt(0)
	v_sub_f32_e32 v15, v15, v4
	v_mul_f32_e32 v15, 0x3fb8aa3b, v15
	v_exp_f32_e32 v15, v15
	ds_write_b32 v13, v15
	v_add_f32_e32 v12, v12, v15
	v_add_u32_e32 v13, 0x200, v13
	s_andn2_b64 exec, exec, s[22:23]
	s_cbranch_execnz .LBB339_154
; %bb.155:
	s_or_b64 exec, exec, s[22:23]
.LBB339_156:
	s_or_b64 exec, exec, s[16:17]
	ds_bpermute_b32 v5, v5, v12
	s_waitcnt lgkmcnt(0)
	v_add_f32_e32 v5, v12, v5
	ds_bpermute_b32 v6, v6, v5
	s_waitcnt lgkmcnt(0)
	v_add_f32_e32 v5, v5, v6
	ds_bpermute_b32 v6, v9, v5
	v_xor_b32_e32 v9, 2, v2
	v_cmp_lt_i32_e64 s[12:13], v9, v3
	s_waitcnt lgkmcnt(0)
	v_add_f32_e32 v5, v5, v6
	ds_bpermute_b32 v6, v10, v5
	v_cndmask_b32_e64 v2, v2, v9, s[12:13]
	v_lshlrev_b32_e32 v2, 2, v2
	s_waitcnt lgkmcnt(0)
	v_add_f32_e32 v3, v5, v6
	ds_bpermute_b32 v2, v2, v3
	s_waitcnt lgkmcnt(0)
	v_add_f32_e32 v2, v3, v2
	ds_bpermute_b32 v3, v23, v2
	s_waitcnt lgkmcnt(0)
	v_add_f32_e32 v2, v2, v3
	s_and_saveexec_b64 s[12:13], vcc
	s_cbranch_execz .LBB339_158
; %bb.157:
	ds_write_b32 v7, v2 offset:264
.LBB339_158:
	s_or_b64 exec, exec, s[12:13]
	s_waitcnt lgkmcnt(0)
	s_barrier
	s_and_saveexec_b64 s[12:13], s[0:1]
	s_cbranch_execz .LBB339_160
; %bb.159:
	ds_read_b32 v2, v8 offset:264
.LBB339_160:
	s_or_b64 exec, exec, s[12:13]
	s_waitcnt lgkmcnt(0)
	ds_bpermute_b32 v3, v23, v2
	s_waitcnt lgkmcnt(0)
	v_add_f32_e32 v2, v2, v3
	ds_bpermute_b32 v5, v11, v2
	s_and_saveexec_b64 s[0:1], s[8:9]
	s_cbranch_execz .LBB339_173
; %bb.161:
	s_waitcnt lgkmcnt(0)
	v_add_f32_e32 v2, 0x358637bd, v5
	v_div_scale_f32 v3, s[8:9], v2, v2, 1.0
	v_rcp_f32_e32 v6, v3
	v_div_scale_f32 v7, vcc, 1.0, v2, 1.0
	s_mov_b64 s[12:13], -1
	v_fma_f32 v8, -v3, v6, 1.0
	v_fmac_f32_e32 v6, v8, v6
	v_mul_f32_e32 v8, v7, v6
	v_fma_f32 v9, -v3, v8, v7
	v_fmac_f32_e32 v8, v9, v6
	v_fma_f32 v3, -v3, v8, v7
	v_div_fmas_f32 v3, v3, v6, v8
	v_div_fixup_f32 v2, v3, v2, 1.0
	v_xad_u32 v3, v0, -1, s46
	v_subrev_u32_e32 v6, s5, v3
	s_movk_i32 s5, 0x7f
	v_cmp_lt_u32_e32 vcc, s5, v6
	v_mov_b32_e32 v3, v0
	s_and_saveexec_b64 s[8:9], vcc
	s_cbranch_execz .LBB339_170
; %bb.162:
	v_lshrrev_b32_e32 v6, 7, v6
	v_add_u32_e32 v8, -1, v6
	v_lshrrev_b32_e32 v7, 1, v8
	v_mov_b32_e32 v3, v2
	v_add_u32_e32 v7, 1, v7
	v_cmp_lt_u32_e32 vcc, 13, v8
	v_mov_b32_e32 v10, 0
	s_and_saveexec_b64 s[12:13], vcc
	s_cbranch_execz .LBB339_166
; %bb.163:
	v_mov_b32_e32 v9, 0x110
	v_and_b32_e32 v8, -8, v7
	v_lshl_add_u32 v9, v0, 2, v9
	s_mov_b32 s5, 0
	s_mov_b64 s[16:17], 0
.LBB339_164:                            ; =>This Inner Loop Header: Depth=1
	ds_read2st64_b32 v[10:11], v9 offset1:2
	ds_read2st64_b32 v[12:13], v9 offset0:4 offset1:6
	ds_read2st64_b32 v[14:15], v9 offset0:8 offset1:10
	ds_read2st64_b32 v[16:17], v9 offset0:12 offset1:14
	v_add_u32_e32 v8, -8, v8
	s_waitcnt lgkmcnt(3)
	v_pk_mul_f32 v[10:11], v[2:3], v[10:11]
	s_waitcnt lgkmcnt(2)
	v_pk_mul_f32 v[12:13], v[2:3], v[12:13]
	ds_write2st64_b32 v9, v10, v11 offset1:2
	ds_write2st64_b32 v9, v12, v13 offset0:4 offset1:6
	ds_read2st64_b32 v[12:13], v9 offset0:16 offset1:18
	s_waitcnt lgkmcnt(4)
	v_pk_mul_f32 v[10:11], v[2:3], v[14:15]
	ds_write2st64_b32 v9, v10, v11 offset0:8 offset1:10
	s_waitcnt lgkmcnt(4)
	v_pk_mul_f32 v[10:11], v[2:3], v[16:17]
	ds_write2st64_b32 v9, v10, v11 offset0:12 offset1:14
	ds_read2st64_b32 v[10:11], v9 offset0:20 offset1:22
	s_waitcnt lgkmcnt(3)
	v_pk_mul_f32 v[12:13], v[2:3], v[12:13]
	ds_read2st64_b32 v[14:15], v9 offset0:24 offset1:26
	ds_write2st64_b32 v9, v12, v13 offset0:16 offset1:18
	ds_read2st64_b32 v[12:13], v9 offset0:28 offset1:30
	s_waitcnt lgkmcnt(3)
	v_pk_mul_f32 v[10:11], v[2:3], v[10:11]
	ds_write2st64_b32 v9, v10, v11 offset0:20 offset1:22
	s_waitcnt lgkmcnt(3)
	v_pk_mul_f32 v[10:11], v[2:3], v[14:15]
	ds_write2st64_b32 v9, v10, v11 offset0:24 offset1:26
	s_waitcnt lgkmcnt(2)
	v_pk_mul_f32 v[10:11], v[2:3], v[12:13]
	s_add_i32 s5, s5, 16
	v_cmp_eq_u32_e32 vcc, 0, v8
	ds_write2st64_b32 v9, v10, v11 offset0:28 offset1:30
	v_add_u32_e32 v9, 0x2000, v9
	s_or_b64 s[16:17], vcc, s[16:17]
	v_mov_b32_e32 v10, s5
	s_andn2_b64 exec, exec, s[16:17]
	s_cbranch_execnz .LBB339_164
; %bb.165:
	s_or_b64 exec, exec, s[16:17]
.LBB339_166:
	s_or_b64 exec, exec, s[12:13]
	v_and_b32_e32 v7, 7, v7
	v_cmp_ne_u32_e32 vcc, 0, v7
	s_and_saveexec_b64 s[12:13], vcc
	s_cbranch_execz .LBB339_169
; %bb.167:
	v_lshlrev_b32_e32 v8, 9, v10
	v_lshlrev_b32_e32 v9, 2, v0
	s_movk_i32 s5, 0x110
	v_add3_u32 v8, v8, v9, s5
	s_mov_b64 s[16:17], 0
.LBB339_168:                            ; =>This Inner Loop Header: Depth=1
	ds_read2st64_b32 v[10:11], v8 offset1:2
	v_add_u32_e32 v7, -1, v7
	v_cmp_eq_u32_e32 vcc, 0, v7
	s_or_b64 s[16:17], vcc, s[16:17]
	s_waitcnt lgkmcnt(0)
	v_pk_mul_f32 v[10:11], v[2:3], v[10:11]
	ds_write2st64_b32 v8, v10, v11 offset1:2
	v_add_u32_e32 v8, 0x400, v8
	s_andn2_b64 exec, exec, s[16:17]
	s_cbranch_execnz .LBB339_168
.LBB339_169:
	s_or_b64 exec, exec, s[12:13]
	v_add_u32_e32 v6, 1, v6
	v_and_b32_e32 v7, 0x3fffffe, v6
	v_cmp_ne_u32_e32 vcc, v6, v7
	v_lshl_add_u32 v3, v7, 7, v0
	s_orn2_b64 s[12:13], vcc, exec
.LBB339_170:
	s_or_b64 exec, exec, s[8:9]
	s_and_b64 exec, exec, s[12:13]
	s_cbranch_execz .LBB339_173
; %bb.171:
	v_mov_b32_e32 v6, 0x110
	v_lshl_add_u32 v6, v3, 2, v6
	s_mov_b64 s[8:9], 0
.LBB339_172:                            ; =>This Inner Loop Header: Depth=1
	ds_read_b32 v7, v6
	v_add_u32_e32 v3, 0x80, v3
	v_cmp_le_i32_e32 vcc, s45, v3
	s_or_b64 s[8:9], vcc, s[8:9]
	s_waitcnt lgkmcnt(0)
	v_mul_f32_e32 v7, v2, v7
	ds_write_b32 v6, v7
	v_add_u32_e32 v6, 0x200, v6
	s_andn2_b64 exec, exec, s[8:9]
	s_cbranch_execnz .LBB339_172
.LBB339_173:
	s_or_b64 exec, exec, s[0:1]
	v_cmp_eq_u32_e32 vcc, 0, v0
	s_waitcnt lgkmcnt(0)
	s_barrier
	s_and_saveexec_b64 s[0:1], vcc
	s_cbranch_execz .LBB339_175
; %bb.174:
	s_mul_i32 s5, s20, s14
	s_mul_i32 s8, s5, s15
	s_ashr_i32 s9, s8, 31
	s_lshl_b64 s[8:9], s[8:9], 2
	s_add_u32 s5, s30, s8
	s_mul_i32 s12, s20, s2
	s_addc_u32 s16, s31, s9
	s_ashr_i32 s13, s12, 31
	s_lshl_b64 s[12:13], s[12:13], 2
	s_add_u32 s2, s5, s12
	s_addc_u32 s23, s16, s13
	s_ashr_i32 s5, s4, 31
	s_lshl_b64 s[16:17], s[4:5], 2
	s_add_u32 s22, s2, s16
	s_addc_u32 s23, s23, s17
	s_add_u32 s2, s28, s8
	s_addc_u32 s5, s29, s9
	;; [unrolled: 2-line block ×3, first 2 shown]
	s_add_u32 s8, s2, s16
	v_mov_b32_e32 v2, 0
	s_addc_u32 s9, s5, s17
	global_store_dword v2, v4, s[22:23]
	global_store_dword v2, v5, s[8:9]
.LBB339_175:
	s_or_b64 exec, exec, s[0:1]
	s_mov_b32 s0, 0
	v_mov_b32_e32 v5, 0
	v_and_b32_e32 v24, 1, v0
	v_mov_b32_e32 v4, 0
	v_mov_b32_e32 v3, 0
	;; [unrolled: 1-line block ×3, first 2 shown]
	s_and_saveexec_b64 s[8:9], s[6:7]
	s_cbranch_execz .LBB339_477
; %bb.176:
	s_sub_i32 s5, s51, s25
	s_ashr_i32 s1, s52, 31
	s_add_u32 s6, s42, s52
	s_addc_u32 s7, s43, s1
	s_abs_i32 s16, s26
	v_cvt_f32_u32_e32 v2, s16
	v_lshlrev_b32_e32 v3, 3, v0
	s_sub_i32 s1, 0, s16
	s_mov_b32 s17, s21
	v_rcp_iflag_f32_e32 v2, v2
	v_and_b32_e32 v25, 8, v3
	v_and_b32_e32 v14, 0x1f8, v3
	s_add_i32 s21, s3, -1
	v_mul_f32_e32 v2, 0x4f7ffffe, v2
	v_cvt_u32_f32_e32 v2, v2
	s_lshl_b64 s[2:3], s[40:41], 2
	s_add_u32 s2, s38, s2
	s_addc_u32 s3, s39, s3
	v_mul_lo_u32 v3, s1, v2
	v_mul_hi_u32 v3, v2, v3
	v_add_u32_e32 v26, v2, v3
	v_lshlrev_b32_e32 v2, 5, v24
	v_mov_b32_e32 v15, 0
	v_lshl_add_u64 v[20:21], v[18:19], 2, s[2:3]
	v_lshl_or_b32 v2, v28, 6, v2
	s_mov_b32 s2, s0
	s_mov_b32 s3, s0
	v_lshl_add_u64 v[16:17], s[6:7], 0, v[14:15]
	v_add_u32_e32 v14, 0x110, v2
	s_mov_b32 s1, s0
	v_mov_b64_e32 v[4:5], s[2:3]
	s_mov_b64 s[6:7], 0
	v_mov_b64_e32 v[2:3], s[0:1]
	s_mov_b32 s22, 0x7f800000
	s_movk_i32 s23, 0x7fff
	s_branch .LBB339_179
.LBB339_177:                            ;   in Loop: Header=BB339_179 Depth=1
	s_or_b64 exec, exec, s[0:1]
	v_and_b32_e32 v41, 0xffff0000, v13
	v_and_b32_e32 v40, 0xffff0000, v11
	;; [unrolled: 1-line block ×8, first 2 shown]
	v_pk_add_f32 v[10:11], v[10:11], v[40:41]
	v_pk_add_f32 v[12:13], v[38:39], v[36:37]
	v_add_f32_e32 v10, v10, v11
	v_add_f32_e32 v10, v10, v12
	v_add_f32_e32 v10, v10, v13
	v_and_b32_e32 v37, 0xffff0000, v49
	v_and_b32_e32 v36, 0xffff0000, v47
	v_and_b32_e32 v39, 0xffff0000, v48
	v_and_b32_e32 v38, 0xffff0000, v46
	v_add_f32_e32 v2, v2, v10
	v_and_b32_e32 v11, 0xffff0000, v53
	v_and_b32_e32 v10, 0xffff0000, v51
	v_and_b32_e32 v13, 0xffff0000, v52
	v_and_b32_e32 v12, 0xffff0000, v50
	v_pk_add_f32 v[36:37], v[38:39], v[36:37]
	v_pk_add_f32 v[10:11], v[12:13], v[10:11]
	v_add_f32_e32 v12, v36, v37
	v_add_f32_e32 v10, v12, v10
	v_add_f32_e32 v10, v10, v11
	v_and_b32_e32 v37, 0xffff0000, v55
	v_and_b32_e32 v36, 0xffff0000, v9
	v_and_b32_e32 v9, 0xffff0000, v54
	v_and_b32_e32 v8, 0xffff0000, v8
	v_add_f32_e32 v3, v3, v10
	v_and_b32_e32 v11, 0xffff0000, v59
	v_and_b32_e32 v10, 0xffff0000, v57
	v_and_b32_e32 v13, 0xffff0000, v58
	v_and_b32_e32 v12, 0xffff0000, v56
	v_pk_add_f32 v[8:9], v[8:9], v[36:37]
	v_pk_add_f32 v[10:11], v[12:13], v[10:11]
	v_add_f32_e32 v8, v8, v9
	v_add_f32_e32 v8, v8, v10
	v_add_f32_e32 v8, v8, v11
	v_and_b32_e32 v13, 0xffff0000, v30
	v_and_b32_e32 v12, 0xffff0000, v7
	v_and_b32_e32 v7, 0xffff0000, v29
	v_and_b32_e32 v6, 0xffff0000, v6
	v_add_f32_e32 v4, v4, v8
	v_and_b32_e32 v9, 0xffff0000, v34
	v_and_b32_e32 v8, 0xffff0000, v32
	v_and_b32_e32 v11, 0xffff0000, v33
	v_and_b32_e32 v10, 0xffff0000, v31
	v_pk_add_f32 v[6:7], v[6:7], v[12:13]
	v_pk_add_f32 v[8:9], v[10:11], v[8:9]
	v_add_f32_e32 v6, v6, v7
	v_add_f32_e32 v6, v6, v8
	;; [unrolled: 1-line block ×4, first 2 shown]
.LBB339_178:                            ;   in Loop: Header=BB339_179 Depth=1
	s_or_b64 exec, exec, s[2:3]
	v_add_u32_e32 v18, 2, v18
	v_cmp_le_i32_e32 vcc, s24, v18
	v_lshl_add_u64 v[20:21], v[20:21], 0, 8
	v_add_u32_e32 v1, 32, v1
	s_or_b64 s[6:7], vcc, s[6:7]
	v_add_u32_e32 v14, 0x80, v14
	s_andn2_b64 exec, exec, s[6:7]
	s_cbranch_execz .LBB339_476
.LBB339_179:                            ; =>This Inner Loop Header: Depth=1
	v_sub_u32_e32 v7, 0, v1
	v_max_i32_e32 v7, v1, v7
	v_mul_hi_u32 v8, v7, s50
	v_mul_lo_u32 v9, v8, s35
	v_sub_u32_e32 v7, v7, v9
	v_add_u32_e32 v9, 1, v8
	v_cmp_le_u32_e32 vcc, s35, v7
	v_ashrrev_i32_e32 v6, 31, v1
	v_xor_b32_e32 v6, s27, v6
	v_cndmask_b32_e32 v8, v8, v9, vcc
	v_subrev_u32_e32 v9, s35, v7
	v_cndmask_b32_e32 v7, v7, v9, vcc
	v_add_u32_e32 v9, 1, v8
	v_cmp_le_u32_e32 vcc, s35, v7
	s_nop 1
	v_cndmask_b32_e32 v7, v8, v9, vcc
	v_xor_b32_e32 v7, v7, v6
	v_sub_u32_e32 v6, v7, v6
	v_add_u32_e32 v7, s44, v6
	v_sub_u32_e32 v9, 0, v7
	v_ashrrev_i32_e32 v8, 31, v7
	v_max_i32_e32 v7, v7, v9
	v_mul_hi_u32 v9, v7, v26
	v_mul_lo_u32 v9, v9, s16
	v_sub_u32_e32 v7, v7, v9
	v_subrev_u32_e32 v9, s16, v7
	v_cmp_le_u32_e32 vcc, s16, v7
	v_cmp_lt_i32_e64 s[0:1], s5, v6
	s_nop 0
	v_cndmask_b32_e32 v7, v7, v9, vcc
	v_subrev_u32_e32 v9, s16, v7
	v_cmp_le_u32_e32 vcc, s16, v7
	s_nop 1
	v_cndmask_b32_e32 v7, v7, v9, vcc
	v_xor_b32_e32 v7, v7, v8
	v_sub_u32_e32 v7, v7, v8
	v_cmp_eq_u32_e32 vcc, 0, v7
	s_or_b64 s[0:1], vcc, s[0:1]
	s_and_saveexec_b64 s[2:3], s[0:1]
	s_cbranch_execz .LBB339_178
; %bb.180:                              ;   in Loop: Header=BB339_179 Depth=1
	global_load_dword v29, v[20:21], off
	ds_read2_b64 v[10:13], v14 offset1:1
	ds_read2_b64 v[6:9], v14 offset0:2 offset1:3
                                        ; implicit-def: $vgpr38
	s_waitcnt lgkmcnt(1)
	v_and_b32_e32 v19, 0x7f800000, v10
	v_cmp_ne_u32_e32 vcc, s22, v19
	s_and_saveexec_b64 s[0:1], vcc
	s_xor_b64 s[0:1], exec, s[0:1]
; %bb.181:                              ;   in Loop: Header=BB339_179 Depth=1
	v_bfe_u32 v19, v10, 16, 1
	v_add3_u32 v38, v10, v19, s23
; %bb.182:                              ;   in Loop: Header=BB339_179 Depth=1
	s_andn2_saveexec_b64 s[0:1], s[0:1]
; %bb.183:                              ;   in Loop: Header=BB339_179 Depth=1
	v_or_b32_e32 v19, 0x10000, v10
	v_cmp_eq_u32_sdwa vcc, v10, v15 src0_sel:WORD_0 src1_sel:DWORD
	s_nop 1
	v_cndmask_b32_e32 v38, v19, v10, vcc
; %bb.184:                              ;   in Loop: Header=BB339_179 Depth=1
	s_or_b64 exec, exec, s[0:1]
	v_and_b32_e32 v10, 0x7f800000, v11
	v_cmp_ne_u32_e32 vcc, s22, v10
                                        ; implicit-def: $vgpr39
	s_and_saveexec_b64 s[0:1], vcc
	s_xor_b64 s[0:1], exec, s[0:1]
; %bb.185:                              ;   in Loop: Header=BB339_179 Depth=1
	v_bfe_u32 v10, v11, 16, 1
	v_add3_u32 v39, v11, v10, s23
; %bb.186:                              ;   in Loop: Header=BB339_179 Depth=1
	s_andn2_saveexec_b64 s[0:1], s[0:1]
; %bb.187:                              ;   in Loop: Header=BB339_179 Depth=1
	v_or_b32_e32 v10, 0x10000, v11
	v_cmp_eq_u32_sdwa vcc, v11, v15 src0_sel:WORD_0 src1_sel:DWORD
	s_nop 1
	v_cndmask_b32_e32 v39, v10, v11, vcc
; %bb.188:                              ;   in Loop: Header=BB339_179 Depth=1
	s_or_b64 exec, exec, s[0:1]
	v_and_b32_e32 v10, 0x7f800000, v12
	v_cmp_ne_u32_e32 vcc, s22, v10
                                        ; implicit-def: $vgpr40
	s_and_saveexec_b64 s[0:1], vcc
	s_xor_b64 s[0:1], exec, s[0:1]
; %bb.189:                              ;   in Loop: Header=BB339_179 Depth=1
	v_bfe_u32 v10, v12, 16, 1
	v_add3_u32 v40, v12, v10, s23
; %bb.190:                              ;   in Loop: Header=BB339_179 Depth=1
	s_andn2_saveexec_b64 s[0:1], s[0:1]
; %bb.191:                              ;   in Loop: Header=BB339_179 Depth=1
	v_or_b32_e32 v10, 0x10000, v12
	v_cmp_eq_u32_sdwa vcc, v12, v15 src0_sel:WORD_0 src1_sel:DWORD
	s_nop 1
	v_cndmask_b32_e32 v40, v10, v12, vcc
; %bb.192:                              ;   in Loop: Header=BB339_179 Depth=1
	s_or_b64 exec, exec, s[0:1]
	v_and_b32_e32 v10, 0x7f800000, v13
	v_cmp_ne_u32_e32 vcc, s22, v10
                                        ; implicit-def: $vgpr41
	s_and_saveexec_b64 s[0:1], vcc
	s_xor_b64 s[0:1], exec, s[0:1]
; %bb.193:                              ;   in Loop: Header=BB339_179 Depth=1
	v_bfe_u32 v10, v13, 16, 1
	v_add3_u32 v41, v13, v10, s23
                                        ; implicit-def: $vgpr10_vgpr11_vgpr12_vgpr13
; %bb.194:                              ;   in Loop: Header=BB339_179 Depth=1
	s_andn2_saveexec_b64 s[0:1], s[0:1]
; %bb.195:                              ;   in Loop: Header=BB339_179 Depth=1
	v_or_b32_e32 v10, 0x10000, v13
	v_cmp_eq_u32_sdwa vcc, v13, v15 src0_sel:WORD_0 src1_sel:DWORD
	s_nop 1
	v_cndmask_b32_e32 v41, v10, v13, vcc
; %bb.196:                              ;   in Loop: Header=BB339_179 Depth=1
	s_or_b64 exec, exec, s[0:1]
	s_waitcnt lgkmcnt(0)
	v_and_b32_e32 v10, 0x7f800000, v6
	v_cmp_ne_u32_e32 vcc, s22, v10
                                        ; implicit-def: $vgpr19
	s_and_saveexec_b64 s[0:1], vcc
	s_xor_b64 s[0:1], exec, s[0:1]
; %bb.197:                              ;   in Loop: Header=BB339_179 Depth=1
	v_bfe_u32 v10, v6, 16, 1
	v_add3_u32 v19, v6, v10, s23
; %bb.198:                              ;   in Loop: Header=BB339_179 Depth=1
	s_andn2_saveexec_b64 s[0:1], s[0:1]
; %bb.199:                              ;   in Loop: Header=BB339_179 Depth=1
	v_or_b32_e32 v10, 0x10000, v6
	v_cmp_eq_u32_sdwa vcc, v6, v15 src0_sel:WORD_0 src1_sel:DWORD
	s_nop 1
	v_cndmask_b32_e32 v19, v10, v6, vcc
; %bb.200:                              ;   in Loop: Header=BB339_179 Depth=1
	s_or_b64 exec, exec, s[0:1]
	v_and_b32_e32 v6, 0x7f800000, v7
	v_cmp_ne_u32_e32 vcc, s22, v6
                                        ; implicit-def: $vgpr27
	s_and_saveexec_b64 s[0:1], vcc
	s_xor_b64 s[0:1], exec, s[0:1]
; %bb.201:                              ;   in Loop: Header=BB339_179 Depth=1
	v_bfe_u32 v6, v7, 16, 1
	v_add3_u32 v27, v7, v6, s23
; %bb.202:                              ;   in Loop: Header=BB339_179 Depth=1
	s_andn2_saveexec_b64 s[0:1], s[0:1]
; %bb.203:                              ;   in Loop: Header=BB339_179 Depth=1
	v_or_b32_e32 v6, 0x10000, v7
	v_cmp_eq_u32_sdwa vcc, v7, v15 src0_sel:WORD_0 src1_sel:DWORD
	s_nop 1
	v_cndmask_b32_e32 v27, v6, v7, vcc
; %bb.204:                              ;   in Loop: Header=BB339_179 Depth=1
	s_or_b64 exec, exec, s[0:1]
	v_and_b32_e32 v6, 0x7f800000, v8
	v_cmp_ne_u32_e32 vcc, s22, v6
                                        ; implicit-def: $vgpr28
	s_and_saveexec_b64 s[0:1], vcc
	s_xor_b64 s[0:1], exec, s[0:1]
; %bb.205:                              ;   in Loop: Header=BB339_179 Depth=1
	v_bfe_u32 v6, v8, 16, 1
	v_add3_u32 v28, v8, v6, s23
; %bb.206:                              ;   in Loop: Header=BB339_179 Depth=1
	s_andn2_saveexec_b64 s[0:1], s[0:1]
; %bb.207:                              ;   in Loop: Header=BB339_179 Depth=1
	v_or_b32_e32 v6, 0x10000, v8
	v_cmp_eq_u32_sdwa vcc, v8, v15 src0_sel:WORD_0 src1_sel:DWORD
	s_nop 1
	v_cndmask_b32_e32 v28, v6, v8, vcc
; %bb.208:                              ;   in Loop: Header=BB339_179 Depth=1
	s_or_b64 exec, exec, s[0:1]
	v_and_b32_e32 v6, 0x7f800000, v9
	v_cmp_ne_u32_e32 vcc, s22, v6
                                        ; implicit-def: $vgpr37
	s_and_saveexec_b64 s[0:1], vcc
	s_xor_b64 s[0:1], exec, s[0:1]
; %bb.209:                              ;   in Loop: Header=BB339_179 Depth=1
	v_bfe_u32 v6, v9, 16, 1
	v_add3_u32 v37, v9, v6, s23
                                        ; implicit-def: $vgpr6_vgpr7_vgpr8_vgpr9
; %bb.210:                              ;   in Loop: Header=BB339_179 Depth=1
	s_andn2_saveexec_b64 s[0:1], s[0:1]
; %bb.211:                              ;   in Loop: Header=BB339_179 Depth=1
	v_or_b32_e32 v6, 0x10000, v9
	v_cmp_eq_u32_sdwa vcc, v9, v15 src0_sel:WORD_0 src1_sel:DWORD
	s_nop 1
	v_cndmask_b32_e32 v37, v6, v9, vcc
; %bb.212:                              ;   in Loop: Header=BB339_179 Depth=1
	s_or_b64 exec, exec, s[0:1]
	s_waitcnt vmcnt(0)
	v_mad_i64_i32 v[6:7], s[0:1], v29, s17, v[16:17]
	global_load_dwordx2 v[8:9], v[6:7], off
	s_load_dword s25, s[18:19], 0x0
	s_waitcnt vmcnt(0)
	v_and_b32_e32 v10, 0xff, v8
	v_cvt_f32_fp8_sdwa v10, v10 src0_sel:BYTE_0
	s_waitcnt lgkmcnt(0)
	v_mul_f32_e32 v11, s25, v10
	v_and_b32_e32 v10, 0x7f800000, v11
	v_cmp_ne_u32_e32 vcc, s22, v10
                                        ; implicit-def: $vgpr10
	s_and_saveexec_b64 s[0:1], vcc
	s_xor_b64 s[0:1], exec, s[0:1]
; %bb.213:                              ;   in Loop: Header=BB339_179 Depth=1
	v_bfe_u32 v10, v11, 16, 1
	v_add3_u32 v10, v11, v10, s23
                                        ; implicit-def: $vgpr11
; %bb.214:                              ;   in Loop: Header=BB339_179 Depth=1
	s_andn2_saveexec_b64 s[0:1], s[0:1]
; %bb.215:                              ;   in Loop: Header=BB339_179 Depth=1
	v_or_b32_e32 v10, 0x10000, v11
	v_cmp_eq_u32_sdwa vcc, v11, v15 src0_sel:WORD_0 src1_sel:DWORD
	s_nop 1
	v_cndmask_b32_e32 v10, v10, v11, vcc
; %bb.216:                              ;   in Loop: Header=BB339_179 Depth=1
	s_or_b64 exec, exec, s[0:1]
	v_bfe_u32 v11, v8, 8, 8
	v_cvt_f32_fp8_sdwa v11, v11 src0_sel:BYTE_0
	s_nop 0
	v_mul_f32_e32 v12, s25, v11
	v_and_b32_e32 v11, 0x7f800000, v12
	v_cmp_ne_u32_e32 vcc, s22, v11
                                        ; implicit-def: $vgpr11
	s_and_saveexec_b64 s[0:1], vcc
	s_xor_b64 s[0:1], exec, s[0:1]
; %bb.217:                              ;   in Loop: Header=BB339_179 Depth=1
	v_bfe_u32 v11, v12, 16, 1
	v_add3_u32 v11, v12, v11, s23
                                        ; implicit-def: $vgpr12
; %bb.218:                              ;   in Loop: Header=BB339_179 Depth=1
	s_andn2_saveexec_b64 s[0:1], s[0:1]
; %bb.219:                              ;   in Loop: Header=BB339_179 Depth=1
	v_or_b32_e32 v11, 0x10000, v12
	v_cmp_eq_u32_sdwa vcc, v12, v15 src0_sel:WORD_0 src1_sel:DWORD
	s_nop 1
	v_cndmask_b32_e32 v11, v11, v12, vcc
; %bb.220:                              ;   in Loop: Header=BB339_179 Depth=1
	s_or_b64 exec, exec, s[0:1]
	v_bfe_u32 v12, v8, 16, 8
	v_cvt_f32_fp8_sdwa v12, v12 src0_sel:BYTE_0
	s_nop 0
	v_mul_f32_e32 v13, s25, v12
	v_and_b32_e32 v12, 0x7f800000, v13
	v_cmp_ne_u32_e32 vcc, s22, v12
                                        ; implicit-def: $vgpr12
	s_and_saveexec_b64 s[0:1], vcc
	s_xor_b64 s[0:1], exec, s[0:1]
; %bb.221:                              ;   in Loop: Header=BB339_179 Depth=1
	v_bfe_u32 v12, v13, 16, 1
	v_add3_u32 v12, v13, v12, s23
                                        ; implicit-def: $vgpr13
; %bb.222:                              ;   in Loop: Header=BB339_179 Depth=1
	s_andn2_saveexec_b64 s[0:1], s[0:1]
; %bb.223:                              ;   in Loop: Header=BB339_179 Depth=1
	v_or_b32_e32 v12, 0x10000, v13
	v_cmp_eq_u32_sdwa vcc, v13, v15 src0_sel:WORD_0 src1_sel:DWORD
	s_nop 1
	v_cndmask_b32_e32 v12, v12, v13, vcc
; %bb.224:                              ;   in Loop: Header=BB339_179 Depth=1
	s_or_b64 exec, exec, s[0:1]
	v_lshrrev_b32_e32 v8, 24, v8
	v_cvt_f32_fp8_sdwa v8, v8 src0_sel:BYTE_0
	s_nop 0
	v_mul_f32_e32 v13, s25, v8
	v_and_b32_e32 v8, 0x7f800000, v13
	v_cmp_ne_u32_e32 vcc, s22, v8
                                        ; implicit-def: $vgpr8
	s_and_saveexec_b64 s[0:1], vcc
	s_xor_b64 s[0:1], exec, s[0:1]
; %bb.225:                              ;   in Loop: Header=BB339_179 Depth=1
	v_bfe_u32 v8, v13, 16, 1
	v_add3_u32 v8, v13, v8, s23
                                        ; implicit-def: $vgpr13
; %bb.226:                              ;   in Loop: Header=BB339_179 Depth=1
	s_andn2_saveexec_b64 s[0:1], s[0:1]
; %bb.227:                              ;   in Loop: Header=BB339_179 Depth=1
	v_or_b32_e32 v8, 0x10000, v13
	v_cmp_eq_u32_sdwa vcc, v13, v15 src0_sel:WORD_0 src1_sel:DWORD
	s_nop 1
	v_cndmask_b32_e32 v8, v8, v13, vcc
; %bb.228:                              ;   in Loop: Header=BB339_179 Depth=1
	s_or_b64 exec, exec, s[0:1]
	v_and_b32_e32 v13, 0xff, v9
	v_cvt_f32_fp8_sdwa v13, v13 src0_sel:BYTE_0
	s_nop 0
	v_mul_f32_e32 v29, s25, v13
	v_and_b32_e32 v13, 0x7f800000, v29
	v_cmp_ne_u32_e32 vcc, s22, v13
                                        ; implicit-def: $vgpr13
	s_and_saveexec_b64 s[0:1], vcc
	s_xor_b64 s[0:1], exec, s[0:1]
; %bb.229:                              ;   in Loop: Header=BB339_179 Depth=1
	v_bfe_u32 v13, v29, 16, 1
	v_add3_u32 v13, v29, v13, s23
                                        ; implicit-def: $vgpr29
; %bb.230:                              ;   in Loop: Header=BB339_179 Depth=1
	s_andn2_saveexec_b64 s[0:1], s[0:1]
; %bb.231:                              ;   in Loop: Header=BB339_179 Depth=1
	v_or_b32_e32 v13, 0x10000, v29
	v_cmp_eq_u32_sdwa vcc, v29, v15 src0_sel:WORD_0 src1_sel:DWORD
	s_nop 1
	v_cndmask_b32_e32 v13, v13, v29, vcc
; %bb.232:                              ;   in Loop: Header=BB339_179 Depth=1
	s_or_b64 exec, exec, s[0:1]
	v_bfe_u32 v29, v9, 8, 8
	v_cvt_f32_fp8_sdwa v29, v29 src0_sel:BYTE_0
	s_nop 0
	v_mul_f32_e32 v29, s25, v29
	v_and_b32_e32 v30, 0x7f800000, v29
	v_cmp_ne_u32_e32 vcc, s22, v30
                                        ; implicit-def: $vgpr30
	s_and_saveexec_b64 s[0:1], vcc
	s_xor_b64 s[0:1], exec, s[0:1]
; %bb.233:                              ;   in Loop: Header=BB339_179 Depth=1
	v_bfe_u32 v30, v29, 16, 1
	v_add3_u32 v30, v29, v30, s23
                                        ; implicit-def: $vgpr29
; %bb.234:                              ;   in Loop: Header=BB339_179 Depth=1
	s_andn2_saveexec_b64 s[0:1], s[0:1]
; %bb.235:                              ;   in Loop: Header=BB339_179 Depth=1
	v_or_b32_e32 v30, 0x10000, v29
	v_cmp_eq_u32_sdwa vcc, v29, v15 src0_sel:WORD_0 src1_sel:DWORD
	s_nop 1
	v_cndmask_b32_e32 v30, v30, v29, vcc
; %bb.236:                              ;   in Loop: Header=BB339_179 Depth=1
	s_or_b64 exec, exec, s[0:1]
	v_bfe_u32 v29, v9, 16, 8
	v_cvt_f32_fp8_sdwa v29, v29 src0_sel:BYTE_0
	s_nop 0
	v_mul_f32_e32 v29, s25, v29
	v_and_b32_e32 v31, 0x7f800000, v29
	v_cmp_ne_u32_e32 vcc, s22, v31
                                        ; implicit-def: $vgpr31
	s_and_saveexec_b64 s[0:1], vcc
	s_xor_b64 s[0:1], exec, s[0:1]
; %bb.237:                              ;   in Loop: Header=BB339_179 Depth=1
	v_bfe_u32 v31, v29, 16, 1
	v_add3_u32 v31, v29, v31, s23
                                        ; implicit-def: $vgpr29
; %bb.238:                              ;   in Loop: Header=BB339_179 Depth=1
	s_andn2_saveexec_b64 s[0:1], s[0:1]
; %bb.239:                              ;   in Loop: Header=BB339_179 Depth=1
	v_or_b32_e32 v31, 0x10000, v29
	v_cmp_eq_u32_sdwa vcc, v29, v15 src0_sel:WORD_0 src1_sel:DWORD
	s_nop 1
	v_cndmask_b32_e32 v31, v31, v29, vcc
; %bb.240:                              ;   in Loop: Header=BB339_179 Depth=1
	s_or_b64 exec, exec, s[0:1]
	v_lshrrev_b32_e32 v9, 24, v9
	v_cvt_f32_fp8_sdwa v9, v9 src0_sel:BYTE_0
                                        ; implicit-def: $vgpr32
	s_nop 0
	v_mul_f32_e32 v9, s25, v9
	v_and_b32_e32 v29, 0x7f800000, v9
	v_cmp_ne_u32_e32 vcc, s22, v29
	s_and_saveexec_b64 s[0:1], vcc
	s_xor_b64 s[0:1], exec, s[0:1]
; %bb.241:                              ;   in Loop: Header=BB339_179 Depth=1
	v_bfe_u32 v29, v9, 16, 1
	v_add3_u32 v32, v9, v29, s23
                                        ; implicit-def: $vgpr9
; %bb.242:                              ;   in Loop: Header=BB339_179 Depth=1
	s_andn2_saveexec_b64 s[0:1], s[0:1]
; %bb.243:                              ;   in Loop: Header=BB339_179 Depth=1
	v_or_b32_e32 v29, 0x10000, v9
	v_cmp_eq_u32_sdwa vcc, v9, v15 src0_sel:WORD_0 src1_sel:DWORD
	s_nop 1
	v_cndmask_b32_e32 v32, v29, v9, vcc
; %bb.244:                              ;   in Loop: Header=BB339_179 Depth=1
	s_or_b64 exec, exec, s[0:1]
	v_add_u32_e32 v29, v25, v1
	v_cmp_eq_u32_e32 vcc, s21, v18
	v_lshrrev_b32_e32 v44, 16, v30
	v_lshrrev_b32_e32 v43, 16, v13
	;; [unrolled: 1-line block ×8, first 2 shown]
	v_add_u32_e32 v36, 1, v29
	v_add_u32_e32 v35, 2, v29
	;; [unrolled: 1-line block ×7, first 2 shown]
	s_and_saveexec_b64 s[12:13], vcc
	s_cbranch_execz .LBB339_246
; %bb.245:                              ;   in Loop: Header=BB339_179 Depth=1
	v_cmp_gt_i32_e64 s[0:1], s33, v29
	s_nop 1
	v_cndmask_b32_e64 v10, 0, v10, s[0:1]
	v_cmp_gt_i32_e64 s[0:1], s33, v36
	s_nop 1
	v_cndmask_b32_e64 v11, 0, v11, s[0:1]
	;; [unrolled: 3-line block ×8, first 2 shown]
.LBB339_246:                            ;   in Loop: Header=BB339_179 Depth=1
	s_or_b64 exec, exec, s[12:13]
	v_and_b32_e32 v38, 0xffff0000, v38
	v_lshlrev_b32_e32 v10, 16, v10
	v_mul_f32_e32 v42, v38, v10
	v_and_b32_e32 v10, 0x7f800000, v42
	v_cmp_ne_u32_e64 s[0:1], s22, v10
                                        ; implicit-def: $vgpr10
	s_and_saveexec_b64 s[12:13], s[0:1]
	s_xor_b64 s[0:1], exec, s[12:13]
; %bb.247:                              ;   in Loop: Header=BB339_179 Depth=1
	v_bfe_u32 v10, v42, 16, 1
	v_add3_u32 v10, v42, v10, s23
                                        ; implicit-def: $vgpr42
; %bb.248:                              ;   in Loop: Header=BB339_179 Depth=1
	s_andn2_saveexec_b64 s[12:13], s[0:1]
; %bb.249:                              ;   in Loop: Header=BB339_179 Depth=1
	v_or_b32_e32 v10, 0x10000, v42
	v_cmp_eq_u32_sdwa s[0:1], v42, v15 src0_sel:WORD_0 src1_sel:DWORD
	s_nop 1
	v_cndmask_b32_e64 v10, v10, v42, s[0:1]
; %bb.250:                              ;   in Loop: Header=BB339_179 Depth=1
	s_or_b64 exec, exec, s[12:13]
	v_and_b32_e32 v39, 0xffff0000, v39
	v_lshlrev_b32_e32 v11, 16, v11
	v_mul_f32_e32 v42, v39, v11
	v_and_b32_e32 v11, 0x7f800000, v42
	v_cmp_ne_u32_e64 s[0:1], s22, v11
                                        ; implicit-def: $vgpr11
	s_and_saveexec_b64 s[12:13], s[0:1]
	s_xor_b64 s[0:1], exec, s[12:13]
; %bb.251:                              ;   in Loop: Header=BB339_179 Depth=1
	v_bfe_u32 v11, v42, 16, 1
	v_add3_u32 v11, v42, v11, s23
                                        ; implicit-def: $vgpr42
; %bb.252:                              ;   in Loop: Header=BB339_179 Depth=1
	s_andn2_saveexec_b64 s[12:13], s[0:1]
; %bb.253:                              ;   in Loop: Header=BB339_179 Depth=1
	v_or_b32_e32 v11, 0x10000, v42
	v_cmp_eq_u32_sdwa s[0:1], v42, v15 src0_sel:WORD_0 src1_sel:DWORD
	s_nop 1
	v_cndmask_b32_e64 v11, v11, v42, s[0:1]
; %bb.254:                              ;   in Loop: Header=BB339_179 Depth=1
	s_or_b64 exec, exec, s[12:13]
	v_and_b32_e32 v40, 0xffff0000, v40
	v_lshlrev_b32_e32 v12, 16, v12
	v_mul_f32_e32 v42, v40, v12
	v_and_b32_e32 v12, 0x7f800000, v42
	v_cmp_ne_u32_e64 s[0:1], s22, v12
                                        ; implicit-def: $vgpr12
	s_and_saveexec_b64 s[12:13], s[0:1]
	s_xor_b64 s[0:1], exec, s[12:13]
; %bb.255:                              ;   in Loop: Header=BB339_179 Depth=1
	v_bfe_u32 v12, v42, 16, 1
	v_add3_u32 v12, v42, v12, s23
                                        ; implicit-def: $vgpr42
; %bb.256:                              ;   in Loop: Header=BB339_179 Depth=1
	s_andn2_saveexec_b64 s[12:13], s[0:1]
; %bb.257:                              ;   in Loop: Header=BB339_179 Depth=1
	v_or_b32_e32 v12, 0x10000, v42
	v_cmp_eq_u32_sdwa s[0:1], v42, v15 src0_sel:WORD_0 src1_sel:DWORD
	s_nop 1
	v_cndmask_b32_e64 v12, v12, v42, s[0:1]
; %bb.258:                              ;   in Loop: Header=BB339_179 Depth=1
	s_or_b64 exec, exec, s[12:13]
	v_and_b32_e32 v41, 0xffff0000, v41
	v_lshlrev_b32_e32 v13, 16, v13
	v_mul_f32_e32 v42, v41, v13
	v_and_b32_e32 v13, 0x7f800000, v42
	v_cmp_ne_u32_e64 s[0:1], s22, v13
                                        ; implicit-def: $vgpr13
	s_and_saveexec_b64 s[12:13], s[0:1]
	s_xor_b64 s[0:1], exec, s[12:13]
; %bb.259:                              ;   in Loop: Header=BB339_179 Depth=1
	v_bfe_u32 v13, v42, 16, 1
	v_add3_u32 v13, v42, v13, s23
                                        ; implicit-def: $vgpr42
; %bb.260:                              ;   in Loop: Header=BB339_179 Depth=1
	s_andn2_saveexec_b64 s[12:13], s[0:1]
; %bb.261:                              ;   in Loop: Header=BB339_179 Depth=1
	v_or_b32_e32 v13, 0x10000, v42
	v_cmp_eq_u32_sdwa s[0:1], v42, v15 src0_sel:WORD_0 src1_sel:DWORD
	s_nop 1
	v_cndmask_b32_e64 v13, v13, v42, s[0:1]
; %bb.262:                              ;   in Loop: Header=BB339_179 Depth=1
	s_or_b64 exec, exec, s[12:13]
	v_and_b32_e32 v42, 0xffff0000, v19
	v_lshlrev_b32_e32 v19, 16, v43
	v_mul_f32_e32 v43, v42, v19
	v_and_b32_e32 v19, 0x7f800000, v43
	v_cmp_ne_u32_e64 s[0:1], s22, v19
                                        ; implicit-def: $vgpr19
	s_and_saveexec_b64 s[12:13], s[0:1]
	s_xor_b64 s[0:1], exec, s[12:13]
; %bb.263:                              ;   in Loop: Header=BB339_179 Depth=1
	v_bfe_u32 v19, v43, 16, 1
	v_add3_u32 v19, v43, v19, s23
                                        ; implicit-def: $vgpr43
; %bb.264:                              ;   in Loop: Header=BB339_179 Depth=1
	s_andn2_saveexec_b64 s[12:13], s[0:1]
; %bb.265:                              ;   in Loop: Header=BB339_179 Depth=1
	v_or_b32_e32 v19, 0x10000, v43
	v_cmp_eq_u32_sdwa s[0:1], v43, v15 src0_sel:WORD_0 src1_sel:DWORD
	s_nop 1
	v_cndmask_b32_e64 v19, v19, v43, s[0:1]
; %bb.266:                              ;   in Loop: Header=BB339_179 Depth=1
	s_or_b64 exec, exec, s[12:13]
	v_and_b32_e32 v43, 0xffff0000, v27
	v_lshlrev_b32_e32 v27, 16, v44
	v_mul_f32_e32 v44, v43, v27
	v_and_b32_e32 v27, 0x7f800000, v44
	v_cmp_ne_u32_e64 s[0:1], s22, v27
                                        ; implicit-def: $vgpr27
	s_and_saveexec_b64 s[12:13], s[0:1]
	s_xor_b64 s[0:1], exec, s[12:13]
; %bb.267:                              ;   in Loop: Header=BB339_179 Depth=1
	v_bfe_u32 v27, v44, 16, 1
	v_add3_u32 v27, v44, v27, s23
                                        ; implicit-def: $vgpr44
; %bb.268:                              ;   in Loop: Header=BB339_179 Depth=1
	s_andn2_saveexec_b64 s[12:13], s[0:1]
; %bb.269:                              ;   in Loop: Header=BB339_179 Depth=1
	v_or_b32_e32 v27, 0x10000, v44
	v_cmp_eq_u32_sdwa s[0:1], v44, v15 src0_sel:WORD_0 src1_sel:DWORD
	s_nop 1
	v_cndmask_b32_e64 v27, v27, v44, s[0:1]
; %bb.270:                              ;   in Loop: Header=BB339_179 Depth=1
	s_or_b64 exec, exec, s[12:13]
	v_and_b32_e32 v44, 0xffff0000, v28
	v_lshlrev_b32_e32 v9, 16, v9
	v_mul_f32_e32 v9, v44, v9
	v_and_b32_e32 v28, 0x7f800000, v9
	v_cmp_ne_u32_e64 s[0:1], s22, v28
                                        ; implicit-def: $vgpr28
	s_and_saveexec_b64 s[12:13], s[0:1]
	s_xor_b64 s[0:1], exec, s[12:13]
; %bb.271:                              ;   in Loop: Header=BB339_179 Depth=1
	v_bfe_u32 v28, v9, 16, 1
	v_add3_u32 v28, v9, v28, s23
                                        ; implicit-def: $vgpr9
; %bb.272:                              ;   in Loop: Header=BB339_179 Depth=1
	s_andn2_saveexec_b64 s[12:13], s[0:1]
; %bb.273:                              ;   in Loop: Header=BB339_179 Depth=1
	v_or_b32_e32 v28, 0x10000, v9
	v_cmp_eq_u32_sdwa s[0:1], v9, v15 src0_sel:WORD_0 src1_sel:DWORD
	s_nop 1
	v_cndmask_b32_e64 v28, v28, v9, s[0:1]
; %bb.274:                              ;   in Loop: Header=BB339_179 Depth=1
	s_or_b64 exec, exec, s[12:13]
	v_and_b32_e32 v45, 0xffff0000, v37
	v_lshlrev_b32_e32 v8, 16, v8
	v_mul_f32_e32 v8, v45, v8
	v_and_b32_e32 v9, 0x7f800000, v8
	v_cmp_ne_u32_e64 s[0:1], s22, v9
                                        ; implicit-def: $vgpr37
	s_and_saveexec_b64 s[12:13], s[0:1]
	s_xor_b64 s[0:1], exec, s[12:13]
; %bb.275:                              ;   in Loop: Header=BB339_179 Depth=1
	v_bfe_u32 v9, v8, 16, 1
	v_add3_u32 v37, v8, v9, s23
                                        ; implicit-def: $vgpr8
; %bb.276:                              ;   in Loop: Header=BB339_179 Depth=1
	s_andn2_saveexec_b64 s[12:13], s[0:1]
; %bb.277:                              ;   in Loop: Header=BB339_179 Depth=1
	v_or_b32_e32 v9, 0x10000, v8
	v_cmp_eq_u32_sdwa s[0:1], v8, v15 src0_sel:WORD_0 src1_sel:DWORD
	s_nop 1
	v_cndmask_b32_e64 v37, v9, v8, s[0:1]
; %bb.278:                              ;   in Loop: Header=BB339_179 Depth=1
	s_or_b64 exec, exec, s[12:13]
	global_load_dwordx2 v[8:9], v[6:7], off offset:512
	s_waitcnt vmcnt(0)
	v_and_b32_e32 v46, 0xff, v8
	v_cvt_f32_fp8_sdwa v46, v46 src0_sel:BYTE_0
	s_nop 0
	v_mul_f32_e32 v47, s25, v46
	v_and_b32_e32 v46, 0x7f800000, v47
	v_cmp_ne_u32_e64 s[0:1], s22, v46
                                        ; implicit-def: $vgpr46
	s_and_saveexec_b64 s[12:13], s[0:1]
	s_xor_b64 s[0:1], exec, s[12:13]
; %bb.279:                              ;   in Loop: Header=BB339_179 Depth=1
	v_bfe_u32 v46, v47, 16, 1
	v_add3_u32 v46, v47, v46, s23
                                        ; implicit-def: $vgpr47
; %bb.280:                              ;   in Loop: Header=BB339_179 Depth=1
	s_andn2_saveexec_b64 s[12:13], s[0:1]
; %bb.281:                              ;   in Loop: Header=BB339_179 Depth=1
	v_or_b32_e32 v46, 0x10000, v47
	v_cmp_eq_u32_sdwa s[0:1], v47, v15 src0_sel:WORD_0 src1_sel:DWORD
	s_nop 1
	v_cndmask_b32_e64 v46, v46, v47, s[0:1]
; %bb.282:                              ;   in Loop: Header=BB339_179 Depth=1
	s_or_b64 exec, exec, s[12:13]
	v_bfe_u32 v47, v8, 8, 8
	v_cvt_f32_fp8_sdwa v47, v47 src0_sel:BYTE_0
	s_nop 0
	v_mul_f32_e32 v48, s25, v47
	v_and_b32_e32 v47, 0x7f800000, v48
	v_cmp_ne_u32_e64 s[0:1], s22, v47
                                        ; implicit-def: $vgpr47
	s_and_saveexec_b64 s[12:13], s[0:1]
	s_xor_b64 s[0:1], exec, s[12:13]
; %bb.283:                              ;   in Loop: Header=BB339_179 Depth=1
	v_bfe_u32 v47, v48, 16, 1
	v_add3_u32 v47, v48, v47, s23
                                        ; implicit-def: $vgpr48
; %bb.284:                              ;   in Loop: Header=BB339_179 Depth=1
	s_andn2_saveexec_b64 s[12:13], s[0:1]
; %bb.285:                              ;   in Loop: Header=BB339_179 Depth=1
	v_or_b32_e32 v47, 0x10000, v48
	v_cmp_eq_u32_sdwa s[0:1], v48, v15 src0_sel:WORD_0 src1_sel:DWORD
	s_nop 1
	v_cndmask_b32_e64 v47, v47, v48, s[0:1]
; %bb.286:                              ;   in Loop: Header=BB339_179 Depth=1
	s_or_b64 exec, exec, s[12:13]
	v_bfe_u32 v48, v8, 16, 8
	v_cvt_f32_fp8_sdwa v48, v48 src0_sel:BYTE_0
	s_nop 0
	v_mul_f32_e32 v49, s25, v48
	v_and_b32_e32 v48, 0x7f800000, v49
	v_cmp_ne_u32_e64 s[0:1], s22, v48
                                        ; implicit-def: $vgpr48
	s_and_saveexec_b64 s[12:13], s[0:1]
	s_xor_b64 s[0:1], exec, s[12:13]
; %bb.287:                              ;   in Loop: Header=BB339_179 Depth=1
	v_bfe_u32 v48, v49, 16, 1
	v_add3_u32 v48, v49, v48, s23
                                        ; implicit-def: $vgpr49
; %bb.288:                              ;   in Loop: Header=BB339_179 Depth=1
	s_andn2_saveexec_b64 s[12:13], s[0:1]
; %bb.289:                              ;   in Loop: Header=BB339_179 Depth=1
	v_or_b32_e32 v48, 0x10000, v49
	v_cmp_eq_u32_sdwa s[0:1], v49, v15 src0_sel:WORD_0 src1_sel:DWORD
	s_nop 1
	v_cndmask_b32_e64 v48, v48, v49, s[0:1]
; %bb.290:                              ;   in Loop: Header=BB339_179 Depth=1
	s_or_b64 exec, exec, s[12:13]
	v_lshrrev_b32_e32 v8, 24, v8
	v_cvt_f32_fp8_sdwa v8, v8 src0_sel:BYTE_0
	s_nop 0
	v_mul_f32_e32 v49, s25, v8
	v_and_b32_e32 v8, 0x7f800000, v49
	v_cmp_ne_u32_e64 s[0:1], s22, v8
                                        ; implicit-def: $vgpr8
	s_and_saveexec_b64 s[12:13], s[0:1]
	s_xor_b64 s[0:1], exec, s[12:13]
; %bb.291:                              ;   in Loop: Header=BB339_179 Depth=1
	v_bfe_u32 v8, v49, 16, 1
	v_add3_u32 v8, v49, v8, s23
                                        ; implicit-def: $vgpr49
; %bb.292:                              ;   in Loop: Header=BB339_179 Depth=1
	s_andn2_saveexec_b64 s[12:13], s[0:1]
; %bb.293:                              ;   in Loop: Header=BB339_179 Depth=1
	v_or_b32_e32 v8, 0x10000, v49
	v_cmp_eq_u32_sdwa s[0:1], v49, v15 src0_sel:WORD_0 src1_sel:DWORD
	s_nop 1
	v_cndmask_b32_e64 v8, v8, v49, s[0:1]
; %bb.294:                              ;   in Loop: Header=BB339_179 Depth=1
	s_or_b64 exec, exec, s[12:13]
	v_and_b32_e32 v49, 0xff, v9
	v_cvt_f32_fp8_sdwa v49, v49 src0_sel:BYTE_0
	s_nop 0
	v_mul_f32_e32 v50, s25, v49
	v_and_b32_e32 v49, 0x7f800000, v50
	v_cmp_ne_u32_e64 s[0:1], s22, v49
                                        ; implicit-def: $vgpr49
	s_and_saveexec_b64 s[12:13], s[0:1]
	s_xor_b64 s[0:1], exec, s[12:13]
; %bb.295:                              ;   in Loop: Header=BB339_179 Depth=1
	v_bfe_u32 v49, v50, 16, 1
	v_add3_u32 v49, v50, v49, s23
                                        ; implicit-def: $vgpr50
; %bb.296:                              ;   in Loop: Header=BB339_179 Depth=1
	s_andn2_saveexec_b64 s[12:13], s[0:1]
; %bb.297:                              ;   in Loop: Header=BB339_179 Depth=1
	v_or_b32_e32 v49, 0x10000, v50
	v_cmp_eq_u32_sdwa s[0:1], v50, v15 src0_sel:WORD_0 src1_sel:DWORD
	s_nop 1
	v_cndmask_b32_e64 v49, v49, v50, s[0:1]
; %bb.298:                              ;   in Loop: Header=BB339_179 Depth=1
	s_or_b64 exec, exec, s[12:13]
	v_bfe_u32 v50, v9, 8, 8
	v_cvt_f32_fp8_sdwa v50, v50 src0_sel:BYTE_0
	s_nop 0
	v_mul_f32_e32 v51, s25, v50
	v_and_b32_e32 v50, 0x7f800000, v51
	v_cmp_ne_u32_e64 s[0:1], s22, v50
                                        ; implicit-def: $vgpr50
	s_and_saveexec_b64 s[12:13], s[0:1]
	s_xor_b64 s[0:1], exec, s[12:13]
; %bb.299:                              ;   in Loop: Header=BB339_179 Depth=1
	v_bfe_u32 v50, v51, 16, 1
	v_add3_u32 v50, v51, v50, s23
                                        ; implicit-def: $vgpr51
; %bb.300:                              ;   in Loop: Header=BB339_179 Depth=1
	s_andn2_saveexec_b64 s[12:13], s[0:1]
; %bb.301:                              ;   in Loop: Header=BB339_179 Depth=1
	v_or_b32_e32 v50, 0x10000, v51
	v_cmp_eq_u32_sdwa s[0:1], v51, v15 src0_sel:WORD_0 src1_sel:DWORD
	s_nop 1
	v_cndmask_b32_e64 v50, v50, v51, s[0:1]
; %bb.302:                              ;   in Loop: Header=BB339_179 Depth=1
	s_or_b64 exec, exec, s[12:13]
	v_bfe_u32 v51, v9, 16, 8
	v_cvt_f32_fp8_sdwa v51, v51 src0_sel:BYTE_0
	s_nop 0
	v_mul_f32_e32 v51, s25, v51
	v_and_b32_e32 v52, 0x7f800000, v51
	v_cmp_ne_u32_e64 s[0:1], s22, v52
                                        ; implicit-def: $vgpr52
	s_and_saveexec_b64 s[12:13], s[0:1]
	s_xor_b64 s[0:1], exec, s[12:13]
; %bb.303:                              ;   in Loop: Header=BB339_179 Depth=1
	v_bfe_u32 v52, v51, 16, 1
	v_add3_u32 v52, v51, v52, s23
                                        ; implicit-def: $vgpr51
; %bb.304:                              ;   in Loop: Header=BB339_179 Depth=1
	s_andn2_saveexec_b64 s[12:13], s[0:1]
; %bb.305:                              ;   in Loop: Header=BB339_179 Depth=1
	v_or_b32_e32 v52, 0x10000, v51
	v_cmp_eq_u32_sdwa s[0:1], v51, v15 src0_sel:WORD_0 src1_sel:DWORD
	s_nop 1
	v_cndmask_b32_e64 v52, v52, v51, s[0:1]
; %bb.306:                              ;   in Loop: Header=BB339_179 Depth=1
	s_or_b64 exec, exec, s[12:13]
	v_lshrrev_b32_e32 v9, 24, v9
	v_cvt_f32_fp8_sdwa v9, v9 src0_sel:BYTE_0
                                        ; implicit-def: $vgpr53
	s_nop 0
	v_mul_f32_e32 v9, s25, v9
	v_and_b32_e32 v51, 0x7f800000, v9
	v_cmp_ne_u32_e64 s[0:1], s22, v51
	s_and_saveexec_b64 s[12:13], s[0:1]
	s_xor_b64 s[0:1], exec, s[12:13]
; %bb.307:                              ;   in Loop: Header=BB339_179 Depth=1
	v_bfe_u32 v51, v9, 16, 1
	v_add3_u32 v53, v9, v51, s23
                                        ; implicit-def: $vgpr9
; %bb.308:                              ;   in Loop: Header=BB339_179 Depth=1
	s_andn2_saveexec_b64 s[12:13], s[0:1]
; %bb.309:                              ;   in Loop: Header=BB339_179 Depth=1
	v_or_b32_e32 v51, 0x10000, v9
	v_cmp_eq_u32_sdwa s[0:1], v9, v15 src0_sel:WORD_0 src1_sel:DWORD
	s_nop 1
	v_cndmask_b32_e64 v53, v51, v9, s[0:1]
; %bb.310:                              ;   in Loop: Header=BB339_179 Depth=1
	s_or_b64 exec, exec, s[12:13]
	v_lshrrev_b32_e32 v51, 16, v50
	v_lshrrev_b32_e32 v50, 16, v49
	;; [unrolled: 1-line block ×8, first 2 shown]
	s_and_saveexec_b64 s[12:13], vcc
	s_cbranch_execz .LBB339_312
; %bb.311:                              ;   in Loop: Header=BB339_179 Depth=1
	v_cmp_gt_i32_e64 s[0:1], s33, v29
	s_nop 1
	v_cndmask_b32_e64 v46, 0, v46, s[0:1]
	v_cmp_gt_i32_e64 s[0:1], s33, v36
	s_nop 1
	v_cndmask_b32_e64 v47, 0, v47, s[0:1]
	;; [unrolled: 3-line block ×8, first 2 shown]
.LBB339_312:                            ;   in Loop: Header=BB339_179 Depth=1
	s_or_b64 exec, exec, s[12:13]
	v_lshlrev_b32_e32 v46, 16, v46
	v_mul_f32_e32 v52, v38, v46
	v_and_b32_e32 v46, 0x7f800000, v52
	v_cmp_ne_u32_e64 s[0:1], s22, v46
                                        ; implicit-def: $vgpr46
	s_and_saveexec_b64 s[12:13], s[0:1]
	s_xor_b64 s[0:1], exec, s[12:13]
; %bb.313:                              ;   in Loop: Header=BB339_179 Depth=1
	v_bfe_u32 v46, v52, 16, 1
	v_add3_u32 v46, v52, v46, s23
                                        ; implicit-def: $vgpr52
; %bb.314:                              ;   in Loop: Header=BB339_179 Depth=1
	s_andn2_saveexec_b64 s[12:13], s[0:1]
; %bb.315:                              ;   in Loop: Header=BB339_179 Depth=1
	v_or_b32_e32 v46, 0x10000, v52
	v_cmp_eq_u32_sdwa s[0:1], v52, v15 src0_sel:WORD_0 src1_sel:DWORD
	s_nop 1
	v_cndmask_b32_e64 v46, v46, v52, s[0:1]
; %bb.316:                              ;   in Loop: Header=BB339_179 Depth=1
	s_or_b64 exec, exec, s[12:13]
	v_lshlrev_b32_e32 v47, 16, v47
	v_mul_f32_e32 v52, v39, v47
	v_and_b32_e32 v47, 0x7f800000, v52
	v_cmp_ne_u32_e64 s[0:1], s22, v47
                                        ; implicit-def: $vgpr47
	s_and_saveexec_b64 s[12:13], s[0:1]
	s_xor_b64 s[0:1], exec, s[12:13]
; %bb.317:                              ;   in Loop: Header=BB339_179 Depth=1
	v_bfe_u32 v47, v52, 16, 1
	v_add3_u32 v47, v52, v47, s23
                                        ; implicit-def: $vgpr52
; %bb.318:                              ;   in Loop: Header=BB339_179 Depth=1
	s_andn2_saveexec_b64 s[12:13], s[0:1]
; %bb.319:                              ;   in Loop: Header=BB339_179 Depth=1
	v_or_b32_e32 v47, 0x10000, v52
	v_cmp_eq_u32_sdwa s[0:1], v52, v15 src0_sel:WORD_0 src1_sel:DWORD
	s_nop 1
	v_cndmask_b32_e64 v47, v47, v52, s[0:1]
; %bb.320:                              ;   in Loop: Header=BB339_179 Depth=1
	s_or_b64 exec, exec, s[12:13]
	v_lshlrev_b32_e32 v48, 16, v48
	v_mul_f32_e32 v52, v40, v48
	v_and_b32_e32 v48, 0x7f800000, v52
	v_cmp_ne_u32_e64 s[0:1], s22, v48
                                        ; implicit-def: $vgpr48
	s_and_saveexec_b64 s[12:13], s[0:1]
	s_xor_b64 s[0:1], exec, s[12:13]
; %bb.321:                              ;   in Loop: Header=BB339_179 Depth=1
	v_bfe_u32 v48, v52, 16, 1
	v_add3_u32 v48, v52, v48, s23
                                        ; implicit-def: $vgpr52
; %bb.322:                              ;   in Loop: Header=BB339_179 Depth=1
	s_andn2_saveexec_b64 s[12:13], s[0:1]
; %bb.323:                              ;   in Loop: Header=BB339_179 Depth=1
	v_or_b32_e32 v48, 0x10000, v52
	v_cmp_eq_u32_sdwa s[0:1], v52, v15 src0_sel:WORD_0 src1_sel:DWORD
	s_nop 1
	v_cndmask_b32_e64 v48, v48, v52, s[0:1]
; %bb.324:                              ;   in Loop: Header=BB339_179 Depth=1
	s_or_b64 exec, exec, s[12:13]
	v_lshlrev_b32_e32 v49, 16, v49
	v_mul_f32_e32 v52, v41, v49
	v_and_b32_e32 v49, 0x7f800000, v52
	v_cmp_ne_u32_e64 s[0:1], s22, v49
                                        ; implicit-def: $vgpr49
	s_and_saveexec_b64 s[12:13], s[0:1]
	s_xor_b64 s[0:1], exec, s[12:13]
; %bb.325:                              ;   in Loop: Header=BB339_179 Depth=1
	v_bfe_u32 v49, v52, 16, 1
	v_add3_u32 v49, v52, v49, s23
                                        ; implicit-def: $vgpr52
; %bb.326:                              ;   in Loop: Header=BB339_179 Depth=1
	s_andn2_saveexec_b64 s[12:13], s[0:1]
; %bb.327:                              ;   in Loop: Header=BB339_179 Depth=1
	v_or_b32_e32 v49, 0x10000, v52
	v_cmp_eq_u32_sdwa s[0:1], v52, v15 src0_sel:WORD_0 src1_sel:DWORD
	s_nop 1
	v_cndmask_b32_e64 v49, v49, v52, s[0:1]
; %bb.328:                              ;   in Loop: Header=BB339_179 Depth=1
	s_or_b64 exec, exec, s[12:13]
	v_lshlrev_b32_e32 v50, 16, v50
	v_mul_f32_e32 v52, v42, v50
	v_and_b32_e32 v50, 0x7f800000, v52
	v_cmp_ne_u32_e64 s[0:1], s22, v50
                                        ; implicit-def: $vgpr50
	s_and_saveexec_b64 s[12:13], s[0:1]
	s_xor_b64 s[0:1], exec, s[12:13]
; %bb.329:                              ;   in Loop: Header=BB339_179 Depth=1
	v_bfe_u32 v50, v52, 16, 1
	v_add3_u32 v50, v52, v50, s23
                                        ; implicit-def: $vgpr52
; %bb.330:                              ;   in Loop: Header=BB339_179 Depth=1
	s_andn2_saveexec_b64 s[12:13], s[0:1]
; %bb.331:                              ;   in Loop: Header=BB339_179 Depth=1
	v_or_b32_e32 v50, 0x10000, v52
	v_cmp_eq_u32_sdwa s[0:1], v52, v15 src0_sel:WORD_0 src1_sel:DWORD
	s_nop 1
	v_cndmask_b32_e64 v50, v50, v52, s[0:1]
; %bb.332:                              ;   in Loop: Header=BB339_179 Depth=1
	s_or_b64 exec, exec, s[12:13]
	v_lshlrev_b32_e32 v51, 16, v51
	v_mul_f32_e32 v52, v43, v51
	v_and_b32_e32 v51, 0x7f800000, v52
	v_cmp_ne_u32_e64 s[0:1], s22, v51
                                        ; implicit-def: $vgpr51
	s_and_saveexec_b64 s[12:13], s[0:1]
	s_xor_b64 s[0:1], exec, s[12:13]
; %bb.333:                              ;   in Loop: Header=BB339_179 Depth=1
	v_bfe_u32 v51, v52, 16, 1
	v_add3_u32 v51, v52, v51, s23
                                        ; implicit-def: $vgpr52
; %bb.334:                              ;   in Loop: Header=BB339_179 Depth=1
	s_andn2_saveexec_b64 s[12:13], s[0:1]
; %bb.335:                              ;   in Loop: Header=BB339_179 Depth=1
	v_or_b32_e32 v51, 0x10000, v52
	v_cmp_eq_u32_sdwa s[0:1], v52, v15 src0_sel:WORD_0 src1_sel:DWORD
	s_nop 1
	v_cndmask_b32_e64 v51, v51, v52, s[0:1]
; %bb.336:                              ;   in Loop: Header=BB339_179 Depth=1
	s_or_b64 exec, exec, s[12:13]
	v_lshlrev_b32_e32 v9, 16, v9
	v_mul_f32_e32 v9, v44, v9
	v_and_b32_e32 v52, 0x7f800000, v9
	v_cmp_ne_u32_e64 s[0:1], s22, v52
                                        ; implicit-def: $vgpr52
	s_and_saveexec_b64 s[12:13], s[0:1]
	s_xor_b64 s[0:1], exec, s[12:13]
; %bb.337:                              ;   in Loop: Header=BB339_179 Depth=1
	v_bfe_u32 v52, v9, 16, 1
	v_add3_u32 v52, v9, v52, s23
                                        ; implicit-def: $vgpr9
; %bb.338:                              ;   in Loop: Header=BB339_179 Depth=1
	s_andn2_saveexec_b64 s[12:13], s[0:1]
; %bb.339:                              ;   in Loop: Header=BB339_179 Depth=1
	v_or_b32_e32 v52, 0x10000, v9
	v_cmp_eq_u32_sdwa s[0:1], v9, v15 src0_sel:WORD_0 src1_sel:DWORD
	s_nop 1
	v_cndmask_b32_e64 v52, v52, v9, s[0:1]
; %bb.340:                              ;   in Loop: Header=BB339_179 Depth=1
	s_or_b64 exec, exec, s[12:13]
	v_lshlrev_b32_e32 v8, 16, v8
	v_mul_f32_e32 v8, v45, v8
	v_and_b32_e32 v9, 0x7f800000, v8
	v_cmp_ne_u32_e64 s[0:1], s22, v9
                                        ; implicit-def: $vgpr53
	s_and_saveexec_b64 s[12:13], s[0:1]
	s_xor_b64 s[0:1], exec, s[12:13]
; %bb.341:                              ;   in Loop: Header=BB339_179 Depth=1
	v_bfe_u32 v9, v8, 16, 1
	v_add3_u32 v53, v8, v9, s23
                                        ; implicit-def: $vgpr8
; %bb.342:                              ;   in Loop: Header=BB339_179 Depth=1
	s_andn2_saveexec_b64 s[12:13], s[0:1]
; %bb.343:                              ;   in Loop: Header=BB339_179 Depth=1
	v_or_b32_e32 v9, 0x10000, v8
	v_cmp_eq_u32_sdwa s[0:1], v8, v15 src0_sel:WORD_0 src1_sel:DWORD
	s_nop 1
	v_cndmask_b32_e64 v53, v9, v8, s[0:1]
; %bb.344:                              ;   in Loop: Header=BB339_179 Depth=1
	s_or_b64 exec, exec, s[12:13]
	global_load_dwordx2 v[8:9], v[6:7], off offset:1024
	s_waitcnt vmcnt(0)
	v_and_b32_e32 v54, 0xff, v8
	v_cvt_f32_fp8_sdwa v54, v54 src0_sel:BYTE_0
	s_nop 0
	v_mul_f32_e32 v55, s25, v54
	v_and_b32_e32 v54, 0x7f800000, v55
	v_cmp_ne_u32_e64 s[0:1], s22, v54
                                        ; implicit-def: $vgpr54
	s_and_saveexec_b64 s[12:13], s[0:1]
	s_xor_b64 s[0:1], exec, s[12:13]
; %bb.345:                              ;   in Loop: Header=BB339_179 Depth=1
	v_bfe_u32 v54, v55, 16, 1
	v_add3_u32 v54, v55, v54, s23
                                        ; implicit-def: $vgpr55
; %bb.346:                              ;   in Loop: Header=BB339_179 Depth=1
	s_andn2_saveexec_b64 s[12:13], s[0:1]
; %bb.347:                              ;   in Loop: Header=BB339_179 Depth=1
	v_or_b32_e32 v54, 0x10000, v55
	v_cmp_eq_u32_sdwa s[0:1], v55, v15 src0_sel:WORD_0 src1_sel:DWORD
	s_nop 1
	v_cndmask_b32_e64 v54, v54, v55, s[0:1]
; %bb.348:                              ;   in Loop: Header=BB339_179 Depth=1
	s_or_b64 exec, exec, s[12:13]
	v_bfe_u32 v55, v8, 8, 8
	v_cvt_f32_fp8_sdwa v55, v55 src0_sel:BYTE_0
	s_nop 0
	v_mul_f32_e32 v56, s25, v55
	v_and_b32_e32 v55, 0x7f800000, v56
	v_cmp_ne_u32_e64 s[0:1], s22, v55
                                        ; implicit-def: $vgpr55
	s_and_saveexec_b64 s[12:13], s[0:1]
	s_xor_b64 s[0:1], exec, s[12:13]
; %bb.349:                              ;   in Loop: Header=BB339_179 Depth=1
	v_bfe_u32 v55, v56, 16, 1
	v_add3_u32 v55, v56, v55, s23
                                        ; implicit-def: $vgpr56
; %bb.350:                              ;   in Loop: Header=BB339_179 Depth=1
	s_andn2_saveexec_b64 s[12:13], s[0:1]
; %bb.351:                              ;   in Loop: Header=BB339_179 Depth=1
	v_or_b32_e32 v55, 0x10000, v56
	v_cmp_eq_u32_sdwa s[0:1], v56, v15 src0_sel:WORD_0 src1_sel:DWORD
	s_nop 1
	v_cndmask_b32_e64 v55, v55, v56, s[0:1]
; %bb.352:                              ;   in Loop: Header=BB339_179 Depth=1
	s_or_b64 exec, exec, s[12:13]
	v_bfe_u32 v56, v8, 16, 8
	v_cvt_f32_fp8_sdwa v56, v56 src0_sel:BYTE_0
	s_nop 0
	v_mul_f32_e32 v57, s25, v56
	v_and_b32_e32 v56, 0x7f800000, v57
	v_cmp_ne_u32_e64 s[0:1], s22, v56
                                        ; implicit-def: $vgpr56
	s_and_saveexec_b64 s[12:13], s[0:1]
	s_xor_b64 s[0:1], exec, s[12:13]
; %bb.353:                              ;   in Loop: Header=BB339_179 Depth=1
	v_bfe_u32 v56, v57, 16, 1
	v_add3_u32 v56, v57, v56, s23
                                        ; implicit-def: $vgpr57
; %bb.354:                              ;   in Loop: Header=BB339_179 Depth=1
	s_andn2_saveexec_b64 s[12:13], s[0:1]
; %bb.355:                              ;   in Loop: Header=BB339_179 Depth=1
	v_or_b32_e32 v56, 0x10000, v57
	v_cmp_eq_u32_sdwa s[0:1], v57, v15 src0_sel:WORD_0 src1_sel:DWORD
	s_nop 1
	v_cndmask_b32_e64 v56, v56, v57, s[0:1]
; %bb.356:                              ;   in Loop: Header=BB339_179 Depth=1
	s_or_b64 exec, exec, s[12:13]
	v_lshrrev_b32_e32 v8, 24, v8
	v_cvt_f32_fp8_sdwa v8, v8 src0_sel:BYTE_0
	s_nop 0
	v_mul_f32_e32 v57, s25, v8
	v_and_b32_e32 v8, 0x7f800000, v57
	v_cmp_ne_u32_e64 s[0:1], s22, v8
                                        ; implicit-def: $vgpr8
	s_and_saveexec_b64 s[12:13], s[0:1]
	s_xor_b64 s[0:1], exec, s[12:13]
; %bb.357:                              ;   in Loop: Header=BB339_179 Depth=1
	v_bfe_u32 v8, v57, 16, 1
	v_add3_u32 v8, v57, v8, s23
                                        ; implicit-def: $vgpr57
; %bb.358:                              ;   in Loop: Header=BB339_179 Depth=1
	s_andn2_saveexec_b64 s[12:13], s[0:1]
; %bb.359:                              ;   in Loop: Header=BB339_179 Depth=1
	v_or_b32_e32 v8, 0x10000, v57
	v_cmp_eq_u32_sdwa s[0:1], v57, v15 src0_sel:WORD_0 src1_sel:DWORD
	s_nop 1
	v_cndmask_b32_e64 v8, v8, v57, s[0:1]
; %bb.360:                              ;   in Loop: Header=BB339_179 Depth=1
	s_or_b64 exec, exec, s[12:13]
	v_and_b32_e32 v57, 0xff, v9
	v_cvt_f32_fp8_sdwa v57, v57 src0_sel:BYTE_0
	s_nop 0
	v_mul_f32_e32 v57, s25, v57
	v_and_b32_e32 v58, 0x7f800000, v57
	v_cmp_ne_u32_e64 s[0:1], s22, v58
                                        ; implicit-def: $vgpr58
	s_and_saveexec_b64 s[12:13], s[0:1]
	s_xor_b64 s[0:1], exec, s[12:13]
; %bb.361:                              ;   in Loop: Header=BB339_179 Depth=1
	v_bfe_u32 v58, v57, 16, 1
	v_add3_u32 v58, v57, v58, s23
                                        ; implicit-def: $vgpr57
; %bb.362:                              ;   in Loop: Header=BB339_179 Depth=1
	s_andn2_saveexec_b64 s[12:13], s[0:1]
; %bb.363:                              ;   in Loop: Header=BB339_179 Depth=1
	v_or_b32_e32 v58, 0x10000, v57
	v_cmp_eq_u32_sdwa s[0:1], v57, v15 src0_sel:WORD_0 src1_sel:DWORD
	s_nop 1
	v_cndmask_b32_e64 v58, v58, v57, s[0:1]
; %bb.364:                              ;   in Loop: Header=BB339_179 Depth=1
	s_or_b64 exec, exec, s[12:13]
	v_bfe_u32 v57, v9, 8, 8
	v_cvt_f32_fp8_sdwa v57, v57 src0_sel:BYTE_0
	s_nop 0
	v_mul_f32_e32 v59, s25, v57
	v_and_b32_e32 v57, 0x7f800000, v59
	v_cmp_ne_u32_e64 s[0:1], s22, v57
                                        ; implicit-def: $vgpr57
	s_and_saveexec_b64 s[12:13], s[0:1]
	s_xor_b64 s[0:1], exec, s[12:13]
; %bb.365:                              ;   in Loop: Header=BB339_179 Depth=1
	v_bfe_u32 v57, v59, 16, 1
	v_add3_u32 v57, v59, v57, s23
                                        ; implicit-def: $vgpr59
; %bb.366:                              ;   in Loop: Header=BB339_179 Depth=1
	s_andn2_saveexec_b64 s[12:13], s[0:1]
; %bb.367:                              ;   in Loop: Header=BB339_179 Depth=1
	v_or_b32_e32 v57, 0x10000, v59
	v_cmp_eq_u32_sdwa s[0:1], v59, v15 src0_sel:WORD_0 src1_sel:DWORD
	s_nop 1
	v_cndmask_b32_e64 v57, v57, v59, s[0:1]
; %bb.368:                              ;   in Loop: Header=BB339_179 Depth=1
	s_or_b64 exec, exec, s[12:13]
	v_bfe_u32 v59, v9, 16, 8
	v_cvt_f32_fp8_sdwa v59, v59 src0_sel:BYTE_0
	s_nop 0
	v_mul_f32_e32 v60, s25, v59
	v_and_b32_e32 v59, 0x7f800000, v60
	v_cmp_ne_u32_e64 s[0:1], s22, v59
                                        ; implicit-def: $vgpr59
	s_and_saveexec_b64 s[12:13], s[0:1]
	s_xor_b64 s[0:1], exec, s[12:13]
; %bb.369:                              ;   in Loop: Header=BB339_179 Depth=1
	v_bfe_u32 v59, v60, 16, 1
	v_add3_u32 v59, v60, v59, s23
                                        ; implicit-def: $vgpr60
; %bb.370:                              ;   in Loop: Header=BB339_179 Depth=1
	s_andn2_saveexec_b64 s[12:13], s[0:1]
; %bb.371:                              ;   in Loop: Header=BB339_179 Depth=1
	v_or_b32_e32 v59, 0x10000, v60
	v_cmp_eq_u32_sdwa s[0:1], v60, v15 src0_sel:WORD_0 src1_sel:DWORD
	s_nop 1
	v_cndmask_b32_e64 v59, v59, v60, s[0:1]
; %bb.372:                              ;   in Loop: Header=BB339_179 Depth=1
	s_or_b64 exec, exec, s[12:13]
	v_lshrrev_b32_e32 v9, 24, v9
	v_cvt_f32_fp8_sdwa v9, v9 src0_sel:BYTE_0
                                        ; implicit-def: $vgpr62
	s_nop 0
	v_mul_f32_e32 v9, s25, v9
	v_and_b32_e32 v60, 0x7f800000, v9
	v_cmp_ne_u32_e64 s[0:1], s22, v60
	s_and_saveexec_b64 s[12:13], s[0:1]
	s_xor_b64 s[0:1], exec, s[12:13]
; %bb.373:                              ;   in Loop: Header=BB339_179 Depth=1
	v_bfe_u32 v60, v9, 16, 1
	v_add3_u32 v62, v9, v60, s23
                                        ; implicit-def: $vgpr9
; %bb.374:                              ;   in Loop: Header=BB339_179 Depth=1
	s_andn2_saveexec_b64 s[12:13], s[0:1]
; %bb.375:                              ;   in Loop: Header=BB339_179 Depth=1
	v_or_b32_e32 v60, 0x10000, v9
	v_cmp_eq_u32_sdwa s[0:1], v9, v15 src0_sel:WORD_0 src1_sel:DWORD
	s_nop 1
	v_cndmask_b32_e64 v62, v60, v9, s[0:1]
; %bb.376:                              ;   in Loop: Header=BB339_179 Depth=1
	s_or_b64 exec, exec, s[12:13]
	v_lshrrev_b32_e32 v57, 16, v57
	v_lshrrev_b32_e32 v60, 16, v58
	;; [unrolled: 1-line block ×8, first 2 shown]
	s_and_saveexec_b64 s[12:13], vcc
	s_cbranch_execz .LBB339_378
; %bb.377:                              ;   in Loop: Header=BB339_179 Depth=1
	v_cmp_gt_i32_e64 s[0:1], s33, v29
	s_nop 1
	v_cndmask_b32_e64 v8, 0, v8, s[0:1]
	v_cmp_gt_i32_e64 s[0:1], s33, v36
	s_nop 1
	v_cndmask_b32_e64 v9, 0, v9, s[0:1]
	;; [unrolled: 3-line block ×8, first 2 shown]
.LBB339_378:                            ;   in Loop: Header=BB339_179 Depth=1
	s_or_b64 exec, exec, s[12:13]
	v_lshlrev_b32_e32 v8, 16, v8
	v_mul_f32_e32 v54, v38, v8
	v_and_b32_e32 v8, 0x7f800000, v54
	v_cmp_ne_u32_e64 s[0:1], s22, v8
                                        ; implicit-def: $vgpr8
	s_and_saveexec_b64 s[12:13], s[0:1]
	s_xor_b64 s[0:1], exec, s[12:13]
; %bb.379:                              ;   in Loop: Header=BB339_179 Depth=1
	v_bfe_u32 v8, v54, 16, 1
	v_add3_u32 v8, v54, v8, s23
                                        ; implicit-def: $vgpr54
; %bb.380:                              ;   in Loop: Header=BB339_179 Depth=1
	s_andn2_saveexec_b64 s[12:13], s[0:1]
; %bb.381:                              ;   in Loop: Header=BB339_179 Depth=1
	v_or_b32_e32 v8, 0x10000, v54
	v_cmp_eq_u32_sdwa s[0:1], v54, v15 src0_sel:WORD_0 src1_sel:DWORD
	s_nop 1
	v_cndmask_b32_e64 v8, v8, v54, s[0:1]
; %bb.382:                              ;   in Loop: Header=BB339_179 Depth=1
	s_or_b64 exec, exec, s[12:13]
	v_lshlrev_b32_e32 v9, 16, v9
	v_mul_f32_e32 v54, v39, v9
	v_and_b32_e32 v9, 0x7f800000, v54
	v_cmp_ne_u32_e64 s[0:1], s22, v9
                                        ; implicit-def: $vgpr9
	s_and_saveexec_b64 s[12:13], s[0:1]
	s_xor_b64 s[0:1], exec, s[12:13]
; %bb.383:                              ;   in Loop: Header=BB339_179 Depth=1
	v_bfe_u32 v9, v54, 16, 1
	v_add3_u32 v9, v54, v9, s23
                                        ; implicit-def: $vgpr54
; %bb.384:                              ;   in Loop: Header=BB339_179 Depth=1
	s_andn2_saveexec_b64 s[12:13], s[0:1]
; %bb.385:                              ;   in Loop: Header=BB339_179 Depth=1
	v_or_b32_e32 v9, 0x10000, v54
	v_cmp_eq_u32_sdwa s[0:1], v54, v15 src0_sel:WORD_0 src1_sel:DWORD
	s_nop 1
	v_cndmask_b32_e64 v9, v9, v54, s[0:1]
; %bb.386:                              ;   in Loop: Header=BB339_179 Depth=1
	s_or_b64 exec, exec, s[12:13]
	v_lshlrev_b32_e32 v54, 16, v56
	v_mul_f32_e32 v55, v40, v54
	v_and_b32_e32 v54, 0x7f800000, v55
	v_cmp_ne_u32_e64 s[0:1], s22, v54
                                        ; implicit-def: $vgpr54
	s_and_saveexec_b64 s[12:13], s[0:1]
	s_xor_b64 s[0:1], exec, s[12:13]
; %bb.387:                              ;   in Loop: Header=BB339_179 Depth=1
	v_bfe_u32 v54, v55, 16, 1
	v_add3_u32 v54, v55, v54, s23
                                        ; implicit-def: $vgpr55
; %bb.388:                              ;   in Loop: Header=BB339_179 Depth=1
	s_andn2_saveexec_b64 s[12:13], s[0:1]
; %bb.389:                              ;   in Loop: Header=BB339_179 Depth=1
	v_or_b32_e32 v54, 0x10000, v55
	v_cmp_eq_u32_sdwa s[0:1], v55, v15 src0_sel:WORD_0 src1_sel:DWORD
	s_nop 1
	v_cndmask_b32_e64 v54, v54, v55, s[0:1]
; %bb.390:                              ;   in Loop: Header=BB339_179 Depth=1
	s_or_b64 exec, exec, s[12:13]
	v_lshlrev_b32_e32 v55, 16, v61
	v_mul_f32_e32 v56, v41, v55
	v_and_b32_e32 v55, 0x7f800000, v56
	v_cmp_ne_u32_e64 s[0:1], s22, v55
                                        ; implicit-def: $vgpr55
	s_and_saveexec_b64 s[12:13], s[0:1]
	s_xor_b64 s[0:1], exec, s[12:13]
; %bb.391:                              ;   in Loop: Header=BB339_179 Depth=1
	v_bfe_u32 v55, v56, 16, 1
	v_add3_u32 v55, v56, v55, s23
                                        ; implicit-def: $vgpr56
; %bb.392:                              ;   in Loop: Header=BB339_179 Depth=1
	s_andn2_saveexec_b64 s[12:13], s[0:1]
; %bb.393:                              ;   in Loop: Header=BB339_179 Depth=1
	v_or_b32_e32 v55, 0x10000, v56
	v_cmp_eq_u32_sdwa s[0:1], v56, v15 src0_sel:WORD_0 src1_sel:DWORD
	s_nop 1
	v_cndmask_b32_e64 v55, v55, v56, s[0:1]
; %bb.394:                              ;   in Loop: Header=BB339_179 Depth=1
	s_or_b64 exec, exec, s[12:13]
	v_lshlrev_b32_e32 v56, 16, v60
	v_mul_f32_e32 v60, v42, v56
	v_and_b32_e32 v56, 0x7f800000, v60
	v_cmp_ne_u32_e64 s[0:1], s22, v56
                                        ; implicit-def: $vgpr56
	s_and_saveexec_b64 s[12:13], s[0:1]
	s_xor_b64 s[0:1], exec, s[12:13]
; %bb.395:                              ;   in Loop: Header=BB339_179 Depth=1
	v_bfe_u32 v56, v60, 16, 1
	v_add3_u32 v56, v60, v56, s23
                                        ; implicit-def: $vgpr60
; %bb.396:                              ;   in Loop: Header=BB339_179 Depth=1
	s_andn2_saveexec_b64 s[12:13], s[0:1]
; %bb.397:                              ;   in Loop: Header=BB339_179 Depth=1
	v_or_b32_e32 v56, 0x10000, v60
	v_cmp_eq_u32_sdwa s[0:1], v60, v15 src0_sel:WORD_0 src1_sel:DWORD
	s_nop 1
	v_cndmask_b32_e64 v56, v56, v60, s[0:1]
; %bb.398:                              ;   in Loop: Header=BB339_179 Depth=1
	s_or_b64 exec, exec, s[12:13]
	v_lshlrev_b32_e32 v57, 16, v57
	v_mul_f32_e32 v60, v43, v57
	v_and_b32_e32 v57, 0x7f800000, v60
	v_cmp_ne_u32_e64 s[0:1], s22, v57
                                        ; implicit-def: $vgpr57
	s_and_saveexec_b64 s[12:13], s[0:1]
	s_xor_b64 s[0:1], exec, s[12:13]
; %bb.399:                              ;   in Loop: Header=BB339_179 Depth=1
	v_bfe_u32 v57, v60, 16, 1
	v_add3_u32 v57, v60, v57, s23
                                        ; implicit-def: $vgpr60
; %bb.400:                              ;   in Loop: Header=BB339_179 Depth=1
	s_andn2_saveexec_b64 s[12:13], s[0:1]
; %bb.401:                              ;   in Loop: Header=BB339_179 Depth=1
	v_or_b32_e32 v57, 0x10000, v60
	v_cmp_eq_u32_sdwa s[0:1], v60, v15 src0_sel:WORD_0 src1_sel:DWORD
	s_nop 1
	v_cndmask_b32_e64 v57, v57, v60, s[0:1]
; %bb.402:                              ;   in Loop: Header=BB339_179 Depth=1
	s_or_b64 exec, exec, s[12:13]
	v_lshlrev_b32_e32 v58, 16, v58
	v_mul_f32_e32 v60, v44, v58
	v_and_b32_e32 v58, 0x7f800000, v60
	v_cmp_ne_u32_e64 s[0:1], s22, v58
                                        ; implicit-def: $vgpr58
	s_and_saveexec_b64 s[12:13], s[0:1]
	s_xor_b64 s[0:1], exec, s[12:13]
; %bb.403:                              ;   in Loop: Header=BB339_179 Depth=1
	v_bfe_u32 v58, v60, 16, 1
	v_add3_u32 v58, v60, v58, s23
                                        ; implicit-def: $vgpr60
; %bb.404:                              ;   in Loop: Header=BB339_179 Depth=1
	s_andn2_saveexec_b64 s[12:13], s[0:1]
; %bb.405:                              ;   in Loop: Header=BB339_179 Depth=1
	v_or_b32_e32 v58, 0x10000, v60
	v_cmp_eq_u32_sdwa s[0:1], v60, v15 src0_sel:WORD_0 src1_sel:DWORD
	s_nop 1
	v_cndmask_b32_e64 v58, v58, v60, s[0:1]
; %bb.406:                              ;   in Loop: Header=BB339_179 Depth=1
	s_or_b64 exec, exec, s[12:13]
	v_lshlrev_b32_e32 v59, 16, v59
	v_mul_f32_e32 v60, v45, v59
	v_and_b32_e32 v59, 0x7f800000, v60
	v_cmp_ne_u32_e64 s[0:1], s22, v59
                                        ; implicit-def: $vgpr59
	s_and_saveexec_b64 s[12:13], s[0:1]
	s_xor_b64 s[0:1], exec, s[12:13]
; %bb.407:                              ;   in Loop: Header=BB339_179 Depth=1
	v_bfe_u32 v59, v60, 16, 1
	v_add3_u32 v59, v60, v59, s23
                                        ; implicit-def: $vgpr60
; %bb.408:                              ;   in Loop: Header=BB339_179 Depth=1
	s_andn2_saveexec_b64 s[12:13], s[0:1]
; %bb.409:                              ;   in Loop: Header=BB339_179 Depth=1
	v_or_b32_e32 v59, 0x10000, v60
	v_cmp_eq_u32_sdwa s[0:1], v60, v15 src0_sel:WORD_0 src1_sel:DWORD
	s_nop 1
	v_cndmask_b32_e64 v59, v59, v60, s[0:1]
; %bb.410:                              ;   in Loop: Header=BB339_179 Depth=1
	s_or_b64 exec, exec, s[12:13]
	global_load_dwordx2 v[6:7], v[6:7], off offset:1536
	s_waitcnt vmcnt(0)
	v_and_b32_e32 v60, 0xff, v6
	v_cvt_f32_fp8_sdwa v60, v60 src0_sel:BYTE_0
	s_nop 0
	v_mul_f32_e32 v61, s25, v60
	v_and_b32_e32 v60, 0x7f800000, v61
	v_cmp_ne_u32_e64 s[0:1], s22, v60
                                        ; implicit-def: $vgpr60
	s_and_saveexec_b64 s[12:13], s[0:1]
	s_xor_b64 s[0:1], exec, s[12:13]
; %bb.411:                              ;   in Loop: Header=BB339_179 Depth=1
	v_bfe_u32 v60, v61, 16, 1
	v_add3_u32 v60, v61, v60, s23
                                        ; implicit-def: $vgpr61
; %bb.412:                              ;   in Loop: Header=BB339_179 Depth=1
	s_andn2_saveexec_b64 s[12:13], s[0:1]
; %bb.413:                              ;   in Loop: Header=BB339_179 Depth=1
	v_or_b32_e32 v60, 0x10000, v61
	v_cmp_eq_u32_sdwa s[0:1], v61, v15 src0_sel:WORD_0 src1_sel:DWORD
	s_nop 1
	v_cndmask_b32_e64 v60, v60, v61, s[0:1]
; %bb.414:                              ;   in Loop: Header=BB339_179 Depth=1
	s_or_b64 exec, exec, s[12:13]
	v_bfe_u32 v61, v6, 8, 8
	v_cvt_f32_fp8_sdwa v61, v61 src0_sel:BYTE_0
	s_nop 0
	v_mul_f32_e32 v62, s25, v61
	v_and_b32_e32 v61, 0x7f800000, v62
	v_cmp_ne_u32_e64 s[0:1], s22, v61
                                        ; implicit-def: $vgpr61
	s_and_saveexec_b64 s[12:13], s[0:1]
	s_xor_b64 s[0:1], exec, s[12:13]
; %bb.415:                              ;   in Loop: Header=BB339_179 Depth=1
	v_bfe_u32 v61, v62, 16, 1
	v_add3_u32 v61, v62, v61, s23
                                        ; implicit-def: $vgpr62
; %bb.416:                              ;   in Loop: Header=BB339_179 Depth=1
	s_andn2_saveexec_b64 s[12:13], s[0:1]
; %bb.417:                              ;   in Loop: Header=BB339_179 Depth=1
	v_or_b32_e32 v61, 0x10000, v62
	v_cmp_eq_u32_sdwa s[0:1], v62, v15 src0_sel:WORD_0 src1_sel:DWORD
	s_nop 1
	v_cndmask_b32_e64 v61, v61, v62, s[0:1]
; %bb.418:                              ;   in Loop: Header=BB339_179 Depth=1
	s_or_b64 exec, exec, s[12:13]
	v_bfe_u32 v62, v6, 16, 8
	v_cvt_f32_fp8_sdwa v62, v62 src0_sel:BYTE_0
	s_nop 0
	v_mul_f32_e32 v62, s25, v62
	v_and_b32_e32 v63, 0x7f800000, v62
	v_cmp_ne_u32_e64 s[0:1], s22, v63
                                        ; implicit-def: $vgpr63
	s_and_saveexec_b64 s[12:13], s[0:1]
	s_xor_b64 s[0:1], exec, s[12:13]
; %bb.419:                              ;   in Loop: Header=BB339_179 Depth=1
	v_bfe_u32 v63, v62, 16, 1
	v_add3_u32 v63, v62, v63, s23
                                        ; implicit-def: $vgpr62
; %bb.420:                              ;   in Loop: Header=BB339_179 Depth=1
	s_andn2_saveexec_b64 s[12:13], s[0:1]
; %bb.421:                              ;   in Loop: Header=BB339_179 Depth=1
	v_or_b32_e32 v63, 0x10000, v62
	v_cmp_eq_u32_sdwa s[0:1], v62, v15 src0_sel:WORD_0 src1_sel:DWORD
	s_nop 1
	v_cndmask_b32_e64 v63, v63, v62, s[0:1]
; %bb.422:                              ;   in Loop: Header=BB339_179 Depth=1
	s_or_b64 exec, exec, s[12:13]
	v_lshrrev_b32_e32 v6, 24, v6
	v_cvt_f32_fp8_sdwa v6, v6 src0_sel:BYTE_0
	s_nop 0
	v_mul_f32_e32 v62, s25, v6
	v_and_b32_e32 v6, 0x7f800000, v62
	v_cmp_ne_u32_e64 s[0:1], s22, v6
                                        ; implicit-def: $vgpr6
	s_and_saveexec_b64 s[12:13], s[0:1]
	s_xor_b64 s[0:1], exec, s[12:13]
; %bb.423:                              ;   in Loop: Header=BB339_179 Depth=1
	v_bfe_u32 v6, v62, 16, 1
	v_add3_u32 v6, v62, v6, s23
                                        ; implicit-def: $vgpr62
; %bb.424:                              ;   in Loop: Header=BB339_179 Depth=1
	s_andn2_saveexec_b64 s[12:13], s[0:1]
; %bb.425:                              ;   in Loop: Header=BB339_179 Depth=1
	v_or_b32_e32 v6, 0x10000, v62
	v_cmp_eq_u32_sdwa s[0:1], v62, v15 src0_sel:WORD_0 src1_sel:DWORD
	s_nop 1
	v_cndmask_b32_e64 v6, v6, v62, s[0:1]
; %bb.426:                              ;   in Loop: Header=BB339_179 Depth=1
	s_or_b64 exec, exec, s[12:13]
	v_and_b32_e32 v62, 0xff, v7
	v_cvt_f32_fp8_sdwa v62, v62 src0_sel:BYTE_0
	s_nop 0
	v_mul_f32_e32 v62, s25, v62
	v_and_b32_e32 v64, 0x7f800000, v62
	v_cmp_ne_u32_e64 s[0:1], s22, v64
                                        ; implicit-def: $vgpr64
	s_and_saveexec_b64 s[12:13], s[0:1]
	s_xor_b64 s[0:1], exec, s[12:13]
; %bb.427:                              ;   in Loop: Header=BB339_179 Depth=1
	v_bfe_u32 v64, v62, 16, 1
	v_add3_u32 v64, v62, v64, s23
                                        ; implicit-def: $vgpr62
; %bb.428:                              ;   in Loop: Header=BB339_179 Depth=1
	s_andn2_saveexec_b64 s[12:13], s[0:1]
; %bb.429:                              ;   in Loop: Header=BB339_179 Depth=1
	v_or_b32_e32 v64, 0x10000, v62
	v_cmp_eq_u32_sdwa s[0:1], v62, v15 src0_sel:WORD_0 src1_sel:DWORD
	s_nop 1
	v_cndmask_b32_e64 v64, v64, v62, s[0:1]
; %bb.430:                              ;   in Loop: Header=BB339_179 Depth=1
	s_or_b64 exec, exec, s[12:13]
	v_bfe_u32 v62, v7, 8, 8
	v_cvt_f32_fp8_sdwa v62, v62 src0_sel:BYTE_0
	s_nop 0
	v_mul_f32_e32 v65, s25, v62
	v_and_b32_e32 v62, 0x7f800000, v65
	v_cmp_ne_u32_e64 s[0:1], s22, v62
                                        ; implicit-def: $vgpr62
	s_and_saveexec_b64 s[12:13], s[0:1]
	s_xor_b64 s[0:1], exec, s[12:13]
; %bb.431:                              ;   in Loop: Header=BB339_179 Depth=1
	v_bfe_u32 v62, v65, 16, 1
	v_add3_u32 v62, v65, v62, s23
                                        ; implicit-def: $vgpr65
; %bb.432:                              ;   in Loop: Header=BB339_179 Depth=1
	s_andn2_saveexec_b64 s[12:13], s[0:1]
; %bb.433:                              ;   in Loop: Header=BB339_179 Depth=1
	v_or_b32_e32 v62, 0x10000, v65
	v_cmp_eq_u32_sdwa s[0:1], v65, v15 src0_sel:WORD_0 src1_sel:DWORD
	s_nop 1
	v_cndmask_b32_e64 v62, v62, v65, s[0:1]
; %bb.434:                              ;   in Loop: Header=BB339_179 Depth=1
	s_or_b64 exec, exec, s[12:13]
	v_bfe_u32 v65, v7, 16, 8
	v_cvt_f32_fp8_sdwa v65, v65 src0_sel:BYTE_0
	s_nop 0
	v_mul_f32_e32 v65, s25, v65
	v_and_b32_e32 v66, 0x7f800000, v65
	v_cmp_ne_u32_e64 s[0:1], s22, v66
                                        ; implicit-def: $vgpr66
	s_and_saveexec_b64 s[12:13], s[0:1]
	s_xor_b64 s[0:1], exec, s[12:13]
; %bb.435:                              ;   in Loop: Header=BB339_179 Depth=1
	v_bfe_u32 v66, v65, 16, 1
	v_add3_u32 v66, v65, v66, s23
                                        ; implicit-def: $vgpr65
; %bb.436:                              ;   in Loop: Header=BB339_179 Depth=1
	s_andn2_saveexec_b64 s[12:13], s[0:1]
; %bb.437:                              ;   in Loop: Header=BB339_179 Depth=1
	v_or_b32_e32 v66, 0x10000, v65
	v_cmp_eq_u32_sdwa s[0:1], v65, v15 src0_sel:WORD_0 src1_sel:DWORD
	s_nop 1
	v_cndmask_b32_e64 v66, v66, v65, s[0:1]
; %bb.438:                              ;   in Loop: Header=BB339_179 Depth=1
	s_or_b64 exec, exec, s[12:13]
	v_lshrrev_b32_e32 v7, 24, v7
	v_cvt_f32_fp8_sdwa v7, v7 src0_sel:BYTE_0
                                        ; implicit-def: $vgpr67
	s_nop 0
	v_mul_f32_e32 v7, s25, v7
	v_and_b32_e32 v65, 0x7f800000, v7
	v_cmp_ne_u32_e64 s[0:1], s22, v65
	s_and_saveexec_b64 s[12:13], s[0:1]
	s_xor_b64 s[0:1], exec, s[12:13]
; %bb.439:                              ;   in Loop: Header=BB339_179 Depth=1
	v_bfe_u32 v65, v7, 16, 1
	v_add3_u32 v67, v7, v65, s23
                                        ; implicit-def: $vgpr7
; %bb.440:                              ;   in Loop: Header=BB339_179 Depth=1
	s_andn2_saveexec_b64 s[12:13], s[0:1]
; %bb.441:                              ;   in Loop: Header=BB339_179 Depth=1
	v_or_b32_e32 v65, 0x10000, v7
	v_cmp_eq_u32_sdwa s[0:1], v7, v15 src0_sel:WORD_0 src1_sel:DWORD
	s_nop 1
	v_cndmask_b32_e64 v67, v65, v7, s[0:1]
; %bb.442:                              ;   in Loop: Header=BB339_179 Depth=1
	s_or_b64 exec, exec, s[12:13]
	v_lshrrev_b32_e32 v62, 16, v62
	v_lshrrev_b32_e32 v64, 16, v64
	;; [unrolled: 1-line block ×8, first 2 shown]
	s_and_saveexec_b64 s[0:1], vcc
	s_cbranch_execz .LBB339_444
; %bb.443:                              ;   in Loop: Header=BB339_179 Depth=1
	v_cmp_gt_i32_e32 vcc, s33, v29
	s_nop 1
	v_cndmask_b32_e32 v6, 0, v6, vcc
	v_cmp_gt_i32_e32 vcc, s33, v36
	s_nop 1
	v_cndmask_b32_e32 v7, 0, v7, vcc
	;; [unrolled: 3-line block ×8, first 2 shown]
.LBB339_444:                            ;   in Loop: Header=BB339_179 Depth=1
	s_or_b64 exec, exec, s[0:1]
	v_lshlrev_b32_e32 v6, 16, v6
	v_mul_f32_e32 v29, v38, v6
	v_and_b32_e32 v6, 0x7f800000, v29
	v_cmp_ne_u32_e32 vcc, s22, v6
                                        ; implicit-def: $vgpr6
	s_and_saveexec_b64 s[0:1], vcc
	s_xor_b64 s[0:1], exec, s[0:1]
; %bb.445:                              ;   in Loop: Header=BB339_179 Depth=1
	v_bfe_u32 v6, v29, 16, 1
	v_add3_u32 v6, v29, v6, s23
                                        ; implicit-def: $vgpr29
; %bb.446:                              ;   in Loop: Header=BB339_179 Depth=1
	s_andn2_saveexec_b64 s[0:1], s[0:1]
; %bb.447:                              ;   in Loop: Header=BB339_179 Depth=1
	v_or_b32_e32 v6, 0x10000, v29
	v_cmp_eq_u32_sdwa vcc, v29, v15 src0_sel:WORD_0 src1_sel:DWORD
	s_nop 1
	v_cndmask_b32_e32 v6, v6, v29, vcc
; %bb.448:                              ;   in Loop: Header=BB339_179 Depth=1
	s_or_b64 exec, exec, s[0:1]
	v_lshlrev_b32_e32 v7, 16, v7
	v_mul_f32_e32 v29, v39, v7
	v_and_b32_e32 v7, 0x7f800000, v29
	v_cmp_ne_u32_e32 vcc, s22, v7
                                        ; implicit-def: $vgpr7
	s_and_saveexec_b64 s[0:1], vcc
	s_xor_b64 s[0:1], exec, s[0:1]
; %bb.449:                              ;   in Loop: Header=BB339_179 Depth=1
	v_bfe_u32 v7, v29, 16, 1
	v_add3_u32 v7, v29, v7, s23
                                        ; implicit-def: $vgpr29
; %bb.450:                              ;   in Loop: Header=BB339_179 Depth=1
	s_andn2_saveexec_b64 s[0:1], s[0:1]
; %bb.451:                              ;   in Loop: Header=BB339_179 Depth=1
	v_or_b32_e32 v7, 0x10000, v29
	v_cmp_eq_u32_sdwa vcc, v29, v15 src0_sel:WORD_0 src1_sel:DWORD
	s_nop 1
	v_cndmask_b32_e32 v7, v7, v29, vcc
; %bb.452:                              ;   in Loop: Header=BB339_179 Depth=1
	s_or_b64 exec, exec, s[0:1]
	v_lshlrev_b32_e32 v29, 16, v63
	v_mul_f32_e32 v30, v40, v29
	v_and_b32_e32 v29, 0x7f800000, v30
	v_cmp_ne_u32_e32 vcc, s22, v29
                                        ; implicit-def: $vgpr29
	s_and_saveexec_b64 s[0:1], vcc
	s_xor_b64 s[0:1], exec, s[0:1]
; %bb.453:                              ;   in Loop: Header=BB339_179 Depth=1
	v_bfe_u32 v29, v30, 16, 1
	v_add3_u32 v29, v30, v29, s23
                                        ; implicit-def: $vgpr30
; %bb.454:                              ;   in Loop: Header=BB339_179 Depth=1
	s_andn2_saveexec_b64 s[0:1], s[0:1]
; %bb.455:                              ;   in Loop: Header=BB339_179 Depth=1
	v_or_b32_e32 v29, 0x10000, v30
	v_cmp_eq_u32_sdwa vcc, v30, v15 src0_sel:WORD_0 src1_sel:DWORD
	s_nop 1
	v_cndmask_b32_e32 v29, v29, v30, vcc
; %bb.456:                              ;   in Loop: Header=BB339_179 Depth=1
	s_or_b64 exec, exec, s[0:1]
	v_lshlrev_b32_e32 v30, 16, v65
	v_mul_f32_e32 v31, v41, v30
	v_and_b32_e32 v30, 0x7f800000, v31
	v_cmp_ne_u32_e32 vcc, s22, v30
                                        ; implicit-def: $vgpr30
	s_and_saveexec_b64 s[0:1], vcc
	s_xor_b64 s[0:1], exec, s[0:1]
; %bb.457:                              ;   in Loop: Header=BB339_179 Depth=1
	v_bfe_u32 v30, v31, 16, 1
	v_add3_u32 v30, v31, v30, s23
                                        ; implicit-def: $vgpr31
; %bb.458:                              ;   in Loop: Header=BB339_179 Depth=1
	s_andn2_saveexec_b64 s[0:1], s[0:1]
; %bb.459:                              ;   in Loop: Header=BB339_179 Depth=1
	v_or_b32_e32 v30, 0x10000, v31
	v_cmp_eq_u32_sdwa vcc, v31, v15 src0_sel:WORD_0 src1_sel:DWORD
	s_nop 1
	v_cndmask_b32_e32 v30, v30, v31, vcc
; %bb.460:                              ;   in Loop: Header=BB339_179 Depth=1
	s_or_b64 exec, exec, s[0:1]
	v_lshlrev_b32_e32 v31, 16, v64
	v_mul_f32_e32 v32, v42, v31
	v_and_b32_e32 v31, 0x7f800000, v32
	v_cmp_ne_u32_e32 vcc, s22, v31
                                        ; implicit-def: $vgpr31
	s_and_saveexec_b64 s[0:1], vcc
	s_xor_b64 s[0:1], exec, s[0:1]
; %bb.461:                              ;   in Loop: Header=BB339_179 Depth=1
	v_bfe_u32 v31, v32, 16, 1
	v_add3_u32 v31, v32, v31, s23
                                        ; implicit-def: $vgpr32
; %bb.462:                              ;   in Loop: Header=BB339_179 Depth=1
	s_andn2_saveexec_b64 s[0:1], s[0:1]
; %bb.463:                              ;   in Loop: Header=BB339_179 Depth=1
	v_or_b32_e32 v31, 0x10000, v32
	v_cmp_eq_u32_sdwa vcc, v32, v15 src0_sel:WORD_0 src1_sel:DWORD
	s_nop 1
	v_cndmask_b32_e32 v31, v31, v32, vcc
; %bb.464:                              ;   in Loop: Header=BB339_179 Depth=1
	s_or_b64 exec, exec, s[0:1]
	v_lshlrev_b32_e32 v32, 16, v62
	v_mul_f32_e32 v33, v43, v32
	v_and_b32_e32 v32, 0x7f800000, v33
	v_cmp_ne_u32_e32 vcc, s22, v32
                                        ; implicit-def: $vgpr32
	s_and_saveexec_b64 s[0:1], vcc
	s_xor_b64 s[0:1], exec, s[0:1]
; %bb.465:                              ;   in Loop: Header=BB339_179 Depth=1
	v_bfe_u32 v32, v33, 16, 1
	v_add3_u32 v32, v33, v32, s23
                                        ; implicit-def: $vgpr33
; %bb.466:                              ;   in Loop: Header=BB339_179 Depth=1
	s_andn2_saveexec_b64 s[0:1], s[0:1]
; %bb.467:                              ;   in Loop: Header=BB339_179 Depth=1
	v_or_b32_e32 v32, 0x10000, v33
	v_cmp_eq_u32_sdwa vcc, v33, v15 src0_sel:WORD_0 src1_sel:DWORD
	s_nop 1
	v_cndmask_b32_e32 v32, v32, v33, vcc
; %bb.468:                              ;   in Loop: Header=BB339_179 Depth=1
	s_or_b64 exec, exec, s[0:1]
	v_lshlrev_b32_e32 v33, 16, v61
	v_mul_f32_e32 v34, v44, v33
	v_and_b32_e32 v33, 0x7f800000, v34
	v_cmp_ne_u32_e32 vcc, s22, v33
                                        ; implicit-def: $vgpr33
	s_and_saveexec_b64 s[0:1], vcc
	s_xor_b64 s[0:1], exec, s[0:1]
; %bb.469:                              ;   in Loop: Header=BB339_179 Depth=1
	v_bfe_u32 v33, v34, 16, 1
	v_add3_u32 v33, v34, v33, s23
                                        ; implicit-def: $vgpr34
; %bb.470:                              ;   in Loop: Header=BB339_179 Depth=1
	s_andn2_saveexec_b64 s[0:1], s[0:1]
; %bb.471:                              ;   in Loop: Header=BB339_179 Depth=1
	v_or_b32_e32 v33, 0x10000, v34
	v_cmp_eq_u32_sdwa vcc, v34, v15 src0_sel:WORD_0 src1_sel:DWORD
	s_nop 1
	v_cndmask_b32_e32 v33, v33, v34, vcc
; %bb.472:                              ;   in Loop: Header=BB339_179 Depth=1
	s_or_b64 exec, exec, s[0:1]
	v_lshlrev_b32_e32 v34, 16, v60
	v_mul_f32_e32 v35, v45, v34
	v_and_b32_e32 v34, 0x7f800000, v35
	v_cmp_ne_u32_e32 vcc, s22, v34
                                        ; implicit-def: $vgpr34
	s_and_saveexec_b64 s[0:1], vcc
	s_xor_b64 s[0:1], exec, s[0:1]
; %bb.473:                              ;   in Loop: Header=BB339_179 Depth=1
	v_bfe_u32 v34, v35, 16, 1
	v_add3_u32 v34, v35, v34, s23
                                        ; implicit-def: $vgpr35
; %bb.474:                              ;   in Loop: Header=BB339_179 Depth=1
	s_andn2_saveexec_b64 s[0:1], s[0:1]
	s_cbranch_execz .LBB339_177
; %bb.475:                              ;   in Loop: Header=BB339_179 Depth=1
	v_or_b32_e32 v34, 0x10000, v35
	v_cmp_eq_u32_sdwa vcc, v35, v15 src0_sel:WORD_0 src1_sel:DWORD
	s_nop 1
	v_cndmask_b32_e32 v34, v34, v35, vcc
	s_branch .LBB339_177
.LBB339_476:
	s_or_b64 exec, exec, s[6:7]
.LBB339_477:
	s_or_b64 exec, exec, s[8:9]
	ds_bpermute_b32 v6, v23, v2
	ds_bpermute_b32 v7, v23, v3
	;; [unrolled: 1-line block ×4, first 2 shown]
	v_and_b32_e32 v1, 0x3c1, v0
	v_cmp_eq_u32_e32 vcc, 64, v1
	s_waitcnt lgkmcnt(2)
	v_pk_add_f32 v[6:7], v[2:3], v[6:7]
	s_waitcnt lgkmcnt(0)
	v_pk_add_f32 v[2:3], v[4:5], v[8:9]
	s_barrier
	s_and_saveexec_b64 s[0:1], vcc
	s_cbranch_execz .LBB339_479
; %bb.478:
	v_mov_b32_e32 v1, 0x110
	v_lshl_add_u32 v1, v22, 1, v1
	ds_write2_b32 v1, v6, v7 offset1:32
	ds_write2_b32 v1, v2, v3 offset0:64 offset1:96
.LBB339_479:
	s_or_b64 exec, exec, s[0:1]
	s_waitcnt lgkmcnt(0)
	s_barrier
	s_and_saveexec_b64 s[0:1], s[10:11]
	s_cbranch_execz .LBB339_486
; %bb.480:
	v_cmp_eq_u32_e32 vcc, 0, v24
	v_lshrrev_b32_e32 v1, 1, v0
	s_and_saveexec_b64 s[2:3], vcc
	s_cbranch_execnz .LBB339_506
; %bb.481:
	s_or_b64 exec, exec, s[2:3]
	s_and_saveexec_b64 s[2:3], vcc
	s_cbranch_execnz .LBB339_507
.LBB339_482:
	s_or_b64 exec, exec, s[2:3]
	s_and_saveexec_b64 s[2:3], vcc
	s_cbranch_execnz .LBB339_508
.LBB339_483:
	s_or_b64 exec, exec, s[2:3]
	s_and_saveexec_b64 s[2:3], vcc
	s_cbranch_execz .LBB339_485
.LBB339_484:
	v_mov_b32_e32 v4, 0x110
	v_lshl_add_u32 v1, v1, 2, v4
	ds_read_b32 v1, v1 offset:384
	s_waitcnt lgkmcnt(0)
	v_add_f32_e32 v3, v3, v1
.LBB339_485:
	s_or_b64 exec, exec, s[2:3]
.LBB339_486:
	s_or_b64 exec, exec, s[0:1]
	s_barrier
	s_and_saveexec_b64 s[0:1], s[10:11]
	s_cbranch_execz .LBB339_505
; %bb.487:
	v_cmp_eq_u32_e32 vcc, 0, v24
	s_and_b64 exec, exec, vcc
	s_cbranch_execz .LBB339_505
; %bb.488:
	s_mov_b32 s0, 0x7f800000
	v_and_b32_e32 v1, 0x7f800000, v6
	v_cmp_ne_u32_e32 vcc, s0, v1
                                        ; implicit-def: $vgpr4
	s_and_saveexec_b64 s[0:1], vcc
	s_xor_b64 s[0:1], exec, s[0:1]
; %bb.489:
	v_bfe_u32 v1, v6, 16, 1
	s_movk_i32 s2, 0x7fff
	v_add3_u32 v4, v6, v1, s2
; %bb.490:
	s_andn2_saveexec_b64 s[0:1], s[0:1]
; %bb.491:
	v_mov_b32_e32 v1, 0
	v_or_b32_e32 v4, 0x10000, v6
	v_cmp_eq_u32_sdwa vcc, v6, v1 src0_sel:WORD_0 src1_sel:DWORD
	s_nop 1
	v_cndmask_b32_e32 v4, v4, v6, vcc
; %bb.492:
	s_or_b64 exec, exec, s[0:1]
	s_mul_i32 s0, s20, s14
	s_mul_i32 s0, s0, s15
	s_lshl_b32 s0, s0, 7
	s_ashr_i32 s1, s0, 31
	s_lshl_b64 s[0:1], s[0:1], 1
	s_add_u32 s2, s36, s0
	s_mul_i32 s0, s20, s34
	s_addc_u32 s3, s37, s1
	s_ashr_i32 s1, s0, 31
	s_lshl_b64 s[0:1], s[0:1], 1
	s_add_u32 s2, s2, s0
	s_addc_u32 s3, s3, s1
	s_lshl_b32 s0, s4, 7
	s_ashr_i32 s1, s0, 31
	s_lshl_b64 s[0:1], s[0:1], 1
	s_add_u32 s0, s2, s0
	s_addc_u32 s1, s3, s1
	v_and_b32_e32 v0, 0x3fe, v0
	global_store_short_d16_hi v0, v4, s[0:1]
	s_mov_b32 s2, 0x7f800000
	v_and_b32_e32 v4, 0x7f800000, v7
	v_mov_b32_e32 v1, 0
	v_cmp_ne_u32_e32 vcc, s2, v4
                                        ; implicit-def: $vgpr6
	s_and_saveexec_b64 s[2:3], vcc
	s_xor_b64 s[2:3], exec, s[2:3]
; %bb.493:
	v_bfe_u32 v4, v7, 16, 1
	s_movk_i32 s4, 0x7fff
	v_add3_u32 v6, v7, v4, s4
; %bb.494:
	s_or_saveexec_b64 s[2:3], s[2:3]
	v_lshl_add_u64 v[4:5], s[0:1], 0, v[0:1]
	s_xor_b64 exec, exec, s[2:3]
; %bb.495:
	v_mov_b32_e32 v0, 0
	v_or_b32_e32 v1, 0x10000, v7
	v_cmp_eq_u32_sdwa vcc, v7, v0 src0_sel:WORD_0 src1_sel:DWORD
	s_nop 1
	v_cndmask_b32_e32 v6, v1, v7, vcc
; %bb.496:
	s_or_b64 exec, exec, s[2:3]
	s_mov_b32 s0, 0x7f800000
	v_and_b32_e32 v0, 0x7f800000, v2
	v_cmp_ne_u32_e32 vcc, s0, v0
	global_store_short_d16_hi v[4:5], v6, off offset:64
                                        ; implicit-def: $vgpr0
	s_and_saveexec_b64 s[0:1], vcc
	s_xor_b64 s[0:1], exec, s[0:1]
; %bb.497:
	v_bfe_u32 v0, v2, 16, 1
	s_movk_i32 s2, 0x7fff
	v_add3_u32 v0, v2, v0, s2
; %bb.498:
	s_andn2_saveexec_b64 s[0:1], s[0:1]
; %bb.499:
	v_mov_b32_e32 v0, 0
	v_or_b32_e32 v1, 0x10000, v2
	v_cmp_eq_u32_sdwa vcc, v2, v0 src0_sel:WORD_0 src1_sel:DWORD
	s_nop 1
	v_cndmask_b32_e32 v0, v1, v2, vcc
; %bb.500:
	s_or_b64 exec, exec, s[0:1]
	global_store_short_d16_hi v[4:5], v0, off offset:128
	s_mov_b32 s0, 0x7f800000
	v_and_b32_e32 v0, 0x7f800000, v3
	v_cmp_ne_u32_e32 vcc, s0, v0
                                        ; implicit-def: $vgpr6
	s_and_saveexec_b64 s[0:1], vcc
	s_xor_b64 s[0:1], exec, s[0:1]
; %bb.501:
	v_bfe_u32 v0, v3, 16, 1
	s_movk_i32 s2, 0x7fff
	v_add3_u32 v6, v3, v0, s2
                                        ; implicit-def: $vgpr0_vgpr1_vgpr2_vgpr3
; %bb.502:
	s_andn2_saveexec_b64 s[0:1], s[0:1]
; %bb.503:
	v_mov_b32_e32 v0, 0
	v_or_b32_e32 v1, 0x10000, v3
	v_cmp_eq_u32_sdwa vcc, v3, v0 src0_sel:WORD_0 src1_sel:DWORD
	s_nop 1
	v_cndmask_b32_e32 v6, v1, v3, vcc
; %bb.504:
	s_or_b64 exec, exec, s[0:1]
	global_store_short_d16_hi v[4:5], v6, off offset:192
.LBB339_505:
	s_endpgm
.LBB339_506:
	v_mov_b32_e32 v4, 0x110
	v_lshl_add_u32 v4, v1, 2, v4
	ds_read_b32 v4, v4
	s_waitcnt lgkmcnt(0)
	v_add_f32_e32 v6, v6, v4
	s_or_b64 exec, exec, s[2:3]
	s_and_saveexec_b64 s[2:3], vcc
	s_cbranch_execz .LBB339_482
.LBB339_507:
	v_mov_b32_e32 v4, 0x110
	v_lshl_add_u32 v4, v1, 2, v4
	ds_read_b32 v4, v4 offset:128
	s_waitcnt lgkmcnt(0)
	v_add_f32_e32 v7, v7, v4
	s_or_b64 exec, exec, s[2:3]
	s_and_saveexec_b64 s[2:3], vcc
	s_cbranch_execz .LBB339_483
.LBB339_508:
	v_mov_b32_e32 v4, 0x110
	v_lshl_add_u32 v4, v1, 2, v4
	ds_read_b32 v4, v4 offset:256
	s_waitcnt lgkmcnt(0)
	v_add_f32_e32 v2, v2, v4
	s_or_b64 exec, exec, s[2:3]
	s_and_saveexec_b64 s[2:3], vcc
	s_cbranch_execnz .LBB339_484
	s_branch .LBB339_485
	.section	.rodata,"a",@progbits
	.p2align	6, 0x0
	.amdhsa_kernel _ZN4vllm25paged_attention_v2_kernelI14__hip_bfloat16hLi128ELi16ELi128ELNS_18Fp8KVCacheDataTypeE1ELb1ELi512EEEvPfS3_PT_PKS4_PKT0_SA_ifPKiSC_iPKfiiiSE_SE_iiiii
		.amdhsa_group_segment_fixed_size 272
		.amdhsa_private_segment_fixed_size 0
		.amdhsa_kernarg_size 400
		.amdhsa_user_sgpr_count 2
		.amdhsa_user_sgpr_dispatch_ptr 0
		.amdhsa_user_sgpr_queue_ptr 0
		.amdhsa_user_sgpr_kernarg_segment_ptr 1
		.amdhsa_user_sgpr_dispatch_id 0
		.amdhsa_user_sgpr_kernarg_preload_length 0
		.amdhsa_user_sgpr_kernarg_preload_offset 0
		.amdhsa_user_sgpr_private_segment_size 0
		.amdhsa_uses_dynamic_stack 0
		.amdhsa_enable_private_segment 0
		.amdhsa_system_sgpr_workgroup_id_x 1
		.amdhsa_system_sgpr_workgroup_id_y 1
		.amdhsa_system_sgpr_workgroup_id_z 1
		.amdhsa_system_sgpr_workgroup_info 0
		.amdhsa_system_vgpr_workitem_id 0
		.amdhsa_next_free_vgpr 88
		.amdhsa_next_free_sgpr 62
		.amdhsa_accum_offset 88
		.amdhsa_reserve_vcc 1
		.amdhsa_float_round_mode_32 0
		.amdhsa_float_round_mode_16_64 0
		.amdhsa_float_denorm_mode_32 3
		.amdhsa_float_denorm_mode_16_64 3
		.amdhsa_dx10_clamp 1
		.amdhsa_ieee_mode 1
		.amdhsa_fp16_overflow 0
		.amdhsa_tg_split 0
		.amdhsa_exception_fp_ieee_invalid_op 0
		.amdhsa_exception_fp_denorm_src 0
		.amdhsa_exception_fp_ieee_div_zero 0
		.amdhsa_exception_fp_ieee_overflow 0
		.amdhsa_exception_fp_ieee_underflow 0
		.amdhsa_exception_fp_ieee_inexact 0
		.amdhsa_exception_int_div_zero 0
	.end_amdhsa_kernel
	.section	.text._ZN4vllm25paged_attention_v2_kernelI14__hip_bfloat16hLi128ELi16ELi128ELNS_18Fp8KVCacheDataTypeE1ELb1ELi512EEEvPfS3_PT_PKS4_PKT0_SA_ifPKiSC_iPKfiiiSE_SE_iiiii,"axG",@progbits,_ZN4vllm25paged_attention_v2_kernelI14__hip_bfloat16hLi128ELi16ELi128ELNS_18Fp8KVCacheDataTypeE1ELb1ELi512EEEvPfS3_PT_PKS4_PKT0_SA_ifPKiSC_iPKfiiiSE_SE_iiiii,comdat
.Lfunc_end339:
	.size	_ZN4vllm25paged_attention_v2_kernelI14__hip_bfloat16hLi128ELi16ELi128ELNS_18Fp8KVCacheDataTypeE1ELb1ELi512EEEvPfS3_PT_PKS4_PKT0_SA_ifPKiSC_iPKfiiiSE_SE_iiiii, .Lfunc_end339-_ZN4vllm25paged_attention_v2_kernelI14__hip_bfloat16hLi128ELi16ELi128ELNS_18Fp8KVCacheDataTypeE1ELb1ELi512EEEvPfS3_PT_PKS4_PKT0_SA_ifPKiSC_iPKfiiiSE_SE_iiiii
                                        ; -- End function
	.section	.AMDGPU.csdata,"",@progbits
; Kernel info:
; codeLenInByte = 15924
; NumSgprs: 68
; NumVgprs: 88
; NumAgprs: 0
; TotalNumVgprs: 88
; ScratchSize: 0
; MemoryBound: 0
; FloatMode: 240
; IeeeMode: 1
; LDSByteSize: 272 bytes/workgroup (compile time only)
; SGPRBlocks: 8
; VGPRBlocks: 10
; NumSGPRsForWavesPerEU: 68
; NumVGPRsForWavesPerEU: 88
; AccumOffset: 88
; Occupancy: 5
; WaveLimiterHint : 1
; COMPUTE_PGM_RSRC2:SCRATCH_EN: 0
; COMPUTE_PGM_RSRC2:USER_SGPR: 2
; COMPUTE_PGM_RSRC2:TRAP_HANDLER: 0
; COMPUTE_PGM_RSRC2:TGID_X_EN: 1
; COMPUTE_PGM_RSRC2:TGID_Y_EN: 1
; COMPUTE_PGM_RSRC2:TGID_Z_EN: 1
; COMPUTE_PGM_RSRC2:TIDIG_COMP_CNT: 0
; COMPUTE_PGM_RSRC3_GFX90A:ACCUM_OFFSET: 21
; COMPUTE_PGM_RSRC3_GFX90A:TG_SPLIT: 0
	.section	.text._ZN4vllm25paged_attention_v2_kernelI14__hip_bfloat16hLi192ELi16ELi128ELNS_18Fp8KVCacheDataTypeE1ELb1ELi512EEEvPfS3_PT_PKS4_PKT0_SA_ifPKiSC_iPKfiiiSE_SE_iiiii,"axG",@progbits,_ZN4vllm25paged_attention_v2_kernelI14__hip_bfloat16hLi192ELi16ELi128ELNS_18Fp8KVCacheDataTypeE1ELb1ELi512EEEvPfS3_PT_PKS4_PKT0_SA_ifPKiSC_iPKfiiiSE_SE_iiiii,comdat
	.protected	_ZN4vllm25paged_attention_v2_kernelI14__hip_bfloat16hLi192ELi16ELi128ELNS_18Fp8KVCacheDataTypeE1ELb1ELi512EEEvPfS3_PT_PKS4_PKT0_SA_ifPKiSC_iPKfiiiSE_SE_iiiii ; -- Begin function _ZN4vllm25paged_attention_v2_kernelI14__hip_bfloat16hLi192ELi16ELi128ELNS_18Fp8KVCacheDataTypeE1ELb1ELi512EEEvPfS3_PT_PKS4_PKT0_SA_ifPKiSC_iPKfiiiSE_SE_iiiii
	.globl	_ZN4vllm25paged_attention_v2_kernelI14__hip_bfloat16hLi192ELi16ELi128ELNS_18Fp8KVCacheDataTypeE1ELb1ELi512EEEvPfS3_PT_PKS4_PKT0_SA_ifPKiSC_iPKfiiiSE_SE_iiiii
	.p2align	8
	.type	_ZN4vllm25paged_attention_v2_kernelI14__hip_bfloat16hLi192ELi16ELi128ELNS_18Fp8KVCacheDataTypeE1ELb1ELi512EEEvPfS3_PT_PKS4_PKT0_SA_ifPKiSC_iPKfiiiSE_SE_iiiii,@function
_ZN4vllm25paged_attention_v2_kernelI14__hip_bfloat16hLi192ELi16ELi128ELNS_18Fp8KVCacheDataTypeE1ELb1ELi512EEEvPfS3_PT_PKS4_PKT0_SA_ifPKiSC_iPKfiiiSE_SE_iiiii: ; @_ZN4vllm25paged_attention_v2_kernelI14__hip_bfloat16hLi192ELi16ELi128ELNS_18Fp8KVCacheDataTypeE1ELb1ELi512EEEvPfS3_PT_PKS4_PKT0_SA_ifPKiSC_iPKfiiiSE_SE_iiiii
; %bb.0:
	s_load_dwordx2 s[6:7], s[0:1], 0x40
	s_mov_b32 s28, s3
	s_ashr_i32 s29, s3, 31
	s_lshl_b64 s[8:9], s[28:29], 2
	s_waitcnt lgkmcnt(0)
	s_add_u32 s6, s6, s8
	s_addc_u32 s7, s7, s9
	s_load_dword s33, s[6:7], 0x0
	s_lshl_b32 s5, s4, 9
	s_waitcnt lgkmcnt(0)
	s_cmp_ge_i32 s5, s33
	s_cbranch_scc1 .LBB340_711
; %bb.1:
	s_load_dword s29, s[0:1], 0x90
	s_load_dwordx2 s[42:43], s[0:1], 0x30
	s_waitcnt lgkmcnt(0)
	s_abs_i32 s7, s29
	s_abs_i32 s3, s42
	v_cvt_f32_u32_e32 v1, s3
	s_sub_i32 s8, 0, s3
	s_xor_b32 s6, s29, s42
	s_ashr_i32 s6, s6, 31
	v_rcp_iflag_f32_e32 v1, v1
	s_nop 0
	v_mul_f32_e32 v1, 0x4f7ffffe, v1
	v_cvt_u32_f32_e32 v1, v1
	s_nop 0
	v_readfirstlane_b32 s9, v1
	s_mul_i32 s8, s8, s9
	s_mul_hi_u32 s8, s9, s8
	s_add_i32 s9, s9, s8
	s_mul_hi_u32 s8, s7, s9
	s_mul_i32 s9, s8, s3
	s_sub_i32 s7, s7, s9
	s_add_i32 s10, s8, 1
	s_sub_i32 s9, s7, s3
	s_cmp_ge_u32 s7, s3
	s_cselect_b32 s8, s10, s8
	s_cselect_b32 s7, s9, s7
	s_add_i32 s9, s8, 1
	s_cmp_ge_u32 s7, s3
	s_cselect_b32 s3, s9, s8
	s_xor_b32 s3, s3, s6
	s_sub_i32 s12, s3, s6
	s_abs_i32 s8, s12
	v_cvt_f32_u32_e32 v1, s8
	s_load_dwordx2 s[6:7], s[0:1], 0x50
	s_sub_i32 s10, 0, s8
	s_abs_i32 s9, s2
	v_rcp_iflag_f32_e32 v1, v1
	s_mov_b32 s3, 0
	v_mul_f32_e32 v1, 0x4f7ffffe, v1
	v_cvt_u32_f32_e32 v1, v1
	s_nop 0
	v_readfirstlane_b32 s11, v1
	s_mul_i32 s10, s10, s11
	s_mul_hi_u32 s10, s11, s10
	s_add_i32 s11, s11, s10
	s_waitcnt lgkmcnt(0)
	s_cmp_eq_u64 s[6:7], 0
	s_mul_hi_u32 s10, s9, s11
	s_cbranch_scc1 .LBB340_3
; %bb.2:
	s_ashr_i32 s3, s2, 31
	s_lshl_b64 s[14:15], s[2:3], 2
	s_add_u32 s6, s6, s14
	s_addc_u32 s7, s7, s15
	s_load_dword s3, s[6:7], 0x0
.LBB340_3:
	s_load_dwordx4 s[16:19], s[0:1], 0x58
	s_movk_i32 s13, 0x60
	s_ashr_i32 s11, s2, 31
	s_ashr_i32 s12, s12, 31
	v_and_b32_e32 v2, 3, v0
	s_mul_i32 s30, s2, 0xc0
	v_cmp_gt_u32_e32 vcc, s13, v0
	s_and_saveexec_b64 s[6:7], vcc
	s_cbranch_execz .LBB340_5
; %bb.4:
	s_load_dwordx2 s[14:15], s[0:1], 0x18
	s_waitcnt lgkmcnt(0)
	s_mul_i32 s20, s28, s16
	s_ashr_i32 s21, s20, 31
	s_lshl_b64 s[20:21], s[20:21], 1
	v_lshlrev_b32_e32 v1, 2, v0
	s_add_u32 s16, s14, s20
	s_addc_u32 s19, s15, s21
	s_ashr_i32 s31, s30, 31
	s_lshl_b64 s[14:15], s[30:31], 1
	s_add_u32 s14, s16, s14
	s_addc_u32 s15, s19, s15
	global_load_dword v1, v1, s[14:15]
	v_and_b32_e32 v3, 0x3fc, v0
	v_mad_u32_u24 v3, v2, s13, v3
	s_waitcnt vmcnt(0)
	ds_write_b32 v3, v1
.LBB340_5:
	s_or_b64 exec, exec, s[6:7]
	s_mul_i32 s7, s10, s8
	s_sub_i32 s7, s9, s7
	s_xor_b32 s6, s11, s12
	s_add_i32 s9, s10, 1
	s_sub_i32 s11, s7, s8
	s_load_dwordx4 s[20:23], s[0:1], 0x78
	s_cmp_ge_u32 s7, s8
	s_cselect_b32 s9, s9, s10
	s_cselect_b32 s7, s11, s7
	s_add_i32 s10, s9, 1
	s_cmp_ge_u32 s7, s8
	s_cselect_b32 s7, s10, s9
	s_load_dword s10, s[0:1], 0x88
	s_waitcnt lgkmcnt(0)
	s_abs_i32 s31, s23
	v_cvt_f32_u32_e32 v1, s31
	s_xor_b32 s7, s7, s6
	s_sub_i32 s51, s7, s6
	s_sub_i32 s6, 0, s31
	v_rcp_iflag_f32_e32 v1, v1
	s_add_i32 s11, s33, -1
	s_abs_i32 s8, s11
	v_mul_f32_e32 v1, 0x4f7ffffe, v1
	v_cvt_u32_f32_e32 v1, v1
	s_barrier
	v_readfirstlane_b32 s48, v1
	s_mul_i32 s6, s6, s48
	s_mul_hi_u32 s6, s48, s6
	s_add_i32 s48, s48, s6
	s_cmp_lt_i32 s10, 0
	s_mul_hi_u32 s9, s8, s48
	s_cbranch_scc0 .LBB340_7
; %bb.6:
	s_mul_i32 s6, s20, s42
	s_add_i32 s6, s51, s6
	s_mul_i32 s6, s6, s10
	s_sub_i32 s42, 1, s6
	s_mov_b64 s[6:7], 0
	s_branch .LBB340_8
.LBB340_7:
	s_mov_b64 s[6:7], -1
                                        ; implicit-def: $sgpr42
.LBB340_8:
	s_load_dwordx2 s[36:37], s[0:1], 0x38
	s_ashr_i32 s11, s11, 31
	s_andn2_b64 vcc, exec, s[6:7]
	s_ashr_i32 s23, s23, 31
	s_cbranch_vccnz .LBB340_10
; %bb.9:
	s_mul_i32 s6, s29, s20
	s_add_i32 s6, s6, s2
	s_mul_i32 s6, s6, s10
	s_add_i32 s42, s6, 1
.LBB340_10:
	s_load_dwordx2 s[40:41], s[0:1], 0x28
	s_load_dword s6, s[0:1], 0x48
	s_load_dwordx4 s[24:27], s[0:1], 0x0
	s_load_dwordx2 s[34:35], s[0:1], 0x10
	s_load_dword s16, s[0:1], 0x98
	s_load_dwordx4 s[12:15], s[0:1], 0x68
	s_mul_i32 s7, s9, s31
	s_waitcnt lgkmcnt(0)
	s_mul_i32 s38, s28, s6
	s_sub_i32 s7, s8, s7
	s_ashr_i32 s39, s38, 31
	s_xor_b32 s6, s11, s23
	s_add_i32 s8, s9, 1
	s_sub_i32 s10, s7, s31
	s_cmp_ge_u32 s7, s31
	s_cselect_b32 s8, s8, s9
	s_cselect_b32 s7, s10, s7
	s_add_i32 s9, s8, 1
	s_cmp_ge_u32 s7, s31
	s_cselect_b32 s7, s9, s8
	s_xor_b32 s7, s7, s6
	s_sub_i32 s50, s7, s6
	s_add_i32 s6, s33, 15
	s_ashr_i32 s7, s6, 31
	s_lshr_b32 s7, s7, 28
	s_add_i32 s6, s6, s7
	s_lshl_b32 s52, s4, 5
	s_ashr_i32 s49, s6, 4
	s_add_i32 s6, s52, 32
	v_lshrrev_b32_e32 v36, 6, v0
	s_min_i32 s20, s6, s49
	v_or_b32_e32 v26, s52, v36
	v_cmp_gt_i32_e64 s[8:9], s20, v26
	v_mov_b32_e32 v40, 0xff7fffff
	s_mul_i32 s51, s51, s18
	v_ashrrev_i32_e32 v27, 31, v26
	v_lshl_add_u32 v1, v36, 4, s5
	v_mbcnt_lo_u32_b32 v37, -1, 0
	s_and_saveexec_b64 s[18:19], s[8:9]
	s_cbranch_execz .LBB340_212
; %bb.11:
	s_load_dwordx2 s[0:1], s[0:1], 0x20
	s_sub_i32 s53, s50, s21
	s_ashr_i32 s6, s51, 31
	v_bfe_u32 v38, v0, 2, 4
	v_mov_b32_e32 v29, 0
	s_waitcnt lgkmcnt(0)
	s_add_u32 s0, s0, s51
	s_addc_u32 s1, s1, s6
	s_abs_i32 s54, s22
	v_cvt_f32_u32_e32 v3, s54
	v_lshlrev_b32_e32 v28, 4, v38
	v_lshl_add_u64 v[30:31], s[0:1], 0, v[28:29]
	s_sub_i32 s0, 0, s54
	v_rcp_iflag_f32_e32 v3, v3
	v_cmp_eq_u32_e32 vcc, 0, v2
	v_mul_u32_u24_e32 v39, 0x60, v2
	v_lshlrev_b32_e32 v28, 1, v2
	v_mul_f32_e32 v3, 0x4f7ffffe, v3
	v_cvt_u32_f32_e32 v3, v3
	s_mov_b32 s55, s17
	v_cmp_neq_f32_e64 s[6:7], s3, 0
	v_lshl_add_u32 v42, v36, 4, s5
	v_mul_lo_u32 v2, s0, v3
	v_mul_hi_u32 v2, v3, v2
	v_add_u32_e32 v41, v3, v2
	s_lshl_b64 s[0:1], s[38:39], 2
	v_lshlrev_b32_e32 v2, 2, v38
	s_add_u32 s0, s36, s0
	v_lshl_or_b32 v2, v36, 6, v2
	s_addc_u32 s1, s37, s1
	v_add_u32_e32 v43, 0x190, v2
	v_subrev_u32_e32 v2, s33, v38
	v_lshl_add_u64 v[32:33], v[26:27], 2, s[0:1]
	v_add_u32_e32 v44, 1, v2
	s_mov_b64 s[44:45], 0
	v_mov_b32_e32 v45, 0xff7fffff
	s_mov_b32 s56, 0xffff
	s_mov_b32 s57, 0x7f800000
	s_movk_i32 s58, 0x7fff
	v_mbcnt_hi_u32_b32 v46, -1, v37
	v_mov_b32_e32 v40, 0xff7fffff
	v_mov_b32_e32 v47, v26
	s_branch .LBB340_14
.LBB340_12:                             ;   in Loop: Header=BB340_14 Depth=1
	s_or_b64 exec, exec, s[46:47]
.LBB340_13:                             ;   in Loop: Header=BB340_14 Depth=1
	s_or_b64 exec, exec, s[10:11]
	v_add_u32_e32 v47, 2, v47
	v_cmp_le_i32_e64 s[0:1], s20, v47
	v_lshl_add_u64 v[32:33], v[32:33], 0, 8
	v_add_u32_e32 v42, 32, v42
	s_or_b64 s[44:45], s[0:1], s[44:45]
	v_add_u32_e32 v43, 0x80, v43
	s_andn2_b64 exec, exec, s[44:45]
	s_cbranch_execz .LBB340_211
.LBB340_14:                             ; =>This Inner Loop Header: Depth=1
	s_waitcnt lgkmcnt(0)
	v_sub_u32_e32 v3, 0, v42
	v_max_i32_e32 v3, v42, v3
	v_mul_hi_u32 v4, v3, s48
	v_mul_lo_u32 v5, v4, s31
	v_sub_u32_e32 v3, v3, v5
	v_add_u32_e32 v5, 1, v4
	v_cmp_le_u32_e64 s[0:1], s31, v3
	v_ashrrev_i32_e32 v2, 31, v42
	v_xor_b32_e32 v2, s23, v2
	v_cndmask_b32_e64 v4, v4, v5, s[0:1]
	v_subrev_u32_e32 v5, s31, v3
	v_cndmask_b32_e64 v3, v3, v5, s[0:1]
	v_add_u32_e32 v5, 1, v4
	v_cmp_le_u32_e64 s[0:1], s31, v3
	s_nop 1
	v_cndmask_b32_e64 v3, v4, v5, s[0:1]
	v_xor_b32_e32 v3, v3, v2
	v_sub_u32_e32 v2, v3, v2
	v_add_u32_e32 v3, s42, v2
	v_sub_u32_e32 v5, 0, v3
	v_ashrrev_i32_e32 v4, 31, v3
	v_max_i32_e32 v3, v3, v5
	v_mul_hi_u32 v5, v3, v41
	v_mul_lo_u32 v5, v5, s54
	v_sub_u32_e32 v3, v3, v5
	v_subrev_u32_e32 v5, s54, v3
	v_cmp_le_u32_e64 s[0:1], s54, v3
	v_cmp_ge_i32_e64 s[10:11], s53, v2
	s_nop 0
	v_cndmask_b32_e64 v3, v3, v5, s[0:1]
	v_subrev_u32_e32 v5, s54, v3
	v_cmp_le_u32_e64 s[0:1], s54, v3
	s_nop 1
	v_cndmask_b32_e64 v3, v3, v5, s[0:1]
	v_xor_b32_e32 v3, v3, v4
	v_sub_u32_e32 v3, v3, v4
	v_cmp_ne_u32_e64 s[0:1], 0, v3
	s_and_b64 s[0:1], s[0:1], s[10:11]
	s_and_b64 s[46:47], vcc, s[0:1]
	s_and_saveexec_b64 s[10:11], s[46:47]
	s_cbranch_execz .LBB340_16
; %bb.15:                               ;   in Loop: Header=BB340_14 Depth=1
	ds_write_b32 v43, v45
.LBB340_16:                             ;   in Loop: Header=BB340_14 Depth=1
	s_or_b64 exec, exec, s[10:11]
	s_xor_b64 s[0:1], s[0:1], -1
	s_and_saveexec_b64 s[10:11], s[0:1]
	s_cbranch_execz .LBB340_13
; %bb.17:                               ;   in Loop: Header=BB340_14 Depth=1
	global_load_dword v2, v[32:33], off
	s_waitcnt vmcnt(0)
	v_mad_i64_i32 v[2:3], s[0:1], v2, s55, v[30:31]
	v_lshl_add_u64 v[34:35], v[2:3], 0, v[28:29]
	global_load_ushort v49, v[34:35], off
	ds_read_b128 v[22:25], v39
	ds_read_b128 v[18:21], v39 offset:16
	ds_read_b128 v[14:17], v39 offset:32
	;; [unrolled: 1-line block ×3, first 2 shown]
	s_load_dword s59, s[12:13], 0x0
	s_waitcnt vmcnt(0)
	v_and_b32_sdwa v2, s56, v49 dst_sel:DWORD dst_unused:UNUSED_PAD src0_sel:DWORD src1_sel:BYTE_0
	v_cvt_f32_fp8_sdwa v48, v2 src0_sel:BYTE_0
	ds_read_b128 v[6:9], v39 offset:64
	ds_read_b128 v[2:5], v39 offset:80
	s_waitcnt lgkmcnt(0)
	v_mul_f32_e32 v50, s59, v48
	v_and_b32_e32 v48, 0x7f800000, v50
	v_cmp_ne_u32_e64 s[0:1], s57, v48
                                        ; implicit-def: $vgpr48
	s_and_saveexec_b64 s[46:47], s[0:1]
	s_xor_b64 s[0:1], exec, s[46:47]
; %bb.18:                               ;   in Loop: Header=BB340_14 Depth=1
	v_bfe_u32 v48, v50, 16, 1
	v_add3_u32 v48, v50, v48, s58
                                        ; implicit-def: $vgpr50
; %bb.19:                               ;   in Loop: Header=BB340_14 Depth=1
	s_andn2_saveexec_b64 s[46:47], s[0:1]
; %bb.20:                               ;   in Loop: Header=BB340_14 Depth=1
	v_or_b32_e32 v48, 0x10000, v50
	v_cmp_eq_u32_sdwa s[0:1], v50, v29 src0_sel:WORD_0 src1_sel:DWORD
	s_nop 1
	v_cndmask_b32_e64 v48, v48, v50, s[0:1]
; %bb.21:                               ;   in Loop: Header=BB340_14 Depth=1
	s_or_b64 exec, exec, s[46:47]
	v_lshrrev_b16_e32 v49, 8, v49
	v_cvt_f32_fp8_sdwa v49, v49 src0_sel:BYTE_0
	s_nop 0
	v_mul_f32_e32 v50, s59, v49
	v_and_b32_e32 v49, 0x7f800000, v50
	v_cmp_ne_u32_e64 s[0:1], s57, v49
                                        ; implicit-def: $vgpr49
	s_and_saveexec_b64 s[46:47], s[0:1]
	s_xor_b64 s[0:1], exec, s[46:47]
; %bb.22:                               ;   in Loop: Header=BB340_14 Depth=1
	v_bfe_u32 v49, v50, 16, 1
	v_add3_u32 v49, v50, v49, s58
                                        ; implicit-def: $vgpr50
; %bb.23:                               ;   in Loop: Header=BB340_14 Depth=1
	s_andn2_saveexec_b64 s[46:47], s[0:1]
; %bb.24:                               ;   in Loop: Header=BB340_14 Depth=1
	v_or_b32_e32 v49, 0x10000, v50
	v_cmp_eq_u32_sdwa s[0:1], v50, v29 src0_sel:WORD_0 src1_sel:DWORD
	s_nop 1
	v_cndmask_b32_e64 v49, v49, v50, s[0:1]
; %bb.25:                               ;   in Loop: Header=BB340_14 Depth=1
	s_or_b64 exec, exec, s[46:47]
	global_load_ushort v51, v[34:35], off offset:8
	s_waitcnt vmcnt(0)
	v_and_b32_sdwa v50, s56, v51 dst_sel:DWORD dst_unused:UNUSED_PAD src0_sel:DWORD src1_sel:BYTE_0
	v_cvt_f32_fp8_sdwa v50, v50 src0_sel:BYTE_0
	s_nop 0
	v_mul_f32_e32 v52, s59, v50
	v_and_b32_e32 v50, 0x7f800000, v52
	v_cmp_ne_u32_e64 s[0:1], s57, v50
                                        ; implicit-def: $vgpr50
	s_and_saveexec_b64 s[46:47], s[0:1]
	s_xor_b64 s[0:1], exec, s[46:47]
; %bb.26:                               ;   in Loop: Header=BB340_14 Depth=1
	v_bfe_u32 v50, v52, 16, 1
	v_add3_u32 v50, v52, v50, s58
                                        ; implicit-def: $vgpr52
; %bb.27:                               ;   in Loop: Header=BB340_14 Depth=1
	s_andn2_saveexec_b64 s[46:47], s[0:1]
; %bb.28:                               ;   in Loop: Header=BB340_14 Depth=1
	v_or_b32_e32 v50, 0x10000, v52
	v_cmp_eq_u32_sdwa s[0:1], v52, v29 src0_sel:WORD_0 src1_sel:DWORD
	s_nop 1
	v_cndmask_b32_e64 v50, v50, v52, s[0:1]
; %bb.29:                               ;   in Loop: Header=BB340_14 Depth=1
	s_or_b64 exec, exec, s[46:47]
	v_lshrrev_b16_e32 v51, 8, v51
	v_cvt_f32_fp8_sdwa v51, v51 src0_sel:BYTE_0
	s_nop 0
	v_mul_f32_e32 v51, s59, v51
	v_and_b32_e32 v52, 0x7f800000, v51
	v_cmp_ne_u32_e64 s[0:1], s57, v52
                                        ; implicit-def: $vgpr52
	s_and_saveexec_b64 s[46:47], s[0:1]
	s_xor_b64 s[0:1], exec, s[46:47]
; %bb.30:                               ;   in Loop: Header=BB340_14 Depth=1
	v_bfe_u32 v52, v51, 16, 1
	v_add3_u32 v52, v51, v52, s58
                                        ; implicit-def: $vgpr51
; %bb.31:                               ;   in Loop: Header=BB340_14 Depth=1
	s_andn2_saveexec_b64 s[46:47], s[0:1]
; %bb.32:                               ;   in Loop: Header=BB340_14 Depth=1
	v_or_b32_e32 v52, 0x10000, v51
	v_cmp_eq_u32_sdwa s[0:1], v51, v29 src0_sel:WORD_0 src1_sel:DWORD
	s_nop 1
	v_cndmask_b32_e64 v52, v52, v51, s[0:1]
; %bb.33:                               ;   in Loop: Header=BB340_14 Depth=1
	s_or_b64 exec, exec, s[46:47]
	global_load_ushort v53, v[34:35], off offset:256
	s_waitcnt vmcnt(0)
	v_and_b32_sdwa v51, s56, v53 dst_sel:DWORD dst_unused:UNUSED_PAD src0_sel:DWORD src1_sel:BYTE_0
	v_cvt_f32_fp8_sdwa v51, v51 src0_sel:BYTE_0
	s_nop 0
	v_mul_f32_e32 v54, s59, v51
	v_and_b32_e32 v51, 0x7f800000, v54
	v_cmp_ne_u32_e64 s[0:1], s57, v51
                                        ; implicit-def: $vgpr51
	s_and_saveexec_b64 s[46:47], s[0:1]
	s_xor_b64 s[0:1], exec, s[46:47]
; %bb.34:                               ;   in Loop: Header=BB340_14 Depth=1
	v_bfe_u32 v51, v54, 16, 1
	v_add3_u32 v51, v54, v51, s58
                                        ; implicit-def: $vgpr54
; %bb.35:                               ;   in Loop: Header=BB340_14 Depth=1
	s_andn2_saveexec_b64 s[46:47], s[0:1]
; %bb.36:                               ;   in Loop: Header=BB340_14 Depth=1
	v_or_b32_e32 v51, 0x10000, v54
	v_cmp_eq_u32_sdwa s[0:1], v54, v29 src0_sel:WORD_0 src1_sel:DWORD
	s_nop 1
	v_cndmask_b32_e64 v51, v51, v54, s[0:1]
; %bb.37:                               ;   in Loop: Header=BB340_14 Depth=1
	s_or_b64 exec, exec, s[46:47]
	v_lshrrev_b16_e32 v53, 8, v53
	v_cvt_f32_fp8_sdwa v53, v53 src0_sel:BYTE_0
	s_nop 0
	v_mul_f32_e32 v54, s59, v53
	v_and_b32_e32 v53, 0x7f800000, v54
	v_cmp_ne_u32_e64 s[0:1], s57, v53
                                        ; implicit-def: $vgpr53
	s_and_saveexec_b64 s[46:47], s[0:1]
	s_xor_b64 s[0:1], exec, s[46:47]
; %bb.38:                               ;   in Loop: Header=BB340_14 Depth=1
	v_bfe_u32 v53, v54, 16, 1
	v_add3_u32 v53, v54, v53, s58
                                        ; implicit-def: $vgpr54
; %bb.39:                               ;   in Loop: Header=BB340_14 Depth=1
	s_andn2_saveexec_b64 s[46:47], s[0:1]
; %bb.40:                               ;   in Loop: Header=BB340_14 Depth=1
	v_or_b32_e32 v53, 0x10000, v54
	v_cmp_eq_u32_sdwa s[0:1], v54, v29 src0_sel:WORD_0 src1_sel:DWORD
	s_nop 1
	v_cndmask_b32_e64 v53, v53, v54, s[0:1]
; %bb.41:                               ;   in Loop: Header=BB340_14 Depth=1
	s_or_b64 exec, exec, s[46:47]
	global_load_ushort v54, v[34:35], off offset:264
	s_waitcnt vmcnt(0)
	v_and_b32_sdwa v55, s56, v54 dst_sel:DWORD dst_unused:UNUSED_PAD src0_sel:DWORD src1_sel:BYTE_0
	v_cvt_f32_fp8_sdwa v55, v55 src0_sel:BYTE_0
	s_nop 0
	v_mul_f32_e32 v56, s59, v55
	v_and_b32_e32 v55, 0x7f800000, v56
	v_cmp_ne_u32_e64 s[0:1], s57, v55
                                        ; implicit-def: $vgpr55
	s_and_saveexec_b64 s[46:47], s[0:1]
	s_xor_b64 s[0:1], exec, s[46:47]
; %bb.42:                               ;   in Loop: Header=BB340_14 Depth=1
	v_bfe_u32 v55, v56, 16, 1
	v_add3_u32 v55, v56, v55, s58
                                        ; implicit-def: $vgpr56
; %bb.43:                               ;   in Loop: Header=BB340_14 Depth=1
	s_andn2_saveexec_b64 s[46:47], s[0:1]
; %bb.44:                               ;   in Loop: Header=BB340_14 Depth=1
	v_or_b32_e32 v55, 0x10000, v56
	v_cmp_eq_u32_sdwa s[0:1], v56, v29 src0_sel:WORD_0 src1_sel:DWORD
	s_nop 1
	v_cndmask_b32_e64 v55, v55, v56, s[0:1]
; %bb.45:                               ;   in Loop: Header=BB340_14 Depth=1
	s_or_b64 exec, exec, s[46:47]
	v_lshrrev_b16_e32 v54, 8, v54
	v_cvt_f32_fp8_sdwa v54, v54 src0_sel:BYTE_0
	s_nop 0
	v_mul_f32_e32 v56, s59, v54
	v_and_b32_e32 v54, 0x7f800000, v56
	v_cmp_ne_u32_e64 s[0:1], s57, v54
                                        ; implicit-def: $vgpr54
	s_and_saveexec_b64 s[46:47], s[0:1]
	s_xor_b64 s[0:1], exec, s[46:47]
; %bb.46:                               ;   in Loop: Header=BB340_14 Depth=1
	v_bfe_u32 v54, v56, 16, 1
	v_add3_u32 v54, v56, v54, s58
                                        ; implicit-def: $vgpr56
; %bb.47:                               ;   in Loop: Header=BB340_14 Depth=1
	s_andn2_saveexec_b64 s[46:47], s[0:1]
; %bb.48:                               ;   in Loop: Header=BB340_14 Depth=1
	v_or_b32_e32 v54, 0x10000, v56
	v_cmp_eq_u32_sdwa s[0:1], v56, v29 src0_sel:WORD_0 src1_sel:DWORD
	s_nop 1
	v_cndmask_b32_e64 v54, v54, v56, s[0:1]
; %bb.49:                               ;   in Loop: Header=BB340_14 Depth=1
	s_or_b64 exec, exec, s[46:47]
	global_load_ushort v57, v[34:35], off offset:512
	s_waitcnt vmcnt(0)
	v_and_b32_sdwa v56, s56, v57 dst_sel:DWORD dst_unused:UNUSED_PAD src0_sel:DWORD src1_sel:BYTE_0
	v_cvt_f32_fp8_sdwa v56, v56 src0_sel:BYTE_0
	s_nop 0
	v_mul_f32_e32 v58, s59, v56
	v_and_b32_e32 v56, 0x7f800000, v58
	v_cmp_ne_u32_e64 s[0:1], s57, v56
                                        ; implicit-def: $vgpr56
	s_and_saveexec_b64 s[46:47], s[0:1]
	s_xor_b64 s[0:1], exec, s[46:47]
; %bb.50:                               ;   in Loop: Header=BB340_14 Depth=1
	v_bfe_u32 v56, v58, 16, 1
	v_add3_u32 v56, v58, v56, s58
                                        ; implicit-def: $vgpr58
; %bb.51:                               ;   in Loop: Header=BB340_14 Depth=1
	s_andn2_saveexec_b64 s[46:47], s[0:1]
; %bb.52:                               ;   in Loop: Header=BB340_14 Depth=1
	v_or_b32_e32 v56, 0x10000, v58
	v_cmp_eq_u32_sdwa s[0:1], v58, v29 src0_sel:WORD_0 src1_sel:DWORD
	s_nop 1
	v_cndmask_b32_e64 v56, v56, v58, s[0:1]
; %bb.53:                               ;   in Loop: Header=BB340_14 Depth=1
	s_or_b64 exec, exec, s[46:47]
	v_lshrrev_b16_e32 v57, 8, v57
	v_cvt_f32_fp8_sdwa v57, v57 src0_sel:BYTE_0
	s_nop 0
	v_mul_f32_e32 v58, s59, v57
	v_and_b32_e32 v57, 0x7f800000, v58
	v_cmp_ne_u32_e64 s[0:1], s57, v57
                                        ; implicit-def: $vgpr57
	s_and_saveexec_b64 s[46:47], s[0:1]
	s_xor_b64 s[0:1], exec, s[46:47]
; %bb.54:                               ;   in Loop: Header=BB340_14 Depth=1
	v_bfe_u32 v57, v58, 16, 1
	v_add3_u32 v57, v58, v57, s58
                                        ; implicit-def: $vgpr58
; %bb.55:                               ;   in Loop: Header=BB340_14 Depth=1
	s_andn2_saveexec_b64 s[46:47], s[0:1]
; %bb.56:                               ;   in Loop: Header=BB340_14 Depth=1
	v_or_b32_e32 v57, 0x10000, v58
	v_cmp_eq_u32_sdwa s[0:1], v58, v29 src0_sel:WORD_0 src1_sel:DWORD
	s_nop 1
	v_cndmask_b32_e64 v57, v57, v58, s[0:1]
; %bb.57:                               ;   in Loop: Header=BB340_14 Depth=1
	s_or_b64 exec, exec, s[46:47]
	global_load_ushort v59, v[34:35], off offset:520
	s_waitcnt vmcnt(0)
	v_and_b32_sdwa v58, s56, v59 dst_sel:DWORD dst_unused:UNUSED_PAD src0_sel:DWORD src1_sel:BYTE_0
	v_cvt_f32_fp8_sdwa v58, v58 src0_sel:BYTE_0
	s_nop 0
	v_mul_f32_e32 v60, s59, v58
	v_and_b32_e32 v58, 0x7f800000, v60
	v_cmp_ne_u32_e64 s[0:1], s57, v58
                                        ; implicit-def: $vgpr58
	s_and_saveexec_b64 s[46:47], s[0:1]
	s_xor_b64 s[0:1], exec, s[46:47]
; %bb.58:                               ;   in Loop: Header=BB340_14 Depth=1
	v_bfe_u32 v58, v60, 16, 1
	v_add3_u32 v58, v60, v58, s58
                                        ; implicit-def: $vgpr60
; %bb.59:                               ;   in Loop: Header=BB340_14 Depth=1
	s_andn2_saveexec_b64 s[46:47], s[0:1]
; %bb.60:                               ;   in Loop: Header=BB340_14 Depth=1
	v_or_b32_e32 v58, 0x10000, v60
	v_cmp_eq_u32_sdwa s[0:1], v60, v29 src0_sel:WORD_0 src1_sel:DWORD
	s_nop 1
	v_cndmask_b32_e64 v58, v58, v60, s[0:1]
; %bb.61:                               ;   in Loop: Header=BB340_14 Depth=1
	s_or_b64 exec, exec, s[46:47]
	v_lshrrev_b16_e32 v59, 8, v59
	v_cvt_f32_fp8_sdwa v59, v59 src0_sel:BYTE_0
	s_nop 0
	v_mul_f32_e32 v60, s59, v59
	v_and_b32_e32 v59, 0x7f800000, v60
	v_cmp_ne_u32_e64 s[0:1], s57, v59
                                        ; implicit-def: $vgpr59
	s_and_saveexec_b64 s[46:47], s[0:1]
	s_xor_b64 s[0:1], exec, s[46:47]
; %bb.62:                               ;   in Loop: Header=BB340_14 Depth=1
	v_bfe_u32 v59, v60, 16, 1
	v_add3_u32 v59, v60, v59, s58
                                        ; implicit-def: $vgpr60
; %bb.63:                               ;   in Loop: Header=BB340_14 Depth=1
	s_andn2_saveexec_b64 s[46:47], s[0:1]
; %bb.64:                               ;   in Loop: Header=BB340_14 Depth=1
	v_or_b32_e32 v59, 0x10000, v60
	v_cmp_eq_u32_sdwa s[0:1], v60, v29 src0_sel:WORD_0 src1_sel:DWORD
	s_nop 1
	v_cndmask_b32_e64 v59, v59, v60, s[0:1]
; %bb.65:                               ;   in Loop: Header=BB340_14 Depth=1
	s_or_b64 exec, exec, s[46:47]
	global_load_ushort v61, v[34:35], off offset:768
	s_waitcnt vmcnt(0)
	v_and_b32_sdwa v60, s56, v61 dst_sel:DWORD dst_unused:UNUSED_PAD src0_sel:DWORD src1_sel:BYTE_0
	v_cvt_f32_fp8_sdwa v60, v60 src0_sel:BYTE_0
	s_nop 0
	v_mul_f32_e32 v62, s59, v60
	v_and_b32_e32 v60, 0x7f800000, v62
	v_cmp_ne_u32_e64 s[0:1], s57, v60
                                        ; implicit-def: $vgpr60
	s_and_saveexec_b64 s[46:47], s[0:1]
	s_xor_b64 s[0:1], exec, s[46:47]
; %bb.66:                               ;   in Loop: Header=BB340_14 Depth=1
	v_bfe_u32 v60, v62, 16, 1
	v_add3_u32 v60, v62, v60, s58
                                        ; implicit-def: $vgpr62
; %bb.67:                               ;   in Loop: Header=BB340_14 Depth=1
	s_andn2_saveexec_b64 s[46:47], s[0:1]
; %bb.68:                               ;   in Loop: Header=BB340_14 Depth=1
	v_or_b32_e32 v60, 0x10000, v62
	v_cmp_eq_u32_sdwa s[0:1], v62, v29 src0_sel:WORD_0 src1_sel:DWORD
	s_nop 1
	v_cndmask_b32_e64 v60, v60, v62, s[0:1]
; %bb.69:                               ;   in Loop: Header=BB340_14 Depth=1
	s_or_b64 exec, exec, s[46:47]
	v_lshrrev_b16_e32 v61, 8, v61
	v_cvt_f32_fp8_sdwa v61, v61 src0_sel:BYTE_0
	s_nop 0
	v_mul_f32_e32 v62, s59, v61
	v_and_b32_e32 v61, 0x7f800000, v62
	v_cmp_ne_u32_e64 s[0:1], s57, v61
                                        ; implicit-def: $vgpr61
	s_and_saveexec_b64 s[46:47], s[0:1]
	s_xor_b64 s[0:1], exec, s[46:47]
; %bb.70:                               ;   in Loop: Header=BB340_14 Depth=1
	v_bfe_u32 v61, v62, 16, 1
	v_add3_u32 v61, v62, v61, s58
                                        ; implicit-def: $vgpr62
; %bb.71:                               ;   in Loop: Header=BB340_14 Depth=1
	s_andn2_saveexec_b64 s[46:47], s[0:1]
; %bb.72:                               ;   in Loop: Header=BB340_14 Depth=1
	v_or_b32_e32 v61, 0x10000, v62
	v_cmp_eq_u32_sdwa s[0:1], v62, v29 src0_sel:WORD_0 src1_sel:DWORD
	s_nop 1
	v_cndmask_b32_e64 v61, v61, v62, s[0:1]
; %bb.73:                               ;   in Loop: Header=BB340_14 Depth=1
	s_or_b64 exec, exec, s[46:47]
	global_load_ushort v63, v[34:35], off offset:776
	s_waitcnt vmcnt(0)
	v_and_b32_sdwa v62, s56, v63 dst_sel:DWORD dst_unused:UNUSED_PAD src0_sel:DWORD src1_sel:BYTE_0
	v_cvt_f32_fp8_sdwa v62, v62 src0_sel:BYTE_0
	s_nop 0
	v_mul_f32_e32 v64, s59, v62
	v_and_b32_e32 v62, 0x7f800000, v64
	v_cmp_ne_u32_e64 s[0:1], s57, v62
                                        ; implicit-def: $vgpr62
	s_and_saveexec_b64 s[46:47], s[0:1]
	s_xor_b64 s[0:1], exec, s[46:47]
; %bb.74:                               ;   in Loop: Header=BB340_14 Depth=1
	v_bfe_u32 v62, v64, 16, 1
	v_add3_u32 v62, v64, v62, s58
                                        ; implicit-def: $vgpr64
; %bb.75:                               ;   in Loop: Header=BB340_14 Depth=1
	s_andn2_saveexec_b64 s[46:47], s[0:1]
; %bb.76:                               ;   in Loop: Header=BB340_14 Depth=1
	v_or_b32_e32 v62, 0x10000, v64
	v_cmp_eq_u32_sdwa s[0:1], v64, v29 src0_sel:WORD_0 src1_sel:DWORD
	s_nop 1
	v_cndmask_b32_e64 v62, v62, v64, s[0:1]
; %bb.77:                               ;   in Loop: Header=BB340_14 Depth=1
	s_or_b64 exec, exec, s[46:47]
	v_lshrrev_b16_e32 v63, 8, v63
	v_cvt_f32_fp8_sdwa v63, v63 src0_sel:BYTE_0
	s_nop 0
	v_mul_f32_e32 v64, s59, v63
	v_and_b32_e32 v63, 0x7f800000, v64
	v_cmp_ne_u32_e64 s[0:1], s57, v63
                                        ; implicit-def: $vgpr63
	s_and_saveexec_b64 s[46:47], s[0:1]
	s_xor_b64 s[0:1], exec, s[46:47]
; %bb.78:                               ;   in Loop: Header=BB340_14 Depth=1
	v_bfe_u32 v63, v64, 16, 1
	v_add3_u32 v63, v64, v63, s58
                                        ; implicit-def: $vgpr64
; %bb.79:                               ;   in Loop: Header=BB340_14 Depth=1
	s_andn2_saveexec_b64 s[46:47], s[0:1]
; %bb.80:                               ;   in Loop: Header=BB340_14 Depth=1
	v_or_b32_e32 v63, 0x10000, v64
	v_cmp_eq_u32_sdwa s[0:1], v64, v29 src0_sel:WORD_0 src1_sel:DWORD
	s_nop 1
	v_cndmask_b32_e64 v63, v63, v64, s[0:1]
; %bb.81:                               ;   in Loop: Header=BB340_14 Depth=1
	s_or_b64 exec, exec, s[46:47]
	global_load_ushort v65, v[34:35], off offset:1024
	s_waitcnt vmcnt(0)
	v_and_b32_sdwa v64, s56, v65 dst_sel:DWORD dst_unused:UNUSED_PAD src0_sel:DWORD src1_sel:BYTE_0
	v_cvt_f32_fp8_sdwa v64, v64 src0_sel:BYTE_0
	s_nop 0
	v_mul_f32_e32 v66, s59, v64
	v_and_b32_e32 v64, 0x7f800000, v66
	v_cmp_ne_u32_e64 s[0:1], s57, v64
                                        ; implicit-def: $vgpr64
	s_and_saveexec_b64 s[46:47], s[0:1]
	s_xor_b64 s[0:1], exec, s[46:47]
; %bb.82:                               ;   in Loop: Header=BB340_14 Depth=1
	v_bfe_u32 v64, v66, 16, 1
	v_add3_u32 v64, v66, v64, s58
                                        ; implicit-def: $vgpr66
; %bb.83:                               ;   in Loop: Header=BB340_14 Depth=1
	s_andn2_saveexec_b64 s[46:47], s[0:1]
; %bb.84:                               ;   in Loop: Header=BB340_14 Depth=1
	v_or_b32_e32 v64, 0x10000, v66
	v_cmp_eq_u32_sdwa s[0:1], v66, v29 src0_sel:WORD_0 src1_sel:DWORD
	s_nop 1
	v_cndmask_b32_e64 v64, v64, v66, s[0:1]
; %bb.85:                               ;   in Loop: Header=BB340_14 Depth=1
	s_or_b64 exec, exec, s[46:47]
	v_lshrrev_b16_e32 v65, 8, v65
	v_cvt_f32_fp8_sdwa v65, v65 src0_sel:BYTE_0
	s_nop 0
	v_mul_f32_e32 v66, s59, v65
	v_and_b32_e32 v65, 0x7f800000, v66
	v_cmp_ne_u32_e64 s[0:1], s57, v65
                                        ; implicit-def: $vgpr65
	s_and_saveexec_b64 s[46:47], s[0:1]
	s_xor_b64 s[0:1], exec, s[46:47]
; %bb.86:                               ;   in Loop: Header=BB340_14 Depth=1
	v_bfe_u32 v65, v66, 16, 1
	v_add3_u32 v65, v66, v65, s58
                                        ; implicit-def: $vgpr66
; %bb.87:                               ;   in Loop: Header=BB340_14 Depth=1
	s_andn2_saveexec_b64 s[46:47], s[0:1]
; %bb.88:                               ;   in Loop: Header=BB340_14 Depth=1
	v_or_b32_e32 v65, 0x10000, v66
	v_cmp_eq_u32_sdwa s[0:1], v66, v29 src0_sel:WORD_0 src1_sel:DWORD
	s_nop 1
	v_cndmask_b32_e64 v65, v65, v66, s[0:1]
; %bb.89:                               ;   in Loop: Header=BB340_14 Depth=1
	s_or_b64 exec, exec, s[46:47]
	global_load_ushort v67, v[34:35], off offset:1032
	s_waitcnt vmcnt(0)
	v_and_b32_sdwa v66, s56, v67 dst_sel:DWORD dst_unused:UNUSED_PAD src0_sel:DWORD src1_sel:BYTE_0
	v_cvt_f32_fp8_sdwa v66, v66 src0_sel:BYTE_0
	s_nop 0
	v_mul_f32_e32 v68, s59, v66
	v_and_b32_e32 v66, 0x7f800000, v68
	v_cmp_ne_u32_e64 s[0:1], s57, v66
                                        ; implicit-def: $vgpr66
	s_and_saveexec_b64 s[46:47], s[0:1]
	s_xor_b64 s[0:1], exec, s[46:47]
; %bb.90:                               ;   in Loop: Header=BB340_14 Depth=1
	v_bfe_u32 v66, v68, 16, 1
	v_add3_u32 v66, v68, v66, s58
                                        ; implicit-def: $vgpr68
; %bb.91:                               ;   in Loop: Header=BB340_14 Depth=1
	s_andn2_saveexec_b64 s[46:47], s[0:1]
; %bb.92:                               ;   in Loop: Header=BB340_14 Depth=1
	v_or_b32_e32 v66, 0x10000, v68
	v_cmp_eq_u32_sdwa s[0:1], v68, v29 src0_sel:WORD_0 src1_sel:DWORD
	s_nop 1
	v_cndmask_b32_e64 v66, v66, v68, s[0:1]
; %bb.93:                               ;   in Loop: Header=BB340_14 Depth=1
	s_or_b64 exec, exec, s[46:47]
	v_lshrrev_b16_e32 v67, 8, v67
	v_cvt_f32_fp8_sdwa v67, v67 src0_sel:BYTE_0
	s_nop 0
	v_mul_f32_e32 v68, s59, v67
	v_and_b32_e32 v67, 0x7f800000, v68
	v_cmp_ne_u32_e64 s[0:1], s57, v67
                                        ; implicit-def: $vgpr67
	s_and_saveexec_b64 s[46:47], s[0:1]
	s_xor_b64 s[0:1], exec, s[46:47]
; %bb.94:                               ;   in Loop: Header=BB340_14 Depth=1
	v_bfe_u32 v67, v68, 16, 1
	v_add3_u32 v67, v68, v67, s58
                                        ; implicit-def: $vgpr68
; %bb.95:                               ;   in Loop: Header=BB340_14 Depth=1
	s_andn2_saveexec_b64 s[46:47], s[0:1]
; %bb.96:                               ;   in Loop: Header=BB340_14 Depth=1
	v_or_b32_e32 v67, 0x10000, v68
	v_cmp_eq_u32_sdwa s[0:1], v68, v29 src0_sel:WORD_0 src1_sel:DWORD
	s_nop 1
	v_cndmask_b32_e64 v67, v67, v68, s[0:1]
; %bb.97:                               ;   in Loop: Header=BB340_14 Depth=1
	s_or_b64 exec, exec, s[46:47]
	global_load_ushort v69, v[34:35], off offset:1280
	s_waitcnt vmcnt(0)
	v_and_b32_sdwa v68, s56, v69 dst_sel:DWORD dst_unused:UNUSED_PAD src0_sel:DWORD src1_sel:BYTE_0
	v_cvt_f32_fp8_sdwa v68, v68 src0_sel:BYTE_0
	s_nop 0
	v_mul_f32_e32 v70, s59, v68
	v_and_b32_e32 v68, 0x7f800000, v70
	v_cmp_ne_u32_e64 s[0:1], s57, v68
                                        ; implicit-def: $vgpr68
	s_and_saveexec_b64 s[46:47], s[0:1]
	s_xor_b64 s[0:1], exec, s[46:47]
; %bb.98:                               ;   in Loop: Header=BB340_14 Depth=1
	v_bfe_u32 v68, v70, 16, 1
	v_add3_u32 v68, v70, v68, s58
                                        ; implicit-def: $vgpr70
; %bb.99:                               ;   in Loop: Header=BB340_14 Depth=1
	s_andn2_saveexec_b64 s[46:47], s[0:1]
; %bb.100:                              ;   in Loop: Header=BB340_14 Depth=1
	v_or_b32_e32 v68, 0x10000, v70
	v_cmp_eq_u32_sdwa s[0:1], v70, v29 src0_sel:WORD_0 src1_sel:DWORD
	s_nop 1
	v_cndmask_b32_e64 v68, v68, v70, s[0:1]
; %bb.101:                              ;   in Loop: Header=BB340_14 Depth=1
	s_or_b64 exec, exec, s[46:47]
	v_lshrrev_b16_e32 v69, 8, v69
	v_cvt_f32_fp8_sdwa v69, v69 src0_sel:BYTE_0
	s_nop 0
	v_mul_f32_e32 v70, s59, v69
	v_and_b32_e32 v69, 0x7f800000, v70
	v_cmp_ne_u32_e64 s[0:1], s57, v69
                                        ; implicit-def: $vgpr69
	s_and_saveexec_b64 s[46:47], s[0:1]
	s_xor_b64 s[0:1], exec, s[46:47]
; %bb.102:                              ;   in Loop: Header=BB340_14 Depth=1
	v_bfe_u32 v69, v70, 16, 1
	v_add3_u32 v69, v70, v69, s58
                                        ; implicit-def: $vgpr70
; %bb.103:                              ;   in Loop: Header=BB340_14 Depth=1
	s_andn2_saveexec_b64 s[46:47], s[0:1]
; %bb.104:                              ;   in Loop: Header=BB340_14 Depth=1
	v_or_b32_e32 v69, 0x10000, v70
	v_cmp_eq_u32_sdwa s[0:1], v70, v29 src0_sel:WORD_0 src1_sel:DWORD
	s_nop 1
	v_cndmask_b32_e64 v69, v69, v70, s[0:1]
; %bb.105:                              ;   in Loop: Header=BB340_14 Depth=1
	s_or_b64 exec, exec, s[46:47]
	global_load_ushort v71, v[34:35], off offset:1288
	s_waitcnt vmcnt(0)
	v_and_b32_sdwa v70, s56, v71 dst_sel:DWORD dst_unused:UNUSED_PAD src0_sel:DWORD src1_sel:BYTE_0
	v_cvt_f32_fp8_sdwa v70, v70 src0_sel:BYTE_0
	s_nop 0
	v_mul_f32_e32 v72, s59, v70
	v_and_b32_e32 v70, 0x7f800000, v72
	v_cmp_ne_u32_e64 s[0:1], s57, v70
                                        ; implicit-def: $vgpr70
	s_and_saveexec_b64 s[46:47], s[0:1]
	s_xor_b64 s[0:1], exec, s[46:47]
; %bb.106:                              ;   in Loop: Header=BB340_14 Depth=1
	v_bfe_u32 v70, v72, 16, 1
	v_add3_u32 v70, v72, v70, s58
                                        ; implicit-def: $vgpr72
; %bb.107:                              ;   in Loop: Header=BB340_14 Depth=1
	s_andn2_saveexec_b64 s[46:47], s[0:1]
; %bb.108:                              ;   in Loop: Header=BB340_14 Depth=1
	v_or_b32_e32 v70, 0x10000, v72
	v_cmp_eq_u32_sdwa s[0:1], v72, v29 src0_sel:WORD_0 src1_sel:DWORD
	s_nop 1
	v_cndmask_b32_e64 v70, v70, v72, s[0:1]
; %bb.109:                              ;   in Loop: Header=BB340_14 Depth=1
	s_or_b64 exec, exec, s[46:47]
	v_lshrrev_b16_e32 v71, 8, v71
	v_cvt_f32_fp8_sdwa v71, v71 src0_sel:BYTE_0
	s_nop 0
	v_mul_f32_e32 v72, s59, v71
	v_and_b32_e32 v71, 0x7f800000, v72
	v_cmp_ne_u32_e64 s[0:1], s57, v71
                                        ; implicit-def: $vgpr71
	s_and_saveexec_b64 s[46:47], s[0:1]
	s_xor_b64 s[0:1], exec, s[46:47]
; %bb.110:                              ;   in Loop: Header=BB340_14 Depth=1
	v_bfe_u32 v71, v72, 16, 1
	v_add3_u32 v71, v72, v71, s58
                                        ; implicit-def: $vgpr72
; %bb.111:                              ;   in Loop: Header=BB340_14 Depth=1
	s_andn2_saveexec_b64 s[46:47], s[0:1]
; %bb.112:                              ;   in Loop: Header=BB340_14 Depth=1
	v_or_b32_e32 v71, 0x10000, v72
	v_cmp_eq_u32_sdwa s[0:1], v72, v29 src0_sel:WORD_0 src1_sel:DWORD
	s_nop 1
	v_cndmask_b32_e64 v71, v71, v72, s[0:1]
; %bb.113:                              ;   in Loop: Header=BB340_14 Depth=1
	s_or_b64 exec, exec, s[46:47]
	global_load_ushort v73, v[34:35], off offset:1536
	s_waitcnt vmcnt(0)
	v_and_b32_sdwa v72, s56, v73 dst_sel:DWORD dst_unused:UNUSED_PAD src0_sel:DWORD src1_sel:BYTE_0
	v_cvt_f32_fp8_sdwa v72, v72 src0_sel:BYTE_0
	s_nop 0
	v_mul_f32_e32 v74, s59, v72
	v_and_b32_e32 v72, 0x7f800000, v74
	v_cmp_ne_u32_e64 s[0:1], s57, v72
                                        ; implicit-def: $vgpr72
	s_and_saveexec_b64 s[46:47], s[0:1]
	s_xor_b64 s[0:1], exec, s[46:47]
; %bb.114:                              ;   in Loop: Header=BB340_14 Depth=1
	v_bfe_u32 v72, v74, 16, 1
	v_add3_u32 v72, v74, v72, s58
                                        ; implicit-def: $vgpr74
; %bb.115:                              ;   in Loop: Header=BB340_14 Depth=1
	s_andn2_saveexec_b64 s[46:47], s[0:1]
; %bb.116:                              ;   in Loop: Header=BB340_14 Depth=1
	v_or_b32_e32 v72, 0x10000, v74
	v_cmp_eq_u32_sdwa s[0:1], v74, v29 src0_sel:WORD_0 src1_sel:DWORD
	s_nop 1
	v_cndmask_b32_e64 v72, v72, v74, s[0:1]
; %bb.117:                              ;   in Loop: Header=BB340_14 Depth=1
	s_or_b64 exec, exec, s[46:47]
	v_lshrrev_b16_e32 v73, 8, v73
	v_cvt_f32_fp8_sdwa v73, v73 src0_sel:BYTE_0
	s_nop 0
	v_mul_f32_e32 v74, s59, v73
	v_and_b32_e32 v73, 0x7f800000, v74
	v_cmp_ne_u32_e64 s[0:1], s57, v73
                                        ; implicit-def: $vgpr73
	s_and_saveexec_b64 s[46:47], s[0:1]
	s_xor_b64 s[0:1], exec, s[46:47]
; %bb.118:                              ;   in Loop: Header=BB340_14 Depth=1
	v_bfe_u32 v73, v74, 16, 1
	v_add3_u32 v73, v74, v73, s58
                                        ; implicit-def: $vgpr74
; %bb.119:                              ;   in Loop: Header=BB340_14 Depth=1
	s_andn2_saveexec_b64 s[46:47], s[0:1]
; %bb.120:                              ;   in Loop: Header=BB340_14 Depth=1
	v_or_b32_e32 v73, 0x10000, v74
	v_cmp_eq_u32_sdwa s[0:1], v74, v29 src0_sel:WORD_0 src1_sel:DWORD
	s_nop 1
	v_cndmask_b32_e64 v73, v73, v74, s[0:1]
; %bb.121:                              ;   in Loop: Header=BB340_14 Depth=1
	s_or_b64 exec, exec, s[46:47]
	global_load_ushort v75, v[34:35], off offset:1544
	s_waitcnt vmcnt(0)
	v_and_b32_sdwa v74, s56, v75 dst_sel:DWORD dst_unused:UNUSED_PAD src0_sel:DWORD src1_sel:BYTE_0
	v_cvt_f32_fp8_sdwa v74, v74 src0_sel:BYTE_0
	s_nop 0
	v_mul_f32_e32 v76, s59, v74
	v_and_b32_e32 v74, 0x7f800000, v76
	v_cmp_ne_u32_e64 s[0:1], s57, v74
                                        ; implicit-def: $vgpr74
	s_and_saveexec_b64 s[46:47], s[0:1]
	s_xor_b64 s[0:1], exec, s[46:47]
; %bb.122:                              ;   in Loop: Header=BB340_14 Depth=1
	v_bfe_u32 v74, v76, 16, 1
	v_add3_u32 v74, v76, v74, s58
                                        ; implicit-def: $vgpr76
; %bb.123:                              ;   in Loop: Header=BB340_14 Depth=1
	s_andn2_saveexec_b64 s[46:47], s[0:1]
; %bb.124:                              ;   in Loop: Header=BB340_14 Depth=1
	v_or_b32_e32 v74, 0x10000, v76
	v_cmp_eq_u32_sdwa s[0:1], v76, v29 src0_sel:WORD_0 src1_sel:DWORD
	s_nop 1
	v_cndmask_b32_e64 v74, v74, v76, s[0:1]
; %bb.125:                              ;   in Loop: Header=BB340_14 Depth=1
	s_or_b64 exec, exec, s[46:47]
	v_lshrrev_b16_e32 v75, 8, v75
	v_cvt_f32_fp8_sdwa v75, v75 src0_sel:BYTE_0
	s_nop 0
	v_mul_f32_e32 v76, s59, v75
	v_and_b32_e32 v75, 0x7f800000, v76
	v_cmp_ne_u32_e64 s[0:1], s57, v75
                                        ; implicit-def: $vgpr75
	s_and_saveexec_b64 s[46:47], s[0:1]
	s_xor_b64 s[0:1], exec, s[46:47]
; %bb.126:                              ;   in Loop: Header=BB340_14 Depth=1
	v_bfe_u32 v75, v76, 16, 1
	v_add3_u32 v75, v76, v75, s58
                                        ; implicit-def: $vgpr76
; %bb.127:                              ;   in Loop: Header=BB340_14 Depth=1
	s_andn2_saveexec_b64 s[46:47], s[0:1]
; %bb.128:                              ;   in Loop: Header=BB340_14 Depth=1
	v_or_b32_e32 v75, 0x10000, v76
	v_cmp_eq_u32_sdwa s[0:1], v76, v29 src0_sel:WORD_0 src1_sel:DWORD
	s_nop 1
	v_cndmask_b32_e64 v75, v75, v76, s[0:1]
; %bb.129:                              ;   in Loop: Header=BB340_14 Depth=1
	s_or_b64 exec, exec, s[46:47]
	global_load_ushort v77, v[34:35], off offset:1792
	s_waitcnt vmcnt(0)
	v_and_b32_sdwa v76, s56, v77 dst_sel:DWORD dst_unused:UNUSED_PAD src0_sel:DWORD src1_sel:BYTE_0
	v_cvt_f32_fp8_sdwa v76, v76 src0_sel:BYTE_0
	s_nop 0
	v_mul_f32_e32 v78, s59, v76
	v_and_b32_e32 v76, 0x7f800000, v78
	v_cmp_ne_u32_e64 s[0:1], s57, v76
                                        ; implicit-def: $vgpr76
	s_and_saveexec_b64 s[46:47], s[0:1]
	s_xor_b64 s[0:1], exec, s[46:47]
; %bb.130:                              ;   in Loop: Header=BB340_14 Depth=1
	v_bfe_u32 v76, v78, 16, 1
	v_add3_u32 v76, v78, v76, s58
                                        ; implicit-def: $vgpr78
; %bb.131:                              ;   in Loop: Header=BB340_14 Depth=1
	s_andn2_saveexec_b64 s[46:47], s[0:1]
; %bb.132:                              ;   in Loop: Header=BB340_14 Depth=1
	v_or_b32_e32 v76, 0x10000, v78
	v_cmp_eq_u32_sdwa s[0:1], v78, v29 src0_sel:WORD_0 src1_sel:DWORD
	s_nop 1
	v_cndmask_b32_e64 v76, v76, v78, s[0:1]
; %bb.133:                              ;   in Loop: Header=BB340_14 Depth=1
	s_or_b64 exec, exec, s[46:47]
	v_lshrrev_b16_e32 v77, 8, v77
	v_cvt_f32_fp8_sdwa v77, v77 src0_sel:BYTE_0
	s_nop 0
	v_mul_f32_e32 v78, s59, v77
	v_and_b32_e32 v77, 0x7f800000, v78
	v_cmp_ne_u32_e64 s[0:1], s57, v77
                                        ; implicit-def: $vgpr77
	s_and_saveexec_b64 s[46:47], s[0:1]
	s_xor_b64 s[0:1], exec, s[46:47]
; %bb.134:                              ;   in Loop: Header=BB340_14 Depth=1
	v_bfe_u32 v77, v78, 16, 1
	v_add3_u32 v77, v78, v77, s58
                                        ; implicit-def: $vgpr78
; %bb.135:                              ;   in Loop: Header=BB340_14 Depth=1
	s_andn2_saveexec_b64 s[46:47], s[0:1]
; %bb.136:                              ;   in Loop: Header=BB340_14 Depth=1
	v_or_b32_e32 v77, 0x10000, v78
	v_cmp_eq_u32_sdwa s[0:1], v78, v29 src0_sel:WORD_0 src1_sel:DWORD
	s_nop 1
	v_cndmask_b32_e64 v77, v77, v78, s[0:1]
; %bb.137:                              ;   in Loop: Header=BB340_14 Depth=1
	s_or_b64 exec, exec, s[46:47]
	global_load_ushort v79, v[34:35], off offset:1800
	s_waitcnt vmcnt(0)
	v_and_b32_sdwa v78, s56, v79 dst_sel:DWORD dst_unused:UNUSED_PAD src0_sel:DWORD src1_sel:BYTE_0
	v_cvt_f32_fp8_sdwa v78, v78 src0_sel:BYTE_0
	s_nop 0
	v_mul_f32_e32 v80, s59, v78
	v_and_b32_e32 v78, 0x7f800000, v80
	v_cmp_ne_u32_e64 s[0:1], s57, v78
                                        ; implicit-def: $vgpr78
	s_and_saveexec_b64 s[46:47], s[0:1]
	s_xor_b64 s[0:1], exec, s[46:47]
; %bb.138:                              ;   in Loop: Header=BB340_14 Depth=1
	v_bfe_u32 v78, v80, 16, 1
	v_add3_u32 v78, v80, v78, s58
                                        ; implicit-def: $vgpr80
; %bb.139:                              ;   in Loop: Header=BB340_14 Depth=1
	s_andn2_saveexec_b64 s[46:47], s[0:1]
; %bb.140:                              ;   in Loop: Header=BB340_14 Depth=1
	v_or_b32_e32 v78, 0x10000, v80
	v_cmp_eq_u32_sdwa s[0:1], v80, v29 src0_sel:WORD_0 src1_sel:DWORD
	s_nop 1
	v_cndmask_b32_e64 v78, v78, v80, s[0:1]
; %bb.141:                              ;   in Loop: Header=BB340_14 Depth=1
	s_or_b64 exec, exec, s[46:47]
	v_lshrrev_b16_e32 v79, 8, v79
	v_cvt_f32_fp8_sdwa v79, v79 src0_sel:BYTE_0
	s_nop 0
	v_mul_f32_e32 v80, s59, v79
	v_and_b32_e32 v79, 0x7f800000, v80
	v_cmp_ne_u32_e64 s[0:1], s57, v79
                                        ; implicit-def: $vgpr79
	s_and_saveexec_b64 s[46:47], s[0:1]
	s_xor_b64 s[0:1], exec, s[46:47]
; %bb.142:                              ;   in Loop: Header=BB340_14 Depth=1
	v_bfe_u32 v79, v80, 16, 1
	v_add3_u32 v79, v80, v79, s58
                                        ; implicit-def: $vgpr80
; %bb.143:                              ;   in Loop: Header=BB340_14 Depth=1
	s_andn2_saveexec_b64 s[46:47], s[0:1]
; %bb.144:                              ;   in Loop: Header=BB340_14 Depth=1
	v_or_b32_e32 v79, 0x10000, v80
	v_cmp_eq_u32_sdwa s[0:1], v80, v29 src0_sel:WORD_0 src1_sel:DWORD
	s_nop 1
	v_cndmask_b32_e64 v79, v79, v80, s[0:1]
; %bb.145:                              ;   in Loop: Header=BB340_14 Depth=1
	s_or_b64 exec, exec, s[46:47]
	global_load_ushort v81, v[34:35], off offset:2048
	s_waitcnt vmcnt(0)
	v_and_b32_sdwa v80, s56, v81 dst_sel:DWORD dst_unused:UNUSED_PAD src0_sel:DWORD src1_sel:BYTE_0
	v_cvt_f32_fp8_sdwa v80, v80 src0_sel:BYTE_0
	s_nop 0
	v_mul_f32_e32 v82, s59, v80
	v_and_b32_e32 v80, 0x7f800000, v82
	v_cmp_ne_u32_e64 s[0:1], s57, v80
                                        ; implicit-def: $vgpr80
	s_and_saveexec_b64 s[46:47], s[0:1]
	s_xor_b64 s[0:1], exec, s[46:47]
; %bb.146:                              ;   in Loop: Header=BB340_14 Depth=1
	v_bfe_u32 v80, v82, 16, 1
	v_add3_u32 v80, v82, v80, s58
                                        ; implicit-def: $vgpr82
; %bb.147:                              ;   in Loop: Header=BB340_14 Depth=1
	s_andn2_saveexec_b64 s[46:47], s[0:1]
; %bb.148:                              ;   in Loop: Header=BB340_14 Depth=1
	v_or_b32_e32 v80, 0x10000, v82
	v_cmp_eq_u32_sdwa s[0:1], v82, v29 src0_sel:WORD_0 src1_sel:DWORD
	s_nop 1
	v_cndmask_b32_e64 v80, v80, v82, s[0:1]
; %bb.149:                              ;   in Loop: Header=BB340_14 Depth=1
	s_or_b64 exec, exec, s[46:47]
	v_lshrrev_b16_e32 v81, 8, v81
	v_cvt_f32_fp8_sdwa v81, v81 src0_sel:BYTE_0
	s_nop 0
	v_mul_f32_e32 v82, s59, v81
	v_and_b32_e32 v81, 0x7f800000, v82
	v_cmp_ne_u32_e64 s[0:1], s57, v81
                                        ; implicit-def: $vgpr81
	s_and_saveexec_b64 s[46:47], s[0:1]
	s_xor_b64 s[0:1], exec, s[46:47]
; %bb.150:                              ;   in Loop: Header=BB340_14 Depth=1
	v_bfe_u32 v81, v82, 16, 1
	v_add3_u32 v81, v82, v81, s58
                                        ; implicit-def: $vgpr82
; %bb.151:                              ;   in Loop: Header=BB340_14 Depth=1
	s_andn2_saveexec_b64 s[46:47], s[0:1]
; %bb.152:                              ;   in Loop: Header=BB340_14 Depth=1
	v_or_b32_e32 v81, 0x10000, v82
	v_cmp_eq_u32_sdwa s[0:1], v82, v29 src0_sel:WORD_0 src1_sel:DWORD
	s_nop 1
	v_cndmask_b32_e64 v81, v81, v82, s[0:1]
; %bb.153:                              ;   in Loop: Header=BB340_14 Depth=1
	s_or_b64 exec, exec, s[46:47]
	global_load_ushort v83, v[34:35], off offset:2056
	s_waitcnt vmcnt(0)
	v_and_b32_sdwa v82, s56, v83 dst_sel:DWORD dst_unused:UNUSED_PAD src0_sel:DWORD src1_sel:BYTE_0
	v_cvt_f32_fp8_sdwa v82, v82 src0_sel:BYTE_0
	s_nop 0
	v_mul_f32_e32 v84, s59, v82
	v_and_b32_e32 v82, 0x7f800000, v84
	v_cmp_ne_u32_e64 s[0:1], s57, v82
                                        ; implicit-def: $vgpr82
	s_and_saveexec_b64 s[46:47], s[0:1]
	s_xor_b64 s[0:1], exec, s[46:47]
; %bb.154:                              ;   in Loop: Header=BB340_14 Depth=1
	v_bfe_u32 v82, v84, 16, 1
	v_add3_u32 v82, v84, v82, s58
                                        ; implicit-def: $vgpr84
; %bb.155:                              ;   in Loop: Header=BB340_14 Depth=1
	s_andn2_saveexec_b64 s[46:47], s[0:1]
; %bb.156:                              ;   in Loop: Header=BB340_14 Depth=1
	v_or_b32_e32 v82, 0x10000, v84
	v_cmp_eq_u32_sdwa s[0:1], v84, v29 src0_sel:WORD_0 src1_sel:DWORD
	s_nop 1
	v_cndmask_b32_e64 v82, v82, v84, s[0:1]
; %bb.157:                              ;   in Loop: Header=BB340_14 Depth=1
	s_or_b64 exec, exec, s[46:47]
	v_lshrrev_b16_e32 v83, 8, v83
	v_cvt_f32_fp8_sdwa v83, v83 src0_sel:BYTE_0
	s_nop 0
	v_mul_f32_e32 v84, s59, v83
	v_and_b32_e32 v83, 0x7f800000, v84
	v_cmp_ne_u32_e64 s[0:1], s57, v83
                                        ; implicit-def: $vgpr83
	s_and_saveexec_b64 s[46:47], s[0:1]
	s_xor_b64 s[0:1], exec, s[46:47]
; %bb.158:                              ;   in Loop: Header=BB340_14 Depth=1
	v_bfe_u32 v83, v84, 16, 1
	v_add3_u32 v83, v84, v83, s58
                                        ; implicit-def: $vgpr84
; %bb.159:                              ;   in Loop: Header=BB340_14 Depth=1
	s_andn2_saveexec_b64 s[46:47], s[0:1]
; %bb.160:                              ;   in Loop: Header=BB340_14 Depth=1
	v_or_b32_e32 v83, 0x10000, v84
	v_cmp_eq_u32_sdwa s[0:1], v84, v29 src0_sel:WORD_0 src1_sel:DWORD
	s_nop 1
	v_cndmask_b32_e64 v83, v83, v84, s[0:1]
; %bb.161:                              ;   in Loop: Header=BB340_14 Depth=1
	s_or_b64 exec, exec, s[46:47]
	global_load_ushort v85, v[34:35], off offset:2304
	s_waitcnt vmcnt(0)
	v_and_b32_sdwa v84, s56, v85 dst_sel:DWORD dst_unused:UNUSED_PAD src0_sel:DWORD src1_sel:BYTE_0
	v_cvt_f32_fp8_sdwa v84, v84 src0_sel:BYTE_0
	s_nop 0
	v_mul_f32_e32 v86, s59, v84
	v_and_b32_e32 v84, 0x7f800000, v86
	v_cmp_ne_u32_e64 s[0:1], s57, v84
                                        ; implicit-def: $vgpr84
	s_and_saveexec_b64 s[46:47], s[0:1]
	s_xor_b64 s[0:1], exec, s[46:47]
; %bb.162:                              ;   in Loop: Header=BB340_14 Depth=1
	v_bfe_u32 v84, v86, 16, 1
	v_add3_u32 v84, v86, v84, s58
                                        ; implicit-def: $vgpr86
; %bb.163:                              ;   in Loop: Header=BB340_14 Depth=1
	s_andn2_saveexec_b64 s[46:47], s[0:1]
; %bb.164:                              ;   in Loop: Header=BB340_14 Depth=1
	v_or_b32_e32 v84, 0x10000, v86
	v_cmp_eq_u32_sdwa s[0:1], v86, v29 src0_sel:WORD_0 src1_sel:DWORD
	s_nop 1
	v_cndmask_b32_e64 v84, v84, v86, s[0:1]
; %bb.165:                              ;   in Loop: Header=BB340_14 Depth=1
	s_or_b64 exec, exec, s[46:47]
	v_lshrrev_b16_e32 v85, 8, v85
	v_cvt_f32_fp8_sdwa v85, v85 src0_sel:BYTE_0
	s_nop 0
	v_mul_f32_e32 v86, s59, v85
	v_and_b32_e32 v85, 0x7f800000, v86
	v_cmp_ne_u32_e64 s[0:1], s57, v85
                                        ; implicit-def: $vgpr85
	s_and_saveexec_b64 s[46:47], s[0:1]
	s_xor_b64 s[0:1], exec, s[46:47]
; %bb.166:                              ;   in Loop: Header=BB340_14 Depth=1
	v_bfe_u32 v85, v86, 16, 1
	v_add3_u32 v85, v86, v85, s58
                                        ; implicit-def: $vgpr86
; %bb.167:                              ;   in Loop: Header=BB340_14 Depth=1
	s_andn2_saveexec_b64 s[46:47], s[0:1]
; %bb.168:                              ;   in Loop: Header=BB340_14 Depth=1
	v_or_b32_e32 v85, 0x10000, v86
	v_cmp_eq_u32_sdwa s[0:1], v86, v29 src0_sel:WORD_0 src1_sel:DWORD
	s_nop 1
	v_cndmask_b32_e64 v85, v85, v86, s[0:1]
; %bb.169:                              ;   in Loop: Header=BB340_14 Depth=1
	s_or_b64 exec, exec, s[46:47]
	global_load_ushort v87, v[34:35], off offset:2312
	s_waitcnt vmcnt(0)
	v_and_b32_sdwa v86, s56, v87 dst_sel:DWORD dst_unused:UNUSED_PAD src0_sel:DWORD src1_sel:BYTE_0
	v_cvt_f32_fp8_sdwa v86, v86 src0_sel:BYTE_0
	s_nop 0
	v_mul_f32_e32 v88, s59, v86
	v_and_b32_e32 v86, 0x7f800000, v88
	v_cmp_ne_u32_e64 s[0:1], s57, v86
                                        ; implicit-def: $vgpr86
	s_and_saveexec_b64 s[46:47], s[0:1]
	s_xor_b64 s[0:1], exec, s[46:47]
; %bb.170:                              ;   in Loop: Header=BB340_14 Depth=1
	v_bfe_u32 v86, v88, 16, 1
	v_add3_u32 v86, v88, v86, s58
                                        ; implicit-def: $vgpr88
; %bb.171:                              ;   in Loop: Header=BB340_14 Depth=1
	s_andn2_saveexec_b64 s[46:47], s[0:1]
; %bb.172:                              ;   in Loop: Header=BB340_14 Depth=1
	v_or_b32_e32 v86, 0x10000, v88
	v_cmp_eq_u32_sdwa s[0:1], v88, v29 src0_sel:WORD_0 src1_sel:DWORD
	s_nop 1
	v_cndmask_b32_e64 v86, v86, v88, s[0:1]
; %bb.173:                              ;   in Loop: Header=BB340_14 Depth=1
	s_or_b64 exec, exec, s[46:47]
	v_lshrrev_b16_e32 v87, 8, v87
	v_cvt_f32_fp8_sdwa v87, v87 src0_sel:BYTE_0
	s_nop 0
	v_mul_f32_e32 v88, s59, v87
	v_and_b32_e32 v87, 0x7f800000, v88
	v_cmp_ne_u32_e64 s[0:1], s57, v87
                                        ; implicit-def: $vgpr87
	s_and_saveexec_b64 s[46:47], s[0:1]
	s_xor_b64 s[0:1], exec, s[46:47]
; %bb.174:                              ;   in Loop: Header=BB340_14 Depth=1
	v_bfe_u32 v87, v88, 16, 1
	v_add3_u32 v87, v88, v87, s58
                                        ; implicit-def: $vgpr88
; %bb.175:                              ;   in Loop: Header=BB340_14 Depth=1
	s_andn2_saveexec_b64 s[46:47], s[0:1]
; %bb.176:                              ;   in Loop: Header=BB340_14 Depth=1
	v_or_b32_e32 v87, 0x10000, v88
	v_cmp_eq_u32_sdwa s[0:1], v88, v29 src0_sel:WORD_0 src1_sel:DWORD
	s_nop 1
	v_cndmask_b32_e64 v87, v87, v88, s[0:1]
; %bb.177:                              ;   in Loop: Header=BB340_14 Depth=1
	s_or_b64 exec, exec, s[46:47]
	global_load_ushort v89, v[34:35], off offset:2560
	s_waitcnt vmcnt(0)
	v_and_b32_sdwa v88, s56, v89 dst_sel:DWORD dst_unused:UNUSED_PAD src0_sel:DWORD src1_sel:BYTE_0
	v_cvt_f32_fp8_sdwa v88, v88 src0_sel:BYTE_0
	s_nop 0
	v_mul_f32_e32 v90, s59, v88
	v_and_b32_e32 v88, 0x7f800000, v90
	v_cmp_ne_u32_e64 s[0:1], s57, v88
                                        ; implicit-def: $vgpr88
	s_and_saveexec_b64 s[46:47], s[0:1]
	s_xor_b64 s[0:1], exec, s[46:47]
; %bb.178:                              ;   in Loop: Header=BB340_14 Depth=1
	v_bfe_u32 v88, v90, 16, 1
	v_add3_u32 v88, v90, v88, s58
                                        ; implicit-def: $vgpr90
; %bb.179:                              ;   in Loop: Header=BB340_14 Depth=1
	s_andn2_saveexec_b64 s[46:47], s[0:1]
; %bb.180:                              ;   in Loop: Header=BB340_14 Depth=1
	v_or_b32_e32 v88, 0x10000, v90
	v_cmp_eq_u32_sdwa s[0:1], v90, v29 src0_sel:WORD_0 src1_sel:DWORD
	s_nop 1
	v_cndmask_b32_e64 v88, v88, v90, s[0:1]
; %bb.181:                              ;   in Loop: Header=BB340_14 Depth=1
	s_or_b64 exec, exec, s[46:47]
	v_lshrrev_b16_e32 v89, 8, v89
	v_cvt_f32_fp8_sdwa v89, v89 src0_sel:BYTE_0
	s_nop 0
	v_mul_f32_e32 v90, s59, v89
	v_and_b32_e32 v89, 0x7f800000, v90
	v_cmp_ne_u32_e64 s[0:1], s57, v89
                                        ; implicit-def: $vgpr89
	s_and_saveexec_b64 s[46:47], s[0:1]
	s_xor_b64 s[0:1], exec, s[46:47]
; %bb.182:                              ;   in Loop: Header=BB340_14 Depth=1
	v_bfe_u32 v89, v90, 16, 1
	v_add3_u32 v89, v90, v89, s58
                                        ; implicit-def: $vgpr90
; %bb.183:                              ;   in Loop: Header=BB340_14 Depth=1
	s_andn2_saveexec_b64 s[46:47], s[0:1]
; %bb.184:                              ;   in Loop: Header=BB340_14 Depth=1
	v_or_b32_e32 v89, 0x10000, v90
	v_cmp_eq_u32_sdwa s[0:1], v90, v29 src0_sel:WORD_0 src1_sel:DWORD
	s_nop 1
	v_cndmask_b32_e64 v89, v89, v90, s[0:1]
; %bb.185:                              ;   in Loop: Header=BB340_14 Depth=1
	s_or_b64 exec, exec, s[46:47]
	global_load_ushort v91, v[34:35], off offset:2568
	s_waitcnt vmcnt(0)
	v_and_b32_sdwa v90, s56, v91 dst_sel:DWORD dst_unused:UNUSED_PAD src0_sel:DWORD src1_sel:BYTE_0
	v_cvt_f32_fp8_sdwa v90, v90 src0_sel:BYTE_0
	s_nop 0
	v_mul_f32_e32 v92, s59, v90
	v_and_b32_e32 v90, 0x7f800000, v92
	v_cmp_ne_u32_e64 s[0:1], s57, v90
                                        ; implicit-def: $vgpr90
	s_and_saveexec_b64 s[46:47], s[0:1]
	s_xor_b64 s[0:1], exec, s[46:47]
; %bb.186:                              ;   in Loop: Header=BB340_14 Depth=1
	v_bfe_u32 v90, v92, 16, 1
	v_add3_u32 v90, v92, v90, s58
                                        ; implicit-def: $vgpr92
; %bb.187:                              ;   in Loop: Header=BB340_14 Depth=1
	s_andn2_saveexec_b64 s[46:47], s[0:1]
; %bb.188:                              ;   in Loop: Header=BB340_14 Depth=1
	v_or_b32_e32 v90, 0x10000, v92
	v_cmp_eq_u32_sdwa s[0:1], v92, v29 src0_sel:WORD_0 src1_sel:DWORD
	s_nop 1
	v_cndmask_b32_e64 v90, v90, v92, s[0:1]
; %bb.189:                              ;   in Loop: Header=BB340_14 Depth=1
	s_or_b64 exec, exec, s[46:47]
	v_lshrrev_b16_e32 v91, 8, v91
	v_cvt_f32_fp8_sdwa v91, v91 src0_sel:BYTE_0
	s_nop 0
	v_mul_f32_e32 v92, s59, v91
	v_and_b32_e32 v91, 0x7f800000, v92
	v_cmp_ne_u32_e64 s[0:1], s57, v91
                                        ; implicit-def: $vgpr91
	s_and_saveexec_b64 s[46:47], s[0:1]
	s_xor_b64 s[0:1], exec, s[46:47]
; %bb.190:                              ;   in Loop: Header=BB340_14 Depth=1
	v_bfe_u32 v91, v92, 16, 1
	v_add3_u32 v91, v92, v91, s58
                                        ; implicit-def: $vgpr92
; %bb.191:                              ;   in Loop: Header=BB340_14 Depth=1
	s_andn2_saveexec_b64 s[46:47], s[0:1]
; %bb.192:                              ;   in Loop: Header=BB340_14 Depth=1
	v_or_b32_e32 v91, 0x10000, v92
	v_cmp_eq_u32_sdwa s[0:1], v92, v29 src0_sel:WORD_0 src1_sel:DWORD
	s_nop 1
	v_cndmask_b32_e64 v91, v91, v92, s[0:1]
; %bb.193:                              ;   in Loop: Header=BB340_14 Depth=1
	s_or_b64 exec, exec, s[46:47]
	global_load_ushort v93, v[34:35], off offset:2816
	s_waitcnt vmcnt(0)
	v_and_b32_sdwa v92, s56, v93 dst_sel:DWORD dst_unused:UNUSED_PAD src0_sel:DWORD src1_sel:BYTE_0
	v_cvt_f32_fp8_sdwa v92, v92 src0_sel:BYTE_0
	s_nop 0
	v_mul_f32_e32 v94, s59, v92
	v_and_b32_e32 v92, 0x7f800000, v94
	v_cmp_ne_u32_e64 s[0:1], s57, v92
                                        ; implicit-def: $vgpr92
	s_and_saveexec_b64 s[46:47], s[0:1]
	s_xor_b64 s[0:1], exec, s[46:47]
; %bb.194:                              ;   in Loop: Header=BB340_14 Depth=1
	v_bfe_u32 v92, v94, 16, 1
	v_add3_u32 v92, v94, v92, s58
                                        ; implicit-def: $vgpr94
; %bb.195:                              ;   in Loop: Header=BB340_14 Depth=1
	s_andn2_saveexec_b64 s[46:47], s[0:1]
; %bb.196:                              ;   in Loop: Header=BB340_14 Depth=1
	v_or_b32_e32 v92, 0x10000, v94
	v_cmp_eq_u32_sdwa s[0:1], v94, v29 src0_sel:WORD_0 src1_sel:DWORD
	s_nop 1
	v_cndmask_b32_e64 v92, v92, v94, s[0:1]
; %bb.197:                              ;   in Loop: Header=BB340_14 Depth=1
	s_or_b64 exec, exec, s[46:47]
	v_lshrrev_b16_e32 v93, 8, v93
	v_cvt_f32_fp8_sdwa v93, v93 src0_sel:BYTE_0
	s_nop 0
	v_mul_f32_e32 v94, s59, v93
	v_and_b32_e32 v93, 0x7f800000, v94
	v_cmp_ne_u32_e64 s[0:1], s57, v93
                                        ; implicit-def: $vgpr93
	s_and_saveexec_b64 s[46:47], s[0:1]
	s_xor_b64 s[0:1], exec, s[46:47]
; %bb.198:                              ;   in Loop: Header=BB340_14 Depth=1
	v_bfe_u32 v93, v94, 16, 1
	v_add3_u32 v93, v94, v93, s58
                                        ; implicit-def: $vgpr94
; %bb.199:                              ;   in Loop: Header=BB340_14 Depth=1
	s_andn2_saveexec_b64 s[46:47], s[0:1]
; %bb.200:                              ;   in Loop: Header=BB340_14 Depth=1
	v_or_b32_e32 v93, 0x10000, v94
	v_cmp_eq_u32_sdwa s[0:1], v94, v29 src0_sel:WORD_0 src1_sel:DWORD
	s_nop 1
	v_cndmask_b32_e64 v93, v93, v94, s[0:1]
; %bb.201:                              ;   in Loop: Header=BB340_14 Depth=1
	s_or_b64 exec, exec, s[46:47]
	global_load_ushort v34, v[34:35], off offset:2824
	s_waitcnt vmcnt(0)
	v_and_b32_sdwa v35, s56, v34 dst_sel:DWORD dst_unused:UNUSED_PAD src0_sel:DWORD src1_sel:BYTE_0
	v_cvt_f32_fp8_sdwa v35, v35 src0_sel:BYTE_0
	s_nop 0
	v_mul_f32_e32 v94, s59, v35
	v_and_b32_e32 v35, 0x7f800000, v94
	v_cmp_ne_u32_e64 s[0:1], s57, v35
                                        ; implicit-def: $vgpr35
	s_and_saveexec_b64 s[46:47], s[0:1]
	s_xor_b64 s[0:1], exec, s[46:47]
; %bb.202:                              ;   in Loop: Header=BB340_14 Depth=1
	v_bfe_u32 v35, v94, 16, 1
	v_add3_u32 v35, v94, v35, s58
                                        ; implicit-def: $vgpr94
; %bb.203:                              ;   in Loop: Header=BB340_14 Depth=1
	s_andn2_saveexec_b64 s[46:47], s[0:1]
; %bb.204:                              ;   in Loop: Header=BB340_14 Depth=1
	v_or_b32_e32 v35, 0x10000, v94
	v_cmp_eq_u32_sdwa s[0:1], v94, v29 src0_sel:WORD_0 src1_sel:DWORD
	s_nop 1
	v_cndmask_b32_e64 v35, v35, v94, s[0:1]
; %bb.205:                              ;   in Loop: Header=BB340_14 Depth=1
	s_or_b64 exec, exec, s[46:47]
	v_lshrrev_b16_e32 v34, 8, v34
	v_cvt_f32_fp8_sdwa v34, v34 src0_sel:BYTE_0
	s_nop 0
	v_mul_f32_e32 v94, s59, v34
	v_and_b32_e32 v34, 0x7f800000, v94
	v_cmp_ne_u32_e64 s[0:1], s57, v34
                                        ; implicit-def: $vgpr34
	s_and_saveexec_b64 s[46:47], s[0:1]
	s_xor_b64 s[0:1], exec, s[46:47]
; %bb.206:                              ;   in Loop: Header=BB340_14 Depth=1
	v_bfe_u32 v34, v94, 16, 1
	v_add3_u32 v34, v94, v34, s58
                                        ; implicit-def: $vgpr94
; %bb.207:                              ;   in Loop: Header=BB340_14 Depth=1
	s_andn2_saveexec_b64 s[46:47], s[0:1]
; %bb.208:                              ;   in Loop: Header=BB340_14 Depth=1
	v_or_b32_e32 v34, 0x10000, v94
	v_cmp_eq_u32_sdwa s[0:1], v94, v29 src0_sel:WORD_0 src1_sel:DWORD
	s_nop 1
	v_cndmask_b32_e64 v34, v34, v94, s[0:1]
; %bb.209:                              ;   in Loop: Header=BB340_14 Depth=1
	s_or_b64 exec, exec, s[46:47]
	v_lshlrev_b32_e32 v95, 16, v23
	v_and_b32_e32 v50, 0xffff0000, v50
	v_lshlrev_b32_e32 v94, 16, v22
	v_mul_f32_e32 v50, v95, v50
	v_and_b32_e32 v48, 0xffff0000, v48
	v_and_b32_e32 v23, 0xffff0000, v23
	v_fmac_f32_e32 v50, v94, v48
	v_and_b32_e32 v48, 0xffff0000, v52
	v_and_b32_e32 v22, 0xffff0000, v22
	v_mul_f32_e32 v23, v23, v48
	v_and_b32_e32 v48, 0xffff0000, v49
	v_lshlrev_b32_e32 v96, 16, v24
	v_fmac_f32_e32 v23, v22, v48
	v_and_b32_e32 v22, 0xffff0000, v51
	v_and_b32_e32 v24, 0xffff0000, v24
	v_fmac_f32_e32 v50, v96, v22
	v_and_b32_e32 v22, 0xffff0000, v53
	v_lshlrev_b32_e32 v97, 16, v25
	v_and_b32_e32 v25, 0xffff0000, v25
	v_fmac_f32_e32 v23, v24, v22
	v_and_b32_e32 v22, 0xffff0000, v55
	v_and_b32_e32 v54, 0xffff0000, v54
	v_lshlrev_b32_e32 v98, 16, v18
	v_and_b32_e32 v18, 0xffff0000, v18
	v_fmac_f32_e32 v50, v97, v22
	v_and_b32_e32 v57, 0xffff0000, v57
	v_and_b32_e32 v56, 0xffff0000, v56
	v_fmac_f32_e32 v23, v25, v54
	v_lshlrev_b32_e32 v99, 16, v19
	v_and_b32_e32 v19, 0xffff0000, v19
	v_and_b32_e32 v59, 0xffff0000, v59
	v_and_b32_e32 v58, 0xffff0000, v58
	v_fmac_f32_e32 v50, v98, v56
	v_fmac_f32_e32 v23, v18, v57
	v_lshlrev_b32_e32 v100, 16, v20
	v_and_b32_e32 v20, 0xffff0000, v20
	v_and_b32_e32 v61, 0xffff0000, v61
	v_and_b32_e32 v60, 0xffff0000, v60
	v_fmac_f32_e32 v50, v99, v58
	;; [unrolled: 6-line block ×16, first 2 shown]
	v_fmac_f32_e32 v23, v9, v53
	v_lshlrev_b32_e32 v115, 16, v3
	v_and_b32_e32 v3, 0xffff0000, v3
	v_and_b32_e32 v48, 0xffff0000, v91
	v_and_b32_e32 v49, 0xffff0000, v90
	v_and_b32_e32 v25, 64, v46
	v_fmac_f32_e32 v50, v114, v52
	v_fmac_f32_e32 v23, v2, v51
	v_lshlrev_b32_e32 v116, 16, v4
	v_and_b32_e32 v4, 0xffff0000, v4
	v_and_b32_e32 v22, 0xffff0000, v35
	;; [unrolled: 1-line block ×4, first 2 shown]
	v_add_u32_e32 v25, 64, v25
	v_xor_b32_e32 v54, 2, v46
	v_fmac_f32_e32 v50, v115, v49
	v_fmac_f32_e32 v23, v3, v48
	v_lshlrev_b32_e32 v117, 16, v5
	v_and_b32_e32 v5, 0xffff0000, v5
	v_cmp_lt_i32_e64 s[0:1], v54, v25
	v_and_b32_e32 v34, 0xffff0000, v34
	v_fmac_f32_e32 v50, v116, v35
	v_fmac_f32_e32 v23, v4, v24
	v_cndmask_b32_e64 v54, v46, v54, s[0:1]
	v_fmac_f32_e32 v50, v117, v22
	v_fmac_f32_e32 v23, v5, v34
	v_lshlrev_b32_e32 v54, 2, v54
	v_add_f32_e32 v2, v50, v23
	ds_bpermute_b32 v3, v54, v2
	v_xor_b32_e32 v4, 1, v46
	v_cmp_lt_i32_e64 s[0:1], v4, v25
	s_waitcnt lgkmcnt(0)
	v_add_f32_e32 v2, v2, v3
	v_cndmask_b32_e64 v4, v46, v4, s[0:1]
	v_lshlrev_b32_e32 v4, 2, v4
	ds_bpermute_b32 v3, v4, v2
	s_and_saveexec_b64 s[46:47], vcc
	s_cbranch_execz .LBB340_12
; %bb.210:                              ;   in Loop: Header=BB340_14 Depth=1
	v_add_u32_e32 v4, v44, v42
	v_cvt_f32_i32_e32 v4, v4
	s_waitcnt lgkmcnt(0)
	v_add_f32_e32 v2, v2, v3
	v_add_u32_e32 v5, v38, v42
	v_cmp_gt_i32_e64 s[0:1], s33, v5
	v_mul_f32_e32 v3, s3, v4
	v_cndmask_b32_e64 v3, 0, v3, s[6:7]
	v_fmac_f32_e32 v3, s43, v2
	v_cndmask_b32_e64 v2, 0, v3, s[0:1]
	ds_write_b32 v43, v2
	v_max_f32_e32 v2, v40, v40
	v_max_f32_e32 v2, v2, v3
	v_cndmask_b32_e64 v40, v40, v2, s[0:1]
	s_branch .LBB340_12
.LBB340_211:
	s_or_b64 exec, exec, s[44:45]
.LBB340_212:
	s_or_b64 exec, exec, s[18:19]
	v_mbcnt_hi_u32_b32 v2, -1, v37
	s_waitcnt lgkmcnt(0)
	v_and_b32_e32 v3, 64, v2
	v_add_u32_e32 v3, 64, v3
	v_xor_b32_e32 v4, 32, v2
	v_cmp_lt_i32_e32 vcc, v4, v3
	v_xor_b32_e32 v7, 16, v2
	v_max_f32_e32 v6, v40, v40
	v_cndmask_b32_e32 v4, v2, v4, vcc
	v_lshlrev_b32_e32 v5, 2, v4
	ds_bpermute_b32 v4, v5, v40
	v_cmp_lt_i32_e32 vcc, v7, v3
	v_xor_b32_e32 v8, 8, v2
	v_and_b32_e32 v22, 63, v0
	s_waitcnt lgkmcnt(0)
	v_max_f32_e32 v4, v4, v4
	v_max_f32_e32 v4, v6, v4
	v_cndmask_b32_e32 v6, v2, v7, vcc
	v_lshlrev_b32_e32 v6, 2, v6
	ds_bpermute_b32 v7, v6, v4
	v_cmp_lt_i32_e32 vcc, v8, v3
	s_waitcnt lgkmcnt(0)
	v_max_f32_e32 v7, v7, v7
	v_max_f32_e32 v4, v4, v7
	v_cndmask_b32_e32 v7, v2, v8, vcc
	v_lshlrev_b32_e32 v9, 2, v7
	ds_bpermute_b32 v7, v9, v4
	v_xor_b32_e32 v8, 4, v2
	v_cmp_lt_i32_e32 vcc, v8, v3
	s_waitcnt lgkmcnt(0)
	v_max_f32_e32 v7, v7, v7
	v_max_f32_e32 v4, v4, v7
	v_cndmask_b32_e32 v7, v2, v8, vcc
	v_lshlrev_b32_e32 v10, 2, v7
	ds_bpermute_b32 v8, v10, v4
	v_cmp_eq_u32_e32 vcc, 0, v22
	v_lshlrev_b32_e32 v7, 2, v36
	s_and_saveexec_b64 s[0:1], vcc
	s_cbranch_execz .LBB340_214
; %bb.213:
	s_waitcnt lgkmcnt(0)
	v_max_f32_e32 v8, v8, v8
	v_max_f32_e32 v4, v4, v4
	;; [unrolled: 1-line block ×3, first 2 shown]
	ds_write_b32 v7, v4 offset:384
.LBB340_214:
	s_or_b64 exec, exec, s[0:1]
	v_cmp_gt_u32_e64 s[0:1], 2, v22
	v_mov_b32_e32 v4, 0xff7fffff
	s_waitcnt lgkmcnt(0)
	v_lshlrev_b32_e32 v8, 2, v22
	s_barrier
	s_and_saveexec_b64 s[6:7], s[0:1]
	s_cbranch_execz .LBB340_216
; %bb.215:
	ds_read_b32 v4, v8 offset:384
.LBB340_216:
	s_or_b64 exec, exec, s[6:7]
	v_xor_b32_e32 v11, 1, v2
	v_cmp_lt_i32_e64 s[6:7], v11, v3
	s_sub_i32 s3, s20, s52
	s_lshl_b32 s3, s3, 4
	v_cndmask_b32_e64 v11, v2, v11, s[6:7]
	v_lshlrev_b32_e32 v23, 2, v11
	s_waitcnt lgkmcnt(0)
	ds_bpermute_b32 v11, v23, v4
	v_max_f32_e32 v4, v4, v4
	s_add_i32 s3, s3, s5
	s_min_i32 s43, s3, s33
	s_sub_i32 s3, s43, s5
	s_waitcnt lgkmcnt(0)
	v_max_f32_e32 v11, v11, v11
	v_max_f32_e32 v4, v4, v11
	v_lshlrev_b32_e32 v11, 2, v2
	v_and_b32_e32 v11, 0x100, v11
	ds_bpermute_b32 v4, v11, v4
	v_cmp_gt_i32_e64 s[6:7], s3, v0
	v_mov_b32_e32 v12, 0
	s_and_saveexec_b64 s[12:13], s[6:7]
	s_cbranch_execz .LBB340_220
; %bb.217:
	v_mov_b32_e32 v12, 0x190
	v_lshl_add_u32 v13, v0, 2, v12
	s_mov_b64 s[18:19], 0
	v_mov_b32_e32 v12, 0
	v_mov_b32_e32 v14, v0
.LBB340_218:                            ; =>This Inner Loop Header: Depth=1
	ds_read_b32 v15, v13
	v_add_u32_e32 v14, 0x80, v14
	v_cmp_le_i32_e64 s[10:11], s3, v14
	s_or_b64 s[18:19], s[10:11], s[18:19]
	s_waitcnt lgkmcnt(0)
	v_sub_f32_e32 v15, v15, v4
	v_mul_f32_e32 v15, 0x3fb8aa3b, v15
	v_exp_f32_e32 v15, v15
	ds_write_b32 v13, v15
	v_add_f32_e32 v12, v12, v15
	v_add_u32_e32 v13, 0x200, v13
	s_andn2_b64 exec, exec, s[18:19]
	s_cbranch_execnz .LBB340_218
; %bb.219:
	s_or_b64 exec, exec, s[18:19]
.LBB340_220:
	s_or_b64 exec, exec, s[12:13]
	ds_bpermute_b32 v5, v5, v12
	s_waitcnt lgkmcnt(0)
	v_add_f32_e32 v5, v12, v5
	ds_bpermute_b32 v6, v6, v5
	s_waitcnt lgkmcnt(0)
	v_add_f32_e32 v5, v5, v6
	ds_bpermute_b32 v6, v9, v5
	v_xor_b32_e32 v9, 2, v2
	v_cmp_lt_i32_e64 s[10:11], v9, v3
	s_waitcnt lgkmcnt(0)
	v_add_f32_e32 v5, v5, v6
	ds_bpermute_b32 v6, v10, v5
	v_cndmask_b32_e64 v2, v2, v9, s[10:11]
	v_lshlrev_b32_e32 v2, 2, v2
	s_waitcnt lgkmcnt(0)
	v_add_f32_e32 v3, v5, v6
	ds_bpermute_b32 v2, v2, v3
	s_waitcnt lgkmcnt(0)
	v_add_f32_e32 v2, v3, v2
	ds_bpermute_b32 v3, v23, v2
	s_waitcnt lgkmcnt(0)
	v_add_f32_e32 v2, v2, v3
	s_and_saveexec_b64 s[10:11], vcc
	s_cbranch_execz .LBB340_222
; %bb.221:
	ds_write_b32 v7, v2 offset:392
.LBB340_222:
	s_or_b64 exec, exec, s[10:11]
	s_waitcnt lgkmcnt(0)
	s_barrier
	s_and_saveexec_b64 s[10:11], s[0:1]
	s_cbranch_execz .LBB340_224
; %bb.223:
	ds_read_b32 v2, v8 offset:392
.LBB340_224:
	s_or_b64 exec, exec, s[10:11]
	s_waitcnt lgkmcnt(0)
	ds_bpermute_b32 v3, v23, v2
	s_waitcnt lgkmcnt(0)
	v_add_f32_e32 v2, v2, v3
	ds_bpermute_b32 v5, v11, v2
	s_and_saveexec_b64 s[0:1], s[6:7]
	s_cbranch_execz .LBB340_237
; %bb.225:
	s_waitcnt lgkmcnt(0)
	v_add_f32_e32 v2, 0x358637bd, v5
	v_div_scale_f32 v3, s[6:7], v2, v2, 1.0
	v_rcp_f32_e32 v6, v3
	v_div_scale_f32 v7, vcc, 1.0, v2, 1.0
	s_mov_b64 s[10:11], -1
	v_fma_f32 v8, -v3, v6, 1.0
	v_fmac_f32_e32 v6, v8, v6
	v_mul_f32_e32 v8, v7, v6
	v_fma_f32 v9, -v3, v8, v7
	v_fmac_f32_e32 v8, v9, v6
	v_fma_f32 v3, -v3, v8, v7
	v_div_fmas_f32 v3, v3, v6, v8
	v_div_fixup_f32 v2, v3, v2, 1.0
	v_xad_u32 v3, v0, -1, s43
	v_subrev_u32_e32 v6, s5, v3
	s_movk_i32 s5, 0x7f
	v_cmp_lt_u32_e32 vcc, s5, v6
	v_mov_b32_e32 v3, v0
	s_and_saveexec_b64 s[6:7], vcc
	s_cbranch_execz .LBB340_234
; %bb.226:
	v_lshrrev_b32_e32 v6, 7, v6
	v_add_u32_e32 v8, -1, v6
	v_lshrrev_b32_e32 v7, 1, v8
	v_mov_b32_e32 v3, v2
	v_add_u32_e32 v7, 1, v7
	v_cmp_lt_u32_e32 vcc, 13, v8
	v_mov_b32_e32 v10, 0
	s_and_saveexec_b64 s[10:11], vcc
	s_cbranch_execz .LBB340_230
; %bb.227:
	v_mov_b32_e32 v9, 0x190
	v_and_b32_e32 v8, -8, v7
	v_lshl_add_u32 v9, v0, 2, v9
	s_mov_b32 s5, 0
	s_mov_b64 s[12:13], 0
.LBB340_228:                            ; =>This Inner Loop Header: Depth=1
	ds_read2st64_b32 v[10:11], v9 offset1:2
	ds_read2st64_b32 v[12:13], v9 offset0:4 offset1:6
	ds_read2st64_b32 v[14:15], v9 offset0:8 offset1:10
	;; [unrolled: 1-line block ×3, first 2 shown]
	v_add_u32_e32 v8, -8, v8
	s_waitcnt lgkmcnt(3)
	v_pk_mul_f32 v[10:11], v[2:3], v[10:11]
	s_waitcnt lgkmcnt(2)
	v_pk_mul_f32 v[12:13], v[2:3], v[12:13]
	ds_write2st64_b32 v9, v10, v11 offset1:2
	ds_write2st64_b32 v9, v12, v13 offset0:4 offset1:6
	ds_read2st64_b32 v[12:13], v9 offset0:16 offset1:18
	s_waitcnt lgkmcnt(4)
	v_pk_mul_f32 v[10:11], v[2:3], v[14:15]
	ds_write2st64_b32 v9, v10, v11 offset0:8 offset1:10
	s_waitcnt lgkmcnt(4)
	v_pk_mul_f32 v[10:11], v[2:3], v[16:17]
	ds_write2st64_b32 v9, v10, v11 offset0:12 offset1:14
	ds_read2st64_b32 v[10:11], v9 offset0:20 offset1:22
	s_waitcnt lgkmcnt(3)
	v_pk_mul_f32 v[12:13], v[2:3], v[12:13]
	ds_read2st64_b32 v[14:15], v9 offset0:24 offset1:26
	ds_write2st64_b32 v9, v12, v13 offset0:16 offset1:18
	ds_read2st64_b32 v[12:13], v9 offset0:28 offset1:30
	s_waitcnt lgkmcnt(3)
	v_pk_mul_f32 v[10:11], v[2:3], v[10:11]
	ds_write2st64_b32 v9, v10, v11 offset0:20 offset1:22
	s_waitcnt lgkmcnt(3)
	v_pk_mul_f32 v[10:11], v[2:3], v[14:15]
	ds_write2st64_b32 v9, v10, v11 offset0:24 offset1:26
	s_waitcnt lgkmcnt(2)
	v_pk_mul_f32 v[10:11], v[2:3], v[12:13]
	s_add_i32 s5, s5, 16
	v_cmp_eq_u32_e32 vcc, 0, v8
	ds_write2st64_b32 v9, v10, v11 offset0:28 offset1:30
	v_add_u32_e32 v9, 0x2000, v9
	s_or_b64 s[12:13], vcc, s[12:13]
	v_mov_b32_e32 v10, s5
	s_andn2_b64 exec, exec, s[12:13]
	s_cbranch_execnz .LBB340_228
; %bb.229:
	s_or_b64 exec, exec, s[12:13]
.LBB340_230:
	s_or_b64 exec, exec, s[10:11]
	v_and_b32_e32 v7, 7, v7
	v_cmp_ne_u32_e32 vcc, 0, v7
	s_and_saveexec_b64 s[10:11], vcc
	s_cbranch_execz .LBB340_233
; %bb.231:
	v_lshlrev_b32_e32 v8, 9, v10
	v_lshlrev_b32_e32 v9, 2, v0
	s_movk_i32 s5, 0x190
	v_add3_u32 v8, v8, v9, s5
	s_mov_b64 s[12:13], 0
.LBB340_232:                            ; =>This Inner Loop Header: Depth=1
	ds_read2st64_b32 v[10:11], v8 offset1:2
	v_add_u32_e32 v7, -1, v7
	v_cmp_eq_u32_e32 vcc, 0, v7
	s_or_b64 s[12:13], vcc, s[12:13]
	s_waitcnt lgkmcnt(0)
	v_pk_mul_f32 v[10:11], v[2:3], v[10:11]
	ds_write2st64_b32 v8, v10, v11 offset1:2
	v_add_u32_e32 v8, 0x400, v8
	s_andn2_b64 exec, exec, s[12:13]
	s_cbranch_execnz .LBB340_232
.LBB340_233:
	s_or_b64 exec, exec, s[10:11]
	v_add_u32_e32 v6, 1, v6
	v_and_b32_e32 v7, 0x3fffffe, v6
	v_cmp_ne_u32_e32 vcc, v6, v7
	v_lshl_add_u32 v3, v7, 7, v0
	s_orn2_b64 s[10:11], vcc, exec
.LBB340_234:
	s_or_b64 exec, exec, s[6:7]
	s_and_b64 exec, exec, s[10:11]
	s_cbranch_execz .LBB340_237
; %bb.235:
	v_mov_b32_e32 v6, 0x190
	v_lshl_add_u32 v6, v3, 2, v6
	s_mov_b64 s[6:7], 0
.LBB340_236:                            ; =>This Inner Loop Header: Depth=1
	ds_read_b32 v7, v6
	v_add_u32_e32 v3, 0x80, v3
	v_cmp_le_i32_e32 vcc, s3, v3
	s_or_b64 s[6:7], vcc, s[6:7]
	s_waitcnt lgkmcnt(0)
	v_mul_f32_e32 v7, v2, v7
	ds_write_b32 v6, v7
	v_add_u32_e32 v6, 0x200, v6
	s_andn2_b64 exec, exec, s[6:7]
	s_cbranch_execnz .LBB340_236
.LBB340_237:
	s_or_b64 exec, exec, s[0:1]
	v_cmp_eq_u32_e32 vcc, 0, v0
	s_waitcnt lgkmcnt(0)
	s_barrier
	s_and_saveexec_b64 s[0:1], vcc
	s_cbranch_execz .LBB340_239
; %bb.238:
	s_mul_i32 s3, s16, s28
	s_mul_i32 s6, s3, s29
	s_ashr_i32 s7, s6, 31
	s_lshl_b64 s[6:7], s[6:7], 2
	s_add_u32 s5, s26, s6
	s_mul_i32 s2, s16, s2
	s_addc_u32 s10, s27, s7
	s_ashr_i32 s3, s2, 31
	s_lshl_b64 s[2:3], s[2:3], 2
	s_add_u32 s12, s5, s2
	s_addc_u32 s13, s10, s3
	s_ashr_i32 s5, s4, 31
	s_lshl_b64 s[10:11], s[4:5], 2
	s_add_u32 s12, s12, s10
	s_addc_u32 s13, s13, s11
	s_add_u32 s5, s24, s6
	s_addc_u32 s6, s25, s7
	s_add_u32 s2, s5, s2
	s_addc_u32 s3, s6, s3
	s_add_u32 s2, s2, s10
	v_mov_b32_e32 v2, 0
	s_addc_u32 s3, s3, s11
	global_store_dword v2, v4, s[12:13]
	global_store_dword v2, v5, s[2:3]
.LBB340_239:
	s_or_b64 exec, exec, s[0:1]
	v_mov_b32_e32 v11, 0
	v_and_b32_e32 v24, 1, v0
	v_mov_b32_e32 v10, 0
	v_mov_b32_e32 v13, 0
	v_mov_b32_e32 v12, 0
	v_mov_b32_e32 v15, 0
	v_mov_b32_e32 v14, 0
	s_and_saveexec_b64 s[2:3], s[8:9]
	s_cbranch_execz .LBB340_673
; %bb.240:
	s_sub_i32 s5, s50, s21
	s_ashr_i32 s1, s51, 31
	s_add_u32 s0, s40, s51
	s_addc_u32 s1, s41, s1
	s_abs_i32 s12, s22
	v_cvt_f32_u32_e32 v2, s12
	v_lshlrev_b32_e32 v3, 3, v0
	s_sub_i32 s6, 0, s12
	v_mov_b32_e32 v17, 0
	v_rcp_iflag_f32_e32 v2, v2
	v_and_b32_e32 v25, 8, v3
	v_and_b32_e32 v16, 0x1f8, v3
	s_mov_b32 s13, s17
	v_mul_f32_e32 v2, 0x4f7ffffe, v2
	v_cvt_u32_f32_e32 v2, v2
	s_add_i32 s17, s49, -1
	v_lshl_add_u64 v[18:19], s[0:1], 0, v[16:17]
	s_lshl_b64 s[0:1], s[38:39], 2
	v_mul_lo_u32 v3, s6, v2
	v_mul_hi_u32 v3, v2, v3
	v_add_u32_e32 v28, v2, v3
	s_add_u32 s0, s36, s0
	v_lshlrev_b32_e32 v2, 5, v24
	s_addc_u32 s1, s37, s1
	v_lshl_or_b32 v2, v36, 6, v2
	v_lshl_add_u64 v[20:21], v[26:27], 2, s[0:1]
	v_add_u32_e32 v16, 0x190, v2
	s_mov_b64 s[6:7], 0
	s_mov_b32 s18, 0x7f800000
	s_movk_i32 s19, 0x7fff
	v_mov_b32_e32 v14, 0
	v_mov_b32_e32 v15, 0
	;; [unrolled: 1-line block ×6, first 2 shown]
	s_branch .LBB340_243
.LBB340_241:                            ;   in Loop: Header=BB340_243 Depth=1
	s_or_b64 exec, exec, s[0:1]
	v_and_b32_e32 v43, 0xffff0000, v73
	v_and_b32_e32 v42, 0xffff0000, v5
	;; [unrolled: 1-line block ×8, first 2 shown]
	v_pk_add_f32 v[4:5], v[4:5], v[42:43]
	v_pk_add_f32 v[38:39], v[40:41], v[38:39]
	v_add_f32_e32 v4, v4, v5
	v_add_f32_e32 v4, v4, v38
	v_add_f32_e32 v4, v4, v39
	v_and_b32_e32 v41, 0xffff0000, v67
	v_and_b32_e32 v40, 0xffff0000, v65
	v_and_b32_e32 v43, 0xffff0000, v66
	v_and_b32_e32 v42, 0xffff0000, v64
	v_add_f32_e32 v10, v10, v4
	v_and_b32_e32 v5, 0xffff0000, v71
	v_and_b32_e32 v4, 0xffff0000, v69
	v_and_b32_e32 v39, 0xffff0000, v70
	v_and_b32_e32 v38, 0xffff0000, v68
	v_pk_add_f32 v[40:41], v[42:43], v[40:41]
	v_pk_add_f32 v[4:5], v[38:39], v[4:5]
	v_add_f32_e32 v38, v40, v41
	v_add_f32_e32 v4, v38, v4
	v_add_f32_e32 v4, v4, v5
	v_and_b32_e32 v41, 0xffff0000, v59
	v_and_b32_e32 v40, 0xffff0000, v57
	v_and_b32_e32 v43, 0xffff0000, v58
	v_and_b32_e32 v42, 0xffff0000, v56
	v_add_f32_e32 v13, v13, v4
	v_and_b32_e32 v5, 0xffff0000, v63
	v_and_b32_e32 v4, 0xffff0000, v61
	v_and_b32_e32 v39, 0xffff0000, v62
	v_and_b32_e32 v38, 0xffff0000, v60
	;; [unrolled: 14-line block ×5, first 2 shown]
	v_pk_add_f32 v[2:3], v[2:3], v[8:9]
	v_pk_add_f32 v[4:5], v[6:7], v[4:5]
	v_add_f32_e32 v2, v2, v3
	v_add_f32_e32 v2, v2, v4
	;; [unrolled: 1-line block ×4, first 2 shown]
.LBB340_242:                            ;   in Loop: Header=BB340_243 Depth=1
	s_or_b64 exec, exec, s[8:9]
	v_add_u32_e32 v26, 2, v26
	v_cmp_le_i32_e32 vcc, s20, v26
	v_lshl_add_u64 v[20:21], v[20:21], 0, 8
	v_add_u32_e32 v1, 32, v1
	s_or_b64 s[6:7], vcc, s[6:7]
	v_add_u32_e32 v16, 0x80, v16
	s_andn2_b64 exec, exec, s[6:7]
	s_cbranch_execz .LBB340_672
.LBB340_243:                            ; =>This Inner Loop Header: Depth=1
	v_sub_u32_e32 v3, 0, v1
	v_max_i32_e32 v3, v1, v3
	v_mul_hi_u32 v4, v3, s48
	v_mul_lo_u32 v5, v4, s31
	v_sub_u32_e32 v3, v3, v5
	v_add_u32_e32 v5, 1, v4
	v_cmp_le_u32_e32 vcc, s31, v3
	v_ashrrev_i32_e32 v2, 31, v1
	v_xor_b32_e32 v2, s23, v2
	v_cndmask_b32_e32 v4, v4, v5, vcc
	v_subrev_u32_e32 v5, s31, v3
	v_cndmask_b32_e32 v3, v3, v5, vcc
	v_add_u32_e32 v5, 1, v4
	v_cmp_le_u32_e32 vcc, s31, v3
	s_nop 1
	v_cndmask_b32_e32 v3, v4, v5, vcc
	v_xor_b32_e32 v3, v3, v2
	v_sub_u32_e32 v2, v3, v2
	v_add_u32_e32 v3, s42, v2
	v_sub_u32_e32 v5, 0, v3
	v_ashrrev_i32_e32 v4, 31, v3
	v_max_i32_e32 v3, v3, v5
	v_mul_hi_u32 v5, v3, v28
	v_mul_lo_u32 v5, v5, s12
	v_sub_u32_e32 v3, v3, v5
	v_subrev_u32_e32 v5, s12, v3
	v_cmp_le_u32_e32 vcc, s12, v3
	v_cmp_lt_i32_e64 s[0:1], s5, v2
	s_nop 0
	v_cndmask_b32_e32 v3, v3, v5, vcc
	v_subrev_u32_e32 v5, s12, v3
	v_cmp_le_u32_e32 vcc, s12, v3
	s_nop 1
	v_cndmask_b32_e32 v3, v3, v5, vcc
	v_xor_b32_e32 v3, v3, v4
	v_sub_u32_e32 v3, v3, v4
	v_cmp_eq_u32_e32 vcc, 0, v3
	s_or_b64 s[0:1], vcc, s[0:1]
	s_and_saveexec_b64 s[8:9], s[0:1]
	s_cbranch_execz .LBB340_242
; %bb.244:                              ;   in Loop: Header=BB340_243 Depth=1
	global_load_dword v32, v[20:21], off
	ds_read2_b64 v[6:9], v16 offset1:1
	ds_read2_b64 v[2:5], v16 offset0:2 offset1:3
                                        ; implicit-def: $vgpr40
	s_waitcnt lgkmcnt(1)
	v_and_b32_e32 v27, 0x7f800000, v6
	v_cmp_ne_u32_e32 vcc, s18, v27
	s_and_saveexec_b64 s[0:1], vcc
	s_xor_b64 s[0:1], exec, s[0:1]
; %bb.245:                              ;   in Loop: Header=BB340_243 Depth=1
	v_bfe_u32 v27, v6, 16, 1
	v_add3_u32 v40, v6, v27, s19
; %bb.246:                              ;   in Loop: Header=BB340_243 Depth=1
	s_andn2_saveexec_b64 s[0:1], s[0:1]
; %bb.247:                              ;   in Loop: Header=BB340_243 Depth=1
	v_or_b32_e32 v27, 0x10000, v6
	v_cmp_eq_u32_sdwa vcc, v6, v17 src0_sel:WORD_0 src1_sel:DWORD
	s_nop 1
	v_cndmask_b32_e32 v40, v27, v6, vcc
; %bb.248:                              ;   in Loop: Header=BB340_243 Depth=1
	s_or_b64 exec, exec, s[0:1]
	v_and_b32_e32 v6, 0x7f800000, v7
	v_cmp_ne_u32_e32 vcc, s18, v6
                                        ; implicit-def: $vgpr41
	s_and_saveexec_b64 s[0:1], vcc
	s_xor_b64 s[0:1], exec, s[0:1]
; %bb.249:                              ;   in Loop: Header=BB340_243 Depth=1
	v_bfe_u32 v6, v7, 16, 1
	v_add3_u32 v41, v7, v6, s19
; %bb.250:                              ;   in Loop: Header=BB340_243 Depth=1
	s_andn2_saveexec_b64 s[0:1], s[0:1]
; %bb.251:                              ;   in Loop: Header=BB340_243 Depth=1
	v_or_b32_e32 v6, 0x10000, v7
	v_cmp_eq_u32_sdwa vcc, v7, v17 src0_sel:WORD_0 src1_sel:DWORD
	s_nop 1
	v_cndmask_b32_e32 v41, v6, v7, vcc
; %bb.252:                              ;   in Loop: Header=BB340_243 Depth=1
	s_or_b64 exec, exec, s[0:1]
	v_and_b32_e32 v6, 0x7f800000, v8
	v_cmp_ne_u32_e32 vcc, s18, v6
                                        ; implicit-def: $vgpr42
	s_and_saveexec_b64 s[0:1], vcc
	s_xor_b64 s[0:1], exec, s[0:1]
; %bb.253:                              ;   in Loop: Header=BB340_243 Depth=1
	v_bfe_u32 v6, v8, 16, 1
	v_add3_u32 v42, v8, v6, s19
; %bb.254:                              ;   in Loop: Header=BB340_243 Depth=1
	s_andn2_saveexec_b64 s[0:1], s[0:1]
; %bb.255:                              ;   in Loop: Header=BB340_243 Depth=1
	v_or_b32_e32 v6, 0x10000, v8
	v_cmp_eq_u32_sdwa vcc, v8, v17 src0_sel:WORD_0 src1_sel:DWORD
	s_nop 1
	v_cndmask_b32_e32 v42, v6, v8, vcc
; %bb.256:                              ;   in Loop: Header=BB340_243 Depth=1
	s_or_b64 exec, exec, s[0:1]
	v_and_b32_e32 v6, 0x7f800000, v9
	v_cmp_ne_u32_e32 vcc, s18, v6
                                        ; implicit-def: $vgpr43
	s_and_saveexec_b64 s[0:1], vcc
	s_xor_b64 s[0:1], exec, s[0:1]
; %bb.257:                              ;   in Loop: Header=BB340_243 Depth=1
	v_bfe_u32 v6, v9, 16, 1
	v_add3_u32 v43, v9, v6, s19
                                        ; implicit-def: $vgpr6_vgpr7_vgpr8_vgpr9
; %bb.258:                              ;   in Loop: Header=BB340_243 Depth=1
	s_andn2_saveexec_b64 s[0:1], s[0:1]
; %bb.259:                              ;   in Loop: Header=BB340_243 Depth=1
	v_or_b32_e32 v6, 0x10000, v9
	v_cmp_eq_u32_sdwa vcc, v9, v17 src0_sel:WORD_0 src1_sel:DWORD
	s_nop 1
	v_cndmask_b32_e32 v43, v6, v9, vcc
; %bb.260:                              ;   in Loop: Header=BB340_243 Depth=1
	s_or_b64 exec, exec, s[0:1]
	s_waitcnt lgkmcnt(0)
	v_and_b32_e32 v6, 0x7f800000, v2
	v_cmp_ne_u32_e32 vcc, s18, v6
                                        ; implicit-def: $vgpr27
	s_and_saveexec_b64 s[0:1], vcc
	s_xor_b64 s[0:1], exec, s[0:1]
; %bb.261:                              ;   in Loop: Header=BB340_243 Depth=1
	v_bfe_u32 v6, v2, 16, 1
	v_add3_u32 v27, v2, v6, s19
; %bb.262:                              ;   in Loop: Header=BB340_243 Depth=1
	s_andn2_saveexec_b64 s[0:1], s[0:1]
; %bb.263:                              ;   in Loop: Header=BB340_243 Depth=1
	v_or_b32_e32 v6, 0x10000, v2
	v_cmp_eq_u32_sdwa vcc, v2, v17 src0_sel:WORD_0 src1_sel:DWORD
	s_nop 1
	v_cndmask_b32_e32 v27, v6, v2, vcc
; %bb.264:                              ;   in Loop: Header=BB340_243 Depth=1
	s_or_b64 exec, exec, s[0:1]
	v_and_b32_e32 v2, 0x7f800000, v3
	v_cmp_ne_u32_e32 vcc, s18, v2
                                        ; implicit-def: $vgpr29
	s_and_saveexec_b64 s[0:1], vcc
	s_xor_b64 s[0:1], exec, s[0:1]
; %bb.265:                              ;   in Loop: Header=BB340_243 Depth=1
	v_bfe_u32 v2, v3, 16, 1
	v_add3_u32 v29, v3, v2, s19
; %bb.266:                              ;   in Loop: Header=BB340_243 Depth=1
	s_andn2_saveexec_b64 s[0:1], s[0:1]
; %bb.267:                              ;   in Loop: Header=BB340_243 Depth=1
	v_or_b32_e32 v2, 0x10000, v3
	v_cmp_eq_u32_sdwa vcc, v3, v17 src0_sel:WORD_0 src1_sel:DWORD
	s_nop 1
	v_cndmask_b32_e32 v29, v2, v3, vcc
; %bb.268:                              ;   in Loop: Header=BB340_243 Depth=1
	s_or_b64 exec, exec, s[0:1]
	v_and_b32_e32 v2, 0x7f800000, v4
	v_cmp_ne_u32_e32 vcc, s18, v2
                                        ; implicit-def: $vgpr30
	s_and_saveexec_b64 s[0:1], vcc
	s_xor_b64 s[0:1], exec, s[0:1]
; %bb.269:                              ;   in Loop: Header=BB340_243 Depth=1
	v_bfe_u32 v2, v4, 16, 1
	v_add3_u32 v30, v4, v2, s19
; %bb.270:                              ;   in Loop: Header=BB340_243 Depth=1
	s_andn2_saveexec_b64 s[0:1], s[0:1]
; %bb.271:                              ;   in Loop: Header=BB340_243 Depth=1
	v_or_b32_e32 v2, 0x10000, v4
	v_cmp_eq_u32_sdwa vcc, v4, v17 src0_sel:WORD_0 src1_sel:DWORD
	s_nop 1
	v_cndmask_b32_e32 v30, v2, v4, vcc
; %bb.272:                              ;   in Loop: Header=BB340_243 Depth=1
	s_or_b64 exec, exec, s[0:1]
	v_and_b32_e32 v2, 0x7f800000, v5
	v_cmp_ne_u32_e32 vcc, s18, v2
                                        ; implicit-def: $vgpr31
	s_and_saveexec_b64 s[0:1], vcc
	s_xor_b64 s[0:1], exec, s[0:1]
; %bb.273:                              ;   in Loop: Header=BB340_243 Depth=1
	v_bfe_u32 v2, v5, 16, 1
	v_add3_u32 v31, v5, v2, s19
                                        ; implicit-def: $vgpr2_vgpr3_vgpr4_vgpr5
; %bb.274:                              ;   in Loop: Header=BB340_243 Depth=1
	s_andn2_saveexec_b64 s[0:1], s[0:1]
; %bb.275:                              ;   in Loop: Header=BB340_243 Depth=1
	v_or_b32_e32 v2, 0x10000, v5
	v_cmp_eq_u32_sdwa vcc, v5, v17 src0_sel:WORD_0 src1_sel:DWORD
	s_nop 1
	v_cndmask_b32_e32 v31, v2, v5, vcc
; %bb.276:                              ;   in Loop: Header=BB340_243 Depth=1
	s_or_b64 exec, exec, s[0:1]
	s_waitcnt vmcnt(0)
	v_mad_i64_i32 v[2:3], s[0:1], v32, s13, v[18:19]
	global_load_dwordx2 v[4:5], v[2:3], off
	s_load_dword s21, s[14:15], 0x0
	s_waitcnt vmcnt(0)
	v_and_b32_e32 v6, 0xff, v4
	v_cvt_f32_fp8_sdwa v6, v6 src0_sel:BYTE_0
	s_waitcnt lgkmcnt(0)
	v_mul_f32_e32 v7, s21, v6
	v_and_b32_e32 v6, 0x7f800000, v7
	v_cmp_ne_u32_e32 vcc, s18, v6
                                        ; implicit-def: $vgpr6
	s_and_saveexec_b64 s[0:1], vcc
	s_xor_b64 s[0:1], exec, s[0:1]
; %bb.277:                              ;   in Loop: Header=BB340_243 Depth=1
	v_bfe_u32 v6, v7, 16, 1
	v_add3_u32 v6, v7, v6, s19
                                        ; implicit-def: $vgpr7
; %bb.278:                              ;   in Loop: Header=BB340_243 Depth=1
	s_andn2_saveexec_b64 s[0:1], s[0:1]
; %bb.279:                              ;   in Loop: Header=BB340_243 Depth=1
	v_or_b32_e32 v6, 0x10000, v7
	v_cmp_eq_u32_sdwa vcc, v7, v17 src0_sel:WORD_0 src1_sel:DWORD
	s_nop 1
	v_cndmask_b32_e32 v6, v6, v7, vcc
; %bb.280:                              ;   in Loop: Header=BB340_243 Depth=1
	s_or_b64 exec, exec, s[0:1]
	v_bfe_u32 v7, v4, 8, 8
	v_cvt_f32_fp8_sdwa v7, v7 src0_sel:BYTE_0
	s_nop 0
	v_mul_f32_e32 v8, s21, v7
	v_and_b32_e32 v7, 0x7f800000, v8
	v_cmp_ne_u32_e32 vcc, s18, v7
                                        ; implicit-def: $vgpr7
	s_and_saveexec_b64 s[0:1], vcc
	s_xor_b64 s[0:1], exec, s[0:1]
; %bb.281:                              ;   in Loop: Header=BB340_243 Depth=1
	v_bfe_u32 v7, v8, 16, 1
	v_add3_u32 v7, v8, v7, s19
                                        ; implicit-def: $vgpr8
; %bb.282:                              ;   in Loop: Header=BB340_243 Depth=1
	s_andn2_saveexec_b64 s[0:1], s[0:1]
; %bb.283:                              ;   in Loop: Header=BB340_243 Depth=1
	v_or_b32_e32 v7, 0x10000, v8
	v_cmp_eq_u32_sdwa vcc, v8, v17 src0_sel:WORD_0 src1_sel:DWORD
	s_nop 1
	v_cndmask_b32_e32 v7, v7, v8, vcc
; %bb.284:                              ;   in Loop: Header=BB340_243 Depth=1
	s_or_b64 exec, exec, s[0:1]
	v_bfe_u32 v8, v4, 16, 8
	v_cvt_f32_fp8_sdwa v8, v8 src0_sel:BYTE_0
	s_nop 0
	v_mul_f32_e32 v9, s21, v8
	v_and_b32_e32 v8, 0x7f800000, v9
	v_cmp_ne_u32_e32 vcc, s18, v8
                                        ; implicit-def: $vgpr8
	s_and_saveexec_b64 s[0:1], vcc
	s_xor_b64 s[0:1], exec, s[0:1]
; %bb.285:                              ;   in Loop: Header=BB340_243 Depth=1
	v_bfe_u32 v8, v9, 16, 1
	v_add3_u32 v8, v9, v8, s19
                                        ; implicit-def: $vgpr9
; %bb.286:                              ;   in Loop: Header=BB340_243 Depth=1
	s_andn2_saveexec_b64 s[0:1], s[0:1]
; %bb.287:                              ;   in Loop: Header=BB340_243 Depth=1
	v_or_b32_e32 v8, 0x10000, v9
	v_cmp_eq_u32_sdwa vcc, v9, v17 src0_sel:WORD_0 src1_sel:DWORD
	s_nop 1
	v_cndmask_b32_e32 v8, v8, v9, vcc
; %bb.288:                              ;   in Loop: Header=BB340_243 Depth=1
	s_or_b64 exec, exec, s[0:1]
	v_lshrrev_b32_e32 v4, 24, v4
	v_cvt_f32_fp8_sdwa v4, v4 src0_sel:BYTE_0
	s_nop 0
	v_mul_f32_e32 v9, s21, v4
	v_and_b32_e32 v4, 0x7f800000, v9
	v_cmp_ne_u32_e32 vcc, s18, v4
                                        ; implicit-def: $vgpr4
	s_and_saveexec_b64 s[0:1], vcc
	s_xor_b64 s[0:1], exec, s[0:1]
; %bb.289:                              ;   in Loop: Header=BB340_243 Depth=1
	v_bfe_u32 v4, v9, 16, 1
	v_add3_u32 v4, v9, v4, s19
                                        ; implicit-def: $vgpr9
; %bb.290:                              ;   in Loop: Header=BB340_243 Depth=1
	s_andn2_saveexec_b64 s[0:1], s[0:1]
; %bb.291:                              ;   in Loop: Header=BB340_243 Depth=1
	v_or_b32_e32 v4, 0x10000, v9
	v_cmp_eq_u32_sdwa vcc, v9, v17 src0_sel:WORD_0 src1_sel:DWORD
	s_nop 1
	v_cndmask_b32_e32 v4, v4, v9, vcc
; %bb.292:                              ;   in Loop: Header=BB340_243 Depth=1
	s_or_b64 exec, exec, s[0:1]
	v_and_b32_e32 v9, 0xff, v5
	v_cvt_f32_fp8_sdwa v9, v9 src0_sel:BYTE_0
	s_nop 0
	v_mul_f32_e32 v32, s21, v9
	v_and_b32_e32 v9, 0x7f800000, v32
	v_cmp_ne_u32_e32 vcc, s18, v9
                                        ; implicit-def: $vgpr9
	s_and_saveexec_b64 s[0:1], vcc
	s_xor_b64 s[0:1], exec, s[0:1]
; %bb.293:                              ;   in Loop: Header=BB340_243 Depth=1
	v_bfe_u32 v9, v32, 16, 1
	v_add3_u32 v9, v32, v9, s19
                                        ; implicit-def: $vgpr32
; %bb.294:                              ;   in Loop: Header=BB340_243 Depth=1
	s_andn2_saveexec_b64 s[0:1], s[0:1]
; %bb.295:                              ;   in Loop: Header=BB340_243 Depth=1
	v_or_b32_e32 v9, 0x10000, v32
	v_cmp_eq_u32_sdwa vcc, v32, v17 src0_sel:WORD_0 src1_sel:DWORD
	s_nop 1
	v_cndmask_b32_e32 v9, v9, v32, vcc
; %bb.296:                              ;   in Loop: Header=BB340_243 Depth=1
	s_or_b64 exec, exec, s[0:1]
	v_bfe_u32 v32, v5, 8, 8
	v_cvt_f32_fp8_sdwa v32, v32 src0_sel:BYTE_0
	s_nop 0
	v_mul_f32_e32 v32, s21, v32
	v_and_b32_e32 v33, 0x7f800000, v32
	v_cmp_ne_u32_e32 vcc, s18, v33
                                        ; implicit-def: $vgpr33
	s_and_saveexec_b64 s[0:1], vcc
	s_xor_b64 s[0:1], exec, s[0:1]
; %bb.297:                              ;   in Loop: Header=BB340_243 Depth=1
	v_bfe_u32 v33, v32, 16, 1
	v_add3_u32 v33, v32, v33, s19
                                        ; implicit-def: $vgpr32
; %bb.298:                              ;   in Loop: Header=BB340_243 Depth=1
	s_andn2_saveexec_b64 s[0:1], s[0:1]
; %bb.299:                              ;   in Loop: Header=BB340_243 Depth=1
	v_or_b32_e32 v33, 0x10000, v32
	v_cmp_eq_u32_sdwa vcc, v32, v17 src0_sel:WORD_0 src1_sel:DWORD
	s_nop 1
	v_cndmask_b32_e32 v33, v33, v32, vcc
; %bb.300:                              ;   in Loop: Header=BB340_243 Depth=1
	s_or_b64 exec, exec, s[0:1]
	v_bfe_u32 v32, v5, 16, 8
	v_cvt_f32_fp8_sdwa v32, v32 src0_sel:BYTE_0
	s_nop 0
	v_mul_f32_e32 v32, s21, v32
	v_and_b32_e32 v34, 0x7f800000, v32
	v_cmp_ne_u32_e32 vcc, s18, v34
                                        ; implicit-def: $vgpr34
	s_and_saveexec_b64 s[0:1], vcc
	s_xor_b64 s[0:1], exec, s[0:1]
; %bb.301:                              ;   in Loop: Header=BB340_243 Depth=1
	v_bfe_u32 v34, v32, 16, 1
	v_add3_u32 v34, v32, v34, s19
                                        ; implicit-def: $vgpr32
; %bb.302:                              ;   in Loop: Header=BB340_243 Depth=1
	s_andn2_saveexec_b64 s[0:1], s[0:1]
; %bb.303:                              ;   in Loop: Header=BB340_243 Depth=1
	v_or_b32_e32 v34, 0x10000, v32
	v_cmp_eq_u32_sdwa vcc, v32, v17 src0_sel:WORD_0 src1_sel:DWORD
	s_nop 1
	v_cndmask_b32_e32 v34, v34, v32, vcc
; %bb.304:                              ;   in Loop: Header=BB340_243 Depth=1
	s_or_b64 exec, exec, s[0:1]
	v_lshrrev_b32_e32 v5, 24, v5
	v_cvt_f32_fp8_sdwa v5, v5 src0_sel:BYTE_0
                                        ; implicit-def: $vgpr35
	s_nop 0
	v_mul_f32_e32 v5, s21, v5
	v_and_b32_e32 v32, 0x7f800000, v5
	v_cmp_ne_u32_e32 vcc, s18, v32
	s_and_saveexec_b64 s[0:1], vcc
	s_xor_b64 s[0:1], exec, s[0:1]
; %bb.305:                              ;   in Loop: Header=BB340_243 Depth=1
	v_bfe_u32 v32, v5, 16, 1
	v_add3_u32 v35, v5, v32, s19
                                        ; implicit-def: $vgpr5
; %bb.306:                              ;   in Loop: Header=BB340_243 Depth=1
	s_andn2_saveexec_b64 s[0:1], s[0:1]
; %bb.307:                              ;   in Loop: Header=BB340_243 Depth=1
	v_or_b32_e32 v32, 0x10000, v5
	v_cmp_eq_u32_sdwa vcc, v5, v17 src0_sel:WORD_0 src1_sel:DWORD
	s_nop 1
	v_cndmask_b32_e32 v35, v32, v5, vcc
; %bb.308:                              ;   in Loop: Header=BB340_243 Depth=1
	s_or_b64 exec, exec, s[0:1]
	v_add_u32_e32 v32, v25, v1
	v_cmp_eq_u32_e32 vcc, s17, v26
	v_lshrrev_b32_e32 v46, 16, v33
	v_lshrrev_b32_e32 v45, 16, v9
	;; [unrolled: 1-line block ×8, first 2 shown]
	v_add_u32_e32 v39, 1, v32
	v_add_u32_e32 v38, 2, v32
	v_add_u32_e32 v37, 3, v32
	v_add_u32_e32 v36, 4, v32
	v_add_u32_e32 v35, 5, v32
	v_add_u32_e32 v34, 6, v32
	v_add_u32_e32 v33, 7, v32
	s_and_saveexec_b64 s[10:11], vcc
	s_cbranch_execz .LBB340_310
; %bb.309:                              ;   in Loop: Header=BB340_243 Depth=1
	v_cmp_gt_i32_e64 s[0:1], s33, v32
	s_nop 1
	v_cndmask_b32_e64 v6, 0, v6, s[0:1]
	v_cmp_gt_i32_e64 s[0:1], s33, v39
	s_nop 1
	v_cndmask_b32_e64 v7, 0, v7, s[0:1]
	;; [unrolled: 3-line block ×8, first 2 shown]
.LBB340_310:                            ;   in Loop: Header=BB340_243 Depth=1
	s_or_b64 exec, exec, s[10:11]
	v_and_b32_e32 v40, 0xffff0000, v40
	v_lshlrev_b32_e32 v6, 16, v6
	v_mul_f32_e32 v44, v40, v6
	v_and_b32_e32 v6, 0x7f800000, v44
	v_cmp_ne_u32_e64 s[0:1], s18, v6
                                        ; implicit-def: $vgpr6
	s_and_saveexec_b64 s[10:11], s[0:1]
	s_xor_b64 s[0:1], exec, s[10:11]
; %bb.311:                              ;   in Loop: Header=BB340_243 Depth=1
	v_bfe_u32 v6, v44, 16, 1
	v_add3_u32 v6, v44, v6, s19
                                        ; implicit-def: $vgpr44
; %bb.312:                              ;   in Loop: Header=BB340_243 Depth=1
	s_andn2_saveexec_b64 s[10:11], s[0:1]
; %bb.313:                              ;   in Loop: Header=BB340_243 Depth=1
	v_or_b32_e32 v6, 0x10000, v44
	v_cmp_eq_u32_sdwa s[0:1], v44, v17 src0_sel:WORD_0 src1_sel:DWORD
	s_nop 1
	v_cndmask_b32_e64 v6, v6, v44, s[0:1]
; %bb.314:                              ;   in Loop: Header=BB340_243 Depth=1
	s_or_b64 exec, exec, s[10:11]
	v_and_b32_e32 v41, 0xffff0000, v41
	v_lshlrev_b32_e32 v7, 16, v7
	v_mul_f32_e32 v44, v41, v7
	v_and_b32_e32 v7, 0x7f800000, v44
	v_cmp_ne_u32_e64 s[0:1], s18, v7
                                        ; implicit-def: $vgpr7
	s_and_saveexec_b64 s[10:11], s[0:1]
	s_xor_b64 s[0:1], exec, s[10:11]
; %bb.315:                              ;   in Loop: Header=BB340_243 Depth=1
	v_bfe_u32 v7, v44, 16, 1
	v_add3_u32 v7, v44, v7, s19
                                        ; implicit-def: $vgpr44
; %bb.316:                              ;   in Loop: Header=BB340_243 Depth=1
	s_andn2_saveexec_b64 s[10:11], s[0:1]
; %bb.317:                              ;   in Loop: Header=BB340_243 Depth=1
	v_or_b32_e32 v7, 0x10000, v44
	v_cmp_eq_u32_sdwa s[0:1], v44, v17 src0_sel:WORD_0 src1_sel:DWORD
	s_nop 1
	v_cndmask_b32_e64 v7, v7, v44, s[0:1]
; %bb.318:                              ;   in Loop: Header=BB340_243 Depth=1
	s_or_b64 exec, exec, s[10:11]
	v_and_b32_e32 v42, 0xffff0000, v42
	v_lshlrev_b32_e32 v8, 16, v8
	v_mul_f32_e32 v44, v42, v8
	v_and_b32_e32 v8, 0x7f800000, v44
	v_cmp_ne_u32_e64 s[0:1], s18, v8
                                        ; implicit-def: $vgpr8
	s_and_saveexec_b64 s[10:11], s[0:1]
	s_xor_b64 s[0:1], exec, s[10:11]
; %bb.319:                              ;   in Loop: Header=BB340_243 Depth=1
	v_bfe_u32 v8, v44, 16, 1
	v_add3_u32 v8, v44, v8, s19
                                        ; implicit-def: $vgpr44
; %bb.320:                              ;   in Loop: Header=BB340_243 Depth=1
	s_andn2_saveexec_b64 s[10:11], s[0:1]
; %bb.321:                              ;   in Loop: Header=BB340_243 Depth=1
	v_or_b32_e32 v8, 0x10000, v44
	v_cmp_eq_u32_sdwa s[0:1], v44, v17 src0_sel:WORD_0 src1_sel:DWORD
	s_nop 1
	v_cndmask_b32_e64 v8, v8, v44, s[0:1]
; %bb.322:                              ;   in Loop: Header=BB340_243 Depth=1
	s_or_b64 exec, exec, s[10:11]
	v_and_b32_e32 v43, 0xffff0000, v43
	v_lshlrev_b32_e32 v9, 16, v9
	v_mul_f32_e32 v44, v43, v9
	v_and_b32_e32 v9, 0x7f800000, v44
	v_cmp_ne_u32_e64 s[0:1], s18, v9
                                        ; implicit-def: $vgpr9
	s_and_saveexec_b64 s[10:11], s[0:1]
	s_xor_b64 s[0:1], exec, s[10:11]
; %bb.323:                              ;   in Loop: Header=BB340_243 Depth=1
	v_bfe_u32 v9, v44, 16, 1
	v_add3_u32 v9, v44, v9, s19
                                        ; implicit-def: $vgpr44
; %bb.324:                              ;   in Loop: Header=BB340_243 Depth=1
	s_andn2_saveexec_b64 s[10:11], s[0:1]
; %bb.325:                              ;   in Loop: Header=BB340_243 Depth=1
	v_or_b32_e32 v9, 0x10000, v44
	v_cmp_eq_u32_sdwa s[0:1], v44, v17 src0_sel:WORD_0 src1_sel:DWORD
	s_nop 1
	v_cndmask_b32_e64 v9, v9, v44, s[0:1]
; %bb.326:                              ;   in Loop: Header=BB340_243 Depth=1
	s_or_b64 exec, exec, s[10:11]
	v_and_b32_e32 v44, 0xffff0000, v27
	v_lshlrev_b32_e32 v27, 16, v45
	v_mul_f32_e32 v45, v44, v27
	v_and_b32_e32 v27, 0x7f800000, v45
	v_cmp_ne_u32_e64 s[0:1], s18, v27
                                        ; implicit-def: $vgpr27
	s_and_saveexec_b64 s[10:11], s[0:1]
	s_xor_b64 s[0:1], exec, s[10:11]
; %bb.327:                              ;   in Loop: Header=BB340_243 Depth=1
	v_bfe_u32 v27, v45, 16, 1
	v_add3_u32 v27, v45, v27, s19
                                        ; implicit-def: $vgpr45
; %bb.328:                              ;   in Loop: Header=BB340_243 Depth=1
	s_andn2_saveexec_b64 s[10:11], s[0:1]
; %bb.329:                              ;   in Loop: Header=BB340_243 Depth=1
	v_or_b32_e32 v27, 0x10000, v45
	v_cmp_eq_u32_sdwa s[0:1], v45, v17 src0_sel:WORD_0 src1_sel:DWORD
	s_nop 1
	v_cndmask_b32_e64 v27, v27, v45, s[0:1]
; %bb.330:                              ;   in Loop: Header=BB340_243 Depth=1
	s_or_b64 exec, exec, s[10:11]
	v_and_b32_e32 v45, 0xffff0000, v29
	v_lshlrev_b32_e32 v29, 16, v46
	v_mul_f32_e32 v46, v45, v29
	v_and_b32_e32 v29, 0x7f800000, v46
	v_cmp_ne_u32_e64 s[0:1], s18, v29
                                        ; implicit-def: $vgpr29
	s_and_saveexec_b64 s[10:11], s[0:1]
	s_xor_b64 s[0:1], exec, s[10:11]
; %bb.331:                              ;   in Loop: Header=BB340_243 Depth=1
	v_bfe_u32 v29, v46, 16, 1
	v_add3_u32 v29, v46, v29, s19
                                        ; implicit-def: $vgpr46
; %bb.332:                              ;   in Loop: Header=BB340_243 Depth=1
	s_andn2_saveexec_b64 s[10:11], s[0:1]
; %bb.333:                              ;   in Loop: Header=BB340_243 Depth=1
	v_or_b32_e32 v29, 0x10000, v46
	v_cmp_eq_u32_sdwa s[0:1], v46, v17 src0_sel:WORD_0 src1_sel:DWORD
	s_nop 1
	v_cndmask_b32_e64 v29, v29, v46, s[0:1]
; %bb.334:                              ;   in Loop: Header=BB340_243 Depth=1
	s_or_b64 exec, exec, s[10:11]
	v_and_b32_e32 v46, 0xffff0000, v30
	v_lshlrev_b32_e32 v5, 16, v5
	v_mul_f32_e32 v5, v46, v5
	v_and_b32_e32 v30, 0x7f800000, v5
	v_cmp_ne_u32_e64 s[0:1], s18, v30
                                        ; implicit-def: $vgpr30
	s_and_saveexec_b64 s[10:11], s[0:1]
	s_xor_b64 s[0:1], exec, s[10:11]
; %bb.335:                              ;   in Loop: Header=BB340_243 Depth=1
	v_bfe_u32 v30, v5, 16, 1
	v_add3_u32 v30, v5, v30, s19
                                        ; implicit-def: $vgpr5
; %bb.336:                              ;   in Loop: Header=BB340_243 Depth=1
	s_andn2_saveexec_b64 s[10:11], s[0:1]
; %bb.337:                              ;   in Loop: Header=BB340_243 Depth=1
	v_or_b32_e32 v30, 0x10000, v5
	v_cmp_eq_u32_sdwa s[0:1], v5, v17 src0_sel:WORD_0 src1_sel:DWORD
	s_nop 1
	v_cndmask_b32_e64 v30, v30, v5, s[0:1]
; %bb.338:                              ;   in Loop: Header=BB340_243 Depth=1
	s_or_b64 exec, exec, s[10:11]
	v_and_b32_e32 v47, 0xffff0000, v31
	v_lshlrev_b32_e32 v4, 16, v4
	v_mul_f32_e32 v4, v47, v4
	v_and_b32_e32 v5, 0x7f800000, v4
	v_cmp_ne_u32_e64 s[0:1], s18, v5
                                        ; implicit-def: $vgpr31
	s_and_saveexec_b64 s[10:11], s[0:1]
	s_xor_b64 s[0:1], exec, s[10:11]
; %bb.339:                              ;   in Loop: Header=BB340_243 Depth=1
	v_bfe_u32 v5, v4, 16, 1
	v_add3_u32 v31, v4, v5, s19
                                        ; implicit-def: $vgpr4
; %bb.340:                              ;   in Loop: Header=BB340_243 Depth=1
	s_andn2_saveexec_b64 s[10:11], s[0:1]
; %bb.341:                              ;   in Loop: Header=BB340_243 Depth=1
	v_or_b32_e32 v5, 0x10000, v4
	v_cmp_eq_u32_sdwa s[0:1], v4, v17 src0_sel:WORD_0 src1_sel:DWORD
	s_nop 1
	v_cndmask_b32_e64 v31, v5, v4, s[0:1]
; %bb.342:                              ;   in Loop: Header=BB340_243 Depth=1
	s_or_b64 exec, exec, s[10:11]
	global_load_dwordx2 v[4:5], v[2:3], off offset:512
	s_waitcnt vmcnt(0)
	v_and_b32_e32 v48, 0xff, v4
	v_cvt_f32_fp8_sdwa v48, v48 src0_sel:BYTE_0
	s_nop 0
	v_mul_f32_e32 v49, s21, v48
	v_and_b32_e32 v48, 0x7f800000, v49
	v_cmp_ne_u32_e64 s[0:1], s18, v48
                                        ; implicit-def: $vgpr48
	s_and_saveexec_b64 s[10:11], s[0:1]
	s_xor_b64 s[0:1], exec, s[10:11]
; %bb.343:                              ;   in Loop: Header=BB340_243 Depth=1
	v_bfe_u32 v48, v49, 16, 1
	v_add3_u32 v48, v49, v48, s19
                                        ; implicit-def: $vgpr49
; %bb.344:                              ;   in Loop: Header=BB340_243 Depth=1
	s_andn2_saveexec_b64 s[10:11], s[0:1]
; %bb.345:                              ;   in Loop: Header=BB340_243 Depth=1
	v_or_b32_e32 v48, 0x10000, v49
	v_cmp_eq_u32_sdwa s[0:1], v49, v17 src0_sel:WORD_0 src1_sel:DWORD
	s_nop 1
	v_cndmask_b32_e64 v48, v48, v49, s[0:1]
; %bb.346:                              ;   in Loop: Header=BB340_243 Depth=1
	s_or_b64 exec, exec, s[10:11]
	v_bfe_u32 v49, v4, 8, 8
	v_cvt_f32_fp8_sdwa v49, v49 src0_sel:BYTE_0
	s_nop 0
	v_mul_f32_e32 v50, s21, v49
	v_and_b32_e32 v49, 0x7f800000, v50
	v_cmp_ne_u32_e64 s[0:1], s18, v49
                                        ; implicit-def: $vgpr49
	s_and_saveexec_b64 s[10:11], s[0:1]
	s_xor_b64 s[0:1], exec, s[10:11]
; %bb.347:                              ;   in Loop: Header=BB340_243 Depth=1
	v_bfe_u32 v49, v50, 16, 1
	v_add3_u32 v49, v50, v49, s19
                                        ; implicit-def: $vgpr50
; %bb.348:                              ;   in Loop: Header=BB340_243 Depth=1
	s_andn2_saveexec_b64 s[10:11], s[0:1]
; %bb.349:                              ;   in Loop: Header=BB340_243 Depth=1
	v_or_b32_e32 v49, 0x10000, v50
	v_cmp_eq_u32_sdwa s[0:1], v50, v17 src0_sel:WORD_0 src1_sel:DWORD
	s_nop 1
	v_cndmask_b32_e64 v49, v49, v50, s[0:1]
; %bb.350:                              ;   in Loop: Header=BB340_243 Depth=1
	s_or_b64 exec, exec, s[10:11]
	v_bfe_u32 v50, v4, 16, 8
	v_cvt_f32_fp8_sdwa v50, v50 src0_sel:BYTE_0
	s_nop 0
	v_mul_f32_e32 v51, s21, v50
	v_and_b32_e32 v50, 0x7f800000, v51
	v_cmp_ne_u32_e64 s[0:1], s18, v50
                                        ; implicit-def: $vgpr50
	s_and_saveexec_b64 s[10:11], s[0:1]
	s_xor_b64 s[0:1], exec, s[10:11]
; %bb.351:                              ;   in Loop: Header=BB340_243 Depth=1
	v_bfe_u32 v50, v51, 16, 1
	v_add3_u32 v50, v51, v50, s19
                                        ; implicit-def: $vgpr51
; %bb.352:                              ;   in Loop: Header=BB340_243 Depth=1
	s_andn2_saveexec_b64 s[10:11], s[0:1]
; %bb.353:                              ;   in Loop: Header=BB340_243 Depth=1
	v_or_b32_e32 v50, 0x10000, v51
	v_cmp_eq_u32_sdwa s[0:1], v51, v17 src0_sel:WORD_0 src1_sel:DWORD
	s_nop 1
	v_cndmask_b32_e64 v50, v50, v51, s[0:1]
; %bb.354:                              ;   in Loop: Header=BB340_243 Depth=1
	s_or_b64 exec, exec, s[10:11]
	v_lshrrev_b32_e32 v4, 24, v4
	v_cvt_f32_fp8_sdwa v4, v4 src0_sel:BYTE_0
	s_nop 0
	v_mul_f32_e32 v51, s21, v4
	v_and_b32_e32 v4, 0x7f800000, v51
	v_cmp_ne_u32_e64 s[0:1], s18, v4
                                        ; implicit-def: $vgpr4
	s_and_saveexec_b64 s[10:11], s[0:1]
	s_xor_b64 s[0:1], exec, s[10:11]
; %bb.355:                              ;   in Loop: Header=BB340_243 Depth=1
	v_bfe_u32 v4, v51, 16, 1
	v_add3_u32 v4, v51, v4, s19
                                        ; implicit-def: $vgpr51
; %bb.356:                              ;   in Loop: Header=BB340_243 Depth=1
	s_andn2_saveexec_b64 s[10:11], s[0:1]
; %bb.357:                              ;   in Loop: Header=BB340_243 Depth=1
	v_or_b32_e32 v4, 0x10000, v51
	v_cmp_eq_u32_sdwa s[0:1], v51, v17 src0_sel:WORD_0 src1_sel:DWORD
	s_nop 1
	v_cndmask_b32_e64 v4, v4, v51, s[0:1]
; %bb.358:                              ;   in Loop: Header=BB340_243 Depth=1
	s_or_b64 exec, exec, s[10:11]
	v_and_b32_e32 v51, 0xff, v5
	v_cvt_f32_fp8_sdwa v51, v51 src0_sel:BYTE_0
	s_nop 0
	v_mul_f32_e32 v52, s21, v51
	v_and_b32_e32 v51, 0x7f800000, v52
	v_cmp_ne_u32_e64 s[0:1], s18, v51
                                        ; implicit-def: $vgpr51
	s_and_saveexec_b64 s[10:11], s[0:1]
	s_xor_b64 s[0:1], exec, s[10:11]
; %bb.359:                              ;   in Loop: Header=BB340_243 Depth=1
	v_bfe_u32 v51, v52, 16, 1
	v_add3_u32 v51, v52, v51, s19
                                        ; implicit-def: $vgpr52
; %bb.360:                              ;   in Loop: Header=BB340_243 Depth=1
	s_andn2_saveexec_b64 s[10:11], s[0:1]
; %bb.361:                              ;   in Loop: Header=BB340_243 Depth=1
	v_or_b32_e32 v51, 0x10000, v52
	v_cmp_eq_u32_sdwa s[0:1], v52, v17 src0_sel:WORD_0 src1_sel:DWORD
	s_nop 1
	v_cndmask_b32_e64 v51, v51, v52, s[0:1]
; %bb.362:                              ;   in Loop: Header=BB340_243 Depth=1
	s_or_b64 exec, exec, s[10:11]
	v_bfe_u32 v52, v5, 8, 8
	v_cvt_f32_fp8_sdwa v52, v52 src0_sel:BYTE_0
	s_nop 0
	v_mul_f32_e32 v53, s21, v52
	v_and_b32_e32 v52, 0x7f800000, v53
	v_cmp_ne_u32_e64 s[0:1], s18, v52
                                        ; implicit-def: $vgpr52
	s_and_saveexec_b64 s[10:11], s[0:1]
	s_xor_b64 s[0:1], exec, s[10:11]
; %bb.363:                              ;   in Loop: Header=BB340_243 Depth=1
	v_bfe_u32 v52, v53, 16, 1
	v_add3_u32 v52, v53, v52, s19
                                        ; implicit-def: $vgpr53
; %bb.364:                              ;   in Loop: Header=BB340_243 Depth=1
	s_andn2_saveexec_b64 s[10:11], s[0:1]
; %bb.365:                              ;   in Loop: Header=BB340_243 Depth=1
	v_or_b32_e32 v52, 0x10000, v53
	v_cmp_eq_u32_sdwa s[0:1], v53, v17 src0_sel:WORD_0 src1_sel:DWORD
	s_nop 1
	v_cndmask_b32_e64 v52, v52, v53, s[0:1]
; %bb.366:                              ;   in Loop: Header=BB340_243 Depth=1
	s_or_b64 exec, exec, s[10:11]
	v_bfe_u32 v53, v5, 16, 8
	v_cvt_f32_fp8_sdwa v53, v53 src0_sel:BYTE_0
	s_nop 0
	v_mul_f32_e32 v53, s21, v53
	v_and_b32_e32 v54, 0x7f800000, v53
	v_cmp_ne_u32_e64 s[0:1], s18, v54
                                        ; implicit-def: $vgpr54
	s_and_saveexec_b64 s[10:11], s[0:1]
	s_xor_b64 s[0:1], exec, s[10:11]
; %bb.367:                              ;   in Loop: Header=BB340_243 Depth=1
	v_bfe_u32 v54, v53, 16, 1
	v_add3_u32 v54, v53, v54, s19
                                        ; implicit-def: $vgpr53
; %bb.368:                              ;   in Loop: Header=BB340_243 Depth=1
	s_andn2_saveexec_b64 s[10:11], s[0:1]
; %bb.369:                              ;   in Loop: Header=BB340_243 Depth=1
	v_or_b32_e32 v54, 0x10000, v53
	v_cmp_eq_u32_sdwa s[0:1], v53, v17 src0_sel:WORD_0 src1_sel:DWORD
	s_nop 1
	v_cndmask_b32_e64 v54, v54, v53, s[0:1]
; %bb.370:                              ;   in Loop: Header=BB340_243 Depth=1
	s_or_b64 exec, exec, s[10:11]
	v_lshrrev_b32_e32 v5, 24, v5
	v_cvt_f32_fp8_sdwa v5, v5 src0_sel:BYTE_0
                                        ; implicit-def: $vgpr55
	s_nop 0
	v_mul_f32_e32 v5, s21, v5
	v_and_b32_e32 v53, 0x7f800000, v5
	v_cmp_ne_u32_e64 s[0:1], s18, v53
	s_and_saveexec_b64 s[10:11], s[0:1]
	s_xor_b64 s[0:1], exec, s[10:11]
; %bb.371:                              ;   in Loop: Header=BB340_243 Depth=1
	v_bfe_u32 v53, v5, 16, 1
	v_add3_u32 v55, v5, v53, s19
                                        ; implicit-def: $vgpr5
; %bb.372:                              ;   in Loop: Header=BB340_243 Depth=1
	s_andn2_saveexec_b64 s[10:11], s[0:1]
; %bb.373:                              ;   in Loop: Header=BB340_243 Depth=1
	v_or_b32_e32 v53, 0x10000, v5
	v_cmp_eq_u32_sdwa s[0:1], v5, v17 src0_sel:WORD_0 src1_sel:DWORD
	s_nop 1
	v_cndmask_b32_e64 v55, v53, v5, s[0:1]
; %bb.374:                              ;   in Loop: Header=BB340_243 Depth=1
	s_or_b64 exec, exec, s[10:11]
	v_lshrrev_b32_e32 v53, 16, v52
	v_lshrrev_b32_e32 v52, 16, v51
	v_lshrrev_b32_e32 v51, 16, v4
	v_lshrrev_b32_e32 v50, 16, v50
	v_lshrrev_b32_e32 v49, 16, v49
	v_lshrrev_b32_e32 v48, 16, v48
	v_lshrrev_b32_e32 v5, 16, v54
	v_lshrrev_b32_e32 v4, 16, v55
	s_and_saveexec_b64 s[10:11], vcc
	s_cbranch_execz .LBB340_376
; %bb.375:                              ;   in Loop: Header=BB340_243 Depth=1
	v_cmp_gt_i32_e64 s[0:1], s33, v32
	s_nop 1
	v_cndmask_b32_e64 v48, 0, v48, s[0:1]
	v_cmp_gt_i32_e64 s[0:1], s33, v39
	s_nop 1
	v_cndmask_b32_e64 v49, 0, v49, s[0:1]
	;; [unrolled: 3-line block ×8, first 2 shown]
.LBB340_376:                            ;   in Loop: Header=BB340_243 Depth=1
	s_or_b64 exec, exec, s[10:11]
	v_lshlrev_b32_e32 v48, 16, v48
	v_mul_f32_e32 v54, v40, v48
	v_and_b32_e32 v48, 0x7f800000, v54
	v_cmp_ne_u32_e64 s[0:1], s18, v48
                                        ; implicit-def: $vgpr48
	s_and_saveexec_b64 s[10:11], s[0:1]
	s_xor_b64 s[0:1], exec, s[10:11]
; %bb.377:                              ;   in Loop: Header=BB340_243 Depth=1
	v_bfe_u32 v48, v54, 16, 1
	v_add3_u32 v48, v54, v48, s19
                                        ; implicit-def: $vgpr54
; %bb.378:                              ;   in Loop: Header=BB340_243 Depth=1
	s_andn2_saveexec_b64 s[10:11], s[0:1]
; %bb.379:                              ;   in Loop: Header=BB340_243 Depth=1
	v_or_b32_e32 v48, 0x10000, v54
	v_cmp_eq_u32_sdwa s[0:1], v54, v17 src0_sel:WORD_0 src1_sel:DWORD
	s_nop 1
	v_cndmask_b32_e64 v48, v48, v54, s[0:1]
; %bb.380:                              ;   in Loop: Header=BB340_243 Depth=1
	s_or_b64 exec, exec, s[10:11]
	v_lshlrev_b32_e32 v49, 16, v49
	v_mul_f32_e32 v54, v41, v49
	v_and_b32_e32 v49, 0x7f800000, v54
	v_cmp_ne_u32_e64 s[0:1], s18, v49
                                        ; implicit-def: $vgpr49
	s_and_saveexec_b64 s[10:11], s[0:1]
	s_xor_b64 s[0:1], exec, s[10:11]
; %bb.381:                              ;   in Loop: Header=BB340_243 Depth=1
	v_bfe_u32 v49, v54, 16, 1
	v_add3_u32 v49, v54, v49, s19
                                        ; implicit-def: $vgpr54
; %bb.382:                              ;   in Loop: Header=BB340_243 Depth=1
	s_andn2_saveexec_b64 s[10:11], s[0:1]
; %bb.383:                              ;   in Loop: Header=BB340_243 Depth=1
	v_or_b32_e32 v49, 0x10000, v54
	v_cmp_eq_u32_sdwa s[0:1], v54, v17 src0_sel:WORD_0 src1_sel:DWORD
	s_nop 1
	v_cndmask_b32_e64 v49, v49, v54, s[0:1]
; %bb.384:                              ;   in Loop: Header=BB340_243 Depth=1
	s_or_b64 exec, exec, s[10:11]
	v_lshlrev_b32_e32 v50, 16, v50
	v_mul_f32_e32 v54, v42, v50
	v_and_b32_e32 v50, 0x7f800000, v54
	v_cmp_ne_u32_e64 s[0:1], s18, v50
                                        ; implicit-def: $vgpr50
	s_and_saveexec_b64 s[10:11], s[0:1]
	s_xor_b64 s[0:1], exec, s[10:11]
; %bb.385:                              ;   in Loop: Header=BB340_243 Depth=1
	v_bfe_u32 v50, v54, 16, 1
	v_add3_u32 v50, v54, v50, s19
                                        ; implicit-def: $vgpr54
; %bb.386:                              ;   in Loop: Header=BB340_243 Depth=1
	s_andn2_saveexec_b64 s[10:11], s[0:1]
; %bb.387:                              ;   in Loop: Header=BB340_243 Depth=1
	v_or_b32_e32 v50, 0x10000, v54
	v_cmp_eq_u32_sdwa s[0:1], v54, v17 src0_sel:WORD_0 src1_sel:DWORD
	s_nop 1
	v_cndmask_b32_e64 v50, v50, v54, s[0:1]
; %bb.388:                              ;   in Loop: Header=BB340_243 Depth=1
	s_or_b64 exec, exec, s[10:11]
	v_lshlrev_b32_e32 v51, 16, v51
	v_mul_f32_e32 v54, v43, v51
	v_and_b32_e32 v51, 0x7f800000, v54
	v_cmp_ne_u32_e64 s[0:1], s18, v51
                                        ; implicit-def: $vgpr51
	s_and_saveexec_b64 s[10:11], s[0:1]
	s_xor_b64 s[0:1], exec, s[10:11]
; %bb.389:                              ;   in Loop: Header=BB340_243 Depth=1
	v_bfe_u32 v51, v54, 16, 1
	v_add3_u32 v51, v54, v51, s19
                                        ; implicit-def: $vgpr54
; %bb.390:                              ;   in Loop: Header=BB340_243 Depth=1
	s_andn2_saveexec_b64 s[10:11], s[0:1]
; %bb.391:                              ;   in Loop: Header=BB340_243 Depth=1
	v_or_b32_e32 v51, 0x10000, v54
	v_cmp_eq_u32_sdwa s[0:1], v54, v17 src0_sel:WORD_0 src1_sel:DWORD
	s_nop 1
	v_cndmask_b32_e64 v51, v51, v54, s[0:1]
; %bb.392:                              ;   in Loop: Header=BB340_243 Depth=1
	s_or_b64 exec, exec, s[10:11]
	v_lshlrev_b32_e32 v52, 16, v52
	v_mul_f32_e32 v54, v44, v52
	v_and_b32_e32 v52, 0x7f800000, v54
	v_cmp_ne_u32_e64 s[0:1], s18, v52
                                        ; implicit-def: $vgpr52
	s_and_saveexec_b64 s[10:11], s[0:1]
	s_xor_b64 s[0:1], exec, s[10:11]
; %bb.393:                              ;   in Loop: Header=BB340_243 Depth=1
	v_bfe_u32 v52, v54, 16, 1
	v_add3_u32 v52, v54, v52, s19
                                        ; implicit-def: $vgpr54
; %bb.394:                              ;   in Loop: Header=BB340_243 Depth=1
	s_andn2_saveexec_b64 s[10:11], s[0:1]
; %bb.395:                              ;   in Loop: Header=BB340_243 Depth=1
	v_or_b32_e32 v52, 0x10000, v54
	v_cmp_eq_u32_sdwa s[0:1], v54, v17 src0_sel:WORD_0 src1_sel:DWORD
	s_nop 1
	v_cndmask_b32_e64 v52, v52, v54, s[0:1]
; %bb.396:                              ;   in Loop: Header=BB340_243 Depth=1
	s_or_b64 exec, exec, s[10:11]
	v_lshlrev_b32_e32 v53, 16, v53
	v_mul_f32_e32 v54, v45, v53
	v_and_b32_e32 v53, 0x7f800000, v54
	v_cmp_ne_u32_e64 s[0:1], s18, v53
                                        ; implicit-def: $vgpr53
	s_and_saveexec_b64 s[10:11], s[0:1]
	s_xor_b64 s[0:1], exec, s[10:11]
; %bb.397:                              ;   in Loop: Header=BB340_243 Depth=1
	v_bfe_u32 v53, v54, 16, 1
	v_add3_u32 v53, v54, v53, s19
                                        ; implicit-def: $vgpr54
; %bb.398:                              ;   in Loop: Header=BB340_243 Depth=1
	s_andn2_saveexec_b64 s[10:11], s[0:1]
; %bb.399:                              ;   in Loop: Header=BB340_243 Depth=1
	v_or_b32_e32 v53, 0x10000, v54
	v_cmp_eq_u32_sdwa s[0:1], v54, v17 src0_sel:WORD_0 src1_sel:DWORD
	s_nop 1
	v_cndmask_b32_e64 v53, v53, v54, s[0:1]
; %bb.400:                              ;   in Loop: Header=BB340_243 Depth=1
	s_or_b64 exec, exec, s[10:11]
	v_lshlrev_b32_e32 v5, 16, v5
	v_mul_f32_e32 v5, v46, v5
	v_and_b32_e32 v54, 0x7f800000, v5
	v_cmp_ne_u32_e64 s[0:1], s18, v54
                                        ; implicit-def: $vgpr54
	s_and_saveexec_b64 s[10:11], s[0:1]
	s_xor_b64 s[0:1], exec, s[10:11]
; %bb.401:                              ;   in Loop: Header=BB340_243 Depth=1
	v_bfe_u32 v54, v5, 16, 1
	v_add3_u32 v54, v5, v54, s19
                                        ; implicit-def: $vgpr5
; %bb.402:                              ;   in Loop: Header=BB340_243 Depth=1
	s_andn2_saveexec_b64 s[10:11], s[0:1]
; %bb.403:                              ;   in Loop: Header=BB340_243 Depth=1
	v_or_b32_e32 v54, 0x10000, v5
	v_cmp_eq_u32_sdwa s[0:1], v5, v17 src0_sel:WORD_0 src1_sel:DWORD
	s_nop 1
	v_cndmask_b32_e64 v54, v54, v5, s[0:1]
; %bb.404:                              ;   in Loop: Header=BB340_243 Depth=1
	s_or_b64 exec, exec, s[10:11]
	v_lshlrev_b32_e32 v4, 16, v4
	v_mul_f32_e32 v4, v47, v4
	v_and_b32_e32 v5, 0x7f800000, v4
	v_cmp_ne_u32_e64 s[0:1], s18, v5
                                        ; implicit-def: $vgpr55
	s_and_saveexec_b64 s[10:11], s[0:1]
	s_xor_b64 s[0:1], exec, s[10:11]
; %bb.405:                              ;   in Loop: Header=BB340_243 Depth=1
	v_bfe_u32 v5, v4, 16, 1
	v_add3_u32 v55, v4, v5, s19
                                        ; implicit-def: $vgpr4
; %bb.406:                              ;   in Loop: Header=BB340_243 Depth=1
	s_andn2_saveexec_b64 s[10:11], s[0:1]
; %bb.407:                              ;   in Loop: Header=BB340_243 Depth=1
	v_or_b32_e32 v5, 0x10000, v4
	v_cmp_eq_u32_sdwa s[0:1], v4, v17 src0_sel:WORD_0 src1_sel:DWORD
	s_nop 1
	v_cndmask_b32_e64 v55, v5, v4, s[0:1]
; %bb.408:                              ;   in Loop: Header=BB340_243 Depth=1
	s_or_b64 exec, exec, s[10:11]
	global_load_dwordx2 v[4:5], v[2:3], off offset:1024
	s_waitcnt vmcnt(0)
	v_and_b32_e32 v56, 0xff, v4
	v_cvt_f32_fp8_sdwa v56, v56 src0_sel:BYTE_0
	s_nop 0
	v_mul_f32_e32 v57, s21, v56
	v_and_b32_e32 v56, 0x7f800000, v57
	v_cmp_ne_u32_e64 s[0:1], s18, v56
                                        ; implicit-def: $vgpr56
	s_and_saveexec_b64 s[10:11], s[0:1]
	s_xor_b64 s[0:1], exec, s[10:11]
; %bb.409:                              ;   in Loop: Header=BB340_243 Depth=1
	v_bfe_u32 v56, v57, 16, 1
	v_add3_u32 v56, v57, v56, s19
                                        ; implicit-def: $vgpr57
; %bb.410:                              ;   in Loop: Header=BB340_243 Depth=1
	s_andn2_saveexec_b64 s[10:11], s[0:1]
; %bb.411:                              ;   in Loop: Header=BB340_243 Depth=1
	v_or_b32_e32 v56, 0x10000, v57
	v_cmp_eq_u32_sdwa s[0:1], v57, v17 src0_sel:WORD_0 src1_sel:DWORD
	s_nop 1
	v_cndmask_b32_e64 v56, v56, v57, s[0:1]
; %bb.412:                              ;   in Loop: Header=BB340_243 Depth=1
	s_or_b64 exec, exec, s[10:11]
	v_bfe_u32 v57, v4, 8, 8
	v_cvt_f32_fp8_sdwa v57, v57 src0_sel:BYTE_0
	s_nop 0
	v_mul_f32_e32 v58, s21, v57
	v_and_b32_e32 v57, 0x7f800000, v58
	v_cmp_ne_u32_e64 s[0:1], s18, v57
                                        ; implicit-def: $vgpr57
	s_and_saveexec_b64 s[10:11], s[0:1]
	s_xor_b64 s[0:1], exec, s[10:11]
; %bb.413:                              ;   in Loop: Header=BB340_243 Depth=1
	v_bfe_u32 v57, v58, 16, 1
	v_add3_u32 v57, v58, v57, s19
                                        ; implicit-def: $vgpr58
; %bb.414:                              ;   in Loop: Header=BB340_243 Depth=1
	s_andn2_saveexec_b64 s[10:11], s[0:1]
; %bb.415:                              ;   in Loop: Header=BB340_243 Depth=1
	v_or_b32_e32 v57, 0x10000, v58
	v_cmp_eq_u32_sdwa s[0:1], v58, v17 src0_sel:WORD_0 src1_sel:DWORD
	s_nop 1
	v_cndmask_b32_e64 v57, v57, v58, s[0:1]
; %bb.416:                              ;   in Loop: Header=BB340_243 Depth=1
	s_or_b64 exec, exec, s[10:11]
	v_bfe_u32 v58, v4, 16, 8
	v_cvt_f32_fp8_sdwa v58, v58 src0_sel:BYTE_0
	s_nop 0
	v_mul_f32_e32 v59, s21, v58
	v_and_b32_e32 v58, 0x7f800000, v59
	v_cmp_ne_u32_e64 s[0:1], s18, v58
                                        ; implicit-def: $vgpr58
	s_and_saveexec_b64 s[10:11], s[0:1]
	s_xor_b64 s[0:1], exec, s[10:11]
; %bb.417:                              ;   in Loop: Header=BB340_243 Depth=1
	v_bfe_u32 v58, v59, 16, 1
	v_add3_u32 v58, v59, v58, s19
                                        ; implicit-def: $vgpr59
; %bb.418:                              ;   in Loop: Header=BB340_243 Depth=1
	s_andn2_saveexec_b64 s[10:11], s[0:1]
; %bb.419:                              ;   in Loop: Header=BB340_243 Depth=1
	v_or_b32_e32 v58, 0x10000, v59
	v_cmp_eq_u32_sdwa s[0:1], v59, v17 src0_sel:WORD_0 src1_sel:DWORD
	s_nop 1
	v_cndmask_b32_e64 v58, v58, v59, s[0:1]
; %bb.420:                              ;   in Loop: Header=BB340_243 Depth=1
	s_or_b64 exec, exec, s[10:11]
	v_lshrrev_b32_e32 v4, 24, v4
	v_cvt_f32_fp8_sdwa v4, v4 src0_sel:BYTE_0
	s_nop 0
	v_mul_f32_e32 v59, s21, v4
	v_and_b32_e32 v4, 0x7f800000, v59
	v_cmp_ne_u32_e64 s[0:1], s18, v4
                                        ; implicit-def: $vgpr4
	s_and_saveexec_b64 s[10:11], s[0:1]
	s_xor_b64 s[0:1], exec, s[10:11]
; %bb.421:                              ;   in Loop: Header=BB340_243 Depth=1
	v_bfe_u32 v4, v59, 16, 1
	v_add3_u32 v4, v59, v4, s19
                                        ; implicit-def: $vgpr59
; %bb.422:                              ;   in Loop: Header=BB340_243 Depth=1
	s_andn2_saveexec_b64 s[10:11], s[0:1]
; %bb.423:                              ;   in Loop: Header=BB340_243 Depth=1
	v_or_b32_e32 v4, 0x10000, v59
	v_cmp_eq_u32_sdwa s[0:1], v59, v17 src0_sel:WORD_0 src1_sel:DWORD
	s_nop 1
	v_cndmask_b32_e64 v4, v4, v59, s[0:1]
; %bb.424:                              ;   in Loop: Header=BB340_243 Depth=1
	s_or_b64 exec, exec, s[10:11]
	v_and_b32_e32 v59, 0xff, v5
	v_cvt_f32_fp8_sdwa v59, v59 src0_sel:BYTE_0
	s_nop 0
	v_mul_f32_e32 v60, s21, v59
	v_and_b32_e32 v59, 0x7f800000, v60
	v_cmp_ne_u32_e64 s[0:1], s18, v59
                                        ; implicit-def: $vgpr59
	s_and_saveexec_b64 s[10:11], s[0:1]
	s_xor_b64 s[0:1], exec, s[10:11]
; %bb.425:                              ;   in Loop: Header=BB340_243 Depth=1
	v_bfe_u32 v59, v60, 16, 1
	v_add3_u32 v59, v60, v59, s19
                                        ; implicit-def: $vgpr60
; %bb.426:                              ;   in Loop: Header=BB340_243 Depth=1
	s_andn2_saveexec_b64 s[10:11], s[0:1]
; %bb.427:                              ;   in Loop: Header=BB340_243 Depth=1
	v_or_b32_e32 v59, 0x10000, v60
	v_cmp_eq_u32_sdwa s[0:1], v60, v17 src0_sel:WORD_0 src1_sel:DWORD
	s_nop 1
	v_cndmask_b32_e64 v59, v59, v60, s[0:1]
; %bb.428:                              ;   in Loop: Header=BB340_243 Depth=1
	s_or_b64 exec, exec, s[10:11]
	v_bfe_u32 v60, v5, 8, 8
	v_cvt_f32_fp8_sdwa v60, v60 src0_sel:BYTE_0
	s_nop 0
	v_mul_f32_e32 v61, s21, v60
	v_and_b32_e32 v60, 0x7f800000, v61
	v_cmp_ne_u32_e64 s[0:1], s18, v60
                                        ; implicit-def: $vgpr60
	s_and_saveexec_b64 s[10:11], s[0:1]
	s_xor_b64 s[0:1], exec, s[10:11]
; %bb.429:                              ;   in Loop: Header=BB340_243 Depth=1
	v_bfe_u32 v60, v61, 16, 1
	v_add3_u32 v60, v61, v60, s19
                                        ; implicit-def: $vgpr61
; %bb.430:                              ;   in Loop: Header=BB340_243 Depth=1
	s_andn2_saveexec_b64 s[10:11], s[0:1]
; %bb.431:                              ;   in Loop: Header=BB340_243 Depth=1
	v_or_b32_e32 v60, 0x10000, v61
	v_cmp_eq_u32_sdwa s[0:1], v61, v17 src0_sel:WORD_0 src1_sel:DWORD
	s_nop 1
	v_cndmask_b32_e64 v60, v60, v61, s[0:1]
; %bb.432:                              ;   in Loop: Header=BB340_243 Depth=1
	s_or_b64 exec, exec, s[10:11]
	v_bfe_u32 v61, v5, 16, 8
	v_cvt_f32_fp8_sdwa v61, v61 src0_sel:BYTE_0
	s_nop 0
	v_mul_f32_e32 v61, s21, v61
	v_and_b32_e32 v62, 0x7f800000, v61
	v_cmp_ne_u32_e64 s[0:1], s18, v62
                                        ; implicit-def: $vgpr62
	s_and_saveexec_b64 s[10:11], s[0:1]
	s_xor_b64 s[0:1], exec, s[10:11]
; %bb.433:                              ;   in Loop: Header=BB340_243 Depth=1
	v_bfe_u32 v62, v61, 16, 1
	v_add3_u32 v62, v61, v62, s19
                                        ; implicit-def: $vgpr61
; %bb.434:                              ;   in Loop: Header=BB340_243 Depth=1
	s_andn2_saveexec_b64 s[10:11], s[0:1]
; %bb.435:                              ;   in Loop: Header=BB340_243 Depth=1
	v_or_b32_e32 v62, 0x10000, v61
	v_cmp_eq_u32_sdwa s[0:1], v61, v17 src0_sel:WORD_0 src1_sel:DWORD
	s_nop 1
	v_cndmask_b32_e64 v62, v62, v61, s[0:1]
; %bb.436:                              ;   in Loop: Header=BB340_243 Depth=1
	s_or_b64 exec, exec, s[10:11]
	v_lshrrev_b32_e32 v5, 24, v5
	v_cvt_f32_fp8_sdwa v5, v5 src0_sel:BYTE_0
                                        ; implicit-def: $vgpr63
	s_nop 0
	v_mul_f32_e32 v5, s21, v5
	v_and_b32_e32 v61, 0x7f800000, v5
	v_cmp_ne_u32_e64 s[0:1], s18, v61
	s_and_saveexec_b64 s[10:11], s[0:1]
	s_xor_b64 s[0:1], exec, s[10:11]
; %bb.437:                              ;   in Loop: Header=BB340_243 Depth=1
	v_bfe_u32 v61, v5, 16, 1
	v_add3_u32 v63, v5, v61, s19
                                        ; implicit-def: $vgpr5
; %bb.438:                              ;   in Loop: Header=BB340_243 Depth=1
	s_andn2_saveexec_b64 s[10:11], s[0:1]
; %bb.439:                              ;   in Loop: Header=BB340_243 Depth=1
	v_or_b32_e32 v61, 0x10000, v5
	v_cmp_eq_u32_sdwa s[0:1], v5, v17 src0_sel:WORD_0 src1_sel:DWORD
	s_nop 1
	v_cndmask_b32_e64 v63, v61, v5, s[0:1]
; %bb.440:                              ;   in Loop: Header=BB340_243 Depth=1
	s_or_b64 exec, exec, s[10:11]
	v_lshrrev_b32_e32 v61, 16, v60
	v_lshrrev_b32_e32 v60, 16, v59
	;; [unrolled: 1-line block ×8, first 2 shown]
	s_and_saveexec_b64 s[10:11], vcc
	s_cbranch_execz .LBB340_442
; %bb.441:                              ;   in Loop: Header=BB340_243 Depth=1
	v_cmp_gt_i32_e64 s[0:1], s33, v32
	s_nop 1
	v_cndmask_b32_e64 v56, 0, v56, s[0:1]
	v_cmp_gt_i32_e64 s[0:1], s33, v39
	s_nop 1
	v_cndmask_b32_e64 v57, 0, v57, s[0:1]
	;; [unrolled: 3-line block ×8, first 2 shown]
.LBB340_442:                            ;   in Loop: Header=BB340_243 Depth=1
	s_or_b64 exec, exec, s[10:11]
	v_lshlrev_b32_e32 v56, 16, v56
	v_mul_f32_e32 v62, v40, v56
	v_and_b32_e32 v56, 0x7f800000, v62
	v_cmp_ne_u32_e64 s[0:1], s18, v56
                                        ; implicit-def: $vgpr56
	s_and_saveexec_b64 s[10:11], s[0:1]
	s_xor_b64 s[0:1], exec, s[10:11]
; %bb.443:                              ;   in Loop: Header=BB340_243 Depth=1
	v_bfe_u32 v56, v62, 16, 1
	v_add3_u32 v56, v62, v56, s19
                                        ; implicit-def: $vgpr62
; %bb.444:                              ;   in Loop: Header=BB340_243 Depth=1
	s_andn2_saveexec_b64 s[10:11], s[0:1]
; %bb.445:                              ;   in Loop: Header=BB340_243 Depth=1
	v_or_b32_e32 v56, 0x10000, v62
	v_cmp_eq_u32_sdwa s[0:1], v62, v17 src0_sel:WORD_0 src1_sel:DWORD
	s_nop 1
	v_cndmask_b32_e64 v56, v56, v62, s[0:1]
; %bb.446:                              ;   in Loop: Header=BB340_243 Depth=1
	s_or_b64 exec, exec, s[10:11]
	v_lshlrev_b32_e32 v57, 16, v57
	v_mul_f32_e32 v62, v41, v57
	v_and_b32_e32 v57, 0x7f800000, v62
	v_cmp_ne_u32_e64 s[0:1], s18, v57
                                        ; implicit-def: $vgpr57
	s_and_saveexec_b64 s[10:11], s[0:1]
	s_xor_b64 s[0:1], exec, s[10:11]
; %bb.447:                              ;   in Loop: Header=BB340_243 Depth=1
	v_bfe_u32 v57, v62, 16, 1
	v_add3_u32 v57, v62, v57, s19
                                        ; implicit-def: $vgpr62
; %bb.448:                              ;   in Loop: Header=BB340_243 Depth=1
	s_andn2_saveexec_b64 s[10:11], s[0:1]
; %bb.449:                              ;   in Loop: Header=BB340_243 Depth=1
	v_or_b32_e32 v57, 0x10000, v62
	v_cmp_eq_u32_sdwa s[0:1], v62, v17 src0_sel:WORD_0 src1_sel:DWORD
	s_nop 1
	v_cndmask_b32_e64 v57, v57, v62, s[0:1]
; %bb.450:                              ;   in Loop: Header=BB340_243 Depth=1
	s_or_b64 exec, exec, s[10:11]
	v_lshlrev_b32_e32 v58, 16, v58
	v_mul_f32_e32 v62, v42, v58
	v_and_b32_e32 v58, 0x7f800000, v62
	v_cmp_ne_u32_e64 s[0:1], s18, v58
                                        ; implicit-def: $vgpr58
	s_and_saveexec_b64 s[10:11], s[0:1]
	s_xor_b64 s[0:1], exec, s[10:11]
; %bb.451:                              ;   in Loop: Header=BB340_243 Depth=1
	v_bfe_u32 v58, v62, 16, 1
	v_add3_u32 v58, v62, v58, s19
                                        ; implicit-def: $vgpr62
; %bb.452:                              ;   in Loop: Header=BB340_243 Depth=1
	s_andn2_saveexec_b64 s[10:11], s[0:1]
; %bb.453:                              ;   in Loop: Header=BB340_243 Depth=1
	v_or_b32_e32 v58, 0x10000, v62
	v_cmp_eq_u32_sdwa s[0:1], v62, v17 src0_sel:WORD_0 src1_sel:DWORD
	s_nop 1
	v_cndmask_b32_e64 v58, v58, v62, s[0:1]
; %bb.454:                              ;   in Loop: Header=BB340_243 Depth=1
	s_or_b64 exec, exec, s[10:11]
	v_lshlrev_b32_e32 v59, 16, v59
	v_mul_f32_e32 v62, v43, v59
	v_and_b32_e32 v59, 0x7f800000, v62
	v_cmp_ne_u32_e64 s[0:1], s18, v59
                                        ; implicit-def: $vgpr59
	s_and_saveexec_b64 s[10:11], s[0:1]
	s_xor_b64 s[0:1], exec, s[10:11]
; %bb.455:                              ;   in Loop: Header=BB340_243 Depth=1
	v_bfe_u32 v59, v62, 16, 1
	v_add3_u32 v59, v62, v59, s19
                                        ; implicit-def: $vgpr62
; %bb.456:                              ;   in Loop: Header=BB340_243 Depth=1
	s_andn2_saveexec_b64 s[10:11], s[0:1]
; %bb.457:                              ;   in Loop: Header=BB340_243 Depth=1
	v_or_b32_e32 v59, 0x10000, v62
	v_cmp_eq_u32_sdwa s[0:1], v62, v17 src0_sel:WORD_0 src1_sel:DWORD
	s_nop 1
	v_cndmask_b32_e64 v59, v59, v62, s[0:1]
; %bb.458:                              ;   in Loop: Header=BB340_243 Depth=1
	s_or_b64 exec, exec, s[10:11]
	v_lshlrev_b32_e32 v60, 16, v60
	v_mul_f32_e32 v62, v44, v60
	v_and_b32_e32 v60, 0x7f800000, v62
	v_cmp_ne_u32_e64 s[0:1], s18, v60
                                        ; implicit-def: $vgpr60
	s_and_saveexec_b64 s[10:11], s[0:1]
	s_xor_b64 s[0:1], exec, s[10:11]
; %bb.459:                              ;   in Loop: Header=BB340_243 Depth=1
	v_bfe_u32 v60, v62, 16, 1
	v_add3_u32 v60, v62, v60, s19
                                        ; implicit-def: $vgpr62
; %bb.460:                              ;   in Loop: Header=BB340_243 Depth=1
	s_andn2_saveexec_b64 s[10:11], s[0:1]
; %bb.461:                              ;   in Loop: Header=BB340_243 Depth=1
	v_or_b32_e32 v60, 0x10000, v62
	v_cmp_eq_u32_sdwa s[0:1], v62, v17 src0_sel:WORD_0 src1_sel:DWORD
	s_nop 1
	v_cndmask_b32_e64 v60, v60, v62, s[0:1]
; %bb.462:                              ;   in Loop: Header=BB340_243 Depth=1
	s_or_b64 exec, exec, s[10:11]
	v_lshlrev_b32_e32 v61, 16, v61
	v_mul_f32_e32 v62, v45, v61
	v_and_b32_e32 v61, 0x7f800000, v62
	v_cmp_ne_u32_e64 s[0:1], s18, v61
                                        ; implicit-def: $vgpr61
	s_and_saveexec_b64 s[10:11], s[0:1]
	s_xor_b64 s[0:1], exec, s[10:11]
; %bb.463:                              ;   in Loop: Header=BB340_243 Depth=1
	v_bfe_u32 v61, v62, 16, 1
	v_add3_u32 v61, v62, v61, s19
                                        ; implicit-def: $vgpr62
; %bb.464:                              ;   in Loop: Header=BB340_243 Depth=1
	s_andn2_saveexec_b64 s[10:11], s[0:1]
; %bb.465:                              ;   in Loop: Header=BB340_243 Depth=1
	v_or_b32_e32 v61, 0x10000, v62
	v_cmp_eq_u32_sdwa s[0:1], v62, v17 src0_sel:WORD_0 src1_sel:DWORD
	s_nop 1
	v_cndmask_b32_e64 v61, v61, v62, s[0:1]
; %bb.466:                              ;   in Loop: Header=BB340_243 Depth=1
	s_or_b64 exec, exec, s[10:11]
	v_lshlrev_b32_e32 v5, 16, v5
	v_mul_f32_e32 v5, v46, v5
	v_and_b32_e32 v62, 0x7f800000, v5
	v_cmp_ne_u32_e64 s[0:1], s18, v62
                                        ; implicit-def: $vgpr62
	s_and_saveexec_b64 s[10:11], s[0:1]
	s_xor_b64 s[0:1], exec, s[10:11]
; %bb.467:                              ;   in Loop: Header=BB340_243 Depth=1
	v_bfe_u32 v62, v5, 16, 1
	v_add3_u32 v62, v5, v62, s19
                                        ; implicit-def: $vgpr5
; %bb.468:                              ;   in Loop: Header=BB340_243 Depth=1
	s_andn2_saveexec_b64 s[10:11], s[0:1]
; %bb.469:                              ;   in Loop: Header=BB340_243 Depth=1
	v_or_b32_e32 v62, 0x10000, v5
	v_cmp_eq_u32_sdwa s[0:1], v5, v17 src0_sel:WORD_0 src1_sel:DWORD
	s_nop 1
	v_cndmask_b32_e64 v62, v62, v5, s[0:1]
; %bb.470:                              ;   in Loop: Header=BB340_243 Depth=1
	s_or_b64 exec, exec, s[10:11]
	v_lshlrev_b32_e32 v4, 16, v4
	v_mul_f32_e32 v4, v47, v4
	v_and_b32_e32 v5, 0x7f800000, v4
	v_cmp_ne_u32_e64 s[0:1], s18, v5
                                        ; implicit-def: $vgpr63
	s_and_saveexec_b64 s[10:11], s[0:1]
	s_xor_b64 s[0:1], exec, s[10:11]
; %bb.471:                              ;   in Loop: Header=BB340_243 Depth=1
	v_bfe_u32 v5, v4, 16, 1
	v_add3_u32 v63, v4, v5, s19
                                        ; implicit-def: $vgpr4
; %bb.472:                              ;   in Loop: Header=BB340_243 Depth=1
	s_andn2_saveexec_b64 s[10:11], s[0:1]
; %bb.473:                              ;   in Loop: Header=BB340_243 Depth=1
	v_or_b32_e32 v5, 0x10000, v4
	v_cmp_eq_u32_sdwa s[0:1], v4, v17 src0_sel:WORD_0 src1_sel:DWORD
	s_nop 1
	v_cndmask_b32_e64 v63, v5, v4, s[0:1]
; %bb.474:                              ;   in Loop: Header=BB340_243 Depth=1
	s_or_b64 exec, exec, s[10:11]
	global_load_dwordx2 v[4:5], v[2:3], off offset:1536
	s_waitcnt vmcnt(0)
	v_and_b32_e32 v64, 0xff, v4
	v_cvt_f32_fp8_sdwa v64, v64 src0_sel:BYTE_0
	s_nop 0
	v_mul_f32_e32 v65, s21, v64
	v_and_b32_e32 v64, 0x7f800000, v65
	v_cmp_ne_u32_e64 s[0:1], s18, v64
                                        ; implicit-def: $vgpr64
	s_and_saveexec_b64 s[10:11], s[0:1]
	s_xor_b64 s[0:1], exec, s[10:11]
; %bb.475:                              ;   in Loop: Header=BB340_243 Depth=1
	v_bfe_u32 v64, v65, 16, 1
	v_add3_u32 v64, v65, v64, s19
                                        ; implicit-def: $vgpr65
; %bb.476:                              ;   in Loop: Header=BB340_243 Depth=1
	s_andn2_saveexec_b64 s[10:11], s[0:1]
; %bb.477:                              ;   in Loop: Header=BB340_243 Depth=1
	v_or_b32_e32 v64, 0x10000, v65
	v_cmp_eq_u32_sdwa s[0:1], v65, v17 src0_sel:WORD_0 src1_sel:DWORD
	s_nop 1
	v_cndmask_b32_e64 v64, v64, v65, s[0:1]
; %bb.478:                              ;   in Loop: Header=BB340_243 Depth=1
	s_or_b64 exec, exec, s[10:11]
	v_bfe_u32 v65, v4, 8, 8
	v_cvt_f32_fp8_sdwa v65, v65 src0_sel:BYTE_0
	s_nop 0
	v_mul_f32_e32 v66, s21, v65
	v_and_b32_e32 v65, 0x7f800000, v66
	v_cmp_ne_u32_e64 s[0:1], s18, v65
                                        ; implicit-def: $vgpr65
	s_and_saveexec_b64 s[10:11], s[0:1]
	s_xor_b64 s[0:1], exec, s[10:11]
; %bb.479:                              ;   in Loop: Header=BB340_243 Depth=1
	v_bfe_u32 v65, v66, 16, 1
	v_add3_u32 v65, v66, v65, s19
                                        ; implicit-def: $vgpr66
; %bb.480:                              ;   in Loop: Header=BB340_243 Depth=1
	s_andn2_saveexec_b64 s[10:11], s[0:1]
; %bb.481:                              ;   in Loop: Header=BB340_243 Depth=1
	v_or_b32_e32 v65, 0x10000, v66
	v_cmp_eq_u32_sdwa s[0:1], v66, v17 src0_sel:WORD_0 src1_sel:DWORD
	s_nop 1
	v_cndmask_b32_e64 v65, v65, v66, s[0:1]
; %bb.482:                              ;   in Loop: Header=BB340_243 Depth=1
	s_or_b64 exec, exec, s[10:11]
	v_bfe_u32 v66, v4, 16, 8
	v_cvt_f32_fp8_sdwa v66, v66 src0_sel:BYTE_0
	s_nop 0
	v_mul_f32_e32 v67, s21, v66
	v_and_b32_e32 v66, 0x7f800000, v67
	v_cmp_ne_u32_e64 s[0:1], s18, v66
                                        ; implicit-def: $vgpr66
	s_and_saveexec_b64 s[10:11], s[0:1]
	s_xor_b64 s[0:1], exec, s[10:11]
; %bb.483:                              ;   in Loop: Header=BB340_243 Depth=1
	v_bfe_u32 v66, v67, 16, 1
	v_add3_u32 v66, v67, v66, s19
                                        ; implicit-def: $vgpr67
; %bb.484:                              ;   in Loop: Header=BB340_243 Depth=1
	s_andn2_saveexec_b64 s[10:11], s[0:1]
; %bb.485:                              ;   in Loop: Header=BB340_243 Depth=1
	v_or_b32_e32 v66, 0x10000, v67
	v_cmp_eq_u32_sdwa s[0:1], v67, v17 src0_sel:WORD_0 src1_sel:DWORD
	s_nop 1
	v_cndmask_b32_e64 v66, v66, v67, s[0:1]
; %bb.486:                              ;   in Loop: Header=BB340_243 Depth=1
	s_or_b64 exec, exec, s[10:11]
	v_lshrrev_b32_e32 v4, 24, v4
	v_cvt_f32_fp8_sdwa v4, v4 src0_sel:BYTE_0
	s_nop 0
	v_mul_f32_e32 v67, s21, v4
	v_and_b32_e32 v4, 0x7f800000, v67
	v_cmp_ne_u32_e64 s[0:1], s18, v4
                                        ; implicit-def: $vgpr4
	s_and_saveexec_b64 s[10:11], s[0:1]
	s_xor_b64 s[0:1], exec, s[10:11]
; %bb.487:                              ;   in Loop: Header=BB340_243 Depth=1
	v_bfe_u32 v4, v67, 16, 1
	v_add3_u32 v4, v67, v4, s19
                                        ; implicit-def: $vgpr67
; %bb.488:                              ;   in Loop: Header=BB340_243 Depth=1
	s_andn2_saveexec_b64 s[10:11], s[0:1]
; %bb.489:                              ;   in Loop: Header=BB340_243 Depth=1
	v_or_b32_e32 v4, 0x10000, v67
	v_cmp_eq_u32_sdwa s[0:1], v67, v17 src0_sel:WORD_0 src1_sel:DWORD
	s_nop 1
	v_cndmask_b32_e64 v4, v4, v67, s[0:1]
; %bb.490:                              ;   in Loop: Header=BB340_243 Depth=1
	s_or_b64 exec, exec, s[10:11]
	v_and_b32_e32 v67, 0xff, v5
	v_cvt_f32_fp8_sdwa v67, v67 src0_sel:BYTE_0
	s_nop 0
	v_mul_f32_e32 v68, s21, v67
	v_and_b32_e32 v67, 0x7f800000, v68
	v_cmp_ne_u32_e64 s[0:1], s18, v67
                                        ; implicit-def: $vgpr67
	s_and_saveexec_b64 s[10:11], s[0:1]
	s_xor_b64 s[0:1], exec, s[10:11]
; %bb.491:                              ;   in Loop: Header=BB340_243 Depth=1
	v_bfe_u32 v67, v68, 16, 1
	v_add3_u32 v67, v68, v67, s19
                                        ; implicit-def: $vgpr68
; %bb.492:                              ;   in Loop: Header=BB340_243 Depth=1
	s_andn2_saveexec_b64 s[10:11], s[0:1]
; %bb.493:                              ;   in Loop: Header=BB340_243 Depth=1
	v_or_b32_e32 v67, 0x10000, v68
	v_cmp_eq_u32_sdwa s[0:1], v68, v17 src0_sel:WORD_0 src1_sel:DWORD
	s_nop 1
	v_cndmask_b32_e64 v67, v67, v68, s[0:1]
; %bb.494:                              ;   in Loop: Header=BB340_243 Depth=1
	s_or_b64 exec, exec, s[10:11]
	v_bfe_u32 v68, v5, 8, 8
	v_cvt_f32_fp8_sdwa v68, v68 src0_sel:BYTE_0
	s_nop 0
	v_mul_f32_e32 v69, s21, v68
	v_and_b32_e32 v68, 0x7f800000, v69
	v_cmp_ne_u32_e64 s[0:1], s18, v68
                                        ; implicit-def: $vgpr68
	s_and_saveexec_b64 s[10:11], s[0:1]
	s_xor_b64 s[0:1], exec, s[10:11]
; %bb.495:                              ;   in Loop: Header=BB340_243 Depth=1
	v_bfe_u32 v68, v69, 16, 1
	v_add3_u32 v68, v69, v68, s19
                                        ; implicit-def: $vgpr69
; %bb.496:                              ;   in Loop: Header=BB340_243 Depth=1
	s_andn2_saveexec_b64 s[10:11], s[0:1]
; %bb.497:                              ;   in Loop: Header=BB340_243 Depth=1
	v_or_b32_e32 v68, 0x10000, v69
	v_cmp_eq_u32_sdwa s[0:1], v69, v17 src0_sel:WORD_0 src1_sel:DWORD
	s_nop 1
	v_cndmask_b32_e64 v68, v68, v69, s[0:1]
; %bb.498:                              ;   in Loop: Header=BB340_243 Depth=1
	s_or_b64 exec, exec, s[10:11]
	v_bfe_u32 v69, v5, 16, 8
	v_cvt_f32_fp8_sdwa v69, v69 src0_sel:BYTE_0
	s_nop 0
	v_mul_f32_e32 v69, s21, v69
	v_and_b32_e32 v70, 0x7f800000, v69
	v_cmp_ne_u32_e64 s[0:1], s18, v70
                                        ; implicit-def: $vgpr70
	s_and_saveexec_b64 s[10:11], s[0:1]
	s_xor_b64 s[0:1], exec, s[10:11]
; %bb.499:                              ;   in Loop: Header=BB340_243 Depth=1
	v_bfe_u32 v70, v69, 16, 1
	v_add3_u32 v70, v69, v70, s19
                                        ; implicit-def: $vgpr69
; %bb.500:                              ;   in Loop: Header=BB340_243 Depth=1
	s_andn2_saveexec_b64 s[10:11], s[0:1]
; %bb.501:                              ;   in Loop: Header=BB340_243 Depth=1
	v_or_b32_e32 v70, 0x10000, v69
	v_cmp_eq_u32_sdwa s[0:1], v69, v17 src0_sel:WORD_0 src1_sel:DWORD
	s_nop 1
	v_cndmask_b32_e64 v70, v70, v69, s[0:1]
; %bb.502:                              ;   in Loop: Header=BB340_243 Depth=1
	s_or_b64 exec, exec, s[10:11]
	v_lshrrev_b32_e32 v5, 24, v5
	v_cvt_f32_fp8_sdwa v5, v5 src0_sel:BYTE_0
                                        ; implicit-def: $vgpr71
	s_nop 0
	v_mul_f32_e32 v5, s21, v5
	v_and_b32_e32 v69, 0x7f800000, v5
	v_cmp_ne_u32_e64 s[0:1], s18, v69
	s_and_saveexec_b64 s[10:11], s[0:1]
	s_xor_b64 s[0:1], exec, s[10:11]
; %bb.503:                              ;   in Loop: Header=BB340_243 Depth=1
	v_bfe_u32 v69, v5, 16, 1
	v_add3_u32 v71, v5, v69, s19
                                        ; implicit-def: $vgpr5
; %bb.504:                              ;   in Loop: Header=BB340_243 Depth=1
	s_andn2_saveexec_b64 s[10:11], s[0:1]
; %bb.505:                              ;   in Loop: Header=BB340_243 Depth=1
	v_or_b32_e32 v69, 0x10000, v5
	v_cmp_eq_u32_sdwa s[0:1], v5, v17 src0_sel:WORD_0 src1_sel:DWORD
	s_nop 1
	v_cndmask_b32_e64 v71, v69, v5, s[0:1]
; %bb.506:                              ;   in Loop: Header=BB340_243 Depth=1
	s_or_b64 exec, exec, s[10:11]
	v_lshrrev_b32_e32 v69, 16, v68
	v_lshrrev_b32_e32 v68, 16, v67
	;; [unrolled: 1-line block ×8, first 2 shown]
	s_and_saveexec_b64 s[10:11], vcc
	s_cbranch_execz .LBB340_508
; %bb.507:                              ;   in Loop: Header=BB340_243 Depth=1
	v_cmp_gt_i32_e64 s[0:1], s33, v32
	s_nop 1
	v_cndmask_b32_e64 v64, 0, v64, s[0:1]
	v_cmp_gt_i32_e64 s[0:1], s33, v39
	s_nop 1
	v_cndmask_b32_e64 v65, 0, v65, s[0:1]
	;; [unrolled: 3-line block ×8, first 2 shown]
.LBB340_508:                            ;   in Loop: Header=BB340_243 Depth=1
	s_or_b64 exec, exec, s[10:11]
	v_lshlrev_b32_e32 v64, 16, v64
	v_mul_f32_e32 v70, v40, v64
	v_and_b32_e32 v64, 0x7f800000, v70
	v_cmp_ne_u32_e64 s[0:1], s18, v64
                                        ; implicit-def: $vgpr64
	s_and_saveexec_b64 s[10:11], s[0:1]
	s_xor_b64 s[0:1], exec, s[10:11]
; %bb.509:                              ;   in Loop: Header=BB340_243 Depth=1
	v_bfe_u32 v64, v70, 16, 1
	v_add3_u32 v64, v70, v64, s19
                                        ; implicit-def: $vgpr70
; %bb.510:                              ;   in Loop: Header=BB340_243 Depth=1
	s_andn2_saveexec_b64 s[10:11], s[0:1]
; %bb.511:                              ;   in Loop: Header=BB340_243 Depth=1
	v_or_b32_e32 v64, 0x10000, v70
	v_cmp_eq_u32_sdwa s[0:1], v70, v17 src0_sel:WORD_0 src1_sel:DWORD
	s_nop 1
	v_cndmask_b32_e64 v64, v64, v70, s[0:1]
; %bb.512:                              ;   in Loop: Header=BB340_243 Depth=1
	s_or_b64 exec, exec, s[10:11]
	v_lshlrev_b32_e32 v65, 16, v65
	v_mul_f32_e32 v70, v41, v65
	v_and_b32_e32 v65, 0x7f800000, v70
	v_cmp_ne_u32_e64 s[0:1], s18, v65
                                        ; implicit-def: $vgpr65
	s_and_saveexec_b64 s[10:11], s[0:1]
	s_xor_b64 s[0:1], exec, s[10:11]
; %bb.513:                              ;   in Loop: Header=BB340_243 Depth=1
	v_bfe_u32 v65, v70, 16, 1
	v_add3_u32 v65, v70, v65, s19
                                        ; implicit-def: $vgpr70
; %bb.514:                              ;   in Loop: Header=BB340_243 Depth=1
	s_andn2_saveexec_b64 s[10:11], s[0:1]
; %bb.515:                              ;   in Loop: Header=BB340_243 Depth=1
	v_or_b32_e32 v65, 0x10000, v70
	v_cmp_eq_u32_sdwa s[0:1], v70, v17 src0_sel:WORD_0 src1_sel:DWORD
	s_nop 1
	v_cndmask_b32_e64 v65, v65, v70, s[0:1]
; %bb.516:                              ;   in Loop: Header=BB340_243 Depth=1
	s_or_b64 exec, exec, s[10:11]
	v_lshlrev_b32_e32 v66, 16, v66
	v_mul_f32_e32 v70, v42, v66
	v_and_b32_e32 v66, 0x7f800000, v70
	v_cmp_ne_u32_e64 s[0:1], s18, v66
                                        ; implicit-def: $vgpr66
	s_and_saveexec_b64 s[10:11], s[0:1]
	s_xor_b64 s[0:1], exec, s[10:11]
; %bb.517:                              ;   in Loop: Header=BB340_243 Depth=1
	v_bfe_u32 v66, v70, 16, 1
	v_add3_u32 v66, v70, v66, s19
                                        ; implicit-def: $vgpr70
; %bb.518:                              ;   in Loop: Header=BB340_243 Depth=1
	s_andn2_saveexec_b64 s[10:11], s[0:1]
; %bb.519:                              ;   in Loop: Header=BB340_243 Depth=1
	v_or_b32_e32 v66, 0x10000, v70
	v_cmp_eq_u32_sdwa s[0:1], v70, v17 src0_sel:WORD_0 src1_sel:DWORD
	s_nop 1
	v_cndmask_b32_e64 v66, v66, v70, s[0:1]
; %bb.520:                              ;   in Loop: Header=BB340_243 Depth=1
	s_or_b64 exec, exec, s[10:11]
	v_lshlrev_b32_e32 v67, 16, v67
	v_mul_f32_e32 v70, v43, v67
	v_and_b32_e32 v67, 0x7f800000, v70
	v_cmp_ne_u32_e64 s[0:1], s18, v67
                                        ; implicit-def: $vgpr67
	s_and_saveexec_b64 s[10:11], s[0:1]
	s_xor_b64 s[0:1], exec, s[10:11]
; %bb.521:                              ;   in Loop: Header=BB340_243 Depth=1
	v_bfe_u32 v67, v70, 16, 1
	v_add3_u32 v67, v70, v67, s19
                                        ; implicit-def: $vgpr70
; %bb.522:                              ;   in Loop: Header=BB340_243 Depth=1
	s_andn2_saveexec_b64 s[10:11], s[0:1]
; %bb.523:                              ;   in Loop: Header=BB340_243 Depth=1
	v_or_b32_e32 v67, 0x10000, v70
	v_cmp_eq_u32_sdwa s[0:1], v70, v17 src0_sel:WORD_0 src1_sel:DWORD
	s_nop 1
	v_cndmask_b32_e64 v67, v67, v70, s[0:1]
; %bb.524:                              ;   in Loop: Header=BB340_243 Depth=1
	s_or_b64 exec, exec, s[10:11]
	v_lshlrev_b32_e32 v68, 16, v68
	v_mul_f32_e32 v70, v44, v68
	v_and_b32_e32 v68, 0x7f800000, v70
	v_cmp_ne_u32_e64 s[0:1], s18, v68
                                        ; implicit-def: $vgpr68
	s_and_saveexec_b64 s[10:11], s[0:1]
	s_xor_b64 s[0:1], exec, s[10:11]
; %bb.525:                              ;   in Loop: Header=BB340_243 Depth=1
	v_bfe_u32 v68, v70, 16, 1
	v_add3_u32 v68, v70, v68, s19
                                        ; implicit-def: $vgpr70
; %bb.526:                              ;   in Loop: Header=BB340_243 Depth=1
	s_andn2_saveexec_b64 s[10:11], s[0:1]
; %bb.527:                              ;   in Loop: Header=BB340_243 Depth=1
	v_or_b32_e32 v68, 0x10000, v70
	v_cmp_eq_u32_sdwa s[0:1], v70, v17 src0_sel:WORD_0 src1_sel:DWORD
	s_nop 1
	v_cndmask_b32_e64 v68, v68, v70, s[0:1]
; %bb.528:                              ;   in Loop: Header=BB340_243 Depth=1
	s_or_b64 exec, exec, s[10:11]
	v_lshlrev_b32_e32 v69, 16, v69
	v_mul_f32_e32 v70, v45, v69
	v_and_b32_e32 v69, 0x7f800000, v70
	v_cmp_ne_u32_e64 s[0:1], s18, v69
                                        ; implicit-def: $vgpr69
	s_and_saveexec_b64 s[10:11], s[0:1]
	s_xor_b64 s[0:1], exec, s[10:11]
; %bb.529:                              ;   in Loop: Header=BB340_243 Depth=1
	v_bfe_u32 v69, v70, 16, 1
	v_add3_u32 v69, v70, v69, s19
                                        ; implicit-def: $vgpr70
; %bb.530:                              ;   in Loop: Header=BB340_243 Depth=1
	s_andn2_saveexec_b64 s[10:11], s[0:1]
; %bb.531:                              ;   in Loop: Header=BB340_243 Depth=1
	v_or_b32_e32 v69, 0x10000, v70
	v_cmp_eq_u32_sdwa s[0:1], v70, v17 src0_sel:WORD_0 src1_sel:DWORD
	s_nop 1
	v_cndmask_b32_e64 v69, v69, v70, s[0:1]
; %bb.532:                              ;   in Loop: Header=BB340_243 Depth=1
	s_or_b64 exec, exec, s[10:11]
	v_lshlrev_b32_e32 v5, 16, v5
	v_mul_f32_e32 v5, v46, v5
	v_and_b32_e32 v70, 0x7f800000, v5
	v_cmp_ne_u32_e64 s[0:1], s18, v70
                                        ; implicit-def: $vgpr70
	s_and_saveexec_b64 s[10:11], s[0:1]
	s_xor_b64 s[0:1], exec, s[10:11]
; %bb.533:                              ;   in Loop: Header=BB340_243 Depth=1
	v_bfe_u32 v70, v5, 16, 1
	v_add3_u32 v70, v5, v70, s19
                                        ; implicit-def: $vgpr5
; %bb.534:                              ;   in Loop: Header=BB340_243 Depth=1
	s_andn2_saveexec_b64 s[10:11], s[0:1]
; %bb.535:                              ;   in Loop: Header=BB340_243 Depth=1
	v_or_b32_e32 v70, 0x10000, v5
	v_cmp_eq_u32_sdwa s[0:1], v5, v17 src0_sel:WORD_0 src1_sel:DWORD
	s_nop 1
	v_cndmask_b32_e64 v70, v70, v5, s[0:1]
; %bb.536:                              ;   in Loop: Header=BB340_243 Depth=1
	s_or_b64 exec, exec, s[10:11]
	v_lshlrev_b32_e32 v4, 16, v4
	v_mul_f32_e32 v4, v47, v4
	v_and_b32_e32 v5, 0x7f800000, v4
	v_cmp_ne_u32_e64 s[0:1], s18, v5
                                        ; implicit-def: $vgpr71
	s_and_saveexec_b64 s[10:11], s[0:1]
	s_xor_b64 s[0:1], exec, s[10:11]
; %bb.537:                              ;   in Loop: Header=BB340_243 Depth=1
	v_bfe_u32 v5, v4, 16, 1
	v_add3_u32 v71, v4, v5, s19
                                        ; implicit-def: $vgpr4
; %bb.538:                              ;   in Loop: Header=BB340_243 Depth=1
	s_andn2_saveexec_b64 s[10:11], s[0:1]
; %bb.539:                              ;   in Loop: Header=BB340_243 Depth=1
	v_or_b32_e32 v5, 0x10000, v4
	v_cmp_eq_u32_sdwa s[0:1], v4, v17 src0_sel:WORD_0 src1_sel:DWORD
	s_nop 1
	v_cndmask_b32_e64 v71, v5, v4, s[0:1]
; %bb.540:                              ;   in Loop: Header=BB340_243 Depth=1
	s_or_b64 exec, exec, s[10:11]
	global_load_dwordx2 v[4:5], v[2:3], off offset:2048
	s_waitcnt vmcnt(0)
	v_and_b32_e32 v72, 0xff, v4
	v_cvt_f32_fp8_sdwa v72, v72 src0_sel:BYTE_0
	s_nop 0
	v_mul_f32_e32 v73, s21, v72
	v_and_b32_e32 v72, 0x7f800000, v73
	v_cmp_ne_u32_e64 s[0:1], s18, v72
                                        ; implicit-def: $vgpr72
	s_and_saveexec_b64 s[10:11], s[0:1]
	s_xor_b64 s[0:1], exec, s[10:11]
; %bb.541:                              ;   in Loop: Header=BB340_243 Depth=1
	v_bfe_u32 v72, v73, 16, 1
	v_add3_u32 v72, v73, v72, s19
                                        ; implicit-def: $vgpr73
; %bb.542:                              ;   in Loop: Header=BB340_243 Depth=1
	s_andn2_saveexec_b64 s[10:11], s[0:1]
; %bb.543:                              ;   in Loop: Header=BB340_243 Depth=1
	v_or_b32_e32 v72, 0x10000, v73
	v_cmp_eq_u32_sdwa s[0:1], v73, v17 src0_sel:WORD_0 src1_sel:DWORD
	s_nop 1
	v_cndmask_b32_e64 v72, v72, v73, s[0:1]
; %bb.544:                              ;   in Loop: Header=BB340_243 Depth=1
	s_or_b64 exec, exec, s[10:11]
	v_bfe_u32 v73, v4, 8, 8
	v_cvt_f32_fp8_sdwa v73, v73 src0_sel:BYTE_0
	s_nop 0
	v_mul_f32_e32 v74, s21, v73
	v_and_b32_e32 v73, 0x7f800000, v74
	v_cmp_ne_u32_e64 s[0:1], s18, v73
                                        ; implicit-def: $vgpr73
	s_and_saveexec_b64 s[10:11], s[0:1]
	s_xor_b64 s[0:1], exec, s[10:11]
; %bb.545:                              ;   in Loop: Header=BB340_243 Depth=1
	v_bfe_u32 v73, v74, 16, 1
	v_add3_u32 v73, v74, v73, s19
                                        ; implicit-def: $vgpr74
; %bb.546:                              ;   in Loop: Header=BB340_243 Depth=1
	s_andn2_saveexec_b64 s[10:11], s[0:1]
; %bb.547:                              ;   in Loop: Header=BB340_243 Depth=1
	v_or_b32_e32 v73, 0x10000, v74
	v_cmp_eq_u32_sdwa s[0:1], v74, v17 src0_sel:WORD_0 src1_sel:DWORD
	s_nop 1
	v_cndmask_b32_e64 v73, v73, v74, s[0:1]
; %bb.548:                              ;   in Loop: Header=BB340_243 Depth=1
	s_or_b64 exec, exec, s[10:11]
	v_bfe_u32 v74, v4, 16, 8
	v_cvt_f32_fp8_sdwa v74, v74 src0_sel:BYTE_0
	s_nop 0
	v_mul_f32_e32 v75, s21, v74
	v_and_b32_e32 v74, 0x7f800000, v75
	v_cmp_ne_u32_e64 s[0:1], s18, v74
                                        ; implicit-def: $vgpr74
	s_and_saveexec_b64 s[10:11], s[0:1]
	s_xor_b64 s[0:1], exec, s[10:11]
; %bb.549:                              ;   in Loop: Header=BB340_243 Depth=1
	v_bfe_u32 v74, v75, 16, 1
	v_add3_u32 v74, v75, v74, s19
                                        ; implicit-def: $vgpr75
; %bb.550:                              ;   in Loop: Header=BB340_243 Depth=1
	s_andn2_saveexec_b64 s[10:11], s[0:1]
; %bb.551:                              ;   in Loop: Header=BB340_243 Depth=1
	v_or_b32_e32 v74, 0x10000, v75
	v_cmp_eq_u32_sdwa s[0:1], v75, v17 src0_sel:WORD_0 src1_sel:DWORD
	s_nop 1
	v_cndmask_b32_e64 v74, v74, v75, s[0:1]
; %bb.552:                              ;   in Loop: Header=BB340_243 Depth=1
	s_or_b64 exec, exec, s[10:11]
	v_lshrrev_b32_e32 v4, 24, v4
	v_cvt_f32_fp8_sdwa v4, v4 src0_sel:BYTE_0
	s_nop 0
	v_mul_f32_e32 v75, s21, v4
	v_and_b32_e32 v4, 0x7f800000, v75
	v_cmp_ne_u32_e64 s[0:1], s18, v4
                                        ; implicit-def: $vgpr4
	s_and_saveexec_b64 s[10:11], s[0:1]
	s_xor_b64 s[0:1], exec, s[10:11]
; %bb.553:                              ;   in Loop: Header=BB340_243 Depth=1
	v_bfe_u32 v4, v75, 16, 1
	v_add3_u32 v4, v75, v4, s19
                                        ; implicit-def: $vgpr75
; %bb.554:                              ;   in Loop: Header=BB340_243 Depth=1
	s_andn2_saveexec_b64 s[10:11], s[0:1]
; %bb.555:                              ;   in Loop: Header=BB340_243 Depth=1
	v_or_b32_e32 v4, 0x10000, v75
	v_cmp_eq_u32_sdwa s[0:1], v75, v17 src0_sel:WORD_0 src1_sel:DWORD
	s_nop 1
	v_cndmask_b32_e64 v4, v4, v75, s[0:1]
; %bb.556:                              ;   in Loop: Header=BB340_243 Depth=1
	s_or_b64 exec, exec, s[10:11]
	v_and_b32_e32 v75, 0xff, v5
	v_cvt_f32_fp8_sdwa v75, v75 src0_sel:BYTE_0
	s_nop 0
	v_mul_f32_e32 v75, s21, v75
	v_and_b32_e32 v76, 0x7f800000, v75
	v_cmp_ne_u32_e64 s[0:1], s18, v76
                                        ; implicit-def: $vgpr76
	s_and_saveexec_b64 s[10:11], s[0:1]
	s_xor_b64 s[0:1], exec, s[10:11]
; %bb.557:                              ;   in Loop: Header=BB340_243 Depth=1
	v_bfe_u32 v76, v75, 16, 1
	v_add3_u32 v76, v75, v76, s19
                                        ; implicit-def: $vgpr75
; %bb.558:                              ;   in Loop: Header=BB340_243 Depth=1
	s_andn2_saveexec_b64 s[10:11], s[0:1]
; %bb.559:                              ;   in Loop: Header=BB340_243 Depth=1
	v_or_b32_e32 v76, 0x10000, v75
	v_cmp_eq_u32_sdwa s[0:1], v75, v17 src0_sel:WORD_0 src1_sel:DWORD
	s_nop 1
	v_cndmask_b32_e64 v76, v76, v75, s[0:1]
; %bb.560:                              ;   in Loop: Header=BB340_243 Depth=1
	s_or_b64 exec, exec, s[10:11]
	v_bfe_u32 v75, v5, 8, 8
	v_cvt_f32_fp8_sdwa v75, v75 src0_sel:BYTE_0
	s_nop 0
	v_mul_f32_e32 v77, s21, v75
	v_and_b32_e32 v75, 0x7f800000, v77
	v_cmp_ne_u32_e64 s[0:1], s18, v75
                                        ; implicit-def: $vgpr75
	s_and_saveexec_b64 s[10:11], s[0:1]
	s_xor_b64 s[0:1], exec, s[10:11]
; %bb.561:                              ;   in Loop: Header=BB340_243 Depth=1
	v_bfe_u32 v75, v77, 16, 1
	v_add3_u32 v75, v77, v75, s19
                                        ; implicit-def: $vgpr77
; %bb.562:                              ;   in Loop: Header=BB340_243 Depth=1
	s_andn2_saveexec_b64 s[10:11], s[0:1]
; %bb.563:                              ;   in Loop: Header=BB340_243 Depth=1
	v_or_b32_e32 v75, 0x10000, v77
	v_cmp_eq_u32_sdwa s[0:1], v77, v17 src0_sel:WORD_0 src1_sel:DWORD
	s_nop 1
	v_cndmask_b32_e64 v75, v75, v77, s[0:1]
; %bb.564:                              ;   in Loop: Header=BB340_243 Depth=1
	s_or_b64 exec, exec, s[10:11]
	v_bfe_u32 v77, v5, 16, 8
	v_cvt_f32_fp8_sdwa v77, v77 src0_sel:BYTE_0
	s_nop 0
	v_mul_f32_e32 v78, s21, v77
	v_and_b32_e32 v77, 0x7f800000, v78
	v_cmp_ne_u32_e64 s[0:1], s18, v77
                                        ; implicit-def: $vgpr77
	s_and_saveexec_b64 s[10:11], s[0:1]
	s_xor_b64 s[0:1], exec, s[10:11]
; %bb.565:                              ;   in Loop: Header=BB340_243 Depth=1
	v_bfe_u32 v77, v78, 16, 1
	v_add3_u32 v77, v78, v77, s19
                                        ; implicit-def: $vgpr78
; %bb.566:                              ;   in Loop: Header=BB340_243 Depth=1
	s_andn2_saveexec_b64 s[10:11], s[0:1]
; %bb.567:                              ;   in Loop: Header=BB340_243 Depth=1
	v_or_b32_e32 v77, 0x10000, v78
	v_cmp_eq_u32_sdwa s[0:1], v78, v17 src0_sel:WORD_0 src1_sel:DWORD
	s_nop 1
	v_cndmask_b32_e64 v77, v77, v78, s[0:1]
; %bb.568:                              ;   in Loop: Header=BB340_243 Depth=1
	s_or_b64 exec, exec, s[10:11]
	v_lshrrev_b32_e32 v5, 24, v5
	v_cvt_f32_fp8_sdwa v5, v5 src0_sel:BYTE_0
                                        ; implicit-def: $vgpr80
	s_nop 0
	v_mul_f32_e32 v5, s21, v5
	v_and_b32_e32 v78, 0x7f800000, v5
	v_cmp_ne_u32_e64 s[0:1], s18, v78
	s_and_saveexec_b64 s[10:11], s[0:1]
	s_xor_b64 s[0:1], exec, s[10:11]
; %bb.569:                              ;   in Loop: Header=BB340_243 Depth=1
	v_bfe_u32 v78, v5, 16, 1
	v_add3_u32 v80, v5, v78, s19
                                        ; implicit-def: $vgpr5
; %bb.570:                              ;   in Loop: Header=BB340_243 Depth=1
	s_andn2_saveexec_b64 s[10:11], s[0:1]
; %bb.571:                              ;   in Loop: Header=BB340_243 Depth=1
	v_or_b32_e32 v78, 0x10000, v5
	v_cmp_eq_u32_sdwa s[0:1], v5, v17 src0_sel:WORD_0 src1_sel:DWORD
	s_nop 1
	v_cndmask_b32_e64 v80, v78, v5, s[0:1]
; %bb.572:                              ;   in Loop: Header=BB340_243 Depth=1
	s_or_b64 exec, exec, s[10:11]
	v_lshrrev_b32_e32 v75, 16, v75
	v_lshrrev_b32_e32 v78, 16, v76
	;; [unrolled: 1-line block ×8, first 2 shown]
	s_and_saveexec_b64 s[10:11], vcc
	s_cbranch_execz .LBB340_574
; %bb.573:                              ;   in Loop: Header=BB340_243 Depth=1
	v_cmp_gt_i32_e64 s[0:1], s33, v32
	s_nop 1
	v_cndmask_b32_e64 v4, 0, v4, s[0:1]
	v_cmp_gt_i32_e64 s[0:1], s33, v39
	s_nop 1
	v_cndmask_b32_e64 v5, 0, v5, s[0:1]
	;; [unrolled: 3-line block ×8, first 2 shown]
.LBB340_574:                            ;   in Loop: Header=BB340_243 Depth=1
	s_or_b64 exec, exec, s[10:11]
	v_lshlrev_b32_e32 v4, 16, v4
	v_mul_f32_e32 v72, v40, v4
	v_and_b32_e32 v4, 0x7f800000, v72
	v_cmp_ne_u32_e64 s[0:1], s18, v4
                                        ; implicit-def: $vgpr4
	s_and_saveexec_b64 s[10:11], s[0:1]
	s_xor_b64 s[0:1], exec, s[10:11]
; %bb.575:                              ;   in Loop: Header=BB340_243 Depth=1
	v_bfe_u32 v4, v72, 16, 1
	v_add3_u32 v4, v72, v4, s19
                                        ; implicit-def: $vgpr72
; %bb.576:                              ;   in Loop: Header=BB340_243 Depth=1
	s_andn2_saveexec_b64 s[10:11], s[0:1]
; %bb.577:                              ;   in Loop: Header=BB340_243 Depth=1
	v_or_b32_e32 v4, 0x10000, v72
	v_cmp_eq_u32_sdwa s[0:1], v72, v17 src0_sel:WORD_0 src1_sel:DWORD
	s_nop 1
	v_cndmask_b32_e64 v4, v4, v72, s[0:1]
; %bb.578:                              ;   in Loop: Header=BB340_243 Depth=1
	s_or_b64 exec, exec, s[10:11]
	v_lshlrev_b32_e32 v5, 16, v5
	v_mul_f32_e32 v72, v41, v5
	v_and_b32_e32 v5, 0x7f800000, v72
	v_cmp_ne_u32_e64 s[0:1], s18, v5
                                        ; implicit-def: $vgpr5
	s_and_saveexec_b64 s[10:11], s[0:1]
	s_xor_b64 s[0:1], exec, s[10:11]
; %bb.579:                              ;   in Loop: Header=BB340_243 Depth=1
	v_bfe_u32 v5, v72, 16, 1
	v_add3_u32 v5, v72, v5, s19
                                        ; implicit-def: $vgpr72
; %bb.580:                              ;   in Loop: Header=BB340_243 Depth=1
	s_andn2_saveexec_b64 s[10:11], s[0:1]
; %bb.581:                              ;   in Loop: Header=BB340_243 Depth=1
	v_or_b32_e32 v5, 0x10000, v72
	v_cmp_eq_u32_sdwa s[0:1], v72, v17 src0_sel:WORD_0 src1_sel:DWORD
	s_nop 1
	v_cndmask_b32_e64 v5, v5, v72, s[0:1]
; %bb.582:                              ;   in Loop: Header=BB340_243 Depth=1
	s_or_b64 exec, exec, s[10:11]
	v_lshlrev_b32_e32 v72, 16, v74
	v_mul_f32_e32 v73, v42, v72
	v_and_b32_e32 v72, 0x7f800000, v73
	v_cmp_ne_u32_e64 s[0:1], s18, v72
                                        ; implicit-def: $vgpr72
	s_and_saveexec_b64 s[10:11], s[0:1]
	s_xor_b64 s[0:1], exec, s[10:11]
; %bb.583:                              ;   in Loop: Header=BB340_243 Depth=1
	v_bfe_u32 v72, v73, 16, 1
	v_add3_u32 v72, v73, v72, s19
                                        ; implicit-def: $vgpr73
; %bb.584:                              ;   in Loop: Header=BB340_243 Depth=1
	s_andn2_saveexec_b64 s[10:11], s[0:1]
; %bb.585:                              ;   in Loop: Header=BB340_243 Depth=1
	v_or_b32_e32 v72, 0x10000, v73
	v_cmp_eq_u32_sdwa s[0:1], v73, v17 src0_sel:WORD_0 src1_sel:DWORD
	s_nop 1
	v_cndmask_b32_e64 v72, v72, v73, s[0:1]
; %bb.586:                              ;   in Loop: Header=BB340_243 Depth=1
	s_or_b64 exec, exec, s[10:11]
	v_lshlrev_b32_e32 v73, 16, v79
	v_mul_f32_e32 v74, v43, v73
	v_and_b32_e32 v73, 0x7f800000, v74
	v_cmp_ne_u32_e64 s[0:1], s18, v73
                                        ; implicit-def: $vgpr73
	s_and_saveexec_b64 s[10:11], s[0:1]
	s_xor_b64 s[0:1], exec, s[10:11]
; %bb.587:                              ;   in Loop: Header=BB340_243 Depth=1
	v_bfe_u32 v73, v74, 16, 1
	v_add3_u32 v73, v74, v73, s19
                                        ; implicit-def: $vgpr74
; %bb.588:                              ;   in Loop: Header=BB340_243 Depth=1
	s_andn2_saveexec_b64 s[10:11], s[0:1]
; %bb.589:                              ;   in Loop: Header=BB340_243 Depth=1
	v_or_b32_e32 v73, 0x10000, v74
	v_cmp_eq_u32_sdwa s[0:1], v74, v17 src0_sel:WORD_0 src1_sel:DWORD
	s_nop 1
	v_cndmask_b32_e64 v73, v73, v74, s[0:1]
; %bb.590:                              ;   in Loop: Header=BB340_243 Depth=1
	s_or_b64 exec, exec, s[10:11]
	v_lshlrev_b32_e32 v74, 16, v78
	v_mul_f32_e32 v78, v44, v74
	v_and_b32_e32 v74, 0x7f800000, v78
	v_cmp_ne_u32_e64 s[0:1], s18, v74
                                        ; implicit-def: $vgpr74
	s_and_saveexec_b64 s[10:11], s[0:1]
	s_xor_b64 s[0:1], exec, s[10:11]
; %bb.591:                              ;   in Loop: Header=BB340_243 Depth=1
	v_bfe_u32 v74, v78, 16, 1
	v_add3_u32 v74, v78, v74, s19
                                        ; implicit-def: $vgpr78
; %bb.592:                              ;   in Loop: Header=BB340_243 Depth=1
	s_andn2_saveexec_b64 s[10:11], s[0:1]
; %bb.593:                              ;   in Loop: Header=BB340_243 Depth=1
	v_or_b32_e32 v74, 0x10000, v78
	v_cmp_eq_u32_sdwa s[0:1], v78, v17 src0_sel:WORD_0 src1_sel:DWORD
	s_nop 1
	v_cndmask_b32_e64 v74, v74, v78, s[0:1]
; %bb.594:                              ;   in Loop: Header=BB340_243 Depth=1
	s_or_b64 exec, exec, s[10:11]
	v_lshlrev_b32_e32 v75, 16, v75
	v_mul_f32_e32 v78, v45, v75
	v_and_b32_e32 v75, 0x7f800000, v78
	v_cmp_ne_u32_e64 s[0:1], s18, v75
                                        ; implicit-def: $vgpr75
	s_and_saveexec_b64 s[10:11], s[0:1]
	s_xor_b64 s[0:1], exec, s[10:11]
; %bb.595:                              ;   in Loop: Header=BB340_243 Depth=1
	v_bfe_u32 v75, v78, 16, 1
	v_add3_u32 v75, v78, v75, s19
                                        ; implicit-def: $vgpr78
; %bb.596:                              ;   in Loop: Header=BB340_243 Depth=1
	s_andn2_saveexec_b64 s[10:11], s[0:1]
; %bb.597:                              ;   in Loop: Header=BB340_243 Depth=1
	v_or_b32_e32 v75, 0x10000, v78
	v_cmp_eq_u32_sdwa s[0:1], v78, v17 src0_sel:WORD_0 src1_sel:DWORD
	s_nop 1
	v_cndmask_b32_e64 v75, v75, v78, s[0:1]
; %bb.598:                              ;   in Loop: Header=BB340_243 Depth=1
	s_or_b64 exec, exec, s[10:11]
	v_lshlrev_b32_e32 v76, 16, v76
	v_mul_f32_e32 v78, v46, v76
	v_and_b32_e32 v76, 0x7f800000, v78
	v_cmp_ne_u32_e64 s[0:1], s18, v76
                                        ; implicit-def: $vgpr76
	s_and_saveexec_b64 s[10:11], s[0:1]
	s_xor_b64 s[0:1], exec, s[10:11]
; %bb.599:                              ;   in Loop: Header=BB340_243 Depth=1
	v_bfe_u32 v76, v78, 16, 1
	v_add3_u32 v76, v78, v76, s19
                                        ; implicit-def: $vgpr78
; %bb.600:                              ;   in Loop: Header=BB340_243 Depth=1
	s_andn2_saveexec_b64 s[10:11], s[0:1]
; %bb.601:                              ;   in Loop: Header=BB340_243 Depth=1
	v_or_b32_e32 v76, 0x10000, v78
	v_cmp_eq_u32_sdwa s[0:1], v78, v17 src0_sel:WORD_0 src1_sel:DWORD
	s_nop 1
	v_cndmask_b32_e64 v76, v76, v78, s[0:1]
; %bb.602:                              ;   in Loop: Header=BB340_243 Depth=1
	s_or_b64 exec, exec, s[10:11]
	v_lshlrev_b32_e32 v77, 16, v77
	v_mul_f32_e32 v78, v47, v77
	v_and_b32_e32 v77, 0x7f800000, v78
	v_cmp_ne_u32_e64 s[0:1], s18, v77
                                        ; implicit-def: $vgpr77
	s_and_saveexec_b64 s[10:11], s[0:1]
	s_xor_b64 s[0:1], exec, s[10:11]
; %bb.603:                              ;   in Loop: Header=BB340_243 Depth=1
	v_bfe_u32 v77, v78, 16, 1
	v_add3_u32 v77, v78, v77, s19
                                        ; implicit-def: $vgpr78
; %bb.604:                              ;   in Loop: Header=BB340_243 Depth=1
	s_andn2_saveexec_b64 s[10:11], s[0:1]
; %bb.605:                              ;   in Loop: Header=BB340_243 Depth=1
	v_or_b32_e32 v77, 0x10000, v78
	v_cmp_eq_u32_sdwa s[0:1], v78, v17 src0_sel:WORD_0 src1_sel:DWORD
	s_nop 1
	v_cndmask_b32_e64 v77, v77, v78, s[0:1]
; %bb.606:                              ;   in Loop: Header=BB340_243 Depth=1
	s_or_b64 exec, exec, s[10:11]
	global_load_dwordx2 v[2:3], v[2:3], off offset:2560
	s_waitcnt vmcnt(0)
	v_and_b32_e32 v78, 0xff, v2
	v_cvt_f32_fp8_sdwa v78, v78 src0_sel:BYTE_0
	s_nop 0
	v_mul_f32_e32 v79, s21, v78
	v_and_b32_e32 v78, 0x7f800000, v79
	v_cmp_ne_u32_e64 s[0:1], s18, v78
                                        ; implicit-def: $vgpr78
	s_and_saveexec_b64 s[10:11], s[0:1]
	s_xor_b64 s[0:1], exec, s[10:11]
; %bb.607:                              ;   in Loop: Header=BB340_243 Depth=1
	v_bfe_u32 v78, v79, 16, 1
	v_add3_u32 v78, v79, v78, s19
                                        ; implicit-def: $vgpr79
; %bb.608:                              ;   in Loop: Header=BB340_243 Depth=1
	s_andn2_saveexec_b64 s[10:11], s[0:1]
; %bb.609:                              ;   in Loop: Header=BB340_243 Depth=1
	v_or_b32_e32 v78, 0x10000, v79
	v_cmp_eq_u32_sdwa s[0:1], v79, v17 src0_sel:WORD_0 src1_sel:DWORD
	s_nop 1
	v_cndmask_b32_e64 v78, v78, v79, s[0:1]
; %bb.610:                              ;   in Loop: Header=BB340_243 Depth=1
	s_or_b64 exec, exec, s[10:11]
	v_bfe_u32 v79, v2, 8, 8
	v_cvt_f32_fp8_sdwa v79, v79 src0_sel:BYTE_0
	s_nop 0
	v_mul_f32_e32 v80, s21, v79
	v_and_b32_e32 v79, 0x7f800000, v80
	v_cmp_ne_u32_e64 s[0:1], s18, v79
                                        ; implicit-def: $vgpr79
	s_and_saveexec_b64 s[10:11], s[0:1]
	s_xor_b64 s[0:1], exec, s[10:11]
; %bb.611:                              ;   in Loop: Header=BB340_243 Depth=1
	v_bfe_u32 v79, v80, 16, 1
	v_add3_u32 v79, v80, v79, s19
                                        ; implicit-def: $vgpr80
; %bb.612:                              ;   in Loop: Header=BB340_243 Depth=1
	s_andn2_saveexec_b64 s[10:11], s[0:1]
; %bb.613:                              ;   in Loop: Header=BB340_243 Depth=1
	v_or_b32_e32 v79, 0x10000, v80
	v_cmp_eq_u32_sdwa s[0:1], v80, v17 src0_sel:WORD_0 src1_sel:DWORD
	s_nop 1
	v_cndmask_b32_e64 v79, v79, v80, s[0:1]
; %bb.614:                              ;   in Loop: Header=BB340_243 Depth=1
	s_or_b64 exec, exec, s[10:11]
	v_bfe_u32 v80, v2, 16, 8
	v_cvt_f32_fp8_sdwa v80, v80 src0_sel:BYTE_0
	s_nop 0
	v_mul_f32_e32 v80, s21, v80
	v_and_b32_e32 v81, 0x7f800000, v80
	v_cmp_ne_u32_e64 s[0:1], s18, v81
                                        ; implicit-def: $vgpr81
	s_and_saveexec_b64 s[10:11], s[0:1]
	s_xor_b64 s[0:1], exec, s[10:11]
; %bb.615:                              ;   in Loop: Header=BB340_243 Depth=1
	v_bfe_u32 v81, v80, 16, 1
	v_add3_u32 v81, v80, v81, s19
                                        ; implicit-def: $vgpr80
; %bb.616:                              ;   in Loop: Header=BB340_243 Depth=1
	s_andn2_saveexec_b64 s[10:11], s[0:1]
; %bb.617:                              ;   in Loop: Header=BB340_243 Depth=1
	v_or_b32_e32 v81, 0x10000, v80
	v_cmp_eq_u32_sdwa s[0:1], v80, v17 src0_sel:WORD_0 src1_sel:DWORD
	s_nop 1
	v_cndmask_b32_e64 v81, v81, v80, s[0:1]
; %bb.618:                              ;   in Loop: Header=BB340_243 Depth=1
	s_or_b64 exec, exec, s[10:11]
	v_lshrrev_b32_e32 v2, 24, v2
	v_cvt_f32_fp8_sdwa v2, v2 src0_sel:BYTE_0
	s_nop 0
	v_mul_f32_e32 v80, s21, v2
	v_and_b32_e32 v2, 0x7f800000, v80
	v_cmp_ne_u32_e64 s[0:1], s18, v2
                                        ; implicit-def: $vgpr2
	s_and_saveexec_b64 s[10:11], s[0:1]
	s_xor_b64 s[0:1], exec, s[10:11]
; %bb.619:                              ;   in Loop: Header=BB340_243 Depth=1
	v_bfe_u32 v2, v80, 16, 1
	v_add3_u32 v2, v80, v2, s19
                                        ; implicit-def: $vgpr80
; %bb.620:                              ;   in Loop: Header=BB340_243 Depth=1
	s_andn2_saveexec_b64 s[10:11], s[0:1]
; %bb.621:                              ;   in Loop: Header=BB340_243 Depth=1
	v_or_b32_e32 v2, 0x10000, v80
	v_cmp_eq_u32_sdwa s[0:1], v80, v17 src0_sel:WORD_0 src1_sel:DWORD
	s_nop 1
	v_cndmask_b32_e64 v2, v2, v80, s[0:1]
; %bb.622:                              ;   in Loop: Header=BB340_243 Depth=1
	s_or_b64 exec, exec, s[10:11]
	v_and_b32_e32 v80, 0xff, v3
	v_cvt_f32_fp8_sdwa v80, v80 src0_sel:BYTE_0
	s_nop 0
	v_mul_f32_e32 v80, s21, v80
	v_and_b32_e32 v82, 0x7f800000, v80
	v_cmp_ne_u32_e64 s[0:1], s18, v82
                                        ; implicit-def: $vgpr82
	s_and_saveexec_b64 s[10:11], s[0:1]
	s_xor_b64 s[0:1], exec, s[10:11]
; %bb.623:                              ;   in Loop: Header=BB340_243 Depth=1
	v_bfe_u32 v82, v80, 16, 1
	v_add3_u32 v82, v80, v82, s19
                                        ; implicit-def: $vgpr80
; %bb.624:                              ;   in Loop: Header=BB340_243 Depth=1
	s_andn2_saveexec_b64 s[10:11], s[0:1]
; %bb.625:                              ;   in Loop: Header=BB340_243 Depth=1
	v_or_b32_e32 v82, 0x10000, v80
	v_cmp_eq_u32_sdwa s[0:1], v80, v17 src0_sel:WORD_0 src1_sel:DWORD
	s_nop 1
	v_cndmask_b32_e64 v82, v82, v80, s[0:1]
; %bb.626:                              ;   in Loop: Header=BB340_243 Depth=1
	s_or_b64 exec, exec, s[10:11]
	v_bfe_u32 v80, v3, 8, 8
	v_cvt_f32_fp8_sdwa v80, v80 src0_sel:BYTE_0
	s_nop 0
	v_mul_f32_e32 v83, s21, v80
	v_and_b32_e32 v80, 0x7f800000, v83
	v_cmp_ne_u32_e64 s[0:1], s18, v80
                                        ; implicit-def: $vgpr80
	s_and_saveexec_b64 s[10:11], s[0:1]
	s_xor_b64 s[0:1], exec, s[10:11]
; %bb.627:                              ;   in Loop: Header=BB340_243 Depth=1
	v_bfe_u32 v80, v83, 16, 1
	v_add3_u32 v80, v83, v80, s19
                                        ; implicit-def: $vgpr83
; %bb.628:                              ;   in Loop: Header=BB340_243 Depth=1
	s_andn2_saveexec_b64 s[10:11], s[0:1]
; %bb.629:                              ;   in Loop: Header=BB340_243 Depth=1
	v_or_b32_e32 v80, 0x10000, v83
	v_cmp_eq_u32_sdwa s[0:1], v83, v17 src0_sel:WORD_0 src1_sel:DWORD
	s_nop 1
	v_cndmask_b32_e64 v80, v80, v83, s[0:1]
; %bb.630:                              ;   in Loop: Header=BB340_243 Depth=1
	s_or_b64 exec, exec, s[10:11]
	v_bfe_u32 v83, v3, 16, 8
	v_cvt_f32_fp8_sdwa v83, v83 src0_sel:BYTE_0
	s_nop 0
	v_mul_f32_e32 v83, s21, v83
	v_and_b32_e32 v84, 0x7f800000, v83
	v_cmp_ne_u32_e64 s[0:1], s18, v84
                                        ; implicit-def: $vgpr84
	s_and_saveexec_b64 s[10:11], s[0:1]
	s_xor_b64 s[0:1], exec, s[10:11]
; %bb.631:                              ;   in Loop: Header=BB340_243 Depth=1
	v_bfe_u32 v84, v83, 16, 1
	v_add3_u32 v84, v83, v84, s19
                                        ; implicit-def: $vgpr83
; %bb.632:                              ;   in Loop: Header=BB340_243 Depth=1
	s_andn2_saveexec_b64 s[10:11], s[0:1]
; %bb.633:                              ;   in Loop: Header=BB340_243 Depth=1
	v_or_b32_e32 v84, 0x10000, v83
	v_cmp_eq_u32_sdwa s[0:1], v83, v17 src0_sel:WORD_0 src1_sel:DWORD
	s_nop 1
	v_cndmask_b32_e64 v84, v84, v83, s[0:1]
; %bb.634:                              ;   in Loop: Header=BB340_243 Depth=1
	s_or_b64 exec, exec, s[10:11]
	v_lshrrev_b32_e32 v3, 24, v3
	v_cvt_f32_fp8_sdwa v3, v3 src0_sel:BYTE_0
                                        ; implicit-def: $vgpr85
	s_nop 0
	v_mul_f32_e32 v3, s21, v3
	v_and_b32_e32 v83, 0x7f800000, v3
	v_cmp_ne_u32_e64 s[0:1], s18, v83
	s_and_saveexec_b64 s[10:11], s[0:1]
	s_xor_b64 s[0:1], exec, s[10:11]
; %bb.635:                              ;   in Loop: Header=BB340_243 Depth=1
	v_bfe_u32 v83, v3, 16, 1
	v_add3_u32 v85, v3, v83, s19
                                        ; implicit-def: $vgpr3
; %bb.636:                              ;   in Loop: Header=BB340_243 Depth=1
	s_andn2_saveexec_b64 s[10:11], s[0:1]
; %bb.637:                              ;   in Loop: Header=BB340_243 Depth=1
	v_or_b32_e32 v83, 0x10000, v3
	v_cmp_eq_u32_sdwa s[0:1], v3, v17 src0_sel:WORD_0 src1_sel:DWORD
	s_nop 1
	v_cndmask_b32_e64 v85, v83, v3, s[0:1]
; %bb.638:                              ;   in Loop: Header=BB340_243 Depth=1
	s_or_b64 exec, exec, s[10:11]
	v_lshrrev_b32_e32 v80, 16, v80
	v_lshrrev_b32_e32 v82, 16, v82
	;; [unrolled: 1-line block ×8, first 2 shown]
	s_and_saveexec_b64 s[0:1], vcc
	s_cbranch_execz .LBB340_640
; %bb.639:                              ;   in Loop: Header=BB340_243 Depth=1
	v_cmp_gt_i32_e32 vcc, s33, v32
	s_nop 1
	v_cndmask_b32_e32 v2, 0, v2, vcc
	v_cmp_gt_i32_e32 vcc, s33, v39
	s_nop 1
	v_cndmask_b32_e32 v3, 0, v3, vcc
	;; [unrolled: 3-line block ×8, first 2 shown]
.LBB340_640:                            ;   in Loop: Header=BB340_243 Depth=1
	s_or_b64 exec, exec, s[0:1]
	v_lshlrev_b32_e32 v2, 16, v2
	v_mul_f32_e32 v32, v40, v2
	v_and_b32_e32 v2, 0x7f800000, v32
	v_cmp_ne_u32_e32 vcc, s18, v2
                                        ; implicit-def: $vgpr2
	s_and_saveexec_b64 s[0:1], vcc
	s_xor_b64 s[0:1], exec, s[0:1]
; %bb.641:                              ;   in Loop: Header=BB340_243 Depth=1
	v_bfe_u32 v2, v32, 16, 1
	v_add3_u32 v2, v32, v2, s19
                                        ; implicit-def: $vgpr32
; %bb.642:                              ;   in Loop: Header=BB340_243 Depth=1
	s_andn2_saveexec_b64 s[0:1], s[0:1]
; %bb.643:                              ;   in Loop: Header=BB340_243 Depth=1
	v_or_b32_e32 v2, 0x10000, v32
	v_cmp_eq_u32_sdwa vcc, v32, v17 src0_sel:WORD_0 src1_sel:DWORD
	s_nop 1
	v_cndmask_b32_e32 v2, v2, v32, vcc
; %bb.644:                              ;   in Loop: Header=BB340_243 Depth=1
	s_or_b64 exec, exec, s[0:1]
	v_lshlrev_b32_e32 v3, 16, v3
	v_mul_f32_e32 v32, v41, v3
	v_and_b32_e32 v3, 0x7f800000, v32
	v_cmp_ne_u32_e32 vcc, s18, v3
                                        ; implicit-def: $vgpr3
	s_and_saveexec_b64 s[0:1], vcc
	s_xor_b64 s[0:1], exec, s[0:1]
; %bb.645:                              ;   in Loop: Header=BB340_243 Depth=1
	v_bfe_u32 v3, v32, 16, 1
	v_add3_u32 v3, v32, v3, s19
                                        ; implicit-def: $vgpr32
; %bb.646:                              ;   in Loop: Header=BB340_243 Depth=1
	s_andn2_saveexec_b64 s[0:1], s[0:1]
; %bb.647:                              ;   in Loop: Header=BB340_243 Depth=1
	v_or_b32_e32 v3, 0x10000, v32
	v_cmp_eq_u32_sdwa vcc, v32, v17 src0_sel:WORD_0 src1_sel:DWORD
	s_nop 1
	v_cndmask_b32_e32 v3, v3, v32, vcc
; %bb.648:                              ;   in Loop: Header=BB340_243 Depth=1
	s_or_b64 exec, exec, s[0:1]
	v_lshlrev_b32_e32 v32, 16, v81
	v_mul_f32_e32 v33, v42, v32
	v_and_b32_e32 v32, 0x7f800000, v33
	v_cmp_ne_u32_e32 vcc, s18, v32
                                        ; implicit-def: $vgpr32
	s_and_saveexec_b64 s[0:1], vcc
	s_xor_b64 s[0:1], exec, s[0:1]
; %bb.649:                              ;   in Loop: Header=BB340_243 Depth=1
	v_bfe_u32 v32, v33, 16, 1
	v_add3_u32 v32, v33, v32, s19
                                        ; implicit-def: $vgpr33
; %bb.650:                              ;   in Loop: Header=BB340_243 Depth=1
	s_andn2_saveexec_b64 s[0:1], s[0:1]
; %bb.651:                              ;   in Loop: Header=BB340_243 Depth=1
	v_or_b32_e32 v32, 0x10000, v33
	v_cmp_eq_u32_sdwa vcc, v33, v17 src0_sel:WORD_0 src1_sel:DWORD
	s_nop 1
	v_cndmask_b32_e32 v32, v32, v33, vcc
; %bb.652:                              ;   in Loop: Header=BB340_243 Depth=1
	s_or_b64 exec, exec, s[0:1]
	v_lshlrev_b32_e32 v33, 16, v83
	v_mul_f32_e32 v34, v43, v33
	v_and_b32_e32 v33, 0x7f800000, v34
	v_cmp_ne_u32_e32 vcc, s18, v33
                                        ; implicit-def: $vgpr33
	s_and_saveexec_b64 s[0:1], vcc
	s_xor_b64 s[0:1], exec, s[0:1]
; %bb.653:                              ;   in Loop: Header=BB340_243 Depth=1
	v_bfe_u32 v33, v34, 16, 1
	v_add3_u32 v33, v34, v33, s19
                                        ; implicit-def: $vgpr34
; %bb.654:                              ;   in Loop: Header=BB340_243 Depth=1
	s_andn2_saveexec_b64 s[0:1], s[0:1]
; %bb.655:                              ;   in Loop: Header=BB340_243 Depth=1
	v_or_b32_e32 v33, 0x10000, v34
	v_cmp_eq_u32_sdwa vcc, v34, v17 src0_sel:WORD_0 src1_sel:DWORD
	s_nop 1
	v_cndmask_b32_e32 v33, v33, v34, vcc
; %bb.656:                              ;   in Loop: Header=BB340_243 Depth=1
	s_or_b64 exec, exec, s[0:1]
	v_lshlrev_b32_e32 v34, 16, v82
	v_mul_f32_e32 v35, v44, v34
	v_and_b32_e32 v34, 0x7f800000, v35
	v_cmp_ne_u32_e32 vcc, s18, v34
                                        ; implicit-def: $vgpr34
	s_and_saveexec_b64 s[0:1], vcc
	s_xor_b64 s[0:1], exec, s[0:1]
; %bb.657:                              ;   in Loop: Header=BB340_243 Depth=1
	v_bfe_u32 v34, v35, 16, 1
	v_add3_u32 v34, v35, v34, s19
                                        ; implicit-def: $vgpr35
; %bb.658:                              ;   in Loop: Header=BB340_243 Depth=1
	s_andn2_saveexec_b64 s[0:1], s[0:1]
; %bb.659:                              ;   in Loop: Header=BB340_243 Depth=1
	v_or_b32_e32 v34, 0x10000, v35
	v_cmp_eq_u32_sdwa vcc, v35, v17 src0_sel:WORD_0 src1_sel:DWORD
	s_nop 1
	v_cndmask_b32_e32 v34, v34, v35, vcc
; %bb.660:                              ;   in Loop: Header=BB340_243 Depth=1
	s_or_b64 exec, exec, s[0:1]
	v_lshlrev_b32_e32 v35, 16, v80
	v_mul_f32_e32 v36, v45, v35
	v_and_b32_e32 v35, 0x7f800000, v36
	v_cmp_ne_u32_e32 vcc, s18, v35
                                        ; implicit-def: $vgpr35
	s_and_saveexec_b64 s[0:1], vcc
	s_xor_b64 s[0:1], exec, s[0:1]
; %bb.661:                              ;   in Loop: Header=BB340_243 Depth=1
	v_bfe_u32 v35, v36, 16, 1
	v_add3_u32 v35, v36, v35, s19
                                        ; implicit-def: $vgpr36
; %bb.662:                              ;   in Loop: Header=BB340_243 Depth=1
	s_andn2_saveexec_b64 s[0:1], s[0:1]
; %bb.663:                              ;   in Loop: Header=BB340_243 Depth=1
	v_or_b32_e32 v35, 0x10000, v36
	v_cmp_eq_u32_sdwa vcc, v36, v17 src0_sel:WORD_0 src1_sel:DWORD
	s_nop 1
	v_cndmask_b32_e32 v35, v35, v36, vcc
; %bb.664:                              ;   in Loop: Header=BB340_243 Depth=1
	s_or_b64 exec, exec, s[0:1]
	v_lshlrev_b32_e32 v36, 16, v79
	v_mul_f32_e32 v37, v46, v36
	v_and_b32_e32 v36, 0x7f800000, v37
	v_cmp_ne_u32_e32 vcc, s18, v36
                                        ; implicit-def: $vgpr36
	s_and_saveexec_b64 s[0:1], vcc
	s_xor_b64 s[0:1], exec, s[0:1]
; %bb.665:                              ;   in Loop: Header=BB340_243 Depth=1
	v_bfe_u32 v36, v37, 16, 1
	v_add3_u32 v36, v37, v36, s19
                                        ; implicit-def: $vgpr37
; %bb.666:                              ;   in Loop: Header=BB340_243 Depth=1
	s_andn2_saveexec_b64 s[0:1], s[0:1]
; %bb.667:                              ;   in Loop: Header=BB340_243 Depth=1
	v_or_b32_e32 v36, 0x10000, v37
	v_cmp_eq_u32_sdwa vcc, v37, v17 src0_sel:WORD_0 src1_sel:DWORD
	s_nop 1
	v_cndmask_b32_e32 v36, v36, v37, vcc
; %bb.668:                              ;   in Loop: Header=BB340_243 Depth=1
	s_or_b64 exec, exec, s[0:1]
	v_lshlrev_b32_e32 v37, 16, v78
	v_mul_f32_e32 v38, v47, v37
	v_and_b32_e32 v37, 0x7f800000, v38
	v_cmp_ne_u32_e32 vcc, s18, v37
                                        ; implicit-def: $vgpr37
	s_and_saveexec_b64 s[0:1], vcc
	s_xor_b64 s[0:1], exec, s[0:1]
; %bb.669:                              ;   in Loop: Header=BB340_243 Depth=1
	v_bfe_u32 v37, v38, 16, 1
	v_add3_u32 v37, v38, v37, s19
                                        ; implicit-def: $vgpr38
; %bb.670:                              ;   in Loop: Header=BB340_243 Depth=1
	s_andn2_saveexec_b64 s[0:1], s[0:1]
	s_cbranch_execz .LBB340_241
; %bb.671:                              ;   in Loop: Header=BB340_243 Depth=1
	v_or_b32_e32 v37, 0x10000, v38
	v_cmp_eq_u32_sdwa vcc, v38, v17 src0_sel:WORD_0 src1_sel:DWORD
	s_nop 1
	v_cndmask_b32_e32 v37, v37, v38, vcc
	s_branch .LBB340_241
.LBB340_672:
	s_or_b64 exec, exec, s[6:7]
.LBB340_673:
	s_or_b64 exec, exec, s[2:3]
	ds_bpermute_b32 v2, v23, v14
	ds_bpermute_b32 v3, v23, v15
	;; [unrolled: 1-line block ×6, first 2 shown]
	v_and_b32_e32 v1, 0x3c1, v0
	s_waitcnt lgkmcnt(4)
	v_pk_add_f32 v[6:7], v[14:15], v[2:3]
	s_waitcnt lgkmcnt(2)
	v_pk_add_f32 v[2:3], v[12:13], v[4:5]
	v_cmp_eq_u32_e32 vcc, 64, v1
	s_waitcnt lgkmcnt(0)
	v_pk_add_f32 v[4:5], v[10:11], v[8:9]
	s_barrier
	s_and_saveexec_b64 s[0:1], vcc
	s_cbranch_execz .LBB340_675
; %bb.674:
	v_mov_b32_e32 v1, 0x190
	v_lshl_add_u32 v1, v22, 1, v1
	ds_write2_b32 v1, v6, v7 offset1:32
	ds_write2_b32 v1, v2, v3 offset0:64 offset1:96
	ds_write2_b32 v1, v4, v5 offset0:128 offset1:160
.LBB340_675:
	s_or_b64 exec, exec, s[0:1]
	v_cmp_gt_u32_e32 vcc, 64, v0
	s_waitcnt lgkmcnt(0)
	s_barrier
	s_and_saveexec_b64 s[2:3], vcc
	s_cbranch_execz .LBB340_684
; %bb.676:
	v_cmp_eq_u32_e64 s[0:1], 0, v24
	v_lshrrev_b32_e32 v1, 1, v0
	s_and_saveexec_b64 s[6:7], s[0:1]
	s_cbranch_execnz .LBB340_712
; %bb.677:
	s_or_b64 exec, exec, s[6:7]
	s_and_saveexec_b64 s[6:7], s[0:1]
	s_cbranch_execnz .LBB340_713
.LBB340_678:
	s_or_b64 exec, exec, s[6:7]
	s_and_saveexec_b64 s[6:7], s[0:1]
	s_cbranch_execnz .LBB340_714
.LBB340_679:
	s_or_b64 exec, exec, s[6:7]
	s_and_saveexec_b64 s[6:7], s[0:1]
	s_cbranch_execnz .LBB340_715
.LBB340_680:
	s_or_b64 exec, exec, s[6:7]
	s_and_saveexec_b64 s[6:7], s[0:1]
	s_cbranch_execnz .LBB340_716
.LBB340_681:
	s_or_b64 exec, exec, s[6:7]
	s_and_saveexec_b64 s[6:7], s[0:1]
	s_cbranch_execz .LBB340_683
.LBB340_682:
	v_mov_b32_e32 v8, 0x190
	v_lshl_add_u32 v1, v1, 2, v8
	ds_read_b32 v1, v1 offset:640
	s_waitcnt lgkmcnt(0)
	v_add_f32_e32 v5, v5, v1
.LBB340_683:
	s_or_b64 exec, exec, s[6:7]
.LBB340_684:
	s_or_b64 exec, exec, s[2:3]
	s_barrier
	s_and_saveexec_b64 s[0:1], vcc
	s_cbranch_execz .LBB340_711
; %bb.685:
	v_cmp_eq_u32_e32 vcc, 0, v24
	s_and_b64 exec, exec, vcc
	s_cbranch_execz .LBB340_711
; %bb.686:
	s_mov_b32 s0, 0x7f800000
	v_and_b32_e32 v1, 0x7f800000, v6
	v_cmp_ne_u32_e32 vcc, s0, v1
                                        ; implicit-def: $vgpr8
	s_and_saveexec_b64 s[0:1], vcc
	s_xor_b64 s[0:1], exec, s[0:1]
; %bb.687:
	v_bfe_u32 v1, v6, 16, 1
	s_movk_i32 s2, 0x7fff
	v_add3_u32 v8, v6, v1, s2
; %bb.688:
	s_andn2_saveexec_b64 s[0:1], s[0:1]
; %bb.689:
	v_mov_b32_e32 v1, 0
	v_or_b32_e32 v8, 0x10000, v6
	v_cmp_eq_u32_sdwa vcc, v6, v1 src0_sel:WORD_0 src1_sel:DWORD
	s_nop 1
	v_cndmask_b32_e32 v8, v8, v6, vcc
; %bb.690:
	s_or_b64 exec, exec, s[0:1]
	s_mul_i32 s0, s16, s28
	s_mul_i32 s0, s0, s29
	s_mulk_i32 s0, 0xc0
	s_ashr_i32 s1, s0, 31
	s_lshl_b64 s[0:1], s[0:1], 1
	s_add_u32 s2, s34, s0
	s_mul_i32 s0, s16, s30
	s_addc_u32 s3, s35, s1
	s_ashr_i32 s1, s0, 31
	s_lshl_b64 s[0:1], s[0:1], 1
	s_add_u32 s2, s2, s0
	s_mul_i32 s0, s4, 0xc0
	s_addc_u32 s3, s3, s1
	s_ashr_i32 s1, s0, 31
	s_lshl_b64 s[0:1], s[0:1], 1
	s_add_u32 s0, s2, s0
	s_mov_b32 s2, 0x7f800000
	v_and_b32_e32 v6, 0x7f800000, v7
	s_addc_u32 s1, s3, s1
	v_and_b32_e32 v0, 0x3fe, v0
	v_mov_b32_e32 v1, 0
	v_cmp_ne_u32_e32 vcc, s2, v6
	global_store_short_d16_hi v0, v8, s[0:1]
                                        ; implicit-def: $vgpr6
	s_and_saveexec_b64 s[2:3], vcc
	s_xor_b64 s[2:3], exec, s[2:3]
; %bb.691:
	v_bfe_u32 v6, v7, 16, 1
	s_movk_i32 s4, 0x7fff
	v_add3_u32 v6, v7, v6, s4
; %bb.692:
	s_or_saveexec_b64 s[2:3], s[2:3]
	v_lshl_add_u64 v[8:9], s[0:1], 0, v[0:1]
	s_xor_b64 exec, exec, s[2:3]
; %bb.693:
	v_mov_b32_e32 v0, 0
	v_or_b32_e32 v1, 0x10000, v7
	v_cmp_eq_u32_sdwa vcc, v7, v0 src0_sel:WORD_0 src1_sel:DWORD
	s_nop 1
	v_cndmask_b32_e32 v6, v1, v7, vcc
; %bb.694:
	s_or_b64 exec, exec, s[2:3]
	s_mov_b32 s0, 0x7f800000
	v_and_b32_e32 v0, 0x7f800000, v2
	v_cmp_ne_u32_e32 vcc, s0, v0
	global_store_short_d16_hi v[8:9], v6, off offset:64
                                        ; implicit-def: $vgpr0
	s_and_saveexec_b64 s[0:1], vcc
	s_xor_b64 s[0:1], exec, s[0:1]
; %bb.695:
	v_bfe_u32 v0, v2, 16, 1
	s_movk_i32 s2, 0x7fff
	v_add3_u32 v0, v2, v0, s2
; %bb.696:
	s_andn2_saveexec_b64 s[0:1], s[0:1]
; %bb.697:
	v_mov_b32_e32 v0, 0
	v_or_b32_e32 v1, 0x10000, v2
	v_cmp_eq_u32_sdwa vcc, v2, v0 src0_sel:WORD_0 src1_sel:DWORD
	s_nop 1
	v_cndmask_b32_e32 v0, v1, v2, vcc
; %bb.698:
	s_or_b64 exec, exec, s[0:1]
	global_store_short_d16_hi v[8:9], v0, off offset:128
	s_mov_b32 s0, 0x7f800000
	v_and_b32_e32 v0, 0x7f800000, v3
	v_cmp_ne_u32_e32 vcc, s0, v0
                                        ; implicit-def: $vgpr0
	s_and_saveexec_b64 s[0:1], vcc
	s_xor_b64 s[0:1], exec, s[0:1]
; %bb.699:
	v_bfe_u32 v0, v3, 16, 1
	s_movk_i32 s2, 0x7fff
	v_add3_u32 v0, v3, v0, s2
; %bb.700:
	s_andn2_saveexec_b64 s[0:1], s[0:1]
; %bb.701:
	v_mov_b32_e32 v0, 0
	v_or_b32_e32 v1, 0x10000, v3
	v_cmp_eq_u32_sdwa vcc, v3, v0 src0_sel:WORD_0 src1_sel:DWORD
	s_nop 1
	v_cndmask_b32_e32 v0, v1, v3, vcc
; %bb.702:
	s_or_b64 exec, exec, s[0:1]
	global_store_short_d16_hi v[8:9], v0, off offset:192
	s_mov_b32 s0, 0x7f800000
	v_and_b32_e32 v0, 0x7f800000, v4
	v_cmp_ne_u32_e32 vcc, s0, v0
                                        ; implicit-def: $vgpr0
	s_and_saveexec_b64 s[0:1], vcc
	s_xor_b64 s[0:1], exec, s[0:1]
; %bb.703:
	v_bfe_u32 v0, v4, 16, 1
	s_movk_i32 s2, 0x7fff
	v_add3_u32 v0, v4, v0, s2
; %bb.704:
	s_andn2_saveexec_b64 s[0:1], s[0:1]
; %bb.705:
	v_mov_b32_e32 v0, 0
	v_or_b32_e32 v1, 0x10000, v4
	v_cmp_eq_u32_sdwa vcc, v4, v0 src0_sel:WORD_0 src1_sel:DWORD
	s_nop 1
	v_cndmask_b32_e32 v0, v1, v4, vcc
; %bb.706:
	s_or_b64 exec, exec, s[0:1]
	global_store_short_d16_hi v[8:9], v0, off offset:256
	s_mov_b32 s0, 0x7f800000
	v_and_b32_e32 v0, 0x7f800000, v5
	v_cmp_ne_u32_e32 vcc, s0, v0
                                        ; implicit-def: $vgpr6
	s_and_saveexec_b64 s[0:1], vcc
	s_xor_b64 s[0:1], exec, s[0:1]
; %bb.707:
	v_bfe_u32 v0, v5, 16, 1
	s_movk_i32 s2, 0x7fff
	v_add3_u32 v6, v5, v0, s2
                                        ; implicit-def: $vgpr0_vgpr1_vgpr2_vgpr3_vgpr4_vgpr5
; %bb.708:
	s_andn2_saveexec_b64 s[0:1], s[0:1]
; %bb.709:
	v_mov_b32_e32 v0, 0
	v_or_b32_e32 v1, 0x10000, v5
	v_cmp_eq_u32_sdwa vcc, v5, v0 src0_sel:WORD_0 src1_sel:DWORD
	s_nop 1
	v_cndmask_b32_e32 v6, v1, v5, vcc
; %bb.710:
	s_or_b64 exec, exec, s[0:1]
	global_store_short_d16_hi v[8:9], v6, off offset:320
.LBB340_711:
	s_endpgm
.LBB340_712:
	v_mov_b32_e32 v8, 0x190
	v_lshl_add_u32 v8, v1, 2, v8
	ds_read_b32 v8, v8
	s_waitcnt lgkmcnt(0)
	v_add_f32_e32 v6, v6, v8
	s_or_b64 exec, exec, s[6:7]
	s_and_saveexec_b64 s[6:7], s[0:1]
	s_cbranch_execz .LBB340_678
.LBB340_713:
	v_mov_b32_e32 v8, 0x190
	v_lshl_add_u32 v8, v1, 2, v8
	ds_read_b32 v8, v8 offset:128
	s_waitcnt lgkmcnt(0)
	v_add_f32_e32 v7, v7, v8
	s_or_b64 exec, exec, s[6:7]
	s_and_saveexec_b64 s[6:7], s[0:1]
	s_cbranch_execz .LBB340_679
.LBB340_714:
	v_mov_b32_e32 v8, 0x190
	v_lshl_add_u32 v8, v1, 2, v8
	ds_read_b32 v8, v8 offset:256
	s_waitcnt lgkmcnt(0)
	v_add_f32_e32 v2, v2, v8
	s_or_b64 exec, exec, s[6:7]
	s_and_saveexec_b64 s[6:7], s[0:1]
	s_cbranch_execz .LBB340_680
.LBB340_715:
	v_mov_b32_e32 v8, 0x190
	v_lshl_add_u32 v8, v1, 2, v8
	ds_read_b32 v8, v8 offset:384
	s_waitcnt lgkmcnt(0)
	v_add_f32_e32 v3, v3, v8
	s_or_b64 exec, exec, s[6:7]
	s_and_saveexec_b64 s[6:7], s[0:1]
	s_cbranch_execz .LBB340_681
.LBB340_716:
	v_mov_b32_e32 v8, 0x190
	v_lshl_add_u32 v8, v1, 2, v8
	ds_read_b32 v8, v8 offset:512
	s_waitcnt lgkmcnt(0)
	v_add_f32_e32 v4, v4, v8
	s_or_b64 exec, exec, s[6:7]
	s_and_saveexec_b64 s[6:7], s[0:1]
	s_cbranch_execnz .LBB340_682
	s_branch .LBB340_683
	.section	.rodata,"a",@progbits
	.p2align	6, 0x0
	.amdhsa_kernel _ZN4vllm25paged_attention_v2_kernelI14__hip_bfloat16hLi192ELi16ELi128ELNS_18Fp8KVCacheDataTypeE1ELb1ELi512EEEvPfS3_PT_PKS4_PKT0_SA_ifPKiSC_iPKfiiiSE_SE_iiiii
		.amdhsa_group_segment_fixed_size 400
		.amdhsa_private_segment_fixed_size 0
		.amdhsa_kernarg_size 400
		.amdhsa_user_sgpr_count 2
		.amdhsa_user_sgpr_dispatch_ptr 0
		.amdhsa_user_sgpr_queue_ptr 0
		.amdhsa_user_sgpr_kernarg_segment_ptr 1
		.amdhsa_user_sgpr_dispatch_id 0
		.amdhsa_user_sgpr_kernarg_preload_length 0
		.amdhsa_user_sgpr_kernarg_preload_offset 0
		.amdhsa_user_sgpr_private_segment_size 0
		.amdhsa_uses_dynamic_stack 0
		.amdhsa_enable_private_segment 0
		.amdhsa_system_sgpr_workgroup_id_x 1
		.amdhsa_system_sgpr_workgroup_id_y 1
		.amdhsa_system_sgpr_workgroup_id_z 1
		.amdhsa_system_sgpr_workgroup_info 0
		.amdhsa_system_vgpr_workitem_id 0
		.amdhsa_next_free_vgpr 118
		.amdhsa_next_free_sgpr 60
		.amdhsa_accum_offset 120
		.amdhsa_reserve_vcc 1
		.amdhsa_float_round_mode_32 0
		.amdhsa_float_round_mode_16_64 0
		.amdhsa_float_denorm_mode_32 3
		.amdhsa_float_denorm_mode_16_64 3
		.amdhsa_dx10_clamp 1
		.amdhsa_ieee_mode 1
		.amdhsa_fp16_overflow 0
		.amdhsa_tg_split 0
		.amdhsa_exception_fp_ieee_invalid_op 0
		.amdhsa_exception_fp_denorm_src 0
		.amdhsa_exception_fp_ieee_div_zero 0
		.amdhsa_exception_fp_ieee_overflow 0
		.amdhsa_exception_fp_ieee_underflow 0
		.amdhsa_exception_fp_ieee_inexact 0
		.amdhsa_exception_int_div_zero 0
	.end_amdhsa_kernel
	.section	.text._ZN4vllm25paged_attention_v2_kernelI14__hip_bfloat16hLi192ELi16ELi128ELNS_18Fp8KVCacheDataTypeE1ELb1ELi512EEEvPfS3_PT_PKS4_PKT0_SA_ifPKiSC_iPKfiiiSE_SE_iiiii,"axG",@progbits,_ZN4vllm25paged_attention_v2_kernelI14__hip_bfloat16hLi192ELi16ELi128ELNS_18Fp8KVCacheDataTypeE1ELb1ELi512EEEvPfS3_PT_PKS4_PKT0_SA_ifPKiSC_iPKfiiiSE_SE_iiiii,comdat
.Lfunc_end340:
	.size	_ZN4vllm25paged_attention_v2_kernelI14__hip_bfloat16hLi192ELi16ELi128ELNS_18Fp8KVCacheDataTypeE1ELb1ELi512EEEvPfS3_PT_PKS4_PKT0_SA_ifPKiSC_iPKfiiiSE_SE_iiiii, .Lfunc_end340-_ZN4vllm25paged_attention_v2_kernelI14__hip_bfloat16hLi192ELi16ELi128ELNS_18Fp8KVCacheDataTypeE1ELb1ELi512EEEvPfS3_PT_PKS4_PKT0_SA_ifPKiSC_iPKfiiiSE_SE_iiiii
                                        ; -- End function
	.section	.AMDGPU.csdata,"",@progbits
; Kernel info:
; codeLenInByte = 21796
; NumSgprs: 66
; NumVgprs: 118
; NumAgprs: 0
; TotalNumVgprs: 118
; ScratchSize: 0
; MemoryBound: 0
; FloatMode: 240
; IeeeMode: 1
; LDSByteSize: 400 bytes/workgroup (compile time only)
; SGPRBlocks: 8
; VGPRBlocks: 14
; NumSGPRsForWavesPerEU: 66
; NumVGPRsForWavesPerEU: 118
; AccumOffset: 120
; Occupancy: 4
; WaveLimiterHint : 1
; COMPUTE_PGM_RSRC2:SCRATCH_EN: 0
; COMPUTE_PGM_RSRC2:USER_SGPR: 2
; COMPUTE_PGM_RSRC2:TRAP_HANDLER: 0
; COMPUTE_PGM_RSRC2:TGID_X_EN: 1
; COMPUTE_PGM_RSRC2:TGID_Y_EN: 1
; COMPUTE_PGM_RSRC2:TGID_Z_EN: 1
; COMPUTE_PGM_RSRC2:TIDIG_COMP_CNT: 0
; COMPUTE_PGM_RSRC3_GFX90A:ACCUM_OFFSET: 29
; COMPUTE_PGM_RSRC3_GFX90A:TG_SPLIT: 0
	.text
	.p2align	2                               ; -- Begin function _ZN4vllm22paged_attention_kernelI14__hip_bfloat16hLi256ELi16ELi128ELNS_18Fp8KVCacheDataTypeE1ELb1ELi512EEEvPfS3_PT_PKS4_PKT0_SA_ifPKiSC_iPKfiiiSE_SE_iiiii
	.type	_ZN4vllm22paged_attention_kernelI14__hip_bfloat16hLi256ELi16ELi128ELNS_18Fp8KVCacheDataTypeE1ELb1ELi512EEEvPfS3_PT_PKS4_PKT0_SA_ifPKiSC_iPKfiiiSE_SE_iiiii,@function
_ZN4vllm22paged_attention_kernelI14__hip_bfloat16hLi256ELi16ELi128ELNS_18Fp8KVCacheDataTypeE1ELb1ELi512EEEvPfS3_PT_PKS4_PKT0_SA_ifPKiSC_iPKfiiiSE_SE_iiiii: ; @_ZN4vllm22paged_attention_kernelI14__hip_bfloat16hLi256ELi16ELi128ELNS_18Fp8KVCacheDataTypeE1ELb1ELi512EEEvPfS3_PT_PKS4_PKT0_SA_ifPKiSC_iPKfiiiSE_SE_iiiii
; %bb.0:
	s_waitcnt vmcnt(0) expcnt(0) lgkmcnt(0)
	s_or_saveexec_b64 s[0:1], -1
	scratch_store_dword off, v63, s32 offset:416 ; 4-byte Folded Spill
	s_mov_b64 exec, s[0:1]
	scratch_store_dword off, v40, s32 offset:192 ; 4-byte Folded Spill
	scratch_store_dword off, v41, s32 offset:188 ; 4-byte Folded Spill
	;; [unrolled: 1-line block ×47, first 2 shown]
	v_writelane_b32 v63, s34, 0
	v_writelane_b32 v63, s35, 1
	;; [unrolled: 1-line block ×3, first 2 shown]
	s_nop 1
	v_writelane_b32 v63, s31, 3
	s_mov_b32 s16, s13
	s_ashr_i32 s17, s13, 31
	scratch_store_dwordx2 off, v[26:27], s32 offset:292 ; 8-byte Folded Spill
	scratch_store_dwordx2 off, v[24:25], s32 offset:300 ; 8-byte Folded Spill
	;; [unrolled: 1-line block ×3, first 2 shown]
	scratch_store_dword off, v13, s32 offset:328 ; 4-byte Folded Spill
	scratch_store_dwordx2 off, v[4:5], s32 offset:340 ; 8-byte Folded Spill
	v_mov_b32_e32 v35, v3
	v_mov_b32_e32 v34, v2
	v_lshl_add_u64 v[2:3], s[16:17], 2, v[16:17]
	v_mov_b32_e32 v25, v1
	v_mov_b32_e32 v24, v0
	scratch_load_dword v0, off, s32 offset:4
	flat_load_dword v1, v[2:3]
	s_nop 0
	scratch_load_dword v2, off, s32
	s_mov_b32 s20, s15
	s_lshl_b32 s15, s14, 9
	v_mov_b32_e32 v33, v20
	v_mov_b32_e32 v32, v19
	;; [unrolled: 1-line block ×6, first 2 shown]
	s_waitcnt vmcnt(0) lgkmcnt(0)
	v_cmp_lt_i32_e32 vcc, s15, v1
	scratch_store_dword off, v1, s32 offset:196 ; 4-byte Folded Spill
	s_and_saveexec_b64 s[10:11], vcc
	s_cbranch_execz .LBB341_916
; %bb.1:
	v_sub_u32_e32 v1, 0, v12
	v_max_i32_e32 v1, v12, v1
	v_cvt_f32_u32_e32 v3, v1
	s_load_dword s0, s[8:9], 0x10
	s_load_dword s2, s[8:9], 0x0
	v_sub_u32_e32 v5, 0, v1
	v_rcp_iflag_f32_e32 v3, v3
	s_waitcnt lgkmcnt(0)
	s_lshr_b32 s0, s0, 16
	s_cmp_lg_u32 s0, 0
	s_cselect_b64 s[0:1], -1, 0
	v_mul_f32_e32 v3, 0x4f7ffffe, v3
	v_cvt_u32_f32_e32 v3, v3
	s_cmp_lg_u64 s[0:1], 0
	s_addc_u32 s17, s2, 0
	s_abs_i32 s0, s17
	v_mul_lo_u32 v5, v5, v3
	v_mul_hi_u32 v5, v3, v5
	v_add_u32_e32 v3, v3, v5
	v_mul_hi_u32 v3, s0, v3
	v_mul_lo_u32 v5, v3, v1
	v_sub_u32_e32 v5, s0, v5
	v_add_u32_e32 v10, 1, v3
	v_cmp_ge_u32_e32 vcc, v5, v1
	v_xor_b32_e32 v4, s17, v12
	v_ashrrev_i32_e32 v4, 31, v4
	v_cndmask_b32_e32 v3, v3, v10, vcc
	v_sub_u32_e32 v10, v5, v1
	v_cndmask_b32_e32 v5, v5, v10, vcc
	v_add_u32_e32 v10, 1, v3
	v_cmp_ge_u32_e32 vcc, v5, v1
	s_abs_i32 s2, s12
	s_nop 0
	v_cndmask_b32_e32 v1, v3, v10, vcc
	v_xor_b32_e32 v1, v1, v4
	v_sub_u32_e32 v1, v1, v4
	v_sub_u32_e32 v3, 0, v1
	v_max_i32_e32 v3, v1, v3
	v_cvt_f32_u32_e32 v4, v3
	v_sub_u32_e32 v5, 0, v3
	v_cmp_ne_u64_e32 vcc, 0, v[32:33]
	v_rcp_iflag_f32_e32 v4, v4
	s_nop 0
	v_mul_f32_e32 v4, 0x4f7ffffe, v4
	v_cvt_u32_f32_e32 v4, v4
	v_mul_lo_u32 v5, v5, v4
	v_mul_hi_u32 v5, v4, v5
	v_add_u32_e32 v4, v4, v5
	v_mad_u64_u32 v[16:17], s[0:1], s2, v4, 0
	v_mov_b32_e32 v4, 0
	scratch_store_dword off, v4, s32 offset:324 ; 4-byte Folded Spill
	s_and_saveexec_b64 s[0:1], vcc
	s_cbranch_execz .LBB341_3
; %bb.2:
	s_ashr_i32 s13, s12, 31
	v_lshl_add_u64 v[4:5], s[12:13], 2, v[32:33]
	flat_load_dword v4, v[4:5]
	s_waitcnt vmcnt(0) lgkmcnt(0)
	scratch_store_dword off, v4, s32 offset:324 ; 4-byte Folded Spill
.LBB341_3:
	s_or_b64 exec, exec, s[0:1]
	v_and_b32_e32 v5, 0x3ff, v31
	s_movk_i32 s0, 0x80
	s_ashr_i32 s3, s12, 31
	v_ashrrev_i32_e32 v4, 31, v1
	v_and_b32_e32 v1, 3, v5
	s_lshl_b32 s18, s12, 8
	v_cmp_gt_u32_e32 vcc, s0, v5
	scratch_store_dword off, v5, s32 offset:288 ; 4-byte Folded Spill
	s_and_saveexec_b64 s[0:1], vcc
	s_cbranch_execz .LBB341_5
; %bb.4:
	scratch_load_dword v13, off, s32 offset:288 ; 4-byte Folded Reload
	v_mul_lo_u32 v10, s16, v21
	v_ashrrev_i32_e32 v11, 31, v10
	v_lshl_add_u64 v[6:7], v[10:11], 1, v[6:7]
	s_ashr_i32 s19, s18, 31
	v_lshl_add_u64 v[6:7], s[18:19], 1, v[6:7]
	v_mov_b32_e32 v11, 0
	s_waitcnt vmcnt(0)
	v_lshlrev_b32_e32 v10, 2, v13
	v_lshl_add_u64 v[6:7], v[6:7], 0, v[10:11]
	flat_load_dword v5, v[6:7]
	v_and_b32_e32 v6, 0x3fc, v13
	v_lshl_add_u32 v6, v1, 7, v6
	s_waitcnt vmcnt(0) lgkmcnt(0)
	ds_write_b32 v6, v5
.LBB341_5:
	s_or_b64 exec, exec, s[0:1]
	v_mul_lo_u32 v5, v17, v3
	v_sub_u32_e32 v5, s2, v5
	v_add_u32_e32 v6, 1, v17
	v_cmp_ge_u32_e32 vcc, v5, v3
	v_sub_u32_e32 v7, v5, v3
	v_xor_b32_e32 v4, s3, v4
	v_cndmask_b32_e32 v6, v17, v6, vcc
	v_cndmask_b32_e32 v5, v5, v7, vcc
	v_add_u32_e32 v7, 1, v6
	v_cmp_ge_u32_e32 vcc, v5, v3
	s_waitcnt lgkmcnt(0)
	s_barrier
	v_cndmask_b32_e32 v3, v6, v7, vcc
	v_xor_b32_e32 v3, v3, v4
	v_sub_u32_e32 v6, v3, v4
	scratch_load_dword v4, off, s32 offset:196 ; 4-byte Folded Reload
	v_sub_u32_e32 v5, 0, v2
	v_max_i32_e32 v7, v2, v5
	v_cvt_f32_u32_e32 v5, v7
	scratch_store_dword off, v7, s32 offset:200 ; 4-byte Folded Spill
	v_sub_u32_e32 v7, 0, v7
	v_cmp_gt_i32_e32 vcc, 0, v0
	v_rcp_iflag_f32_e32 v3, v5
                                        ; implicit-def: $vgpr10
	scratch_store_dwordx2 off, v[10:11], s32 offset:212 ; 8-byte Folded Spill
	v_mul_f32_e32 v3, 0x4f7ffffe, v3
	v_cvt_u32_f32_e32 v5, v3
	v_mul_lo_u32 v7, v7, v5
	v_mul_hi_u32 v7, v5, v7
	v_add_u32_e32 v5, v5, v7
	scratch_store_dword off, v5, s32 offset:220 ; 4-byte Folded Spill
	s_waitcnt vmcnt(3)
	v_add_u32_e32 v4, -1, v4
	v_sub_u32_e32 v3, 0, v4
	v_max_i32_e32 v3, v4, v3
	v_mad_u64_u32 v[16:17], s[0:1], v3, v5, 0
	s_and_saveexec_b64 s[0:1], vcc
	s_xor_b64 s[0:1], exec, s[0:1]
	s_cbranch_execz .LBB341_7
; %bb.6:
	v_mad_u64_u32 v[10:11], s[2:3], v28, v12, v[6:7]
	v_mul_lo_u32 v0, v10, v0
	v_sub_u32_e32 v0, 1, v0
	scratch_store_dwordx2 off, v[0:1], s32 offset:212 ; 8-byte Folded Spill
                                        ; implicit-def: $vgpr28
                                        ; implicit-def: $vgpr0
.LBB341_7:
	s_or_saveexec_b64 s[0:1], s[0:1]
	v_ashrrev_i32_e32 v4, 31, v4
	v_ashrrev_i32_e32 v2, 31, v2
	scratch_store_dword off, v2, s32 offset:204 ; 4-byte Folded Spill
	s_xor_b64 exec, exec, s[0:1]
	s_cbranch_execz .LBB341_9
; %bb.8:
	v_mul_lo_u32 v2, s17, v28
	v_add_u32_e32 v2, s12, v2
	v_mad_u64_u32 v[10:11], s[2:3], v2, v0, 1
	scratch_store_dwordx2 off, v[10:11], s32 offset:212 ; 8-byte Folded Spill
.LBB341_9:
	s_or_b64 exec, exec, s[0:1]
	s_load_dword s28, s[8:9], 0x14
	s_load_dword s13, s[8:9], 0x8
	scratch_load_dword v0, off, s32 offset:204 ; 4-byte Folded Reload
	scratch_load_dword v5, off, s32 offset:200 ; 4-byte Folded Reload
	s_lshl_b32 s19, s14, 5
	s_add_i32 s0, s19, 32
	v_mul_lo_u32 v32, s16, v18
	v_mul_lo_u32 v38, v6, v23
	v_ashrrev_i32_e32 v33, 31, v32
	v_ashrrev_i32_e32 v39, 31, v38
	v_sub_u32_e32 v23, 0, v30
	s_waitcnt vmcnt(1)
	v_xor_b32_e32 v0, v4, v0
	s_waitcnt vmcnt(0)
	v_mul_lo_u32 v2, v17, v5
	v_sub_u32_e32 v2, v3, v2
	v_add_u32_e32 v3, 1, v17
	v_cmp_ge_u32_e32 vcc, v2, v5
	v_sub_u32_e32 v4, v2, v5
	s_nop 0
	v_cndmask_b32_e32 v3, v17, v3, vcc
	v_cndmask_b32_e32 v2, v2, v4, vcc
	v_add_u32_e32 v4, 1, v3
	v_cmp_ge_u32_e32 vcc, v2, v5
	v_mov_b32_e32 v5, 0xff7fffff
	s_nop 0
	v_cndmask_b32_e32 v2, v3, v4, vcc
	v_xor_b32_e32 v2, v2, v0
	v_sub_u32_e32 v0, v2, v0
	scratch_load_dword v2, off, s32 offset:196 ; 4-byte Folded Reload
	v_sub_u32_e32 v0, v0, v29
	scratch_store_dword off, v0, s32 offset:224 ; 4-byte Folded Spill
	s_waitcnt vmcnt(1)
	v_add_u32_e32 v2, 15, v2
	v_ashrrev_i32_e32 v3, 31, v2
	v_lshrrev_b32_e32 v3, 28, v3
	v_add_u32_e32 v2, v2, v3
	v_ashrrev_i32_e32 v28, 4, v2
	scratch_load_dword v2, off, s32 offset:288 ; 4-byte Folded Reload
	v_min_i32_e32 v3, s0, v28
	scratch_store_dword off, v3, s32 offset:208 ; 4-byte Folded Spill
	s_waitcnt vmcnt(1)
	v_lshrrev_b32_e32 v22, 6, v2
	v_or_b32_e32 v2, s19, v22
	v_cmp_lt_i32_e64 s[0:1], v2, v3
	v_ashrrev_i32_e32 v3, 31, v2
	v_accvgpr_write_b32 a13, v3
	v_lshl_add_u32 v0, v22, 4, s15
	v_accvgpr_write_b32 a12, v2
	scratch_store_dword off, v0, s32 offset:348 ; 4-byte Folded Spill
	v_mbcnt_lo_u32_b32 v0, -1, 0
	s_and_saveexec_b64 s[8:9], s[0:1]
	s_cbranch_execz .LBB341_275
; %bb.10:
	scratch_store_dword off, v28, s32 offset:352 ; 4-byte Folded Spill
	scratch_store_dwordx2 off, v[34:35], s32 offset:380 ; 8-byte Folded Spill
	scratch_store_dwordx2 off, v[24:25], s32 offset:388 ; 8-byte Folded Spill
	;; [unrolled: 1-line block ×3, first 2 shown]
	v_mov_b32_e32 v4, v0
	scratch_load_dword v0, off, s32 offset:288 ; 4-byte Folded Reload
	v_lshl_add_u64 v[2:3], v[8:9], 0, v[38:39]
	v_mov_b32_e32 v37, 0
	scratch_store_dwordx2 off, v[38:39], s32 offset:356 ; 8-byte Folded Spill
	v_cmp_eq_u32_e32 vcc, 0, v1
	v_lshlrev_b32_e32 v21, 7, v1
	s_ashr_i32 s21, s20, 31
	s_lshl_b64 s[4:5], s[20:21], 2
	s_getpc_b64 s[6:7]
	s_add_u32 s6, s6, llvm.amdgcn.dynlds.offset.table@rel32@lo+4
	s_addc_u32 s7, s7, llvm.amdgcn.dynlds.offset.table@rel32@hi+12
	s_add_u32 s22, s4, s6
	s_addc_u32 s23, s5, s7
	v_lshl_add_u32 v60, v22, 4, s15
	s_mov_b64 s[24:25], 0
	s_mov_b32 s29, 0xffff
	s_mov_b32 s30, 0x7f800000
	s_movk_i32 s31, 0x7fff
	s_waitcnt vmcnt(1)
	v_bfe_u32 v5, v0, 2, 4
	v_lshlrev_b32_e32 v36, 4, v5
	v_lshl_add_u64 v[2:3], v[2:3], 0, v[36:37]
	scratch_store_dwordx2 off, v[2:3], s32 offset:316 ; 8-byte Folded Spill
	scratch_store_dword off, v30, s32 offset:404 ; 4-byte Folded Spill
	scratch_store_dword off, v23, s32 offset:364 ; 4-byte Folded Spill
	v_lshlrev_b32_e32 v36, 1, v1
	scratch_load_dword v1, off, s32 offset:324 ; 4-byte Folded Reload
	v_max_i32_e32 v2, v30, v23
	v_cvt_f32_u32_e32 v0, v2
	scratch_store_dword off, v2, s32 offset:236 ; 4-byte Folded Spill
	scratch_store_dwordx2 off, v[32:33], s32 offset:368 ; 8-byte Folded Spill
	s_load_dword s21, s[22:23], 0x0
	v_rcp_iflag_f32_e32 v0, v0
	scratch_store_dwordx2 off, v[26:27], s32 offset:408 ; 8-byte Folded Spill
	scratch_store_dword off, v22, s32 offset:376 ; 4-byte Folded Spill
	scratch_store_dword off, v5, s32 offset:332 ; 4-byte Folded Spill
	v_mul_f32_e32 v0, 0x4f7ffffe, v0
	v_cvt_u32_f32_e32 v0, v0
	s_waitcnt vmcnt(5)
	v_cmp_neq_f32_e64 s[2:3], 0, v1
	v_sub_u32_e32 v1, 0, v2
	v_mul_lo_u32 v1, v1, v0
	v_mul_hi_u32 v1, v0, v1
	v_accvgpr_read_b32 v2, a12
	v_add_u32_e32 v0, v0, v1
	v_accvgpr_read_b32 v3, a13
	scratch_store_dwordx2 off, v[0:1], s32 offset:240 ; 8-byte Folded Spill
	v_lshlrev_b64 v[0:1], 2, v[2:3]
	v_lshl_add_u64 v[0:1], v[32:33], 2, v[0:1]
	v_lshl_add_u64 v[32:33], v[26:27], 0, v[0:1]
	v_lshlrev_b32_e32 v0, 2, v5
	v_lshl_or_b32 v23, v22, 6, v0
	scratch_load_dword v0, off, s32 offset:196 ; 4-byte Folded Reload
	v_mov_b32_e32 v26, v2
	s_waitcnt vmcnt(0)
	v_sub_u32_e32 v0, v5, v0
	v_add_u32_e32 v0, 1, v0
	scratch_store_dword off, v0, s32 offset:336 ; 4-byte Folded Spill
	v_mbcnt_hi_u32_b32 v0, -1, v4
	scratch_store_dword off, v0, s32 offset:312 ; 4-byte Folded Spill
	v_mov_b32_e32 v0, 0xff7fffff
	scratch_store_dword off, v0, s32 offset:308 ; 4-byte Folded Spill
	s_branch .LBB341_13
.LBB341_11:                             ;   in Loop: Header=BB341_13 Depth=1
	s_or_b64 exec, exec, s[26:27]
.LBB341_12:                             ;   in Loop: Header=BB341_13 Depth=1
	s_or_b64 exec, exec, s[6:7]
	scratch_load_dword v0, off, s32 offset:208 ; 4-byte Folded Reload
	v_add_u32_e32 v26, 2, v26
	v_lshl_add_u64 v[32:33], v[32:33], 0, 8
	v_add_u32_e32 v60, 32, v60
	v_add_u32_e32 v23, 0x80, v23
	s_waitcnt vmcnt(0)
	v_cmp_ge_i32_e64 s[4:5], v26, v0
	s_or_b64 s[24:25], s[4:5], s[24:25]
	s_andn2_b64 exec, exec, s[24:25]
	s_cbranch_execz .LBB341_274
.LBB341_13:                             ; =>This Inner Loop Header: Depth=1
	s_waitcnt lgkmcnt(0)
	scratch_load_dword v1, off, s32 offset:204 ; 4-byte Folded Reload
	scratch_load_dword v2, off, s32 offset:220 ; 4-byte Folded Reload
	;; [unrolled: 1-line block ×3, first 2 shown]
	v_ashrrev_i32_e32 v0, 31, v60
	s_waitcnt vmcnt(2)
	v_xor_b32_e32 v0, v0, v1
	v_sub_u32_e32 v1, 0, v60
	v_max_i32_e32 v1, v60, v1
	s_waitcnt vmcnt(1)
	v_mul_hi_u32 v2, v1, v2
	s_waitcnt vmcnt(0)
	v_mul_lo_u32 v3, v2, v4
	v_sub_u32_e32 v1, v1, v3
	v_add_u32_e32 v3, 1, v2
	v_cmp_ge_u32_e64 s[4:5], v1, v4
	s_nop 1
	v_cndmask_b32_e64 v2, v2, v3, s[4:5]
	v_sub_u32_e32 v3, v1, v4
	v_cndmask_b32_e64 v1, v1, v3, s[4:5]
	v_add_u32_e32 v3, 1, v2
	v_cmp_ge_u32_e64 s[4:5], v1, v4
	scratch_load_dwordx2 v[4:5], off, s32 offset:240 ; 8-byte Folded Reload
	s_nop 0
	v_cndmask_b32_e64 v1, v2, v3, s[4:5]
	scratch_load_dwordx2 v[2:3], off, s32 offset:212 ; 8-byte Folded Reload
	v_xor_b32_e32 v1, v1, v0
	v_sub_u32_e32 v0, v1, v0
	s_waitcnt vmcnt(0)
	v_add_u32_e32 v1, v0, v2
	v_sub_u32_e32 v3, 0, v1
	v_ashrrev_i32_e32 v2, 31, v1
	v_max_i32_e32 v1, v1, v3
	v_mul_hi_u32 v3, v1, v4
	scratch_load_dword v4, off, s32 offset:236 ; 4-byte Folded Reload
	s_waitcnt vmcnt(0)
	v_mul_lo_u32 v3, v3, v4
	v_sub_u32_e32 v1, v1, v3
	v_sub_u32_e32 v3, v1, v4
	v_cmp_ge_u32_e64 s[4:5], v1, v4
	s_nop 1
	v_cndmask_b32_e64 v1, v1, v3, s[4:5]
	v_sub_u32_e32 v3, v1, v4
	v_cmp_ge_u32_e64 s[4:5], v1, v4
	s_nop 1
	v_cndmask_b32_e64 v1, v1, v3, s[4:5]
	v_xor_b32_e32 v1, v1, v2
	v_sub_u32_e32 v1, v1, v2
	v_cmp_ne_u32_e64 s[4:5], 0, v1
	scratch_load_dword v1, off, s32 offset:224 ; 4-byte Folded Reload
	s_waitcnt vmcnt(0)
	v_cmp_le_i32_e64 s[6:7], v0, v1
	s_and_b64 s[4:5], s[4:5], s[6:7]
	s_and_b64 s[26:27], vcc, s[4:5]
	s_and_saveexec_b64 s[6:7], s[26:27]
	s_cbranch_execz .LBB341_15
; %bb.14:                               ;   in Loop: Header=BB341_13 Depth=1
	s_waitcnt lgkmcnt(0)
	v_add_u32_e32 v0, s21, v23
	v_mov_b32_e32 v1, 0xff7fffff
	ds_write_b32 v0, v1
.LBB341_15:                             ;   in Loop: Header=BB341_13 Depth=1
	s_or_b64 exec, exec, s[6:7]
	s_xor_b64 s[4:5], s[4:5], -1
	s_and_saveexec_b64 s[6:7], s[4:5]
	s_cbranch_execz .LBB341_12
; %bb.16:                               ;   in Loop: Header=BB341_13 Depth=1
	flat_load_dword v0, v[32:33]
	scratch_load_dwordx2 v[2:3], off, s32 offset:228 ; 8-byte Folded Reload
	scratch_load_dwordx2 v[4:5], off, s32 offset:316 ; 8-byte Folded Reload
	s_waitcnt vmcnt(0) lgkmcnt(0)
	v_mad_i64_i32 v[0:1], s[4:5], v0, v2, v[4:5]
	v_lshl_add_u64 v[58:59], v[0:1], 0, v[36:37]
	flat_load_ushort v0, v[58:59]
	scratch_load_dwordx2 v[2:3], off, s32 offset:300 ; 8-byte Folded Reload
	s_waitcnt vmcnt(0) lgkmcnt(0)
	v_and_b32_sdwa v1, s29, v0 dst_sel:DWORD dst_unused:UNUSED_PAD src0_sel:DWORD src1_sel:BYTE_0
	flat_load_dword v11, v[2:3]
	ds_read_b128 v[52:55], v21
	ds_read_b128 v[48:51], v21 offset:16
	ds_read_b128 v[6:9], v21 offset:32
	;; [unrolled: 1-line block ×4, first 2 shown]
	v_cvt_f32_fp8_sdwa v1, v1 src0_sel:BYTE_0
	s_waitcnt lgkmcnt(0)
	scratch_store_dwordx4 off, v[2:5], s32 offset:272 ; 16-byte Folded Spill
	ds_read_b128 v[2:5], v21 offset:80
	s_waitcnt lgkmcnt(0)
	scratch_store_dwordx4 off, v[2:5], s32 offset:256 ; 16-byte Folded Spill
	ds_read_b32 v2, v21 offset:96
	s_waitcnt lgkmcnt(0)
	scratch_store_dword off, v2, s32 offset:248 ; 4-byte Folded Spill
	s_waitcnt vmcnt(0)
	v_mul_f32_e32 v1, v11, v1
	v_and_b32_e32 v2, 0x7f800000, v1
	v_cmp_ne_u32_e64 s[4:5], s30, v2
                                        ; implicit-def: $vgpr2
                                        ; kill: killed $vgpr2
	s_and_saveexec_b64 s[26:27], s[4:5]
	s_xor_b64 s[4:5], exec, s[26:27]
	s_cbranch_execz .LBB341_18
; %bb.17:                               ;   in Loop: Header=BB341_13 Depth=1
	v_bfe_u32 v2, v1, 16, 1
	v_add3_u32 v1, v1, v2, s31
	scratch_store_dword off, v1, s32 offset:252 ; 4-byte Folded Spill
                                        ; implicit-def: $vgpr1
.LBB341_18:                             ;   in Loop: Header=BB341_13 Depth=1
	s_andn2_saveexec_b64 s[26:27], s[4:5]
	s_cbranch_execz .LBB341_20
; %bb.19:                               ;   in Loop: Header=BB341_13 Depth=1
	v_or_b32_e32 v2, 0x10000, v1
	v_cmp_eq_u32_sdwa s[4:5], v1, v37 src0_sel:WORD_0 src1_sel:DWORD
	s_nop 1
	v_cndmask_b32_e64 v1, v2, v1, s[4:5]
	scratch_store_dword off, v1, s32 offset:252 ; 4-byte Folded Spill
.LBB341_20:                             ;   in Loop: Header=BB341_13 Depth=1
	s_or_b64 exec, exec, s[26:27]
	v_lshrrev_b16_e32 v0, 8, v0
	v_cvt_f32_fp8_sdwa v0, v0 src0_sel:BYTE_0
                                        ; implicit-def: $agpr50
	s_nop 0
	v_mul_f32_e32 v0, v11, v0
	v_and_b32_e32 v1, 0x7f800000, v0
	v_cmp_ne_u32_e64 s[4:5], s30, v1
	s_and_saveexec_b64 s[26:27], s[4:5]
	s_xor_b64 s[4:5], exec, s[26:27]
; %bb.21:                               ;   in Loop: Header=BB341_13 Depth=1
	v_bfe_u32 v1, v0, 16, 1
	v_add3_u32 v0, v0, v1, s31
	v_accvgpr_write_b32 a50, v0
                                        ; implicit-def: $vgpr0
; %bb.22:                               ;   in Loop: Header=BB341_13 Depth=1
	s_andn2_saveexec_b64 s[26:27], s[4:5]
; %bb.23:                               ;   in Loop: Header=BB341_13 Depth=1
	v_or_b32_e32 v1, 0x10000, v0
	v_cmp_eq_u32_sdwa s[4:5], v0, v37 src0_sel:WORD_0 src1_sel:DWORD
	s_nop 1
	v_cndmask_b32_e64 v0, v1, v0, s[4:5]
	v_accvgpr_write_b32 a50, v0
; %bb.24:                               ;   in Loop: Header=BB341_13 Depth=1
	s_or_b64 exec, exec, s[26:27]
	flat_load_ushort v0, v[58:59] offset:8
                                        ; implicit-def: $vgpr34
	s_waitcnt vmcnt(0) lgkmcnt(0)
	v_and_b32_sdwa v1, s29, v0 dst_sel:DWORD dst_unused:UNUSED_PAD src0_sel:DWORD src1_sel:BYTE_0
	v_cvt_f32_fp8_sdwa v1, v1 src0_sel:BYTE_0
	s_nop 0
	v_mul_f32_e32 v1, v11, v1
	v_and_b32_e32 v2, 0x7f800000, v1
	v_cmp_ne_u32_e64 s[4:5], s30, v2
	s_and_saveexec_b64 s[26:27], s[4:5]
	s_xor_b64 s[4:5], exec, s[26:27]
; %bb.25:                               ;   in Loop: Header=BB341_13 Depth=1
	v_bfe_u32 v2, v1, 16, 1
	v_add3_u32 v34, v1, v2, s31
                                        ; implicit-def: $vgpr1
; %bb.26:                               ;   in Loop: Header=BB341_13 Depth=1
	s_andn2_saveexec_b64 s[26:27], s[4:5]
; %bb.27:                               ;   in Loop: Header=BB341_13 Depth=1
	v_or_b32_e32 v2, 0x10000, v1
	v_cmp_eq_u32_sdwa s[4:5], v1, v37 src0_sel:WORD_0 src1_sel:DWORD
	s_nop 1
	v_cndmask_b32_e64 v34, v2, v1, s[4:5]
; %bb.28:                               ;   in Loop: Header=BB341_13 Depth=1
	s_or_b64 exec, exec, s[26:27]
	v_lshrrev_b16_e32 v0, 8, v0
	v_cvt_f32_fp8_sdwa v0, v0 src0_sel:BYTE_0
                                        ; implicit-def: $agpr59
	s_nop 0
	v_mul_f32_e32 v0, v11, v0
	v_and_b32_e32 v1, 0x7f800000, v0
	v_cmp_ne_u32_e64 s[4:5], s30, v1
	s_and_saveexec_b64 s[26:27], s[4:5]
	s_xor_b64 s[4:5], exec, s[26:27]
; %bb.29:                               ;   in Loop: Header=BB341_13 Depth=1
	v_bfe_u32 v1, v0, 16, 1
	v_add3_u32 v0, v0, v1, s31
	v_accvgpr_write_b32 a59, v0
                                        ; implicit-def: $vgpr0
; %bb.30:                               ;   in Loop: Header=BB341_13 Depth=1
	s_andn2_saveexec_b64 s[26:27], s[4:5]
; %bb.31:                               ;   in Loop: Header=BB341_13 Depth=1
	v_or_b32_e32 v1, 0x10000, v0
	v_cmp_eq_u32_sdwa s[4:5], v0, v37 src0_sel:WORD_0 src1_sel:DWORD
	s_nop 1
	v_cndmask_b32_e64 v0, v1, v0, s[4:5]
	v_accvgpr_write_b32 a59, v0
; %bb.32:                               ;   in Loop: Header=BB341_13 Depth=1
	s_or_b64 exec, exec, s[26:27]
	flat_load_ushort v0, v[58:59] offset:256
                                        ; implicit-def: $agpr60
	s_waitcnt vmcnt(0) lgkmcnt(0)
	v_and_b32_sdwa v1, s29, v0 dst_sel:DWORD dst_unused:UNUSED_PAD src0_sel:DWORD src1_sel:BYTE_0
	v_cvt_f32_fp8_sdwa v1, v1 src0_sel:BYTE_0
	s_nop 0
	v_mul_f32_e32 v1, v11, v1
	v_and_b32_e32 v2, 0x7f800000, v1
	v_cmp_ne_u32_e64 s[4:5], s30, v2
	s_and_saveexec_b64 s[26:27], s[4:5]
	s_xor_b64 s[4:5], exec, s[26:27]
; %bb.33:                               ;   in Loop: Header=BB341_13 Depth=1
	v_bfe_u32 v2, v1, 16, 1
	v_add3_u32 v1, v1, v2, s31
	v_accvgpr_write_b32 a60, v1
                                        ; implicit-def: $vgpr1
; %bb.34:                               ;   in Loop: Header=BB341_13 Depth=1
	s_andn2_saveexec_b64 s[26:27], s[4:5]
; %bb.35:                               ;   in Loop: Header=BB341_13 Depth=1
	v_or_b32_e32 v2, 0x10000, v1
	v_cmp_eq_u32_sdwa s[4:5], v1, v37 src0_sel:WORD_0 src1_sel:DWORD
	s_nop 1
	v_cndmask_b32_e64 v1, v2, v1, s[4:5]
	v_accvgpr_write_b32 a60, v1
; %bb.36:                               ;   in Loop: Header=BB341_13 Depth=1
	s_or_b64 exec, exec, s[26:27]
	v_lshrrev_b16_e32 v0, 8, v0
	v_cvt_f32_fp8_sdwa v0, v0 src0_sel:BYTE_0
                                        ; implicit-def: $agpr61
	s_nop 0
	v_mul_f32_e32 v0, v11, v0
	v_and_b32_e32 v1, 0x7f800000, v0
	v_cmp_ne_u32_e64 s[4:5], s30, v1
	s_and_saveexec_b64 s[26:27], s[4:5]
	s_xor_b64 s[4:5], exec, s[26:27]
; %bb.37:                               ;   in Loop: Header=BB341_13 Depth=1
	v_bfe_u32 v1, v0, 16, 1
	v_add3_u32 v0, v0, v1, s31
	v_accvgpr_write_b32 a61, v0
                                        ; implicit-def: $vgpr0
; %bb.38:                               ;   in Loop: Header=BB341_13 Depth=1
	s_andn2_saveexec_b64 s[26:27], s[4:5]
; %bb.39:                               ;   in Loop: Header=BB341_13 Depth=1
	v_or_b32_e32 v1, 0x10000, v0
	v_cmp_eq_u32_sdwa s[4:5], v0, v37 src0_sel:WORD_0 src1_sel:DWORD
	s_nop 1
	v_cndmask_b32_e64 v0, v1, v0, s[4:5]
	v_accvgpr_write_b32 a61, v0
; %bb.40:                               ;   in Loop: Header=BB341_13 Depth=1
	s_or_b64 exec, exec, s[26:27]
	flat_load_ushort v0, v[58:59] offset:264
                                        ; implicit-def: $agpr62
	s_waitcnt vmcnt(0) lgkmcnt(0)
	v_and_b32_sdwa v1, s29, v0 dst_sel:DWORD dst_unused:UNUSED_PAD src0_sel:DWORD src1_sel:BYTE_0
	v_cvt_f32_fp8_sdwa v1, v1 src0_sel:BYTE_0
	s_nop 0
	v_mul_f32_e32 v1, v11, v1
	v_and_b32_e32 v2, 0x7f800000, v1
	v_cmp_ne_u32_e64 s[4:5], s30, v2
	s_and_saveexec_b64 s[26:27], s[4:5]
	s_xor_b64 s[4:5], exec, s[26:27]
; %bb.41:                               ;   in Loop: Header=BB341_13 Depth=1
	v_bfe_u32 v2, v1, 16, 1
	v_add3_u32 v1, v1, v2, s31
	v_accvgpr_write_b32 a62, v1
                                        ; implicit-def: $vgpr1
; %bb.42:                               ;   in Loop: Header=BB341_13 Depth=1
	s_andn2_saveexec_b64 s[26:27], s[4:5]
; %bb.43:                               ;   in Loop: Header=BB341_13 Depth=1
	v_or_b32_e32 v2, 0x10000, v1
	v_cmp_eq_u32_sdwa s[4:5], v1, v37 src0_sel:WORD_0 src1_sel:DWORD
	s_nop 1
	v_cndmask_b32_e64 v1, v2, v1, s[4:5]
	v_accvgpr_write_b32 a62, v1
; %bb.44:                               ;   in Loop: Header=BB341_13 Depth=1
	s_or_b64 exec, exec, s[26:27]
	v_lshrrev_b16_e32 v0, 8, v0
	v_cvt_f32_fp8_sdwa v0, v0 src0_sel:BYTE_0
                                        ; implicit-def: $agpr63
	s_nop 0
	v_mul_f32_e32 v0, v11, v0
	v_and_b32_e32 v1, 0x7f800000, v0
	v_cmp_ne_u32_e64 s[4:5], s30, v1
	s_and_saveexec_b64 s[26:27], s[4:5]
	s_xor_b64 s[4:5], exec, s[26:27]
; %bb.45:                               ;   in Loop: Header=BB341_13 Depth=1
	v_bfe_u32 v1, v0, 16, 1
	v_add3_u32 v0, v0, v1, s31
	v_accvgpr_write_b32 a63, v0
                                        ; implicit-def: $vgpr0
; %bb.46:                               ;   in Loop: Header=BB341_13 Depth=1
	s_andn2_saveexec_b64 s[26:27], s[4:5]
; %bb.47:                               ;   in Loop: Header=BB341_13 Depth=1
	v_or_b32_e32 v1, 0x10000, v0
	v_cmp_eq_u32_sdwa s[4:5], v0, v37 src0_sel:WORD_0 src1_sel:DWORD
	s_nop 1
	v_cndmask_b32_e64 v0, v1, v0, s[4:5]
	v_accvgpr_write_b32 a63, v0
; %bb.48:                               ;   in Loop: Header=BB341_13 Depth=1
	s_or_b64 exec, exec, s[26:27]
	flat_load_ushort v0, v[58:59] offset:512
                                        ; implicit-def: $agpr28
	s_waitcnt vmcnt(0) lgkmcnt(0)
	v_and_b32_sdwa v1, s29, v0 dst_sel:DWORD dst_unused:UNUSED_PAD src0_sel:DWORD src1_sel:BYTE_0
	v_cvt_f32_fp8_sdwa v1, v1 src0_sel:BYTE_0
	s_nop 0
	v_mul_f32_e32 v1, v11, v1
	v_and_b32_e32 v2, 0x7f800000, v1
	v_cmp_ne_u32_e64 s[4:5], s30, v2
	s_and_saveexec_b64 s[26:27], s[4:5]
	s_xor_b64 s[4:5], exec, s[26:27]
; %bb.49:                               ;   in Loop: Header=BB341_13 Depth=1
	v_bfe_u32 v2, v1, 16, 1
	v_add3_u32 v1, v1, v2, s31
	v_accvgpr_write_b32 a28, v1
                                        ; implicit-def: $vgpr1
; %bb.50:                               ;   in Loop: Header=BB341_13 Depth=1
	s_andn2_saveexec_b64 s[26:27], s[4:5]
; %bb.51:                               ;   in Loop: Header=BB341_13 Depth=1
	v_or_b32_e32 v2, 0x10000, v1
	v_cmp_eq_u32_sdwa s[4:5], v1, v37 src0_sel:WORD_0 src1_sel:DWORD
	s_nop 1
	v_cndmask_b32_e64 v1, v2, v1, s[4:5]
	v_accvgpr_write_b32 a28, v1
; %bb.52:                               ;   in Loop: Header=BB341_13 Depth=1
	s_or_b64 exec, exec, s[26:27]
	v_lshrrev_b16_e32 v0, 8, v0
	v_cvt_f32_fp8_sdwa v0, v0 src0_sel:BYTE_0
                                        ; implicit-def: $agpr30
	s_nop 0
	v_mul_f32_e32 v0, v11, v0
	v_and_b32_e32 v1, 0x7f800000, v0
	v_cmp_ne_u32_e64 s[4:5], s30, v1
	s_and_saveexec_b64 s[26:27], s[4:5]
	s_xor_b64 s[4:5], exec, s[26:27]
; %bb.53:                               ;   in Loop: Header=BB341_13 Depth=1
	v_bfe_u32 v1, v0, 16, 1
	v_add3_u32 v0, v0, v1, s31
	v_accvgpr_write_b32 a30, v0
                                        ; implicit-def: $vgpr0
; %bb.54:                               ;   in Loop: Header=BB341_13 Depth=1
	s_andn2_saveexec_b64 s[26:27], s[4:5]
; %bb.55:                               ;   in Loop: Header=BB341_13 Depth=1
	v_or_b32_e32 v1, 0x10000, v0
	v_cmp_eq_u32_sdwa s[4:5], v0, v37 src0_sel:WORD_0 src1_sel:DWORD
	s_nop 1
	v_cndmask_b32_e64 v0, v1, v0, s[4:5]
	v_accvgpr_write_b32 a30, v0
; %bb.56:                               ;   in Loop: Header=BB341_13 Depth=1
	s_or_b64 exec, exec, s[26:27]
	flat_load_ushort v0, v[58:59] offset:520
                                        ; implicit-def: $agpr31
	s_waitcnt vmcnt(0) lgkmcnt(0)
	v_and_b32_sdwa v1, s29, v0 dst_sel:DWORD dst_unused:UNUSED_PAD src0_sel:DWORD src1_sel:BYTE_0
	v_cvt_f32_fp8_sdwa v1, v1 src0_sel:BYTE_0
	s_nop 0
	v_mul_f32_e32 v1, v11, v1
	v_and_b32_e32 v2, 0x7f800000, v1
	v_cmp_ne_u32_e64 s[4:5], s30, v2
	s_and_saveexec_b64 s[26:27], s[4:5]
	s_xor_b64 s[4:5], exec, s[26:27]
; %bb.57:                               ;   in Loop: Header=BB341_13 Depth=1
	v_bfe_u32 v2, v1, 16, 1
	v_add3_u32 v1, v1, v2, s31
	v_accvgpr_write_b32 a31, v1
                                        ; implicit-def: $vgpr1
; %bb.58:                               ;   in Loop: Header=BB341_13 Depth=1
	s_andn2_saveexec_b64 s[26:27], s[4:5]
; %bb.59:                               ;   in Loop: Header=BB341_13 Depth=1
	v_or_b32_e32 v2, 0x10000, v1
	v_cmp_eq_u32_sdwa s[4:5], v1, v37 src0_sel:WORD_0 src1_sel:DWORD
	s_nop 1
	v_cndmask_b32_e64 v1, v2, v1, s[4:5]
	v_accvgpr_write_b32 a31, v1
; %bb.60:                               ;   in Loop: Header=BB341_13 Depth=1
	s_or_b64 exec, exec, s[26:27]
	v_lshrrev_b16_e32 v0, 8, v0
	v_cvt_f32_fp8_sdwa v0, v0 src0_sel:BYTE_0
                                        ; implicit-def: $agpr29
	s_nop 0
	v_mul_f32_e32 v0, v11, v0
	v_and_b32_e32 v1, 0x7f800000, v0
	v_cmp_ne_u32_e64 s[4:5], s30, v1
	s_and_saveexec_b64 s[26:27], s[4:5]
	s_xor_b64 s[4:5], exec, s[26:27]
; %bb.61:                               ;   in Loop: Header=BB341_13 Depth=1
	v_bfe_u32 v1, v0, 16, 1
	v_add3_u32 v0, v0, v1, s31
	v_accvgpr_write_b32 a29, v0
                                        ; implicit-def: $vgpr0
; %bb.62:                               ;   in Loop: Header=BB341_13 Depth=1
	s_andn2_saveexec_b64 s[26:27], s[4:5]
; %bb.63:                               ;   in Loop: Header=BB341_13 Depth=1
	v_or_b32_e32 v1, 0x10000, v0
	v_cmp_eq_u32_sdwa s[4:5], v0, v37 src0_sel:WORD_0 src1_sel:DWORD
	s_nop 1
	v_cndmask_b32_e64 v0, v1, v0, s[4:5]
	v_accvgpr_write_b32 a29, v0
; %bb.64:                               ;   in Loop: Header=BB341_13 Depth=1
	s_or_b64 exec, exec, s[26:27]
	flat_load_ushort v0, v[58:59] offset:768
                                        ; implicit-def: $agpr26
	s_waitcnt vmcnt(0) lgkmcnt(0)
	v_and_b32_sdwa v1, s29, v0 dst_sel:DWORD dst_unused:UNUSED_PAD src0_sel:DWORD src1_sel:BYTE_0
	v_cvt_f32_fp8_sdwa v1, v1 src0_sel:BYTE_0
	s_nop 0
	v_mul_f32_e32 v1, v11, v1
	v_and_b32_e32 v2, 0x7f800000, v1
	v_cmp_ne_u32_e64 s[4:5], s30, v2
	s_and_saveexec_b64 s[26:27], s[4:5]
	s_xor_b64 s[4:5], exec, s[26:27]
; %bb.65:                               ;   in Loop: Header=BB341_13 Depth=1
	v_bfe_u32 v2, v1, 16, 1
	v_add3_u32 v1, v1, v2, s31
	v_accvgpr_write_b32 a26, v1
                                        ; implicit-def: $vgpr1
; %bb.66:                               ;   in Loop: Header=BB341_13 Depth=1
	s_andn2_saveexec_b64 s[26:27], s[4:5]
; %bb.67:                               ;   in Loop: Header=BB341_13 Depth=1
	v_or_b32_e32 v2, 0x10000, v1
	v_cmp_eq_u32_sdwa s[4:5], v1, v37 src0_sel:WORD_0 src1_sel:DWORD
	s_nop 1
	v_cndmask_b32_e64 v1, v2, v1, s[4:5]
	v_accvgpr_write_b32 a26, v1
; %bb.68:                               ;   in Loop: Header=BB341_13 Depth=1
	s_or_b64 exec, exec, s[26:27]
	v_lshrrev_b16_e32 v0, 8, v0
	v_cvt_f32_fp8_sdwa v0, v0 src0_sel:BYTE_0
                                        ; implicit-def: $agpr27
	s_nop 0
	v_mul_f32_e32 v0, v11, v0
	v_and_b32_e32 v1, 0x7f800000, v0
	v_cmp_ne_u32_e64 s[4:5], s30, v1
	s_and_saveexec_b64 s[26:27], s[4:5]
	s_xor_b64 s[4:5], exec, s[26:27]
; %bb.69:                               ;   in Loop: Header=BB341_13 Depth=1
	v_bfe_u32 v1, v0, 16, 1
	v_add3_u32 v0, v0, v1, s31
	v_accvgpr_write_b32 a27, v0
                                        ; implicit-def: $vgpr0
; %bb.70:                               ;   in Loop: Header=BB341_13 Depth=1
	s_andn2_saveexec_b64 s[26:27], s[4:5]
; %bb.71:                               ;   in Loop: Header=BB341_13 Depth=1
	v_or_b32_e32 v1, 0x10000, v0
	v_cmp_eq_u32_sdwa s[4:5], v0, v37 src0_sel:WORD_0 src1_sel:DWORD
	s_nop 1
	v_cndmask_b32_e64 v0, v1, v0, s[4:5]
	v_accvgpr_write_b32 a27, v0
; %bb.72:                               ;   in Loop: Header=BB341_13 Depth=1
	s_or_b64 exec, exec, s[26:27]
	flat_load_ushort v0, v[58:59] offset:776
                                        ; implicit-def: $agpr19
	s_waitcnt vmcnt(0) lgkmcnt(0)
	v_and_b32_sdwa v1, s29, v0 dst_sel:DWORD dst_unused:UNUSED_PAD src0_sel:DWORD src1_sel:BYTE_0
	v_cvt_f32_fp8_sdwa v1, v1 src0_sel:BYTE_0
	s_nop 0
	v_mul_f32_e32 v1, v11, v1
	v_and_b32_e32 v2, 0x7f800000, v1
	v_cmp_ne_u32_e64 s[4:5], s30, v2
	s_and_saveexec_b64 s[26:27], s[4:5]
	s_xor_b64 s[4:5], exec, s[26:27]
; %bb.73:                               ;   in Loop: Header=BB341_13 Depth=1
	v_bfe_u32 v2, v1, 16, 1
	v_add3_u32 v1, v1, v2, s31
	v_accvgpr_write_b32 a19, v1
                                        ; implicit-def: $vgpr1
; %bb.74:                               ;   in Loop: Header=BB341_13 Depth=1
	s_andn2_saveexec_b64 s[26:27], s[4:5]
; %bb.75:                               ;   in Loop: Header=BB341_13 Depth=1
	v_or_b32_e32 v2, 0x10000, v1
	v_cmp_eq_u32_sdwa s[4:5], v1, v37 src0_sel:WORD_0 src1_sel:DWORD
	s_nop 1
	v_cndmask_b32_e64 v1, v2, v1, s[4:5]
	v_accvgpr_write_b32 a19, v1
; %bb.76:                               ;   in Loop: Header=BB341_13 Depth=1
	s_or_b64 exec, exec, s[26:27]
	v_lshrrev_b16_e32 v0, 8, v0
	v_cvt_f32_fp8_sdwa v0, v0 src0_sel:BYTE_0
                                        ; implicit-def: $agpr35
	s_nop 0
	v_mul_f32_e32 v0, v11, v0
	v_and_b32_e32 v1, 0x7f800000, v0
	v_cmp_ne_u32_e64 s[4:5], s30, v1
	s_and_saveexec_b64 s[26:27], s[4:5]
	s_xor_b64 s[4:5], exec, s[26:27]
; %bb.77:                               ;   in Loop: Header=BB341_13 Depth=1
	v_bfe_u32 v1, v0, 16, 1
	v_add3_u32 v0, v0, v1, s31
	v_accvgpr_write_b32 a35, v0
                                        ; implicit-def: $vgpr0
; %bb.78:                               ;   in Loop: Header=BB341_13 Depth=1
	s_andn2_saveexec_b64 s[26:27], s[4:5]
; %bb.79:                               ;   in Loop: Header=BB341_13 Depth=1
	v_or_b32_e32 v1, 0x10000, v0
	v_cmp_eq_u32_sdwa s[4:5], v0, v37 src0_sel:WORD_0 src1_sel:DWORD
	s_nop 1
	v_cndmask_b32_e64 v0, v1, v0, s[4:5]
	v_accvgpr_write_b32 a35, v0
; %bb.80:                               ;   in Loop: Header=BB341_13 Depth=1
	s_or_b64 exec, exec, s[26:27]
	flat_load_ushort v0, v[58:59] offset:1024
                                        ; implicit-def: $agpr15
	s_waitcnt vmcnt(0) lgkmcnt(0)
	v_and_b32_sdwa v1, s29, v0 dst_sel:DWORD dst_unused:UNUSED_PAD src0_sel:DWORD src1_sel:BYTE_0
	v_cvt_f32_fp8_sdwa v1, v1 src0_sel:BYTE_0
	s_nop 0
	v_mul_f32_e32 v1, v11, v1
	v_and_b32_e32 v2, 0x7f800000, v1
	v_cmp_ne_u32_e64 s[4:5], s30, v2
	s_and_saveexec_b64 s[26:27], s[4:5]
	s_xor_b64 s[4:5], exec, s[26:27]
; %bb.81:                               ;   in Loop: Header=BB341_13 Depth=1
	v_bfe_u32 v2, v1, 16, 1
	v_add3_u32 v1, v1, v2, s31
	v_accvgpr_write_b32 a15, v1
                                        ; implicit-def: $vgpr1
; %bb.82:                               ;   in Loop: Header=BB341_13 Depth=1
	s_andn2_saveexec_b64 s[26:27], s[4:5]
; %bb.83:                               ;   in Loop: Header=BB341_13 Depth=1
	v_or_b32_e32 v2, 0x10000, v1
	v_cmp_eq_u32_sdwa s[4:5], v1, v37 src0_sel:WORD_0 src1_sel:DWORD
	s_nop 1
	v_cndmask_b32_e64 v1, v2, v1, s[4:5]
	v_accvgpr_write_b32 a15, v1
; %bb.84:                               ;   in Loop: Header=BB341_13 Depth=1
	s_or_b64 exec, exec, s[26:27]
	v_lshrrev_b16_e32 v0, 8, v0
	v_cvt_f32_fp8_sdwa v0, v0 src0_sel:BYTE_0
                                        ; implicit-def: $agpr0
	s_nop 0
	v_mul_f32_e32 v0, v11, v0
	v_and_b32_e32 v1, 0x7f800000, v0
	v_cmp_ne_u32_e64 s[4:5], s30, v1
	s_and_saveexec_b64 s[26:27], s[4:5]
	s_xor_b64 s[4:5], exec, s[26:27]
; %bb.85:                               ;   in Loop: Header=BB341_13 Depth=1
	v_bfe_u32 v1, v0, 16, 1
	v_add3_u32 v0, v0, v1, s31
	v_accvgpr_write_b32 a0, v0
                                        ; implicit-def: $vgpr0
; %bb.86:                               ;   in Loop: Header=BB341_13 Depth=1
	s_andn2_saveexec_b64 s[26:27], s[4:5]
; %bb.87:                               ;   in Loop: Header=BB341_13 Depth=1
	v_or_b32_e32 v1, 0x10000, v0
	v_cmp_eq_u32_sdwa s[4:5], v0, v37 src0_sel:WORD_0 src1_sel:DWORD
	s_nop 1
	v_cndmask_b32_e64 v0, v1, v0, s[4:5]
	v_accvgpr_write_b32 a0, v0
; %bb.88:                               ;   in Loop: Header=BB341_13 Depth=1
	s_or_b64 exec, exec, s[26:27]
	flat_load_ushort v0, v[58:59] offset:1032
                                        ; implicit-def: $agpr1
	s_waitcnt vmcnt(0) lgkmcnt(0)
	v_and_b32_sdwa v1, s29, v0 dst_sel:DWORD dst_unused:UNUSED_PAD src0_sel:DWORD src1_sel:BYTE_0
	v_cvt_f32_fp8_sdwa v1, v1 src0_sel:BYTE_0
	s_nop 0
	v_mul_f32_e32 v1, v11, v1
	v_and_b32_e32 v2, 0x7f800000, v1
	v_cmp_ne_u32_e64 s[4:5], s30, v2
	s_and_saveexec_b64 s[26:27], s[4:5]
	s_xor_b64 s[4:5], exec, s[26:27]
; %bb.89:                               ;   in Loop: Header=BB341_13 Depth=1
	v_bfe_u32 v2, v1, 16, 1
	v_add3_u32 v1, v1, v2, s31
	v_accvgpr_write_b32 a1, v1
                                        ; implicit-def: $vgpr1
; %bb.90:                               ;   in Loop: Header=BB341_13 Depth=1
	s_andn2_saveexec_b64 s[26:27], s[4:5]
; %bb.91:                               ;   in Loop: Header=BB341_13 Depth=1
	v_or_b32_e32 v2, 0x10000, v1
	v_cmp_eq_u32_sdwa s[4:5], v1, v37 src0_sel:WORD_0 src1_sel:DWORD
	s_nop 1
	v_cndmask_b32_e64 v1, v2, v1, s[4:5]
	v_accvgpr_write_b32 a1, v1
; %bb.92:                               ;   in Loop: Header=BB341_13 Depth=1
	s_or_b64 exec, exec, s[26:27]
	v_lshrrev_b16_e32 v0, 8, v0
	v_cvt_f32_fp8_sdwa v0, v0 src0_sel:BYTE_0
                                        ; implicit-def: $agpr24
	s_nop 0
	v_mul_f32_e32 v0, v11, v0
	v_and_b32_e32 v1, 0x7f800000, v0
	v_cmp_ne_u32_e64 s[4:5], s30, v1
	s_and_saveexec_b64 s[26:27], s[4:5]
	s_xor_b64 s[4:5], exec, s[26:27]
; %bb.93:                               ;   in Loop: Header=BB341_13 Depth=1
	v_bfe_u32 v1, v0, 16, 1
	v_add3_u32 v0, v0, v1, s31
	v_accvgpr_write_b32 a24, v0
                                        ; implicit-def: $vgpr0
; %bb.94:                               ;   in Loop: Header=BB341_13 Depth=1
	s_andn2_saveexec_b64 s[26:27], s[4:5]
; %bb.95:                               ;   in Loop: Header=BB341_13 Depth=1
	v_or_b32_e32 v1, 0x10000, v0
	v_cmp_eq_u32_sdwa s[4:5], v0, v37 src0_sel:WORD_0 src1_sel:DWORD
	s_nop 1
	v_cndmask_b32_e64 v0, v1, v0, s[4:5]
	v_accvgpr_write_b32 a24, v0
; %bb.96:                               ;   in Loop: Header=BB341_13 Depth=1
	s_or_b64 exec, exec, s[26:27]
	flat_load_ushort v0, v[58:59] offset:1280
                                        ; implicit-def: $agpr25
	s_waitcnt vmcnt(0) lgkmcnt(0)
	v_and_b32_sdwa v1, s29, v0 dst_sel:DWORD dst_unused:UNUSED_PAD src0_sel:DWORD src1_sel:BYTE_0
	v_cvt_f32_fp8_sdwa v1, v1 src0_sel:BYTE_0
	s_nop 0
	v_mul_f32_e32 v1, v11, v1
	v_and_b32_e32 v2, 0x7f800000, v1
	v_cmp_ne_u32_e64 s[4:5], s30, v2
	s_and_saveexec_b64 s[26:27], s[4:5]
	s_xor_b64 s[4:5], exec, s[26:27]
; %bb.97:                               ;   in Loop: Header=BB341_13 Depth=1
	v_bfe_u32 v2, v1, 16, 1
	v_add3_u32 v1, v1, v2, s31
	v_accvgpr_write_b32 a25, v1
                                        ; implicit-def: $vgpr1
; %bb.98:                               ;   in Loop: Header=BB341_13 Depth=1
	s_andn2_saveexec_b64 s[26:27], s[4:5]
; %bb.99:                               ;   in Loop: Header=BB341_13 Depth=1
	v_or_b32_e32 v2, 0x10000, v1
	v_cmp_eq_u32_sdwa s[4:5], v1, v37 src0_sel:WORD_0 src1_sel:DWORD
	s_nop 1
	v_cndmask_b32_e64 v1, v2, v1, s[4:5]
	v_accvgpr_write_b32 a25, v1
; %bb.100:                              ;   in Loop: Header=BB341_13 Depth=1
	s_or_b64 exec, exec, s[26:27]
	v_lshrrev_b16_e32 v0, 8, v0
	v_cvt_f32_fp8_sdwa v0, v0 src0_sel:BYTE_0
                                        ; implicit-def: $agpr22
	s_nop 0
	v_mul_f32_e32 v0, v11, v0
	v_and_b32_e32 v1, 0x7f800000, v0
	v_cmp_ne_u32_e64 s[4:5], s30, v1
	s_and_saveexec_b64 s[26:27], s[4:5]
	s_xor_b64 s[4:5], exec, s[26:27]
; %bb.101:                              ;   in Loop: Header=BB341_13 Depth=1
	v_bfe_u32 v1, v0, 16, 1
	v_add3_u32 v0, v0, v1, s31
	v_accvgpr_write_b32 a22, v0
                                        ; implicit-def: $vgpr0
; %bb.102:                              ;   in Loop: Header=BB341_13 Depth=1
	s_andn2_saveexec_b64 s[26:27], s[4:5]
; %bb.103:                              ;   in Loop: Header=BB341_13 Depth=1
	v_or_b32_e32 v1, 0x10000, v0
	v_cmp_eq_u32_sdwa s[4:5], v0, v37 src0_sel:WORD_0 src1_sel:DWORD
	s_nop 1
	v_cndmask_b32_e64 v0, v1, v0, s[4:5]
	v_accvgpr_write_b32 a22, v0
; %bb.104:                              ;   in Loop: Header=BB341_13 Depth=1
	s_or_b64 exec, exec, s[26:27]
	flat_load_ushort v0, v[58:59] offset:1288
                                        ; implicit-def: $agpr23
	s_waitcnt vmcnt(0) lgkmcnt(0)
	v_and_b32_sdwa v1, s29, v0 dst_sel:DWORD dst_unused:UNUSED_PAD src0_sel:DWORD src1_sel:BYTE_0
	v_cvt_f32_fp8_sdwa v1, v1 src0_sel:BYTE_0
	s_nop 0
	v_mul_f32_e32 v1, v11, v1
	v_and_b32_e32 v2, 0x7f800000, v1
	v_cmp_ne_u32_e64 s[4:5], s30, v2
	s_and_saveexec_b64 s[26:27], s[4:5]
	s_xor_b64 s[4:5], exec, s[26:27]
; %bb.105:                              ;   in Loop: Header=BB341_13 Depth=1
	v_bfe_u32 v2, v1, 16, 1
	v_add3_u32 v1, v1, v2, s31
	v_accvgpr_write_b32 a23, v1
                                        ; implicit-def: $vgpr1
; %bb.106:                              ;   in Loop: Header=BB341_13 Depth=1
	s_andn2_saveexec_b64 s[26:27], s[4:5]
; %bb.107:                              ;   in Loop: Header=BB341_13 Depth=1
	v_or_b32_e32 v2, 0x10000, v1
	v_cmp_eq_u32_sdwa s[4:5], v1, v37 src0_sel:WORD_0 src1_sel:DWORD
	s_nop 1
	v_cndmask_b32_e64 v1, v2, v1, s[4:5]
	v_accvgpr_write_b32 a23, v1
; %bb.108:                              ;   in Loop: Header=BB341_13 Depth=1
	s_or_b64 exec, exec, s[26:27]
	v_lshrrev_b16_e32 v0, 8, v0
	v_cvt_f32_fp8_sdwa v0, v0 src0_sel:BYTE_0
                                        ; implicit-def: $agpr20
	s_nop 0
	v_mul_f32_e32 v0, v11, v0
	v_and_b32_e32 v1, 0x7f800000, v0
	v_cmp_ne_u32_e64 s[4:5], s30, v1
	s_and_saveexec_b64 s[26:27], s[4:5]
	s_xor_b64 s[4:5], exec, s[26:27]
; %bb.109:                              ;   in Loop: Header=BB341_13 Depth=1
	v_bfe_u32 v1, v0, 16, 1
	v_add3_u32 v0, v0, v1, s31
	v_accvgpr_write_b32 a20, v0
                                        ; implicit-def: $vgpr0
; %bb.110:                              ;   in Loop: Header=BB341_13 Depth=1
	s_andn2_saveexec_b64 s[26:27], s[4:5]
; %bb.111:                              ;   in Loop: Header=BB341_13 Depth=1
	v_or_b32_e32 v1, 0x10000, v0
	v_cmp_eq_u32_sdwa s[4:5], v0, v37 src0_sel:WORD_0 src1_sel:DWORD
	s_nop 1
	v_cndmask_b32_e64 v0, v1, v0, s[4:5]
	v_accvgpr_write_b32 a20, v0
; %bb.112:                              ;   in Loop: Header=BB341_13 Depth=1
	s_or_b64 exec, exec, s[26:27]
	flat_load_ushort v0, v[58:59] offset:1536
                                        ; implicit-def: $agpr21
	s_waitcnt vmcnt(0) lgkmcnt(0)
	v_and_b32_sdwa v1, s29, v0 dst_sel:DWORD dst_unused:UNUSED_PAD src0_sel:DWORD src1_sel:BYTE_0
	v_cvt_f32_fp8_sdwa v1, v1 src0_sel:BYTE_0
	s_nop 0
	v_mul_f32_e32 v1, v11, v1
	v_and_b32_e32 v2, 0x7f800000, v1
	v_cmp_ne_u32_e64 s[4:5], s30, v2
	s_and_saveexec_b64 s[26:27], s[4:5]
	s_xor_b64 s[4:5], exec, s[26:27]
; %bb.113:                              ;   in Loop: Header=BB341_13 Depth=1
	v_bfe_u32 v2, v1, 16, 1
	v_add3_u32 v1, v1, v2, s31
	v_accvgpr_write_b32 a21, v1
                                        ; implicit-def: $vgpr1
; %bb.114:                              ;   in Loop: Header=BB341_13 Depth=1
	s_andn2_saveexec_b64 s[26:27], s[4:5]
; %bb.115:                              ;   in Loop: Header=BB341_13 Depth=1
	v_or_b32_e32 v2, 0x10000, v1
	v_cmp_eq_u32_sdwa s[4:5], v1, v37 src0_sel:WORD_0 src1_sel:DWORD
	s_nop 1
	v_cndmask_b32_e64 v1, v2, v1, s[4:5]
	v_accvgpr_write_b32 a21, v1
; %bb.116:                              ;   in Loop: Header=BB341_13 Depth=1
	s_or_b64 exec, exec, s[26:27]
	v_lshrrev_b16_e32 v0, 8, v0
	v_cvt_f32_fp8_sdwa v0, v0 src0_sel:BYTE_0
                                        ; implicit-def: $agpr18
	s_nop 0
	v_mul_f32_e32 v0, v11, v0
	v_and_b32_e32 v1, 0x7f800000, v0
	v_cmp_ne_u32_e64 s[4:5], s30, v1
	s_and_saveexec_b64 s[26:27], s[4:5]
	s_xor_b64 s[4:5], exec, s[26:27]
; %bb.117:                              ;   in Loop: Header=BB341_13 Depth=1
	v_bfe_u32 v1, v0, 16, 1
	v_add3_u32 v0, v0, v1, s31
	v_accvgpr_write_b32 a18, v0
                                        ; implicit-def: $vgpr0
; %bb.118:                              ;   in Loop: Header=BB341_13 Depth=1
	s_andn2_saveexec_b64 s[26:27], s[4:5]
; %bb.119:                              ;   in Loop: Header=BB341_13 Depth=1
	v_or_b32_e32 v1, 0x10000, v0
	v_cmp_eq_u32_sdwa s[4:5], v0, v37 src0_sel:WORD_0 src1_sel:DWORD
	s_nop 1
	v_cndmask_b32_e64 v0, v1, v0, s[4:5]
	v_accvgpr_write_b32 a18, v0
; %bb.120:                              ;   in Loop: Header=BB341_13 Depth=1
	s_or_b64 exec, exec, s[26:27]
	flat_load_ushort v0, v[58:59] offset:1544
                                        ; implicit-def: $agpr16
	s_waitcnt vmcnt(0) lgkmcnt(0)
	v_and_b32_sdwa v1, s29, v0 dst_sel:DWORD dst_unused:UNUSED_PAD src0_sel:DWORD src1_sel:BYTE_0
	v_cvt_f32_fp8_sdwa v1, v1 src0_sel:BYTE_0
	s_nop 0
	v_mul_f32_e32 v1, v11, v1
	v_and_b32_e32 v2, 0x7f800000, v1
	v_cmp_ne_u32_e64 s[4:5], s30, v2
	s_and_saveexec_b64 s[26:27], s[4:5]
	s_xor_b64 s[4:5], exec, s[26:27]
; %bb.121:                              ;   in Loop: Header=BB341_13 Depth=1
	v_bfe_u32 v2, v1, 16, 1
	v_add3_u32 v1, v1, v2, s31
	v_accvgpr_write_b32 a16, v1
                                        ; implicit-def: $vgpr1
; %bb.122:                              ;   in Loop: Header=BB341_13 Depth=1
	s_andn2_saveexec_b64 s[26:27], s[4:5]
; %bb.123:                              ;   in Loop: Header=BB341_13 Depth=1
	v_or_b32_e32 v2, 0x10000, v1
	v_cmp_eq_u32_sdwa s[4:5], v1, v37 src0_sel:WORD_0 src1_sel:DWORD
	s_nop 1
	v_cndmask_b32_e64 v1, v2, v1, s[4:5]
	v_accvgpr_write_b32 a16, v1
; %bb.124:                              ;   in Loop: Header=BB341_13 Depth=1
	s_or_b64 exec, exec, s[26:27]
	v_lshrrev_b16_e32 v0, 8, v0
	v_cvt_f32_fp8_sdwa v0, v0 src0_sel:BYTE_0
                                        ; implicit-def: $agpr17
	s_nop 0
	v_mul_f32_e32 v0, v11, v0
	v_and_b32_e32 v1, 0x7f800000, v0
	v_cmp_ne_u32_e64 s[4:5], s30, v1
	s_and_saveexec_b64 s[26:27], s[4:5]
	s_xor_b64 s[4:5], exec, s[26:27]
; %bb.125:                              ;   in Loop: Header=BB341_13 Depth=1
	v_bfe_u32 v1, v0, 16, 1
	v_add3_u32 v0, v0, v1, s31
	v_accvgpr_write_b32 a17, v0
                                        ; implicit-def: $vgpr0
; %bb.126:                              ;   in Loop: Header=BB341_13 Depth=1
	s_andn2_saveexec_b64 s[26:27], s[4:5]
; %bb.127:                              ;   in Loop: Header=BB341_13 Depth=1
	v_or_b32_e32 v1, 0x10000, v0
	v_cmp_eq_u32_sdwa s[4:5], v0, v37 src0_sel:WORD_0 src1_sel:DWORD
	s_nop 1
	v_cndmask_b32_e64 v0, v1, v0, s[4:5]
	v_accvgpr_write_b32 a17, v0
; %bb.128:                              ;   in Loop: Header=BB341_13 Depth=1
	s_or_b64 exec, exec, s[26:27]
	flat_load_ushort v0, v[58:59] offset:1792
                                        ; implicit-def: $agpr36
	s_waitcnt vmcnt(0) lgkmcnt(0)
	v_and_b32_sdwa v1, s29, v0 dst_sel:DWORD dst_unused:UNUSED_PAD src0_sel:DWORD src1_sel:BYTE_0
	v_cvt_f32_fp8_sdwa v1, v1 src0_sel:BYTE_0
	s_nop 0
	v_mul_f32_e32 v1, v11, v1
	v_and_b32_e32 v2, 0x7f800000, v1
	v_cmp_ne_u32_e64 s[4:5], s30, v2
	s_and_saveexec_b64 s[26:27], s[4:5]
	s_xor_b64 s[4:5], exec, s[26:27]
; %bb.129:                              ;   in Loop: Header=BB341_13 Depth=1
	v_bfe_u32 v2, v1, 16, 1
	v_add3_u32 v1, v1, v2, s31
	v_accvgpr_write_b32 a36, v1
                                        ; implicit-def: $vgpr1
; %bb.130:                              ;   in Loop: Header=BB341_13 Depth=1
	s_andn2_saveexec_b64 s[26:27], s[4:5]
; %bb.131:                              ;   in Loop: Header=BB341_13 Depth=1
	v_or_b32_e32 v2, 0x10000, v1
	v_cmp_eq_u32_sdwa s[4:5], v1, v37 src0_sel:WORD_0 src1_sel:DWORD
	s_nop 1
	v_cndmask_b32_e64 v1, v2, v1, s[4:5]
	v_accvgpr_write_b32 a36, v1
; %bb.132:                              ;   in Loop: Header=BB341_13 Depth=1
	s_or_b64 exec, exec, s[26:27]
	v_lshrrev_b16_e32 v0, 8, v0
	v_cvt_f32_fp8_sdwa v0, v0 src0_sel:BYTE_0
                                        ; implicit-def: $agpr2
	s_nop 0
	v_mul_f32_e32 v0, v11, v0
	v_and_b32_e32 v1, 0x7f800000, v0
	v_cmp_ne_u32_e64 s[4:5], s30, v1
	s_and_saveexec_b64 s[26:27], s[4:5]
	s_xor_b64 s[4:5], exec, s[26:27]
; %bb.133:                              ;   in Loop: Header=BB341_13 Depth=1
	v_bfe_u32 v1, v0, 16, 1
	v_add3_u32 v0, v0, v1, s31
	v_accvgpr_write_b32 a2, v0
                                        ; implicit-def: $vgpr0
; %bb.134:                              ;   in Loop: Header=BB341_13 Depth=1
	s_andn2_saveexec_b64 s[26:27], s[4:5]
; %bb.135:                              ;   in Loop: Header=BB341_13 Depth=1
	v_or_b32_e32 v1, 0x10000, v0
	v_cmp_eq_u32_sdwa s[4:5], v0, v37 src0_sel:WORD_0 src1_sel:DWORD
	s_nop 1
	v_cndmask_b32_e64 v0, v1, v0, s[4:5]
	v_accvgpr_write_b32 a2, v0
; %bb.136:                              ;   in Loop: Header=BB341_13 Depth=1
	s_or_b64 exec, exec, s[26:27]
	flat_load_ushort v0, v[58:59] offset:1800
                                        ; implicit-def: $agpr41
	s_waitcnt vmcnt(0) lgkmcnt(0)
	v_and_b32_sdwa v1, s29, v0 dst_sel:DWORD dst_unused:UNUSED_PAD src0_sel:DWORD src1_sel:BYTE_0
	v_cvt_f32_fp8_sdwa v1, v1 src0_sel:BYTE_0
	s_nop 0
	v_mul_f32_e32 v1, v11, v1
	v_and_b32_e32 v2, 0x7f800000, v1
	v_cmp_ne_u32_e64 s[4:5], s30, v2
	s_and_saveexec_b64 s[26:27], s[4:5]
	s_xor_b64 s[4:5], exec, s[26:27]
; %bb.137:                              ;   in Loop: Header=BB341_13 Depth=1
	v_bfe_u32 v2, v1, 16, 1
	v_add3_u32 v1, v1, v2, s31
	v_accvgpr_write_b32 a41, v1
                                        ; implicit-def: $vgpr1
; %bb.138:                              ;   in Loop: Header=BB341_13 Depth=1
	s_andn2_saveexec_b64 s[26:27], s[4:5]
; %bb.139:                              ;   in Loop: Header=BB341_13 Depth=1
	v_or_b32_e32 v2, 0x10000, v1
	v_cmp_eq_u32_sdwa s[4:5], v1, v37 src0_sel:WORD_0 src1_sel:DWORD
	s_nop 1
	v_cndmask_b32_e64 v1, v2, v1, s[4:5]
	v_accvgpr_write_b32 a41, v1
; %bb.140:                              ;   in Loop: Header=BB341_13 Depth=1
	s_or_b64 exec, exec, s[26:27]
	v_lshrrev_b16_e32 v0, 8, v0
	v_cvt_f32_fp8_sdwa v0, v0 src0_sel:BYTE_0
                                        ; implicit-def: $agpr4
	s_nop 0
	v_mul_f32_e32 v0, v11, v0
	v_and_b32_e32 v1, 0x7f800000, v0
	v_cmp_ne_u32_e64 s[4:5], s30, v1
	s_and_saveexec_b64 s[26:27], s[4:5]
	s_xor_b64 s[4:5], exec, s[26:27]
; %bb.141:                              ;   in Loop: Header=BB341_13 Depth=1
	v_bfe_u32 v1, v0, 16, 1
	v_add3_u32 v0, v0, v1, s31
	v_accvgpr_write_b32 a4, v0
                                        ; implicit-def: $vgpr0
; %bb.142:                              ;   in Loop: Header=BB341_13 Depth=1
	s_andn2_saveexec_b64 s[26:27], s[4:5]
; %bb.143:                              ;   in Loop: Header=BB341_13 Depth=1
	v_or_b32_e32 v1, 0x10000, v0
	v_cmp_eq_u32_sdwa s[4:5], v0, v37 src0_sel:WORD_0 src1_sel:DWORD
	s_nop 1
	v_cndmask_b32_e64 v0, v1, v0, s[4:5]
	v_accvgpr_write_b32 a4, v0
; %bb.144:                              ;   in Loop: Header=BB341_13 Depth=1
	s_or_b64 exec, exec, s[26:27]
	flat_load_ushort v0, v[58:59] offset:2048
                                        ; implicit-def: $agpr5
	s_waitcnt vmcnt(0) lgkmcnt(0)
	v_and_b32_sdwa v1, s29, v0 dst_sel:DWORD dst_unused:UNUSED_PAD src0_sel:DWORD src1_sel:BYTE_0
	v_cvt_f32_fp8_sdwa v1, v1 src0_sel:BYTE_0
	s_nop 0
	v_mul_f32_e32 v1, v11, v1
	v_and_b32_e32 v2, 0x7f800000, v1
	v_cmp_ne_u32_e64 s[4:5], s30, v2
	s_and_saveexec_b64 s[26:27], s[4:5]
	s_xor_b64 s[4:5], exec, s[26:27]
; %bb.145:                              ;   in Loop: Header=BB341_13 Depth=1
	v_bfe_u32 v2, v1, 16, 1
	v_add3_u32 v1, v1, v2, s31
	v_accvgpr_write_b32 a5, v1
                                        ; implicit-def: $vgpr1
; %bb.146:                              ;   in Loop: Header=BB341_13 Depth=1
	s_andn2_saveexec_b64 s[26:27], s[4:5]
; %bb.147:                              ;   in Loop: Header=BB341_13 Depth=1
	v_or_b32_e32 v2, 0x10000, v1
	v_cmp_eq_u32_sdwa s[4:5], v1, v37 src0_sel:WORD_0 src1_sel:DWORD
	s_nop 1
	v_cndmask_b32_e64 v1, v2, v1, s[4:5]
	v_accvgpr_write_b32 a5, v1
; %bb.148:                              ;   in Loop: Header=BB341_13 Depth=1
	s_or_b64 exec, exec, s[26:27]
	v_lshrrev_b16_e32 v0, 8, v0
	v_cvt_f32_fp8_sdwa v0, v0 src0_sel:BYTE_0
                                        ; implicit-def: $agpr43
	s_nop 0
	v_mul_f32_e32 v0, v11, v0
	v_and_b32_e32 v1, 0x7f800000, v0
	v_cmp_ne_u32_e64 s[4:5], s30, v1
	s_and_saveexec_b64 s[26:27], s[4:5]
	s_xor_b64 s[4:5], exec, s[26:27]
; %bb.149:                              ;   in Loop: Header=BB341_13 Depth=1
	v_bfe_u32 v1, v0, 16, 1
	v_add3_u32 v0, v0, v1, s31
	v_accvgpr_write_b32 a43, v0
                                        ; implicit-def: $vgpr0
; %bb.150:                              ;   in Loop: Header=BB341_13 Depth=1
	s_andn2_saveexec_b64 s[26:27], s[4:5]
; %bb.151:                              ;   in Loop: Header=BB341_13 Depth=1
	v_or_b32_e32 v1, 0x10000, v0
	v_cmp_eq_u32_sdwa s[4:5], v0, v37 src0_sel:WORD_0 src1_sel:DWORD
	s_nop 1
	v_cndmask_b32_e64 v0, v1, v0, s[4:5]
	v_accvgpr_write_b32 a43, v0
; %bb.152:                              ;   in Loop: Header=BB341_13 Depth=1
	s_or_b64 exec, exec, s[26:27]
	flat_load_ushort v0, v[58:59] offset:2056
                                        ; implicit-def: $agpr8
	s_waitcnt vmcnt(0) lgkmcnt(0)
	v_and_b32_sdwa v1, s29, v0 dst_sel:DWORD dst_unused:UNUSED_PAD src0_sel:DWORD src1_sel:BYTE_0
	v_cvt_f32_fp8_sdwa v1, v1 src0_sel:BYTE_0
	s_nop 0
	v_mul_f32_e32 v1, v11, v1
	v_and_b32_e32 v2, 0x7f800000, v1
	v_cmp_ne_u32_e64 s[4:5], s30, v2
	s_and_saveexec_b64 s[26:27], s[4:5]
	s_xor_b64 s[4:5], exec, s[26:27]
; %bb.153:                              ;   in Loop: Header=BB341_13 Depth=1
	v_bfe_u32 v2, v1, 16, 1
	v_add3_u32 v1, v1, v2, s31
	v_accvgpr_write_b32 a8, v1
                                        ; implicit-def: $vgpr1
; %bb.154:                              ;   in Loop: Header=BB341_13 Depth=1
	s_andn2_saveexec_b64 s[26:27], s[4:5]
; %bb.155:                              ;   in Loop: Header=BB341_13 Depth=1
	v_or_b32_e32 v2, 0x10000, v1
	v_cmp_eq_u32_sdwa s[4:5], v1, v37 src0_sel:WORD_0 src1_sel:DWORD
	s_nop 1
	v_cndmask_b32_e64 v1, v2, v1, s[4:5]
	v_accvgpr_write_b32 a8, v1
; %bb.156:                              ;   in Loop: Header=BB341_13 Depth=1
	s_or_b64 exec, exec, s[26:27]
	v_lshrrev_b16_e32 v0, 8, v0
	v_cvt_f32_fp8_sdwa v0, v0 src0_sel:BYTE_0
                                        ; implicit-def: $agpr14
	s_nop 0
	v_mul_f32_e32 v0, v11, v0
	v_and_b32_e32 v1, 0x7f800000, v0
	v_cmp_ne_u32_e64 s[4:5], s30, v1
	s_and_saveexec_b64 s[26:27], s[4:5]
	s_xor_b64 s[4:5], exec, s[26:27]
; %bb.157:                              ;   in Loop: Header=BB341_13 Depth=1
	v_bfe_u32 v1, v0, 16, 1
	v_add3_u32 v0, v0, v1, s31
	v_accvgpr_write_b32 a14, v0
                                        ; implicit-def: $vgpr0
; %bb.158:                              ;   in Loop: Header=BB341_13 Depth=1
	s_andn2_saveexec_b64 s[26:27], s[4:5]
; %bb.159:                              ;   in Loop: Header=BB341_13 Depth=1
	v_or_b32_e32 v1, 0x10000, v0
	v_cmp_eq_u32_sdwa s[4:5], v0, v37 src0_sel:WORD_0 src1_sel:DWORD
	s_nop 1
	v_cndmask_b32_e64 v0, v1, v0, s[4:5]
	v_accvgpr_write_b32 a14, v0
; %bb.160:                              ;   in Loop: Header=BB341_13 Depth=1
	s_or_b64 exec, exec, s[26:27]
	flat_load_ushort v0, v[58:59] offset:2304
                                        ; implicit-def: $agpr34
	s_waitcnt vmcnt(0) lgkmcnt(0)
	v_and_b32_sdwa v1, s29, v0 dst_sel:DWORD dst_unused:UNUSED_PAD src0_sel:DWORD src1_sel:BYTE_0
	v_cvt_f32_fp8_sdwa v1, v1 src0_sel:BYTE_0
	s_nop 0
	v_mul_f32_e32 v1, v11, v1
	v_and_b32_e32 v2, 0x7f800000, v1
	v_cmp_ne_u32_e64 s[4:5], s30, v2
	s_and_saveexec_b64 s[26:27], s[4:5]
	s_xor_b64 s[4:5], exec, s[26:27]
; %bb.161:                              ;   in Loop: Header=BB341_13 Depth=1
	v_bfe_u32 v2, v1, 16, 1
	v_add3_u32 v1, v1, v2, s31
	v_accvgpr_write_b32 a34, v1
                                        ; implicit-def: $vgpr1
; %bb.162:                              ;   in Loop: Header=BB341_13 Depth=1
	s_andn2_saveexec_b64 s[26:27], s[4:5]
; %bb.163:                              ;   in Loop: Header=BB341_13 Depth=1
	v_or_b32_e32 v2, 0x10000, v1
	v_cmp_eq_u32_sdwa s[4:5], v1, v37 src0_sel:WORD_0 src1_sel:DWORD
	s_nop 1
	v_cndmask_b32_e64 v1, v2, v1, s[4:5]
	v_accvgpr_write_b32 a34, v1
; %bb.164:                              ;   in Loop: Header=BB341_13 Depth=1
	s_or_b64 exec, exec, s[26:27]
	v_lshrrev_b16_e32 v0, 8, v0
	v_cvt_f32_fp8_sdwa v0, v0 src0_sel:BYTE_0
                                        ; implicit-def: $agpr7
	s_nop 0
	v_mul_f32_e32 v0, v11, v0
	v_and_b32_e32 v1, 0x7f800000, v0
	v_cmp_ne_u32_e64 s[4:5], s30, v1
	s_and_saveexec_b64 s[26:27], s[4:5]
	s_xor_b64 s[4:5], exec, s[26:27]
; %bb.165:                              ;   in Loop: Header=BB341_13 Depth=1
	v_bfe_u32 v1, v0, 16, 1
	v_add3_u32 v0, v0, v1, s31
	v_accvgpr_write_b32 a7, v0
                                        ; implicit-def: $vgpr0
; %bb.166:                              ;   in Loop: Header=BB341_13 Depth=1
	s_andn2_saveexec_b64 s[26:27], s[4:5]
; %bb.167:                              ;   in Loop: Header=BB341_13 Depth=1
	v_or_b32_e32 v1, 0x10000, v0
	v_cmp_eq_u32_sdwa s[4:5], v0, v37 src0_sel:WORD_0 src1_sel:DWORD
	s_nop 1
	v_cndmask_b32_e64 v0, v1, v0, s[4:5]
	v_accvgpr_write_b32 a7, v0
; %bb.168:                              ;   in Loop: Header=BB341_13 Depth=1
	s_or_b64 exec, exec, s[26:27]
	flat_load_ushort v0, v[58:59] offset:2312
                                        ; implicit-def: $agpr9
	s_waitcnt vmcnt(0) lgkmcnt(0)
	v_and_b32_sdwa v1, s29, v0 dst_sel:DWORD dst_unused:UNUSED_PAD src0_sel:DWORD src1_sel:BYTE_0
	v_cvt_f32_fp8_sdwa v1, v1 src0_sel:BYTE_0
	s_nop 0
	v_mul_f32_e32 v1, v11, v1
	v_and_b32_e32 v2, 0x7f800000, v1
	v_cmp_ne_u32_e64 s[4:5], s30, v2
	s_and_saveexec_b64 s[26:27], s[4:5]
	s_xor_b64 s[4:5], exec, s[26:27]
; %bb.169:                              ;   in Loop: Header=BB341_13 Depth=1
	v_bfe_u32 v2, v1, 16, 1
	v_add3_u32 v1, v1, v2, s31
	v_accvgpr_write_b32 a9, v1
                                        ; implicit-def: $vgpr1
; %bb.170:                              ;   in Loop: Header=BB341_13 Depth=1
	s_andn2_saveexec_b64 s[26:27], s[4:5]
; %bb.171:                              ;   in Loop: Header=BB341_13 Depth=1
	v_or_b32_e32 v2, 0x10000, v1
	v_cmp_eq_u32_sdwa s[4:5], v1, v37 src0_sel:WORD_0 src1_sel:DWORD
	s_nop 1
	v_cndmask_b32_e64 v1, v2, v1, s[4:5]
	v_accvgpr_write_b32 a9, v1
; %bb.172:                              ;   in Loop: Header=BB341_13 Depth=1
	s_or_b64 exec, exec, s[26:27]
	v_lshrrev_b16_e32 v0, 8, v0
	v_cvt_f32_fp8_sdwa v0, v0 src0_sel:BYTE_0
                                        ; implicit-def: $agpr11
	s_nop 0
	v_mul_f32_e32 v0, v11, v0
	v_and_b32_e32 v1, 0x7f800000, v0
	v_cmp_ne_u32_e64 s[4:5], s30, v1
	s_and_saveexec_b64 s[26:27], s[4:5]
	s_xor_b64 s[4:5], exec, s[26:27]
; %bb.173:                              ;   in Loop: Header=BB341_13 Depth=1
	v_bfe_u32 v1, v0, 16, 1
	v_add3_u32 v0, v0, v1, s31
	v_accvgpr_write_b32 a11, v0
                                        ; implicit-def: $vgpr0
; %bb.174:                              ;   in Loop: Header=BB341_13 Depth=1
	s_andn2_saveexec_b64 s[26:27], s[4:5]
; %bb.175:                              ;   in Loop: Header=BB341_13 Depth=1
	v_or_b32_e32 v1, 0x10000, v0
	v_cmp_eq_u32_sdwa s[4:5], v0, v37 src0_sel:WORD_0 src1_sel:DWORD
	s_nop 1
	v_cndmask_b32_e64 v0, v1, v0, s[4:5]
	v_accvgpr_write_b32 a11, v0
; %bb.176:                              ;   in Loop: Header=BB341_13 Depth=1
	s_or_b64 exec, exec, s[26:27]
	flat_load_ushort v0, v[58:59] offset:2560
                                        ; implicit-def: $agpr6
	s_waitcnt vmcnt(0) lgkmcnt(0)
	v_and_b32_sdwa v1, s29, v0 dst_sel:DWORD dst_unused:UNUSED_PAD src0_sel:DWORD src1_sel:BYTE_0
	v_cvt_f32_fp8_sdwa v1, v1 src0_sel:BYTE_0
	s_nop 0
	v_mul_f32_e32 v1, v11, v1
	v_and_b32_e32 v2, 0x7f800000, v1
	v_cmp_ne_u32_e64 s[4:5], s30, v2
	s_and_saveexec_b64 s[26:27], s[4:5]
	s_xor_b64 s[4:5], exec, s[26:27]
; %bb.177:                              ;   in Loop: Header=BB341_13 Depth=1
	v_bfe_u32 v2, v1, 16, 1
	v_add3_u32 v1, v1, v2, s31
	v_accvgpr_write_b32 a6, v1
                                        ; implicit-def: $vgpr1
; %bb.178:                              ;   in Loop: Header=BB341_13 Depth=1
	s_andn2_saveexec_b64 s[26:27], s[4:5]
; %bb.179:                              ;   in Loop: Header=BB341_13 Depth=1
	v_or_b32_e32 v2, 0x10000, v1
	v_cmp_eq_u32_sdwa s[4:5], v1, v37 src0_sel:WORD_0 src1_sel:DWORD
	s_nop 1
	v_cndmask_b32_e64 v1, v2, v1, s[4:5]
	v_accvgpr_write_b32 a6, v1
; %bb.180:                              ;   in Loop: Header=BB341_13 Depth=1
	s_or_b64 exec, exec, s[26:27]
	v_lshrrev_b16_e32 v0, 8, v0
	v_cvt_f32_fp8_sdwa v0, v0 src0_sel:BYTE_0
                                        ; implicit-def: $agpr37
	s_nop 0
	v_mul_f32_e32 v0, v11, v0
	v_and_b32_e32 v1, 0x7f800000, v0
	v_cmp_ne_u32_e64 s[4:5], s30, v1
	s_and_saveexec_b64 s[26:27], s[4:5]
	s_xor_b64 s[4:5], exec, s[26:27]
; %bb.181:                              ;   in Loop: Header=BB341_13 Depth=1
	v_bfe_u32 v1, v0, 16, 1
	v_add3_u32 v0, v0, v1, s31
	v_accvgpr_write_b32 a37, v0
                                        ; implicit-def: $vgpr0
; %bb.182:                              ;   in Loop: Header=BB341_13 Depth=1
	s_andn2_saveexec_b64 s[26:27], s[4:5]
; %bb.183:                              ;   in Loop: Header=BB341_13 Depth=1
	v_or_b32_e32 v1, 0x10000, v0
	v_cmp_eq_u32_sdwa s[4:5], v0, v37 src0_sel:WORD_0 src1_sel:DWORD
	s_nop 1
	v_cndmask_b32_e64 v0, v1, v0, s[4:5]
	v_accvgpr_write_b32 a37, v0
; %bb.184:                              ;   in Loop: Header=BB341_13 Depth=1
	s_or_b64 exec, exec, s[26:27]
	flat_load_ushort v0, v[58:59] offset:2568
                                        ; implicit-def: $agpr38
	s_waitcnt vmcnt(0) lgkmcnt(0)
	v_and_b32_sdwa v1, s29, v0 dst_sel:DWORD dst_unused:UNUSED_PAD src0_sel:DWORD src1_sel:BYTE_0
	v_cvt_f32_fp8_sdwa v1, v1 src0_sel:BYTE_0
	s_nop 0
	v_mul_f32_e32 v1, v11, v1
	v_and_b32_e32 v2, 0x7f800000, v1
	v_cmp_ne_u32_e64 s[4:5], s30, v2
	s_and_saveexec_b64 s[26:27], s[4:5]
	s_xor_b64 s[4:5], exec, s[26:27]
; %bb.185:                              ;   in Loop: Header=BB341_13 Depth=1
	v_bfe_u32 v2, v1, 16, 1
	v_add3_u32 v1, v1, v2, s31
	v_accvgpr_write_b32 a38, v1
                                        ; implicit-def: $vgpr1
; %bb.186:                              ;   in Loop: Header=BB341_13 Depth=1
	s_andn2_saveexec_b64 s[26:27], s[4:5]
; %bb.187:                              ;   in Loop: Header=BB341_13 Depth=1
	v_or_b32_e32 v2, 0x10000, v1
	v_cmp_eq_u32_sdwa s[4:5], v1, v37 src0_sel:WORD_0 src1_sel:DWORD
	s_nop 1
	v_cndmask_b32_e64 v1, v2, v1, s[4:5]
	v_accvgpr_write_b32 a38, v1
; %bb.188:                              ;   in Loop: Header=BB341_13 Depth=1
	s_or_b64 exec, exec, s[26:27]
	v_lshrrev_b16_e32 v0, 8, v0
	v_cvt_f32_fp8_sdwa v0, v0 src0_sel:BYTE_0
                                        ; implicit-def: $agpr39
	s_nop 0
	v_mul_f32_e32 v0, v11, v0
	v_and_b32_e32 v1, 0x7f800000, v0
	v_cmp_ne_u32_e64 s[4:5], s30, v1
	s_and_saveexec_b64 s[26:27], s[4:5]
	s_xor_b64 s[4:5], exec, s[26:27]
; %bb.189:                              ;   in Loop: Header=BB341_13 Depth=1
	v_bfe_u32 v1, v0, 16, 1
	v_add3_u32 v0, v0, v1, s31
	v_accvgpr_write_b32 a39, v0
                                        ; implicit-def: $vgpr0
; %bb.190:                              ;   in Loop: Header=BB341_13 Depth=1
	s_andn2_saveexec_b64 s[26:27], s[4:5]
; %bb.191:                              ;   in Loop: Header=BB341_13 Depth=1
	v_or_b32_e32 v1, 0x10000, v0
	v_cmp_eq_u32_sdwa s[4:5], v0, v37 src0_sel:WORD_0 src1_sel:DWORD
	s_nop 1
	v_cndmask_b32_e64 v0, v1, v0, s[4:5]
	v_accvgpr_write_b32 a39, v0
; %bb.192:                              ;   in Loop: Header=BB341_13 Depth=1
	s_or_b64 exec, exec, s[26:27]
	flat_load_ushort v0, v[58:59] offset:2816
                                        ; implicit-def: $agpr32
	s_waitcnt vmcnt(0) lgkmcnt(0)
	v_and_b32_sdwa v1, s29, v0 dst_sel:DWORD dst_unused:UNUSED_PAD src0_sel:DWORD src1_sel:BYTE_0
	v_cvt_f32_fp8_sdwa v1, v1 src0_sel:BYTE_0
	s_nop 0
	v_mul_f32_e32 v1, v11, v1
	v_and_b32_e32 v2, 0x7f800000, v1
	v_cmp_ne_u32_e64 s[4:5], s30, v2
	s_and_saveexec_b64 s[26:27], s[4:5]
	s_xor_b64 s[4:5], exec, s[26:27]
; %bb.193:                              ;   in Loop: Header=BB341_13 Depth=1
	v_bfe_u32 v2, v1, 16, 1
	v_add3_u32 v1, v1, v2, s31
	v_accvgpr_write_b32 a32, v1
                                        ; implicit-def: $vgpr1
; %bb.194:                              ;   in Loop: Header=BB341_13 Depth=1
	s_andn2_saveexec_b64 s[26:27], s[4:5]
; %bb.195:                              ;   in Loop: Header=BB341_13 Depth=1
	v_or_b32_e32 v2, 0x10000, v1
	v_cmp_eq_u32_sdwa s[4:5], v1, v37 src0_sel:WORD_0 src1_sel:DWORD
	s_nop 1
	v_cndmask_b32_e64 v1, v2, v1, s[4:5]
	v_accvgpr_write_b32 a32, v1
; %bb.196:                              ;   in Loop: Header=BB341_13 Depth=1
	s_or_b64 exec, exec, s[26:27]
	v_lshrrev_b16_e32 v0, 8, v0
	v_cvt_f32_fp8_sdwa v0, v0 src0_sel:BYTE_0
                                        ; implicit-def: $agpr33
	s_nop 0
	v_mul_f32_e32 v0, v11, v0
	v_and_b32_e32 v1, 0x7f800000, v0
	v_cmp_ne_u32_e64 s[4:5], s30, v1
	s_and_saveexec_b64 s[26:27], s[4:5]
	s_xor_b64 s[4:5], exec, s[26:27]
; %bb.197:                              ;   in Loop: Header=BB341_13 Depth=1
	v_bfe_u32 v1, v0, 16, 1
	v_add3_u32 v0, v0, v1, s31
	v_accvgpr_write_b32 a33, v0
                                        ; implicit-def: $vgpr0
; %bb.198:                              ;   in Loop: Header=BB341_13 Depth=1
	s_andn2_saveexec_b64 s[26:27], s[4:5]
; %bb.199:                              ;   in Loop: Header=BB341_13 Depth=1
	v_or_b32_e32 v1, 0x10000, v0
	v_cmp_eq_u32_sdwa s[4:5], v0, v37 src0_sel:WORD_0 src1_sel:DWORD
	s_nop 1
	v_cndmask_b32_e64 v0, v1, v0, s[4:5]
	v_accvgpr_write_b32 a33, v0
; %bb.200:                              ;   in Loop: Header=BB341_13 Depth=1
	s_or_b64 exec, exec, s[26:27]
	flat_load_ushort v0, v[58:59] offset:2824
                                        ; implicit-def: $agpr10
	s_waitcnt vmcnt(0) lgkmcnt(0)
	v_and_b32_sdwa v1, s29, v0 dst_sel:DWORD dst_unused:UNUSED_PAD src0_sel:DWORD src1_sel:BYTE_0
	v_cvt_f32_fp8_sdwa v1, v1 src0_sel:BYTE_0
	s_nop 0
	v_mul_f32_e32 v1, v11, v1
	v_and_b32_e32 v2, 0x7f800000, v1
	v_cmp_ne_u32_e64 s[4:5], s30, v2
	s_and_saveexec_b64 s[26:27], s[4:5]
	s_xor_b64 s[4:5], exec, s[26:27]
; %bb.201:                              ;   in Loop: Header=BB341_13 Depth=1
	v_bfe_u32 v2, v1, 16, 1
	v_add3_u32 v1, v1, v2, s31
	v_accvgpr_write_b32 a10, v1
                                        ; implicit-def: $vgpr1
; %bb.202:                              ;   in Loop: Header=BB341_13 Depth=1
	s_andn2_saveexec_b64 s[26:27], s[4:5]
; %bb.203:                              ;   in Loop: Header=BB341_13 Depth=1
	v_or_b32_e32 v2, 0x10000, v1
	v_cmp_eq_u32_sdwa s[4:5], v1, v37 src0_sel:WORD_0 src1_sel:DWORD
	s_nop 1
	v_cndmask_b32_e64 v1, v2, v1, s[4:5]
	v_accvgpr_write_b32 a10, v1
; %bb.204:                              ;   in Loop: Header=BB341_13 Depth=1
	s_or_b64 exec, exec, s[26:27]
	v_lshrrev_b16_e32 v0, 8, v0
	v_cvt_f32_fp8_sdwa v0, v0 src0_sel:BYTE_0
                                        ; implicit-def: $agpr3
	s_nop 0
	v_mul_f32_e32 v0, v11, v0
	v_and_b32_e32 v1, 0x7f800000, v0
	v_cmp_ne_u32_e64 s[4:5], s30, v1
	s_and_saveexec_b64 s[26:27], s[4:5]
	s_xor_b64 s[4:5], exec, s[26:27]
; %bb.205:                              ;   in Loop: Header=BB341_13 Depth=1
	v_bfe_u32 v1, v0, 16, 1
	v_add3_u32 v0, v0, v1, s31
	v_accvgpr_write_b32 a3, v0
                                        ; implicit-def: $vgpr0
; %bb.206:                              ;   in Loop: Header=BB341_13 Depth=1
	s_andn2_saveexec_b64 s[26:27], s[4:5]
; %bb.207:                              ;   in Loop: Header=BB341_13 Depth=1
	v_or_b32_e32 v1, 0x10000, v0
	v_cmp_eq_u32_sdwa s[4:5], v0, v37 src0_sel:WORD_0 src1_sel:DWORD
	s_nop 1
	v_cndmask_b32_e64 v0, v1, v0, s[4:5]
	v_accvgpr_write_b32 a3, v0
; %bb.208:                              ;   in Loop: Header=BB341_13 Depth=1
	s_or_b64 exec, exec, s[26:27]
	flat_load_ushort v0, v[58:59] offset:3072
                                        ; implicit-def: $agpr42
	s_waitcnt vmcnt(0) lgkmcnt(0)
	v_and_b32_sdwa v1, s29, v0 dst_sel:DWORD dst_unused:UNUSED_PAD src0_sel:DWORD src1_sel:BYTE_0
	v_cvt_f32_fp8_sdwa v1, v1 src0_sel:BYTE_0
	s_nop 0
	v_mul_f32_e32 v1, v11, v1
	v_and_b32_e32 v2, 0x7f800000, v1
	v_cmp_ne_u32_e64 s[4:5], s30, v2
	s_and_saveexec_b64 s[26:27], s[4:5]
	s_xor_b64 s[4:5], exec, s[26:27]
; %bb.209:                              ;   in Loop: Header=BB341_13 Depth=1
	v_bfe_u32 v2, v1, 16, 1
	v_add3_u32 v1, v1, v2, s31
	v_accvgpr_write_b32 a42, v1
                                        ; implicit-def: $vgpr1
; %bb.210:                              ;   in Loop: Header=BB341_13 Depth=1
	s_andn2_saveexec_b64 s[26:27], s[4:5]
; %bb.211:                              ;   in Loop: Header=BB341_13 Depth=1
	v_or_b32_e32 v2, 0x10000, v1
	v_cmp_eq_u32_sdwa s[4:5], v1, v37 src0_sel:WORD_0 src1_sel:DWORD
	s_nop 1
	v_cndmask_b32_e64 v1, v2, v1, s[4:5]
	v_accvgpr_write_b32 a42, v1
; %bb.212:                              ;   in Loop: Header=BB341_13 Depth=1
	s_or_b64 exec, exec, s[26:27]
	v_lshrrev_b16_e32 v0, 8, v0
	v_cvt_f32_fp8_sdwa v0, v0 src0_sel:BYTE_0
                                        ; implicit-def: $agpr49
	s_nop 0
	v_mul_f32_e32 v0, v11, v0
	v_and_b32_e32 v1, 0x7f800000, v0
	v_cmp_ne_u32_e64 s[4:5], s30, v1
	s_and_saveexec_b64 s[26:27], s[4:5]
	s_xor_b64 s[4:5], exec, s[26:27]
; %bb.213:                              ;   in Loop: Header=BB341_13 Depth=1
	v_bfe_u32 v1, v0, 16, 1
	v_add3_u32 v0, v0, v1, s31
	v_accvgpr_write_b32 a49, v0
                                        ; implicit-def: $vgpr0
; %bb.214:                              ;   in Loop: Header=BB341_13 Depth=1
	s_andn2_saveexec_b64 s[26:27], s[4:5]
; %bb.215:                              ;   in Loop: Header=BB341_13 Depth=1
	v_or_b32_e32 v1, 0x10000, v0
	v_cmp_eq_u32_sdwa s[4:5], v0, v37 src0_sel:WORD_0 src1_sel:DWORD
	s_nop 1
	v_cndmask_b32_e64 v0, v1, v0, s[4:5]
	v_accvgpr_write_b32 a49, v0
; %bb.216:                              ;   in Loop: Header=BB341_13 Depth=1
	s_or_b64 exec, exec, s[26:27]
	flat_load_ushort v0, v[58:59] offset:3080
                                        ; implicit-def: $agpr48
	s_waitcnt vmcnt(0) lgkmcnt(0)
	v_and_b32_sdwa v1, s29, v0 dst_sel:DWORD dst_unused:UNUSED_PAD src0_sel:DWORD src1_sel:BYTE_0
	v_cvt_f32_fp8_sdwa v1, v1 src0_sel:BYTE_0
	s_nop 0
	v_mul_f32_e32 v2, v11, v1
	v_and_b32_e32 v1, 0x7f800000, v2
	v_cmp_ne_u32_e64 s[4:5], s30, v1
	s_and_saveexec_b64 s[26:27], s[4:5]
	s_xor_b64 s[4:5], exec, s[26:27]
; %bb.217:                              ;   in Loop: Header=BB341_13 Depth=1
	v_bfe_u32 v1, v2, 16, 1
	v_add3_u32 v1, v2, v1, s31
	v_accvgpr_write_b32 a48, v1
                                        ; implicit-def: $vgpr2
; %bb.218:                              ;   in Loop: Header=BB341_13 Depth=1
	s_andn2_saveexec_b64 s[26:27], s[4:5]
; %bb.219:                              ;   in Loop: Header=BB341_13 Depth=1
	v_or_b32_e32 v1, 0x10000, v2
	v_cmp_eq_u32_sdwa s[4:5], v2, v37 src0_sel:WORD_0 src1_sel:DWORD
	s_nop 1
	v_cndmask_b32_e64 v1, v1, v2, s[4:5]
	v_accvgpr_write_b32 a48, v1
; %bb.220:                              ;   in Loop: Header=BB341_13 Depth=1
	s_or_b64 exec, exec, s[26:27]
	v_lshrrev_b16_e32 v0, 8, v0
	v_cvt_f32_fp8_sdwa v0, v0 src0_sel:BYTE_0
                                        ; implicit-def: $agpr58
	s_nop 0
	v_mul_f32_e32 v2, v11, v0
	v_and_b32_e32 v0, 0x7f800000, v2
	v_cmp_ne_u32_e64 s[4:5], s30, v0
	s_and_saveexec_b64 s[26:27], s[4:5]
	s_xor_b64 s[4:5], exec, s[26:27]
; %bb.221:                              ;   in Loop: Header=BB341_13 Depth=1
	v_bfe_u32 v0, v2, 16, 1
	v_add3_u32 v0, v2, v0, s31
	v_accvgpr_write_b32 a58, v0
                                        ; implicit-def: $vgpr2
; %bb.222:                              ;   in Loop: Header=BB341_13 Depth=1
	s_andn2_saveexec_b64 s[26:27], s[4:5]
; %bb.223:                              ;   in Loop: Header=BB341_13 Depth=1
	v_or_b32_e32 v0, 0x10000, v2
	v_cmp_eq_u32_sdwa s[4:5], v2, v37 src0_sel:WORD_0 src1_sel:DWORD
	s_nop 1
	v_cndmask_b32_e64 v0, v0, v2, s[4:5]
	v_accvgpr_write_b32 a58, v0
; %bb.224:                              ;   in Loop: Header=BB341_13 Depth=1
	s_or_b64 exec, exec, s[26:27]
	flat_load_ushort v2, v[58:59] offset:3328
                                        ; implicit-def: $agpr45
	s_waitcnt vmcnt(0) lgkmcnt(0)
	v_and_b32_sdwa v3, s29, v2 dst_sel:DWORD dst_unused:UNUSED_PAD src0_sel:DWORD src1_sel:BYTE_0
	v_cvt_f32_fp8_sdwa v3, v3 src0_sel:BYTE_0
	s_nop 0
	v_mul_f32_e32 v12, v11, v3
	v_and_b32_e32 v3, 0x7f800000, v12
	v_cmp_ne_u32_e64 s[4:5], s30, v3
	s_and_saveexec_b64 s[26:27], s[4:5]
	s_xor_b64 s[4:5], exec, s[26:27]
; %bb.225:                              ;   in Loop: Header=BB341_13 Depth=1
	v_bfe_u32 v3, v12, 16, 1
	v_add3_u32 v0, v12, v3, s31
	v_accvgpr_write_b32 a45, v0
                                        ; implicit-def: $vgpr12
; %bb.226:                              ;   in Loop: Header=BB341_13 Depth=1
	s_andn2_saveexec_b64 s[26:27], s[4:5]
; %bb.227:                              ;   in Loop: Header=BB341_13 Depth=1
	v_or_b32_e32 v3, 0x10000, v12
	v_cmp_eq_u32_sdwa s[4:5], v12, v37 src0_sel:WORD_0 src1_sel:DWORD
	s_nop 1
	v_cndmask_b32_e64 v0, v3, v12, s[4:5]
	v_accvgpr_write_b32 a45, v0
; %bb.228:                              ;   in Loop: Header=BB341_13 Depth=1
	s_or_b64 exec, exec, s[26:27]
	v_lshrrev_b16_e32 v2, 8, v2
	v_cvt_f32_fp8_sdwa v2, v2 src0_sel:BYTE_0
                                        ; implicit-def: $agpr46
	s_nop 0
	v_mul_f32_e32 v2, v11, v2
	v_and_b32_e32 v12, 0x7f800000, v2
	v_cmp_ne_u32_e64 s[4:5], s30, v12
	s_and_saveexec_b64 s[26:27], s[4:5]
	s_xor_b64 s[4:5], exec, s[26:27]
; %bb.229:                              ;   in Loop: Header=BB341_13 Depth=1
	v_bfe_u32 v12, v2, 16, 1
	v_add3_u32 v0, v2, v12, s31
	v_accvgpr_write_b32 a46, v0
                                        ; implicit-def: $vgpr2
; %bb.230:                              ;   in Loop: Header=BB341_13 Depth=1
	s_andn2_saveexec_b64 s[26:27], s[4:5]
; %bb.231:                              ;   in Loop: Header=BB341_13 Depth=1
	v_or_b32_e32 v12, 0x10000, v2
	v_cmp_eq_u32_sdwa s[4:5], v2, v37 src0_sel:WORD_0 src1_sel:DWORD
	s_nop 1
	v_cndmask_b32_e64 v0, v12, v2, s[4:5]
	v_accvgpr_write_b32 a46, v0
; %bb.232:                              ;   in Loop: Header=BB341_13 Depth=1
	s_or_b64 exec, exec, s[26:27]
	flat_load_ushort v2, v[58:59] offset:3336
                                        ; implicit-def: $agpr47
	s_waitcnt vmcnt(0) lgkmcnt(0)
	v_and_b32_sdwa v12, s29, v2 dst_sel:DWORD dst_unused:UNUSED_PAD src0_sel:DWORD src1_sel:BYTE_0
	v_cvt_f32_fp8_sdwa v12, v12 src0_sel:BYTE_0
	s_nop 0
	v_mul_f32_e32 v12, v11, v12
	v_and_b32_e32 v13, 0x7f800000, v12
	v_cmp_ne_u32_e64 s[4:5], s30, v13
	s_and_saveexec_b64 s[26:27], s[4:5]
	s_xor_b64 s[4:5], exec, s[26:27]
; %bb.233:                              ;   in Loop: Header=BB341_13 Depth=1
	v_bfe_u32 v13, v12, 16, 1
	v_add3_u32 v0, v12, v13, s31
	v_accvgpr_write_b32 a47, v0
                                        ; implicit-def: $vgpr12
; %bb.234:                              ;   in Loop: Header=BB341_13 Depth=1
	s_andn2_saveexec_b64 s[26:27], s[4:5]
; %bb.235:                              ;   in Loop: Header=BB341_13 Depth=1
	v_or_b32_e32 v13, 0x10000, v12
	v_cmp_eq_u32_sdwa s[4:5], v12, v37 src0_sel:WORD_0 src1_sel:DWORD
	s_nop 1
	v_cndmask_b32_e64 v0, v13, v12, s[4:5]
	v_accvgpr_write_b32 a47, v0
; %bb.236:                              ;   in Loop: Header=BB341_13 Depth=1
	s_or_b64 exec, exec, s[26:27]
	v_lshrrev_b16_e32 v2, 8, v2
	v_cvt_f32_fp8_sdwa v2, v2 src0_sel:BYTE_0
                                        ; implicit-def: $agpr44
	s_nop 0
	v_mul_f32_e32 v12, v11, v2
	v_and_b32_e32 v2, 0x7f800000, v12
	v_cmp_ne_u32_e64 s[4:5], s30, v2
	s_and_saveexec_b64 s[26:27], s[4:5]
	s_xor_b64 s[4:5], exec, s[26:27]
; %bb.237:                              ;   in Loop: Header=BB341_13 Depth=1
	v_bfe_u32 v2, v12, 16, 1
	v_add3_u32 v0, v12, v2, s31
	v_accvgpr_write_b32 a44, v0
                                        ; implicit-def: $vgpr12
; %bb.238:                              ;   in Loop: Header=BB341_13 Depth=1
	s_andn2_saveexec_b64 s[26:27], s[4:5]
; %bb.239:                              ;   in Loop: Header=BB341_13 Depth=1
	v_or_b32_e32 v2, 0x10000, v12
	v_cmp_eq_u32_sdwa s[4:5], v12, v37 src0_sel:WORD_0 src1_sel:DWORD
	s_nop 1
	v_cndmask_b32_e64 v0, v2, v12, s[4:5]
	v_accvgpr_write_b32 a44, v0
; %bb.240:                              ;   in Loop: Header=BB341_13 Depth=1
	s_or_b64 exec, exec, s[26:27]
	flat_load_ushort v12, v[58:59] offset:3584
                                        ; implicit-def: $vgpr16
	s_waitcnt vmcnt(0) lgkmcnt(0)
	v_and_b32_sdwa v13, s29, v12 dst_sel:DWORD dst_unused:UNUSED_PAD src0_sel:DWORD src1_sel:BYTE_0
	v_cvt_f32_fp8_sdwa v13, v13 src0_sel:BYTE_0
	s_nop 0
	v_mul_f32_e32 v13, v11, v13
	v_and_b32_e32 v14, 0x7f800000, v13
	v_cmp_ne_u32_e64 s[4:5], s30, v14
	s_and_saveexec_b64 s[26:27], s[4:5]
	s_xor_b64 s[4:5], exec, s[26:27]
; %bb.241:                              ;   in Loop: Header=BB341_13 Depth=1
	v_bfe_u32 v14, v13, 16, 1
	v_add3_u32 v16, v13, v14, s31
                                        ; implicit-def: $vgpr13
; %bb.242:                              ;   in Loop: Header=BB341_13 Depth=1
	s_andn2_saveexec_b64 s[26:27], s[4:5]
; %bb.243:                              ;   in Loop: Header=BB341_13 Depth=1
	v_or_b32_e32 v14, 0x10000, v13
	v_cmp_eq_u32_sdwa s[4:5], v13, v37 src0_sel:WORD_0 src1_sel:DWORD
	s_nop 1
	v_cndmask_b32_e64 v16, v14, v13, s[4:5]
; %bb.244:                              ;   in Loop: Header=BB341_13 Depth=1
	s_or_b64 exec, exec, s[26:27]
	v_lshrrev_b16_e32 v12, 8, v12
	v_cvt_f32_fp8_sdwa v12, v12 src0_sel:BYTE_0
                                        ; implicit-def: $vgpr14
	s_nop 0
	v_mul_f32_e32 v12, v11, v12
	v_and_b32_e32 v13, 0x7f800000, v12
	v_cmp_ne_u32_e64 s[4:5], s30, v13
	s_and_saveexec_b64 s[26:27], s[4:5]
	s_xor_b64 s[4:5], exec, s[26:27]
; %bb.245:                              ;   in Loop: Header=BB341_13 Depth=1
	v_bfe_u32 v13, v12, 16, 1
	v_add3_u32 v14, v12, v13, s31
                                        ; implicit-def: $vgpr12
; %bb.246:                              ;   in Loop: Header=BB341_13 Depth=1
	s_andn2_saveexec_b64 s[26:27], s[4:5]
; %bb.247:                              ;   in Loop: Header=BB341_13 Depth=1
	v_or_b32_e32 v13, 0x10000, v12
	v_cmp_eq_u32_sdwa s[4:5], v12, v37 src0_sel:WORD_0 src1_sel:DWORD
	s_nop 1
	v_cndmask_b32_e64 v14, v13, v12, s[4:5]
; %bb.248:                              ;   in Loop: Header=BB341_13 Depth=1
	s_or_b64 exec, exec, s[26:27]
	flat_load_ushort v12, v[58:59] offset:3592
	s_waitcnt vmcnt(0) lgkmcnt(0)
	v_and_b32_sdwa v13, s29, v12 dst_sel:DWORD dst_unused:UNUSED_PAD src0_sel:DWORD src1_sel:BYTE_0
	v_cvt_f32_fp8_sdwa v13, v13 src0_sel:BYTE_0
	s_nop 0
	v_mul_f32_e32 v46, v11, v13
	v_and_b32_e32 v13, 0x7f800000, v46
	v_cmp_ne_u32_e64 s[4:5], s30, v13
                                        ; implicit-def: $vgpr13
	s_and_saveexec_b64 s[26:27], s[4:5]
	s_xor_b64 s[4:5], exec, s[26:27]
; %bb.249:                              ;   in Loop: Header=BB341_13 Depth=1
	v_bfe_u32 v13, v46, 16, 1
	v_add3_u32 v13, v46, v13, s31
                                        ; implicit-def: $vgpr46
; %bb.250:                              ;   in Loop: Header=BB341_13 Depth=1
	s_andn2_saveexec_b64 s[26:27], s[4:5]
; %bb.251:                              ;   in Loop: Header=BB341_13 Depth=1
	v_or_b32_e32 v13, 0x10000, v46
	v_cmp_eq_u32_sdwa s[4:5], v46, v37 src0_sel:WORD_0 src1_sel:DWORD
	s_nop 1
	v_cndmask_b32_e64 v13, v13, v46, s[4:5]
; %bb.252:                              ;   in Loop: Header=BB341_13 Depth=1
	s_or_b64 exec, exec, s[26:27]
	v_lshrrev_b16_e32 v12, 8, v12
	v_cvt_f32_fp8_sdwa v12, v12 src0_sel:BYTE_0
	s_nop 0
	v_mul_f32_e32 v46, v11, v12
	v_and_b32_e32 v12, 0x7f800000, v46
	v_cmp_ne_u32_e64 s[4:5], s30, v12
                                        ; implicit-def: $vgpr12
	s_and_saveexec_b64 s[26:27], s[4:5]
	s_xor_b64 s[4:5], exec, s[26:27]
; %bb.253:                              ;   in Loop: Header=BB341_13 Depth=1
	v_bfe_u32 v12, v46, 16, 1
	v_add3_u32 v12, v46, v12, s31
                                        ; implicit-def: $vgpr46
; %bb.254:                              ;   in Loop: Header=BB341_13 Depth=1
	s_andn2_saveexec_b64 s[26:27], s[4:5]
; %bb.255:                              ;   in Loop: Header=BB341_13 Depth=1
	v_or_b32_e32 v12, 0x10000, v46
	v_cmp_eq_u32_sdwa s[4:5], v46, v37 src0_sel:WORD_0 src1_sel:DWORD
	s_nop 1
	v_cndmask_b32_e64 v12, v12, v46, s[4:5]
; %bb.256:                              ;   in Loop: Header=BB341_13 Depth=1
	s_or_b64 exec, exec, s[26:27]
	flat_load_ushort v47, v[58:59] offset:3840
                                        ; implicit-def: $vgpr56
	s_waitcnt vmcnt(0) lgkmcnt(0)
	v_and_b32_sdwa v40, s29, v47 dst_sel:DWORD dst_unused:UNUSED_PAD src0_sel:DWORD src1_sel:BYTE_0
	v_cvt_f32_fp8_sdwa v40, v40 src0_sel:BYTE_0
	s_nop 0
	v_mul_f32_e32 v40, v11, v40
	v_and_b32_e32 v46, 0x7f800000, v40
	v_cmp_ne_u32_e64 s[4:5], s30, v46
	s_and_saveexec_b64 s[26:27], s[4:5]
	s_xor_b64 s[4:5], exec, s[26:27]
; %bb.257:                              ;   in Loop: Header=BB341_13 Depth=1
	v_bfe_u32 v46, v40, 16, 1
	v_add3_u32 v56, v40, v46, s31
                                        ; implicit-def: $vgpr40
; %bb.258:                              ;   in Loop: Header=BB341_13 Depth=1
	s_andn2_saveexec_b64 s[26:27], s[4:5]
; %bb.259:                              ;   in Loop: Header=BB341_13 Depth=1
	v_or_b32_e32 v46, 0x10000, v40
	v_cmp_eq_u32_sdwa s[4:5], v40, v37 src0_sel:WORD_0 src1_sel:DWORD
	s_nop 1
	v_cndmask_b32_e64 v56, v46, v40, s[4:5]
; %bb.260:                              ;   in Loop: Header=BB341_13 Depth=1
	s_or_b64 exec, exec, s[26:27]
	v_lshrrev_b16_e32 v40, 8, v47
	v_cvt_f32_fp8_sdwa v40, v40 src0_sel:BYTE_0
                                        ; implicit-def: $vgpr19
	s_nop 0
	v_mul_f32_e32 v40, v11, v40
	v_and_b32_e32 v47, 0x7f800000, v40
	v_cmp_ne_u32_e64 s[4:5], s30, v47
	s_and_saveexec_b64 s[26:27], s[4:5]
	s_xor_b64 s[4:5], exec, s[26:27]
; %bb.261:                              ;   in Loop: Header=BB341_13 Depth=1
	v_bfe_u32 v47, v40, 16, 1
	v_add3_u32 v19, v40, v47, s31
                                        ; implicit-def: $vgpr40
; %bb.262:                              ;   in Loop: Header=BB341_13 Depth=1
	s_andn2_saveexec_b64 s[26:27], s[4:5]
; %bb.263:                              ;   in Loop: Header=BB341_13 Depth=1
	v_or_b32_e32 v47, 0x10000, v40
	v_cmp_eq_u32_sdwa s[4:5], v40, v37 src0_sel:WORD_0 src1_sel:DWORD
	s_nop 1
	v_cndmask_b32_e64 v19, v47, v40, s[4:5]
; %bb.264:                              ;   in Loop: Header=BB341_13 Depth=1
	s_or_b64 exec, exec, s[26:27]
	flat_load_ushort v59, v[58:59] offset:3848
	s_waitcnt vmcnt(0) lgkmcnt(0)
	v_and_b32_sdwa v40, s29, v59 dst_sel:DWORD dst_unused:UNUSED_PAD src0_sel:DWORD src1_sel:BYTE_0
	v_cvt_f32_fp8_sdwa v40, v40 src0_sel:BYTE_0
	s_nop 0
	v_mul_f32_e32 v40, v11, v40
	v_and_b32_e32 v58, 0x7f800000, v40
	v_cmp_ne_u32_e64 s[4:5], s30, v58
                                        ; implicit-def: $vgpr58
	s_and_saveexec_b64 s[26:27], s[4:5]
	s_xor_b64 s[4:5], exec, s[26:27]
; %bb.265:                              ;   in Loop: Header=BB341_13 Depth=1
	v_bfe_u32 v58, v40, 16, 1
	v_add3_u32 v58, v40, v58, s31
                                        ; implicit-def: $vgpr40
; %bb.266:                              ;   in Loop: Header=BB341_13 Depth=1
	s_andn2_saveexec_b64 s[26:27], s[4:5]
; %bb.267:                              ;   in Loop: Header=BB341_13 Depth=1
	v_or_b32_e32 v58, 0x10000, v40
	v_cmp_eq_u32_sdwa s[4:5], v40, v37 src0_sel:WORD_0 src1_sel:DWORD
	s_nop 1
	v_cndmask_b32_e64 v58, v58, v40, s[4:5]
; %bb.268:                              ;   in Loop: Header=BB341_13 Depth=1
	s_or_b64 exec, exec, s[26:27]
	v_lshrrev_b16_e32 v40, 8, v59
	v_cvt_f32_fp8_sdwa v40, v40 src0_sel:BYTE_0
	s_nop 0
	v_mul_f32_e32 v40, v11, v40
	v_and_b32_e32 v11, 0x7f800000, v40
	v_cmp_ne_u32_e64 s[4:5], s30, v11
                                        ; implicit-def: $vgpr11
	s_and_saveexec_b64 s[26:27], s[4:5]
	s_xor_b64 s[4:5], exec, s[26:27]
; %bb.269:                              ;   in Loop: Header=BB341_13 Depth=1
	v_bfe_u32 v11, v40, 16, 1
	v_add3_u32 v11, v40, v11, s31
                                        ; implicit-def: $vgpr40
; %bb.270:                              ;   in Loop: Header=BB341_13 Depth=1
	s_or_saveexec_b64 s[26:27], s[4:5]
	v_accvgpr_write_b32 a40, v21
	s_xor_b64 exec, exec, s[26:27]
; %bb.271:                              ;   in Loop: Header=BB341_13 Depth=1
	v_or_b32_e32 v11, 0x10000, v40
	v_cmp_eq_u32_sdwa s[4:5], v40, v37 src0_sel:WORD_0 src1_sel:DWORD
	s_nop 1
	v_cndmask_b32_e64 v11, v11, v40, s[4:5]
; %bb.272:                              ;   in Loop: Header=BB341_13 Depth=1
	s_or_b64 exec, exec, s[26:27]
	v_accvgpr_read_b32 v44, a54
	v_accvgpr_read_b32 v45, a55
	;; [unrolled: 1-line block ×4, first 2 shown]
	v_lshlrev_b32_e32 v29, 16, v54
	v_lshlrev_b32_e32 v31, 16, v55
	v_and_b32_e32 v24, 0xffff0000, v54
	v_and_b32_e32 v41, 0xffff0000, v55
	v_lshlrev_b32_e32 v10, 16, v8
	v_lshlrev_b32_e32 v1, 16, v9
	v_and_b32_e32 v62, 0xffff0000, v8
	v_and_b32_e32 v20, 0xffff0000, v9
	v_lshlrev_b32_e32 v2, 16, v44
	v_lshlrev_b32_e32 v61, 16, v45
	;; [unrolled: 1-line block ×4, first 2 shown]
	v_and_b32_e32 v9, 0xffff0000, v44
	v_and_b32_e32 v15, 0xffff0000, v45
	;; [unrolled: 1-line block ×4, first 2 shown]
	scratch_load_dwordx4 v[44:47], off, s32 offset:272 ; 16-byte Folded Reload
	v_lshlrev_b32_e32 v40, 16, v52
	v_and_b32_e32 v25, 0xffff0000, v52
	v_lshlrev_b32_e32 v42, 16, v48
	v_lshlrev_b32_e32 v5, 16, v51
	v_and_b32_e32 v21, 0xffff0000, v48
	v_and_b32_e32 v30, 0xffff0000, v51
	v_lshlrev_b32_e32 v4, 16, v6
	v_and_b32_e32 v0, 0xffff0000, v6
	v_lshlrev_b32_e32 v22, 16, v7
	v_and_b32_e32 v3, 0xffff0000, v7
	v_lshlrev_b32_e32 v28, 16, v53
	v_and_b32_e32 v53, 0xffff0000, v53
	v_lshlrev_b32_e32 v43, 16, v49
	v_and_b32_e32 v49, 0xffff0000, v49
	v_lshlrev_b32_e32 v27, 16, v50
	v_and_b32_e32 v50, 0xffff0000, v50
	v_and_b32_e32 v14, 0xffff0000, v14
	;; [unrolled: 1-line block ×4, first 2 shown]
	scratch_load_dword v7, off, s32 offset:252 ; 4-byte Folded Reload
	s_waitcnt vmcnt(1)
	v_lshlrev_b32_e32 v52, 16, v44
	v_lshlrev_b32_e32 v39, 16, v45
	;; [unrolled: 1-line block ×4, first 2 shown]
	v_and_b32_e32 v51, 0xffff0000, v44
	v_and_b32_e32 v48, 0xffff0000, v45
	;; [unrolled: 1-line block ×4, first 2 shown]
	scratch_load_dwordx4 v[44:47], off, s32 offset:256 ; 16-byte Folded Reload
	v_accvgpr_write_b32 a55, v6
	s_waitcnt vmcnt(1)
	v_and_b32_e32 v7, 0xffff0000, v7
	s_waitcnt vmcnt(0)
	v_lshlrev_b32_e32 v6, 16, v45
	v_accvgpr_write_b32 a54, v6
	v_lshlrev_b32_e32 v6, 16, v46
	v_accvgpr_write_b32 a52, v6
	;; [unrolled: 2-line block ×3, first 2 shown]
	v_and_b32_e32 v6, 0xffff0000, v46
	v_accvgpr_write_b32 a53, v6
	v_and_b32_e32 v6, 0xffff0000, v34
	v_mul_f32_e32 v6, v28, v6
	v_fmac_f32_e32 v6, v40, v7
	v_accvgpr_read_b32 v7, a59
	v_and_b32_e32 v7, 0xffff0000, v7
	v_accvgpr_read_b32 v28, a50
	v_mul_f32_e32 v7, v53, v7
	v_and_b32_e32 v28, 0xffff0000, v28
	v_fmac_f32_e32 v7, v25, v28
	v_accvgpr_read_b32 v25, a60
	v_and_b32_e32 v25, 0xffff0000, v25
	v_fmac_f32_e32 v6, v29, v25
	v_accvgpr_read_b32 v25, a61
	;; [unrolled: 3-line block ×20, first 2 shown]
	v_accvgpr_read_b32 v3, a49
	v_and_b32_e32 v0, 0xffff0000, v0
	v_and_b32_e32 v46, 0xffff0000, v3
	v_accvgpr_read_b32 v3, a42
	v_fmac_f32_e32 v7, v20, v0
	v_accvgpr_read_b32 v0, a21
	v_and_b32_e32 v22, 0xffff0000, v3
	v_accvgpr_read_b32 v3, a3
	v_lshlrev_b32_e32 v57, 16, v44
	v_and_b32_e32 v17, 0xffff0000, v44
	v_and_b32_e32 v44, 0xffff0000, v45
	;; [unrolled: 1-line block ×5, first 2 shown]
	v_accvgpr_read_b32 v3, a10
	v_fmac_f32_e32 v6, v2, v0
	v_accvgpr_read_b32 v0, a18
	v_and_b32_e32 v30, 0xffff0000, v3
	v_accvgpr_read_b32 v3, a33
	v_and_b32_e32 v0, 0xffff0000, v0
	v_and_b32_e32 v21, 0xffff0000, v3
	v_accvgpr_read_b32 v3, a32
	v_fmac_f32_e32 v7, v9, v0
	v_accvgpr_read_b32 v0, a16
	v_and_b32_e32 v27, 0xffff0000, v3
	v_accvgpr_read_b32 v3, a39
	v_and_b32_e32 v0, 0xffff0000, v0
	v_and_b32_e32 v43, 0xffff0000, v3
	;; [unrolled: 7-line block ×4, first 2 shown]
	v_accvgpr_read_b32 v3, a9
	v_fmac_f32_e32 v6, v8, v0
	v_and_b32_e32 v8, 0xffff0000, v3
	v_accvgpr_read_b32 v3, a7
	v_and_b32_e32 v15, 0xffff0000, v16
	v_and_b32_e32 v16, 0xffff0000, v3
	v_accvgpr_read_b32 v3, a34
	v_and_b32_e32 v28, 0xffff0000, v3
	v_accvgpr_read_b32 v3, a14
	;; [unrolled: 2-line block ×4, first 2 shown]
	v_and_b32_e32 v49, 0xffff0000, v19
	v_and_b32_e32 v40, 0xffff0000, v3
	v_accvgpr_read_b32 v3, a5
	scratch_load_dword v19, off, s32 offset:248 ; 4-byte Folded Reload
	v_and_b32_e32 v41, 0xffff0000, v3
	v_accvgpr_read_b32 v3, a4
	v_and_b32_e32 v34, 0xffff0000, v58
	v_and_b32_e32 v58, 0xffff0000, v3
	v_accvgpr_read_b32 v3, a41
	v_and_b32_e32 v61, 0xffff0000, v3
	v_accvgpr_read_b32 v3, a2
	v_and_b32_e32 v4, 0xffff0000, v3
	scratch_load_dword v3, off, s32 offset:312 ; 4-byte Folded Reload
	v_fmac_f32_e32 v7, v59, v4
	v_fmac_f32_e32 v6, v54, v61
	;; [unrolled: 1-line block ×9, first 2 shown]
	v_accvgpr_read_b32 v16, a55
	v_fmac_f32_e32 v6, v16, v8
	v_fmac_f32_e32 v7, v35, v5
	;; [unrolled: 1-line block ×3, first 2 shown]
	v_accvgpr_read_b32 v5, a54
	v_fmac_f32_e32 v7, v17, v24
	v_fmac_f32_e32 v6, v5, v42
	v_accvgpr_read_b32 v5, a52
	v_fmac_f32_e32 v7, v44, v43
	v_fmac_f32_e32 v6, v5, v27
	v_accvgpr_read_b32 v5, a53
	v_fmac_f32_e32 v7, v5, v21
	v_accvgpr_read_b32 v21, a40
	v_accvgpr_read_b32 v0, a44
	ds_read2_b32 v[16:17], v21 offset0:25 offset1:26
	v_and_b32_e32 v9, 0xffff0000, v0
	v_accvgpr_read_b32 v0, a47
	v_and_b32_e32 v20, 0xffff0000, v0
	v_accvgpr_read_b32 v0, a46
	v_and_b32_e32 v53, 0xffff0000, v0
	v_accvgpr_read_b32 v0, a45
	v_accvgpr_read_b32 v5, a51
	v_and_b32_e32 v50, 0xffff0000, v56
	v_and_b32_e32 v2, 0xffff0000, v0
	v_accvgpr_read_b32 v0, a58
	v_accvgpr_read_b32 v1, a48
	v_fmac_f32_e32 v6, v5, v30
	v_fmac_f32_e32 v7, v45, v47
	v_and_b32_e32 v0, 0xffff0000, v0
	v_and_b32_e32 v1, 0xffff0000, v1
	s_waitcnt lgkmcnt(0)
	v_lshlrev_b32_e32 v8, 16, v16
	v_and_b32_e32 v16, 0xffff0000, v16
	s_waitcnt vmcnt(1)
	v_lshlrev_b32_e32 v62, 16, v19
	v_and_b32_e32 v56, 0xffff0000, v19
	ds_read2_b32 v[18:19], v21 offset0:27 offset1:28
	ds_read2_b32 v[24:25], v21 offset0:29 offset1:30
	ds_read_b32 v5, v21 offset:124
	v_fmac_f32_e32 v6, v62, v22
	v_fmac_f32_e32 v7, v56, v46
	;; [unrolled: 1-line block ×4, first 2 shown]
	v_lshlrev_b32_e32 v0, 16, v17
	v_and_b32_e32 v1, 0xffff0000, v17
	v_fmac_f32_e32 v6, v0, v2
	v_fmac_f32_e32 v7, v1, v53
	s_waitcnt lgkmcnt(2)
	v_lshlrev_b32_e32 v0, 16, v18
	v_and_b32_e32 v1, 0xffff0000, v18
	s_waitcnt vmcnt(0)
	v_and_b32_e32 v4, 64, v3
	v_fmac_f32_e32 v6, v0, v20
	v_fmac_f32_e32 v7, v1, v9
	v_lshlrev_b32_e32 v0, 16, v19
	v_and_b32_e32 v1, 0xffff0000, v19
	v_add_u32_e32 v4, 64, v4
	v_xor_b32_e32 v10, 2, v3
	v_fmac_f32_e32 v6, v0, v15
	v_fmac_f32_e32 v7, v1, v14
	s_waitcnt lgkmcnt(1)
	v_lshlrev_b32_e32 v0, 16, v24
	v_and_b32_e32 v1, 0xffff0000, v24
	v_cmp_lt_i32_e64 s[4:5], v10, v4
	v_fmac_f32_e32 v6, v0, v13
	v_fmac_f32_e32 v7, v1, v12
	v_lshlrev_b32_e32 v0, 16, v25
	v_and_b32_e32 v1, 0xffff0000, v25
	v_cndmask_b32_e64 v59, v3, v10, s[4:5]
	v_and_b32_e32 v10, 0xffff0000, v11
	v_fmac_f32_e32 v6, v0, v50
	v_fmac_f32_e32 v7, v1, v49
	s_waitcnt lgkmcnt(0)
	v_lshlrev_b32_e32 v0, 16, v5
	v_and_b32_e32 v1, 0xffff0000, v5
	v_fmac_f32_e32 v6, v0, v34
	v_fmac_f32_e32 v7, v1, v10
	v_lshlrev_b32_e32 v11, 2, v59
	v_add_f32_e32 v0, v6, v7
	ds_bpermute_b32 v1, v11, v0
	v_xor_b32_e32 v2, 1, v3
	v_cmp_lt_i32_e64 s[4:5], v2, v4
	s_waitcnt lgkmcnt(0)
	v_add_f32_e32 v0, v0, v1
	v_cndmask_b32_e64 v2, v3, v2, s[4:5]
	v_lshlrev_b32_e32 v2, 2, v2
	ds_bpermute_b32 v1, v2, v0
	s_and_saveexec_b64 s[26:27], vcc
	s_cbranch_execz .LBB341_11
; %bb.273:                              ;   in Loop: Header=BB341_13 Depth=1
	scratch_load_dword v2, off, s32 offset:336 ; 4-byte Folded Reload
	scratch_load_dword v4, off, s32 offset:324 ; 4-byte Folded Reload
	s_waitcnt lgkmcnt(0)
	v_add_f32_e32 v0, v0, v1
	scratch_load_dword v1, off, s32 offset:328 ; 4-byte Folded Reload
	scratch_load_dword v3, off, s32 offset:332 ; 4-byte Folded Reload
	s_load_dword s4, s[22:23], 0x0
	s_waitcnt vmcnt(3)
	v_add_u32_e32 v2, v2, v60
	v_cvt_f32_i32_e32 v2, v2
	s_waitcnt vmcnt(2)
	v_mul_f32_e32 v2, v4, v2
	v_cndmask_b32_e64 v2, 0, v2, s[2:3]
	s_waitcnt vmcnt(1)
	v_fmac_f32_e32 v2, v0, v1
	scratch_load_dword v1, off, s32 offset:308 ; 4-byte Folded Reload
	scratch_load_dword v0, off, s32 offset:196 ; 4-byte Folded Reload
	s_waitcnt vmcnt(2)
	v_add_u32_e32 v3, v3, v60
	s_waitcnt lgkmcnt(0)
	v_add_u32_e32 v4, s4, v23
	s_waitcnt vmcnt(0)
	v_cmp_lt_i32_e64 s[4:5], v3, v0
	s_nop 1
	v_cndmask_b32_e64 v0, 0, v2, s[4:5]
	ds_write_b32 v4, v0
	v_max_f32_e32 v0, v1, v1
	v_max_f32_e32 v0, v0, v2
	v_cndmask_b32_e64 v1, v1, v0, s[4:5]
	scratch_store_dword off, v1, s32 offset:308 ; 4-byte Folded Spill
	s_branch .LBB341_11
.LBB341_274:
	s_or_b64 exec, exec, s[24:25]
	scratch_load_dwordx2 v[26:27], off, s32 offset:408 ; 8-byte Folded Reload
	scratch_load_dword v30, off, s32 offset:404 ; 4-byte Folded Reload
	scratch_load_dwordx2 v[36:37], off, s32 offset:396 ; 8-byte Folded Reload
	scratch_load_dwordx2 v[24:25], off, s32 offset:388 ; 8-byte Folded Reload
	;; [unrolled: 1-line block ×4, first 2 shown]
	scratch_load_dword v22, off, s32 offset:376 ; 4-byte Folded Reload
	scratch_load_dword v28, off, s32 offset:352 ; 4-byte Folded Reload
	scratch_load_dwordx2 v[38:39], off, s32 offset:356 ; 8-byte Folded Reload
	scratch_load_dword v23, off, s32 offset:364 ; 4-byte Folded Reload
	scratch_load_dword v5, off, s32 offset:308 ; 4-byte Folded Reload
	v_mbcnt_lo_u32_b32 v0, -1, 0
.LBB341_275:
	s_or_b64 exec, exec, s[8:9]
	v_mbcnt_hi_u32_b32 v2, -1, v0
	v_and_b32_e32 v0, 64, v2
	v_add_u32_e32 v3, 64, v0
	v_xor_b32_e32 v0, 32, v2
	v_cmp_lt_i32_e32 vcc, v0, v3
	s_waitcnt vmcnt(0) lgkmcnt(0)
	v_max_f32_e32 v1, v5, v5
	v_xor_b32_e32 v6, 16, v2
	v_cndmask_b32_e32 v0, v2, v0, vcc
	v_lshlrev_b32_e32 v4, 2, v0
	ds_bpermute_b32 v0, v4, v5
	scratch_load_dword v5, off, s32 offset:288 ; 4-byte Folded Reload
	v_cmp_lt_i32_e32 vcc, v6, v3
	v_xor_b32_e32 v7, 8, v2
	s_lshr_b32 s24, s28, 16
	s_waitcnt lgkmcnt(0)
	v_max_f32_e32 v0, v0, v0
	v_max_f32_e32 v0, v1, v0
	v_cndmask_b32_e32 v1, v2, v6, vcc
	v_lshlrev_b32_e32 v6, 2, v1
	ds_bpermute_b32 v1, v6, v0
	v_cmp_lt_i32_e32 vcc, v7, v3
	s_waitcnt lgkmcnt(0)
	v_max_f32_e32 v1, v1, v1
	v_max_f32_e32 v0, v0, v1
	v_cndmask_b32_e32 v1, v2, v7, vcc
	v_lshlrev_b32_e32 v9, 2, v1
	ds_bpermute_b32 v1, v9, v0
	v_xor_b32_e32 v7, 4, v2
	v_cmp_lt_i32_e32 vcc, v7, v3
	s_waitcnt lgkmcnt(0)
	v_max_f32_e32 v1, v1, v1
	v_max_f32_e32 v0, v0, v1
	v_cndmask_b32_e32 v1, v2, v7, vcc
	v_lshlrev_b32_e32 v11, 2, v1
	ds_bpermute_b32 v1, v11, v0
	v_lshlrev_b32_e32 v7, 2, v22
	s_waitcnt vmcnt(0)
	v_and_b32_e32 v61, 63, v5
	v_cmp_eq_u32_e32 vcc, 0, v61
	s_and_saveexec_b64 s[2:3], vcc
	s_cbranch_execz .LBB341_277
; %bb.276:
	s_waitcnt lgkmcnt(0)
	v_max_f32_e32 v1, v1, v1
	v_max_f32_e32 v0, v0, v0
	;; [unrolled: 1-line block ×3, first 2 shown]
	ds_write_b32 v7, v0 offset:512
.LBB341_277:
	s_or_b64 exec, exec, s[2:3]
	v_cmp_gt_u32_e64 s[2:3], 2, v61
	v_mov_b32_e32 v0, 0xff7fffff
	v_lshlrev_b32_e32 v8, 2, v61
	s_waitcnt lgkmcnt(0)
	s_barrier
	s_and_saveexec_b64 s[4:5], s[2:3]
	s_cbranch_execz .LBB341_279
; %bb.278:
	ds_read_b32 v0, v8 offset:512
.LBB341_279:
	s_or_b64 exec, exec, s[4:5]
	v_xor_b32_e32 v1, 1, v2
	v_cmp_lt_i32_e64 s[4:5], v1, v3
	scratch_load_dword v5, off, s32 offset:208 ; 4-byte Folded Reload
	v_mov_b32_e32 v13, 0
	v_cndmask_b32_e64 v1, v2, v1, s[4:5]
	v_lshlrev_b32_e32 v20, 2, v1
	s_waitcnt lgkmcnt(0)
	ds_bpermute_b32 v1, v20, v0
	v_max_f32_e32 v0, v0, v0
	s_waitcnt lgkmcnt(0)
	v_max_f32_e32 v1, v1, v1
	v_max_f32_e32 v0, v0, v1
	v_lshlrev_b32_e32 v1, 2, v2
	v_and_b32_e32 v12, 0x100, v1
	scratch_load_dword v1, off, s32 offset:196 ; 4-byte Folded Reload
	ds_bpermute_b32 v0, v12, v0
	s_waitcnt vmcnt(1)
	v_subrev_u32_e32 v5, s19, v5
	v_lshl_add_u32 v5, v5, 4, s15
	s_waitcnt vmcnt(0)
	v_min_i32_e32 v10, v5, v1
	scratch_load_dword v5, off, s32 offset:288 ; 4-byte Folded Reload
	v_subrev_u32_e32 v1, s15, v10
	s_waitcnt vmcnt(0)
	v_cmp_lt_i32_e64 s[4:5], v5, v1
	s_and_saveexec_b64 s[8:9], s[4:5]
	s_cbranch_execz .LBB341_283
; %bb.280:
	scratch_load_dword v15, off, s32 offset:288 ; 4-byte Folded Reload
	s_ashr_i32 s21, s20, 31
	s_lshl_b64 s[6:7], s[20:21], 2
	s_getpc_b64 s[22:23]
	s_add_u32 s22, s22, llvm.amdgcn.dynlds.offset.table@rel32@lo+4
	s_addc_u32 s23, s23, llvm.amdgcn.dynlds.offset.table@rel32@hi+12
	s_add_u32 s6, s6, s22
	s_addc_u32 s7, s7, s23
	s_load_dword s6, s[6:7], 0x0
	s_mov_b64 s[22:23], 0
	v_mov_b32_e32 v13, 0
	s_waitcnt vmcnt(0) lgkmcnt(0)
	v_lshl_add_u32 v14, v15, 2, s6
.LBB341_281:                            ; =>This Inner Loop Header: Depth=1
	ds_read_b32 v5, v14
	v_add_u32_e32 v15, 0x80, v15
	v_cmp_ge_i32_e64 s[6:7], v15, v1
	s_or_b64 s[22:23], s[6:7], s[22:23]
	s_waitcnt lgkmcnt(0)
	v_sub_f32_e32 v5, v5, v0
	v_mul_f32_e32 v5, 0x3fb8aa3b, v5
	v_exp_f32_e32 v5, v5
	ds_write_b32 v14, v5
	v_add_f32_e32 v13, v13, v5
	v_add_u32_e32 v14, 0x200, v14
	s_andn2_b64 exec, exec, s[22:23]
	s_cbranch_execnz .LBB341_281
; %bb.282:
	s_or_b64 exec, exec, s[22:23]
.LBB341_283:
	s_or_b64 exec, exec, s[8:9]
	ds_bpermute_b32 v4, v4, v13
	s_waitcnt lgkmcnt(0)
	v_add_f32_e32 v4, v13, v4
	ds_bpermute_b32 v5, v6, v4
	v_xor_b32_e32 v6, 2, v2
	v_cmp_lt_i32_e64 s[6:7], v6, v3
	s_waitcnt lgkmcnt(0)
	v_add_f32_e32 v4, v4, v5
	ds_bpermute_b32 v5, v9, v4
	v_cndmask_b32_e64 v2, v2, v6, s[6:7]
	v_lshlrev_b32_e32 v2, 2, v2
	s_waitcnt lgkmcnt(0)
	v_add_f32_e32 v4, v4, v5
	ds_bpermute_b32 v5, v11, v4
	s_waitcnt lgkmcnt(0)
	v_add_f32_e32 v3, v4, v5
	ds_bpermute_b32 v2, v2, v3
	;; [unrolled: 3-line block ×3, first 2 shown]
	s_waitcnt lgkmcnt(0)
	v_add_f32_e32 v2, v2, v3
	s_and_saveexec_b64 s[6:7], vcc
	s_cbranch_execz .LBB341_285
; %bb.284:
	ds_write_b32 v7, v2 offset:520
.LBB341_285:
	s_or_b64 exec, exec, s[6:7]
	s_waitcnt lgkmcnt(0)
	s_barrier
	s_and_saveexec_b64 s[6:7], s[2:3]
	s_cbranch_execz .LBB341_287
; %bb.286:
	ds_read_b32 v2, v8 offset:520
.LBB341_287:
	s_or_b64 exec, exec, s[6:7]
	s_waitcnt lgkmcnt(0)
	ds_bpermute_b32 v3, v20, v2
	s_waitcnt lgkmcnt(0)
	v_add_f32_e32 v2, v2, v3
	ds_bpermute_b32 v2, v12, v2
	s_and_saveexec_b64 s[2:3], s[4:5]
	s_cbranch_execz .LBB341_300
; %bb.288:
	s_waitcnt lgkmcnt(0)
	v_add_f32_e32 v3, 0x358637bd, v2
	v_div_scale_f32 v4, s[4:5], v3, v3, 1.0
	v_rcp_f32_e32 v5, v4
	v_div_scale_f32 v6, vcc, 1.0, v3, 1.0
	s_movk_i32 s4, 0x7f
	v_fma_f32 v7, -v4, v5, 1.0
	v_fmac_f32_e32 v5, v7, v5
	v_mul_f32_e32 v7, v6, v5
	v_fma_f32 v8, -v4, v7, v6
	v_fmac_f32_e32 v7, v8, v5
	v_fma_f32 v4, -v4, v7, v6
	v_div_fmas_f32 v4, v4, v5, v7
	scratch_load_dword v5, off, s32 offset:288 ; 4-byte Folded Reload
	v_div_fixup_f32 v6, v4, v3, 1.0
	s_mov_b64 s[6:7], -1
	s_waitcnt vmcnt(0)
	v_xad_u32 v3, v5, -1, v10
	v_subrev_u32_e32 v4, s15, v3
	v_cmp_lt_u32_e32 vcc, s4, v4
	v_mov_b32_e32 v3, v5
	s_and_saveexec_b64 s[4:5], vcc
	s_cbranch_execz .LBB341_297
; %bb.289:
	v_lshrrev_b32_e32 v3, 7, v4
	v_add_u32_e32 v5, -1, v3
	v_lshrrev_b32_e32 v4, 1, v5
	v_mov_b32_e32 v7, v6
	v_add_u32_e32 v4, 1, v4
	v_cmp_lt_u32_e32 vcc, 13, v5
	v_mov_b32_e32 v10, 0
	s_and_saveexec_b64 s[6:7], vcc
	s_cbranch_execz .LBB341_293
; %bb.290:
	scratch_load_dword v5, off, s32 offset:288 ; 4-byte Folded Reload
	s_ashr_i32 s21, s20, 31
	s_lshl_b64 s[8:9], s[20:21], 2
	s_getpc_b64 s[22:23]
	s_add_u32 s22, s22, llvm.amdgcn.dynlds.offset.table@rel32@lo+4
	s_addc_u32 s23, s23, llvm.amdgcn.dynlds.offset.table@rel32@hi+12
	s_add_u32 s8, s8, s22
	s_addc_u32 s9, s9, s23
	s_load_dword s8, s[8:9], 0x0
	v_and_b32_e32 v8, -8, v4
	s_mov_b32 s15, 0
	s_waitcnt vmcnt(0) lgkmcnt(0)
	v_lshl_add_u32 v9, v5, 2, s8
	s_mov_b64 s[8:9], 0
.LBB341_291:                            ; =>This Inner Loop Header: Depth=1
	ds_read2st64_b32 v[10:11], v9 offset1:2
	ds_read2st64_b32 v[12:13], v9 offset0:4 offset1:6
	ds_read2st64_b32 v[14:15], v9 offset0:8 offset1:10
	;; [unrolled: 1-line block ×3, first 2 shown]
	v_add_u32_e32 v8, -8, v8
	s_waitcnt lgkmcnt(3)
	v_pk_mul_f32 v[10:11], v[6:7], v[10:11]
	s_waitcnt lgkmcnt(2)
	v_pk_mul_f32 v[12:13], v[6:7], v[12:13]
	ds_write2st64_b32 v9, v10, v11 offset1:2
	ds_write2st64_b32 v9, v12, v13 offset0:4 offset1:6
	ds_read2st64_b32 v[12:13], v9 offset0:16 offset1:18
	s_waitcnt lgkmcnt(4)
	v_pk_mul_f32 v[10:11], v[6:7], v[14:15]
	ds_write2st64_b32 v9, v10, v11 offset0:8 offset1:10
	s_waitcnt lgkmcnt(4)
	v_pk_mul_f32 v[10:11], v[6:7], v[16:17]
	ds_write2st64_b32 v9, v10, v11 offset0:12 offset1:14
	ds_read2st64_b32 v[10:11], v9 offset0:20 offset1:22
	s_waitcnt lgkmcnt(3)
	v_pk_mul_f32 v[12:13], v[6:7], v[12:13]
	ds_read2st64_b32 v[14:15], v9 offset0:24 offset1:26
	ds_write2st64_b32 v9, v12, v13 offset0:16 offset1:18
	ds_read2st64_b32 v[12:13], v9 offset0:28 offset1:30
	s_waitcnt lgkmcnt(3)
	v_pk_mul_f32 v[10:11], v[6:7], v[10:11]
	ds_write2st64_b32 v9, v10, v11 offset0:20 offset1:22
	s_waitcnt lgkmcnt(3)
	v_pk_mul_f32 v[10:11], v[6:7], v[14:15]
	ds_write2st64_b32 v9, v10, v11 offset0:24 offset1:26
	s_waitcnt lgkmcnt(2)
	v_pk_mul_f32 v[10:11], v[6:7], v[12:13]
	s_add_i32 s15, s15, 16
	v_cmp_eq_u32_e32 vcc, 0, v8
	ds_write2st64_b32 v9, v10, v11 offset0:28 offset1:30
	v_add_u32_e32 v9, 0x2000, v9
	s_or_b64 s[8:9], vcc, s[8:9]
	v_mov_b32_e32 v10, s15
	s_andn2_b64 exec, exec, s[8:9]
	s_cbranch_execnz .LBB341_291
; %bb.292:
	s_or_b64 exec, exec, s[8:9]
.LBB341_293:
	s_or_b64 exec, exec, s[6:7]
	v_and_b32_e32 v4, 7, v4
	v_cmp_ne_u32_e32 vcc, 0, v4
	s_and_saveexec_b64 s[6:7], vcc
	s_cbranch_execz .LBB341_296
; %bb.294:
	scratch_load_dword v8, off, s32 offset:288 ; 4-byte Folded Reload
	s_ashr_i32 s21, s20, 31
	s_lshl_b64 s[8:9], s[20:21], 2
	s_getpc_b64 s[22:23]
	s_add_u32 s22, s22, llvm.amdgcn.dynlds.offset.table@rel32@lo+4
	s_addc_u32 s23, s23, llvm.amdgcn.dynlds.offset.table@rel32@hi+12
	s_add_u32 s8, s8, s22
	s_addc_u32 s9, s9, s23
	s_load_dword s8, s[8:9], 0x0
	v_lshlrev_b32_e32 v5, 9, v10
	s_waitcnt vmcnt(0)
	v_lshlrev_b32_e32 v8, 2, v8
	s_waitcnt lgkmcnt(0)
	v_add3_u32 v8, v5, v8, s8
	s_mov_b64 s[8:9], 0
.LBB341_295:                            ; =>This Inner Loop Header: Depth=1
	ds_read2st64_b32 v[10:11], v8 offset1:2
	v_add_u32_e32 v4, -1, v4
	v_cmp_eq_u32_e32 vcc, 0, v4
	s_or_b64 s[8:9], vcc, s[8:9]
	s_waitcnt lgkmcnt(0)
	v_pk_mul_f32 v[10:11], v[6:7], v[10:11]
	ds_write2st64_b32 v8, v10, v11 offset1:2
	v_add_u32_e32 v8, 0x400, v8
	s_andn2_b64 exec, exec, s[8:9]
	s_cbranch_execnz .LBB341_295
.LBB341_296:
	s_or_b64 exec, exec, s[6:7]
	v_add_u32_e32 v4, 1, v3
	scratch_load_dword v3, off, s32 offset:288 ; 4-byte Folded Reload
	v_and_b32_e32 v5, 0x3fffffe, v4
	v_cmp_ne_u32_e32 vcc, v4, v5
	s_orn2_b64 s[6:7], vcc, exec
	s_waitcnt vmcnt(0)
	v_lshl_add_u32 v3, v5, 7, v3
.LBB341_297:
	s_or_b64 exec, exec, s[4:5]
	s_and_b64 exec, exec, s[6:7]
	s_cbranch_execz .LBB341_300
; %bb.298:
	s_ashr_i32 s21, s20, 31
	s_lshl_b64 s[4:5], s[20:21], 2
	s_getpc_b64 s[6:7]
	s_add_u32 s6, s6, llvm.amdgcn.dynlds.offset.table@rel32@lo+4
	s_addc_u32 s7, s7, llvm.amdgcn.dynlds.offset.table@rel32@hi+12
	s_add_u32 s4, s4, s6
	s_addc_u32 s5, s5, s7
	s_load_dword s4, s[4:5], 0x0
	s_waitcnt lgkmcnt(0)
	v_lshl_add_u32 v4, v3, 2, s4
	s_mov_b64 s[4:5], 0
.LBB341_299:                            ; =>This Inner Loop Header: Depth=1
	ds_read_b32 v5, v4
	v_add_u32_e32 v3, 0x80, v3
	v_cmp_ge_i32_e32 vcc, v3, v1
	s_or_b64 s[4:5], vcc, s[4:5]
	s_waitcnt lgkmcnt(0)
	v_mul_f32_e32 v5, v6, v5
	ds_write_b32 v4, v5
	v_add_u32_e32 v4, 0x200, v4
	s_andn2_b64 exec, exec, s[4:5]
	s_cbranch_execnz .LBB341_299
.LBB341_300:
	s_or_b64 exec, exec, s[2:3]
	s_waitcnt lgkmcnt(0)
	s_barrier
	scratch_load_dword v1, off, s32 offset:288 ; 4-byte Folded Reload
	v_cmp_ne_u16_e64 s[2:3], s24, 0
	s_cmp_lg_u64 s[2:3], 0
	s_addc_u32 s19, s13, 0
	s_waitcnt vmcnt(0)
	v_cmp_eq_u32_e32 vcc, 0, v1
	s_and_saveexec_b64 s[2:3], vcc
	s_cbranch_execz .LBB341_302
; %bb.301:
	s_mul_i32 s4, s19, s16
	s_mul_i32 s4, s4, s17
	;; [unrolled: 1-line block ×3, first 2 shown]
	s_ashr_i32 s5, s4, 31
	s_ashr_i32 s7, s6, 31
	s_ashr_i32 s15, s14, 31
	s_lshl_b64 s[4:5], s[4:5], 2
	s_lshl_b64 s[6:7], s[6:7], 2
	;; [unrolled: 1-line block ×3, first 2 shown]
	s_add_u32 s6, s8, s6
	s_addc_u32 s7, s9, s7
	s_add_u32 s4, s6, s4
	s_addc_u32 s5, s7, s5
	v_lshl_add_u64 v[6:7], s[4:5], 0, v[34:35]
	flat_store_dword v[6:7], v0
	v_lshl_add_u64 v[0:1], s[4:5], 0, v[24:25]
	flat_store_dword v[0:1], v2
.LBB341_302:
	s_or_b64 exec, exec, s[2:3]
	scratch_load_dword v0, off, s32 offset:288 ; 4-byte Folded Reload
	s_ashr_i32 s21, s20, 31
	s_lshl_b64 s[2:3], s[20:21], 2
	s_getpc_b64 s[4:5]
	s_add_u32 s4, s4, llvm.amdgcn.dynlds.offset.table@rel32@lo+4
	s_addc_u32 s5, s5, llvm.amdgcn.dynlds.offset.table@rel32@hi+12
	s_add_u32 s2, s2, s4
	s_addc_u32 s3, s3, s5
	v_mov_b32_e32 v13, 0
	v_mov_b32_e32 v12, 0
	;; [unrolled: 1-line block ×8, first 2 shown]
	s_waitcnt vmcnt(0)
	v_and_b32_e32 v21, 1, v0
	s_and_saveexec_b64 s[4:5], s[0:1]
	s_cbranch_execz .LBB341_868
; %bb.303:
	scratch_load_dword v0, off, s32 offset:288 ; 4-byte Folded Reload
	v_max_i32_e32 v34, v30, v23
	v_cvt_f32_u32_e32 v2, v34
	v_mov_b32_e32 v11, 0
	v_add_u32_e32 v4, -1, v28
	v_accvgpr_write_b32 a18, v4
	v_rcp_iflag_f32_e32 v2, v2
	s_load_dword s0, s[2:3], 0x0
	v_accvgpr_write_b32 a16, v20
	v_accvgpr_write_b32 a17, v21
	v_mul_f32_e32 v2, 0x4f7ffffe, v2
	v_cvt_u32_f32_e32 v2, v2
	s_mov_b64 s[6:7], 0
	s_mov_b32 s15, 0x7f800000
	s_movk_i32 s20, 0x7fff
	v_mov_b32_e32 v24, 0
	v_mov_b32_e32 v25, 0
	;; [unrolled: 1-line block ×8, first 2 shown]
	s_waitcnt vmcnt(0)
	v_lshlrev_b32_e32 v3, 3, v0
	v_lshl_add_u64 v[0:1], v[36:37], 0, v[38:39]
	v_and_b32_e32 v10, 0x1f8, v3
	v_lshl_add_u64 v[0:1], v[0:1], 0, v[10:11]
	v_and_b32_e32 v4, 8, v3
	v_sub_u32_e32 v3, 0, v34
	v_accvgpr_write_b32 a21, v1
	v_accvgpr_write_b32 a20, v0
	v_mul_lo_u32 v0, v3, v2
	v_mul_hi_u32 v0, v2, v0
	v_add_u32_e32 v0, v2, v0
	v_accvgpr_write_b32 a22, v0
	v_accvgpr_read_b32 v0, a12
	v_accvgpr_read_b32 v1, a13
	v_lshlrev_b64 v[0:1], 2, v[0:1]
	v_lshl_add_u64 v[0:1], v[32:33], 2, v[0:1]
	v_lshl_add_u64 v[14:15], v[26:27], 0, v[0:1]
	scratch_load_dword v1, off, s32 offset:348 ; 4-byte Folded Reload
	v_lshlrev_b32_e32 v0, 5, v21
	v_lshl_or_b32 v0, v22, 6, v0
	v_accvgpr_write_b32 a19, v4
	s_waitcnt lgkmcnt(0)
	v_add_u32_e32 v29, s0, v0
	s_branch .LBB341_306
.LBB341_304:                            ;   in Loop: Header=BB341_306 Depth=1
	s_or_b64 exec, exec, s[0:1]
	v_and_b32_e32 v9, 0xffff0000, v31
	v_and_b32_e32 v8, 0xffff0000, v3
	;; [unrolled: 1-line block ×4, first 2 shown]
	v_pk_add_f32 v[2:3], v[2:3], v[8:9]
	v_and_b32_e32 v9, 0xffff0000, v40
	v_and_b32_e32 v8, 0xffff0000, v27
	;; [unrolled: 1-line block ×4, first 2 shown]
	v_pk_add_f32 v[8:9], v[26:27], v[8:9]
	v_add_f32_e32 v2, v2, v3
	v_add_f32_e32 v2, v2, v8
	;; [unrolled: 1-line block ×3, first 2 shown]
	v_and_b32_e32 v3, 0xffff0000, v52
	v_and_b32_e32 v2, 0xffff0000, v51
	;; [unrolled: 1-line block ×4, first 2 shown]
	v_pk_add_f32 v[2:3], v[8:9], v[2:3]
	v_and_b32_e32 v9, 0xffff0000, v42
	v_and_b32_e32 v8, 0xffff0000, v54
	;; [unrolled: 1-line block ×4, first 2 shown]
	v_pk_add_f32 v[8:9], v[26:27], v[8:9]
	v_add_f32_e32 v2, v2, v3
	v_add_f32_e32 v2, v2, v8
	;; [unrolled: 1-line block ×3, first 2 shown]
	v_and_b32_e32 v27, 0xffff0000, v35
	v_and_b32_e32 v26, 0xffff0000, v33
	;; [unrolled: 1-line block ×4, first 2 shown]
	v_add_f32_e32 v17, v17, v2
	v_and_b32_e32 v3, 0xffff0000, v10
	v_and_b32_e32 v2, 0xffff0000, v4
	;; [unrolled: 1-line block ×4, first 2 shown]
	v_pk_add_f32 v[20:21], v[20:21], v[26:27]
	v_pk_add_f32 v[2:3], v[8:9], v[2:3]
	v_add_f32_e32 v4, v20, v21
	v_add_f32_e32 v2, v4, v2
	v_accvgpr_read_b32 v4, a55
	v_and_b32_e32 v21, 0xffff0000, v4
	v_accvgpr_read_b32 v4, a53
	v_and_b32_e32 v20, 0xffff0000, v4
	;; [unrolled: 2-line block ×3, first 2 shown]
	v_accvgpr_read_b32 v4, a52
	v_add_f32_e32 v2, v2, v3
	v_and_b32_e32 v22, 0xffff0000, v4
	v_add_f32_e32 v16, v16, v2
	v_and_b32_e32 v3, 0xffff0000, v49
	v_and_b32_e32 v2, 0xffff0000, v39
	v_and_b32_e32 v9, 0xffff0000, v48
	v_and_b32_e32 v8, 0xffff0000, v37
	v_pk_add_f32 v[20:21], v[22:23], v[20:21]
	v_pk_add_f32 v[2:3], v[8:9], v[2:3]
	v_add_f32_e32 v4, v20, v21
	v_add_f32_e32 v2, v4, v2
	v_accvgpr_read_b32 v4, a50
	v_and_b32_e32 v9, 0xffff0000, v4
	v_accvgpr_read_b32 v4, a48
	v_and_b32_e32 v8, 0xffff0000, v4
	;; [unrolled: 2-line block ×3, first 2 shown]
	v_accvgpr_read_b32 v4, a45
	v_add_f32_e32 v2, v2, v3
	v_and_b32_e32 v20, 0xffff0000, v4
	v_accvgpr_read_b32 v4, a46
	v_add_f32_e32 v19, v19, v2
	v_accvgpr_read_b32 v2, a51
	v_and_b32_e32 v23, 0xffff0000, v4
	v_accvgpr_read_b32 v4, a44
	v_and_b32_e32 v3, 0xffff0000, v2
	;; [unrolled: 2-line block ×3, first 2 shown]
	v_and_b32_e32 v2, 0xffff0000, v2
	v_pk_add_f32 v[20:21], v[22:23], v[20:21]
	v_pk_add_f32 v[2:3], v[8:9], v[2:3]
	v_add_f32_e32 v4, v20, v21
	v_add_f32_e32 v2, v4, v2
	v_accvgpr_read_b32 v4, a42
	v_and_b32_e32 v9, 0xffff0000, v4
	v_accvgpr_read_b32 v4, a40
	v_and_b32_e32 v8, 0xffff0000, v4
	;; [unrolled: 2-line block ×3, first 2 shown]
	v_accvgpr_read_b32 v4, a37
	v_add_f32_e32 v2, v2, v3
	v_and_b32_e32 v20, 0xffff0000, v4
	v_accvgpr_read_b32 v4, a38
	v_add_f32_e32 v18, v18, v2
	v_accvgpr_read_b32 v2, a43
	v_and_b32_e32 v23, 0xffff0000, v4
	v_accvgpr_read_b32 v4, a36
	v_and_b32_e32 v3, 0xffff0000, v2
	;; [unrolled: 2-line block ×3, first 2 shown]
	v_and_b32_e32 v2, 0xffff0000, v2
	v_pk_add_f32 v[20:21], v[22:23], v[20:21]
	v_pk_add_f32 v[2:3], v[8:9], v[2:3]
	v_add_f32_e32 v4, v20, v21
	v_add_f32_e32 v2, v4, v2
	v_accvgpr_read_b32 v4, a27
	v_and_b32_e32 v9, 0xffff0000, v4
	v_accvgpr_read_b32 v4, a25
	v_and_b32_e32 v8, 0xffff0000, v4
	v_accvgpr_read_b32 v4, a24
	v_add_f32_e32 v2, v2, v3
	v_and_b32_e32 v21, 0xffff0000, v4
	v_accvgpr_read_b32 v4, a15
	v_add_f32_e32 v25, v25, v2
	v_accvgpr_read_b32 v2, a28
	v_and_b32_e32 v20, 0xffff0000, v4
	v_accvgpr_read_b32 v4, a23
	v_and_b32_e32 v3, 0xffff0000, v2
	;; [unrolled: 2-line block ×3, first 2 shown]
	v_and_b32_e32 v22, 0xffff0000, v28
	v_and_b32_e32 v2, 0xffff0000, v2
	v_pk_add_f32 v[20:21], v[22:23], v[20:21]
	v_pk_add_f32 v[2:3], v[8:9], v[2:3]
	v_add_f32_e32 v4, v20, v21
	v_add_f32_e32 v2, v4, v2
	;; [unrolled: 1-line block ×3, first 2 shown]
	v_and_b32_e32 v9, 0xffff0000, v50
	v_and_b32_e32 v8, 0xffff0000, v1
	;; [unrolled: 1-line block ×4, first 2 shown]
	v_add_f32_e32 v24, v24, v2
	v_and_b32_e32 v3, 0xffff0000, v7
	v_and_b32_e32 v2, 0xffff0000, v45
	;; [unrolled: 1-line block ×4, first 2 shown]
	v_pk_add_f32 v[0:1], v[0:1], v[8:9]
	v_pk_add_f32 v[2:3], v[6:7], v[2:3]
	v_add_f32_e32 v0, v0, v1
	v_add_f32_e32 v0, v0, v2
	;; [unrolled: 1-line block ×5, first 2 shown]
.LBB341_305:                            ;   in Loop: Header=BB341_306 Depth=1
	s_or_b64 exec, exec, s[8:9]
	scratch_load_dword v0, off, s32 offset:208 ; 4-byte Folded Reload
	v_accvgpr_read_b32 v2, a12
	v_add_u32_e32 v2, 2, v2
	v_accvgpr_read_b32 v1, a13
	v_lshl_add_u64 v[14:15], v[14:15], 0, 8
	v_add_u32_e32 v1, 32, v1
	v_accvgpr_write_b32 a12, v2
	v_add_u32_e32 v29, 0x80, v29
	s_waitcnt vmcnt(0)
	v_cmp_ge_i32_e32 vcc, v2, v0
	s_or_b64 s[6:7], vcc, s[6:7]
	s_andn2_b64 exec, exec, s[6:7]
	s_cbranch_execz .LBB341_867
.LBB341_306:                            ; =>This Inner Loop Header: Depth=1
	s_waitcnt vmcnt(0)
	v_ashrrev_i32_e32 v0, 31, v1
	v_mov_b32_e32 v2, v1
	scratch_load_dword v1, off, s32 offset:204 ; 4-byte Folded Reload
	scratch_load_dword v4, off, s32 offset:200 ; 4-byte Folded Reload
	v_accvgpr_write_b32 a13, v2
	s_waitcnt vmcnt(1)
	v_xor_b32_e32 v0, v0, v1
	v_sub_u32_e32 v1, 0, v2
	v_max_i32_e32 v1, v2, v1
	scratch_load_dword v2, off, s32 offset:220 ; 4-byte Folded Reload
	s_waitcnt vmcnt(0)
	v_mul_hi_u32 v2, v1, v2
	v_mul_lo_u32 v3, v2, v4
	v_sub_u32_e32 v1, v1, v3
	v_add_u32_e32 v3, 1, v2
	v_cmp_ge_u32_e32 vcc, v1, v4
	s_nop 1
	v_cndmask_b32_e32 v2, v2, v3, vcc
	v_sub_u32_e32 v3, v1, v4
	v_cndmask_b32_e32 v1, v1, v3, vcc
	v_add_u32_e32 v3, 1, v2
	v_cmp_ge_u32_e32 vcc, v1, v4
	v_accvgpr_read_b32 v4, a22
	s_nop 0
	v_cndmask_b32_e32 v1, v2, v3, vcc
	scratch_load_dwordx2 v[2:3], off, s32 offset:212 ; 8-byte Folded Reload
	v_xor_b32_e32 v1, v1, v0
	v_sub_u32_e32 v0, v1, v0
	s_waitcnt vmcnt(0)
	v_add_u32_e32 v1, v0, v2
	v_sub_u32_e32 v3, 0, v1
	v_ashrrev_i32_e32 v2, 31, v1
	v_max_i32_e32 v1, v1, v3
	v_mul_hi_u32 v3, v1, v4
	v_mul_lo_u32 v3, v3, v34
	v_sub_u32_e32 v1, v1, v3
	v_sub_u32_e32 v3, v1, v34
	v_cmp_ge_u32_e32 vcc, v1, v34
	s_nop 1
	v_cndmask_b32_e32 v1, v1, v3, vcc
	v_sub_u32_e32 v3, v1, v34
	v_cmp_ge_u32_e32 vcc, v1, v34
	s_nop 1
	v_cndmask_b32_e32 v1, v1, v3, vcc
	v_xor_b32_e32 v1, v1, v2
	v_sub_u32_e32 v1, v1, v2
	v_cmp_eq_u32_e32 vcc, 0, v1
	scratch_load_dword v1, off, s32 offset:224 ; 4-byte Folded Reload
	s_waitcnt vmcnt(0)
	v_cmp_gt_i32_e64 s[0:1], v0, v1
	s_or_b64 s[0:1], vcc, s[0:1]
	s_and_saveexec_b64 s[8:9], s[0:1]
	s_cbranch_execz .LBB341_305
; %bb.307:                              ;   in Loop: Header=BB341_306 Depth=1
	flat_load_dword v23, v[14:15]
	ds_read2_b64 v[6:9], v29 offset1:1
	ds_read2_b64 v[0:3], v29 offset0:2 offset1:3
                                        ; implicit-def: $vgpr22
	s_waitcnt lgkmcnt(0)
	v_and_b32_e32 v4, 0x7f800000, v6
	v_cmp_ne_u32_e32 vcc, s15, v4
	s_and_saveexec_b64 s[0:1], vcc
	s_xor_b64 s[0:1], exec, s[0:1]
; %bb.308:                              ;   in Loop: Header=BB341_306 Depth=1
	v_bfe_u32 v4, v6, 16, 1
	v_add3_u32 v22, v6, v4, s20
; %bb.309:                              ;   in Loop: Header=BB341_306 Depth=1
	s_andn2_saveexec_b64 s[0:1], s[0:1]
; %bb.310:                              ;   in Loop: Header=BB341_306 Depth=1
	v_or_b32_e32 v4, 0x10000, v6
	v_cmp_eq_u32_sdwa vcc, v6, v11 src0_sel:WORD_0 src1_sel:DWORD
	s_nop 1
	v_cndmask_b32_e32 v22, v4, v6, vcc
; %bb.311:                              ;   in Loop: Header=BB341_306 Depth=1
	s_or_b64 exec, exec, s[0:1]
	v_and_b32_e32 v4, 0x7f800000, v7
	v_cmp_ne_u32_e32 vcc, s15, v4
                                        ; implicit-def: $vgpr21
	s_and_saveexec_b64 s[0:1], vcc
	s_xor_b64 s[0:1], exec, s[0:1]
; %bb.312:                              ;   in Loop: Header=BB341_306 Depth=1
	v_bfe_u32 v4, v7, 16, 1
	v_add3_u32 v21, v7, v4, s20
; %bb.313:                              ;   in Loop: Header=BB341_306 Depth=1
	s_andn2_saveexec_b64 s[0:1], s[0:1]
; %bb.314:                              ;   in Loop: Header=BB341_306 Depth=1
	v_or_b32_e32 v4, 0x10000, v7
	v_cmp_eq_u32_sdwa vcc, v7, v11 src0_sel:WORD_0 src1_sel:DWORD
	s_nop 1
	v_cndmask_b32_e32 v21, v4, v7, vcc
; %bb.315:                              ;   in Loop: Header=BB341_306 Depth=1
	s_or_b64 exec, exec, s[0:1]
	v_and_b32_e32 v4, 0x7f800000, v8
	v_cmp_ne_u32_e32 vcc, s15, v4
                                        ; implicit-def: $vgpr20
	s_and_saveexec_b64 s[0:1], vcc
	s_xor_b64 s[0:1], exec, s[0:1]
; %bb.316:                              ;   in Loop: Header=BB341_306 Depth=1
	v_bfe_u32 v4, v8, 16, 1
	v_add3_u32 v20, v8, v4, s20
; %bb.317:                              ;   in Loop: Header=BB341_306 Depth=1
	s_andn2_saveexec_b64 s[0:1], s[0:1]
; %bb.318:                              ;   in Loop: Header=BB341_306 Depth=1
	v_or_b32_e32 v4, 0x10000, v8
	v_cmp_eq_u32_sdwa vcc, v8, v11 src0_sel:WORD_0 src1_sel:DWORD
	s_nop 1
	v_cndmask_b32_e32 v20, v4, v8, vcc
; %bb.319:                              ;   in Loop: Header=BB341_306 Depth=1
	s_or_b64 exec, exec, s[0:1]
	v_and_b32_e32 v4, 0x7f800000, v9
	v_cmp_ne_u32_e32 vcc, s15, v4
                                        ; implicit-def: $vgpr10
	s_and_saveexec_b64 s[0:1], vcc
	s_xor_b64 s[0:1], exec, s[0:1]
; %bb.320:                              ;   in Loop: Header=BB341_306 Depth=1
	v_bfe_u32 v4, v9, 16, 1
	v_add3_u32 v10, v9, v4, s20
                                        ; implicit-def: $vgpr6_vgpr7_vgpr8_vgpr9
; %bb.321:                              ;   in Loop: Header=BB341_306 Depth=1
	s_andn2_saveexec_b64 s[0:1], s[0:1]
; %bb.322:                              ;   in Loop: Header=BB341_306 Depth=1
	v_or_b32_e32 v4, 0x10000, v9
	v_cmp_eq_u32_sdwa vcc, v9, v11 src0_sel:WORD_0 src1_sel:DWORD
	s_nop 1
	v_cndmask_b32_e32 v10, v4, v9, vcc
; %bb.323:                              ;   in Loop: Header=BB341_306 Depth=1
	s_or_b64 exec, exec, s[0:1]
	v_and_b32_e32 v4, 0x7f800000, v0
	v_cmp_ne_u32_e32 vcc, s15, v4
                                        ; implicit-def: $vgpr8
	s_and_saveexec_b64 s[0:1], vcc
	s_xor_b64 s[0:1], exec, s[0:1]
; %bb.324:                              ;   in Loop: Header=BB341_306 Depth=1
	v_bfe_u32 v4, v0, 16, 1
	v_add3_u32 v8, v0, v4, s20
; %bb.325:                              ;   in Loop: Header=BB341_306 Depth=1
	s_andn2_saveexec_b64 s[0:1], s[0:1]
; %bb.326:                              ;   in Loop: Header=BB341_306 Depth=1
	v_or_b32_e32 v4, 0x10000, v0
	v_cmp_eq_u32_sdwa vcc, v0, v11 src0_sel:WORD_0 src1_sel:DWORD
	s_nop 1
	v_cndmask_b32_e32 v8, v4, v0, vcc
; %bb.327:                              ;   in Loop: Header=BB341_306 Depth=1
	s_or_b64 exec, exec, s[0:1]
	v_and_b32_e32 v0, 0x7f800000, v1
	v_cmp_ne_u32_e32 vcc, s15, v0
                                        ; implicit-def: $vgpr7
	s_and_saveexec_b64 s[0:1], vcc
	s_xor_b64 s[0:1], exec, s[0:1]
; %bb.328:                              ;   in Loop: Header=BB341_306 Depth=1
	v_bfe_u32 v0, v1, 16, 1
	v_add3_u32 v7, v1, v0, s20
; %bb.329:                              ;   in Loop: Header=BB341_306 Depth=1
	s_andn2_saveexec_b64 s[0:1], s[0:1]
; %bb.330:                              ;   in Loop: Header=BB341_306 Depth=1
	v_or_b32_e32 v0, 0x10000, v1
	v_cmp_eq_u32_sdwa vcc, v1, v11 src0_sel:WORD_0 src1_sel:DWORD
	s_nop 1
	v_cndmask_b32_e32 v7, v0, v1, vcc
; %bb.331:                              ;   in Loop: Header=BB341_306 Depth=1
	s_or_b64 exec, exec, s[0:1]
	v_and_b32_e32 v0, 0x7f800000, v2
	v_cmp_ne_u32_e32 vcc, s15, v0
                                        ; implicit-def: $vgpr6
	s_and_saveexec_b64 s[0:1], vcc
	s_xor_b64 s[0:1], exec, s[0:1]
; %bb.332:                              ;   in Loop: Header=BB341_306 Depth=1
	v_bfe_u32 v0, v2, 16, 1
	v_add3_u32 v6, v2, v0, s20
; %bb.333:                              ;   in Loop: Header=BB341_306 Depth=1
	s_andn2_saveexec_b64 s[0:1], s[0:1]
; %bb.334:                              ;   in Loop: Header=BB341_306 Depth=1
	v_or_b32_e32 v0, 0x10000, v2
	v_cmp_eq_u32_sdwa vcc, v2, v11 src0_sel:WORD_0 src1_sel:DWORD
	s_nop 1
	v_cndmask_b32_e32 v6, v0, v2, vcc
; %bb.335:                              ;   in Loop: Header=BB341_306 Depth=1
	s_or_b64 exec, exec, s[0:1]
	v_and_b32_e32 v0, 0x7f800000, v3
	v_cmp_ne_u32_e32 vcc, s15, v0
                                        ; implicit-def: $vgpr4
	s_and_saveexec_b64 s[0:1], vcc
	s_xor_b64 s[0:1], exec, s[0:1]
; %bb.336:                              ;   in Loop: Header=BB341_306 Depth=1
	v_bfe_u32 v0, v3, 16, 1
	v_add3_u32 v4, v3, v0, s20
                                        ; implicit-def: $vgpr0_vgpr1_vgpr2_vgpr3
; %bb.337:                              ;   in Loop: Header=BB341_306 Depth=1
	s_andn2_saveexec_b64 s[0:1], s[0:1]
; %bb.338:                              ;   in Loop: Header=BB341_306 Depth=1
	v_or_b32_e32 v0, 0x10000, v3
	v_cmp_eq_u32_sdwa vcc, v3, v11 src0_sel:WORD_0 src1_sel:DWORD
	s_nop 1
	v_cndmask_b32_e32 v4, v0, v3, vcc
; %bb.339:                              ;   in Loop: Header=BB341_306 Depth=1
	s_or_b64 exec, exec, s[0:1]
	scratch_load_dwordx2 v[0:1], off, s32 offset:228 ; 8-byte Folded Reload
	v_accvgpr_read_b32 v2, a20
	v_accvgpr_read_b32 v3, a21
                                        ; implicit-def: $vgpr9
	s_waitcnt vmcnt(0)
	v_mad_i64_i32 v[0:1], s[0:1], v23, v0, v[2:3]
	flat_load_dwordx2 v[2:3], v[0:1]
	scratch_load_dwordx2 v[26:27], off, s32 offset:292 ; 8-byte Folded Reload
	s_waitcnt vmcnt(0) lgkmcnt(0)
	v_and_b32_e32 v5, 0xff, v2
	flat_load_dword v38, v[26:27]
	v_cvt_f32_fp8_sdwa v5, v5 src0_sel:BYTE_0
	s_waitcnt vmcnt(0) lgkmcnt(0)
	v_mul_f32_e32 v23, v38, v5
	v_and_b32_e32 v5, 0x7f800000, v23
	v_cmp_ne_u32_e32 vcc, s15, v5
	s_and_saveexec_b64 s[0:1], vcc
	s_xor_b64 s[0:1], exec, s[0:1]
; %bb.340:                              ;   in Loop: Header=BB341_306 Depth=1
	v_bfe_u32 v5, v23, 16, 1
	v_add3_u32 v9, v23, v5, s20
                                        ; implicit-def: $vgpr23
; %bb.341:                              ;   in Loop: Header=BB341_306 Depth=1
	s_andn2_saveexec_b64 s[0:1], s[0:1]
; %bb.342:                              ;   in Loop: Header=BB341_306 Depth=1
	v_or_b32_e32 v5, 0x10000, v23
	v_cmp_eq_u32_sdwa vcc, v23, v11 src0_sel:WORD_0 src1_sel:DWORD
	s_nop 1
	v_cndmask_b32_e32 v9, v5, v23, vcc
; %bb.343:                              ;   in Loop: Header=BB341_306 Depth=1
	s_or_b64 exec, exec, s[0:1]
	v_bfe_u32 v5, v2, 8, 8
	v_cvt_f32_fp8_sdwa v5, v5 src0_sel:BYTE_0
                                        ; implicit-def: $vgpr23
	s_nop 0
	v_mul_f32_e32 v26, v38, v5
	v_and_b32_e32 v5, 0x7f800000, v26
	v_cmp_ne_u32_e32 vcc, s15, v5
	s_and_saveexec_b64 s[0:1], vcc
	s_xor_b64 s[0:1], exec, s[0:1]
; %bb.344:                              ;   in Loop: Header=BB341_306 Depth=1
	v_bfe_u32 v5, v26, 16, 1
	v_add3_u32 v23, v26, v5, s20
                                        ; implicit-def: $vgpr26
; %bb.345:                              ;   in Loop: Header=BB341_306 Depth=1
	s_andn2_saveexec_b64 s[0:1], s[0:1]
; %bb.346:                              ;   in Loop: Header=BB341_306 Depth=1
	v_or_b32_e32 v5, 0x10000, v26
	v_cmp_eq_u32_sdwa vcc, v26, v11 src0_sel:WORD_0 src1_sel:DWORD
	s_nop 1
	v_cndmask_b32_e32 v23, v5, v26, vcc
; %bb.347:                              ;   in Loop: Header=BB341_306 Depth=1
	s_or_b64 exec, exec, s[0:1]
	v_bfe_u32 v5, v2, 16, 8
	v_cvt_f32_fp8_sdwa v5, v5 src0_sel:BYTE_0
                                        ; implicit-def: $vgpr27
	s_nop 0
	v_mul_f32_e32 v26, v38, v5
	v_and_b32_e32 v5, 0x7f800000, v26
	v_cmp_ne_u32_e32 vcc, s15, v5
	s_and_saveexec_b64 s[0:1], vcc
	s_xor_b64 s[0:1], exec, s[0:1]
; %bb.348:                              ;   in Loop: Header=BB341_306 Depth=1
	v_bfe_u32 v5, v26, 16, 1
	v_add3_u32 v27, v26, v5, s20
                                        ; implicit-def: $vgpr26
; %bb.349:                              ;   in Loop: Header=BB341_306 Depth=1
	s_andn2_saveexec_b64 s[0:1], s[0:1]
; %bb.350:                              ;   in Loop: Header=BB341_306 Depth=1
	v_or_b32_e32 v5, 0x10000, v26
	v_cmp_eq_u32_sdwa vcc, v26, v11 src0_sel:WORD_0 src1_sel:DWORD
	s_nop 1
	v_cndmask_b32_e32 v27, v5, v26, vcc
; %bb.351:                              ;   in Loop: Header=BB341_306 Depth=1
	s_or_b64 exec, exec, s[0:1]
	v_lshrrev_b32_e32 v2, 24, v2
	v_cvt_f32_fp8_sdwa v2, v2 src0_sel:BYTE_0
	s_nop 0
	v_mul_f32_e32 v26, v38, v2
	v_and_b32_e32 v2, 0x7f800000, v26
	v_cmp_ne_u32_e32 vcc, s15, v2
                                        ; implicit-def: $vgpr2
	s_and_saveexec_b64 s[0:1], vcc
	s_xor_b64 s[0:1], exec, s[0:1]
; %bb.352:                              ;   in Loop: Header=BB341_306 Depth=1
	v_bfe_u32 v2, v26, 16, 1
	v_add3_u32 v2, v26, v2, s20
                                        ; implicit-def: $vgpr26
; %bb.353:                              ;   in Loop: Header=BB341_306 Depth=1
	s_andn2_saveexec_b64 s[0:1], s[0:1]
; %bb.354:                              ;   in Loop: Header=BB341_306 Depth=1
	v_or_b32_e32 v2, 0x10000, v26
	v_cmp_eq_u32_sdwa vcc, v26, v11 src0_sel:WORD_0 src1_sel:DWORD
	s_nop 1
	v_cndmask_b32_e32 v2, v2, v26, vcc
; %bb.355:                              ;   in Loop: Header=BB341_306 Depth=1
	s_or_b64 exec, exec, s[0:1]
	v_and_b32_e32 v5, 0xff, v3
	v_cvt_f32_fp8_sdwa v5, v5 src0_sel:BYTE_0
                                        ; implicit-def: $vgpr30
	s_nop 0
	v_mul_f32_e32 v26, v38, v5
	v_and_b32_e32 v5, 0x7f800000, v26
	v_cmp_ne_u32_e32 vcc, s15, v5
	s_and_saveexec_b64 s[0:1], vcc
	s_xor_b64 s[0:1], exec, s[0:1]
; %bb.356:                              ;   in Loop: Header=BB341_306 Depth=1
	v_bfe_u32 v5, v26, 16, 1
	v_add3_u32 v30, v26, v5, s20
                                        ; implicit-def: $vgpr26
; %bb.357:                              ;   in Loop: Header=BB341_306 Depth=1
	s_andn2_saveexec_b64 s[0:1], s[0:1]
; %bb.358:                              ;   in Loop: Header=BB341_306 Depth=1
	v_or_b32_e32 v5, 0x10000, v26
	v_cmp_eq_u32_sdwa vcc, v26, v11 src0_sel:WORD_0 src1_sel:DWORD
	s_nop 1
	v_cndmask_b32_e32 v30, v5, v26, vcc
; %bb.359:                              ;   in Loop: Header=BB341_306 Depth=1
	s_or_b64 exec, exec, s[0:1]
	v_bfe_u32 v5, v3, 8, 8
	v_cvt_f32_fp8_sdwa v5, v5 src0_sel:BYTE_0
                                        ; implicit-def: $vgpr26
	s_nop 0
	v_mul_f32_e32 v31, v38, v5
	v_and_b32_e32 v5, 0x7f800000, v31
	v_cmp_ne_u32_e32 vcc, s15, v5
	s_and_saveexec_b64 s[0:1], vcc
	s_xor_b64 s[0:1], exec, s[0:1]
; %bb.360:                              ;   in Loop: Header=BB341_306 Depth=1
	v_bfe_u32 v5, v31, 16, 1
	v_add3_u32 v26, v31, v5, s20
                                        ; implicit-def: $vgpr31
; %bb.361:                              ;   in Loop: Header=BB341_306 Depth=1
	s_andn2_saveexec_b64 s[0:1], s[0:1]
; %bb.362:                              ;   in Loop: Header=BB341_306 Depth=1
	v_or_b32_e32 v5, 0x10000, v31
	v_cmp_eq_u32_sdwa vcc, v31, v11 src0_sel:WORD_0 src1_sel:DWORD
	s_nop 1
	v_cndmask_b32_e32 v26, v5, v31, vcc
; %bb.363:                              ;   in Loop: Header=BB341_306 Depth=1
	s_or_b64 exec, exec, s[0:1]
	v_bfe_u32 v5, v3, 16, 8
	v_cvt_f32_fp8_sdwa v5, v5 src0_sel:BYTE_0
                                        ; implicit-def: $vgpr32
	s_nop 0
	v_mul_f32_e32 v31, v38, v5
	v_and_b32_e32 v5, 0x7f800000, v31
	v_cmp_ne_u32_e32 vcc, s15, v5
	s_and_saveexec_b64 s[0:1], vcc
	s_xor_b64 s[0:1], exec, s[0:1]
; %bb.364:                              ;   in Loop: Header=BB341_306 Depth=1
	v_bfe_u32 v5, v31, 16, 1
	v_add3_u32 v32, v31, v5, s20
                                        ; implicit-def: $vgpr31
; %bb.365:                              ;   in Loop: Header=BB341_306 Depth=1
	s_andn2_saveexec_b64 s[0:1], s[0:1]
; %bb.366:                              ;   in Loop: Header=BB341_306 Depth=1
	v_or_b32_e32 v5, 0x10000, v31
	v_cmp_eq_u32_sdwa vcc, v31, v11 src0_sel:WORD_0 src1_sel:DWORD
	s_nop 1
	v_cndmask_b32_e32 v32, v5, v31, vcc
; %bb.367:                              ;   in Loop: Header=BB341_306 Depth=1
	s_or_b64 exec, exec, s[0:1]
	v_lshrrev_b32_e32 v3, 24, v3
	v_cvt_f32_fp8_sdwa v3, v3 src0_sel:BYTE_0
                                        ; implicit-def: $vgpr33
	s_nop 0
	v_mul_f32_e32 v3, v38, v3
	v_and_b32_e32 v5, 0x7f800000, v3
	v_cmp_ne_u32_e32 vcc, s15, v5
	s_and_saveexec_b64 s[0:1], vcc
	s_xor_b64 s[0:1], exec, s[0:1]
; %bb.368:                              ;   in Loop: Header=BB341_306 Depth=1
	v_bfe_u32 v5, v3, 16, 1
	v_add3_u32 v33, v3, v5, s20
                                        ; implicit-def: $vgpr3
; %bb.369:                              ;   in Loop: Header=BB341_306 Depth=1
	s_andn2_saveexec_b64 s[0:1], s[0:1]
; %bb.370:                              ;   in Loop: Header=BB341_306 Depth=1
	v_or_b32_e32 v5, 0x10000, v3
	v_cmp_eq_u32_sdwa vcc, v3, v11 src0_sel:WORD_0 src1_sel:DWORD
	s_nop 1
	v_cndmask_b32_e32 v33, v5, v3, vcc
; %bb.371:                              ;   in Loop: Header=BB341_306 Depth=1
	s_or_b64 exec, exec, s[0:1]
	v_accvgpr_read_b32 v28, a12
	v_accvgpr_read_b32 v3, a18
	v_cmp_eq_u32_e32 vcc, v3, v28
	v_accvgpr_read_b32 v3, a13
	v_accvgpr_read_b32 v5, a19
	v_add_u32_e32 v50, v5, v3
	v_add_u32_e32 v5, 1, v50
	v_accvgpr_write_b32 a35, v5
	v_add_u32_e32 v5, 2, v50
	v_accvgpr_write_b32 a34, v5
	;; [unrolled: 2-line block ×6, first 2 shown]
	v_add_u32_e32 v5, 7, v50
	v_lshrrev_b32_e32 v26, 16, v26
	v_lshrrev_b32_e32 v30, 16, v30
	;; [unrolled: 1-line block ×8, first 2 shown]
	v_accvgpr_write_b32 a29, v5
	s_and_saveexec_b64 s[12:13], vcc
	s_cbranch_execz .LBB341_373
; %bb.372:                              ;   in Loop: Header=BB341_306 Depth=1
	scratch_load_dword v5, off, s32 offset:196 ; 4-byte Folded Reload
	v_accvgpr_read_b32 v28, a35
	s_waitcnt vmcnt(0)
	v_cmp_lt_i32_e64 s[0:1], v50, v5
	s_nop 1
	v_cndmask_b32_e64 v9, 0, v9, s[0:1]
	v_cmp_lt_i32_e64 s[0:1], v28, v5
	v_accvgpr_read_b32 v28, a34
	s_nop 0
	v_cndmask_b32_e64 v23, 0, v23, s[0:1]
	v_cmp_lt_i32_e64 s[0:1], v28, v5
	v_accvgpr_read_b32 v28, a33
	;; [unrolled: 4-line block ×6, first 2 shown]
	s_nop 0
	v_cndmask_b32_e64 v3, 0, v3, s[0:1]
	v_cmp_lt_i32_e64 s[0:1], v28, v5
	s_nop 1
	v_cndmask_b32_e64 v2, 0, v2, s[0:1]
.LBB341_373:                            ;   in Loop: Header=BB341_306 Depth=1
	s_or_b64 exec, exec, s[12:13]
	v_and_b32_e32 v44, 0xffff0000, v22
	v_lshlrev_b32_e32 v5, 16, v9
	v_mul_f32_e32 v9, v44, v5
	v_and_b32_e32 v5, 0x7f800000, v9
	v_cmp_ne_u32_e64 s[0:1], s15, v5
                                        ; implicit-def: $vgpr28
	s_and_saveexec_b64 s[12:13], s[0:1]
	s_xor_b64 s[0:1], exec, s[12:13]
; %bb.374:                              ;   in Loop: Header=BB341_306 Depth=1
	v_bfe_u32 v5, v9, 16, 1
	v_add3_u32 v28, v9, v5, s20
                                        ; implicit-def: $vgpr9
; %bb.375:                              ;   in Loop: Header=BB341_306 Depth=1
	s_andn2_saveexec_b64 s[12:13], s[0:1]
; %bb.376:                              ;   in Loop: Header=BB341_306 Depth=1
	v_or_b32_e32 v5, 0x10000, v9
	v_cmp_eq_u32_sdwa s[0:1], v9, v11 src0_sel:WORD_0 src1_sel:DWORD
	s_nop 1
	v_cndmask_b32_e64 v28, v5, v9, s[0:1]
; %bb.377:                              ;   in Loop: Header=BB341_306 Depth=1
	s_or_b64 exec, exec, s[12:13]
	v_and_b32_e32 v45, 0xffff0000, v21
	v_lshlrev_b32_e32 v5, 16, v23
	v_mul_f32_e32 v9, v45, v5
	v_and_b32_e32 v5, 0x7f800000, v9
	v_cmp_ne_u32_e64 s[0:1], s15, v5
                                        ; implicit-def: $agpr15
	s_and_saveexec_b64 s[12:13], s[0:1]
	s_xor_b64 s[0:1], exec, s[12:13]
; %bb.378:                              ;   in Loop: Header=BB341_306 Depth=1
	v_bfe_u32 v5, v9, 16, 1
	v_add3_u32 v5, v9, v5, s20
	v_accvgpr_write_b32 a15, v5
                                        ; implicit-def: $vgpr9
; %bb.379:                              ;   in Loop: Header=BB341_306 Depth=1
	s_andn2_saveexec_b64 s[12:13], s[0:1]
; %bb.380:                              ;   in Loop: Header=BB341_306 Depth=1
	v_or_b32_e32 v5, 0x10000, v9
	v_cmp_eq_u32_sdwa s[0:1], v9, v11 src0_sel:WORD_0 src1_sel:DWORD
	s_nop 1
	v_cndmask_b32_e64 v5, v5, v9, s[0:1]
	v_accvgpr_write_b32 a15, v5
; %bb.381:                              ;   in Loop: Header=BB341_306 Depth=1
	s_or_b64 exec, exec, s[12:13]
	v_and_b32_e32 v46, 0xffff0000, v20
	v_lshlrev_b32_e32 v5, 16, v27
	v_mul_f32_e32 v9, v46, v5
	v_and_b32_e32 v5, 0x7f800000, v9
	v_cmp_ne_u32_e64 s[0:1], s15, v5
                                        ; implicit-def: $agpr23
	s_and_saveexec_b64 s[12:13], s[0:1]
	s_xor_b64 s[0:1], exec, s[12:13]
; %bb.382:                              ;   in Loop: Header=BB341_306 Depth=1
	v_bfe_u32 v5, v9, 16, 1
	v_add3_u32 v5, v9, v5, s20
	v_accvgpr_write_b32 a23, v5
                                        ; implicit-def: $vgpr9
; %bb.383:                              ;   in Loop: Header=BB341_306 Depth=1
	s_andn2_saveexec_b64 s[12:13], s[0:1]
; %bb.384:                              ;   in Loop: Header=BB341_306 Depth=1
	v_or_b32_e32 v5, 0x10000, v9
	v_cmp_eq_u32_sdwa s[0:1], v9, v11 src0_sel:WORD_0 src1_sel:DWORD
	s_nop 1
	v_cndmask_b32_e64 v5, v5, v9, s[0:1]
	v_accvgpr_write_b32 a23, v5
; %bb.385:                              ;   in Loop: Header=BB341_306 Depth=1
	s_or_b64 exec, exec, s[12:13]
	v_and_b32_e32 v47, 0xffff0000, v10
	v_lshlrev_b32_e32 v5, 16, v31
	v_mul_f32_e32 v9, v47, v5
	v_and_b32_e32 v5, 0x7f800000, v9
	v_cmp_ne_u32_e64 s[0:1], s15, v5
                                        ; implicit-def: $agpr24
	s_and_saveexec_b64 s[12:13], s[0:1]
	s_xor_b64 s[0:1], exec, s[12:13]
; %bb.386:                              ;   in Loop: Header=BB341_306 Depth=1
	v_bfe_u32 v5, v9, 16, 1
	v_add3_u32 v5, v9, v5, s20
	v_accvgpr_write_b32 a24, v5
                                        ; implicit-def: $vgpr9
; %bb.387:                              ;   in Loop: Header=BB341_306 Depth=1
	s_andn2_saveexec_b64 s[12:13], s[0:1]
; %bb.388:                              ;   in Loop: Header=BB341_306 Depth=1
	v_or_b32_e32 v5, 0x10000, v9
	v_cmp_eq_u32_sdwa s[0:1], v9, v11 src0_sel:WORD_0 src1_sel:DWORD
	s_nop 1
	v_cndmask_b32_e64 v5, v5, v9, s[0:1]
	v_accvgpr_write_b32 a24, v5
; %bb.389:                              ;   in Loop: Header=BB341_306 Depth=1
	s_or_b64 exec, exec, s[12:13]
	v_and_b32_e32 v56, 0xffff0000, v8
	v_lshlrev_b32_e32 v5, 16, v30
	v_mul_f32_e32 v8, v56, v5
	v_and_b32_e32 v5, 0x7f800000, v8
	v_cmp_ne_u32_e64 s[0:1], s15, v5
                                        ; implicit-def: $agpr25
	s_and_saveexec_b64 s[12:13], s[0:1]
	s_xor_b64 s[0:1], exec, s[12:13]
; %bb.390:                              ;   in Loop: Header=BB341_306 Depth=1
	v_bfe_u32 v5, v8, 16, 1
	v_add3_u32 v5, v8, v5, s20
	v_accvgpr_write_b32 a25, v5
                                        ; implicit-def: $vgpr8
; %bb.391:                              ;   in Loop: Header=BB341_306 Depth=1
	s_andn2_saveexec_b64 s[12:13], s[0:1]
; %bb.392:                              ;   in Loop: Header=BB341_306 Depth=1
	v_or_b32_e32 v5, 0x10000, v8
	v_cmp_eq_u32_sdwa s[0:1], v8, v11 src0_sel:WORD_0 src1_sel:DWORD
	s_nop 1
	v_cndmask_b32_e64 v5, v5, v8, s[0:1]
	v_accvgpr_write_b32 a25, v5
; %bb.393:                              ;   in Loop: Header=BB341_306 Depth=1
	s_or_b64 exec, exec, s[12:13]
	v_and_b32_e32 v57, 0xffff0000, v7
	v_lshlrev_b32_e32 v5, 16, v26
	v_mul_f32_e32 v7, v57, v5
	v_and_b32_e32 v5, 0x7f800000, v7
	v_cmp_ne_u32_e64 s[0:1], s15, v5
                                        ; implicit-def: $agpr26
	s_and_saveexec_b64 s[12:13], s[0:1]
	s_xor_b64 s[0:1], exec, s[12:13]
; %bb.394:                              ;   in Loop: Header=BB341_306 Depth=1
	v_bfe_u32 v5, v7, 16, 1
	v_add3_u32 v5, v7, v5, s20
	v_accvgpr_write_b32 a26, v5
                                        ; implicit-def: $vgpr7
; %bb.395:                              ;   in Loop: Header=BB341_306 Depth=1
	s_andn2_saveexec_b64 s[12:13], s[0:1]
; %bb.396:                              ;   in Loop: Header=BB341_306 Depth=1
	v_or_b32_e32 v5, 0x10000, v7
	v_cmp_eq_u32_sdwa s[0:1], v7, v11 src0_sel:WORD_0 src1_sel:DWORD
	s_nop 1
	v_cndmask_b32_e64 v5, v5, v7, s[0:1]
	v_accvgpr_write_b32 a26, v5
; %bb.397:                              ;   in Loop: Header=BB341_306 Depth=1
	s_or_b64 exec, exec, s[12:13]
	v_and_b32_e32 v58, 0xffff0000, v6
	v_lshlrev_b32_e32 v3, 16, v3
	v_mul_f32_e32 v3, v58, v3
	v_and_b32_e32 v5, 0x7f800000, v3
	v_cmp_ne_u32_e64 s[0:1], s15, v5
                                        ; implicit-def: $agpr27
	s_and_saveexec_b64 s[12:13], s[0:1]
	s_xor_b64 s[0:1], exec, s[12:13]
; %bb.398:                              ;   in Loop: Header=BB341_306 Depth=1
	v_bfe_u32 v5, v3, 16, 1
	v_add3_u32 v3, v3, v5, s20
	v_accvgpr_write_b32 a27, v3
                                        ; implicit-def: $vgpr3
; %bb.399:                              ;   in Loop: Header=BB341_306 Depth=1
	s_andn2_saveexec_b64 s[12:13], s[0:1]
; %bb.400:                              ;   in Loop: Header=BB341_306 Depth=1
	v_or_b32_e32 v5, 0x10000, v3
	v_cmp_eq_u32_sdwa s[0:1], v3, v11 src0_sel:WORD_0 src1_sel:DWORD
	s_nop 1
	v_cndmask_b32_e64 v3, v5, v3, s[0:1]
	v_accvgpr_write_b32 a27, v3
; %bb.401:                              ;   in Loop: Header=BB341_306 Depth=1
	s_or_b64 exec, exec, s[12:13]
	v_and_b32_e32 v59, 0xffff0000, v4
	v_lshlrev_b32_e32 v2, 16, v2
	v_mul_f32_e32 v2, v59, v2
	v_and_b32_e32 v3, 0x7f800000, v2
	v_cmp_ne_u32_e64 s[0:1], s15, v3
                                        ; implicit-def: $agpr28
	s_and_saveexec_b64 s[12:13], s[0:1]
	s_xor_b64 s[0:1], exec, s[12:13]
; %bb.402:                              ;   in Loop: Header=BB341_306 Depth=1
	v_bfe_u32 v3, v2, 16, 1
	v_add3_u32 v2, v2, v3, s20
	v_accvgpr_write_b32 a28, v2
                                        ; implicit-def: $vgpr2
; %bb.403:                              ;   in Loop: Header=BB341_306 Depth=1
	s_andn2_saveexec_b64 s[12:13], s[0:1]
; %bb.404:                              ;   in Loop: Header=BB341_306 Depth=1
	v_or_b32_e32 v3, 0x10000, v2
	v_cmp_eq_u32_sdwa s[0:1], v2, v11 src0_sel:WORD_0 src1_sel:DWORD
	s_nop 1
	v_cndmask_b32_e64 v2, v3, v2, s[0:1]
	v_accvgpr_write_b32 a28, v2
; %bb.405:                              ;   in Loop: Header=BB341_306 Depth=1
	s_or_b64 exec, exec, s[12:13]
	flat_load_dwordx2 v[2:3], v[0:1] offset:512
	s_waitcnt vmcnt(0) lgkmcnt(0)
	v_and_b32_e32 v4, 0xff, v2
	v_cvt_f32_fp8_sdwa v4, v4 src0_sel:BYTE_0
	s_nop 0
	v_mul_f32_e32 v6, v38, v4
	v_and_b32_e32 v4, 0x7f800000, v6
	v_cmp_ne_u32_e64 s[0:1], s15, v4
                                        ; implicit-def: $vgpr4
	s_and_saveexec_b64 s[12:13], s[0:1]
	s_xor_b64 s[0:1], exec, s[12:13]
; %bb.406:                              ;   in Loop: Header=BB341_306 Depth=1
	v_bfe_u32 v4, v6, 16, 1
	v_add3_u32 v4, v6, v4, s20
                                        ; implicit-def: $vgpr6
; %bb.407:                              ;   in Loop: Header=BB341_306 Depth=1
	s_andn2_saveexec_b64 s[12:13], s[0:1]
; %bb.408:                              ;   in Loop: Header=BB341_306 Depth=1
	v_or_b32_e32 v4, 0x10000, v6
	v_cmp_eq_u32_sdwa s[0:1], v6, v11 src0_sel:WORD_0 src1_sel:DWORD
	s_nop 1
	v_cndmask_b32_e64 v4, v4, v6, s[0:1]
; %bb.409:                              ;   in Loop: Header=BB341_306 Depth=1
	s_or_b64 exec, exec, s[12:13]
	v_bfe_u32 v5, v2, 8, 8
	v_cvt_f32_fp8_sdwa v5, v5 src0_sel:BYTE_0
                                        ; implicit-def: $vgpr6
	s_nop 0
	v_mul_f32_e32 v7, v38, v5
	v_and_b32_e32 v5, 0x7f800000, v7
	v_cmp_ne_u32_e64 s[0:1], s15, v5
	s_and_saveexec_b64 s[12:13], s[0:1]
	s_xor_b64 s[0:1], exec, s[12:13]
; %bb.410:                              ;   in Loop: Header=BB341_306 Depth=1
	v_bfe_u32 v5, v7, 16, 1
	v_add3_u32 v6, v7, v5, s20
                                        ; implicit-def: $vgpr7
; %bb.411:                              ;   in Loop: Header=BB341_306 Depth=1
	s_andn2_saveexec_b64 s[12:13], s[0:1]
; %bb.412:                              ;   in Loop: Header=BB341_306 Depth=1
	v_or_b32_e32 v5, 0x10000, v7
	v_cmp_eq_u32_sdwa s[0:1], v7, v11 src0_sel:WORD_0 src1_sel:DWORD
	s_nop 1
	v_cndmask_b32_e64 v6, v5, v7, s[0:1]
; %bb.413:                              ;   in Loop: Header=BB341_306 Depth=1
	s_or_b64 exec, exec, s[12:13]
	v_bfe_u32 v5, v2, 16, 8
	v_cvt_f32_fp8_sdwa v5, v5 src0_sel:BYTE_0
                                        ; implicit-def: $vgpr8
	s_nop 0
	v_mul_f32_e32 v7, v38, v5
	v_and_b32_e32 v5, 0x7f800000, v7
	v_cmp_ne_u32_e64 s[0:1], s15, v5
	s_and_saveexec_b64 s[12:13], s[0:1]
	s_xor_b64 s[0:1], exec, s[12:13]
; %bb.414:                              ;   in Loop: Header=BB341_306 Depth=1
	v_bfe_u32 v5, v7, 16, 1
	v_add3_u32 v8, v7, v5, s20
                                        ; implicit-def: $vgpr7
; %bb.415:                              ;   in Loop: Header=BB341_306 Depth=1
	s_andn2_saveexec_b64 s[12:13], s[0:1]
; %bb.416:                              ;   in Loop: Header=BB341_306 Depth=1
	v_or_b32_e32 v5, 0x10000, v7
	v_cmp_eq_u32_sdwa s[0:1], v7, v11 src0_sel:WORD_0 src1_sel:DWORD
	s_nop 1
	v_cndmask_b32_e64 v8, v5, v7, s[0:1]
; %bb.417:                              ;   in Loop: Header=BB341_306 Depth=1
	s_or_b64 exec, exec, s[12:13]
	v_lshrrev_b32_e32 v2, 24, v2
	v_cvt_f32_fp8_sdwa v2, v2 src0_sel:BYTE_0
	s_nop 0
	v_mul_f32_e32 v7, v38, v2
	v_and_b32_e32 v2, 0x7f800000, v7
	v_cmp_ne_u32_e64 s[0:1], s15, v2
                                        ; implicit-def: $vgpr2
	s_and_saveexec_b64 s[12:13], s[0:1]
	s_xor_b64 s[0:1], exec, s[12:13]
; %bb.418:                              ;   in Loop: Header=BB341_306 Depth=1
	v_bfe_u32 v2, v7, 16, 1
	v_add3_u32 v2, v7, v2, s20
                                        ; implicit-def: $vgpr7
; %bb.419:                              ;   in Loop: Header=BB341_306 Depth=1
	s_andn2_saveexec_b64 s[12:13], s[0:1]
; %bb.420:                              ;   in Loop: Header=BB341_306 Depth=1
	v_or_b32_e32 v2, 0x10000, v7
	v_cmp_eq_u32_sdwa s[0:1], v7, v11 src0_sel:WORD_0 src1_sel:DWORD
	s_nop 1
	v_cndmask_b32_e64 v2, v2, v7, s[0:1]
; %bb.421:                              ;   in Loop: Header=BB341_306 Depth=1
	s_or_b64 exec, exec, s[12:13]
	v_and_b32_e32 v5, 0xff, v3
	v_cvt_f32_fp8_sdwa v5, v5 src0_sel:BYTE_0
                                        ; implicit-def: $vgpr9
	s_nop 0
	v_mul_f32_e32 v7, v38, v5
	v_and_b32_e32 v5, 0x7f800000, v7
	v_cmp_ne_u32_e64 s[0:1], s15, v5
	s_and_saveexec_b64 s[12:13], s[0:1]
	s_xor_b64 s[0:1], exec, s[12:13]
; %bb.422:                              ;   in Loop: Header=BB341_306 Depth=1
	v_bfe_u32 v5, v7, 16, 1
	v_add3_u32 v9, v7, v5, s20
                                        ; implicit-def: $vgpr7
; %bb.423:                              ;   in Loop: Header=BB341_306 Depth=1
	s_andn2_saveexec_b64 s[12:13], s[0:1]
; %bb.424:                              ;   in Loop: Header=BB341_306 Depth=1
	v_or_b32_e32 v5, 0x10000, v7
	v_cmp_eq_u32_sdwa s[0:1], v7, v11 src0_sel:WORD_0 src1_sel:DWORD
	s_nop 1
	v_cndmask_b32_e64 v9, v5, v7, s[0:1]
; %bb.425:                              ;   in Loop: Header=BB341_306 Depth=1
	s_or_b64 exec, exec, s[12:13]
	v_bfe_u32 v5, v3, 8, 8
	v_cvt_f32_fp8_sdwa v5, v5 src0_sel:BYTE_0
                                        ; implicit-def: $vgpr7
	s_nop 0
	v_mul_f32_e32 v10, v38, v5
	v_and_b32_e32 v5, 0x7f800000, v10
	v_cmp_ne_u32_e64 s[0:1], s15, v5
	s_and_saveexec_b64 s[12:13], s[0:1]
	s_xor_b64 s[0:1], exec, s[12:13]
; %bb.426:                              ;   in Loop: Header=BB341_306 Depth=1
	v_bfe_u32 v5, v10, 16, 1
	v_add3_u32 v7, v10, v5, s20
                                        ; implicit-def: $vgpr10
; %bb.427:                              ;   in Loop: Header=BB341_306 Depth=1
	s_andn2_saveexec_b64 s[12:13], s[0:1]
; %bb.428:                              ;   in Loop: Header=BB341_306 Depth=1
	v_or_b32_e32 v5, 0x10000, v10
	v_cmp_eq_u32_sdwa s[0:1], v10, v11 src0_sel:WORD_0 src1_sel:DWORD
	s_nop 1
	v_cndmask_b32_e64 v7, v5, v10, s[0:1]
; %bb.429:                              ;   in Loop: Header=BB341_306 Depth=1
	s_or_b64 exec, exec, s[12:13]
	v_bfe_u32 v5, v3, 16, 8
	v_cvt_f32_fp8_sdwa v5, v5 src0_sel:BYTE_0
                                        ; implicit-def: $vgpr20
	s_nop 0
	v_mul_f32_e32 v10, v38, v5
	v_and_b32_e32 v5, 0x7f800000, v10
	v_cmp_ne_u32_e64 s[0:1], s15, v5
	s_and_saveexec_b64 s[12:13], s[0:1]
	s_xor_b64 s[0:1], exec, s[12:13]
; %bb.430:                              ;   in Loop: Header=BB341_306 Depth=1
	v_bfe_u32 v5, v10, 16, 1
	v_add3_u32 v20, v10, v5, s20
                                        ; implicit-def: $vgpr10
; %bb.431:                              ;   in Loop: Header=BB341_306 Depth=1
	s_andn2_saveexec_b64 s[12:13], s[0:1]
; %bb.432:                              ;   in Loop: Header=BB341_306 Depth=1
	v_or_b32_e32 v5, 0x10000, v10
	v_cmp_eq_u32_sdwa s[0:1], v10, v11 src0_sel:WORD_0 src1_sel:DWORD
	s_nop 1
	v_cndmask_b32_e64 v20, v5, v10, s[0:1]
; %bb.433:                              ;   in Loop: Header=BB341_306 Depth=1
	s_or_b64 exec, exec, s[12:13]
	v_lshrrev_b32_e32 v3, 24, v3
	v_cvt_f32_fp8_sdwa v3, v3 src0_sel:BYTE_0
                                        ; implicit-def: $vgpr21
	s_nop 0
	v_mul_f32_e32 v3, v38, v3
	v_and_b32_e32 v5, 0x7f800000, v3
	v_cmp_ne_u32_e64 s[0:1], s15, v5
	s_and_saveexec_b64 s[12:13], s[0:1]
	s_xor_b64 s[0:1], exec, s[12:13]
; %bb.434:                              ;   in Loop: Header=BB341_306 Depth=1
	v_bfe_u32 v5, v3, 16, 1
	v_add3_u32 v21, v3, v5, s20
                                        ; implicit-def: $vgpr3
; %bb.435:                              ;   in Loop: Header=BB341_306 Depth=1
	s_andn2_saveexec_b64 s[12:13], s[0:1]
; %bb.436:                              ;   in Loop: Header=BB341_306 Depth=1
	v_or_b32_e32 v5, 0x10000, v3
	v_cmp_eq_u32_sdwa s[0:1], v3, v11 src0_sel:WORD_0 src1_sel:DWORD
	s_nop 1
	v_cndmask_b32_e64 v21, v5, v3, s[0:1]
; %bb.437:                              ;   in Loop: Header=BB341_306 Depth=1
	s_or_b64 exec, exec, s[12:13]
	v_lshrrev_b32_e32 v7, 16, v7
	v_lshrrev_b32_e32 v9, 16, v9
	;; [unrolled: 1-line block ×8, first 2 shown]
	s_and_saveexec_b64 s[12:13], vcc
	s_cbranch_execz .LBB341_439
; %bb.438:                              ;   in Loop: Header=BB341_306 Depth=1
	scratch_load_dword v5, off, s32 offset:196 ; 4-byte Folded Reload
	v_accvgpr_read_b32 v20, a35
	s_waitcnt vmcnt(0)
	v_cmp_lt_i32_e64 s[0:1], v50, v5
	s_nop 1
	v_cndmask_b32_e64 v4, 0, v4, s[0:1]
	v_cmp_lt_i32_e64 s[0:1], v20, v5
	v_accvgpr_read_b32 v20, a34
	s_nop 0
	v_cndmask_b32_e64 v6, 0, v6, s[0:1]
	v_cmp_lt_i32_e64 s[0:1], v20, v5
	v_accvgpr_read_b32 v20, a33
	;; [unrolled: 4-line block ×6, first 2 shown]
	s_nop 0
	v_cndmask_b32_e64 v3, 0, v3, s[0:1]
	v_cmp_lt_i32_e64 s[0:1], v20, v5
	s_nop 1
	v_cndmask_b32_e64 v2, 0, v2, s[0:1]
.LBB341_439:                            ;   in Loop: Header=BB341_306 Depth=1
	s_or_b64 exec, exec, s[12:13]
	v_lshlrev_b32_e32 v4, 16, v4
	v_mul_f32_e32 v4, v44, v4
	v_and_b32_e32 v5, 0x7f800000, v4
	v_cmp_ne_u32_e64 s[0:1], s15, v5
                                        ; implicit-def: $agpr36
	s_and_saveexec_b64 s[12:13], s[0:1]
	s_xor_b64 s[0:1], exec, s[12:13]
; %bb.440:                              ;   in Loop: Header=BB341_306 Depth=1
	v_bfe_u32 v5, v4, 16, 1
	v_add3_u32 v4, v4, v5, s20
	v_accvgpr_write_b32 a36, v4
                                        ; implicit-def: $vgpr4
; %bb.441:                              ;   in Loop: Header=BB341_306 Depth=1
	s_andn2_saveexec_b64 s[12:13], s[0:1]
; %bb.442:                              ;   in Loop: Header=BB341_306 Depth=1
	v_or_b32_e32 v5, 0x10000, v4
	v_cmp_eq_u32_sdwa s[0:1], v4, v11 src0_sel:WORD_0 src1_sel:DWORD
	s_nop 1
	v_cndmask_b32_e64 v4, v5, v4, s[0:1]
	v_accvgpr_write_b32 a36, v4
; %bb.443:                              ;   in Loop: Header=BB341_306 Depth=1
	s_or_b64 exec, exec, s[12:13]
	v_lshlrev_b32_e32 v4, 16, v6
	v_mul_f32_e32 v4, v45, v4
	v_and_b32_e32 v5, 0x7f800000, v4
	v_cmp_ne_u32_e64 s[0:1], s15, v5
                                        ; implicit-def: $agpr37
	s_and_saveexec_b64 s[12:13], s[0:1]
	s_xor_b64 s[0:1], exec, s[12:13]
; %bb.444:                              ;   in Loop: Header=BB341_306 Depth=1
	v_bfe_u32 v5, v4, 16, 1
	v_add3_u32 v4, v4, v5, s20
	v_accvgpr_write_b32 a37, v4
                                        ; implicit-def: $vgpr4
; %bb.445:                              ;   in Loop: Header=BB341_306 Depth=1
	s_andn2_saveexec_b64 s[12:13], s[0:1]
; %bb.446:                              ;   in Loop: Header=BB341_306 Depth=1
	v_or_b32_e32 v5, 0x10000, v4
	v_cmp_eq_u32_sdwa s[0:1], v4, v11 src0_sel:WORD_0 src1_sel:DWORD
	s_nop 1
	v_cndmask_b32_e64 v4, v5, v4, s[0:1]
	v_accvgpr_write_b32 a37, v4
; %bb.447:                              ;   in Loop: Header=BB341_306 Depth=1
	s_or_b64 exec, exec, s[12:13]
	v_lshlrev_b32_e32 v4, 16, v8
	v_mul_f32_e32 v4, v46, v4
	v_and_b32_e32 v5, 0x7f800000, v4
	v_cmp_ne_u32_e64 s[0:1], s15, v5
                                        ; implicit-def: $agpr38
	s_and_saveexec_b64 s[12:13], s[0:1]
	s_xor_b64 s[0:1], exec, s[12:13]
; %bb.448:                              ;   in Loop: Header=BB341_306 Depth=1
	v_bfe_u32 v5, v4, 16, 1
	v_add3_u32 v4, v4, v5, s20
	v_accvgpr_write_b32 a38, v4
                                        ; implicit-def: $vgpr4
; %bb.449:                              ;   in Loop: Header=BB341_306 Depth=1
	s_andn2_saveexec_b64 s[12:13], s[0:1]
; %bb.450:                              ;   in Loop: Header=BB341_306 Depth=1
	v_or_b32_e32 v5, 0x10000, v4
	v_cmp_eq_u32_sdwa s[0:1], v4, v11 src0_sel:WORD_0 src1_sel:DWORD
	s_nop 1
	v_cndmask_b32_e64 v4, v5, v4, s[0:1]
	v_accvgpr_write_b32 a38, v4
; %bb.451:                              ;   in Loop: Header=BB341_306 Depth=1
	s_or_b64 exec, exec, s[12:13]
	v_lshlrev_b32_e32 v4, 16, v10
	v_mul_f32_e32 v4, v47, v4
	v_and_b32_e32 v5, 0x7f800000, v4
	v_cmp_ne_u32_e64 s[0:1], s15, v5
                                        ; implicit-def: $agpr39
	s_and_saveexec_b64 s[12:13], s[0:1]
	s_xor_b64 s[0:1], exec, s[12:13]
; %bb.452:                              ;   in Loop: Header=BB341_306 Depth=1
	v_bfe_u32 v5, v4, 16, 1
	v_add3_u32 v4, v4, v5, s20
	v_accvgpr_write_b32 a39, v4
                                        ; implicit-def: $vgpr4
; %bb.453:                              ;   in Loop: Header=BB341_306 Depth=1
	s_andn2_saveexec_b64 s[12:13], s[0:1]
; %bb.454:                              ;   in Loop: Header=BB341_306 Depth=1
	v_or_b32_e32 v5, 0x10000, v4
	v_cmp_eq_u32_sdwa s[0:1], v4, v11 src0_sel:WORD_0 src1_sel:DWORD
	s_nop 1
	v_cndmask_b32_e64 v4, v5, v4, s[0:1]
	v_accvgpr_write_b32 a39, v4
; %bb.455:                              ;   in Loop: Header=BB341_306 Depth=1
	s_or_b64 exec, exec, s[12:13]
	v_lshlrev_b32_e32 v4, 16, v9
	v_mul_f32_e32 v4, v56, v4
	v_and_b32_e32 v5, 0x7f800000, v4
	v_cmp_ne_u32_e64 s[0:1], s15, v5
                                        ; implicit-def: $agpr40
	s_and_saveexec_b64 s[12:13], s[0:1]
	s_xor_b64 s[0:1], exec, s[12:13]
; %bb.456:                              ;   in Loop: Header=BB341_306 Depth=1
	v_bfe_u32 v5, v4, 16, 1
	v_add3_u32 v4, v4, v5, s20
	v_accvgpr_write_b32 a40, v4
                                        ; implicit-def: $vgpr4
; %bb.457:                              ;   in Loop: Header=BB341_306 Depth=1
	s_andn2_saveexec_b64 s[12:13], s[0:1]
; %bb.458:                              ;   in Loop: Header=BB341_306 Depth=1
	v_or_b32_e32 v5, 0x10000, v4
	v_cmp_eq_u32_sdwa s[0:1], v4, v11 src0_sel:WORD_0 src1_sel:DWORD
	s_nop 1
	v_cndmask_b32_e64 v4, v5, v4, s[0:1]
	v_accvgpr_write_b32 a40, v4
; %bb.459:                              ;   in Loop: Header=BB341_306 Depth=1
	s_or_b64 exec, exec, s[12:13]
	v_lshlrev_b32_e32 v4, 16, v7
	v_mul_f32_e32 v4, v57, v4
	v_and_b32_e32 v5, 0x7f800000, v4
	v_cmp_ne_u32_e64 s[0:1], s15, v5
                                        ; implicit-def: $agpr41
	s_and_saveexec_b64 s[12:13], s[0:1]
	s_xor_b64 s[0:1], exec, s[12:13]
; %bb.460:                              ;   in Loop: Header=BB341_306 Depth=1
	v_bfe_u32 v5, v4, 16, 1
	v_add3_u32 v4, v4, v5, s20
	v_accvgpr_write_b32 a41, v4
                                        ; implicit-def: $vgpr4
; %bb.461:                              ;   in Loop: Header=BB341_306 Depth=1
	s_andn2_saveexec_b64 s[12:13], s[0:1]
; %bb.462:                              ;   in Loop: Header=BB341_306 Depth=1
	v_or_b32_e32 v5, 0x10000, v4
	v_cmp_eq_u32_sdwa s[0:1], v4, v11 src0_sel:WORD_0 src1_sel:DWORD
	s_nop 1
	v_cndmask_b32_e64 v4, v5, v4, s[0:1]
	v_accvgpr_write_b32 a41, v4
; %bb.463:                              ;   in Loop: Header=BB341_306 Depth=1
	s_or_b64 exec, exec, s[12:13]
	v_lshlrev_b32_e32 v3, 16, v3
	v_mul_f32_e32 v3, v58, v3
	v_and_b32_e32 v4, 0x7f800000, v3
	v_cmp_ne_u32_e64 s[0:1], s15, v4
                                        ; implicit-def: $agpr42
	s_and_saveexec_b64 s[12:13], s[0:1]
	s_xor_b64 s[0:1], exec, s[12:13]
; %bb.464:                              ;   in Loop: Header=BB341_306 Depth=1
	v_bfe_u32 v4, v3, 16, 1
	v_add3_u32 v3, v3, v4, s20
	v_accvgpr_write_b32 a42, v3
                                        ; implicit-def: $vgpr3
; %bb.465:                              ;   in Loop: Header=BB341_306 Depth=1
	s_andn2_saveexec_b64 s[12:13], s[0:1]
; %bb.466:                              ;   in Loop: Header=BB341_306 Depth=1
	v_or_b32_e32 v4, 0x10000, v3
	v_cmp_eq_u32_sdwa s[0:1], v3, v11 src0_sel:WORD_0 src1_sel:DWORD
	s_nop 1
	v_cndmask_b32_e64 v3, v4, v3, s[0:1]
	v_accvgpr_write_b32 a42, v3
; %bb.467:                              ;   in Loop: Header=BB341_306 Depth=1
	s_or_b64 exec, exec, s[12:13]
	v_lshlrev_b32_e32 v2, 16, v2
	v_mul_f32_e32 v2, v59, v2
	v_and_b32_e32 v3, 0x7f800000, v2
	v_cmp_ne_u32_e64 s[0:1], s15, v3
                                        ; implicit-def: $agpr43
	s_and_saveexec_b64 s[12:13], s[0:1]
	s_xor_b64 s[0:1], exec, s[12:13]
; %bb.468:                              ;   in Loop: Header=BB341_306 Depth=1
	v_bfe_u32 v3, v2, 16, 1
	v_add3_u32 v2, v2, v3, s20
	v_accvgpr_write_b32 a43, v2
                                        ; implicit-def: $vgpr2
; %bb.469:                              ;   in Loop: Header=BB341_306 Depth=1
	s_andn2_saveexec_b64 s[12:13], s[0:1]
; %bb.470:                              ;   in Loop: Header=BB341_306 Depth=1
	v_or_b32_e32 v3, 0x10000, v2
	v_cmp_eq_u32_sdwa s[0:1], v2, v11 src0_sel:WORD_0 src1_sel:DWORD
	s_nop 1
	v_cndmask_b32_e64 v2, v3, v2, s[0:1]
	v_accvgpr_write_b32 a43, v2
; %bb.471:                              ;   in Loop: Header=BB341_306 Depth=1
	s_or_b64 exec, exec, s[12:13]
	flat_load_dwordx2 v[2:3], v[0:1] offset:1024
	s_waitcnt vmcnt(0) lgkmcnt(0)
	v_and_b32_e32 v4, 0xff, v2
	v_cvt_f32_fp8_sdwa v4, v4 src0_sel:BYTE_0
	s_nop 0
	v_mul_f32_e32 v6, v38, v4
	v_and_b32_e32 v4, 0x7f800000, v6
	v_cmp_ne_u32_e64 s[0:1], s15, v4
                                        ; implicit-def: $vgpr4
	s_and_saveexec_b64 s[12:13], s[0:1]
	s_xor_b64 s[0:1], exec, s[12:13]
; %bb.472:                              ;   in Loop: Header=BB341_306 Depth=1
	v_bfe_u32 v4, v6, 16, 1
	v_add3_u32 v4, v6, v4, s20
                                        ; implicit-def: $vgpr6
; %bb.473:                              ;   in Loop: Header=BB341_306 Depth=1
	s_andn2_saveexec_b64 s[12:13], s[0:1]
; %bb.474:                              ;   in Loop: Header=BB341_306 Depth=1
	v_or_b32_e32 v4, 0x10000, v6
	v_cmp_eq_u32_sdwa s[0:1], v6, v11 src0_sel:WORD_0 src1_sel:DWORD
	s_nop 1
	v_cndmask_b32_e64 v4, v4, v6, s[0:1]
; %bb.475:                              ;   in Loop: Header=BB341_306 Depth=1
	s_or_b64 exec, exec, s[12:13]
	v_bfe_u32 v5, v2, 8, 8
	v_cvt_f32_fp8_sdwa v5, v5 src0_sel:BYTE_0
                                        ; implicit-def: $vgpr6
	s_nop 0
	v_mul_f32_e32 v7, v38, v5
	v_and_b32_e32 v5, 0x7f800000, v7
	v_cmp_ne_u32_e64 s[0:1], s15, v5
	s_and_saveexec_b64 s[12:13], s[0:1]
	s_xor_b64 s[0:1], exec, s[12:13]
; %bb.476:                              ;   in Loop: Header=BB341_306 Depth=1
	v_bfe_u32 v5, v7, 16, 1
	v_add3_u32 v6, v7, v5, s20
                                        ; implicit-def: $vgpr7
; %bb.477:                              ;   in Loop: Header=BB341_306 Depth=1
	s_andn2_saveexec_b64 s[12:13], s[0:1]
; %bb.478:                              ;   in Loop: Header=BB341_306 Depth=1
	v_or_b32_e32 v5, 0x10000, v7
	v_cmp_eq_u32_sdwa s[0:1], v7, v11 src0_sel:WORD_0 src1_sel:DWORD
	s_nop 1
	v_cndmask_b32_e64 v6, v5, v7, s[0:1]
; %bb.479:                              ;   in Loop: Header=BB341_306 Depth=1
	s_or_b64 exec, exec, s[12:13]
	v_bfe_u32 v5, v2, 16, 8
	v_cvt_f32_fp8_sdwa v5, v5 src0_sel:BYTE_0
                                        ; implicit-def: $vgpr8
	s_nop 0
	v_mul_f32_e32 v7, v38, v5
	v_and_b32_e32 v5, 0x7f800000, v7
	v_cmp_ne_u32_e64 s[0:1], s15, v5
	s_and_saveexec_b64 s[12:13], s[0:1]
	s_xor_b64 s[0:1], exec, s[12:13]
; %bb.480:                              ;   in Loop: Header=BB341_306 Depth=1
	v_bfe_u32 v5, v7, 16, 1
	v_add3_u32 v8, v7, v5, s20
                                        ; implicit-def: $vgpr7
; %bb.481:                              ;   in Loop: Header=BB341_306 Depth=1
	s_andn2_saveexec_b64 s[12:13], s[0:1]
; %bb.482:                              ;   in Loop: Header=BB341_306 Depth=1
	v_or_b32_e32 v5, 0x10000, v7
	v_cmp_eq_u32_sdwa s[0:1], v7, v11 src0_sel:WORD_0 src1_sel:DWORD
	s_nop 1
	v_cndmask_b32_e64 v8, v5, v7, s[0:1]
; %bb.483:                              ;   in Loop: Header=BB341_306 Depth=1
	s_or_b64 exec, exec, s[12:13]
	v_lshrrev_b32_e32 v2, 24, v2
	v_cvt_f32_fp8_sdwa v2, v2 src0_sel:BYTE_0
	s_nop 0
	v_mul_f32_e32 v7, v38, v2
	v_and_b32_e32 v2, 0x7f800000, v7
	v_cmp_ne_u32_e64 s[0:1], s15, v2
                                        ; implicit-def: $vgpr2
	s_and_saveexec_b64 s[12:13], s[0:1]
	s_xor_b64 s[0:1], exec, s[12:13]
; %bb.484:                              ;   in Loop: Header=BB341_306 Depth=1
	v_bfe_u32 v2, v7, 16, 1
	v_add3_u32 v2, v7, v2, s20
                                        ; implicit-def: $vgpr7
; %bb.485:                              ;   in Loop: Header=BB341_306 Depth=1
	s_andn2_saveexec_b64 s[12:13], s[0:1]
; %bb.486:                              ;   in Loop: Header=BB341_306 Depth=1
	v_or_b32_e32 v2, 0x10000, v7
	v_cmp_eq_u32_sdwa s[0:1], v7, v11 src0_sel:WORD_0 src1_sel:DWORD
	s_nop 1
	v_cndmask_b32_e64 v2, v2, v7, s[0:1]
; %bb.487:                              ;   in Loop: Header=BB341_306 Depth=1
	s_or_b64 exec, exec, s[12:13]
	v_and_b32_e32 v5, 0xff, v3
	v_cvt_f32_fp8_sdwa v5, v5 src0_sel:BYTE_0
                                        ; implicit-def: $vgpr9
	s_nop 0
	v_mul_f32_e32 v7, v38, v5
	v_and_b32_e32 v5, 0x7f800000, v7
	v_cmp_ne_u32_e64 s[0:1], s15, v5
	s_and_saveexec_b64 s[12:13], s[0:1]
	s_xor_b64 s[0:1], exec, s[12:13]
; %bb.488:                              ;   in Loop: Header=BB341_306 Depth=1
	v_bfe_u32 v5, v7, 16, 1
	v_add3_u32 v9, v7, v5, s20
                                        ; implicit-def: $vgpr7
; %bb.489:                              ;   in Loop: Header=BB341_306 Depth=1
	s_andn2_saveexec_b64 s[12:13], s[0:1]
; %bb.490:                              ;   in Loop: Header=BB341_306 Depth=1
	v_or_b32_e32 v5, 0x10000, v7
	v_cmp_eq_u32_sdwa s[0:1], v7, v11 src0_sel:WORD_0 src1_sel:DWORD
	s_nop 1
	v_cndmask_b32_e64 v9, v5, v7, s[0:1]
; %bb.491:                              ;   in Loop: Header=BB341_306 Depth=1
	s_or_b64 exec, exec, s[12:13]
	v_bfe_u32 v5, v3, 8, 8
	v_cvt_f32_fp8_sdwa v5, v5 src0_sel:BYTE_0
                                        ; implicit-def: $vgpr7
	s_nop 0
	v_mul_f32_e32 v10, v38, v5
	v_and_b32_e32 v5, 0x7f800000, v10
	v_cmp_ne_u32_e64 s[0:1], s15, v5
	s_and_saveexec_b64 s[12:13], s[0:1]
	s_xor_b64 s[0:1], exec, s[12:13]
; %bb.492:                              ;   in Loop: Header=BB341_306 Depth=1
	v_bfe_u32 v5, v10, 16, 1
	v_add3_u32 v7, v10, v5, s20
                                        ; implicit-def: $vgpr10
; %bb.493:                              ;   in Loop: Header=BB341_306 Depth=1
	s_andn2_saveexec_b64 s[12:13], s[0:1]
; %bb.494:                              ;   in Loop: Header=BB341_306 Depth=1
	v_or_b32_e32 v5, 0x10000, v10
	v_cmp_eq_u32_sdwa s[0:1], v10, v11 src0_sel:WORD_0 src1_sel:DWORD
	s_nop 1
	v_cndmask_b32_e64 v7, v5, v10, s[0:1]
; %bb.495:                              ;   in Loop: Header=BB341_306 Depth=1
	s_or_b64 exec, exec, s[12:13]
	v_bfe_u32 v5, v3, 16, 8
	v_cvt_f32_fp8_sdwa v5, v5 src0_sel:BYTE_0
                                        ; implicit-def: $vgpr20
	s_nop 0
	v_mul_f32_e32 v10, v38, v5
	v_and_b32_e32 v5, 0x7f800000, v10
	v_cmp_ne_u32_e64 s[0:1], s15, v5
	s_and_saveexec_b64 s[12:13], s[0:1]
	s_xor_b64 s[0:1], exec, s[12:13]
; %bb.496:                              ;   in Loop: Header=BB341_306 Depth=1
	v_bfe_u32 v5, v10, 16, 1
	v_add3_u32 v20, v10, v5, s20
                                        ; implicit-def: $vgpr10
; %bb.497:                              ;   in Loop: Header=BB341_306 Depth=1
	s_andn2_saveexec_b64 s[12:13], s[0:1]
; %bb.498:                              ;   in Loop: Header=BB341_306 Depth=1
	v_or_b32_e32 v5, 0x10000, v10
	v_cmp_eq_u32_sdwa s[0:1], v10, v11 src0_sel:WORD_0 src1_sel:DWORD
	s_nop 1
	v_cndmask_b32_e64 v20, v5, v10, s[0:1]
; %bb.499:                              ;   in Loop: Header=BB341_306 Depth=1
	s_or_b64 exec, exec, s[12:13]
	v_lshrrev_b32_e32 v3, 24, v3
	v_cvt_f32_fp8_sdwa v3, v3 src0_sel:BYTE_0
                                        ; implicit-def: $vgpr21
	s_nop 0
	v_mul_f32_e32 v3, v38, v3
	v_and_b32_e32 v5, 0x7f800000, v3
	v_cmp_ne_u32_e64 s[0:1], s15, v5
	s_and_saveexec_b64 s[12:13], s[0:1]
	s_xor_b64 s[0:1], exec, s[12:13]
; %bb.500:                              ;   in Loop: Header=BB341_306 Depth=1
	v_bfe_u32 v5, v3, 16, 1
	v_add3_u32 v21, v3, v5, s20
                                        ; implicit-def: $vgpr3
; %bb.501:                              ;   in Loop: Header=BB341_306 Depth=1
	s_andn2_saveexec_b64 s[12:13], s[0:1]
; %bb.502:                              ;   in Loop: Header=BB341_306 Depth=1
	v_or_b32_e32 v5, 0x10000, v3
	v_cmp_eq_u32_sdwa s[0:1], v3, v11 src0_sel:WORD_0 src1_sel:DWORD
	s_nop 1
	v_cndmask_b32_e64 v21, v5, v3, s[0:1]
; %bb.503:                              ;   in Loop: Header=BB341_306 Depth=1
	s_or_b64 exec, exec, s[12:13]
	v_lshrrev_b32_e32 v7, 16, v7
	v_lshrrev_b32_e32 v9, 16, v9
	;; [unrolled: 1-line block ×8, first 2 shown]
	s_and_saveexec_b64 s[12:13], vcc
	s_cbranch_execz .LBB341_505
; %bb.504:                              ;   in Loop: Header=BB341_306 Depth=1
	scratch_load_dword v5, off, s32 offset:196 ; 4-byte Folded Reload
	v_accvgpr_read_b32 v20, a35
	s_waitcnt vmcnt(0)
	v_cmp_lt_i32_e64 s[0:1], v50, v5
	s_nop 1
	v_cndmask_b32_e64 v4, 0, v4, s[0:1]
	v_cmp_lt_i32_e64 s[0:1], v20, v5
	v_accvgpr_read_b32 v20, a34
	s_nop 0
	v_cndmask_b32_e64 v6, 0, v6, s[0:1]
	v_cmp_lt_i32_e64 s[0:1], v20, v5
	v_accvgpr_read_b32 v20, a33
	;; [unrolled: 4-line block ×6, first 2 shown]
	s_nop 0
	v_cndmask_b32_e64 v3, 0, v3, s[0:1]
	v_cmp_lt_i32_e64 s[0:1], v20, v5
	s_nop 1
	v_cndmask_b32_e64 v2, 0, v2, s[0:1]
.LBB341_505:                            ;   in Loop: Header=BB341_306 Depth=1
	s_or_b64 exec, exec, s[12:13]
	v_lshlrev_b32_e32 v4, 16, v4
	v_mul_f32_e32 v4, v44, v4
	v_and_b32_e32 v5, 0x7f800000, v4
	v_cmp_ne_u32_e64 s[0:1], s15, v5
                                        ; implicit-def: $agpr44
	s_and_saveexec_b64 s[12:13], s[0:1]
	s_xor_b64 s[0:1], exec, s[12:13]
; %bb.506:                              ;   in Loop: Header=BB341_306 Depth=1
	v_bfe_u32 v5, v4, 16, 1
	v_add3_u32 v4, v4, v5, s20
	v_accvgpr_write_b32 a44, v4
                                        ; implicit-def: $vgpr4
; %bb.507:                              ;   in Loop: Header=BB341_306 Depth=1
	s_andn2_saveexec_b64 s[12:13], s[0:1]
; %bb.508:                              ;   in Loop: Header=BB341_306 Depth=1
	v_or_b32_e32 v5, 0x10000, v4
	v_cmp_eq_u32_sdwa s[0:1], v4, v11 src0_sel:WORD_0 src1_sel:DWORD
	s_nop 1
	v_cndmask_b32_e64 v4, v5, v4, s[0:1]
	v_accvgpr_write_b32 a44, v4
; %bb.509:                              ;   in Loop: Header=BB341_306 Depth=1
	s_or_b64 exec, exec, s[12:13]
	v_lshlrev_b32_e32 v4, 16, v6
	v_mul_f32_e32 v4, v45, v4
	v_and_b32_e32 v5, 0x7f800000, v4
	v_cmp_ne_u32_e64 s[0:1], s15, v5
                                        ; implicit-def: $agpr45
	s_and_saveexec_b64 s[12:13], s[0:1]
	s_xor_b64 s[0:1], exec, s[12:13]
; %bb.510:                              ;   in Loop: Header=BB341_306 Depth=1
	v_bfe_u32 v5, v4, 16, 1
	v_add3_u32 v4, v4, v5, s20
	v_accvgpr_write_b32 a45, v4
                                        ; implicit-def: $vgpr4
; %bb.511:                              ;   in Loop: Header=BB341_306 Depth=1
	s_andn2_saveexec_b64 s[12:13], s[0:1]
; %bb.512:                              ;   in Loop: Header=BB341_306 Depth=1
	v_or_b32_e32 v5, 0x10000, v4
	v_cmp_eq_u32_sdwa s[0:1], v4, v11 src0_sel:WORD_0 src1_sel:DWORD
	s_nop 1
	v_cndmask_b32_e64 v4, v5, v4, s[0:1]
	v_accvgpr_write_b32 a45, v4
; %bb.513:                              ;   in Loop: Header=BB341_306 Depth=1
	s_or_b64 exec, exec, s[12:13]
	v_lshlrev_b32_e32 v4, 16, v8
	v_mul_f32_e32 v4, v46, v4
	v_and_b32_e32 v5, 0x7f800000, v4
	v_cmp_ne_u32_e64 s[0:1], s15, v5
                                        ; implicit-def: $agpr46
	s_and_saveexec_b64 s[12:13], s[0:1]
	s_xor_b64 s[0:1], exec, s[12:13]
; %bb.514:                              ;   in Loop: Header=BB341_306 Depth=1
	v_bfe_u32 v5, v4, 16, 1
	v_add3_u32 v4, v4, v5, s20
	v_accvgpr_write_b32 a46, v4
                                        ; implicit-def: $vgpr4
; %bb.515:                              ;   in Loop: Header=BB341_306 Depth=1
	s_andn2_saveexec_b64 s[12:13], s[0:1]
; %bb.516:                              ;   in Loop: Header=BB341_306 Depth=1
	v_or_b32_e32 v5, 0x10000, v4
	v_cmp_eq_u32_sdwa s[0:1], v4, v11 src0_sel:WORD_0 src1_sel:DWORD
	s_nop 1
	v_cndmask_b32_e64 v4, v5, v4, s[0:1]
	v_accvgpr_write_b32 a46, v4
; %bb.517:                              ;   in Loop: Header=BB341_306 Depth=1
	s_or_b64 exec, exec, s[12:13]
	v_lshlrev_b32_e32 v4, 16, v10
	v_mul_f32_e32 v4, v47, v4
	v_and_b32_e32 v5, 0x7f800000, v4
	v_cmp_ne_u32_e64 s[0:1], s15, v5
                                        ; implicit-def: $agpr47
	s_and_saveexec_b64 s[12:13], s[0:1]
	s_xor_b64 s[0:1], exec, s[12:13]
; %bb.518:                              ;   in Loop: Header=BB341_306 Depth=1
	v_bfe_u32 v5, v4, 16, 1
	v_add3_u32 v4, v4, v5, s20
	v_accvgpr_write_b32 a47, v4
                                        ; implicit-def: $vgpr4
; %bb.519:                              ;   in Loop: Header=BB341_306 Depth=1
	s_andn2_saveexec_b64 s[12:13], s[0:1]
; %bb.520:                              ;   in Loop: Header=BB341_306 Depth=1
	v_or_b32_e32 v5, 0x10000, v4
	v_cmp_eq_u32_sdwa s[0:1], v4, v11 src0_sel:WORD_0 src1_sel:DWORD
	s_nop 1
	v_cndmask_b32_e64 v4, v5, v4, s[0:1]
	v_accvgpr_write_b32 a47, v4
; %bb.521:                              ;   in Loop: Header=BB341_306 Depth=1
	s_or_b64 exec, exec, s[12:13]
	v_lshlrev_b32_e32 v4, 16, v9
	v_mul_f32_e32 v4, v56, v4
	v_and_b32_e32 v5, 0x7f800000, v4
	v_cmp_ne_u32_e64 s[0:1], s15, v5
                                        ; implicit-def: $agpr48
	s_and_saveexec_b64 s[12:13], s[0:1]
	s_xor_b64 s[0:1], exec, s[12:13]
; %bb.522:                              ;   in Loop: Header=BB341_306 Depth=1
	v_bfe_u32 v5, v4, 16, 1
	v_add3_u32 v4, v4, v5, s20
	v_accvgpr_write_b32 a48, v4
                                        ; implicit-def: $vgpr4
; %bb.523:                              ;   in Loop: Header=BB341_306 Depth=1
	s_andn2_saveexec_b64 s[12:13], s[0:1]
; %bb.524:                              ;   in Loop: Header=BB341_306 Depth=1
	v_or_b32_e32 v5, 0x10000, v4
	v_cmp_eq_u32_sdwa s[0:1], v4, v11 src0_sel:WORD_0 src1_sel:DWORD
	s_nop 1
	v_cndmask_b32_e64 v4, v5, v4, s[0:1]
	v_accvgpr_write_b32 a48, v4
; %bb.525:                              ;   in Loop: Header=BB341_306 Depth=1
	s_or_b64 exec, exec, s[12:13]
	v_lshlrev_b32_e32 v4, 16, v7
	v_mul_f32_e32 v4, v57, v4
	v_and_b32_e32 v5, 0x7f800000, v4
	v_cmp_ne_u32_e64 s[0:1], s15, v5
                                        ; implicit-def: $agpr49
	s_and_saveexec_b64 s[12:13], s[0:1]
	s_xor_b64 s[0:1], exec, s[12:13]
; %bb.526:                              ;   in Loop: Header=BB341_306 Depth=1
	v_bfe_u32 v5, v4, 16, 1
	v_add3_u32 v4, v4, v5, s20
	v_accvgpr_write_b32 a49, v4
                                        ; implicit-def: $vgpr4
; %bb.527:                              ;   in Loop: Header=BB341_306 Depth=1
	s_andn2_saveexec_b64 s[12:13], s[0:1]
; %bb.528:                              ;   in Loop: Header=BB341_306 Depth=1
	v_or_b32_e32 v5, 0x10000, v4
	v_cmp_eq_u32_sdwa s[0:1], v4, v11 src0_sel:WORD_0 src1_sel:DWORD
	s_nop 1
	v_cndmask_b32_e64 v4, v5, v4, s[0:1]
	v_accvgpr_write_b32 a49, v4
; %bb.529:                              ;   in Loop: Header=BB341_306 Depth=1
	s_or_b64 exec, exec, s[12:13]
	v_lshlrev_b32_e32 v3, 16, v3
	v_mul_f32_e32 v3, v58, v3
	v_and_b32_e32 v4, 0x7f800000, v3
	v_cmp_ne_u32_e64 s[0:1], s15, v4
                                        ; implicit-def: $agpr50
	s_and_saveexec_b64 s[12:13], s[0:1]
	s_xor_b64 s[0:1], exec, s[12:13]
; %bb.530:                              ;   in Loop: Header=BB341_306 Depth=1
	v_bfe_u32 v4, v3, 16, 1
	v_add3_u32 v3, v3, v4, s20
	v_accvgpr_write_b32 a50, v3
                                        ; implicit-def: $vgpr3
; %bb.531:                              ;   in Loop: Header=BB341_306 Depth=1
	s_andn2_saveexec_b64 s[12:13], s[0:1]
; %bb.532:                              ;   in Loop: Header=BB341_306 Depth=1
	v_or_b32_e32 v4, 0x10000, v3
	v_cmp_eq_u32_sdwa s[0:1], v3, v11 src0_sel:WORD_0 src1_sel:DWORD
	s_nop 1
	v_cndmask_b32_e64 v3, v4, v3, s[0:1]
	v_accvgpr_write_b32 a50, v3
; %bb.533:                              ;   in Loop: Header=BB341_306 Depth=1
	s_or_b64 exec, exec, s[12:13]
	v_lshlrev_b32_e32 v2, 16, v2
	v_mul_f32_e32 v2, v59, v2
	v_and_b32_e32 v3, 0x7f800000, v2
	v_cmp_ne_u32_e64 s[0:1], s15, v3
                                        ; implicit-def: $agpr51
	s_and_saveexec_b64 s[12:13], s[0:1]
	s_xor_b64 s[0:1], exec, s[12:13]
; %bb.534:                              ;   in Loop: Header=BB341_306 Depth=1
	v_bfe_u32 v3, v2, 16, 1
	v_add3_u32 v2, v2, v3, s20
	v_accvgpr_write_b32 a51, v2
                                        ; implicit-def: $vgpr2
; %bb.535:                              ;   in Loop: Header=BB341_306 Depth=1
	s_andn2_saveexec_b64 s[12:13], s[0:1]
; %bb.536:                              ;   in Loop: Header=BB341_306 Depth=1
	v_or_b32_e32 v3, 0x10000, v2
	v_cmp_eq_u32_sdwa s[0:1], v2, v11 src0_sel:WORD_0 src1_sel:DWORD
	s_nop 1
	v_cndmask_b32_e64 v2, v3, v2, s[0:1]
	v_accvgpr_write_b32 a51, v2
; %bb.537:                              ;   in Loop: Header=BB341_306 Depth=1
	s_or_b64 exec, exec, s[12:13]
	flat_load_dwordx2 v[2:3], v[0:1] offset:1536
	s_waitcnt vmcnt(0) lgkmcnt(0)
	v_and_b32_e32 v4, 0xff, v2
	v_cvt_f32_fp8_sdwa v4, v4 src0_sel:BYTE_0
	s_nop 0
	v_mul_f32_e32 v6, v38, v4
	v_and_b32_e32 v4, 0x7f800000, v6
	v_cmp_ne_u32_e64 s[0:1], s15, v4
                                        ; implicit-def: $vgpr4
	s_and_saveexec_b64 s[12:13], s[0:1]
	s_xor_b64 s[0:1], exec, s[12:13]
; %bb.538:                              ;   in Loop: Header=BB341_306 Depth=1
	v_bfe_u32 v4, v6, 16, 1
	v_add3_u32 v4, v6, v4, s20
                                        ; implicit-def: $vgpr6
; %bb.539:                              ;   in Loop: Header=BB341_306 Depth=1
	s_andn2_saveexec_b64 s[12:13], s[0:1]
; %bb.540:                              ;   in Loop: Header=BB341_306 Depth=1
	v_or_b32_e32 v4, 0x10000, v6
	v_cmp_eq_u32_sdwa s[0:1], v6, v11 src0_sel:WORD_0 src1_sel:DWORD
	s_nop 1
	v_cndmask_b32_e64 v4, v4, v6, s[0:1]
; %bb.541:                              ;   in Loop: Header=BB341_306 Depth=1
	s_or_b64 exec, exec, s[12:13]
	v_bfe_u32 v5, v2, 8, 8
	v_cvt_f32_fp8_sdwa v5, v5 src0_sel:BYTE_0
                                        ; implicit-def: $vgpr7
	s_nop 0
	v_mul_f32_e32 v6, v38, v5
	v_and_b32_e32 v5, 0x7f800000, v6
	v_cmp_ne_u32_e64 s[0:1], s15, v5
	s_and_saveexec_b64 s[12:13], s[0:1]
	s_xor_b64 s[0:1], exec, s[12:13]
; %bb.542:                              ;   in Loop: Header=BB341_306 Depth=1
	v_bfe_u32 v5, v6, 16, 1
	v_add3_u32 v7, v6, v5, s20
                                        ; implicit-def: $vgpr6
; %bb.543:                              ;   in Loop: Header=BB341_306 Depth=1
	s_andn2_saveexec_b64 s[12:13], s[0:1]
; %bb.544:                              ;   in Loop: Header=BB341_306 Depth=1
	v_or_b32_e32 v5, 0x10000, v6
	v_cmp_eq_u32_sdwa s[0:1], v6, v11 src0_sel:WORD_0 src1_sel:DWORD
	s_nop 1
	v_cndmask_b32_e64 v7, v5, v6, s[0:1]
; %bb.545:                              ;   in Loop: Header=BB341_306 Depth=1
	s_or_b64 exec, exec, s[12:13]
	v_bfe_u32 v5, v2, 16, 8
	v_cvt_f32_fp8_sdwa v5, v5 src0_sel:BYTE_0
                                        ; implicit-def: $vgpr6
	s_nop 0
	v_mul_f32_e32 v8, v38, v5
	v_and_b32_e32 v5, 0x7f800000, v8
	v_cmp_ne_u32_e64 s[0:1], s15, v5
	s_and_saveexec_b64 s[12:13], s[0:1]
	s_xor_b64 s[0:1], exec, s[12:13]
; %bb.546:                              ;   in Loop: Header=BB341_306 Depth=1
	v_bfe_u32 v5, v8, 16, 1
	v_add3_u32 v6, v8, v5, s20
                                        ; implicit-def: $vgpr8
; %bb.547:                              ;   in Loop: Header=BB341_306 Depth=1
	s_andn2_saveexec_b64 s[12:13], s[0:1]
; %bb.548:                              ;   in Loop: Header=BB341_306 Depth=1
	v_or_b32_e32 v5, 0x10000, v8
	v_cmp_eq_u32_sdwa s[0:1], v8, v11 src0_sel:WORD_0 src1_sel:DWORD
	s_nop 1
	v_cndmask_b32_e64 v6, v5, v8, s[0:1]
; %bb.549:                              ;   in Loop: Header=BB341_306 Depth=1
	s_or_b64 exec, exec, s[12:13]
	v_lshrrev_b32_e32 v2, 24, v2
	v_cvt_f32_fp8_sdwa v2, v2 src0_sel:BYTE_0
	s_nop 0
	v_mul_f32_e32 v8, v38, v2
	v_and_b32_e32 v2, 0x7f800000, v8
	v_cmp_ne_u32_e64 s[0:1], s15, v2
                                        ; implicit-def: $vgpr2
	s_and_saveexec_b64 s[12:13], s[0:1]
	s_xor_b64 s[0:1], exec, s[12:13]
; %bb.550:                              ;   in Loop: Header=BB341_306 Depth=1
	v_bfe_u32 v2, v8, 16, 1
	v_add3_u32 v2, v8, v2, s20
                                        ; implicit-def: $vgpr8
; %bb.551:                              ;   in Loop: Header=BB341_306 Depth=1
	s_andn2_saveexec_b64 s[12:13], s[0:1]
; %bb.552:                              ;   in Loop: Header=BB341_306 Depth=1
	v_or_b32_e32 v2, 0x10000, v8
	v_cmp_eq_u32_sdwa s[0:1], v8, v11 src0_sel:WORD_0 src1_sel:DWORD
	s_nop 1
	v_cndmask_b32_e64 v2, v2, v8, s[0:1]
; %bb.553:                              ;   in Loop: Header=BB341_306 Depth=1
	s_or_b64 exec, exec, s[12:13]
	v_and_b32_e32 v5, 0xff, v3
	v_cvt_f32_fp8_sdwa v5, v5 src0_sel:BYTE_0
                                        ; implicit-def: $vgpr8
	s_nop 0
	v_mul_f32_e32 v9, v38, v5
	v_and_b32_e32 v5, 0x7f800000, v9
	v_cmp_ne_u32_e64 s[0:1], s15, v5
	s_and_saveexec_b64 s[12:13], s[0:1]
	s_xor_b64 s[0:1], exec, s[12:13]
; %bb.554:                              ;   in Loop: Header=BB341_306 Depth=1
	v_bfe_u32 v5, v9, 16, 1
	v_add3_u32 v8, v9, v5, s20
                                        ; implicit-def: $vgpr9
; %bb.555:                              ;   in Loop: Header=BB341_306 Depth=1
	s_andn2_saveexec_b64 s[12:13], s[0:1]
; %bb.556:                              ;   in Loop: Header=BB341_306 Depth=1
	v_or_b32_e32 v5, 0x10000, v9
	v_cmp_eq_u32_sdwa s[0:1], v9, v11 src0_sel:WORD_0 src1_sel:DWORD
	s_nop 1
	v_cndmask_b32_e64 v8, v5, v9, s[0:1]
; %bb.557:                              ;   in Loop: Header=BB341_306 Depth=1
	s_or_b64 exec, exec, s[12:13]
	v_bfe_u32 v5, v3, 8, 8
	v_cvt_f32_fp8_sdwa v5, v5 src0_sel:BYTE_0
                                        ; implicit-def: $vgpr9
	s_nop 0
	v_mul_f32_e32 v10, v38, v5
	v_and_b32_e32 v5, 0x7f800000, v10
	v_cmp_ne_u32_e64 s[0:1], s15, v5
	s_and_saveexec_b64 s[12:13], s[0:1]
	s_xor_b64 s[0:1], exec, s[12:13]
; %bb.558:                              ;   in Loop: Header=BB341_306 Depth=1
	v_bfe_u32 v5, v10, 16, 1
	v_add3_u32 v9, v10, v5, s20
                                        ; implicit-def: $vgpr10
; %bb.559:                              ;   in Loop: Header=BB341_306 Depth=1
	s_andn2_saveexec_b64 s[12:13], s[0:1]
; %bb.560:                              ;   in Loop: Header=BB341_306 Depth=1
	v_or_b32_e32 v5, 0x10000, v10
	v_cmp_eq_u32_sdwa s[0:1], v10, v11 src0_sel:WORD_0 src1_sel:DWORD
	s_nop 1
	v_cndmask_b32_e64 v9, v5, v10, s[0:1]
; %bb.561:                              ;   in Loop: Header=BB341_306 Depth=1
	s_or_b64 exec, exec, s[12:13]
	v_bfe_u32 v5, v3, 16, 8
	v_cvt_f32_fp8_sdwa v5, v5 src0_sel:BYTE_0
                                        ; implicit-def: $vgpr21
	s_nop 0
	v_mul_f32_e32 v10, v38, v5
	v_and_b32_e32 v5, 0x7f800000, v10
	v_cmp_ne_u32_e64 s[0:1], s15, v5
	s_and_saveexec_b64 s[12:13], s[0:1]
	s_xor_b64 s[0:1], exec, s[12:13]
; %bb.562:                              ;   in Loop: Header=BB341_306 Depth=1
	v_bfe_u32 v5, v10, 16, 1
	v_add3_u32 v21, v10, v5, s20
                                        ; implicit-def: $vgpr10
; %bb.563:                              ;   in Loop: Header=BB341_306 Depth=1
	s_andn2_saveexec_b64 s[12:13], s[0:1]
; %bb.564:                              ;   in Loop: Header=BB341_306 Depth=1
	v_or_b32_e32 v5, 0x10000, v10
	v_cmp_eq_u32_sdwa s[0:1], v10, v11 src0_sel:WORD_0 src1_sel:DWORD
	s_nop 1
	v_cndmask_b32_e64 v21, v5, v10, s[0:1]
; %bb.565:                              ;   in Loop: Header=BB341_306 Depth=1
	s_or_b64 exec, exec, s[12:13]
	v_lshrrev_b32_e32 v3, 24, v3
	v_cvt_f32_fp8_sdwa v3, v3 src0_sel:BYTE_0
                                        ; implicit-def: $vgpr22
	s_nop 0
	v_mul_f32_e32 v3, v38, v3
	v_and_b32_e32 v5, 0x7f800000, v3
	v_cmp_ne_u32_e64 s[0:1], s15, v5
	s_and_saveexec_b64 s[12:13], s[0:1]
	s_xor_b64 s[0:1], exec, s[12:13]
; %bb.566:                              ;   in Loop: Header=BB341_306 Depth=1
	v_bfe_u32 v5, v3, 16, 1
	v_add3_u32 v22, v3, v5, s20
                                        ; implicit-def: $vgpr3
; %bb.567:                              ;   in Loop: Header=BB341_306 Depth=1
	s_andn2_saveexec_b64 s[12:13], s[0:1]
; %bb.568:                              ;   in Loop: Header=BB341_306 Depth=1
	v_or_b32_e32 v5, 0x10000, v3
	v_cmp_eq_u32_sdwa s[0:1], v3, v11 src0_sel:WORD_0 src1_sel:DWORD
	s_nop 1
	v_cndmask_b32_e64 v22, v5, v3, s[0:1]
; %bb.569:                              ;   in Loop: Header=BB341_306 Depth=1
	s_or_b64 exec, exec, s[12:13]
	v_lshrrev_b32_e32 v10, 16, v9
	v_lshrrev_b32_e32 v20, 16, v8
	v_lshrrev_b32_e32 v9, 16, v2
	v_lshrrev_b32_e32 v6, 16, v6
	v_lshrrev_b32_e32 v7, 16, v7
	v_lshrrev_b32_e32 v4, 16, v4
	v_lshrrev_b32_e32 v3, 16, v21
	v_lshrrev_b32_e32 v2, 16, v22
	s_and_saveexec_b64 s[12:13], vcc
	s_cbranch_execz .LBB341_571
; %bb.570:                              ;   in Loop: Header=BB341_306 Depth=1
	scratch_load_dword v5, off, s32 offset:196 ; 4-byte Folded Reload
	v_accvgpr_read_b32 v8, a35
	s_waitcnt vmcnt(0)
	v_cmp_lt_i32_e64 s[0:1], v50, v5
	s_nop 1
	v_cndmask_b32_e64 v4, 0, v4, s[0:1]
	v_cmp_lt_i32_e64 s[0:1], v8, v5
	v_accvgpr_read_b32 v8, a34
	s_nop 0
	v_cndmask_b32_e64 v7, 0, v7, s[0:1]
	v_cmp_lt_i32_e64 s[0:1], v8, v5
	v_accvgpr_read_b32 v8, a33
	;; [unrolled: 4-line block ×6, first 2 shown]
	s_nop 0
	v_cndmask_b32_e64 v3, 0, v3, s[0:1]
	v_cmp_lt_i32_e64 s[0:1], v8, v5
	s_nop 1
	v_cndmask_b32_e64 v2, 0, v2, s[0:1]
.LBB341_571:                            ;   in Loop: Header=BB341_306 Depth=1
	s_or_b64 exec, exec, s[12:13]
	v_lshlrev_b32_e32 v4, 16, v4
	v_mul_f32_e32 v4, v44, v4
	v_and_b32_e32 v5, 0x7f800000, v4
	v_cmp_ne_u32_e64 s[0:1], s15, v5
                                        ; implicit-def: $agpr52
	s_and_saveexec_b64 s[12:13], s[0:1]
	s_xor_b64 s[0:1], exec, s[12:13]
; %bb.572:                              ;   in Loop: Header=BB341_306 Depth=1
	v_bfe_u32 v5, v4, 16, 1
	v_add3_u32 v4, v4, v5, s20
	v_accvgpr_write_b32 a52, v4
                                        ; implicit-def: $vgpr4
; %bb.573:                              ;   in Loop: Header=BB341_306 Depth=1
	s_andn2_saveexec_b64 s[12:13], s[0:1]
; %bb.574:                              ;   in Loop: Header=BB341_306 Depth=1
	v_or_b32_e32 v5, 0x10000, v4
	v_cmp_eq_u32_sdwa s[0:1], v4, v11 src0_sel:WORD_0 src1_sel:DWORD
	s_nop 1
	v_cndmask_b32_e64 v4, v5, v4, s[0:1]
	v_accvgpr_write_b32 a52, v4
; %bb.575:                              ;   in Loop: Header=BB341_306 Depth=1
	s_or_b64 exec, exec, s[12:13]
	v_lshlrev_b32_e32 v4, 16, v7
	v_mul_f32_e32 v4, v45, v4
	v_and_b32_e32 v5, 0x7f800000, v4
	v_cmp_ne_u32_e64 s[0:1], s15, v5
                                        ; implicit-def: $agpr53
	s_and_saveexec_b64 s[12:13], s[0:1]
	s_xor_b64 s[0:1], exec, s[12:13]
; %bb.576:                              ;   in Loop: Header=BB341_306 Depth=1
	v_bfe_u32 v5, v4, 16, 1
	v_add3_u32 v4, v4, v5, s20
	v_accvgpr_write_b32 a53, v4
                                        ; implicit-def: $vgpr4
; %bb.577:                              ;   in Loop: Header=BB341_306 Depth=1
	s_andn2_saveexec_b64 s[12:13], s[0:1]
; %bb.578:                              ;   in Loop: Header=BB341_306 Depth=1
	v_or_b32_e32 v5, 0x10000, v4
	v_cmp_eq_u32_sdwa s[0:1], v4, v11 src0_sel:WORD_0 src1_sel:DWORD
	s_nop 1
	v_cndmask_b32_e64 v4, v5, v4, s[0:1]
	v_accvgpr_write_b32 a53, v4
; %bb.579:                              ;   in Loop: Header=BB341_306 Depth=1
	s_or_b64 exec, exec, s[12:13]
	v_lshlrev_b32_e32 v4, 16, v6
	v_mul_f32_e32 v4, v46, v4
	v_and_b32_e32 v5, 0x7f800000, v4
	v_cmp_ne_u32_e64 s[0:1], s15, v5
                                        ; implicit-def: $agpr54
	s_and_saveexec_b64 s[12:13], s[0:1]
	s_xor_b64 s[0:1], exec, s[12:13]
; %bb.580:                              ;   in Loop: Header=BB341_306 Depth=1
	v_bfe_u32 v5, v4, 16, 1
	v_add3_u32 v4, v4, v5, s20
	v_accvgpr_write_b32 a54, v4
                                        ; implicit-def: $vgpr4
; %bb.581:                              ;   in Loop: Header=BB341_306 Depth=1
	s_andn2_saveexec_b64 s[12:13], s[0:1]
; %bb.582:                              ;   in Loop: Header=BB341_306 Depth=1
	v_or_b32_e32 v5, 0x10000, v4
	v_cmp_eq_u32_sdwa s[0:1], v4, v11 src0_sel:WORD_0 src1_sel:DWORD
	s_nop 1
	v_cndmask_b32_e64 v4, v5, v4, s[0:1]
	v_accvgpr_write_b32 a54, v4
; %bb.583:                              ;   in Loop: Header=BB341_306 Depth=1
	s_or_b64 exec, exec, s[12:13]
	v_lshlrev_b32_e32 v4, 16, v9
	v_mul_f32_e32 v4, v47, v4
	v_and_b32_e32 v5, 0x7f800000, v4
	v_cmp_ne_u32_e64 s[0:1], s15, v5
                                        ; implicit-def: $agpr55
	s_and_saveexec_b64 s[12:13], s[0:1]
	s_xor_b64 s[0:1], exec, s[12:13]
; %bb.584:                              ;   in Loop: Header=BB341_306 Depth=1
	v_bfe_u32 v5, v4, 16, 1
	v_add3_u32 v4, v4, v5, s20
	v_accvgpr_write_b32 a55, v4
                                        ; implicit-def: $vgpr4
; %bb.585:                              ;   in Loop: Header=BB341_306 Depth=1
	s_andn2_saveexec_b64 s[12:13], s[0:1]
; %bb.586:                              ;   in Loop: Header=BB341_306 Depth=1
	v_or_b32_e32 v5, 0x10000, v4
	v_cmp_eq_u32_sdwa s[0:1], v4, v11 src0_sel:WORD_0 src1_sel:DWORD
	s_nop 1
	v_cndmask_b32_e64 v4, v5, v4, s[0:1]
	v_accvgpr_write_b32 a55, v4
; %bb.587:                              ;   in Loop: Header=BB341_306 Depth=1
	s_or_b64 exec, exec, s[12:13]
	v_lshlrev_b32_e32 v4, 16, v20
	v_mul_f32_e32 v4, v56, v4
	v_and_b32_e32 v5, 0x7f800000, v4
	v_cmp_ne_u32_e64 s[0:1], s15, v5
                                        ; implicit-def: $vgpr37
	s_and_saveexec_b64 s[12:13], s[0:1]
	s_xor_b64 s[0:1], exec, s[12:13]
; %bb.588:                              ;   in Loop: Header=BB341_306 Depth=1
	v_bfe_u32 v5, v4, 16, 1
	v_add3_u32 v37, v4, v5, s20
                                        ; implicit-def: $vgpr4
; %bb.589:                              ;   in Loop: Header=BB341_306 Depth=1
	s_andn2_saveexec_b64 s[12:13], s[0:1]
; %bb.590:                              ;   in Loop: Header=BB341_306 Depth=1
	v_or_b32_e32 v5, 0x10000, v4
	v_cmp_eq_u32_sdwa s[0:1], v4, v11 src0_sel:WORD_0 src1_sel:DWORD
	s_nop 1
	v_cndmask_b32_e64 v37, v5, v4, s[0:1]
; %bb.591:                              ;   in Loop: Header=BB341_306 Depth=1
	s_or_b64 exec, exec, s[12:13]
	v_lshlrev_b32_e32 v4, 16, v10
	v_mul_f32_e32 v4, v57, v4
	v_and_b32_e32 v5, 0x7f800000, v4
	v_cmp_ne_u32_e64 s[0:1], s15, v5
                                        ; implicit-def: $vgpr39
	s_and_saveexec_b64 s[12:13], s[0:1]
	s_xor_b64 s[0:1], exec, s[12:13]
; %bb.592:                              ;   in Loop: Header=BB341_306 Depth=1
	v_bfe_u32 v5, v4, 16, 1
	v_add3_u32 v39, v4, v5, s20
                                        ; implicit-def: $vgpr4
; %bb.593:                              ;   in Loop: Header=BB341_306 Depth=1
	s_andn2_saveexec_b64 s[12:13], s[0:1]
; %bb.594:                              ;   in Loop: Header=BB341_306 Depth=1
	v_or_b32_e32 v5, 0x10000, v4
	v_cmp_eq_u32_sdwa s[0:1], v4, v11 src0_sel:WORD_0 src1_sel:DWORD
	s_nop 1
	v_cndmask_b32_e64 v39, v5, v4, s[0:1]
; %bb.595:                              ;   in Loop: Header=BB341_306 Depth=1
	s_or_b64 exec, exec, s[12:13]
	v_lshlrev_b32_e32 v3, 16, v3
	v_mul_f32_e32 v3, v58, v3
	v_and_b32_e32 v4, 0x7f800000, v3
	v_cmp_ne_u32_e64 s[0:1], s15, v4
                                        ; implicit-def: $vgpr48
	s_and_saveexec_b64 s[12:13], s[0:1]
	s_xor_b64 s[0:1], exec, s[12:13]
; %bb.596:                              ;   in Loop: Header=BB341_306 Depth=1
	v_bfe_u32 v4, v3, 16, 1
	v_add3_u32 v48, v3, v4, s20
                                        ; implicit-def: $vgpr3
; %bb.597:                              ;   in Loop: Header=BB341_306 Depth=1
	s_andn2_saveexec_b64 s[12:13], s[0:1]
; %bb.598:                              ;   in Loop: Header=BB341_306 Depth=1
	v_or_b32_e32 v4, 0x10000, v3
	v_cmp_eq_u32_sdwa s[0:1], v3, v11 src0_sel:WORD_0 src1_sel:DWORD
	s_nop 1
	v_cndmask_b32_e64 v48, v4, v3, s[0:1]
; %bb.599:                              ;   in Loop: Header=BB341_306 Depth=1
	s_or_b64 exec, exec, s[12:13]
	v_lshlrev_b32_e32 v2, 16, v2
	v_mul_f32_e32 v2, v59, v2
	v_and_b32_e32 v3, 0x7f800000, v2
	v_cmp_ne_u32_e64 s[0:1], s15, v3
                                        ; implicit-def: $vgpr49
	s_and_saveexec_b64 s[12:13], s[0:1]
	s_xor_b64 s[0:1], exec, s[12:13]
; %bb.600:                              ;   in Loop: Header=BB341_306 Depth=1
	v_bfe_u32 v3, v2, 16, 1
	v_add3_u32 v49, v2, v3, s20
                                        ; implicit-def: $vgpr2
; %bb.601:                              ;   in Loop: Header=BB341_306 Depth=1
	s_andn2_saveexec_b64 s[12:13], s[0:1]
; %bb.602:                              ;   in Loop: Header=BB341_306 Depth=1
	v_or_b32_e32 v3, 0x10000, v2
	v_cmp_eq_u32_sdwa s[0:1], v2, v11 src0_sel:WORD_0 src1_sel:DWORD
	s_nop 1
	v_cndmask_b32_e64 v49, v3, v2, s[0:1]
; %bb.603:                              ;   in Loop: Header=BB341_306 Depth=1
	s_or_b64 exec, exec, s[12:13]
	flat_load_dwordx2 v[2:3], v[0:1] offset:2048
	s_waitcnt vmcnt(0) lgkmcnt(0)
	v_and_b32_e32 v4, 0xff, v2
	v_cvt_f32_fp8_sdwa v4, v4 src0_sel:BYTE_0
	s_nop 0
	v_mul_f32_e32 v6, v38, v4
	v_and_b32_e32 v4, 0x7f800000, v6
	v_cmp_ne_u32_e64 s[0:1], s15, v4
                                        ; implicit-def: $vgpr4
	s_and_saveexec_b64 s[12:13], s[0:1]
	s_xor_b64 s[0:1], exec, s[12:13]
; %bb.604:                              ;   in Loop: Header=BB341_306 Depth=1
	v_bfe_u32 v4, v6, 16, 1
	v_add3_u32 v4, v6, v4, s20
                                        ; implicit-def: $vgpr6
; %bb.605:                              ;   in Loop: Header=BB341_306 Depth=1
	s_andn2_saveexec_b64 s[12:13], s[0:1]
; %bb.606:                              ;   in Loop: Header=BB341_306 Depth=1
	v_or_b32_e32 v4, 0x10000, v6
	v_cmp_eq_u32_sdwa s[0:1], v6, v11 src0_sel:WORD_0 src1_sel:DWORD
	s_nop 1
	v_cndmask_b32_e64 v4, v4, v6, s[0:1]
; %bb.607:                              ;   in Loop: Header=BB341_306 Depth=1
	s_or_b64 exec, exec, s[12:13]
	v_bfe_u32 v5, v2, 8, 8
	v_cvt_f32_fp8_sdwa v5, v5 src0_sel:BYTE_0
                                        ; implicit-def: $vgpr10
	s_nop 0
	v_mul_f32_e32 v6, v38, v5
	v_and_b32_e32 v5, 0x7f800000, v6
	v_cmp_ne_u32_e64 s[0:1], s15, v5
	s_and_saveexec_b64 s[12:13], s[0:1]
	s_xor_b64 s[0:1], exec, s[12:13]
; %bb.608:                              ;   in Loop: Header=BB341_306 Depth=1
	v_bfe_u32 v5, v6, 16, 1
	v_add3_u32 v10, v6, v5, s20
                                        ; implicit-def: $vgpr6
; %bb.609:                              ;   in Loop: Header=BB341_306 Depth=1
	s_andn2_saveexec_b64 s[12:13], s[0:1]
; %bb.610:                              ;   in Loop: Header=BB341_306 Depth=1
	v_or_b32_e32 v5, 0x10000, v6
	v_cmp_eq_u32_sdwa s[0:1], v6, v11 src0_sel:WORD_0 src1_sel:DWORD
	s_nop 1
	v_cndmask_b32_e64 v10, v5, v6, s[0:1]
; %bb.611:                              ;   in Loop: Header=BB341_306 Depth=1
	s_or_b64 exec, exec, s[12:13]
	v_bfe_u32 v5, v2, 16, 8
	v_cvt_f32_fp8_sdwa v5, v5 src0_sel:BYTE_0
                                        ; implicit-def: $vgpr6
	s_nop 0
	v_mul_f32_e32 v7, v38, v5
	v_and_b32_e32 v5, 0x7f800000, v7
	v_cmp_ne_u32_e64 s[0:1], s15, v5
	s_and_saveexec_b64 s[12:13], s[0:1]
	s_xor_b64 s[0:1], exec, s[12:13]
; %bb.612:                              ;   in Loop: Header=BB341_306 Depth=1
	v_bfe_u32 v5, v7, 16, 1
	v_add3_u32 v6, v7, v5, s20
                                        ; implicit-def: $vgpr7
; %bb.613:                              ;   in Loop: Header=BB341_306 Depth=1
	s_andn2_saveexec_b64 s[12:13], s[0:1]
; %bb.614:                              ;   in Loop: Header=BB341_306 Depth=1
	v_or_b32_e32 v5, 0x10000, v7
	v_cmp_eq_u32_sdwa s[0:1], v7, v11 src0_sel:WORD_0 src1_sel:DWORD
	s_nop 1
	v_cndmask_b32_e64 v6, v5, v7, s[0:1]
; %bb.615:                              ;   in Loop: Header=BB341_306 Depth=1
	s_or_b64 exec, exec, s[12:13]
	v_lshrrev_b32_e32 v2, 24, v2
	v_cvt_f32_fp8_sdwa v2, v2 src0_sel:BYTE_0
	s_nop 0
	v_mul_f32_e32 v7, v38, v2
	v_and_b32_e32 v2, 0x7f800000, v7
	v_cmp_ne_u32_e64 s[0:1], s15, v2
                                        ; implicit-def: $vgpr2
	s_and_saveexec_b64 s[12:13], s[0:1]
	s_xor_b64 s[0:1], exec, s[12:13]
; %bb.616:                              ;   in Loop: Header=BB341_306 Depth=1
	v_bfe_u32 v2, v7, 16, 1
	v_add3_u32 v2, v7, v2, s20
                                        ; implicit-def: $vgpr7
; %bb.617:                              ;   in Loop: Header=BB341_306 Depth=1
	s_andn2_saveexec_b64 s[12:13], s[0:1]
; %bb.618:                              ;   in Loop: Header=BB341_306 Depth=1
	v_or_b32_e32 v2, 0x10000, v7
	v_cmp_eq_u32_sdwa s[0:1], v7, v11 src0_sel:WORD_0 src1_sel:DWORD
	s_nop 1
	v_cndmask_b32_e64 v2, v2, v7, s[0:1]
; %bb.619:                              ;   in Loop: Header=BB341_306 Depth=1
	s_or_b64 exec, exec, s[12:13]
	v_and_b32_e32 v5, 0xff, v3
	v_cvt_f32_fp8_sdwa v5, v5 src0_sel:BYTE_0
                                        ; implicit-def: $vgpr7
	s_nop 0
	v_mul_f32_e32 v8, v38, v5
	v_and_b32_e32 v5, 0x7f800000, v8
	v_cmp_ne_u32_e64 s[0:1], s15, v5
	s_and_saveexec_b64 s[12:13], s[0:1]
	s_xor_b64 s[0:1], exec, s[12:13]
; %bb.620:                              ;   in Loop: Header=BB341_306 Depth=1
	v_bfe_u32 v5, v8, 16, 1
	v_add3_u32 v7, v8, v5, s20
                                        ; implicit-def: $vgpr8
; %bb.621:                              ;   in Loop: Header=BB341_306 Depth=1
	s_andn2_saveexec_b64 s[12:13], s[0:1]
; %bb.622:                              ;   in Loop: Header=BB341_306 Depth=1
	v_or_b32_e32 v5, 0x10000, v8
	v_cmp_eq_u32_sdwa s[0:1], v8, v11 src0_sel:WORD_0 src1_sel:DWORD
	s_nop 1
	v_cndmask_b32_e64 v7, v5, v8, s[0:1]
; %bb.623:                              ;   in Loop: Header=BB341_306 Depth=1
	s_or_b64 exec, exec, s[12:13]
	v_bfe_u32 v5, v3, 8, 8
	v_cvt_f32_fp8_sdwa v5, v5 src0_sel:BYTE_0
                                        ; implicit-def: $vgpr8
	s_nop 0
	v_mul_f32_e32 v9, v38, v5
	v_and_b32_e32 v5, 0x7f800000, v9
	v_cmp_ne_u32_e64 s[0:1], s15, v5
	s_and_saveexec_b64 s[12:13], s[0:1]
	s_xor_b64 s[0:1], exec, s[12:13]
; %bb.624:                              ;   in Loop: Header=BB341_306 Depth=1
	v_bfe_u32 v5, v9, 16, 1
	v_add3_u32 v8, v9, v5, s20
                                        ; implicit-def: $vgpr9
; %bb.625:                              ;   in Loop: Header=BB341_306 Depth=1
	s_andn2_saveexec_b64 s[12:13], s[0:1]
; %bb.626:                              ;   in Loop: Header=BB341_306 Depth=1
	v_or_b32_e32 v5, 0x10000, v9
	v_cmp_eq_u32_sdwa s[0:1], v9, v11 src0_sel:WORD_0 src1_sel:DWORD
	s_nop 1
	v_cndmask_b32_e64 v8, v5, v9, s[0:1]
; %bb.627:                              ;   in Loop: Header=BB341_306 Depth=1
	s_or_b64 exec, exec, s[12:13]
	v_bfe_u32 v5, v3, 16, 8
	v_cvt_f32_fp8_sdwa v5, v5 src0_sel:BYTE_0
                                        ; implicit-def: $vgpr20
	s_nop 0
	v_mul_f32_e32 v9, v38, v5
	v_and_b32_e32 v5, 0x7f800000, v9
	v_cmp_ne_u32_e64 s[0:1], s15, v5
	s_and_saveexec_b64 s[12:13], s[0:1]
	s_xor_b64 s[0:1], exec, s[12:13]
; %bb.628:                              ;   in Loop: Header=BB341_306 Depth=1
	v_bfe_u32 v5, v9, 16, 1
	v_add3_u32 v20, v9, v5, s20
                                        ; implicit-def: $vgpr9
; %bb.629:                              ;   in Loop: Header=BB341_306 Depth=1
	s_andn2_saveexec_b64 s[12:13], s[0:1]
; %bb.630:                              ;   in Loop: Header=BB341_306 Depth=1
	v_or_b32_e32 v5, 0x10000, v9
	v_cmp_eq_u32_sdwa s[0:1], v9, v11 src0_sel:WORD_0 src1_sel:DWORD
	s_nop 1
	v_cndmask_b32_e64 v20, v5, v9, s[0:1]
; %bb.631:                              ;   in Loop: Header=BB341_306 Depth=1
	s_or_b64 exec, exec, s[12:13]
	v_lshrrev_b32_e32 v3, 24, v3
	v_cvt_f32_fp8_sdwa v3, v3 src0_sel:BYTE_0
                                        ; implicit-def: $vgpr9
	s_nop 0
	v_mul_f32_e32 v3, v38, v3
	v_and_b32_e32 v5, 0x7f800000, v3
	v_cmp_ne_u32_e64 s[0:1], s15, v5
	s_and_saveexec_b64 s[12:13], s[0:1]
	s_xor_b64 s[0:1], exec, s[12:13]
; %bb.632:                              ;   in Loop: Header=BB341_306 Depth=1
	v_bfe_u32 v5, v3, 16, 1
	v_add3_u32 v9, v3, v5, s20
                                        ; implicit-def: $vgpr3
; %bb.633:                              ;   in Loop: Header=BB341_306 Depth=1
	s_andn2_saveexec_b64 s[12:13], s[0:1]
; %bb.634:                              ;   in Loop: Header=BB341_306 Depth=1
	v_or_b32_e32 v5, 0x10000, v3
	v_cmp_eq_u32_sdwa s[0:1], v3, v11 src0_sel:WORD_0 src1_sel:DWORD
	s_nop 1
	v_cndmask_b32_e64 v9, v5, v3, s[0:1]
; %bb.635:                              ;   in Loop: Header=BB341_306 Depth=1
	s_or_b64 exec, exec, s[12:13]
	v_lshrrev_b32_e32 v21, 16, v8
	v_lshrrev_b32_e32 v22, 16, v7
	;; [unrolled: 1-line block ×8, first 2 shown]
	s_and_saveexec_b64 s[12:13], vcc
	s_cbranch_execz .LBB341_637
; %bb.636:                              ;   in Loop: Header=BB341_306 Depth=1
	scratch_load_dword v5, off, s32 offset:196 ; 4-byte Folded Reload
	v_accvgpr_read_b32 v9, a35
	s_waitcnt vmcnt(0)
	v_cmp_lt_i32_e64 s[0:1], v50, v5
	s_nop 1
	v_cndmask_b32_e64 v4, 0, v4, s[0:1]
	v_cmp_lt_i32_e64 s[0:1], v9, v5
	v_accvgpr_read_b32 v9, a34
	s_nop 0
	v_cndmask_b32_e64 v8, 0, v8, s[0:1]
	v_cmp_lt_i32_e64 s[0:1], v9, v5
	v_accvgpr_read_b32 v9, a33
	;; [unrolled: 4-line block ×6, first 2 shown]
	s_nop 0
	v_cndmask_b32_e64 v3, 0, v3, s[0:1]
	v_cmp_lt_i32_e64 s[0:1], v9, v5
	s_nop 1
	v_cndmask_b32_e64 v2, 0, v2, s[0:1]
.LBB341_637:                            ;   in Loop: Header=BB341_306 Depth=1
	s_or_b64 exec, exec, s[12:13]
	v_lshlrev_b32_e32 v4, 16, v4
	v_mul_f32_e32 v4, v44, v4
	v_and_b32_e32 v5, 0x7f800000, v4
	v_cmp_ne_u32_e64 s[0:1], s15, v5
                                        ; implicit-def: $vgpr20
	s_and_saveexec_b64 s[12:13], s[0:1]
	s_xor_b64 s[0:1], exec, s[12:13]
; %bb.638:                              ;   in Loop: Header=BB341_306 Depth=1
	v_bfe_u32 v5, v4, 16, 1
	v_add3_u32 v20, v4, v5, s20
                                        ; implicit-def: $vgpr4
; %bb.639:                              ;   in Loop: Header=BB341_306 Depth=1
	s_andn2_saveexec_b64 s[12:13], s[0:1]
; %bb.640:                              ;   in Loop: Header=BB341_306 Depth=1
	v_or_b32_e32 v5, 0x10000, v4
	v_cmp_eq_u32_sdwa s[0:1], v4, v11 src0_sel:WORD_0 src1_sel:DWORD
	s_nop 1
	v_cndmask_b32_e64 v20, v5, v4, s[0:1]
; %bb.641:                              ;   in Loop: Header=BB341_306 Depth=1
	s_or_b64 exec, exec, s[12:13]
	v_lshlrev_b32_e32 v4, 16, v8
	v_mul_f32_e32 v4, v45, v4
	v_and_b32_e32 v5, 0x7f800000, v4
	v_cmp_ne_u32_e64 s[0:1], s15, v5
                                        ; implicit-def: $vgpr33
	s_and_saveexec_b64 s[12:13], s[0:1]
	s_xor_b64 s[0:1], exec, s[12:13]
; %bb.642:                              ;   in Loop: Header=BB341_306 Depth=1
	v_bfe_u32 v5, v4, 16, 1
	v_add3_u32 v33, v4, v5, s20
                                        ; implicit-def: $vgpr4
; %bb.643:                              ;   in Loop: Header=BB341_306 Depth=1
	s_andn2_saveexec_b64 s[12:13], s[0:1]
; %bb.644:                              ;   in Loop: Header=BB341_306 Depth=1
	v_or_b32_e32 v5, 0x10000, v4
	v_cmp_eq_u32_sdwa s[0:1], v4, v11 src0_sel:WORD_0 src1_sel:DWORD
	s_nop 1
	v_cndmask_b32_e64 v33, v5, v4, s[0:1]
; %bb.645:                              ;   in Loop: Header=BB341_306 Depth=1
	s_or_b64 exec, exec, s[12:13]
	v_lshlrev_b32_e32 v4, 16, v6
	v_mul_f32_e32 v4, v46, v4
	v_and_b32_e32 v5, 0x7f800000, v4
	v_cmp_ne_u32_e64 s[0:1], s15, v5
                                        ; implicit-def: $vgpr23
	s_and_saveexec_b64 s[12:13], s[0:1]
	s_xor_b64 s[0:1], exec, s[12:13]
; %bb.646:                              ;   in Loop: Header=BB341_306 Depth=1
	v_bfe_u32 v5, v4, 16, 1
	v_add3_u32 v23, v4, v5, s20
                                        ; implicit-def: $vgpr4
; %bb.647:                              ;   in Loop: Header=BB341_306 Depth=1
	s_andn2_saveexec_b64 s[12:13], s[0:1]
; %bb.648:                              ;   in Loop: Header=BB341_306 Depth=1
	v_or_b32_e32 v5, 0x10000, v4
	v_cmp_eq_u32_sdwa s[0:1], v4, v11 src0_sel:WORD_0 src1_sel:DWORD
	s_nop 1
	v_cndmask_b32_e64 v23, v5, v4, s[0:1]
; %bb.649:                              ;   in Loop: Header=BB341_306 Depth=1
	s_or_b64 exec, exec, s[12:13]
	v_lshlrev_b32_e32 v4, 16, v7
	v_mul_f32_e32 v4, v47, v4
	v_and_b32_e32 v5, 0x7f800000, v4
	v_cmp_ne_u32_e64 s[0:1], s15, v5
                                        ; implicit-def: $vgpr35
	s_and_saveexec_b64 s[12:13], s[0:1]
	s_xor_b64 s[0:1], exec, s[12:13]
; %bb.650:                              ;   in Loop: Header=BB341_306 Depth=1
	v_bfe_u32 v5, v4, 16, 1
	v_add3_u32 v35, v4, v5, s20
                                        ; implicit-def: $vgpr4
; %bb.651:                              ;   in Loop: Header=BB341_306 Depth=1
	s_andn2_saveexec_b64 s[12:13], s[0:1]
; %bb.652:                              ;   in Loop: Header=BB341_306 Depth=1
	v_or_b32_e32 v5, 0x10000, v4
	v_cmp_eq_u32_sdwa s[0:1], v4, v11 src0_sel:WORD_0 src1_sel:DWORD
	s_nop 1
	v_cndmask_b32_e64 v35, v5, v4, s[0:1]
; %bb.653:                              ;   in Loop: Header=BB341_306 Depth=1
	s_or_b64 exec, exec, s[12:13]
	v_lshlrev_b32_e32 v4, 16, v22
	v_mul_f32_e32 v4, v56, v4
	v_and_b32_e32 v5, 0x7f800000, v4
	v_cmp_ne_u32_e64 s[0:1], s15, v5
                                        ; implicit-def: $vgpr36
	s_and_saveexec_b64 s[12:13], s[0:1]
	s_xor_b64 s[0:1], exec, s[12:13]
; %bb.654:                              ;   in Loop: Header=BB341_306 Depth=1
	v_bfe_u32 v5, v4, 16, 1
	v_add3_u32 v36, v4, v5, s20
                                        ; implicit-def: $vgpr4
; %bb.655:                              ;   in Loop: Header=BB341_306 Depth=1
	s_andn2_saveexec_b64 s[12:13], s[0:1]
; %bb.656:                              ;   in Loop: Header=BB341_306 Depth=1
	v_or_b32_e32 v5, 0x10000, v4
	v_cmp_eq_u32_sdwa s[0:1], v4, v11 src0_sel:WORD_0 src1_sel:DWORD
	s_nop 1
	v_cndmask_b32_e64 v36, v5, v4, s[0:1]
; %bb.657:                              ;   in Loop: Header=BB341_306 Depth=1
	s_or_b64 exec, exec, s[12:13]
	v_lshlrev_b32_e32 v4, 16, v21
	v_mul_f32_e32 v6, v57, v4
	v_and_b32_e32 v4, 0x7f800000, v6
	v_cmp_ne_u32_e64 s[0:1], s15, v4
                                        ; implicit-def: $vgpr4
	s_and_saveexec_b64 s[12:13], s[0:1]
	s_xor_b64 s[0:1], exec, s[12:13]
; %bb.658:                              ;   in Loop: Header=BB341_306 Depth=1
	v_bfe_u32 v4, v6, 16, 1
	v_add3_u32 v4, v6, v4, s20
                                        ; implicit-def: $vgpr6
; %bb.659:                              ;   in Loop: Header=BB341_306 Depth=1
	s_andn2_saveexec_b64 s[12:13], s[0:1]
; %bb.660:                              ;   in Loop: Header=BB341_306 Depth=1
	v_or_b32_e32 v4, 0x10000, v6
	v_cmp_eq_u32_sdwa s[0:1], v6, v11 src0_sel:WORD_0 src1_sel:DWORD
	s_nop 1
	v_cndmask_b32_e64 v4, v4, v6, s[0:1]
; %bb.661:                              ;   in Loop: Header=BB341_306 Depth=1
	s_or_b64 exec, exec, s[12:13]
	v_lshlrev_b32_e32 v3, 16, v3
	v_mul_f32_e32 v3, v58, v3
	v_and_b32_e32 v5, 0x7f800000, v3
	v_cmp_ne_u32_e64 s[0:1], s15, v5
                                        ; implicit-def: $vgpr32
	s_and_saveexec_b64 s[12:13], s[0:1]
	s_xor_b64 s[0:1], exec, s[12:13]
; %bb.662:                              ;   in Loop: Header=BB341_306 Depth=1
	v_bfe_u32 v5, v3, 16, 1
	v_add3_u32 v32, v3, v5, s20
                                        ; implicit-def: $vgpr3
; %bb.663:                              ;   in Loop: Header=BB341_306 Depth=1
	s_andn2_saveexec_b64 s[12:13], s[0:1]
; %bb.664:                              ;   in Loop: Header=BB341_306 Depth=1
	v_or_b32_e32 v5, 0x10000, v3
	v_cmp_eq_u32_sdwa s[0:1], v3, v11 src0_sel:WORD_0 src1_sel:DWORD
	s_nop 1
	v_cndmask_b32_e64 v32, v5, v3, s[0:1]
; %bb.665:                              ;   in Loop: Header=BB341_306 Depth=1
	s_or_b64 exec, exec, s[12:13]
	v_lshlrev_b32_e32 v2, 16, v2
	v_mul_f32_e32 v2, v59, v2
	v_and_b32_e32 v3, 0x7f800000, v2
	v_cmp_ne_u32_e64 s[0:1], s15, v3
                                        ; implicit-def: $vgpr10
	s_and_saveexec_b64 s[12:13], s[0:1]
	s_xor_b64 s[0:1], exec, s[12:13]
; %bb.666:                              ;   in Loop: Header=BB341_306 Depth=1
	v_bfe_u32 v3, v2, 16, 1
	v_add3_u32 v10, v2, v3, s20
                                        ; implicit-def: $vgpr2
; %bb.667:                              ;   in Loop: Header=BB341_306 Depth=1
	s_andn2_saveexec_b64 s[12:13], s[0:1]
; %bb.668:                              ;   in Loop: Header=BB341_306 Depth=1
	v_or_b32_e32 v3, 0x10000, v2
	v_cmp_eq_u32_sdwa s[0:1], v2, v11 src0_sel:WORD_0 src1_sel:DWORD
	s_nop 1
	v_cndmask_b32_e64 v10, v3, v2, s[0:1]
; %bb.669:                              ;   in Loop: Header=BB341_306 Depth=1
	s_or_b64 exec, exec, s[12:13]
	flat_load_dwordx2 v[2:3], v[0:1] offset:2560
                                        ; implicit-def: $vgpr26
	s_waitcnt vmcnt(0) lgkmcnt(0)
	v_and_b32_e32 v5, 0xff, v2
	v_cvt_f32_fp8_sdwa v5, v5 src0_sel:BYTE_0
	s_nop 0
	v_mul_f32_e32 v6, v38, v5
	v_and_b32_e32 v5, 0x7f800000, v6
	v_cmp_ne_u32_e64 s[0:1], s15, v5
	s_and_saveexec_b64 s[12:13], s[0:1]
	s_xor_b64 s[0:1], exec, s[12:13]
; %bb.670:                              ;   in Loop: Header=BB341_306 Depth=1
	v_bfe_u32 v5, v6, 16, 1
	v_add3_u32 v26, v6, v5, s20
                                        ; implicit-def: $vgpr6
; %bb.671:                              ;   in Loop: Header=BB341_306 Depth=1
	s_andn2_saveexec_b64 s[12:13], s[0:1]
; %bb.672:                              ;   in Loop: Header=BB341_306 Depth=1
	v_or_b32_e32 v5, 0x10000, v6
	v_cmp_eq_u32_sdwa s[0:1], v6, v11 src0_sel:WORD_0 src1_sel:DWORD
	s_nop 1
	v_cndmask_b32_e64 v26, v5, v6, s[0:1]
; %bb.673:                              ;   in Loop: Header=BB341_306 Depth=1
	s_or_b64 exec, exec, s[12:13]
	v_bfe_u32 v5, v2, 8, 8
	v_cvt_f32_fp8_sdwa v5, v5 src0_sel:BYTE_0
                                        ; implicit-def: $vgpr21
	s_nop 0
	v_mul_f32_e32 v6, v38, v5
	v_and_b32_e32 v5, 0x7f800000, v6
	v_cmp_ne_u32_e64 s[0:1], s15, v5
	s_and_saveexec_b64 s[12:13], s[0:1]
	s_xor_b64 s[0:1], exec, s[12:13]
; %bb.674:                              ;   in Loop: Header=BB341_306 Depth=1
	v_bfe_u32 v5, v6, 16, 1
	v_add3_u32 v21, v6, v5, s20
                                        ; implicit-def: $vgpr6
; %bb.675:                              ;   in Loop: Header=BB341_306 Depth=1
	s_andn2_saveexec_b64 s[12:13], s[0:1]
; %bb.676:                              ;   in Loop: Header=BB341_306 Depth=1
	v_or_b32_e32 v5, 0x10000, v6
	v_cmp_eq_u32_sdwa s[0:1], v6, v11 src0_sel:WORD_0 src1_sel:DWORD
	s_nop 1
	v_cndmask_b32_e64 v21, v5, v6, s[0:1]
; %bb.677:                              ;   in Loop: Header=BB341_306 Depth=1
	s_or_b64 exec, exec, s[12:13]
	v_bfe_u32 v5, v2, 16, 8
	v_cvt_f32_fp8_sdwa v5, v5 src0_sel:BYTE_0
                                        ; implicit-def: $vgpr6
	s_nop 0
	v_mul_f32_e32 v7, v38, v5
	v_and_b32_e32 v5, 0x7f800000, v7
	v_cmp_ne_u32_e64 s[0:1], s15, v5
	s_and_saveexec_b64 s[12:13], s[0:1]
	s_xor_b64 s[0:1], exec, s[12:13]
; %bb.678:                              ;   in Loop: Header=BB341_306 Depth=1
	v_bfe_u32 v5, v7, 16, 1
	v_add3_u32 v6, v7, v5, s20
                                        ; implicit-def: $vgpr7
; %bb.679:                              ;   in Loop: Header=BB341_306 Depth=1
	s_andn2_saveexec_b64 s[12:13], s[0:1]
; %bb.680:                              ;   in Loop: Header=BB341_306 Depth=1
	v_or_b32_e32 v5, 0x10000, v7
	v_cmp_eq_u32_sdwa s[0:1], v7, v11 src0_sel:WORD_0 src1_sel:DWORD
	s_nop 1
	v_cndmask_b32_e64 v6, v5, v7, s[0:1]
; %bb.681:                              ;   in Loop: Header=BB341_306 Depth=1
	s_or_b64 exec, exec, s[12:13]
	v_lshrrev_b32_e32 v2, 24, v2
	v_cvt_f32_fp8_sdwa v2, v2 src0_sel:BYTE_0
	s_nop 0
	v_mul_f32_e32 v7, v38, v2
	v_and_b32_e32 v2, 0x7f800000, v7
	v_cmp_ne_u32_e64 s[0:1], s15, v2
                                        ; implicit-def: $vgpr2
	s_and_saveexec_b64 s[12:13], s[0:1]
	s_xor_b64 s[0:1], exec, s[12:13]
; %bb.682:                              ;   in Loop: Header=BB341_306 Depth=1
	v_bfe_u32 v2, v7, 16, 1
	v_add3_u32 v2, v7, v2, s20
                                        ; implicit-def: $vgpr7
; %bb.683:                              ;   in Loop: Header=BB341_306 Depth=1
	s_andn2_saveexec_b64 s[12:13], s[0:1]
; %bb.684:                              ;   in Loop: Header=BB341_306 Depth=1
	v_or_b32_e32 v2, 0x10000, v7
	v_cmp_eq_u32_sdwa s[0:1], v7, v11 src0_sel:WORD_0 src1_sel:DWORD
	s_nop 1
	v_cndmask_b32_e64 v2, v2, v7, s[0:1]
; %bb.685:                              ;   in Loop: Header=BB341_306 Depth=1
	s_or_b64 exec, exec, s[12:13]
	v_and_b32_e32 v5, 0xff, v3
	v_cvt_f32_fp8_sdwa v5, v5 src0_sel:BYTE_0
                                        ; implicit-def: $vgpr7
	s_nop 0
	v_mul_f32_e32 v8, v38, v5
	v_and_b32_e32 v5, 0x7f800000, v8
	v_cmp_ne_u32_e64 s[0:1], s15, v5
	s_and_saveexec_b64 s[12:13], s[0:1]
	s_xor_b64 s[0:1], exec, s[12:13]
; %bb.686:                              ;   in Loop: Header=BB341_306 Depth=1
	v_bfe_u32 v5, v8, 16, 1
	v_add3_u32 v7, v8, v5, s20
                                        ; implicit-def: $vgpr8
; %bb.687:                              ;   in Loop: Header=BB341_306 Depth=1
	s_andn2_saveexec_b64 s[12:13], s[0:1]
; %bb.688:                              ;   in Loop: Header=BB341_306 Depth=1
	v_or_b32_e32 v5, 0x10000, v8
	v_cmp_eq_u32_sdwa s[0:1], v8, v11 src0_sel:WORD_0 src1_sel:DWORD
	s_nop 1
	v_cndmask_b32_e64 v7, v5, v8, s[0:1]
; %bb.689:                              ;   in Loop: Header=BB341_306 Depth=1
	s_or_b64 exec, exec, s[12:13]
	v_bfe_u32 v5, v3, 8, 8
	v_cvt_f32_fp8_sdwa v5, v5 src0_sel:BYTE_0
                                        ; implicit-def: $vgpr8
	s_nop 0
	v_mul_f32_e32 v9, v38, v5
	v_and_b32_e32 v5, 0x7f800000, v9
	v_cmp_ne_u32_e64 s[0:1], s15, v5
	s_and_saveexec_b64 s[12:13], s[0:1]
	s_xor_b64 s[0:1], exec, s[12:13]
; %bb.690:                              ;   in Loop: Header=BB341_306 Depth=1
	v_bfe_u32 v5, v9, 16, 1
	v_add3_u32 v8, v9, v5, s20
                                        ; implicit-def: $vgpr9
; %bb.691:                              ;   in Loop: Header=BB341_306 Depth=1
	s_andn2_saveexec_b64 s[12:13], s[0:1]
; %bb.692:                              ;   in Loop: Header=BB341_306 Depth=1
	v_or_b32_e32 v5, 0x10000, v9
	v_cmp_eq_u32_sdwa s[0:1], v9, v11 src0_sel:WORD_0 src1_sel:DWORD
	s_nop 1
	v_cndmask_b32_e64 v8, v5, v9, s[0:1]
; %bb.693:                              ;   in Loop: Header=BB341_306 Depth=1
	s_or_b64 exec, exec, s[12:13]
	v_bfe_u32 v5, v3, 16, 8
	v_cvt_f32_fp8_sdwa v5, v5 src0_sel:BYTE_0
                                        ; implicit-def: $vgpr30
	s_nop 0
	v_mul_f32_e32 v9, v38, v5
	v_and_b32_e32 v5, 0x7f800000, v9
	v_cmp_ne_u32_e64 s[0:1], s15, v5
	s_and_saveexec_b64 s[12:13], s[0:1]
	s_xor_b64 s[0:1], exec, s[12:13]
; %bb.694:                              ;   in Loop: Header=BB341_306 Depth=1
	v_bfe_u32 v5, v9, 16, 1
	v_add3_u32 v30, v9, v5, s20
                                        ; implicit-def: $vgpr9
; %bb.695:                              ;   in Loop: Header=BB341_306 Depth=1
	s_andn2_saveexec_b64 s[12:13], s[0:1]
; %bb.696:                              ;   in Loop: Header=BB341_306 Depth=1
	v_or_b32_e32 v5, 0x10000, v9
	v_cmp_eq_u32_sdwa s[0:1], v9, v11 src0_sel:WORD_0 src1_sel:DWORD
	s_nop 1
	v_cndmask_b32_e64 v30, v5, v9, s[0:1]
; %bb.697:                              ;   in Loop: Header=BB341_306 Depth=1
	s_or_b64 exec, exec, s[12:13]
	v_lshrrev_b32_e32 v3, 24, v3
	v_cvt_f32_fp8_sdwa v3, v3 src0_sel:BYTE_0
                                        ; implicit-def: $vgpr31
	s_nop 0
	v_mul_f32_e32 v3, v38, v3
	v_and_b32_e32 v5, 0x7f800000, v3
	v_cmp_ne_u32_e64 s[0:1], s15, v5
	s_and_saveexec_b64 s[12:13], s[0:1]
	s_xor_b64 s[0:1], exec, s[12:13]
; %bb.698:                              ;   in Loop: Header=BB341_306 Depth=1
	v_bfe_u32 v5, v3, 16, 1
	v_add3_u32 v31, v3, v5, s20
                                        ; implicit-def: $vgpr3
; %bb.699:                              ;   in Loop: Header=BB341_306 Depth=1
	s_andn2_saveexec_b64 s[12:13], s[0:1]
; %bb.700:                              ;   in Loop: Header=BB341_306 Depth=1
	v_or_b32_e32 v5, 0x10000, v3
	v_cmp_eq_u32_sdwa s[0:1], v3, v11 src0_sel:WORD_0 src1_sel:DWORD
	s_nop 1
	v_cndmask_b32_e64 v31, v5, v3, s[0:1]
; %bb.701:                              ;   in Loop: Header=BB341_306 Depth=1
	s_or_b64 exec, exec, s[12:13]
	v_lshrrev_b32_e32 v27, 16, v8
	v_lshrrev_b32_e32 v22, 16, v7
	;; [unrolled: 1-line block ×8, first 2 shown]
	s_and_saveexec_b64 s[12:13], vcc
	s_cbranch_execz .LBB341_703
; %bb.702:                              ;   in Loop: Header=BB341_306 Depth=1
	scratch_load_dword v5, off, s32 offset:196 ; 4-byte Folded Reload
	v_accvgpr_read_b32 v21, a35
	s_waitcnt vmcnt(0)
	v_cmp_lt_i32_e64 s[0:1], v50, v5
	s_nop 1
	v_cndmask_b32_e64 v9, 0, v9, s[0:1]
	v_cmp_lt_i32_e64 s[0:1], v21, v5
	v_accvgpr_read_b32 v21, a34
	s_nop 0
	v_cndmask_b32_e64 v8, 0, v8, s[0:1]
	v_cmp_lt_i32_e64 s[0:1], v21, v5
	v_accvgpr_read_b32 v21, a33
	;; [unrolled: 4-line block ×6, first 2 shown]
	s_nop 0
	v_cndmask_b32_e64 v3, 0, v3, s[0:1]
	v_cmp_lt_i32_e64 s[0:1], v21, v5
	s_nop 1
	v_cndmask_b32_e64 v2, 0, v2, s[0:1]
.LBB341_703:                            ;   in Loop: Header=BB341_306 Depth=1
	s_or_b64 exec, exec, s[12:13]
	v_lshlrev_b32_e32 v5, 16, v9
	v_mul_f32_e32 v9, v44, v5
	v_and_b32_e32 v5, 0x7f800000, v9
	v_cmp_ne_u32_e64 s[0:1], s15, v5
                                        ; implicit-def: $vgpr30
	s_and_saveexec_b64 s[12:13], s[0:1]
	s_xor_b64 s[0:1], exec, s[12:13]
; %bb.704:                              ;   in Loop: Header=BB341_306 Depth=1
	v_bfe_u32 v5, v9, 16, 1
	v_add3_u32 v30, v9, v5, s20
                                        ; implicit-def: $vgpr9
; %bb.705:                              ;   in Loop: Header=BB341_306 Depth=1
	s_andn2_saveexec_b64 s[12:13], s[0:1]
; %bb.706:                              ;   in Loop: Header=BB341_306 Depth=1
	v_or_b32_e32 v5, 0x10000, v9
	v_cmp_eq_u32_sdwa s[0:1], v9, v11 src0_sel:WORD_0 src1_sel:DWORD
	s_nop 1
	v_cndmask_b32_e64 v30, v5, v9, s[0:1]
; %bb.707:                              ;   in Loop: Header=BB341_306 Depth=1
	s_or_b64 exec, exec, s[12:13]
	v_lshlrev_b32_e32 v5, 16, v8
	v_mul_f32_e32 v8, v45, v5
	v_and_b32_e32 v5, 0x7f800000, v8
	v_cmp_ne_u32_e64 s[0:1], s15, v5
                                        ; implicit-def: $vgpr51
	s_and_saveexec_b64 s[12:13], s[0:1]
	s_xor_b64 s[0:1], exec, s[12:13]
; %bb.708:                              ;   in Loop: Header=BB341_306 Depth=1
	v_bfe_u32 v5, v8, 16, 1
	v_add3_u32 v51, v8, v5, s20
                                        ; implicit-def: $vgpr8
; %bb.709:                              ;   in Loop: Header=BB341_306 Depth=1
	s_andn2_saveexec_b64 s[12:13], s[0:1]
; %bb.710:                              ;   in Loop: Header=BB341_306 Depth=1
	v_or_b32_e32 v5, 0x10000, v8
	v_cmp_eq_u32_sdwa s[0:1], v8, v11 src0_sel:WORD_0 src1_sel:DWORD
	s_nop 1
	v_cndmask_b32_e64 v51, v5, v8, s[0:1]
; %bb.711:                              ;   in Loop: Header=BB341_306 Depth=1
	s_or_b64 exec, exec, s[12:13]
	v_lshlrev_b32_e32 v5, 16, v6
	v_mul_f32_e32 v6, v46, v5
	v_and_b32_e32 v5, 0x7f800000, v6
	v_cmp_ne_u32_e64 s[0:1], s15, v5
                                        ; implicit-def: $vgpr62
	s_and_saveexec_b64 s[12:13], s[0:1]
	s_xor_b64 s[0:1], exec, s[12:13]
; %bb.712:                              ;   in Loop: Header=BB341_306 Depth=1
	v_bfe_u32 v5, v6, 16, 1
	v_add3_u32 v62, v6, v5, s20
                                        ; implicit-def: $vgpr6
; %bb.713:                              ;   in Loop: Header=BB341_306 Depth=1
	s_andn2_saveexec_b64 s[12:13], s[0:1]
; %bb.714:                              ;   in Loop: Header=BB341_306 Depth=1
	v_or_b32_e32 v5, 0x10000, v6
	v_cmp_eq_u32_sdwa s[0:1], v6, v11 src0_sel:WORD_0 src1_sel:DWORD
	s_nop 1
	v_cndmask_b32_e64 v62, v5, v6, s[0:1]
; %bb.715:                              ;   in Loop: Header=BB341_306 Depth=1
	s_or_b64 exec, exec, s[12:13]
	v_lshlrev_b32_e32 v5, 16, v7
	v_mul_f32_e32 v6, v47, v5
	v_and_b32_e32 v5, 0x7f800000, v6
	v_cmp_ne_u32_e64 s[0:1], s15, v5
                                        ; implicit-def: $vgpr52
	s_and_saveexec_b64 s[12:13], s[0:1]
	s_xor_b64 s[0:1], exec, s[12:13]
; %bb.716:                              ;   in Loop: Header=BB341_306 Depth=1
	v_bfe_u32 v5, v6, 16, 1
	v_add3_u32 v52, v6, v5, s20
                                        ; implicit-def: $vgpr6
; %bb.717:                              ;   in Loop: Header=BB341_306 Depth=1
	s_andn2_saveexec_b64 s[12:13], s[0:1]
; %bb.718:                              ;   in Loop: Header=BB341_306 Depth=1
	v_or_b32_e32 v5, 0x10000, v6
	v_cmp_eq_u32_sdwa s[0:1], v6, v11 src0_sel:WORD_0 src1_sel:DWORD
	s_nop 1
	v_cndmask_b32_e64 v52, v5, v6, s[0:1]
; %bb.719:                              ;   in Loop: Header=BB341_306 Depth=1
	s_or_b64 exec, exec, s[12:13]
	v_lshlrev_b32_e32 v5, 16, v22
	v_mul_f32_e32 v6, v56, v5
	v_and_b32_e32 v5, 0x7f800000, v6
	v_cmp_ne_u32_e64 s[0:1], s15, v5
                                        ; implicit-def: $vgpr53
	s_and_saveexec_b64 s[12:13], s[0:1]
	s_xor_b64 s[0:1], exec, s[12:13]
; %bb.720:                              ;   in Loop: Header=BB341_306 Depth=1
	v_bfe_u32 v5, v6, 16, 1
	v_add3_u32 v53, v6, v5, s20
                                        ; implicit-def: $vgpr6
; %bb.721:                              ;   in Loop: Header=BB341_306 Depth=1
	s_andn2_saveexec_b64 s[12:13], s[0:1]
; %bb.722:                              ;   in Loop: Header=BB341_306 Depth=1
	v_or_b32_e32 v5, 0x10000, v6
	v_cmp_eq_u32_sdwa s[0:1], v6, v11 src0_sel:WORD_0 src1_sel:DWORD
	s_nop 1
	v_cndmask_b32_e64 v53, v5, v6, s[0:1]
; %bb.723:                              ;   in Loop: Header=BB341_306 Depth=1
	s_or_b64 exec, exec, s[12:13]
	v_lshlrev_b32_e32 v5, 16, v27
	v_mul_f32_e32 v6, v57, v5
	v_and_b32_e32 v5, 0x7f800000, v6
	v_cmp_ne_u32_e64 s[0:1], s15, v5
                                        ; implicit-def: $vgpr54
	s_and_saveexec_b64 s[12:13], s[0:1]
	s_xor_b64 s[0:1], exec, s[12:13]
; %bb.724:                              ;   in Loop: Header=BB341_306 Depth=1
	v_bfe_u32 v5, v6, 16, 1
	v_add3_u32 v54, v6, v5, s20
                                        ; implicit-def: $vgpr6
; %bb.725:                              ;   in Loop: Header=BB341_306 Depth=1
	s_andn2_saveexec_b64 s[12:13], s[0:1]
; %bb.726:                              ;   in Loop: Header=BB341_306 Depth=1
	v_or_b32_e32 v5, 0x10000, v6
	v_cmp_eq_u32_sdwa s[0:1], v6, v11 src0_sel:WORD_0 src1_sel:DWORD
	s_nop 1
	v_cndmask_b32_e64 v54, v5, v6, s[0:1]
; %bb.727:                              ;   in Loop: Header=BB341_306 Depth=1
	s_or_b64 exec, exec, s[12:13]
	v_lshlrev_b32_e32 v3, 16, v3
	v_mul_f32_e32 v3, v58, v3
	v_and_b32_e32 v5, 0x7f800000, v3
	v_cmp_ne_u32_e64 s[0:1], s15, v5
                                        ; implicit-def: $vgpr55
	s_and_saveexec_b64 s[12:13], s[0:1]
	s_xor_b64 s[0:1], exec, s[12:13]
; %bb.728:                              ;   in Loop: Header=BB341_306 Depth=1
	v_bfe_u32 v5, v3, 16, 1
	v_add3_u32 v55, v3, v5, s20
                                        ; implicit-def: $vgpr3
; %bb.729:                              ;   in Loop: Header=BB341_306 Depth=1
	s_andn2_saveexec_b64 s[12:13], s[0:1]
; %bb.730:                              ;   in Loop: Header=BB341_306 Depth=1
	v_or_b32_e32 v5, 0x10000, v3
	v_cmp_eq_u32_sdwa s[0:1], v3, v11 src0_sel:WORD_0 src1_sel:DWORD
	s_nop 1
	v_cndmask_b32_e64 v55, v5, v3, s[0:1]
; %bb.731:                              ;   in Loop: Header=BB341_306 Depth=1
	s_or_b64 exec, exec, s[12:13]
	v_lshlrev_b32_e32 v2, 16, v2
	v_mul_f32_e32 v2, v59, v2
	v_and_b32_e32 v3, 0x7f800000, v2
	v_cmp_ne_u32_e64 s[0:1], s15, v3
                                        ; implicit-def: $vgpr42
	s_and_saveexec_b64 s[12:13], s[0:1]
	s_xor_b64 s[0:1], exec, s[12:13]
; %bb.732:                              ;   in Loop: Header=BB341_306 Depth=1
	v_bfe_u32 v3, v2, 16, 1
	v_add3_u32 v42, v2, v3, s20
                                        ; implicit-def: $vgpr2
; %bb.733:                              ;   in Loop: Header=BB341_306 Depth=1
	s_andn2_saveexec_b64 s[12:13], s[0:1]
; %bb.734:                              ;   in Loop: Header=BB341_306 Depth=1
	v_or_b32_e32 v3, 0x10000, v2
	v_cmp_eq_u32_sdwa s[0:1], v2, v11 src0_sel:WORD_0 src1_sel:DWORD
	s_nop 1
	v_cndmask_b32_e64 v42, v3, v2, s[0:1]
; %bb.735:                              ;   in Loop: Header=BB341_306 Depth=1
	s_or_b64 exec, exec, s[12:13]
	flat_load_dwordx2 v[2:3], v[0:1] offset:3072
                                        ; implicit-def: $vgpr26
	s_waitcnt vmcnt(0) lgkmcnt(0)
	v_and_b32_e32 v5, 0xff, v2
	v_cvt_f32_fp8_sdwa v5, v5 src0_sel:BYTE_0
	s_nop 0
	v_mul_f32_e32 v6, v38, v5
	v_and_b32_e32 v5, 0x7f800000, v6
	v_cmp_ne_u32_e64 s[0:1], s15, v5
	s_and_saveexec_b64 s[12:13], s[0:1]
	s_xor_b64 s[0:1], exec, s[12:13]
; %bb.736:                              ;   in Loop: Header=BB341_306 Depth=1
	v_bfe_u32 v5, v6, 16, 1
	v_add3_u32 v26, v6, v5, s20
                                        ; implicit-def: $vgpr6
; %bb.737:                              ;   in Loop: Header=BB341_306 Depth=1
	s_andn2_saveexec_b64 s[12:13], s[0:1]
; %bb.738:                              ;   in Loop: Header=BB341_306 Depth=1
	v_or_b32_e32 v5, 0x10000, v6
	v_cmp_eq_u32_sdwa s[0:1], v6, v11 src0_sel:WORD_0 src1_sel:DWORD
	s_nop 1
	v_cndmask_b32_e64 v26, v5, v6, s[0:1]
; %bb.739:                              ;   in Loop: Header=BB341_306 Depth=1
	s_or_b64 exec, exec, s[12:13]
	v_bfe_u32 v5, v2, 8, 8
	v_cvt_f32_fp8_sdwa v5, v5 src0_sel:BYTE_0
                                        ; implicit-def: $vgpr21
	s_nop 0
	v_mul_f32_e32 v6, v38, v5
	v_and_b32_e32 v5, 0x7f800000, v6
	v_cmp_ne_u32_e64 s[0:1], s15, v5
	s_and_saveexec_b64 s[12:13], s[0:1]
	s_xor_b64 s[0:1], exec, s[12:13]
; %bb.740:                              ;   in Loop: Header=BB341_306 Depth=1
	v_bfe_u32 v5, v6, 16, 1
	v_add3_u32 v21, v6, v5, s20
                                        ; implicit-def: $vgpr6
; %bb.741:                              ;   in Loop: Header=BB341_306 Depth=1
	s_andn2_saveexec_b64 s[12:13], s[0:1]
; %bb.742:                              ;   in Loop: Header=BB341_306 Depth=1
	v_or_b32_e32 v5, 0x10000, v6
	v_cmp_eq_u32_sdwa s[0:1], v6, v11 src0_sel:WORD_0 src1_sel:DWORD
	s_nop 1
	v_cndmask_b32_e64 v21, v5, v6, s[0:1]
; %bb.743:                              ;   in Loop: Header=BB341_306 Depth=1
	s_or_b64 exec, exec, s[12:13]
	v_bfe_u32 v5, v2, 16, 8
	v_cvt_f32_fp8_sdwa v5, v5 src0_sel:BYTE_0
                                        ; implicit-def: $vgpr6
	s_nop 0
	v_mul_f32_e32 v7, v38, v5
	v_and_b32_e32 v5, 0x7f800000, v7
	v_cmp_ne_u32_e64 s[0:1], s15, v5
	s_and_saveexec_b64 s[12:13], s[0:1]
	s_xor_b64 s[0:1], exec, s[12:13]
; %bb.744:                              ;   in Loop: Header=BB341_306 Depth=1
	v_bfe_u32 v5, v7, 16, 1
	v_add3_u32 v6, v7, v5, s20
                                        ; implicit-def: $vgpr7
; %bb.745:                              ;   in Loop: Header=BB341_306 Depth=1
	s_andn2_saveexec_b64 s[12:13], s[0:1]
; %bb.746:                              ;   in Loop: Header=BB341_306 Depth=1
	v_or_b32_e32 v5, 0x10000, v7
	v_cmp_eq_u32_sdwa s[0:1], v7, v11 src0_sel:WORD_0 src1_sel:DWORD
	s_nop 1
	v_cndmask_b32_e64 v6, v5, v7, s[0:1]
; %bb.747:                              ;   in Loop: Header=BB341_306 Depth=1
	s_or_b64 exec, exec, s[12:13]
	v_lshrrev_b32_e32 v2, 24, v2
	v_cvt_f32_fp8_sdwa v2, v2 src0_sel:BYTE_0
	s_nop 0
	v_mul_f32_e32 v7, v38, v2
	v_and_b32_e32 v2, 0x7f800000, v7
	v_cmp_ne_u32_e64 s[0:1], s15, v2
                                        ; implicit-def: $vgpr2
	s_and_saveexec_b64 s[12:13], s[0:1]
	s_xor_b64 s[0:1], exec, s[12:13]
; %bb.748:                              ;   in Loop: Header=BB341_306 Depth=1
	v_bfe_u32 v2, v7, 16, 1
	v_add3_u32 v2, v7, v2, s20
                                        ; implicit-def: $vgpr7
; %bb.749:                              ;   in Loop: Header=BB341_306 Depth=1
	s_andn2_saveexec_b64 s[12:13], s[0:1]
; %bb.750:                              ;   in Loop: Header=BB341_306 Depth=1
	v_or_b32_e32 v2, 0x10000, v7
	v_cmp_eq_u32_sdwa s[0:1], v7, v11 src0_sel:WORD_0 src1_sel:DWORD
	s_nop 1
	v_cndmask_b32_e64 v2, v2, v7, s[0:1]
; %bb.751:                              ;   in Loop: Header=BB341_306 Depth=1
	s_or_b64 exec, exec, s[12:13]
	v_and_b32_e32 v5, 0xff, v3
	v_cvt_f32_fp8_sdwa v5, v5 src0_sel:BYTE_0
                                        ; implicit-def: $vgpr7
	s_nop 0
	v_mul_f32_e32 v8, v38, v5
	v_and_b32_e32 v5, 0x7f800000, v8
	v_cmp_ne_u32_e64 s[0:1], s15, v5
	s_and_saveexec_b64 s[12:13], s[0:1]
	s_xor_b64 s[0:1], exec, s[12:13]
; %bb.752:                              ;   in Loop: Header=BB341_306 Depth=1
	v_bfe_u32 v5, v8, 16, 1
	v_add3_u32 v7, v8, v5, s20
                                        ; implicit-def: $vgpr8
; %bb.753:                              ;   in Loop: Header=BB341_306 Depth=1
	s_andn2_saveexec_b64 s[12:13], s[0:1]
; %bb.754:                              ;   in Loop: Header=BB341_306 Depth=1
	v_or_b32_e32 v5, 0x10000, v8
	v_cmp_eq_u32_sdwa s[0:1], v8, v11 src0_sel:WORD_0 src1_sel:DWORD
	s_nop 1
	v_cndmask_b32_e64 v7, v5, v8, s[0:1]
; %bb.755:                              ;   in Loop: Header=BB341_306 Depth=1
	s_or_b64 exec, exec, s[12:13]
	v_bfe_u32 v5, v3, 8, 8
	v_cvt_f32_fp8_sdwa v5, v5 src0_sel:BYTE_0
                                        ; implicit-def: $vgpr8
	s_nop 0
	v_mul_f32_e32 v9, v38, v5
	v_and_b32_e32 v5, 0x7f800000, v9
	v_cmp_ne_u32_e64 s[0:1], s15, v5
	s_and_saveexec_b64 s[12:13], s[0:1]
	s_xor_b64 s[0:1], exec, s[12:13]
; %bb.756:                              ;   in Loop: Header=BB341_306 Depth=1
	v_bfe_u32 v5, v9, 16, 1
	v_add3_u32 v8, v9, v5, s20
                                        ; implicit-def: $vgpr9
; %bb.757:                              ;   in Loop: Header=BB341_306 Depth=1
	s_andn2_saveexec_b64 s[12:13], s[0:1]
; %bb.758:                              ;   in Loop: Header=BB341_306 Depth=1
	v_or_b32_e32 v5, 0x10000, v9
	v_cmp_eq_u32_sdwa s[0:1], v9, v11 src0_sel:WORD_0 src1_sel:DWORD
	s_nop 1
	v_cndmask_b32_e64 v8, v5, v9, s[0:1]
; %bb.759:                              ;   in Loop: Header=BB341_306 Depth=1
	s_or_b64 exec, exec, s[12:13]
	v_bfe_u32 v5, v3, 16, 8
	v_cvt_f32_fp8_sdwa v5, v5 src0_sel:BYTE_0
                                        ; implicit-def: $vgpr31
	s_nop 0
	v_mul_f32_e32 v9, v38, v5
	v_and_b32_e32 v5, 0x7f800000, v9
	v_cmp_ne_u32_e64 s[0:1], s15, v5
	s_and_saveexec_b64 s[12:13], s[0:1]
	s_xor_b64 s[0:1], exec, s[12:13]
; %bb.760:                              ;   in Loop: Header=BB341_306 Depth=1
	v_bfe_u32 v5, v9, 16, 1
	v_add3_u32 v31, v9, v5, s20
                                        ; implicit-def: $vgpr9
; %bb.761:                              ;   in Loop: Header=BB341_306 Depth=1
	s_andn2_saveexec_b64 s[12:13], s[0:1]
; %bb.762:                              ;   in Loop: Header=BB341_306 Depth=1
	v_or_b32_e32 v5, 0x10000, v9
	v_cmp_eq_u32_sdwa s[0:1], v9, v11 src0_sel:WORD_0 src1_sel:DWORD
	s_nop 1
	v_cndmask_b32_e64 v31, v5, v9, s[0:1]
; %bb.763:                              ;   in Loop: Header=BB341_306 Depth=1
	s_or_b64 exec, exec, s[12:13]
	v_lshrrev_b32_e32 v3, 24, v3
	v_cvt_f32_fp8_sdwa v3, v3 src0_sel:BYTE_0
                                        ; implicit-def: $vgpr9
	s_nop 0
	v_mul_f32_e32 v3, v38, v3
	v_and_b32_e32 v5, 0x7f800000, v3
	v_cmp_ne_u32_e64 s[0:1], s15, v5
	s_and_saveexec_b64 s[12:13], s[0:1]
	s_xor_b64 s[0:1], exec, s[12:13]
; %bb.764:                              ;   in Loop: Header=BB341_306 Depth=1
	v_bfe_u32 v5, v3, 16, 1
	v_add3_u32 v9, v3, v5, s20
                                        ; implicit-def: $vgpr3
; %bb.765:                              ;   in Loop: Header=BB341_306 Depth=1
	s_andn2_saveexec_b64 s[12:13], s[0:1]
; %bb.766:                              ;   in Loop: Header=BB341_306 Depth=1
	v_or_b32_e32 v5, 0x10000, v3
	v_cmp_eq_u32_sdwa s[0:1], v3, v11 src0_sel:WORD_0 src1_sel:DWORD
	s_nop 1
	v_cndmask_b32_e64 v9, v5, v3, s[0:1]
; %bb.767:                              ;   in Loop: Header=BB341_306 Depth=1
	s_or_b64 exec, exec, s[12:13]
	v_lshrrev_b32_e32 v27, 16, v8
	v_lshrrev_b32_e32 v22, 16, v7
	;; [unrolled: 1-line block ×8, first 2 shown]
	s_and_saveexec_b64 s[12:13], vcc
	s_cbranch_execz .LBB341_769
; %bb.768:                              ;   in Loop: Header=BB341_306 Depth=1
	scratch_load_dword v5, off, s32 offset:196 ; 4-byte Folded Reload
	v_accvgpr_read_b32 v8, a35
	s_waitcnt vmcnt(0)
	v_cmp_lt_i32_e64 s[0:1], v50, v5
	s_nop 1
	v_cndmask_b32_e64 v2, 0, v2, s[0:1]
	v_cmp_lt_i32_e64 s[0:1], v8, v5
	v_accvgpr_read_b32 v8, a34
	s_nop 0
	v_cndmask_b32_e64 v3, 0, v3, s[0:1]
	v_cmp_lt_i32_e64 s[0:1], v8, v5
	v_accvgpr_read_b32 v8, a33
	;; [unrolled: 4-line block ×6, first 2 shown]
	s_nop 0
	v_cndmask_b32_e64 v41, 0, v41, s[0:1]
	v_cmp_lt_i32_e64 s[0:1], v8, v5
	s_nop 1
	v_cndmask_b32_e64 v40, 0, v40, s[0:1]
.LBB341_769:                            ;   in Loop: Header=BB341_306 Depth=1
	s_or_b64 exec, exec, s[12:13]
	v_lshlrev_b32_e32 v2, 16, v2
	v_mul_f32_e32 v8, v44, v2
	v_and_b32_e32 v2, 0x7f800000, v8
	v_cmp_ne_u32_e64 s[0:1], s15, v2
                                        ; implicit-def: $vgpr2
	s_and_saveexec_b64 s[12:13], s[0:1]
	s_xor_b64 s[0:1], exec, s[12:13]
; %bb.770:                              ;   in Loop: Header=BB341_306 Depth=1
	v_bfe_u32 v2, v8, 16, 1
	v_add3_u32 v2, v8, v2, s20
                                        ; implicit-def: $vgpr8
; %bb.771:                              ;   in Loop: Header=BB341_306 Depth=1
	s_andn2_saveexec_b64 s[12:13], s[0:1]
; %bb.772:                              ;   in Loop: Header=BB341_306 Depth=1
	v_or_b32_e32 v2, 0x10000, v8
	v_cmp_eq_u32_sdwa s[0:1], v8, v11 src0_sel:WORD_0 src1_sel:DWORD
	s_nop 1
	v_cndmask_b32_e64 v2, v2, v8, s[0:1]
; %bb.773:                              ;   in Loop: Header=BB341_306 Depth=1
	s_or_b64 exec, exec, s[12:13]
	v_lshlrev_b32_e32 v3, 16, v3
	v_mul_f32_e32 v8, v45, v3
	v_and_b32_e32 v3, 0x7f800000, v8
	v_cmp_ne_u32_e64 s[0:1], s15, v3
                                        ; implicit-def: $vgpr3
	s_and_saveexec_b64 s[12:13], s[0:1]
	s_xor_b64 s[0:1], exec, s[12:13]
; %bb.774:                              ;   in Loop: Header=BB341_306 Depth=1
	v_bfe_u32 v3, v8, 16, 1
	v_add3_u32 v3, v8, v3, s20
                                        ; implicit-def: $vgpr8
; %bb.775:                              ;   in Loop: Header=BB341_306 Depth=1
	s_andn2_saveexec_b64 s[12:13], s[0:1]
; %bb.776:                              ;   in Loop: Header=BB341_306 Depth=1
	v_or_b32_e32 v3, 0x10000, v8
	v_cmp_eq_u32_sdwa s[0:1], v8, v11 src0_sel:WORD_0 src1_sel:DWORD
	s_nop 1
	v_cndmask_b32_e64 v3, v3, v8, s[0:1]
; %bb.777:                              ;   in Loop: Header=BB341_306 Depth=1
	s_or_b64 exec, exec, s[12:13]
	v_lshlrev_b32_e32 v5, 16, v6
	v_mul_f32_e32 v6, v46, v5
	v_and_b32_e32 v5, 0x7f800000, v6
	v_cmp_ne_u32_e64 s[0:1], s15, v5
                                        ; implicit-def: $vgpr43
	s_and_saveexec_b64 s[12:13], s[0:1]
	s_xor_b64 s[0:1], exec, s[12:13]
; %bb.778:                              ;   in Loop: Header=BB341_306 Depth=1
	v_bfe_u32 v5, v6, 16, 1
	v_add3_u32 v43, v6, v5, s20
                                        ; implicit-def: $vgpr6
; %bb.779:                              ;   in Loop: Header=BB341_306 Depth=1
	s_andn2_saveexec_b64 s[12:13], s[0:1]
; %bb.780:                              ;   in Loop: Header=BB341_306 Depth=1
	v_or_b32_e32 v5, 0x10000, v6
	v_cmp_eq_u32_sdwa s[0:1], v6, v11 src0_sel:WORD_0 src1_sel:DWORD
	s_nop 1
	v_cndmask_b32_e64 v43, v5, v6, s[0:1]
; %bb.781:                              ;   in Loop: Header=BB341_306 Depth=1
	s_or_b64 exec, exec, s[12:13]
	v_lshlrev_b32_e32 v5, 16, v7
	v_mul_f32_e32 v6, v47, v5
	v_and_b32_e32 v5, 0x7f800000, v6
	v_cmp_ne_u32_e64 s[0:1], s15, v5
                                        ; implicit-def: $vgpr31
	s_and_saveexec_b64 s[12:13], s[0:1]
	s_xor_b64 s[0:1], exec, s[12:13]
; %bb.782:                              ;   in Loop: Header=BB341_306 Depth=1
	v_bfe_u32 v5, v6, 16, 1
	v_add3_u32 v31, v6, v5, s20
                                        ; implicit-def: $vgpr6
; %bb.783:                              ;   in Loop: Header=BB341_306 Depth=1
	s_andn2_saveexec_b64 s[12:13], s[0:1]
; %bb.784:                              ;   in Loop: Header=BB341_306 Depth=1
	v_or_b32_e32 v5, 0x10000, v6
	v_cmp_eq_u32_sdwa s[0:1], v6, v11 src0_sel:WORD_0 src1_sel:DWORD
	s_nop 1
	v_cndmask_b32_e64 v31, v5, v6, s[0:1]
; %bb.785:                              ;   in Loop: Header=BB341_306 Depth=1
	s_or_b64 exec, exec, s[12:13]
	v_lshlrev_b32_e32 v5, 16, v22
	v_mul_f32_e32 v6, v56, v5
	v_and_b32_e32 v5, 0x7f800000, v6
	v_cmp_ne_u32_e64 s[0:1], s15, v5
                                        ; implicit-def: $vgpr26
	s_and_saveexec_b64 s[12:13], s[0:1]
	s_xor_b64 s[0:1], exec, s[12:13]
; %bb.786:                              ;   in Loop: Header=BB341_306 Depth=1
	v_bfe_u32 v5, v6, 16, 1
	v_add3_u32 v26, v6, v5, s20
                                        ; implicit-def: $vgpr6
; %bb.787:                              ;   in Loop: Header=BB341_306 Depth=1
	s_andn2_saveexec_b64 s[12:13], s[0:1]
; %bb.788:                              ;   in Loop: Header=BB341_306 Depth=1
	v_or_b32_e32 v5, 0x10000, v6
	v_cmp_eq_u32_sdwa s[0:1], v6, v11 src0_sel:WORD_0 src1_sel:DWORD
	s_nop 1
	v_cndmask_b32_e64 v26, v5, v6, s[0:1]
; %bb.789:                              ;   in Loop: Header=BB341_306 Depth=1
	s_or_b64 exec, exec, s[12:13]
	v_lshlrev_b32_e32 v5, 16, v27
	v_mul_f32_e32 v6, v57, v5
	v_and_b32_e32 v5, 0x7f800000, v6
	v_cmp_ne_u32_e64 s[0:1], s15, v5
                                        ; implicit-def: $vgpr27
	s_and_saveexec_b64 s[12:13], s[0:1]
	s_xor_b64 s[0:1], exec, s[12:13]
; %bb.790:                              ;   in Loop: Header=BB341_306 Depth=1
	v_bfe_u32 v5, v6, 16, 1
	v_add3_u32 v27, v6, v5, s20
                                        ; implicit-def: $vgpr6
; %bb.791:                              ;   in Loop: Header=BB341_306 Depth=1
	s_andn2_saveexec_b64 s[12:13], s[0:1]
; %bb.792:                              ;   in Loop: Header=BB341_306 Depth=1
	v_or_b32_e32 v5, 0x10000, v6
	v_cmp_eq_u32_sdwa s[0:1], v6, v11 src0_sel:WORD_0 src1_sel:DWORD
	s_nop 1
	v_cndmask_b32_e64 v27, v5, v6, s[0:1]
; %bb.793:                              ;   in Loop: Header=BB341_306 Depth=1
	s_or_b64 exec, exec, s[12:13]
	v_lshlrev_b32_e32 v5, 16, v41
	v_mul_f32_e32 v6, v58, v5
	v_and_b32_e32 v5, 0x7f800000, v6
	v_cmp_ne_u32_e64 s[0:1], s15, v5
                                        ; implicit-def: $vgpr60
	s_and_saveexec_b64 s[12:13], s[0:1]
	s_xor_b64 s[0:1], exec, s[12:13]
; %bb.794:                              ;   in Loop: Header=BB341_306 Depth=1
	v_bfe_u32 v5, v6, 16, 1
	v_add3_u32 v60, v6, v5, s20
                                        ; implicit-def: $vgpr6
; %bb.795:                              ;   in Loop: Header=BB341_306 Depth=1
	s_andn2_saveexec_b64 s[12:13], s[0:1]
; %bb.796:                              ;   in Loop: Header=BB341_306 Depth=1
	v_or_b32_e32 v5, 0x10000, v6
	v_cmp_eq_u32_sdwa s[0:1], v6, v11 src0_sel:WORD_0 src1_sel:DWORD
	s_nop 1
	v_cndmask_b32_e64 v60, v5, v6, s[0:1]
; %bb.797:                              ;   in Loop: Header=BB341_306 Depth=1
	s_or_b64 exec, exec, s[12:13]
	v_lshlrev_b32_e32 v5, 16, v40
	v_mul_f32_e32 v6, v59, v5
	v_and_b32_e32 v5, 0x7f800000, v6
	v_cmp_ne_u32_e64 s[0:1], s15, v5
                                        ; implicit-def: $vgpr40
	s_and_saveexec_b64 s[12:13], s[0:1]
	s_xor_b64 s[0:1], exec, s[12:13]
; %bb.798:                              ;   in Loop: Header=BB341_306 Depth=1
	v_bfe_u32 v5, v6, 16, 1
	v_add3_u32 v40, v6, v5, s20
                                        ; implicit-def: $vgpr6
; %bb.799:                              ;   in Loop: Header=BB341_306 Depth=1
	s_andn2_saveexec_b64 s[12:13], s[0:1]
; %bb.800:                              ;   in Loop: Header=BB341_306 Depth=1
	v_or_b32_e32 v5, 0x10000, v6
	v_cmp_eq_u32_sdwa s[0:1], v6, v11 src0_sel:WORD_0 src1_sel:DWORD
	s_nop 1
	v_cndmask_b32_e64 v40, v5, v6, s[0:1]
; %bb.801:                              ;   in Loop: Header=BB341_306 Depth=1
	s_or_b64 exec, exec, s[12:13]
	flat_load_dwordx2 v[0:1], v[0:1] offset:3584
                                        ; implicit-def: $vgpr41
	s_waitcnt vmcnt(0) lgkmcnt(0)
	v_and_b32_e32 v5, 0xff, v0
	v_cvt_f32_fp8_sdwa v5, v5 src0_sel:BYTE_0
	s_nop 0
	v_mul_f32_e32 v6, v38, v5
	v_and_b32_e32 v5, 0x7f800000, v6
	v_cmp_ne_u32_e64 s[0:1], s15, v5
	s_and_saveexec_b64 s[12:13], s[0:1]
	s_xor_b64 s[0:1], exec, s[12:13]
; %bb.802:                              ;   in Loop: Header=BB341_306 Depth=1
	v_bfe_u32 v5, v6, 16, 1
	v_add3_u32 v41, v6, v5, s20
                                        ; implicit-def: $vgpr6
; %bb.803:                              ;   in Loop: Header=BB341_306 Depth=1
	s_andn2_saveexec_b64 s[12:13], s[0:1]
; %bb.804:                              ;   in Loop: Header=BB341_306 Depth=1
	v_or_b32_e32 v5, 0x10000, v6
	v_cmp_eq_u32_sdwa s[0:1], v6, v11 src0_sel:WORD_0 src1_sel:DWORD
	s_nop 1
	v_cndmask_b32_e64 v41, v5, v6, s[0:1]
; %bb.805:                              ;   in Loop: Header=BB341_306 Depth=1
	s_or_b64 exec, exec, s[12:13]
	v_bfe_u32 v5, v0, 8, 8
	v_cvt_f32_fp8_sdwa v5, v5 src0_sel:BYTE_0
                                        ; implicit-def: $vgpr21
	s_nop 0
	v_mul_f32_e32 v6, v38, v5
	v_and_b32_e32 v5, 0x7f800000, v6
	v_cmp_ne_u32_e64 s[0:1], s15, v5
	s_and_saveexec_b64 s[12:13], s[0:1]
	s_xor_b64 s[0:1], exec, s[12:13]
; %bb.806:                              ;   in Loop: Header=BB341_306 Depth=1
	v_bfe_u32 v5, v6, 16, 1
	v_add3_u32 v21, v6, v5, s20
                                        ; implicit-def: $vgpr6
; %bb.807:                              ;   in Loop: Header=BB341_306 Depth=1
	s_andn2_saveexec_b64 s[12:13], s[0:1]
; %bb.808:                              ;   in Loop: Header=BB341_306 Depth=1
	v_or_b32_e32 v5, 0x10000, v6
	v_cmp_eq_u32_sdwa s[0:1], v6, v11 src0_sel:WORD_0 src1_sel:DWORD
	s_nop 1
	v_cndmask_b32_e64 v21, v5, v6, s[0:1]
; %bb.809:                              ;   in Loop: Header=BB341_306 Depth=1
	s_or_b64 exec, exec, s[12:13]
	v_bfe_u32 v5, v0, 16, 8
	v_cvt_f32_fp8_sdwa v5, v5 src0_sel:BYTE_0
                                        ; implicit-def: $vgpr22
	s_nop 0
	v_mul_f32_e32 v6, v38, v5
	v_and_b32_e32 v5, 0x7f800000, v6
	v_cmp_ne_u32_e64 s[0:1], s15, v5
	s_and_saveexec_b64 s[12:13], s[0:1]
	s_xor_b64 s[0:1], exec, s[12:13]
; %bb.810:                              ;   in Loop: Header=BB341_306 Depth=1
	v_bfe_u32 v5, v6, 16, 1
	v_add3_u32 v22, v6, v5, s20
                                        ; implicit-def: $vgpr6
; %bb.811:                              ;   in Loop: Header=BB341_306 Depth=1
	s_andn2_saveexec_b64 s[12:13], s[0:1]
; %bb.812:                              ;   in Loop: Header=BB341_306 Depth=1
	v_or_b32_e32 v5, 0x10000, v6
	v_cmp_eq_u32_sdwa s[0:1], v6, v11 src0_sel:WORD_0 src1_sel:DWORD
	s_nop 1
	v_cndmask_b32_e64 v22, v5, v6, s[0:1]
; %bb.813:                              ;   in Loop: Header=BB341_306 Depth=1
	s_or_b64 exec, exec, s[12:13]
	v_lshrrev_b32_e32 v0, 24, v0
	v_cvt_f32_fp8_sdwa v0, v0 src0_sel:BYTE_0
	s_nop 0
	v_mul_f32_e32 v6, v38, v0
	v_and_b32_e32 v0, 0x7f800000, v6
	v_cmp_ne_u32_e64 s[0:1], s15, v0
                                        ; implicit-def: $vgpr0
	s_and_saveexec_b64 s[12:13], s[0:1]
	s_xor_b64 s[0:1], exec, s[12:13]
; %bb.814:                              ;   in Loop: Header=BB341_306 Depth=1
	v_bfe_u32 v0, v6, 16, 1
	v_add3_u32 v0, v6, v0, s20
                                        ; implicit-def: $vgpr6
; %bb.815:                              ;   in Loop: Header=BB341_306 Depth=1
	s_andn2_saveexec_b64 s[12:13], s[0:1]
; %bb.816:                              ;   in Loop: Header=BB341_306 Depth=1
	v_or_b32_e32 v0, 0x10000, v6
	v_cmp_eq_u32_sdwa s[0:1], v6, v11 src0_sel:WORD_0 src1_sel:DWORD
	s_nop 1
	v_cndmask_b32_e64 v0, v0, v6, s[0:1]
; %bb.817:                              ;   in Loop: Header=BB341_306 Depth=1
	s_or_b64 exec, exec, s[12:13]
	v_and_b32_e32 v5, 0xff, v1
	v_cvt_f32_fp8_sdwa v5, v5 src0_sel:BYTE_0
                                        ; implicit-def: $vgpr7
	s_nop 0
	v_mul_f32_e32 v6, v38, v5
	v_and_b32_e32 v5, 0x7f800000, v6
	v_cmp_ne_u32_e64 s[0:1], s15, v5
	s_and_saveexec_b64 s[12:13], s[0:1]
	s_xor_b64 s[0:1], exec, s[12:13]
; %bb.818:                              ;   in Loop: Header=BB341_306 Depth=1
	v_bfe_u32 v5, v6, 16, 1
	v_add3_u32 v7, v6, v5, s20
                                        ; implicit-def: $vgpr6
; %bb.819:                              ;   in Loop: Header=BB341_306 Depth=1
	s_andn2_saveexec_b64 s[12:13], s[0:1]
; %bb.820:                              ;   in Loop: Header=BB341_306 Depth=1
	v_or_b32_e32 v5, 0x10000, v6
	v_cmp_eq_u32_sdwa s[0:1], v6, v11 src0_sel:WORD_0 src1_sel:DWORD
	s_nop 1
	v_cndmask_b32_e64 v7, v5, v6, s[0:1]
; %bb.821:                              ;   in Loop: Header=BB341_306 Depth=1
	s_or_b64 exec, exec, s[12:13]
	v_bfe_u32 v5, v1, 8, 8
	v_cvt_f32_fp8_sdwa v5, v5 src0_sel:BYTE_0
                                        ; implicit-def: $vgpr6
	s_nop 0
	v_mul_f32_e32 v8, v38, v5
	v_and_b32_e32 v5, 0x7f800000, v8
	v_cmp_ne_u32_e64 s[0:1], s15, v5
	s_and_saveexec_b64 s[12:13], s[0:1]
	s_xor_b64 s[0:1], exec, s[12:13]
; %bb.822:                              ;   in Loop: Header=BB341_306 Depth=1
	v_bfe_u32 v5, v8, 16, 1
	v_add3_u32 v6, v8, v5, s20
                                        ; implicit-def: $vgpr8
; %bb.823:                              ;   in Loop: Header=BB341_306 Depth=1
	s_andn2_saveexec_b64 s[12:13], s[0:1]
; %bb.824:                              ;   in Loop: Header=BB341_306 Depth=1
	v_or_b32_e32 v5, 0x10000, v8
	v_cmp_eq_u32_sdwa s[0:1], v8, v11 src0_sel:WORD_0 src1_sel:DWORD
	s_nop 1
	v_cndmask_b32_e64 v6, v5, v8, s[0:1]
; %bb.825:                              ;   in Loop: Header=BB341_306 Depth=1
	s_or_b64 exec, exec, s[12:13]
	v_bfe_u32 v5, v1, 16, 8
	v_cvt_f32_fp8_sdwa v5, v5 src0_sel:BYTE_0
                                        ; implicit-def: $vgpr9
	s_nop 0
	v_mul_f32_e32 v8, v38, v5
	v_and_b32_e32 v5, 0x7f800000, v8
	v_cmp_ne_u32_e64 s[0:1], s15, v5
	s_and_saveexec_b64 s[12:13], s[0:1]
	s_xor_b64 s[0:1], exec, s[12:13]
; %bb.826:                              ;   in Loop: Header=BB341_306 Depth=1
	v_bfe_u32 v5, v8, 16, 1
	v_add3_u32 v9, v8, v5, s20
                                        ; implicit-def: $vgpr8
; %bb.827:                              ;   in Loop: Header=BB341_306 Depth=1
	s_andn2_saveexec_b64 s[12:13], s[0:1]
; %bb.828:                              ;   in Loop: Header=BB341_306 Depth=1
	v_or_b32_e32 v5, 0x10000, v8
	v_cmp_eq_u32_sdwa s[0:1], v8, v11 src0_sel:WORD_0 src1_sel:DWORD
	s_nop 1
	v_cndmask_b32_e64 v9, v5, v8, s[0:1]
; %bb.829:                              ;   in Loop: Header=BB341_306 Depth=1
	s_or_b64 exec, exec, s[12:13]
	v_lshrrev_b32_e32 v1, 24, v1
	v_cvt_f32_fp8_sdwa v1, v1 src0_sel:BYTE_0
	s_nop 0
	v_mul_f32_e32 v1, v38, v1
	v_and_b32_e32 v5, 0x7f800000, v1
	v_cmp_ne_u32_e64 s[0:1], s15, v5
                                        ; implicit-def: $vgpr38
	s_and_saveexec_b64 s[12:13], s[0:1]
	s_xor_b64 s[0:1], exec, s[12:13]
; %bb.830:                              ;   in Loop: Header=BB341_306 Depth=1
	v_bfe_u32 v5, v1, 16, 1
	v_add3_u32 v38, v1, v5, s20
                                        ; implicit-def: $vgpr1
; %bb.831:                              ;   in Loop: Header=BB341_306 Depth=1
	s_andn2_saveexec_b64 s[12:13], s[0:1]
; %bb.832:                              ;   in Loop: Header=BB341_306 Depth=1
	v_or_b32_e32 v5, 0x10000, v1
	v_cmp_eq_u32_sdwa s[0:1], v1, v11 src0_sel:WORD_0 src1_sel:DWORD
	s_nop 1
	v_cndmask_b32_e64 v38, v5, v1, s[0:1]
; %bb.833:                              ;   in Loop: Header=BB341_306 Depth=1
	s_or_b64 exec, exec, s[12:13]
	v_lshrrev_b32_e32 v6, 16, v6
	v_lshrrev_b32_e32 v7, 16, v7
	;; [unrolled: 1-line block ×8, first 2 shown]
	s_and_saveexec_b64 s[0:1], vcc
	s_cbranch_execz .LBB341_835
; %bb.834:                              ;   in Loop: Header=BB341_306 Depth=1
	scratch_load_dword v5, off, s32 offset:196 ; 4-byte Folded Reload
	v_accvgpr_read_b32 v9, a35
	s_waitcnt vmcnt(0)
	v_cmp_lt_i32_e32 vcc, v50, v5
	s_nop 1
	v_cndmask_b32_e32 v0, 0, v0, vcc
	v_cmp_lt_i32_e32 vcc, v9, v5
	v_accvgpr_read_b32 v9, a34
	s_nop 0
	v_cndmask_b32_e32 v1, 0, v1, vcc
	v_cmp_lt_i32_e32 vcc, v9, v5
	v_accvgpr_read_b32 v9, a33
	;; [unrolled: 4-line block ×6, first 2 shown]
	s_nop 0
	v_cndmask_b32_e32 v21, 0, v21, vcc
	v_cmp_lt_i32_e32 vcc, v9, v5
	s_nop 1
	v_cndmask_b32_e32 v41, 0, v41, vcc
.LBB341_835:                            ;   in Loop: Header=BB341_306 Depth=1
	s_or_b64 exec, exec, s[0:1]
	v_lshlrev_b32_e32 v0, 16, v0
	v_mul_f32_e32 v9, v44, v0
	v_and_b32_e32 v0, 0x7f800000, v9
	v_cmp_ne_u32_e32 vcc, s15, v0
                                        ; implicit-def: $vgpr0
	s_and_saveexec_b64 s[0:1], vcc
	s_xor_b64 s[0:1], exec, s[0:1]
; %bb.836:                              ;   in Loop: Header=BB341_306 Depth=1
	v_bfe_u32 v0, v9, 16, 1
	v_add3_u32 v0, v9, v0, s20
                                        ; implicit-def: $vgpr9
; %bb.837:                              ;   in Loop: Header=BB341_306 Depth=1
	s_andn2_saveexec_b64 s[0:1], s[0:1]
; %bb.838:                              ;   in Loop: Header=BB341_306 Depth=1
	v_or_b32_e32 v0, 0x10000, v9
	v_cmp_eq_u32_sdwa vcc, v9, v11 src0_sel:WORD_0 src1_sel:DWORD
	s_nop 1
	v_cndmask_b32_e32 v0, v0, v9, vcc
; %bb.839:                              ;   in Loop: Header=BB341_306 Depth=1
	s_or_b64 exec, exec, s[0:1]
	v_lshlrev_b32_e32 v1, 16, v1
	v_mul_f32_e32 v9, v45, v1
	v_and_b32_e32 v1, 0x7f800000, v9
	v_cmp_ne_u32_e32 vcc, s15, v1
                                        ; implicit-def: $vgpr1
	s_and_saveexec_b64 s[0:1], vcc
	s_xor_b64 s[0:1], exec, s[0:1]
; %bb.840:                              ;   in Loop: Header=BB341_306 Depth=1
	v_bfe_u32 v1, v9, 16, 1
	v_add3_u32 v1, v9, v1, s20
                                        ; implicit-def: $vgpr9
; %bb.841:                              ;   in Loop: Header=BB341_306 Depth=1
	s_andn2_saveexec_b64 s[0:1], s[0:1]
; %bb.842:                              ;   in Loop: Header=BB341_306 Depth=1
	v_or_b32_e32 v1, 0x10000, v9
	v_cmp_eq_u32_sdwa vcc, v9, v11 src0_sel:WORD_0 src1_sel:DWORD
	s_nop 1
	v_cndmask_b32_e32 v1, v1, v9, vcc
; %bb.843:                              ;   in Loop: Header=BB341_306 Depth=1
	s_or_b64 exec, exec, s[0:1]
	v_lshlrev_b32_e32 v5, 16, v22
	v_mul_f32_e32 v9, v46, v5
	v_and_b32_e32 v5, 0x7f800000, v9
	v_cmp_ne_u32_e32 vcc, s15, v5
                                        ; implicit-def: $vgpr38
	s_and_saveexec_b64 s[0:1], vcc
	s_xor_b64 s[0:1], exec, s[0:1]
; %bb.844:                              ;   in Loop: Header=BB341_306 Depth=1
	v_bfe_u32 v5, v9, 16, 1
	v_add3_u32 v38, v9, v5, s20
                                        ; implicit-def: $vgpr9
; %bb.845:                              ;   in Loop: Header=BB341_306 Depth=1
	s_andn2_saveexec_b64 s[0:1], s[0:1]
; %bb.846:                              ;   in Loop: Header=BB341_306 Depth=1
	v_or_b32_e32 v5, 0x10000, v9
	v_cmp_eq_u32_sdwa vcc, v9, v11 src0_sel:WORD_0 src1_sel:DWORD
	s_nop 1
	v_cndmask_b32_e32 v38, v5, v9, vcc
; %bb.847:                              ;   in Loop: Header=BB341_306 Depth=1
	s_or_b64 exec, exec, s[0:1]
	v_lshlrev_b32_e32 v5, 16, v8
	v_mul_f32_e32 v8, v47, v5
	v_and_b32_e32 v5, 0x7f800000, v8
	v_cmp_ne_u32_e32 vcc, s15, v5
                                        ; implicit-def: $vgpr50
	s_and_saveexec_b64 s[0:1], vcc
	s_xor_b64 s[0:1], exec, s[0:1]
; %bb.848:                              ;   in Loop: Header=BB341_306 Depth=1
	v_bfe_u32 v5, v8, 16, 1
	v_add3_u32 v50, v8, v5, s20
                                        ; implicit-def: $vgpr8
; %bb.849:                              ;   in Loop: Header=BB341_306 Depth=1
	s_andn2_saveexec_b64 s[0:1], s[0:1]
; %bb.850:                              ;   in Loop: Header=BB341_306 Depth=1
	v_or_b32_e32 v5, 0x10000, v8
	v_cmp_eq_u32_sdwa vcc, v8, v11 src0_sel:WORD_0 src1_sel:DWORD
	s_nop 1
	v_cndmask_b32_e32 v50, v5, v8, vcc
; %bb.851:                              ;   in Loop: Header=BB341_306 Depth=1
	s_or_b64 exec, exec, s[0:1]
	v_lshlrev_b32_e32 v5, 16, v7
	v_mul_f32_e32 v7, v56, v5
	v_and_b32_e32 v5, 0x7f800000, v7
	v_cmp_ne_u32_e32 vcc, s15, v5
                                        ; implicit-def: $vgpr44
	s_and_saveexec_b64 s[0:1], vcc
	s_xor_b64 s[0:1], exec, s[0:1]
; %bb.852:                              ;   in Loop: Header=BB341_306 Depth=1
	v_bfe_u32 v5, v7, 16, 1
	v_add3_u32 v44, v7, v5, s20
                                        ; implicit-def: $vgpr7
; %bb.853:                              ;   in Loop: Header=BB341_306 Depth=1
	s_andn2_saveexec_b64 s[0:1], s[0:1]
; %bb.854:                              ;   in Loop: Header=BB341_306 Depth=1
	v_or_b32_e32 v5, 0x10000, v7
	v_cmp_eq_u32_sdwa vcc, v7, v11 src0_sel:WORD_0 src1_sel:DWORD
	s_nop 1
	v_cndmask_b32_e32 v44, v5, v7, vcc
; %bb.855:                              ;   in Loop: Header=BB341_306 Depth=1
	s_or_b64 exec, exec, s[0:1]
	v_lshlrev_b32_e32 v5, 16, v6
	v_mul_f32_e32 v6, v57, v5
	v_and_b32_e32 v5, 0x7f800000, v6
	v_cmp_ne_u32_e32 vcc, s15, v5
                                        ; implicit-def: $vgpr45
	s_and_saveexec_b64 s[0:1], vcc
	s_xor_b64 s[0:1], exec, s[0:1]
; %bb.856:                              ;   in Loop: Header=BB341_306 Depth=1
	v_bfe_u32 v5, v6, 16, 1
	v_add3_u32 v45, v6, v5, s20
                                        ; implicit-def: $vgpr6
; %bb.857:                              ;   in Loop: Header=BB341_306 Depth=1
	s_andn2_saveexec_b64 s[0:1], s[0:1]
; %bb.858:                              ;   in Loop: Header=BB341_306 Depth=1
	v_or_b32_e32 v5, 0x10000, v6
	v_cmp_eq_u32_sdwa vcc, v6, v11 src0_sel:WORD_0 src1_sel:DWORD
	s_nop 1
	v_cndmask_b32_e32 v45, v5, v6, vcc
; %bb.859:                              ;   in Loop: Header=BB341_306 Depth=1
	s_or_b64 exec, exec, s[0:1]
	v_lshlrev_b32_e32 v5, 16, v21
	v_mul_f32_e32 v7, v58, v5
	v_and_b32_e32 v5, 0x7f800000, v7
	v_cmp_ne_u32_e32 vcc, s15, v5
                                        ; implicit-def: $vgpr6
	s_and_saveexec_b64 s[0:1], vcc
	s_xor_b64 s[0:1], exec, s[0:1]
; %bb.860:                              ;   in Loop: Header=BB341_306 Depth=1
	v_bfe_u32 v5, v7, 16, 1
	v_add3_u32 v6, v7, v5, s20
                                        ; implicit-def: $vgpr7
; %bb.861:                              ;   in Loop: Header=BB341_306 Depth=1
	s_andn2_saveexec_b64 s[0:1], s[0:1]
; %bb.862:                              ;   in Loop: Header=BB341_306 Depth=1
	v_or_b32_e32 v5, 0x10000, v7
	v_cmp_eq_u32_sdwa vcc, v7, v11 src0_sel:WORD_0 src1_sel:DWORD
	s_nop 1
	v_cndmask_b32_e32 v6, v5, v7, vcc
; %bb.863:                              ;   in Loop: Header=BB341_306 Depth=1
	s_or_b64 exec, exec, s[0:1]
	v_lshlrev_b32_e32 v5, 16, v41
	v_mul_f32_e32 v8, v59, v5
	v_and_b32_e32 v5, 0x7f800000, v8
	v_cmp_ne_u32_e32 vcc, s15, v5
                                        ; implicit-def: $vgpr7
	s_and_saveexec_b64 s[0:1], vcc
	s_xor_b64 s[0:1], exec, s[0:1]
; %bb.864:                              ;   in Loop: Header=BB341_306 Depth=1
	v_bfe_u32 v5, v8, 16, 1
	v_add3_u32 v7, v8, v5, s20
                                        ; implicit-def: $vgpr8
; %bb.865:                              ;   in Loop: Header=BB341_306 Depth=1
	s_andn2_saveexec_b64 s[0:1], s[0:1]
	s_cbranch_execz .LBB341_304
; %bb.866:                              ;   in Loop: Header=BB341_306 Depth=1
	v_or_b32_e32 v5, 0x10000, v8
	v_cmp_eq_u32_sdwa vcc, v8, v11 src0_sel:WORD_0 src1_sel:DWORD
	s_nop 1
	v_cndmask_b32_e32 v7, v5, v8, vcc
	s_branch .LBB341_304
.LBB341_867:
	s_or_b64 exec, exec, s[6:7]
	v_accvgpr_read_b32 v20, a16
	v_accvgpr_read_b32 v21, a17
.LBB341_868:
	s_or_b64 exec, exec, s[4:5]
	ds_bpermute_b32 v0, v20, v24
	ds_bpermute_b32 v1, v20, v25
	;; [unrolled: 1-line block ×4, first 2 shown]
	s_waitcnt lgkmcnt(0)
	s_barrier
	v_pk_add_f32 v[8:9], v[24:25], v[0:1]
	v_pk_add_f32 v[0:1], v[16:17], v[4:5]
	scratch_load_dword v4, off, s32 offset:288 ; 4-byte Folded Reload
	ds_bpermute_b32 v2, v20, v18
	ds_bpermute_b32 v3, v20, v19
	;; [unrolled: 1-line block ×4, first 2 shown]
	s_waitcnt lgkmcnt(2)
	v_pk_add_f32 v[2:3], v[18:19], v[2:3]
	s_waitcnt lgkmcnt(0)
	v_pk_add_f32 v[6:7], v[12:13], v[6:7]
	s_waitcnt vmcnt(0)
	v_and_b32_e32 v4, 0x3c1, v4
	v_cmp_eq_u32_e32 vcc, 64, v4
	s_and_saveexec_b64 s[0:1], vcc
	s_cbranch_execz .LBB341_870
; %bb.869:
	s_load_dword s4, s[2:3], 0x0
	s_waitcnt lgkmcnt(0)
	v_lshl_add_u32 v4, v61, 1, s4
	ds_write2_b32 v4, v8, v9 offset1:32
	ds_write2_b32 v4, v2, v3 offset0:64 offset1:96
	ds_write2_b32 v4, v0, v1 offset0:128 offset1:160
	;; [unrolled: 1-line block ×3, first 2 shown]
.LBB341_870:
	s_or_b64 exec, exec, s[0:1]
	s_waitcnt lgkmcnt(0)
	s_barrier
	scratch_load_dword v4, off, s32 offset:288 ; 4-byte Folded Reload
	s_waitcnt vmcnt(0)
	v_cmp_gt_u32_e32 vcc, 64, v4
	s_and_saveexec_b64 s[4:5], vcc
	s_cbranch_execz .LBB341_881
; %bb.871:
	scratch_load_dword v4, off, s32 offset:288 ; 4-byte Folded Reload
	v_cmp_eq_u32_e64 s[0:1], 0, v21
	s_waitcnt vmcnt(0)
	v_lshrrev_b32_e32 v4, 1, v4
	s_and_saveexec_b64 s[6:7], s[0:1]
	s_cbranch_execnz .LBB341_917
; %bb.872:
	s_or_b64 exec, exec, s[6:7]
	s_and_saveexec_b64 s[6:7], s[0:1]
	s_cbranch_execnz .LBB341_918
.LBB341_873:
	s_or_b64 exec, exec, s[6:7]
	s_and_saveexec_b64 s[6:7], s[0:1]
	s_cbranch_execnz .LBB341_919
.LBB341_874:
	s_or_b64 exec, exec, s[6:7]
	s_and_saveexec_b64 s[6:7], s[0:1]
	s_cbranch_execnz .LBB341_920
.LBB341_875:
	s_or_b64 exec, exec, s[6:7]
	s_and_saveexec_b64 s[6:7], s[0:1]
	s_cbranch_execnz .LBB341_921
.LBB341_876:
	s_or_b64 exec, exec, s[6:7]
	s_and_saveexec_b64 s[6:7], s[0:1]
	s_cbranch_execnz .LBB341_922
.LBB341_877:
	s_or_b64 exec, exec, s[6:7]
	s_and_saveexec_b64 s[6:7], s[0:1]
	s_cbranch_execnz .LBB341_923
.LBB341_878:
	s_or_b64 exec, exec, s[6:7]
	s_and_saveexec_b64 s[6:7], s[0:1]
	s_cbranch_execz .LBB341_880
.LBB341_879:
	s_load_dword s0, s[2:3], 0x0
	s_waitcnt lgkmcnt(0)
	v_lshl_add_u32 v4, v4, 2, s0
	ds_read_b32 v4, v4 offset:896
	s_waitcnt lgkmcnt(0)
	v_add_f32_e32 v7, v7, v4
.LBB341_880:
	s_or_b64 exec, exec, s[6:7]
.LBB341_881:
	s_or_b64 exec, exec, s[4:5]
	s_barrier
	s_and_b64 exec, exec, vcc
	s_cbranch_execz .LBB341_916
; %bb.882:
	v_cmp_eq_u32_e32 vcc, 0, v21
	s_and_b64 exec, exec, vcc
	s_cbranch_execz .LBB341_916
; %bb.883:
	s_mov_b32 s0, 0x7f800000
	v_and_b32_e32 v4, 0x7f800000, v8
	v_cmp_ne_u32_e32 vcc, s0, v4
                                        ; implicit-def: $vgpr4
	s_and_saveexec_b64 s[0:1], vcc
	s_xor_b64 s[0:1], exec, s[0:1]
; %bb.884:
	v_bfe_u32 v4, v8, 16, 1
	s_movk_i32 s2, 0x7fff
	v_add3_u32 v4, v8, v4, s2
; %bb.885:
	s_andn2_saveexec_b64 s[0:1], s[0:1]
; %bb.886:
	v_mov_b32_e32 v4, 0
	v_or_b32_e32 v5, 0x10000, v8
	v_cmp_eq_u32_sdwa vcc, v8, v4 src0_sel:WORD_0 src1_sel:DWORD
	s_nop 1
	v_cndmask_b32_e32 v4, v5, v8, vcc
; %bb.887:
	s_or_b64 exec, exec, s[0:1]
	scratch_load_dwordx2 v[10:11], off, s32 offset:340 ; 8-byte Folded Reload
	scratch_load_dword v5, off, s32 offset:288 ; 4-byte Folded Reload
	s_mul_i32 s0, s19, s16
	s_mul_i32 s0, s0, s17
	s_lshl_b32 s0, s0, 8
	s_mul_i32 s2, s18, s19
	s_lshl_b32 s4, s14, 8
	s_ashr_i32 s1, s0, 31
	s_ashr_i32 s3, s2, 31
	;; [unrolled: 1-line block ×3, first 2 shown]
	s_lshl_b64 s[0:1], s[0:1], 1
	s_lshl_b64 s[2:3], s[2:3], 1
	;; [unrolled: 1-line block ×3, first 2 shown]
	s_add_u32 s2, s4, s2
	s_addc_u32 s3, s5, s3
	s_add_u32 s0, s2, s0
	s_addc_u32 s1, s3, s1
	v_mov_b32_e32 v13, 0
	s_waitcnt vmcnt(1)
	v_lshl_add_u64 v[10:11], s[0:1], 0, v[10:11]
	s_waitcnt vmcnt(0)
	v_and_b32_e32 v12, 0x3fe, v5
	v_lshl_add_u64 v[10:11], v[10:11], 0, v[12:13]
	flat_store_short_d16_hi v[10:11], v4
	s_mov_b32 s0, 0x7f800000
	v_and_b32_e32 v4, 0x7f800000, v9
	v_cmp_ne_u32_e32 vcc, s0, v4
                                        ; implicit-def: $vgpr4
	s_and_saveexec_b64 s[0:1], vcc
	s_xor_b64 s[0:1], exec, s[0:1]
; %bb.888:
	v_bfe_u32 v4, v9, 16, 1
	s_movk_i32 s2, 0x7fff
	v_add3_u32 v4, v9, v4, s2
; %bb.889:
	s_andn2_saveexec_b64 s[0:1], s[0:1]
; %bb.890:
	v_mov_b32_e32 v4, 0
	v_or_b32_e32 v5, 0x10000, v9
	v_cmp_eq_u32_sdwa vcc, v9, v4 src0_sel:WORD_0 src1_sel:DWORD
	s_nop 1
	v_cndmask_b32_e32 v4, v5, v9, vcc
; %bb.891:
	s_or_b64 exec, exec, s[0:1]
	flat_store_short_d16_hi v[10:11], v4 offset:64
	s_mov_b32 s0, 0x7f800000
	v_and_b32_e32 v4, 0x7f800000, v2
	v_cmp_ne_u32_e32 vcc, s0, v4
                                        ; implicit-def: $vgpr4
	s_and_saveexec_b64 s[0:1], vcc
	s_xor_b64 s[0:1], exec, s[0:1]
; %bb.892:
	v_bfe_u32 v4, v2, 16, 1
	s_movk_i32 s2, 0x7fff
	v_add3_u32 v4, v2, v4, s2
; %bb.893:
	s_andn2_saveexec_b64 s[0:1], s[0:1]
; %bb.894:
	v_mov_b32_e32 v4, 0
	v_or_b32_e32 v5, 0x10000, v2
	v_cmp_eq_u32_sdwa vcc, v2, v4 src0_sel:WORD_0 src1_sel:DWORD
	s_nop 1
	v_cndmask_b32_e32 v4, v5, v2, vcc
; %bb.895:
	s_or_b64 exec, exec, s[0:1]
	s_mov_b32 s0, 0x7f800000
	v_and_b32_e32 v2, 0x7f800000, v3
	v_cmp_ne_u32_e32 vcc, s0, v2
	flat_store_short_d16_hi v[10:11], v4 offset:128
                                        ; implicit-def: $vgpr2
	s_and_saveexec_b64 s[0:1], vcc
	s_xor_b64 s[0:1], exec, s[0:1]
; %bb.896:
	v_bfe_u32 v2, v3, 16, 1
	s_movk_i32 s2, 0x7fff
	v_add3_u32 v2, v3, v2, s2
; %bb.897:
	s_andn2_saveexec_b64 s[0:1], s[0:1]
; %bb.898:
	v_mov_b32_e32 v2, 0
	v_or_b32_e32 v4, 0x10000, v3
	v_cmp_eq_u32_sdwa vcc, v3, v2 src0_sel:WORD_0 src1_sel:DWORD
	s_nop 1
	v_cndmask_b32_e32 v2, v4, v3, vcc
; %bb.899:
	s_or_b64 exec, exec, s[0:1]
	flat_store_short_d16_hi v[10:11], v2 offset:192
	s_mov_b32 s0, 0x7f800000
	v_and_b32_e32 v2, 0x7f800000, v0
	v_cmp_ne_u32_e32 vcc, s0, v2
                                        ; implicit-def: $vgpr2
	s_and_saveexec_b64 s[0:1], vcc
	s_xor_b64 s[0:1], exec, s[0:1]
; %bb.900:
	v_bfe_u32 v2, v0, 16, 1
	s_movk_i32 s2, 0x7fff
	v_add3_u32 v2, v0, v2, s2
; %bb.901:
	s_andn2_saveexec_b64 s[0:1], s[0:1]
; %bb.902:
	v_mov_b32_e32 v2, 0
	v_or_b32_e32 v3, 0x10000, v0
	v_cmp_eq_u32_sdwa vcc, v0, v2 src0_sel:WORD_0 src1_sel:DWORD
	s_nop 1
	v_cndmask_b32_e32 v2, v3, v0, vcc
; %bb.903:
	s_or_b64 exec, exec, s[0:1]
	s_mov_b32 s0, 0x7f800000
	v_and_b32_e32 v0, 0x7f800000, v1
	v_cmp_ne_u32_e32 vcc, s0, v0
	flat_store_short_d16_hi v[10:11], v2 offset:256
                                        ; implicit-def: $vgpr0
	s_and_saveexec_b64 s[0:1], vcc
	s_xor_b64 s[0:1], exec, s[0:1]
; %bb.904:
	v_bfe_u32 v0, v1, 16, 1
	s_movk_i32 s2, 0x7fff
	v_add3_u32 v0, v1, v0, s2
; %bb.905:
	s_andn2_saveexec_b64 s[0:1], s[0:1]
; %bb.906:
	v_mov_b32_e32 v0, 0
	v_or_b32_e32 v2, 0x10000, v1
	v_cmp_eq_u32_sdwa vcc, v1, v0 src0_sel:WORD_0 src1_sel:DWORD
	s_nop 1
	v_cndmask_b32_e32 v0, v2, v1, vcc
; %bb.907:
	s_or_b64 exec, exec, s[0:1]
	flat_store_short_d16_hi v[10:11], v0 offset:320
	s_mov_b32 s0, 0x7f800000
	v_and_b32_e32 v0, 0x7f800000, v6
	v_cmp_ne_u32_e32 vcc, s0, v0
                                        ; implicit-def: $vgpr0
	s_and_saveexec_b64 s[0:1], vcc
	s_xor_b64 s[0:1], exec, s[0:1]
; %bb.908:
	v_bfe_u32 v0, v6, 16, 1
	s_movk_i32 s2, 0x7fff
	v_add3_u32 v0, v6, v0, s2
; %bb.909:
	s_andn2_saveexec_b64 s[0:1], s[0:1]
; %bb.910:
	v_mov_b32_e32 v0, 0
	v_or_b32_e32 v1, 0x10000, v6
	v_cmp_eq_u32_sdwa vcc, v6, v0 src0_sel:WORD_0 src1_sel:DWORD
	s_nop 1
	v_cndmask_b32_e32 v0, v1, v6, vcc
; %bb.911:
	s_or_b64 exec, exec, s[0:1]
	flat_store_short_d16_hi v[10:11], v0 offset:384
	s_mov_b32 s0, 0x7f800000
	v_and_b32_e32 v0, 0x7f800000, v7
	v_cmp_ne_u32_e32 vcc, s0, v0
                                        ; implicit-def: $vgpr8
	s_and_saveexec_b64 s[0:1], vcc
	s_xor_b64 s[0:1], exec, s[0:1]
; %bb.912:
	v_bfe_u32 v0, v7, 16, 1
	s_movk_i32 s2, 0x7fff
	v_add3_u32 v8, v7, v0, s2
                                        ; implicit-def: $vgpr0_vgpr1_vgpr2_vgpr3_vgpr4_vgpr5_vgpr6_vgpr7
; %bb.913:
	s_andn2_saveexec_b64 s[0:1], s[0:1]
; %bb.914:
	v_mov_b32_e32 v0, 0
	v_or_b32_e32 v1, 0x10000, v7
	v_cmp_eq_u32_sdwa vcc, v7, v0 src0_sel:WORD_0 src1_sel:DWORD
	s_nop 1
	v_cndmask_b32_e32 v8, v1, v7, vcc
; %bb.915:
	s_or_b64 exec, exec, s[0:1]
	flat_store_short_d16_hi v[10:11], v8 offset:448
.LBB341_916:
	s_or_b64 exec, exec, s[10:11]
	scratch_load_dword a63, off, s32 offset:8 ; 4-byte Folded Reload
	scratch_load_dword a62, off, s32 offset:12 ; 4-byte Folded Reload
	;; [unrolled: 1-line block ×47, first 2 shown]
	v_readlane_b32 s30, v63, 2
	v_readlane_b32 s31, v63, 3
	;; [unrolled: 1-line block ×4, first 2 shown]
	s_or_saveexec_b64 s[0:1], -1
	scratch_load_dword v63, off, s32 offset:416 ; 4-byte Folded Reload
	s_mov_b64 exec, s[0:1]
	s_waitcnt vmcnt(0) lgkmcnt(0)
	s_setpc_b64 s[30:31]
.LBB341_917:
	s_load_dword s8, s[2:3], 0x0
	s_waitcnt lgkmcnt(0)
	v_lshl_add_u32 v5, v4, 2, s8
	ds_read_b32 v5, v5
	s_waitcnt lgkmcnt(0)
	v_add_f32_e32 v8, v8, v5
	s_or_b64 exec, exec, s[6:7]
	s_and_saveexec_b64 s[6:7], s[0:1]
	s_cbranch_execz .LBB341_873
.LBB341_918:
	s_load_dword s8, s[2:3], 0x0
	s_waitcnt lgkmcnt(0)
	v_lshl_add_u32 v5, v4, 2, s8
	ds_read_b32 v5, v5 offset:128
	s_waitcnt lgkmcnt(0)
	v_add_f32_e32 v9, v9, v5
	s_or_b64 exec, exec, s[6:7]
	s_and_saveexec_b64 s[6:7], s[0:1]
	s_cbranch_execz .LBB341_874
.LBB341_919:
	s_load_dword s8, s[2:3], 0x0
	s_waitcnt lgkmcnt(0)
	v_lshl_add_u32 v5, v4, 2, s8
	ds_read_b32 v5, v5 offset:256
	s_waitcnt lgkmcnt(0)
	v_add_f32_e32 v2, v2, v5
	s_or_b64 exec, exec, s[6:7]
	s_and_saveexec_b64 s[6:7], s[0:1]
	s_cbranch_execz .LBB341_875
.LBB341_920:
	s_load_dword s8, s[2:3], 0x0
	s_waitcnt lgkmcnt(0)
	v_lshl_add_u32 v5, v4, 2, s8
	ds_read_b32 v5, v5 offset:384
	s_waitcnt lgkmcnt(0)
	v_add_f32_e32 v3, v3, v5
	s_or_b64 exec, exec, s[6:7]
	s_and_saveexec_b64 s[6:7], s[0:1]
	s_cbranch_execz .LBB341_876
.LBB341_921:
	s_load_dword s8, s[2:3], 0x0
	s_waitcnt lgkmcnt(0)
	v_lshl_add_u32 v5, v4, 2, s8
	ds_read_b32 v5, v5 offset:512
	s_waitcnt lgkmcnt(0)
	v_add_f32_e32 v0, v0, v5
	s_or_b64 exec, exec, s[6:7]
	s_and_saveexec_b64 s[6:7], s[0:1]
	s_cbranch_execz .LBB341_877
.LBB341_922:
	s_load_dword s8, s[2:3], 0x0
	s_waitcnt lgkmcnt(0)
	v_lshl_add_u32 v5, v4, 2, s8
	ds_read_b32 v5, v5 offset:640
	s_waitcnt lgkmcnt(0)
	v_add_f32_e32 v1, v1, v5
	s_or_b64 exec, exec, s[6:7]
	s_and_saveexec_b64 s[6:7], s[0:1]
	s_cbranch_execz .LBB341_878
.LBB341_923:
	s_load_dword s8, s[2:3], 0x0
	s_waitcnt lgkmcnt(0)
	v_lshl_add_u32 v5, v4, 2, s8
	ds_read_b32 v5, v5 offset:768
	s_waitcnt lgkmcnt(0)
	v_add_f32_e32 v6, v6, v5
	s_or_b64 exec, exec, s[6:7]
	s_and_saveexec_b64 s[6:7], s[0:1]
	s_cbranch_execnz .LBB341_879
	s_branch .LBB341_880
.Lfunc_end341:
	.size	_ZN4vllm22paged_attention_kernelI14__hip_bfloat16hLi256ELi16ELi128ELNS_18Fp8KVCacheDataTypeE1ELb1ELi512EEEvPfS3_PT_PKS4_PKT0_SA_ifPKiSC_iPKfiiiSE_SE_iiiii, .Lfunc_end341-_ZN4vllm22paged_attention_kernelI14__hip_bfloat16hLi256ELi16ELi128ELNS_18Fp8KVCacheDataTypeE1ELb1ELi512EEEvPfS3_PT_PKS4_PKT0_SA_ifPKiSC_iPKfiiiSE_SE_iiiii
                                        ; -- End function
	.section	.AMDGPU.csdata,"",@progbits
; Function info:
; codeLenInByte = 32900
; NumSgprs: 42
; NumVgprs: 64
; NumAgprs: 64
; TotalNumVgprs: 128
; ScratchSize: 424
; MemoryBound: 0
	.section	.text._ZN4vllm25paged_attention_v2_kernelI14__hip_bfloat16hLi256ELi16ELi128ELNS_18Fp8KVCacheDataTypeE1ELb1ELi512EEEvPfS3_PT_PKS4_PKT0_SA_ifPKiSC_iPKfiiiSE_SE_iiiii,"axG",@progbits,_ZN4vllm25paged_attention_v2_kernelI14__hip_bfloat16hLi256ELi16ELi128ELNS_18Fp8KVCacheDataTypeE1ELb1ELi512EEEvPfS3_PT_PKS4_PKT0_SA_ifPKiSC_iPKfiiiSE_SE_iiiii,comdat
	.protected	_ZN4vllm25paged_attention_v2_kernelI14__hip_bfloat16hLi256ELi16ELi128ELNS_18Fp8KVCacheDataTypeE1ELb1ELi512EEEvPfS3_PT_PKS4_PKT0_SA_ifPKiSC_iPKfiiiSE_SE_iiiii ; -- Begin function _ZN4vllm25paged_attention_v2_kernelI14__hip_bfloat16hLi256ELi16ELi128ELNS_18Fp8KVCacheDataTypeE1ELb1ELi512EEEvPfS3_PT_PKS4_PKT0_SA_ifPKiSC_iPKfiiiSE_SE_iiiii
	.globl	_ZN4vllm25paged_attention_v2_kernelI14__hip_bfloat16hLi256ELi16ELi128ELNS_18Fp8KVCacheDataTypeE1ELb1ELi512EEEvPfS3_PT_PKS4_PKT0_SA_ifPKiSC_iPKfiiiSE_SE_iiiii
	.p2align	8
	.type	_ZN4vllm25paged_attention_v2_kernelI14__hip_bfloat16hLi256ELi16ELi128ELNS_18Fp8KVCacheDataTypeE1ELb1ELi512EEEvPfS3_PT_PKS4_PKT0_SA_ifPKiSC_iPKfiiiSE_SE_iiiii,@function
_ZN4vllm25paged_attention_v2_kernelI14__hip_bfloat16hLi256ELi16ELi128ELNS_18Fp8KVCacheDataTypeE1ELb1ELi512EEEvPfS3_PT_PKS4_PKT0_SA_ifPKiSC_iPKfiiiSE_SE_iiiii: ; @_ZN4vllm25paged_attention_v2_kernelI14__hip_bfloat16hLi256ELi16ELi128ELNS_18Fp8KVCacheDataTypeE1ELb1ELi512EEEvPfS3_PT_PKS4_PKT0_SA_ifPKiSC_iPKfiiiSE_SE_iiiii
; %bb.0:
	s_load_dwordx8 s[24:31], s[0:1], 0x0
	s_load_dwordx8 s[16:23], s[0:1], 0x20
	s_load_dwordx2 s[6:7], s[0:1], 0x40
	s_load_dwordx4 s[44:47], s[0:1], 0x78
	s_load_dword s5, s[0:1], 0x88
	s_load_dwordx2 s[10:11], s[0:1], 0x50
	s_load_dword s33, s[0:1], 0x48
	s_load_dwordx8 s[36:43], s[0:1], 0x58
	s_mov_b32 s32, 0
	s_waitcnt lgkmcnt(0)
	v_mov_b32_e32 v2, s47
	v_mov_b32_e32 v3, s5
	s_add_u32 s8, s0, 0x90
	scratch_store_dwordx2 off, v[2:3], s32
	s_addc_u32 s9, s1, 0
	s_mov_b32 s12, s2
	s_mov_b32 s13, s3
	;; [unrolled: 1-line block ×4, first 2 shown]
	v_mov_b32_e32 v31, v0
	v_mov_b32_e32 v0, s24
	;; [unrolled: 1-line block ×32, first 2 shown]
	s_getpc_b64 s[0:1]
	s_add_u32 s0, s0, _ZN4vllm22paged_attention_kernelI14__hip_bfloat16hLi256ELi16ELi128ELNS_18Fp8KVCacheDataTypeE1ELb1ELi512EEEvPfS3_PT_PKS4_PKT0_SA_ifPKiSC_iPKfiiiSE_SE_iiiii@rel32@lo+4
	s_addc_u32 s1, s1, _ZN4vllm22paged_attention_kernelI14__hip_bfloat16hLi256ELi16ELi128ELNS_18Fp8KVCacheDataTypeE1ELb1ELi512EEEvPfS3_PT_PKS4_PKT0_SA_ifPKiSC_iPKfiiiSE_SE_iiiii@rel32@hi+12
	s_swappc_b64 s[30:31], s[0:1]
	s_endpgm
	.section	.rodata,"a",@progbits
	.p2align	6, 0x0
	.amdhsa_kernel _ZN4vllm25paged_attention_v2_kernelI14__hip_bfloat16hLi256ELi16ELi128ELNS_18Fp8KVCacheDataTypeE1ELb1ELi512EEEvPfS3_PT_PKS4_PKT0_SA_ifPKiSC_iPKfiiiSE_SE_iiiii
		.amdhsa_group_segment_fixed_size 528
		.amdhsa_private_segment_fixed_size 424
		.amdhsa_kernarg_size 400
		.amdhsa_user_sgpr_count 2
		.amdhsa_user_sgpr_dispatch_ptr 0
		.amdhsa_user_sgpr_queue_ptr 0
		.amdhsa_user_sgpr_kernarg_segment_ptr 1
		.amdhsa_user_sgpr_dispatch_id 0
		.amdhsa_user_sgpr_kernarg_preload_length 0
		.amdhsa_user_sgpr_kernarg_preload_offset 0
		.amdhsa_user_sgpr_private_segment_size 0
		.amdhsa_uses_dynamic_stack 0
		.amdhsa_enable_private_segment 1
		.amdhsa_system_sgpr_workgroup_id_x 1
		.amdhsa_system_sgpr_workgroup_id_y 1
		.amdhsa_system_sgpr_workgroup_id_z 1
		.amdhsa_system_sgpr_workgroup_info 0
		.amdhsa_system_vgpr_workitem_id 0
		.amdhsa_next_free_vgpr 128
		.amdhsa_next_free_sgpr 48
		.amdhsa_accum_offset 64
		.amdhsa_reserve_vcc 1
		.amdhsa_float_round_mode_32 0
		.amdhsa_float_round_mode_16_64 0
		.amdhsa_float_denorm_mode_32 3
		.amdhsa_float_denorm_mode_16_64 3
		.amdhsa_dx10_clamp 1
		.amdhsa_ieee_mode 1
		.amdhsa_fp16_overflow 0
		.amdhsa_tg_split 0
		.amdhsa_exception_fp_ieee_invalid_op 0
		.amdhsa_exception_fp_denorm_src 0
		.amdhsa_exception_fp_ieee_div_zero 0
		.amdhsa_exception_fp_ieee_overflow 0
		.amdhsa_exception_fp_ieee_underflow 0
		.amdhsa_exception_fp_ieee_inexact 0
		.amdhsa_exception_int_div_zero 0
	.end_amdhsa_kernel
	.section	.text._ZN4vllm25paged_attention_v2_kernelI14__hip_bfloat16hLi256ELi16ELi128ELNS_18Fp8KVCacheDataTypeE1ELb1ELi512EEEvPfS3_PT_PKS4_PKT0_SA_ifPKiSC_iPKfiiiSE_SE_iiiii,"axG",@progbits,_ZN4vllm25paged_attention_v2_kernelI14__hip_bfloat16hLi256ELi16ELi128ELNS_18Fp8KVCacheDataTypeE1ELb1ELi512EEEvPfS3_PT_PKS4_PKT0_SA_ifPKiSC_iPKfiiiSE_SE_iiiii,comdat
.Lfunc_end342:
	.size	_ZN4vllm25paged_attention_v2_kernelI14__hip_bfloat16hLi256ELi16ELi128ELNS_18Fp8KVCacheDataTypeE1ELb1ELi512EEEvPfS3_PT_PKS4_PKT0_SA_ifPKiSC_iPKfiiiSE_SE_iiiii, .Lfunc_end342-_ZN4vllm25paged_attention_v2_kernelI14__hip_bfloat16hLi256ELi16ELi128ELNS_18Fp8KVCacheDataTypeE1ELb1ELi512EEEvPfS3_PT_PKS4_PKT0_SA_ifPKiSC_iPKfiiiSE_SE_iiiii
                                        ; -- End function
	.section	.AMDGPU.csdata,"",@progbits
; Kernel info:
; codeLenInByte = 272
; NumSgprs: 54
; NumVgprs: 64
; NumAgprs: 64
; TotalNumVgprs: 128
; ScratchSize: 424
; MemoryBound: 0
; FloatMode: 240
; IeeeMode: 1
; LDSByteSize: 528 bytes/workgroup (compile time only)
; SGPRBlocks: 6
; VGPRBlocks: 15
; NumSGPRsForWavesPerEU: 54
; NumVGPRsForWavesPerEU: 128
; AccumOffset: 64
; Occupancy: 4
; WaveLimiterHint : 1
; COMPUTE_PGM_RSRC2:SCRATCH_EN: 1
; COMPUTE_PGM_RSRC2:USER_SGPR: 2
; COMPUTE_PGM_RSRC2:TRAP_HANDLER: 0
; COMPUTE_PGM_RSRC2:TGID_X_EN: 1
; COMPUTE_PGM_RSRC2:TGID_Y_EN: 1
; COMPUTE_PGM_RSRC2:TGID_Z_EN: 1
; COMPUTE_PGM_RSRC2:TIDIG_COMP_CNT: 0
; COMPUTE_PGM_RSRC3_GFX90A:ACCUM_OFFSET: 15
; COMPUTE_PGM_RSRC3_GFX90A:TG_SPLIT: 0
	.section	.text._ZN4vllm25paged_attention_v2_kernelI14__hip_bfloat16hLi32ELi16ELi128ELNS_18Fp8KVCacheDataTypeE1ELb0ELi512EEEvPfS3_PT_PKS4_PKT0_SA_ifPKiSC_iPKfiiiSE_SE_iiiii,"axG",@progbits,_ZN4vllm25paged_attention_v2_kernelI14__hip_bfloat16hLi32ELi16ELi128ELNS_18Fp8KVCacheDataTypeE1ELb0ELi512EEEvPfS3_PT_PKS4_PKT0_SA_ifPKiSC_iPKfiiiSE_SE_iiiii,comdat
	.protected	_ZN4vllm25paged_attention_v2_kernelI14__hip_bfloat16hLi32ELi16ELi128ELNS_18Fp8KVCacheDataTypeE1ELb0ELi512EEEvPfS3_PT_PKS4_PKT0_SA_ifPKiSC_iPKfiiiSE_SE_iiiii ; -- Begin function _ZN4vllm25paged_attention_v2_kernelI14__hip_bfloat16hLi32ELi16ELi128ELNS_18Fp8KVCacheDataTypeE1ELb0ELi512EEEvPfS3_PT_PKS4_PKT0_SA_ifPKiSC_iPKfiiiSE_SE_iiiii
	.globl	_ZN4vllm25paged_attention_v2_kernelI14__hip_bfloat16hLi32ELi16ELi128ELNS_18Fp8KVCacheDataTypeE1ELb0ELi512EEEvPfS3_PT_PKS4_PKT0_SA_ifPKiSC_iPKfiiiSE_SE_iiiii
	.p2align	8
	.type	_ZN4vllm25paged_attention_v2_kernelI14__hip_bfloat16hLi32ELi16ELi128ELNS_18Fp8KVCacheDataTypeE1ELb0ELi512EEEvPfS3_PT_PKS4_PKT0_SA_ifPKiSC_iPKfiiiSE_SE_iiiii,@function
_ZN4vllm25paged_attention_v2_kernelI14__hip_bfloat16hLi32ELi16ELi128ELNS_18Fp8KVCacheDataTypeE1ELb0ELi512EEEvPfS3_PT_PKS4_PKT0_SA_ifPKiSC_iPKfiiiSE_SE_iiiii: ; @_ZN4vllm25paged_attention_v2_kernelI14__hip_bfloat16hLi32ELi16ELi128ELNS_18Fp8KVCacheDataTypeE1ELb0ELi512EEEvPfS3_PT_PKS4_PKT0_SA_ifPKiSC_iPKfiiiSE_SE_iiiii
; %bb.0:
	s_load_dwordx2 s[6:7], s[0:1], 0x40
	s_mov_b32 s28, s3
	s_ashr_i32 s29, s3, 31
	s_lshl_b64 s[8:9], s[28:29], 2
	s_waitcnt lgkmcnt(0)
	s_add_u32 s6, s6, s8
	s_addc_u32 s7, s7, s9
	s_load_dword s29, s[6:7], 0x0
	s_lshl_b32 s40, s4, 9
	s_waitcnt lgkmcnt(0)
	s_cmp_ge_i32 s40, s29
	s_cbranch_scc1 .LBB343_184
; %bb.1:
	s_load_dword s5, s[0:1], 0x90
	s_load_dwordx2 s[10:11], s[0:1], 0x30
	s_waitcnt lgkmcnt(0)
	s_abs_i32 s7, s5
	s_abs_i32 s3, s10
	v_cvt_f32_u32_e32 v1, s3
	s_sub_i32 s8, 0, s3
	s_xor_b32 s6, s5, s10
	s_ashr_i32 s6, s6, 31
	v_rcp_iflag_f32_e32 v1, v1
	s_nop 0
	v_mul_f32_e32 v1, 0x4f7ffffe, v1
	v_cvt_u32_f32_e32 v1, v1
	s_nop 0
	v_readfirstlane_b32 s9, v1
	s_mul_i32 s8, s8, s9
	s_mul_hi_u32 s8, s9, s8
	s_add_i32 s9, s9, s8
	s_mul_hi_u32 s8, s7, s9
	s_mul_i32 s9, s8, s3
	s_sub_i32 s7, s7, s9
	s_add_i32 s10, s8, 1
	s_sub_i32 s9, s7, s3
	s_cmp_ge_u32 s7, s3
	s_cselect_b32 s8, s10, s8
	s_cselect_b32 s7, s9, s7
	s_add_i32 s9, s8, 1
	s_cmp_ge_u32 s7, s3
	s_cselect_b32 s3, s9, s8
	s_xor_b32 s3, s3, s6
	s_sub_i32 s17, s3, s6
	s_abs_i32 s8, s17
	v_cvt_f32_u32_e32 v1, s8
	s_load_dwordx2 s[6:7], s[0:1], 0x50
	s_sub_i32 s10, 0, s8
	s_abs_i32 s9, s2
	v_rcp_iflag_f32_e32 v1, v1
	s_mov_b32 s3, 0
	v_mul_f32_e32 v1, 0x4f7ffffe, v1
	v_cvt_u32_f32_e32 v1, v1
	s_nop 0
	v_readfirstlane_b32 s12, v1
	s_mul_i32 s10, s10, s12
	s_mul_hi_u32 s10, s12, s10
	s_add_i32 s12, s12, s10
	s_waitcnt lgkmcnt(0)
	s_cmp_eq_u64 s[6:7], 0
	s_mul_hi_u32 s10, s9, s12
	s_cbranch_scc1 .LBB343_3
; %bb.2:
	s_ashr_i32 s3, s2, 31
	s_lshl_b64 s[12:13], s[2:3], 2
	s_add_u32 s6, s6, s12
	s_addc_u32 s7, s7, s13
	s_load_dword s3, s[6:7], 0x0
.LBB343_3:
	s_load_dwordx4 s[12:15], s[0:1], 0x58
	s_ashr_i32 s16, s2, 31
	s_waitcnt lgkmcnt(0)
	s_ashr_i32 s15, s17, 31
	v_and_b32_e32 v6, 3, v0
	s_lshl_b32 s24, s2, 5
	v_cmp_gt_u32_e32 vcc, 16, v0
	s_and_saveexec_b64 s[6:7], vcc
	s_cbranch_execz .LBB343_5
; %bb.4:
	s_load_dwordx2 s[18:19], s[0:1], 0x18
	s_mul_i32 s20, s28, s12
	s_ashr_i32 s21, s20, 31
	s_lshl_b64 s[20:21], s[20:21], 1
	v_lshlrev_b32_e32 v1, 2, v0
	s_waitcnt lgkmcnt(0)
	s_add_u32 s12, s18, s20
	s_addc_u32 s17, s19, s21
	s_ashr_i32 s25, s24, 31
	s_lshl_b64 s[18:19], s[24:25], 1
	s_add_u32 s18, s12, s18
	s_addc_u32 s19, s17, s19
	global_load_dword v1, v1, s[18:19]
	v_and_b32_e32 v2, 0x3fc, v0
	v_lshl_add_u32 v2, v6, 4, v2
	s_waitcnt vmcnt(0)
	ds_write_b32 v2, v1
.LBB343_5:
	s_or_b64 exec, exec, s[6:7]
	s_add_i32 s6, s29, 15
	s_ashr_i32 s7, s6, 31
	s_lshr_b32 s7, s7, 28
	s_add_i32 s6, s6, s7
	s_lshl_b32 s12, s4, 5
	s_mul_i32 s7, s10, s8
	s_ashr_i32 s41, s6, 4
	s_add_i32 s6, s12, 32
	s_sub_i32 s7, s9, s7
	s_min_i32 s33, s6, s41
	s_xor_b32 s6, s16, s15
	s_add_i32 s9, s10, 1
	s_sub_i32 s15, s7, s8
	s_cmp_ge_u32 s7, s8
	s_cselect_b32 s9, s9, s10
	s_cselect_b32 s7, s15, s7
	s_add_i32 s10, s9, 1
	s_cmp_ge_u32 s7, s8
	s_load_dwordx2 s[30:31], s[0:1], 0x38
	s_load_dword s8, s[0:1], 0x48
	v_lshrrev_b32_e32 v16, 6, v0
	s_cselect_b32 s7, s10, s9
	s_xor_b32 s7, s7, s6
	v_or_b32_e32 v10, s12, v16
	s_waitcnt lgkmcnt(0)
	s_mul_i32 s34, s28, s8
	s_sub_i32 s42, s7, s6
	s_ashr_i32 s35, s34, 31
	v_cmp_gt_i32_e64 s[8:9], s33, v10
	v_cmp_le_i32_e32 vcc, s33, v10
	v_mbcnt_lo_u32_b32 v7, -1, 0
	s_barrier
	s_waitcnt lgkmcnt(0)
                                        ; implicit-def: $sgpr10
                                        ; implicit-def: $vgpr12
                                        ; implicit-def: $vgpr13
	s_and_saveexec_b64 s[6:7], vcc
	s_xor_b64 s[6:7], exec, s[6:7]
; %bb.6:
	v_mbcnt_hi_u32_b32 v12, -1, v7
	v_and_b32_e32 v1, 64, v12
	v_add_u32_e32 v13, 64, v1
	s_mov_b32 s10, 0xff7fffff
                                        ; implicit-def: $vgpr6
                                        ; implicit-def: $vgpr7
; %bb.7:
	s_or_saveexec_b64 s[38:39], s[6:7]
	s_load_dwordx4 s[20:23], s[0:1], 0x0
	s_load_dwordx2 s[26:27], s[0:1], 0x10
	s_load_dword s25, s[0:1], 0x98
	s_load_dwordx2 s[36:37], s[0:1], 0x28
	s_load_dwordx4 s[16:19], s[0:1], 0x68
	v_mov_b32_e32 v22, s10
	s_mul_i32 s42, s42, s14
	v_ashrrev_i32_e32 v11, 31, v10
	s_xor_b64 exec, exec, s[38:39]
	s_cbranch_execz .LBB343_45
; %bb.8:
	s_load_dwordx2 s[0:1], s[0:1], 0x20
	v_mbcnt_hi_u32_b32 v12, -1, v7
	v_and_b32_e32 v7, 64, v12
	v_add_u32_e32 v13, 64, v7
	v_xor_b32_e32 v7, 2, v12
	v_cmp_lt_i32_e32 vcc, v7, v13
	s_ashr_i32 s6, s42, 31
	v_lshlrev_b32_e32 v1, 4, v6
	v_cndmask_b32_e32 v7, v12, v7, vcc
	v_bfe_u32 v8, v0, 2, 4
	s_waitcnt lgkmcnt(0)
	s_add_u32 s0, s0, s42
	ds_read_b128 v[18:21], v1
	v_lshlrev_b32_e32 v23, 2, v7
	v_xor_b32_e32 v7, 1, v12
	s_addc_u32 s1, s1, s6
	v_lshlrev_b32_e32 v2, 4, v8
	v_mov_b32_e32 v3, 0
	v_cmp_lt_i32_e32 vcc, v7, v13
	s_load_dword s43, s[16:17], 0x0
	v_lshl_add_u64 v[4:5], s[0:1], 0, v[2:3]
	v_lshlrev_b32_e32 v2, 1, v6
	v_cndmask_b32_e32 v7, v12, v7, vcc
	v_cmp_eq_u32_e32 vcc, 0, v6
	s_sub_i32 s44, 1, s29
	v_lshlrev_b32_e32 v6, 4, v16
	s_lshl_b64 s[0:1], s[34:35], 2
	v_add3_u32 v25, s40, v6, v8
	v_lshlrev_b32_e32 v6, 2, v8
	s_add_u32 s0, s30, s0
	v_lshl_or_b32 v6, v16, 6, v6
	s_addc_u32 s1, s31, s1
	s_mov_b32 s10, s13
	s_waitcnt lgkmcnt(0)
	v_lshlrev_b32_e32 v1, 16, v18
	v_and_b32_e32 v14, 0xffff0000, v18
	v_lshlrev_b32_e32 v15, 16, v19
	v_and_b32_e32 v17, 0xffff0000, v19
	;; [unrolled: 2-line block ×4, first 2 shown]
	v_lshlrev_b32_e32 v24, 2, v7
	v_cmp_neq_f32_e64 s[6:7], s3, 0
	v_add_u32_e32 v26, 0x50, v6
	v_lshl_add_u64 v[6:7], v[10:11], 2, s[0:1]
	s_mov_b64 s[14:15], 0
	v_mov_b32_e32 v22, 0xff7fffff
	s_mov_b32 s45, 0xffff
	s_mov_b32 s46, 0x7f800000
	s_movk_i32 s47, 0x7fff
	v_mov_b32_e32 v27, v10
	s_branch .LBB343_10
.LBB343_9:                              ;   in Loop: Header=BB343_10 Depth=1
	s_or_b64 exec, exec, s[16:17]
	v_add_u32_e32 v27, 2, v27
	v_cmp_le_i32_e64 s[0:1], s33, v27
	v_add_u32_e32 v25, 32, v25
	v_add_u32_e32 v26, 0x80, v26
	s_or_b64 s[14:15], s[0:1], s[14:15]
	v_lshl_add_u64 v[6:7], v[6:7], 0, 8
	s_andn2_b64 exec, exec, s[14:15]
	s_cbranch_execz .LBB343_44
.LBB343_10:                             ; =>This Inner Loop Header: Depth=1
	global_load_dword v8, v[6:7], off
	s_waitcnt vmcnt(0) lgkmcnt(0)
	v_mad_i64_i32 v[8:9], s[0:1], v8, s10, v[4:5]
	v_lshl_add_u64 v[8:9], v[8:9], 0, v[2:3]
	global_load_ushort v29, v[8:9], off
	s_waitcnt vmcnt(0)
	v_and_b32_sdwa v28, s45, v29 dst_sel:DWORD dst_unused:UNUSED_PAD src0_sel:DWORD src1_sel:BYTE_0
	v_cvt_f32_fp8_sdwa v28, v28 src0_sel:BYTE_0
	s_nop 0
	v_mul_f32_e32 v30, s43, v28
	v_and_b32_e32 v28, 0x7f800000, v30
	v_cmp_ne_u32_e64 s[0:1], s46, v28
                                        ; implicit-def: $vgpr28
	s_and_saveexec_b64 s[16:17], s[0:1]
	s_xor_b64 s[0:1], exec, s[16:17]
; %bb.11:                               ;   in Loop: Header=BB343_10 Depth=1
	v_bfe_u32 v28, v30, 16, 1
	v_add3_u32 v28, v30, v28, s47
                                        ; implicit-def: $vgpr30
; %bb.12:                               ;   in Loop: Header=BB343_10 Depth=1
	s_andn2_saveexec_b64 s[16:17], s[0:1]
; %bb.13:                               ;   in Loop: Header=BB343_10 Depth=1
	v_or_b32_e32 v28, 0x10000, v30
	v_cmp_eq_u32_sdwa s[0:1], v30, v3 src0_sel:WORD_0 src1_sel:DWORD
	s_nop 1
	v_cndmask_b32_e64 v28, v28, v30, s[0:1]
; %bb.14:                               ;   in Loop: Header=BB343_10 Depth=1
	s_or_b64 exec, exec, s[16:17]
	v_lshrrev_b16_e32 v29, 8, v29
	v_cvt_f32_fp8_sdwa v29, v29 src0_sel:BYTE_0
	s_nop 0
	v_mul_f32_e32 v30, s43, v29
	v_and_b32_e32 v29, 0x7f800000, v30
	v_cmp_ne_u32_e64 s[0:1], s46, v29
                                        ; implicit-def: $vgpr29
	s_and_saveexec_b64 s[16:17], s[0:1]
	s_xor_b64 s[0:1], exec, s[16:17]
; %bb.15:                               ;   in Loop: Header=BB343_10 Depth=1
	v_bfe_u32 v29, v30, 16, 1
	v_add3_u32 v29, v30, v29, s47
                                        ; implicit-def: $vgpr30
; %bb.16:                               ;   in Loop: Header=BB343_10 Depth=1
	s_andn2_saveexec_b64 s[16:17], s[0:1]
; %bb.17:                               ;   in Loop: Header=BB343_10 Depth=1
	v_or_b32_e32 v29, 0x10000, v30
	v_cmp_eq_u32_sdwa s[0:1], v30, v3 src0_sel:WORD_0 src1_sel:DWORD
	s_nop 1
	v_cndmask_b32_e64 v29, v29, v30, s[0:1]
; %bb.18:                               ;   in Loop: Header=BB343_10 Depth=1
	s_or_b64 exec, exec, s[16:17]
	global_load_ushort v31, v[8:9], off offset:8
	s_waitcnt vmcnt(0)
	v_and_b32_sdwa v30, s45, v31 dst_sel:DWORD dst_unused:UNUSED_PAD src0_sel:DWORD src1_sel:BYTE_0
	v_cvt_f32_fp8_sdwa v30, v30 src0_sel:BYTE_0
	s_nop 0
	v_mul_f32_e32 v32, s43, v30
	v_and_b32_e32 v30, 0x7f800000, v32
	v_cmp_ne_u32_e64 s[0:1], s46, v30
                                        ; implicit-def: $vgpr30
	s_and_saveexec_b64 s[16:17], s[0:1]
	s_xor_b64 s[0:1], exec, s[16:17]
; %bb.19:                               ;   in Loop: Header=BB343_10 Depth=1
	v_bfe_u32 v30, v32, 16, 1
	v_add3_u32 v30, v32, v30, s47
                                        ; implicit-def: $vgpr32
; %bb.20:                               ;   in Loop: Header=BB343_10 Depth=1
	s_andn2_saveexec_b64 s[16:17], s[0:1]
; %bb.21:                               ;   in Loop: Header=BB343_10 Depth=1
	v_or_b32_e32 v30, 0x10000, v32
	v_cmp_eq_u32_sdwa s[0:1], v32, v3 src0_sel:WORD_0 src1_sel:DWORD
	s_nop 1
	v_cndmask_b32_e64 v30, v30, v32, s[0:1]
; %bb.22:                               ;   in Loop: Header=BB343_10 Depth=1
	s_or_b64 exec, exec, s[16:17]
	v_lshrrev_b16_e32 v31, 8, v31
	v_cvt_f32_fp8_sdwa v31, v31 src0_sel:BYTE_0
	s_nop 0
	v_mul_f32_e32 v32, s43, v31
	v_and_b32_e32 v31, 0x7f800000, v32
	v_cmp_ne_u32_e64 s[0:1], s46, v31
                                        ; implicit-def: $vgpr31
	s_and_saveexec_b64 s[16:17], s[0:1]
	s_xor_b64 s[0:1], exec, s[16:17]
; %bb.23:                               ;   in Loop: Header=BB343_10 Depth=1
	v_bfe_u32 v31, v32, 16, 1
	v_add3_u32 v31, v32, v31, s47
                                        ; implicit-def: $vgpr32
; %bb.24:                               ;   in Loop: Header=BB343_10 Depth=1
	s_andn2_saveexec_b64 s[16:17], s[0:1]
; %bb.25:                               ;   in Loop: Header=BB343_10 Depth=1
	v_or_b32_e32 v31, 0x10000, v32
	v_cmp_eq_u32_sdwa s[0:1], v32, v3 src0_sel:WORD_0 src1_sel:DWORD
	s_nop 1
	v_cndmask_b32_e64 v31, v31, v32, s[0:1]
; %bb.26:                               ;   in Loop: Header=BB343_10 Depth=1
	s_or_b64 exec, exec, s[16:17]
	global_load_ushort v33, v[8:9], off offset:256
	s_waitcnt vmcnt(0)
	v_and_b32_sdwa v32, s45, v33 dst_sel:DWORD dst_unused:UNUSED_PAD src0_sel:DWORD src1_sel:BYTE_0
	v_cvt_f32_fp8_sdwa v32, v32 src0_sel:BYTE_0
	s_nop 0
	v_mul_f32_e32 v34, s43, v32
	v_and_b32_e32 v32, 0x7f800000, v34
	v_cmp_ne_u32_e64 s[0:1], s46, v32
                                        ; implicit-def: $vgpr32
	s_and_saveexec_b64 s[16:17], s[0:1]
	s_xor_b64 s[0:1], exec, s[16:17]
; %bb.27:                               ;   in Loop: Header=BB343_10 Depth=1
	v_bfe_u32 v32, v34, 16, 1
	v_add3_u32 v32, v34, v32, s47
                                        ; implicit-def: $vgpr34
; %bb.28:                               ;   in Loop: Header=BB343_10 Depth=1
	s_andn2_saveexec_b64 s[16:17], s[0:1]
; %bb.29:                               ;   in Loop: Header=BB343_10 Depth=1
	v_or_b32_e32 v32, 0x10000, v34
	v_cmp_eq_u32_sdwa s[0:1], v34, v3 src0_sel:WORD_0 src1_sel:DWORD
	s_nop 1
	v_cndmask_b32_e64 v32, v32, v34, s[0:1]
; %bb.30:                               ;   in Loop: Header=BB343_10 Depth=1
	s_or_b64 exec, exec, s[16:17]
	v_lshrrev_b16_e32 v33, 8, v33
	v_cvt_f32_fp8_sdwa v33, v33 src0_sel:BYTE_0
	s_nop 0
	v_mul_f32_e32 v34, s43, v33
	v_and_b32_e32 v33, 0x7f800000, v34
	v_cmp_ne_u32_e64 s[0:1], s46, v33
                                        ; implicit-def: $vgpr33
	s_and_saveexec_b64 s[16:17], s[0:1]
	s_xor_b64 s[0:1], exec, s[16:17]
; %bb.31:                               ;   in Loop: Header=BB343_10 Depth=1
	v_bfe_u32 v33, v34, 16, 1
	v_add3_u32 v33, v34, v33, s47
                                        ; implicit-def: $vgpr34
; %bb.32:                               ;   in Loop: Header=BB343_10 Depth=1
	s_andn2_saveexec_b64 s[16:17], s[0:1]
; %bb.33:                               ;   in Loop: Header=BB343_10 Depth=1
	v_or_b32_e32 v33, 0x10000, v34
	v_cmp_eq_u32_sdwa s[0:1], v34, v3 src0_sel:WORD_0 src1_sel:DWORD
	s_nop 1
	v_cndmask_b32_e64 v33, v33, v34, s[0:1]
; %bb.34:                               ;   in Loop: Header=BB343_10 Depth=1
	s_or_b64 exec, exec, s[16:17]
	global_load_ushort v9, v[8:9], off offset:264
	s_waitcnt vmcnt(0)
	v_and_b32_sdwa v8, s45, v9 dst_sel:DWORD dst_unused:UNUSED_PAD src0_sel:DWORD src1_sel:BYTE_0
	v_cvt_f32_fp8_sdwa v8, v8 src0_sel:BYTE_0
	s_nop 0
	v_mul_f32_e32 v34, s43, v8
	v_and_b32_e32 v8, 0x7f800000, v34
	v_cmp_ne_u32_e64 s[0:1], s46, v8
                                        ; implicit-def: $vgpr8
	s_and_saveexec_b64 s[16:17], s[0:1]
	s_xor_b64 s[0:1], exec, s[16:17]
; %bb.35:                               ;   in Loop: Header=BB343_10 Depth=1
	v_bfe_u32 v8, v34, 16, 1
	v_add3_u32 v8, v34, v8, s47
                                        ; implicit-def: $vgpr34
; %bb.36:                               ;   in Loop: Header=BB343_10 Depth=1
	s_andn2_saveexec_b64 s[16:17], s[0:1]
; %bb.37:                               ;   in Loop: Header=BB343_10 Depth=1
	v_or_b32_e32 v8, 0x10000, v34
	v_cmp_eq_u32_sdwa s[0:1], v34, v3 src0_sel:WORD_0 src1_sel:DWORD
	s_nop 1
	v_cndmask_b32_e64 v8, v8, v34, s[0:1]
; %bb.38:                               ;   in Loop: Header=BB343_10 Depth=1
	s_or_b64 exec, exec, s[16:17]
	v_lshrrev_b16_e32 v9, 8, v9
	v_cvt_f32_fp8_sdwa v9, v9 src0_sel:BYTE_0
	s_nop 0
	v_mul_f32_e32 v34, s43, v9
	v_and_b32_e32 v9, 0x7f800000, v34
	v_cmp_ne_u32_e64 s[0:1], s46, v9
                                        ; implicit-def: $vgpr9
	s_and_saveexec_b64 s[16:17], s[0:1]
	s_xor_b64 s[0:1], exec, s[16:17]
; %bb.39:                               ;   in Loop: Header=BB343_10 Depth=1
	v_bfe_u32 v9, v34, 16, 1
	v_add3_u32 v9, v34, v9, s47
                                        ; implicit-def: $vgpr34
; %bb.40:                               ;   in Loop: Header=BB343_10 Depth=1
	s_andn2_saveexec_b64 s[16:17], s[0:1]
; %bb.41:                               ;   in Loop: Header=BB343_10 Depth=1
	v_or_b32_e32 v9, 0x10000, v34
	v_cmp_eq_u32_sdwa s[0:1], v34, v3 src0_sel:WORD_0 src1_sel:DWORD
	s_nop 1
	v_cndmask_b32_e64 v9, v9, v34, s[0:1]
; %bb.42:                               ;   in Loop: Header=BB343_10 Depth=1
	s_or_b64 exec, exec, s[16:17]
	v_and_b32_e32 v30, 0xffff0000, v30
	v_and_b32_e32 v31, 0xffff0000, v31
	v_and_b32_e32 v28, 0xffff0000, v28
	v_mul_f32_e32 v30, v15, v30
	v_and_b32_e32 v29, 0xffff0000, v29
	v_fmac_f32_e32 v30, v1, v28
	v_mul_f32_e32 v28, v17, v31
	v_and_b32_e32 v33, 0xffff0000, v33
	v_and_b32_e32 v32, 0xffff0000, v32
	v_fmac_f32_e32 v28, v14, v29
	v_and_b32_e32 v8, 0xffff0000, v8
	v_and_b32_e32 v9, 0xffff0000, v9
	v_fmac_f32_e32 v30, v18, v32
	v_fmac_f32_e32 v28, v19, v33
	;; [unrolled: 1-line block ×4, first 2 shown]
	v_add_f32_e32 v8, v30, v28
	ds_bpermute_b32 v9, v23, v8
	s_waitcnt lgkmcnt(0)
	v_add_f32_e32 v8, v8, v9
	ds_bpermute_b32 v9, v24, v8
	s_and_saveexec_b64 s[16:17], vcc
	s_cbranch_execz .LBB343_9
; %bb.43:                               ;   in Loop: Header=BB343_10 Depth=1
	v_add_u32_e32 v28, s44, v25
	v_cvt_f32_i32_e32 v28, v28
	s_waitcnt lgkmcnt(0)
	v_add_f32_e32 v8, v8, v9
	v_cmp_gt_i32_e64 s[0:1], s29, v25
	v_max_f32_e32 v9, v22, v22
	v_mul_f32_e32 v28, s3, v28
	v_cndmask_b32_e64 v28, 0, v28, s[6:7]
	v_fmac_f32_e32 v28, s11, v8
	v_cndmask_b32_e64 v8, 0, v28, s[0:1]
	ds_write_b32 v26, v8
	v_max_f32_e32 v8, v9, v28
	v_cndmask_b32_e64 v22, v22, v8, s[0:1]
	s_branch .LBB343_9
.LBB343_44:
	s_or_b64 exec, exec, s[14:15]
.LBB343_45:
	s_or_b64 exec, exec, s[38:39]
	v_xor_b32_e32 v1, 32, v12
	v_cmp_lt_i32_e32 vcc, v1, v13
	v_xor_b32_e32 v4, 16, v12
	v_max_f32_e32 v3, v22, v22
	v_cndmask_b32_e32 v1, v12, v1, vcc
	v_lshlrev_b32_e32 v2, 2, v1
	ds_bpermute_b32 v1, v2, v22
	v_cmp_lt_i32_e32 vcc, v4, v13
	v_xor_b32_e32 v5, 8, v12
	s_waitcnt lgkmcnt(0)
	v_max_f32_e32 v1, v1, v1
	v_max_f32_e32 v1, v3, v1
	v_cndmask_b32_e32 v3, v12, v4, vcc
	v_lshlrev_b32_e32 v3, 2, v3
	ds_bpermute_b32 v4, v3, v1
	v_cmp_lt_i32_e32 vcc, v5, v13
	s_waitcnt lgkmcnt(0)
	v_max_f32_e32 v4, v4, v4
	v_max_f32_e32 v1, v1, v4
	v_cndmask_b32_e32 v4, v12, v5, vcc
	v_lshlrev_b32_e32 v7, 2, v4
	ds_bpermute_b32 v4, v7, v1
	v_xor_b32_e32 v5, 4, v12
	v_cmp_lt_i32_e32 vcc, v5, v13
	s_waitcnt lgkmcnt(0)
	v_max_f32_e32 v4, v4, v4
	v_max_f32_e32 v4, v1, v4
	v_cndmask_b32_e32 v1, v12, v5, vcc
	v_lshlrev_b32_e32 v8, 2, v1
	ds_bpermute_b32 v6, v8, v4
	v_and_b32_e32 v1, 63, v0
	v_cmp_eq_u32_e32 vcc, 0, v1
	v_lshlrev_b32_e32 v5, 2, v16
	s_and_saveexec_b64 s[0:1], vcc
	s_cbranch_execz .LBB343_47
; %bb.46:
	s_waitcnt lgkmcnt(0)
	v_max_f32_e32 v6, v6, v6
	v_max_f32_e32 v4, v4, v4
	;; [unrolled: 1-line block ×3, first 2 shown]
	ds_write_b32 v5, v4 offset:64
.LBB343_47:
	s_or_b64 exec, exec, s[0:1]
	v_cmp_gt_u32_e64 s[0:1], 2, v1
	v_mov_b32_e32 v4, 0xff7fffff
	s_waitcnt lgkmcnt(0)
	v_lshlrev_b32_e32 v6, 2, v1
	s_barrier
	s_and_saveexec_b64 s[6:7], s[0:1]
	s_cbranch_execz .LBB343_49
; %bb.48:
	ds_read_b32 v4, v6 offset:64
.LBB343_49:
	s_or_b64 exec, exec, s[6:7]
	v_xor_b32_e32 v9, 1, v12
	v_cmp_lt_i32_e64 s[6:7], v9, v13
	s_sub_i32 s3, s33, s12
	s_lshl_b32 s3, s3, 4
	v_cndmask_b32_e64 v9, v12, v9, s[6:7]
	v_lshlrev_b32_e32 v18, 2, v9
	s_waitcnt lgkmcnt(0)
	ds_bpermute_b32 v9, v18, v4
	v_max_f32_e32 v4, v4, v4
	s_add_i32 s3, s3, s40
	s_min_i32 s38, s3, s29
	s_sub_i32 s3, s38, s40
	s_waitcnt lgkmcnt(0)
	v_max_f32_e32 v9, v9, v9
	v_max_f32_e32 v4, v4, v9
	v_lshlrev_b32_e32 v9, 2, v12
	v_and_b32_e32 v9, 0xffffff00, v9
	ds_bpermute_b32 v4, v9, v4
	v_cmp_gt_i32_e64 s[6:7], s3, v0
	v_mov_b32_e32 v14, 0
	s_and_saveexec_b64 s[14:15], s[6:7]
	s_cbranch_execz .LBB343_53
; %bb.50:
	v_mov_b32_e32 v14, 0x50
	v_lshl_add_u32 v15, v0, 2, v14
	s_mov_b64 s[16:17], 0
	v_mov_b32_e32 v14, 0
	v_mov_b32_e32 v17, v0
.LBB343_51:                             ; =>This Inner Loop Header: Depth=1
	ds_read_b32 v19, v15
	v_add_u32_e32 v17, 0x80, v17
	v_cmp_le_i32_e64 s[10:11], s3, v17
	s_or_b64 s[16:17], s[10:11], s[16:17]
	s_waitcnt lgkmcnt(0)
	v_sub_f32_e32 v19, v19, v4
	v_mul_f32_e32 v19, 0x3fb8aa3b, v19
	v_exp_f32_e32 v19, v19
	ds_write_b32 v15, v19
	v_add_f32_e32 v14, v14, v19
	v_add_u32_e32 v15, 0x200, v15
	s_andn2_b64 exec, exec, s[16:17]
	s_cbranch_execnz .LBB343_51
; %bb.52:
	s_or_b64 exec, exec, s[16:17]
.LBB343_53:
	s_or_b64 exec, exec, s[14:15]
	ds_bpermute_b32 v2, v2, v14
	s_waitcnt lgkmcnt(0)
	v_add_f32_e32 v2, v14, v2
	ds_bpermute_b32 v3, v3, v2
	s_waitcnt lgkmcnt(0)
	v_add_f32_e32 v2, v2, v3
	ds_bpermute_b32 v3, v7, v2
	v_xor_b32_e32 v7, 2, v12
	v_cmp_lt_i32_e64 s[10:11], v7, v13
	s_waitcnt lgkmcnt(0)
	v_add_f32_e32 v2, v2, v3
	ds_bpermute_b32 v3, v8, v2
	v_cndmask_b32_e64 v7, v12, v7, s[10:11]
	s_waitcnt lgkmcnt(0)
	v_add_f32_e32 v2, v2, v3
	v_lshlrev_b32_e32 v3, 2, v7
	ds_bpermute_b32 v3, v3, v2
	s_waitcnt lgkmcnt(0)
	v_add_f32_e32 v2, v2, v3
	ds_bpermute_b32 v3, v18, v2
	s_waitcnt lgkmcnt(0)
	v_add_f32_e32 v2, v2, v3
	s_and_saveexec_b64 s[10:11], vcc
	s_cbranch_execz .LBB343_55
; %bb.54:
	ds_write_b32 v5, v2 offset:72
.LBB343_55:
	s_or_b64 exec, exec, s[10:11]
	s_waitcnt lgkmcnt(0)
	s_barrier
	s_and_saveexec_b64 s[10:11], s[0:1]
	s_cbranch_execz .LBB343_57
; %bb.56:
	ds_read_b32 v2, v6 offset:72
.LBB343_57:
	s_or_b64 exec, exec, s[10:11]
	s_waitcnt lgkmcnt(0)
	ds_bpermute_b32 v3, v18, v2
	s_waitcnt lgkmcnt(0)
	v_add_f32_e32 v2, v2, v3
	ds_bpermute_b32 v5, v9, v2
	s_and_saveexec_b64 s[0:1], s[6:7]
	s_cbranch_execz .LBB343_70
; %bb.58:
	s_waitcnt lgkmcnt(0)
	v_add_f32_e32 v2, 0x358637bd, v5
	v_div_scale_f32 v3, s[6:7], v2, v2, 1.0
	v_rcp_f32_e32 v6, v3
	v_div_scale_f32 v7, vcc, 1.0, v2, 1.0
	s_movk_i32 s6, 0x7f
	v_fma_f32 v8, -v3, v6, 1.0
	v_fmac_f32_e32 v6, v8, v6
	v_mul_f32_e32 v8, v7, v6
	v_fma_f32 v9, -v3, v8, v7
	v_fmac_f32_e32 v8, v9, v6
	v_fma_f32 v3, -v3, v8, v7
	v_div_fmas_f32 v3, v3, v6, v8
	v_div_fixup_f32 v2, v3, v2, 1.0
	v_xad_u32 v3, v0, -1, s38
	v_subrev_u32_e32 v6, s40, v3
	v_cmp_lt_u32_e32 vcc, s6, v6
	s_mov_b64 s[10:11], -1
	v_mov_b32_e32 v3, v0
	s_and_saveexec_b64 s[6:7], vcc
	s_cbranch_execz .LBB343_67
; %bb.59:
	v_lshrrev_b32_e32 v6, 7, v6
	v_add_u32_e32 v8, -1, v6
	v_lshrrev_b32_e32 v7, 1, v8
	v_mov_b32_e32 v3, v2
	v_add_u32_e32 v7, 1, v7
	v_cmp_lt_u32_e32 vcc, 13, v8
	v_mov_b32_e32 v12, 0
	s_and_saveexec_b64 s[10:11], vcc
	s_cbranch_execz .LBB343_63
; %bb.60:
	v_mov_b32_e32 v9, 0x50
	v_and_b32_e32 v8, -8, v7
	v_lshl_add_u32 v9, v0, 2, v9
	s_mov_b32 s16, 0
	s_mov_b64 s[14:15], 0
.LBB343_61:                             ; =>This Inner Loop Header: Depth=1
	ds_read2st64_b32 v[12:13], v9 offset1:2
	ds_read2st64_b32 v[14:15], v9 offset0:4 offset1:6
	ds_read2st64_b32 v[20:21], v9 offset0:8 offset1:10
	;; [unrolled: 1-line block ×3, first 2 shown]
	v_add_u32_e32 v8, -8, v8
	s_waitcnt lgkmcnt(3)
	v_pk_mul_f32 v[12:13], v[2:3], v[12:13]
	s_waitcnt lgkmcnt(2)
	v_pk_mul_f32 v[14:15], v[2:3], v[14:15]
	ds_write2st64_b32 v9, v12, v13 offset1:2
	ds_write2st64_b32 v9, v14, v15 offset0:4 offset1:6
	ds_read2st64_b32 v[14:15], v9 offset0:16 offset1:18
	s_waitcnt lgkmcnt(4)
	v_pk_mul_f32 v[12:13], v[2:3], v[20:21]
	ds_write2st64_b32 v9, v12, v13 offset0:8 offset1:10
	s_waitcnt lgkmcnt(4)
	v_pk_mul_f32 v[12:13], v[2:3], v[22:23]
	ds_write2st64_b32 v9, v12, v13 offset0:12 offset1:14
	ds_read2st64_b32 v[12:13], v9 offset0:20 offset1:22
	s_waitcnt lgkmcnt(3)
	v_pk_mul_f32 v[14:15], v[2:3], v[14:15]
	ds_read2st64_b32 v[20:21], v9 offset0:24 offset1:26
	ds_write2st64_b32 v9, v14, v15 offset0:16 offset1:18
	ds_read2st64_b32 v[14:15], v9 offset0:28 offset1:30
	s_waitcnt lgkmcnt(3)
	v_pk_mul_f32 v[12:13], v[2:3], v[12:13]
	ds_write2st64_b32 v9, v12, v13 offset0:20 offset1:22
	s_waitcnt lgkmcnt(3)
	v_pk_mul_f32 v[12:13], v[2:3], v[20:21]
	ds_write2st64_b32 v9, v12, v13 offset0:24 offset1:26
	s_waitcnt lgkmcnt(2)
	v_pk_mul_f32 v[12:13], v[2:3], v[14:15]
	s_add_i32 s16, s16, 16
	v_cmp_eq_u32_e32 vcc, 0, v8
	ds_write2st64_b32 v9, v12, v13 offset0:28 offset1:30
	v_add_u32_e32 v9, 0x2000, v9
	s_or_b64 s[14:15], vcc, s[14:15]
	v_mov_b32_e32 v12, s16
	s_andn2_b64 exec, exec, s[14:15]
	s_cbranch_execnz .LBB343_61
; %bb.62:
	s_or_b64 exec, exec, s[14:15]
.LBB343_63:
	s_or_b64 exec, exec, s[10:11]
	v_and_b32_e32 v7, 7, v7
	v_cmp_ne_u32_e32 vcc, 0, v7
	s_and_saveexec_b64 s[10:11], vcc
	s_cbranch_execz .LBB343_66
; %bb.64:
	v_lshlrev_b32_e32 v8, 9, v12
	v_lshlrev_b32_e32 v9, 2, v0
	s_movk_i32 s14, 0x50
	v_add3_u32 v8, v8, v9, s14
	s_mov_b64 s[14:15], 0
.LBB343_65:                             ; =>This Inner Loop Header: Depth=1
	ds_read2st64_b32 v[12:13], v8 offset1:2
	v_add_u32_e32 v7, -1, v7
	v_cmp_eq_u32_e32 vcc, 0, v7
	s_or_b64 s[14:15], vcc, s[14:15]
	s_waitcnt lgkmcnt(0)
	v_pk_mul_f32 v[12:13], v[2:3], v[12:13]
	ds_write2st64_b32 v8, v12, v13 offset1:2
	v_add_u32_e32 v8, 0x400, v8
	s_andn2_b64 exec, exec, s[14:15]
	s_cbranch_execnz .LBB343_65
.LBB343_66:
	s_or_b64 exec, exec, s[10:11]
	v_add_u32_e32 v6, 1, v6
	v_and_b32_e32 v7, 0x3fffffe, v6
	v_cmp_ne_u32_e32 vcc, v6, v7
	v_lshl_add_u32 v3, v7, 7, v0
	s_orn2_b64 s[10:11], vcc, exec
.LBB343_67:
	s_or_b64 exec, exec, s[6:7]
	s_and_b64 exec, exec, s[10:11]
	s_cbranch_execz .LBB343_70
; %bb.68:
	v_mov_b32_e32 v6, 0x50
	v_lshl_add_u32 v6, v3, 2, v6
	s_mov_b64 s[6:7], 0
.LBB343_69:                             ; =>This Inner Loop Header: Depth=1
	ds_read_b32 v7, v6
	v_add_u32_e32 v3, 0x80, v3
	v_cmp_le_i32_e32 vcc, s3, v3
	s_or_b64 s[6:7], vcc, s[6:7]
	s_waitcnt lgkmcnt(0)
	v_mul_f32_e32 v7, v2, v7
	ds_write_b32 v6, v7
	v_add_u32_e32 v6, 0x200, v6
	s_andn2_b64 exec, exec, s[6:7]
	s_cbranch_execnz .LBB343_69
.LBB343_70:
	s_or_b64 exec, exec, s[0:1]
	s_mul_i32 s0, s25, s28
	v_cmp_eq_u32_e32 vcc, 0, v0
	s_mul_i32 s0, s0, s5
	s_waitcnt lgkmcnt(0)
	s_barrier
	s_and_saveexec_b64 s[6:7], vcc
	s_cbranch_execz .LBB343_72
; %bb.71:
	s_ashr_i32 s1, s0, 31
	s_lshl_b64 s[10:11], s[0:1], 2
	s_add_u32 s1, s22, s10
	s_mul_i32 s2, s25, s2
	s_addc_u32 s5, s23, s11
	s_ashr_i32 s3, s2, 31
	s_lshl_b64 s[2:3], s[2:3], 2
	s_add_u32 s1, s1, s2
	s_addc_u32 s15, s5, s3
	s_ashr_i32 s5, s4, 31
	s_lshl_b64 s[4:5], s[4:5], 2
	s_add_u32 s14, s1, s4
	s_addc_u32 s15, s15, s5
	s_add_u32 s1, s20, s10
	s_addc_u32 s10, s21, s11
	;; [unrolled: 2-line block ×3, first 2 shown]
	s_add_u32 s2, s1, s4
	v_mov_b32_e32 v2, 0
	s_addc_u32 s3, s3, s5
	global_store_dword v2, v4, s[14:15]
	global_store_dword v2, v5, s[2:3]
.LBB343_72:
	s_or_b64 exec, exec, s[6:7]
	v_mov_b32_e32 v12, 0
	s_and_saveexec_b64 s[2:3], s[8:9]
	s_cbranch_execz .LBB343_174
; %bb.73:
	s_ashr_i32 s5, s42, 31
	v_lshlrev_b32_e32 v2, 3, v0
	s_add_u32 s4, s36, s42
	v_and_b32_e32 v3, 8, v2
	s_addc_u32 s5, s37, s5
	v_and_b32_e32 v12, 0x1f8, v2
	v_mov_b32_e32 v13, 0
	s_load_dword s8, s[18:19], 0x0
	v_lshl_add_u32 v2, v16, 4, s40
	v_lshl_add_u64 v[14:15], s[4:5], 0, v[12:13]
	s_add_i32 s41, s41, -1
	v_add3_u32 v19, v2, v3, 7
	v_and_b32_e32 v2, 1, v0
	s_lshl_b64 s[4:5], s[34:35], 2
	v_lshlrev_b32_e32 v2, 5, v2
	s_add_u32 s4, s30, s4
	v_lshl_or_b32 v2, v16, 6, v2
	s_addc_u32 s5, s31, s5
	s_mov_b32 s1, s13
	v_add_u32_e32 v20, 0x50, v2
	v_lshl_add_u64 v[16:17], v[10:11], 2, s[4:5]
	s_mov_b64 s[4:5], 0
	s_mov_b32 s9, 0x7f800000
	s_movk_i32 s10, 0x7fff
	v_mov_b32_e32 v12, 0
	s_branch .LBB343_75
.LBB343_74:                             ;   in Loop: Header=BB343_75 Depth=1
	s_or_b64 exec, exec, s[6:7]
	v_and_b32_e32 v7, 0xffff0000, v6
	v_and_b32_e32 v6, 0xffff0000, v8
	;; [unrolled: 1-line block ×8, first 2 shown]
	v_pk_add_f32 v[2:3], v[4:5], v[8:9]
	v_add_u32_e32 v10, 2, v10
	v_mov_b32_e32 v4, v3
	v_pk_add_f32 v[2:3], v[2:3], v[4:5]
	v_pk_add_f32 v[4:5], v[22:23], v[6:7]
	v_cmp_le_i32_e32 vcc, s33, v10
	v_pk_add_f32 v[2:3], v[2:3], v[4:5]
	v_mov_b32_e32 v4, v5
	v_pk_add_f32 v[2:3], v[2:3], v[4:5]
	v_add_u32_e32 v19, 32, v19
	v_add_f32_e32 v12, v12, v2
	v_add_u32_e32 v20, 0x80, v20
	s_or_b64 s[4:5], vcc, s[4:5]
	v_lshl_add_u64 v[16:17], v[16:17], 0, 8
	s_andn2_b64 exec, exec, s[4:5]
	s_cbranch_execz .LBB343_173
.LBB343_75:                             ; =>This Inner Loop Header: Depth=1
	global_load_dword v24, v[16:17], off
	ds_read2_b64 v[6:9], v20 offset1:1
	ds_read2_b64 v[2:5], v20 offset0:2 offset1:3
                                        ; implicit-def: $vgpr23
	s_waitcnt lgkmcnt(0)
	v_and_b32_e32 v11, 0x7f800000, v6
	v_cmp_ne_u32_e32 vcc, s9, v11
	s_and_saveexec_b64 s[6:7], vcc
	s_xor_b64 s[6:7], exec, s[6:7]
; %bb.76:                               ;   in Loop: Header=BB343_75 Depth=1
	v_bfe_u32 v11, v6, 16, 1
	v_add3_u32 v23, v6, v11, s10
; %bb.77:                               ;   in Loop: Header=BB343_75 Depth=1
	s_andn2_saveexec_b64 s[6:7], s[6:7]
; %bb.78:                               ;   in Loop: Header=BB343_75 Depth=1
	v_or_b32_e32 v11, 0x10000, v6
	v_cmp_eq_u32_sdwa vcc, v6, v13 src0_sel:WORD_0 src1_sel:DWORD
	s_nop 1
	v_cndmask_b32_e32 v23, v11, v6, vcc
; %bb.79:                               ;   in Loop: Header=BB343_75 Depth=1
	s_or_b64 exec, exec, s[6:7]
	v_and_b32_e32 v6, 0x7f800000, v7
	v_cmp_ne_u32_e32 vcc, s9, v6
                                        ; implicit-def: $vgpr22
	s_and_saveexec_b64 s[6:7], vcc
	s_xor_b64 s[6:7], exec, s[6:7]
; %bb.80:                               ;   in Loop: Header=BB343_75 Depth=1
	v_bfe_u32 v6, v7, 16, 1
	v_add3_u32 v22, v7, v6, s10
; %bb.81:                               ;   in Loop: Header=BB343_75 Depth=1
	s_andn2_saveexec_b64 s[6:7], s[6:7]
; %bb.82:                               ;   in Loop: Header=BB343_75 Depth=1
	v_or_b32_e32 v6, 0x10000, v7
	v_cmp_eq_u32_sdwa vcc, v7, v13 src0_sel:WORD_0 src1_sel:DWORD
	s_nop 1
	v_cndmask_b32_e32 v22, v6, v7, vcc
; %bb.83:                               ;   in Loop: Header=BB343_75 Depth=1
	s_or_b64 exec, exec, s[6:7]
	v_and_b32_e32 v6, 0x7f800000, v8
	v_cmp_ne_u32_e32 vcc, s9, v6
                                        ; implicit-def: $vgpr21
	s_and_saveexec_b64 s[6:7], vcc
	s_xor_b64 s[6:7], exec, s[6:7]
; %bb.84:                               ;   in Loop: Header=BB343_75 Depth=1
	v_bfe_u32 v6, v8, 16, 1
	v_add3_u32 v21, v8, v6, s10
; %bb.85:                               ;   in Loop: Header=BB343_75 Depth=1
	s_andn2_saveexec_b64 s[6:7], s[6:7]
; %bb.86:                               ;   in Loop: Header=BB343_75 Depth=1
	v_or_b32_e32 v6, 0x10000, v8
	v_cmp_eq_u32_sdwa vcc, v8, v13 src0_sel:WORD_0 src1_sel:DWORD
	s_nop 1
	v_cndmask_b32_e32 v21, v6, v8, vcc
; %bb.87:                               ;   in Loop: Header=BB343_75 Depth=1
	s_or_b64 exec, exec, s[6:7]
	v_and_b32_e32 v6, 0x7f800000, v9
	v_cmp_ne_u32_e32 vcc, s9, v6
                                        ; implicit-def: $vgpr11
	s_and_saveexec_b64 s[6:7], vcc
	s_xor_b64 s[6:7], exec, s[6:7]
; %bb.88:                               ;   in Loop: Header=BB343_75 Depth=1
	v_bfe_u32 v6, v9, 16, 1
	v_add3_u32 v11, v9, v6, s10
                                        ; implicit-def: $vgpr6_vgpr7_vgpr8_vgpr9
; %bb.89:                               ;   in Loop: Header=BB343_75 Depth=1
	s_andn2_saveexec_b64 s[6:7], s[6:7]
; %bb.90:                               ;   in Loop: Header=BB343_75 Depth=1
	v_or_b32_e32 v6, 0x10000, v9
	v_cmp_eq_u32_sdwa vcc, v9, v13 src0_sel:WORD_0 src1_sel:DWORD
	s_nop 1
	v_cndmask_b32_e32 v11, v6, v9, vcc
; %bb.91:                               ;   in Loop: Header=BB343_75 Depth=1
	s_or_b64 exec, exec, s[6:7]
	v_and_b32_e32 v6, 0x7f800000, v2
	v_cmp_ne_u32_e32 vcc, s9, v6
                                        ; implicit-def: $vgpr9
	s_and_saveexec_b64 s[6:7], vcc
	s_xor_b64 s[6:7], exec, s[6:7]
; %bb.92:                               ;   in Loop: Header=BB343_75 Depth=1
	v_bfe_u32 v6, v2, 16, 1
	v_add3_u32 v9, v2, v6, s10
; %bb.93:                               ;   in Loop: Header=BB343_75 Depth=1
	s_andn2_saveexec_b64 s[6:7], s[6:7]
; %bb.94:                               ;   in Loop: Header=BB343_75 Depth=1
	v_or_b32_e32 v6, 0x10000, v2
	v_cmp_eq_u32_sdwa vcc, v2, v13 src0_sel:WORD_0 src1_sel:DWORD
	s_nop 1
	v_cndmask_b32_e32 v9, v6, v2, vcc
; %bb.95:                               ;   in Loop: Header=BB343_75 Depth=1
	s_or_b64 exec, exec, s[6:7]
	v_and_b32_e32 v2, 0x7f800000, v3
	v_cmp_ne_u32_e32 vcc, s9, v2
                                        ; implicit-def: $vgpr8
	s_and_saveexec_b64 s[6:7], vcc
	s_xor_b64 s[6:7], exec, s[6:7]
; %bb.96:                               ;   in Loop: Header=BB343_75 Depth=1
	v_bfe_u32 v2, v3, 16, 1
	v_add3_u32 v8, v3, v2, s10
; %bb.97:                               ;   in Loop: Header=BB343_75 Depth=1
	s_andn2_saveexec_b64 s[6:7], s[6:7]
; %bb.98:                               ;   in Loop: Header=BB343_75 Depth=1
	v_or_b32_e32 v2, 0x10000, v3
	v_cmp_eq_u32_sdwa vcc, v3, v13 src0_sel:WORD_0 src1_sel:DWORD
	s_nop 1
	v_cndmask_b32_e32 v8, v2, v3, vcc
; %bb.99:                               ;   in Loop: Header=BB343_75 Depth=1
	s_or_b64 exec, exec, s[6:7]
	v_and_b32_e32 v2, 0x7f800000, v4
	v_cmp_ne_u32_e32 vcc, s9, v2
                                        ; implicit-def: $vgpr7
	s_and_saveexec_b64 s[6:7], vcc
	s_xor_b64 s[6:7], exec, s[6:7]
; %bb.100:                              ;   in Loop: Header=BB343_75 Depth=1
	v_bfe_u32 v2, v4, 16, 1
	v_add3_u32 v7, v4, v2, s10
; %bb.101:                              ;   in Loop: Header=BB343_75 Depth=1
	s_andn2_saveexec_b64 s[6:7], s[6:7]
; %bb.102:                              ;   in Loop: Header=BB343_75 Depth=1
	v_or_b32_e32 v2, 0x10000, v4
	v_cmp_eq_u32_sdwa vcc, v4, v13 src0_sel:WORD_0 src1_sel:DWORD
	s_nop 1
	v_cndmask_b32_e32 v7, v2, v4, vcc
; %bb.103:                              ;   in Loop: Header=BB343_75 Depth=1
	s_or_b64 exec, exec, s[6:7]
	v_and_b32_e32 v2, 0x7f800000, v5
	v_cmp_ne_u32_e32 vcc, s9, v2
                                        ; implicit-def: $vgpr6
	s_and_saveexec_b64 s[6:7], vcc
	s_xor_b64 s[6:7], exec, s[6:7]
; %bb.104:                              ;   in Loop: Header=BB343_75 Depth=1
	v_bfe_u32 v2, v5, 16, 1
	v_add3_u32 v6, v5, v2, s10
                                        ; implicit-def: $vgpr2_vgpr3_vgpr4_vgpr5
; %bb.105:                              ;   in Loop: Header=BB343_75 Depth=1
	s_andn2_saveexec_b64 s[6:7], s[6:7]
; %bb.106:                              ;   in Loop: Header=BB343_75 Depth=1
	v_or_b32_e32 v2, 0x10000, v5
	v_cmp_eq_u32_sdwa vcc, v5, v13 src0_sel:WORD_0 src1_sel:DWORD
	s_nop 1
	v_cndmask_b32_e32 v6, v2, v5, vcc
; %bb.107:                              ;   in Loop: Header=BB343_75 Depth=1
	s_or_b64 exec, exec, s[6:7]
	s_waitcnt vmcnt(0)
	v_mad_i64_i32 v[2:3], s[6:7], v24, s1, v[14:15]
	global_load_dwordx2 v[2:3], v[2:3], off
	s_waitcnt vmcnt(0)
	v_and_b32_e32 v4, 0xff, v2
	v_cvt_f32_fp8_sdwa v4, v4 src0_sel:BYTE_0
	s_nop 0
	v_mul_f32_e32 v5, s8, v4
	v_and_b32_e32 v4, 0x7f800000, v5
	v_cmp_ne_u32_e32 vcc, s9, v4
                                        ; implicit-def: $vgpr4
	s_and_saveexec_b64 s[6:7], vcc
	s_xor_b64 s[6:7], exec, s[6:7]
; %bb.108:                              ;   in Loop: Header=BB343_75 Depth=1
	v_bfe_u32 v4, v5, 16, 1
	v_add3_u32 v4, v5, v4, s10
                                        ; implicit-def: $vgpr5
; %bb.109:                              ;   in Loop: Header=BB343_75 Depth=1
	s_andn2_saveexec_b64 s[6:7], s[6:7]
; %bb.110:                              ;   in Loop: Header=BB343_75 Depth=1
	v_or_b32_e32 v4, 0x10000, v5
	v_cmp_eq_u32_sdwa vcc, v5, v13 src0_sel:WORD_0 src1_sel:DWORD
	s_nop 1
	v_cndmask_b32_e32 v4, v4, v5, vcc
; %bb.111:                              ;   in Loop: Header=BB343_75 Depth=1
	s_or_b64 exec, exec, s[6:7]
	v_bfe_u32 v5, v2, 8, 8
	v_cvt_f32_fp8_sdwa v5, v5 src0_sel:BYTE_0
	s_nop 0
	v_mul_f32_e32 v24, s8, v5
	v_and_b32_e32 v5, 0x7f800000, v24
	v_cmp_ne_u32_e32 vcc, s9, v5
                                        ; implicit-def: $vgpr5
	s_and_saveexec_b64 s[6:7], vcc
	s_xor_b64 s[6:7], exec, s[6:7]
; %bb.112:                              ;   in Loop: Header=BB343_75 Depth=1
	v_bfe_u32 v5, v24, 16, 1
	v_add3_u32 v5, v24, v5, s10
                                        ; implicit-def: $vgpr24
; %bb.113:                              ;   in Loop: Header=BB343_75 Depth=1
	s_andn2_saveexec_b64 s[6:7], s[6:7]
; %bb.114:                              ;   in Loop: Header=BB343_75 Depth=1
	v_or_b32_e32 v5, 0x10000, v24
	v_cmp_eq_u32_sdwa vcc, v24, v13 src0_sel:WORD_0 src1_sel:DWORD
	s_nop 1
	v_cndmask_b32_e32 v5, v5, v24, vcc
; %bb.115:                              ;   in Loop: Header=BB343_75 Depth=1
	s_or_b64 exec, exec, s[6:7]
	v_bfe_u32 v24, v2, 16, 8
	v_cvt_f32_fp8_sdwa v24, v24 src0_sel:BYTE_0
                                        ; implicit-def: $vgpr26
	s_nop 0
	v_mul_f32_e32 v24, s8, v24
	v_and_b32_e32 v25, 0x7f800000, v24
	v_cmp_ne_u32_e32 vcc, s9, v25
	s_and_saveexec_b64 s[6:7], vcc
	s_xor_b64 s[6:7], exec, s[6:7]
; %bb.116:                              ;   in Loop: Header=BB343_75 Depth=1
	v_bfe_u32 v25, v24, 16, 1
	v_add3_u32 v26, v24, v25, s10
                                        ; implicit-def: $vgpr24
; %bb.117:                              ;   in Loop: Header=BB343_75 Depth=1
	s_andn2_saveexec_b64 s[6:7], s[6:7]
; %bb.118:                              ;   in Loop: Header=BB343_75 Depth=1
	v_or_b32_e32 v25, 0x10000, v24
	v_cmp_eq_u32_sdwa vcc, v24, v13 src0_sel:WORD_0 src1_sel:DWORD
	s_nop 1
	v_cndmask_b32_e32 v26, v25, v24, vcc
; %bb.119:                              ;   in Loop: Header=BB343_75 Depth=1
	s_or_b64 exec, exec, s[6:7]
	v_lshrrev_b32_e32 v2, 24, v2
	v_cvt_f32_fp8_sdwa v2, v2 src0_sel:BYTE_0
	s_nop 0
	v_mul_f32_e32 v24, s8, v2
	v_and_b32_e32 v2, 0x7f800000, v24
	v_cmp_ne_u32_e32 vcc, s9, v2
                                        ; implicit-def: $vgpr2
	s_and_saveexec_b64 s[6:7], vcc
	s_xor_b64 s[6:7], exec, s[6:7]
; %bb.120:                              ;   in Loop: Header=BB343_75 Depth=1
	v_bfe_u32 v2, v24, 16, 1
	v_add3_u32 v2, v24, v2, s10
                                        ; implicit-def: $vgpr24
; %bb.121:                              ;   in Loop: Header=BB343_75 Depth=1
	s_andn2_saveexec_b64 s[6:7], s[6:7]
; %bb.122:                              ;   in Loop: Header=BB343_75 Depth=1
	v_or_b32_e32 v2, 0x10000, v24
	v_cmp_eq_u32_sdwa vcc, v24, v13 src0_sel:WORD_0 src1_sel:DWORD
	s_nop 1
	v_cndmask_b32_e32 v2, v2, v24, vcc
; %bb.123:                              ;   in Loop: Header=BB343_75 Depth=1
	s_or_b64 exec, exec, s[6:7]
	v_and_b32_e32 v24, 0xff, v3
	v_cvt_f32_fp8_sdwa v24, v24 src0_sel:BYTE_0
	s_nop 0
	v_mul_f32_e32 v24, s8, v24
	v_and_b32_e32 v25, 0x7f800000, v24
	v_cmp_ne_u32_e32 vcc, s9, v25
                                        ; implicit-def: $vgpr25
	s_and_saveexec_b64 s[6:7], vcc
	s_xor_b64 s[6:7], exec, s[6:7]
; %bb.124:                              ;   in Loop: Header=BB343_75 Depth=1
	v_bfe_u32 v25, v24, 16, 1
	v_add3_u32 v25, v24, v25, s10
                                        ; implicit-def: $vgpr24
; %bb.125:                              ;   in Loop: Header=BB343_75 Depth=1
	s_andn2_saveexec_b64 s[6:7], s[6:7]
; %bb.126:                              ;   in Loop: Header=BB343_75 Depth=1
	v_or_b32_e32 v25, 0x10000, v24
	v_cmp_eq_u32_sdwa vcc, v24, v13 src0_sel:WORD_0 src1_sel:DWORD
	s_nop 1
	v_cndmask_b32_e32 v25, v25, v24, vcc
; %bb.127:                              ;   in Loop: Header=BB343_75 Depth=1
	s_or_b64 exec, exec, s[6:7]
	v_bfe_u32 v24, v3, 8, 8
	v_cvt_f32_fp8_sdwa v24, v24 src0_sel:BYTE_0
	s_nop 0
	v_mul_f32_e32 v27, s8, v24
	v_and_b32_e32 v24, 0x7f800000, v27
	v_cmp_ne_u32_e32 vcc, s9, v24
                                        ; implicit-def: $vgpr24
	s_and_saveexec_b64 s[6:7], vcc
	s_xor_b64 s[6:7], exec, s[6:7]
; %bb.128:                              ;   in Loop: Header=BB343_75 Depth=1
	v_bfe_u32 v24, v27, 16, 1
	v_add3_u32 v24, v27, v24, s10
                                        ; implicit-def: $vgpr27
; %bb.129:                              ;   in Loop: Header=BB343_75 Depth=1
	s_andn2_saveexec_b64 s[6:7], s[6:7]
; %bb.130:                              ;   in Loop: Header=BB343_75 Depth=1
	v_or_b32_e32 v24, 0x10000, v27
	v_cmp_eq_u32_sdwa vcc, v27, v13 src0_sel:WORD_0 src1_sel:DWORD
	s_nop 1
	v_cndmask_b32_e32 v24, v24, v27, vcc
; %bb.131:                              ;   in Loop: Header=BB343_75 Depth=1
	s_or_b64 exec, exec, s[6:7]
	v_bfe_u32 v27, v3, 16, 8
	v_cvt_f32_fp8_sdwa v27, v27 src0_sel:BYTE_0
	s_nop 0
	v_mul_f32_e32 v27, s8, v27
	v_and_b32_e32 v28, 0x7f800000, v27
	v_cmp_ne_u32_e32 vcc, s9, v28
                                        ; implicit-def: $vgpr28
	s_and_saveexec_b64 s[6:7], vcc
	s_xor_b64 s[6:7], exec, s[6:7]
; %bb.132:                              ;   in Loop: Header=BB343_75 Depth=1
	v_bfe_u32 v28, v27, 16, 1
	v_add3_u32 v28, v27, v28, s10
                                        ; implicit-def: $vgpr27
; %bb.133:                              ;   in Loop: Header=BB343_75 Depth=1
	s_andn2_saveexec_b64 s[6:7], s[6:7]
; %bb.134:                              ;   in Loop: Header=BB343_75 Depth=1
	v_or_b32_e32 v28, 0x10000, v27
	v_cmp_eq_u32_sdwa vcc, v27, v13 src0_sel:WORD_0 src1_sel:DWORD
	s_nop 1
	v_cndmask_b32_e32 v28, v28, v27, vcc
; %bb.135:                              ;   in Loop: Header=BB343_75 Depth=1
	s_or_b64 exec, exec, s[6:7]
	v_lshrrev_b32_e32 v3, 24, v3
	v_cvt_f32_fp8_sdwa v3, v3 src0_sel:BYTE_0
                                        ; implicit-def: $vgpr29
	s_nop 0
	v_mul_f32_e32 v3, s8, v3
	v_and_b32_e32 v27, 0x7f800000, v3
	v_cmp_ne_u32_e32 vcc, s9, v27
	s_and_saveexec_b64 s[6:7], vcc
	s_xor_b64 s[6:7], exec, s[6:7]
; %bb.136:                              ;   in Loop: Header=BB343_75 Depth=1
	v_bfe_u32 v27, v3, 16, 1
	v_add3_u32 v29, v3, v27, s10
                                        ; implicit-def: $vgpr3
; %bb.137:                              ;   in Loop: Header=BB343_75 Depth=1
	s_andn2_saveexec_b64 s[6:7], s[6:7]
; %bb.138:                              ;   in Loop: Header=BB343_75 Depth=1
	v_or_b32_e32 v27, 0x10000, v3
	v_cmp_eq_u32_sdwa vcc, v3, v13 src0_sel:WORD_0 src1_sel:DWORD
	s_nop 1
	v_cndmask_b32_e32 v29, v27, v3, vcc
; %bb.139:                              ;   in Loop: Header=BB343_75 Depth=1
	s_or_b64 exec, exec, s[6:7]
	v_lshrrev_b32_e32 v24, 16, v24
	v_lshrrev_b32_e32 v25, 16, v25
	;; [unrolled: 1-line block ×8, first 2 shown]
	v_cmp_eq_u32_e32 vcc, s41, v10
	s_and_saveexec_b64 s[6:7], vcc
	s_cbranch_execz .LBB343_141
; %bb.140:                              ;   in Loop: Header=BB343_75 Depth=1
	v_add_u32_e32 v28, -7, v19
	v_cmp_gt_i32_e32 vcc, s29, v28
	v_add_u32_e32 v28, -6, v19
	s_nop 0
	v_cndmask_b32_e32 v3, 0, v3, vcc
	v_cmp_gt_i32_e32 vcc, s29, v28
	v_add_u32_e32 v28, -5, v19
	s_nop 0
	v_cndmask_b32_e32 v5, 0, v5, vcc
	;; [unrolled: 4-line block ×6, first 2 shown]
	v_cmp_gt_i32_e32 vcc, s29, v28
	s_nop 1
	v_cndmask_b32_e32 v4, 0, v4, vcc
	v_cmp_gt_i32_e32 vcc, s29, v19
	s_nop 1
	v_cndmask_b32_e32 v2, 0, v2, vcc
.LBB343_141:                            ;   in Loop: Header=BB343_75 Depth=1
	s_or_b64 exec, exec, s[6:7]
	v_and_b32_e32 v23, 0xffff0000, v23
	v_lshlrev_b32_e32 v3, 16, v3
	v_mul_f32_e32 v23, v23, v3
	v_and_b32_e32 v3, 0x7f800000, v23
	v_cmp_ne_u32_e32 vcc, s9, v3
                                        ; implicit-def: $vgpr3
	s_and_saveexec_b64 s[6:7], vcc
	s_xor_b64 s[6:7], exec, s[6:7]
; %bb.142:                              ;   in Loop: Header=BB343_75 Depth=1
	v_bfe_u32 v3, v23, 16, 1
	v_add3_u32 v3, v23, v3, s10
                                        ; implicit-def: $vgpr23
; %bb.143:                              ;   in Loop: Header=BB343_75 Depth=1
	s_andn2_saveexec_b64 s[6:7], s[6:7]
; %bb.144:                              ;   in Loop: Header=BB343_75 Depth=1
	v_or_b32_e32 v3, 0x10000, v23
	v_cmp_eq_u32_sdwa vcc, v23, v13 src0_sel:WORD_0 src1_sel:DWORD
	s_nop 1
	v_cndmask_b32_e32 v3, v3, v23, vcc
; %bb.145:                              ;   in Loop: Header=BB343_75 Depth=1
	s_or_b64 exec, exec, s[6:7]
	v_and_b32_e32 v22, 0xffff0000, v22
	v_lshlrev_b32_e32 v5, 16, v5
	v_mul_f32_e32 v22, v22, v5
	v_and_b32_e32 v5, 0x7f800000, v22
	v_cmp_ne_u32_e32 vcc, s9, v5
                                        ; implicit-def: $vgpr5
	s_and_saveexec_b64 s[6:7], vcc
	s_xor_b64 s[6:7], exec, s[6:7]
; %bb.146:                              ;   in Loop: Header=BB343_75 Depth=1
	v_bfe_u32 v5, v22, 16, 1
	v_add3_u32 v5, v22, v5, s10
                                        ; implicit-def: $vgpr22
; %bb.147:                              ;   in Loop: Header=BB343_75 Depth=1
	s_andn2_saveexec_b64 s[6:7], s[6:7]
; %bb.148:                              ;   in Loop: Header=BB343_75 Depth=1
	v_or_b32_e32 v5, 0x10000, v22
	v_cmp_eq_u32_sdwa vcc, v22, v13 src0_sel:WORD_0 src1_sel:DWORD
	s_nop 1
	v_cndmask_b32_e32 v5, v5, v22, vcc
; %bb.149:                              ;   in Loop: Header=BB343_75 Depth=1
	s_or_b64 exec, exec, s[6:7]
	v_and_b32_e32 v21, 0xffff0000, v21
	v_lshlrev_b32_e32 v22, 16, v26
	v_mul_f32_e32 v22, v21, v22
	v_and_b32_e32 v21, 0x7f800000, v22
	v_cmp_ne_u32_e32 vcc, s9, v21
                                        ; implicit-def: $vgpr21
	s_and_saveexec_b64 s[6:7], vcc
	s_xor_b64 s[6:7], exec, s[6:7]
; %bb.150:                              ;   in Loop: Header=BB343_75 Depth=1
	v_bfe_u32 v21, v22, 16, 1
	v_add3_u32 v21, v22, v21, s10
                                        ; implicit-def: $vgpr22
; %bb.151:                              ;   in Loop: Header=BB343_75 Depth=1
	s_andn2_saveexec_b64 s[6:7], s[6:7]
; %bb.152:                              ;   in Loop: Header=BB343_75 Depth=1
	v_or_b32_e32 v21, 0x10000, v22
	v_cmp_eq_u32_sdwa vcc, v22, v13 src0_sel:WORD_0 src1_sel:DWORD
	s_nop 1
	v_cndmask_b32_e32 v21, v21, v22, vcc
; %bb.153:                              ;   in Loop: Header=BB343_75 Depth=1
	s_or_b64 exec, exec, s[6:7]
	v_and_b32_e32 v11, 0xffff0000, v11
	v_lshlrev_b32_e32 v22, 16, v27
	v_mul_f32_e32 v22, v11, v22
	v_and_b32_e32 v11, 0x7f800000, v22
	v_cmp_ne_u32_e32 vcc, s9, v11
                                        ; implicit-def: $vgpr11
	s_and_saveexec_b64 s[6:7], vcc
	s_xor_b64 s[6:7], exec, s[6:7]
; %bb.154:                              ;   in Loop: Header=BB343_75 Depth=1
	v_bfe_u32 v11, v22, 16, 1
	v_add3_u32 v11, v22, v11, s10
                                        ; implicit-def: $vgpr22
; %bb.155:                              ;   in Loop: Header=BB343_75 Depth=1
	s_andn2_saveexec_b64 s[6:7], s[6:7]
; %bb.156:                              ;   in Loop: Header=BB343_75 Depth=1
	v_or_b32_e32 v11, 0x10000, v22
	v_cmp_eq_u32_sdwa vcc, v22, v13 src0_sel:WORD_0 src1_sel:DWORD
	s_nop 1
	v_cndmask_b32_e32 v11, v11, v22, vcc
; %bb.157:                              ;   in Loop: Header=BB343_75 Depth=1
	s_or_b64 exec, exec, s[6:7]
	v_and_b32_e32 v9, 0xffff0000, v9
	v_lshlrev_b32_e32 v22, 16, v25
	v_mul_f32_e32 v22, v9, v22
	v_and_b32_e32 v9, 0x7f800000, v22
	v_cmp_ne_u32_e32 vcc, s9, v9
                                        ; implicit-def: $vgpr9
	s_and_saveexec_b64 s[6:7], vcc
	s_xor_b64 s[6:7], exec, s[6:7]
; %bb.158:                              ;   in Loop: Header=BB343_75 Depth=1
	v_bfe_u32 v9, v22, 16, 1
	v_add3_u32 v9, v22, v9, s10
                                        ; implicit-def: $vgpr22
; %bb.159:                              ;   in Loop: Header=BB343_75 Depth=1
	s_andn2_saveexec_b64 s[6:7], s[6:7]
; %bb.160:                              ;   in Loop: Header=BB343_75 Depth=1
	v_or_b32_e32 v9, 0x10000, v22
	v_cmp_eq_u32_sdwa vcc, v22, v13 src0_sel:WORD_0 src1_sel:DWORD
	s_nop 1
	v_cndmask_b32_e32 v9, v9, v22, vcc
; %bb.161:                              ;   in Loop: Header=BB343_75 Depth=1
	s_or_b64 exec, exec, s[6:7]
	v_and_b32_e32 v8, 0xffff0000, v8
	v_lshlrev_b32_e32 v22, 16, v24
	v_mul_f32_e32 v22, v8, v22
	v_and_b32_e32 v8, 0x7f800000, v22
	v_cmp_ne_u32_e32 vcc, s9, v8
                                        ; implicit-def: $vgpr8
	s_and_saveexec_b64 s[6:7], vcc
	s_xor_b64 s[6:7], exec, s[6:7]
; %bb.162:                              ;   in Loop: Header=BB343_75 Depth=1
	v_bfe_u32 v8, v22, 16, 1
	v_add3_u32 v8, v22, v8, s10
                                        ; implicit-def: $vgpr22
; %bb.163:                              ;   in Loop: Header=BB343_75 Depth=1
	s_andn2_saveexec_b64 s[6:7], s[6:7]
; %bb.164:                              ;   in Loop: Header=BB343_75 Depth=1
	v_or_b32_e32 v8, 0x10000, v22
	v_cmp_eq_u32_sdwa vcc, v22, v13 src0_sel:WORD_0 src1_sel:DWORD
	s_nop 1
	v_cndmask_b32_e32 v8, v8, v22, vcc
; %bb.165:                              ;   in Loop: Header=BB343_75 Depth=1
	s_or_b64 exec, exec, s[6:7]
	v_and_b32_e32 v7, 0xffff0000, v7
	v_lshlrev_b32_e32 v4, 16, v4
	v_mul_f32_e32 v7, v7, v4
	v_and_b32_e32 v4, 0x7f800000, v7
	v_cmp_ne_u32_e32 vcc, s9, v4
                                        ; implicit-def: $vgpr4
	s_and_saveexec_b64 s[6:7], vcc
	s_xor_b64 s[6:7], exec, s[6:7]
; %bb.166:                              ;   in Loop: Header=BB343_75 Depth=1
	v_bfe_u32 v4, v7, 16, 1
	v_add3_u32 v4, v7, v4, s10
                                        ; implicit-def: $vgpr7
; %bb.167:                              ;   in Loop: Header=BB343_75 Depth=1
	s_andn2_saveexec_b64 s[6:7], s[6:7]
; %bb.168:                              ;   in Loop: Header=BB343_75 Depth=1
	v_or_b32_e32 v4, 0x10000, v7
	v_cmp_eq_u32_sdwa vcc, v7, v13 src0_sel:WORD_0 src1_sel:DWORD
	s_nop 1
	v_cndmask_b32_e32 v4, v4, v7, vcc
; %bb.169:                              ;   in Loop: Header=BB343_75 Depth=1
	s_or_b64 exec, exec, s[6:7]
	v_and_b32_e32 v6, 0xffff0000, v6
	v_lshlrev_b32_e32 v2, 16, v2
	v_mul_f32_e32 v2, v6, v2
	v_and_b32_e32 v6, 0x7f800000, v2
	v_cmp_ne_u32_e32 vcc, s9, v6
                                        ; implicit-def: $vgpr6
	s_and_saveexec_b64 s[6:7], vcc
	s_xor_b64 s[6:7], exec, s[6:7]
; %bb.170:                              ;   in Loop: Header=BB343_75 Depth=1
	v_bfe_u32 v6, v2, 16, 1
	v_add3_u32 v6, v2, v6, s10
                                        ; implicit-def: $vgpr2
; %bb.171:                              ;   in Loop: Header=BB343_75 Depth=1
	s_andn2_saveexec_b64 s[6:7], s[6:7]
	s_cbranch_execz .LBB343_74
; %bb.172:                              ;   in Loop: Header=BB343_75 Depth=1
	v_or_b32_e32 v6, 0x10000, v2
	v_cmp_eq_u32_sdwa vcc, v2, v13 src0_sel:WORD_0 src1_sel:DWORD
	s_nop 1
	v_cndmask_b32_e32 v6, v6, v2, vcc
	s_branch .LBB343_74
.LBB343_173:
	s_or_b64 exec, exec, s[4:5]
.LBB343_174:
	s_or_b64 exec, exec, s[2:3]
	ds_bpermute_b32 v2, v18, v12
	v_and_b32_e32 v3, 0x3c1, v0
	v_cmp_eq_u32_e32 vcc, 64, v3
	s_waitcnt lgkmcnt(0)
	s_barrier
	v_add_f32_e32 v2, v12, v2
	s_and_saveexec_b64 s[2:3], vcc
	s_cbranch_execz .LBB343_176
; %bb.175:
	v_mov_b32_e32 v4, 0x50
	v_lshl_add_u32 v1, v1, 1, v4
	ds_write_b32 v1, v2
.LBB343_176:
	s_or_b64 exec, exec, s[2:3]
	v_cmp_eq_u32_e32 vcc, 0, v3
	s_waitcnt lgkmcnt(0)
	s_barrier
	s_and_saveexec_b64 s[2:3], vcc
	s_cbranch_execz .LBB343_178
; %bb.177:
	v_mov_b32_e32 v1, 0x50
	v_lshl_add_u32 v1, v0, 1, v1
	ds_read_b32 v1, v1
	s_waitcnt lgkmcnt(0)
	v_add_f32_e32 v2, v2, v1
.LBB343_178:
	s_or_b64 exec, exec, s[2:3]
	s_barrier
	s_and_saveexec_b64 s[2:3], vcc
	s_cbranch_execz .LBB343_184
; %bb.179:
	s_mov_b32 s1, 0x7f800000
	v_and_b32_e32 v1, 0x7f800000, v2
	v_cmp_ne_u32_e32 vcc, s1, v1
                                        ; implicit-def: $vgpr1
	s_and_saveexec_b64 s[2:3], vcc
	s_xor_b64 s[2:3], exec, s[2:3]
; %bb.180:
	v_bfe_u32 v1, v2, 16, 1
	s_movk_i32 s1, 0x7fff
	v_add3_u32 v1, v2, v1, s1
                                        ; implicit-def: $vgpr2
; %bb.181:
	s_andn2_saveexec_b64 s[2:3], s[2:3]
; %bb.182:
	v_mov_b32_e32 v1, 0
	v_or_b32_e32 v3, 0x10000, v2
	v_cmp_eq_u32_sdwa vcc, v2, v1 src0_sel:WORD_0 src1_sel:DWORD
	s_nop 1
	v_cndmask_b32_e32 v1, v3, v2, vcc
; %bb.183:
	s_or_b64 exec, exec, s[2:3]
	s_lshl_b32 s0, s0, 5
	s_ashr_i32 s1, s0, 31
	s_lshl_b64 s[0:1], s[0:1], 1
	s_add_u32 s2, s26, s0
	s_mul_i32 s0, s25, s24
	s_addc_u32 s3, s27, s1
	s_ashr_i32 s1, s0, 31
	s_lshl_b64 s[0:1], s[0:1], 1
	s_add_u32 s2, s2, s0
	s_addc_u32 s3, s3, s1
	s_ashr_i32 s13, s12, 31
	s_lshl_b64 s[0:1], s[12:13], 1
	s_add_u32 s0, s2, s0
	s_addc_u32 s1, s3, s1
	global_store_short_d16_hi v0, v1, s[0:1]
.LBB343_184:
	s_endpgm
	.section	.rodata,"a",@progbits
	.p2align	6, 0x0
	.amdhsa_kernel _ZN4vllm25paged_attention_v2_kernelI14__hip_bfloat16hLi32ELi16ELi128ELNS_18Fp8KVCacheDataTypeE1ELb0ELi512EEEvPfS3_PT_PKS4_PKT0_SA_ifPKiSC_iPKfiiiSE_SE_iiiii
		.amdhsa_group_segment_fixed_size 80
		.amdhsa_private_segment_fixed_size 0
		.amdhsa_kernarg_size 400
		.amdhsa_user_sgpr_count 2
		.amdhsa_user_sgpr_dispatch_ptr 0
		.amdhsa_user_sgpr_queue_ptr 0
		.amdhsa_user_sgpr_kernarg_segment_ptr 1
		.amdhsa_user_sgpr_dispatch_id 0
		.amdhsa_user_sgpr_kernarg_preload_length 0
		.amdhsa_user_sgpr_kernarg_preload_offset 0
		.amdhsa_user_sgpr_private_segment_size 0
		.amdhsa_uses_dynamic_stack 0
		.amdhsa_enable_private_segment 0
		.amdhsa_system_sgpr_workgroup_id_x 1
		.amdhsa_system_sgpr_workgroup_id_y 1
		.amdhsa_system_sgpr_workgroup_id_z 1
		.amdhsa_system_sgpr_workgroup_info 0
		.amdhsa_system_vgpr_workitem_id 0
		.amdhsa_next_free_vgpr 35
		.amdhsa_next_free_sgpr 48
		.amdhsa_accum_offset 36
		.amdhsa_reserve_vcc 1
		.amdhsa_float_round_mode_32 0
		.amdhsa_float_round_mode_16_64 0
		.amdhsa_float_denorm_mode_32 3
		.amdhsa_float_denorm_mode_16_64 3
		.amdhsa_dx10_clamp 1
		.amdhsa_ieee_mode 1
		.amdhsa_fp16_overflow 0
		.amdhsa_tg_split 0
		.amdhsa_exception_fp_ieee_invalid_op 0
		.amdhsa_exception_fp_denorm_src 0
		.amdhsa_exception_fp_ieee_div_zero 0
		.amdhsa_exception_fp_ieee_overflow 0
		.amdhsa_exception_fp_ieee_underflow 0
		.amdhsa_exception_fp_ieee_inexact 0
		.amdhsa_exception_int_div_zero 0
	.end_amdhsa_kernel
	.section	.text._ZN4vllm25paged_attention_v2_kernelI14__hip_bfloat16hLi32ELi16ELi128ELNS_18Fp8KVCacheDataTypeE1ELb0ELi512EEEvPfS3_PT_PKS4_PKT0_SA_ifPKiSC_iPKfiiiSE_SE_iiiii,"axG",@progbits,_ZN4vllm25paged_attention_v2_kernelI14__hip_bfloat16hLi32ELi16ELi128ELNS_18Fp8KVCacheDataTypeE1ELb0ELi512EEEvPfS3_PT_PKS4_PKT0_SA_ifPKiSC_iPKfiiiSE_SE_iiiii,comdat
.Lfunc_end343:
	.size	_ZN4vllm25paged_attention_v2_kernelI14__hip_bfloat16hLi32ELi16ELi128ELNS_18Fp8KVCacheDataTypeE1ELb0ELi512EEEvPfS3_PT_PKS4_PKT0_SA_ifPKiSC_iPKfiiiSE_SE_iiiii, .Lfunc_end343-_ZN4vllm25paged_attention_v2_kernelI14__hip_bfloat16hLi32ELi16ELi128ELNS_18Fp8KVCacheDataTypeE1ELb0ELi512EEEvPfS3_PT_PKS4_PKT0_SA_ifPKiSC_iPKfiiiSE_SE_iiiii
                                        ; -- End function
	.section	.AMDGPU.csdata,"",@progbits
; Kernel info:
; codeLenInByte = 6320
; NumSgprs: 54
; NumVgprs: 35
; NumAgprs: 0
; TotalNumVgprs: 35
; ScratchSize: 0
; MemoryBound: 0
; FloatMode: 240
; IeeeMode: 1
; LDSByteSize: 80 bytes/workgroup (compile time only)
; SGPRBlocks: 6
; VGPRBlocks: 4
; NumSGPRsForWavesPerEU: 54
; NumVGPRsForWavesPerEU: 35
; AccumOffset: 36
; Occupancy: 8
; WaveLimiterHint : 1
; COMPUTE_PGM_RSRC2:SCRATCH_EN: 0
; COMPUTE_PGM_RSRC2:USER_SGPR: 2
; COMPUTE_PGM_RSRC2:TRAP_HANDLER: 0
; COMPUTE_PGM_RSRC2:TGID_X_EN: 1
; COMPUTE_PGM_RSRC2:TGID_Y_EN: 1
; COMPUTE_PGM_RSRC2:TGID_Z_EN: 1
; COMPUTE_PGM_RSRC2:TIDIG_COMP_CNT: 0
; COMPUTE_PGM_RSRC3_GFX90A:ACCUM_OFFSET: 8
; COMPUTE_PGM_RSRC3_GFX90A:TG_SPLIT: 0
	.section	.text._ZN4vllm25paged_attention_v2_kernelI14__hip_bfloat16hLi64ELi16ELi128ELNS_18Fp8KVCacheDataTypeE1ELb0ELi512EEEvPfS3_PT_PKS4_PKT0_SA_ifPKiSC_iPKfiiiSE_SE_iiiii,"axG",@progbits,_ZN4vllm25paged_attention_v2_kernelI14__hip_bfloat16hLi64ELi16ELi128ELNS_18Fp8KVCacheDataTypeE1ELb0ELi512EEEvPfS3_PT_PKS4_PKT0_SA_ifPKiSC_iPKfiiiSE_SE_iiiii,comdat
	.protected	_ZN4vllm25paged_attention_v2_kernelI14__hip_bfloat16hLi64ELi16ELi128ELNS_18Fp8KVCacheDataTypeE1ELb0ELi512EEEvPfS3_PT_PKS4_PKT0_SA_ifPKiSC_iPKfiiiSE_SE_iiiii ; -- Begin function _ZN4vllm25paged_attention_v2_kernelI14__hip_bfloat16hLi64ELi16ELi128ELNS_18Fp8KVCacheDataTypeE1ELb0ELi512EEEvPfS3_PT_PKS4_PKT0_SA_ifPKiSC_iPKfiiiSE_SE_iiiii
	.globl	_ZN4vllm25paged_attention_v2_kernelI14__hip_bfloat16hLi64ELi16ELi128ELNS_18Fp8KVCacheDataTypeE1ELb0ELi512EEEvPfS3_PT_PKS4_PKT0_SA_ifPKiSC_iPKfiiiSE_SE_iiiii
	.p2align	8
	.type	_ZN4vllm25paged_attention_v2_kernelI14__hip_bfloat16hLi64ELi16ELi128ELNS_18Fp8KVCacheDataTypeE1ELb0ELi512EEEvPfS3_PT_PKS4_PKT0_SA_ifPKiSC_iPKfiiiSE_SE_iiiii,@function
_ZN4vllm25paged_attention_v2_kernelI14__hip_bfloat16hLi64ELi16ELi128ELNS_18Fp8KVCacheDataTypeE1ELb0ELi512EEEvPfS3_PT_PKS4_PKT0_SA_ifPKiSC_iPKfiiiSE_SE_iiiii: ; @_ZN4vllm25paged_attention_v2_kernelI14__hip_bfloat16hLi64ELi16ELi128ELNS_18Fp8KVCacheDataTypeE1ELb0ELi512EEEvPfS3_PT_PKS4_PKT0_SA_ifPKiSC_iPKfiiiSE_SE_iiiii
; %bb.0:
	s_load_dwordx2 s[6:7], s[0:1], 0x40
	s_mov_b32 s24, s3
	s_ashr_i32 s25, s3, 31
	s_lshl_b64 s[8:9], s[24:25], 2
	s_waitcnt lgkmcnt(0)
	s_add_u32 s6, s6, s8
	s_addc_u32 s7, s7, s9
	s_load_dword s33, s[6:7], 0x0
	s_lshl_b32 s40, s4, 9
	s_waitcnt lgkmcnt(0)
	s_cmp_ge_i32 s40, s33
	s_cbranch_scc1 .LBB344_291
; %bb.1:
	s_load_dword s25, s[0:1], 0x90
	s_load_dwordx2 s[10:11], s[0:1], 0x30
	s_waitcnt lgkmcnt(0)
	s_abs_i32 s6, s25
	s_abs_i32 s3, s10
	v_cvt_f32_u32_e32 v1, s3
	s_sub_i32 s7, 0, s3
	s_xor_b32 s5, s25, s10
	s_ashr_i32 s5, s5, 31
	v_rcp_iflag_f32_e32 v1, v1
	s_nop 0
	v_mul_f32_e32 v1, 0x4f7ffffe, v1
	v_cvt_u32_f32_e32 v1, v1
	s_nop 0
	v_readfirstlane_b32 s8, v1
	s_mul_i32 s7, s7, s8
	s_mul_hi_u32 s7, s8, s7
	s_add_i32 s8, s8, s7
	s_mul_hi_u32 s7, s6, s8
	s_mul_i32 s8, s7, s3
	s_sub_i32 s6, s6, s8
	s_add_i32 s9, s7, 1
	s_sub_i32 s8, s6, s3
	s_cmp_ge_u32 s6, s3
	s_cselect_b32 s7, s9, s7
	s_cselect_b32 s6, s8, s6
	s_add_i32 s8, s7, 1
	s_cmp_ge_u32 s6, s3
	s_cselect_b32 s3, s8, s7
	s_xor_b32 s3, s3, s5
	s_sub_i32 s17, s3, s5
	s_abs_i32 s8, s17
	v_cvt_f32_u32_e32 v1, s8
	s_load_dwordx2 s[6:7], s[0:1], 0x50
	s_sub_i32 s3, 0, s8
	s_abs_i32 s9, s2
	v_rcp_iflag_f32_e32 v1, v1
	s_mov_b32 s5, 0
	v_mul_f32_e32 v1, 0x4f7ffffe, v1
	v_cvt_u32_f32_e32 v1, v1
	s_nop 0
	v_readfirstlane_b32 s10, v1
	s_mul_i32 s3, s3, s10
	s_mul_hi_u32 s3, s10, s3
	s_add_i32 s10, s10, s3
	s_waitcnt lgkmcnt(0)
	s_cmp_eq_u64 s[6:7], 0
	s_mul_hi_u32 s10, s9, s10
	s_cbranch_scc1 .LBB344_3
; %bb.2:
	s_ashr_i32 s3, s2, 31
	s_lshl_b64 s[12:13], s[2:3], 2
	s_add_u32 s6, s6, s12
	s_addc_u32 s7, s7, s13
	s_load_dword s5, s[6:7], 0x0
.LBB344_3:
	s_load_dwordx4 s[12:15], s[0:1], 0x58
	s_ashr_i32 s16, s2, 31
	s_waitcnt lgkmcnt(0)
	s_ashr_i32 s15, s17, 31
	v_and_b32_e32 v6, 3, v0
	s_lshl_b32 s26, s2, 6
	v_cmp_gt_u32_e32 vcc, 32, v0
	s_and_saveexec_b64 s[6:7], vcc
	s_cbranch_execz .LBB344_5
; %bb.4:
	s_load_dwordx2 s[18:19], s[0:1], 0x18
	s_mul_i32 s20, s24, s12
	s_ashr_i32 s21, s20, 31
	s_lshl_b64 s[20:21], s[20:21], 1
	v_lshlrev_b32_e32 v1, 2, v0
	s_waitcnt lgkmcnt(0)
	s_add_u32 s3, s18, s20
	s_addc_u32 s12, s19, s21
	s_ashr_i32 s27, s26, 31
	s_lshl_b64 s[18:19], s[26:27], 1
	s_add_u32 s18, s3, s18
	s_addc_u32 s19, s12, s19
	global_load_dword v1, v1, s[18:19]
	v_and_b32_e32 v2, 0x3fc, v0
	v_lshl_add_u32 v2, v6, 5, v2
	s_waitcnt vmcnt(0)
	ds_write_b32 v2, v1
.LBB344_5:
	s_or_b64 exec, exec, s[6:7]
	s_add_i32 s3, s33, 15
	s_ashr_i32 s6, s3, 31
	s_lshr_b32 s6, s6, 28
	s_add_i32 s3, s3, s6
	s_ashr_i32 s41, s3, 4
	s_lshl_b32 s3, s4, 5
	s_mul_i32 s7, s10, s8
	s_add_i32 s6, s3, 32
	s_sub_i32 s7, s9, s7
	s_min_i32 s27, s6, s41
	s_xor_b32 s6, s16, s15
	s_add_i32 s9, s10, 1
	s_sub_i32 s12, s7, s8
	s_cmp_ge_u32 s7, s8
	s_cselect_b32 s9, s9, s10
	s_cselect_b32 s7, s12, s7
	s_add_i32 s10, s9, 1
	s_cmp_ge_u32 s7, s8
	s_load_dwordx2 s[30:31], s[0:1], 0x38
	s_load_dword s8, s[0:1], 0x48
	v_lshrrev_b32_e32 v18, 6, v0
	s_cselect_b32 s7, s10, s9
	s_xor_b32 s7, s7, s6
	v_or_b32_e32 v10, s3, v18
	s_waitcnt lgkmcnt(0)
	s_mul_i32 s34, s24, s8
	s_sub_i32 s42, s7, s6
	s_ashr_i32 s35, s34, 31
	v_cmp_gt_i32_e64 s[8:9], s27, v10
	v_cmp_le_i32_e32 vcc, s27, v10
	v_mbcnt_lo_u32_b32 v7, -1, 0
	s_barrier
	s_waitcnt lgkmcnt(0)
                                        ; implicit-def: $sgpr10
                                        ; implicit-def: $vgpr12
                                        ; implicit-def: $vgpr13
	s_and_saveexec_b64 s[6:7], vcc
	s_xor_b64 s[6:7], exec, s[6:7]
; %bb.6:
	v_mbcnt_hi_u32_b32 v12, -1, v7
	v_and_b32_e32 v1, 64, v12
	v_add_u32_e32 v13, 64, v1
	s_mov_b32 s10, 0xff7fffff
                                        ; implicit-def: $vgpr6
                                        ; implicit-def: $vgpr7
; %bb.7:
	s_or_saveexec_b64 s[38:39], s[6:7]
	s_load_dwordx4 s[20:23], s[0:1], 0x0
	s_load_dwordx2 s[28:29], s[0:1], 0x10
	s_load_dword s12, s[0:1], 0x98
	s_load_dwordx2 s[36:37], s[0:1], 0x28
	s_load_dwordx4 s[16:19], s[0:1], 0x68
	v_mov_b32_e32 v30, s10
	s_mul_i32 s42, s42, s14
	v_ashrrev_i32_e32 v11, 31, v10
	s_xor_b64 exec, exec, s[38:39]
	s_cbranch_execz .LBB344_77
; %bb.8:
	s_load_dwordx2 s[0:1], s[0:1], 0x20
	v_mbcnt_hi_u32_b32 v12, -1, v7
	v_and_b32_e32 v7, 64, v12
	v_add_u32_e32 v13, 64, v7
	v_xor_b32_e32 v7, 2, v12
	v_cmp_lt_i32_e32 vcc, v7, v13
	s_ashr_i32 s6, s42, 31
	v_lshlrev_b32_e32 v1, 5, v6
	v_cndmask_b32_e32 v7, v12, v7, vcc
	v_bfe_u32 v8, v0, 2, 4
	s_waitcnt lgkmcnt(0)
	s_add_u32 s0, s0, s42
	ds_read_b128 v[20:23], v1
	ds_read_b128 v[26:29], v1 offset:16
	v_lshlrev_b32_e32 v31, 2, v7
	v_xor_b32_e32 v7, 1, v12
	v_lshlrev_b32_e32 v2, 4, v8
	s_addc_u32 s1, s1, s6
	v_mov_b32_e32 v3, 0
	v_cmp_lt_i32_e32 vcc, v7, v13
	s_load_dword s43, s[16:17], 0x0
	v_lshl_add_u64 v[4:5], s[0:1], 0, v[2:3]
	v_lshlrev_b32_e32 v2, 1, v6
	v_cndmask_b32_e32 v7, v12, v7, vcc
	v_cmp_eq_u32_e32 vcc, 0, v6
	s_sub_i32 s44, 1, s33
	v_lshlrev_b32_e32 v6, 4, v18
	s_lshl_b64 s[0:1], s[34:35], 2
	v_add3_u32 v33, s40, v6, v8
	v_lshlrev_b32_e32 v6, 2, v8
	s_add_u32 s0, s30, s0
	v_lshl_or_b32 v6, v18, 6, v6
	s_addc_u32 s1, s31, s1
	s_mov_b32 s10, s13
	s_waitcnt lgkmcnt(0)
	v_lshlrev_b32_e32 v1, 16, v20
	v_and_b32_e32 v14, 0xffff0000, v20
	v_lshlrev_b32_e32 v15, 16, v21
	v_and_b32_e32 v16, 0xffff0000, v21
	;; [unrolled: 2-line block ×8, first 2 shown]
	v_lshlrev_b32_e32 v32, 2, v7
	v_cmp_neq_f32_e64 s[6:7], s5, 0
	v_add_u32_e32 v34, 0x90, v6
	v_lshl_add_u64 v[6:7], v[10:11], 2, s[0:1]
	s_mov_b64 s[14:15], 0
	v_mov_b32_e32 v30, 0xff7fffff
	s_mov_b32 s45, 0xffff
	s_mov_b32 s46, 0x7f800000
	s_movk_i32 s47, 0x7fff
	v_mov_b32_e32 v35, v10
	s_branch .LBB344_10
.LBB344_9:                              ;   in Loop: Header=BB344_10 Depth=1
	s_or_b64 exec, exec, s[16:17]
	v_add_u32_e32 v35, 2, v35
	v_cmp_le_i32_e64 s[0:1], s27, v35
	v_add_u32_e32 v33, 32, v33
	v_add_u32_e32 v34, 0x80, v34
	s_or_b64 s[14:15], s[0:1], s[14:15]
	v_lshl_add_u64 v[6:7], v[6:7], 0, 8
	s_andn2_b64 exec, exec, s[14:15]
	s_cbranch_execz .LBB344_76
.LBB344_10:                             ; =>This Inner Loop Header: Depth=1
	global_load_dword v8, v[6:7], off
	s_waitcnt vmcnt(0) lgkmcnt(0)
	v_mad_i64_i32 v[8:9], s[0:1], v8, s10, v[4:5]
	v_lshl_add_u64 v[8:9], v[8:9], 0, v[2:3]
	global_load_ushort v37, v[8:9], off
	s_waitcnt vmcnt(0)
	v_and_b32_sdwa v36, s45, v37 dst_sel:DWORD dst_unused:UNUSED_PAD src0_sel:DWORD src1_sel:BYTE_0
	v_cvt_f32_fp8_sdwa v36, v36 src0_sel:BYTE_0
	s_nop 0
	v_mul_f32_e32 v38, s43, v36
	v_and_b32_e32 v36, 0x7f800000, v38
	v_cmp_ne_u32_e64 s[0:1], s46, v36
                                        ; implicit-def: $vgpr36
	s_and_saveexec_b64 s[16:17], s[0:1]
	s_xor_b64 s[0:1], exec, s[16:17]
; %bb.11:                               ;   in Loop: Header=BB344_10 Depth=1
	v_bfe_u32 v36, v38, 16, 1
	v_add3_u32 v36, v38, v36, s47
                                        ; implicit-def: $vgpr38
; %bb.12:                               ;   in Loop: Header=BB344_10 Depth=1
	s_andn2_saveexec_b64 s[16:17], s[0:1]
; %bb.13:                               ;   in Loop: Header=BB344_10 Depth=1
	v_or_b32_e32 v36, 0x10000, v38
	v_cmp_eq_u32_sdwa s[0:1], v38, v3 src0_sel:WORD_0 src1_sel:DWORD
	s_nop 1
	v_cndmask_b32_e64 v36, v36, v38, s[0:1]
; %bb.14:                               ;   in Loop: Header=BB344_10 Depth=1
	s_or_b64 exec, exec, s[16:17]
	v_lshrrev_b16_e32 v37, 8, v37
	v_cvt_f32_fp8_sdwa v37, v37 src0_sel:BYTE_0
	s_nop 0
	v_mul_f32_e32 v38, s43, v37
	v_and_b32_e32 v37, 0x7f800000, v38
	v_cmp_ne_u32_e64 s[0:1], s46, v37
                                        ; implicit-def: $vgpr37
	s_and_saveexec_b64 s[16:17], s[0:1]
	s_xor_b64 s[0:1], exec, s[16:17]
; %bb.15:                               ;   in Loop: Header=BB344_10 Depth=1
	v_bfe_u32 v37, v38, 16, 1
	v_add3_u32 v37, v38, v37, s47
                                        ; implicit-def: $vgpr38
; %bb.16:                               ;   in Loop: Header=BB344_10 Depth=1
	s_andn2_saveexec_b64 s[16:17], s[0:1]
; %bb.17:                               ;   in Loop: Header=BB344_10 Depth=1
	v_or_b32_e32 v37, 0x10000, v38
	v_cmp_eq_u32_sdwa s[0:1], v38, v3 src0_sel:WORD_0 src1_sel:DWORD
	s_nop 1
	v_cndmask_b32_e64 v37, v37, v38, s[0:1]
; %bb.18:                               ;   in Loop: Header=BB344_10 Depth=1
	s_or_b64 exec, exec, s[16:17]
	global_load_ushort v39, v[8:9], off offset:8
	s_waitcnt vmcnt(0)
	v_and_b32_sdwa v38, s45, v39 dst_sel:DWORD dst_unused:UNUSED_PAD src0_sel:DWORD src1_sel:BYTE_0
	v_cvt_f32_fp8_sdwa v38, v38 src0_sel:BYTE_0
	s_nop 0
	v_mul_f32_e32 v40, s43, v38
	v_and_b32_e32 v38, 0x7f800000, v40
	v_cmp_ne_u32_e64 s[0:1], s46, v38
                                        ; implicit-def: $vgpr38
	s_and_saveexec_b64 s[16:17], s[0:1]
	s_xor_b64 s[0:1], exec, s[16:17]
; %bb.19:                               ;   in Loop: Header=BB344_10 Depth=1
	v_bfe_u32 v38, v40, 16, 1
	v_add3_u32 v38, v40, v38, s47
                                        ; implicit-def: $vgpr40
; %bb.20:                               ;   in Loop: Header=BB344_10 Depth=1
	s_andn2_saveexec_b64 s[16:17], s[0:1]
; %bb.21:                               ;   in Loop: Header=BB344_10 Depth=1
	v_or_b32_e32 v38, 0x10000, v40
	v_cmp_eq_u32_sdwa s[0:1], v40, v3 src0_sel:WORD_0 src1_sel:DWORD
	s_nop 1
	v_cndmask_b32_e64 v38, v38, v40, s[0:1]
; %bb.22:                               ;   in Loop: Header=BB344_10 Depth=1
	s_or_b64 exec, exec, s[16:17]
	v_lshrrev_b16_e32 v39, 8, v39
	v_cvt_f32_fp8_sdwa v39, v39 src0_sel:BYTE_0
	s_nop 0
	v_mul_f32_e32 v40, s43, v39
	v_and_b32_e32 v39, 0x7f800000, v40
	v_cmp_ne_u32_e64 s[0:1], s46, v39
                                        ; implicit-def: $vgpr39
	s_and_saveexec_b64 s[16:17], s[0:1]
	s_xor_b64 s[0:1], exec, s[16:17]
; %bb.23:                               ;   in Loop: Header=BB344_10 Depth=1
	v_bfe_u32 v39, v40, 16, 1
	v_add3_u32 v39, v40, v39, s47
                                        ; implicit-def: $vgpr40
; %bb.24:                               ;   in Loop: Header=BB344_10 Depth=1
	s_andn2_saveexec_b64 s[16:17], s[0:1]
; %bb.25:                               ;   in Loop: Header=BB344_10 Depth=1
	v_or_b32_e32 v39, 0x10000, v40
	v_cmp_eq_u32_sdwa s[0:1], v40, v3 src0_sel:WORD_0 src1_sel:DWORD
	s_nop 1
	v_cndmask_b32_e64 v39, v39, v40, s[0:1]
; %bb.26:                               ;   in Loop: Header=BB344_10 Depth=1
	s_or_b64 exec, exec, s[16:17]
	global_load_ushort v41, v[8:9], off offset:256
	s_waitcnt vmcnt(0)
	v_and_b32_sdwa v40, s45, v41 dst_sel:DWORD dst_unused:UNUSED_PAD src0_sel:DWORD src1_sel:BYTE_0
	v_cvt_f32_fp8_sdwa v40, v40 src0_sel:BYTE_0
	s_nop 0
	v_mul_f32_e32 v42, s43, v40
	v_and_b32_e32 v40, 0x7f800000, v42
	v_cmp_ne_u32_e64 s[0:1], s46, v40
                                        ; implicit-def: $vgpr40
	s_and_saveexec_b64 s[16:17], s[0:1]
	s_xor_b64 s[0:1], exec, s[16:17]
; %bb.27:                               ;   in Loop: Header=BB344_10 Depth=1
	v_bfe_u32 v40, v42, 16, 1
	v_add3_u32 v40, v42, v40, s47
                                        ; implicit-def: $vgpr42
; %bb.28:                               ;   in Loop: Header=BB344_10 Depth=1
	s_andn2_saveexec_b64 s[16:17], s[0:1]
; %bb.29:                               ;   in Loop: Header=BB344_10 Depth=1
	v_or_b32_e32 v40, 0x10000, v42
	v_cmp_eq_u32_sdwa s[0:1], v42, v3 src0_sel:WORD_0 src1_sel:DWORD
	s_nop 1
	v_cndmask_b32_e64 v40, v40, v42, s[0:1]
; %bb.30:                               ;   in Loop: Header=BB344_10 Depth=1
	s_or_b64 exec, exec, s[16:17]
	v_lshrrev_b16_e32 v41, 8, v41
	v_cvt_f32_fp8_sdwa v41, v41 src0_sel:BYTE_0
	s_nop 0
	v_mul_f32_e32 v42, s43, v41
	v_and_b32_e32 v41, 0x7f800000, v42
	v_cmp_ne_u32_e64 s[0:1], s46, v41
                                        ; implicit-def: $vgpr41
	s_and_saveexec_b64 s[16:17], s[0:1]
	s_xor_b64 s[0:1], exec, s[16:17]
; %bb.31:                               ;   in Loop: Header=BB344_10 Depth=1
	v_bfe_u32 v41, v42, 16, 1
	v_add3_u32 v41, v42, v41, s47
                                        ; implicit-def: $vgpr42
; %bb.32:                               ;   in Loop: Header=BB344_10 Depth=1
	s_andn2_saveexec_b64 s[16:17], s[0:1]
; %bb.33:                               ;   in Loop: Header=BB344_10 Depth=1
	v_or_b32_e32 v41, 0x10000, v42
	v_cmp_eq_u32_sdwa s[0:1], v42, v3 src0_sel:WORD_0 src1_sel:DWORD
	s_nop 1
	v_cndmask_b32_e64 v41, v41, v42, s[0:1]
; %bb.34:                               ;   in Loop: Header=BB344_10 Depth=1
	s_or_b64 exec, exec, s[16:17]
	global_load_ushort v43, v[8:9], off offset:264
	s_waitcnt vmcnt(0)
	v_and_b32_sdwa v42, s45, v43 dst_sel:DWORD dst_unused:UNUSED_PAD src0_sel:DWORD src1_sel:BYTE_0
	v_cvt_f32_fp8_sdwa v42, v42 src0_sel:BYTE_0
	s_nop 0
	v_mul_f32_e32 v44, s43, v42
	v_and_b32_e32 v42, 0x7f800000, v44
	v_cmp_ne_u32_e64 s[0:1], s46, v42
                                        ; implicit-def: $vgpr42
	s_and_saveexec_b64 s[16:17], s[0:1]
	s_xor_b64 s[0:1], exec, s[16:17]
; %bb.35:                               ;   in Loop: Header=BB344_10 Depth=1
	v_bfe_u32 v42, v44, 16, 1
	v_add3_u32 v42, v44, v42, s47
                                        ; implicit-def: $vgpr44
; %bb.36:                               ;   in Loop: Header=BB344_10 Depth=1
	s_andn2_saveexec_b64 s[16:17], s[0:1]
; %bb.37:                               ;   in Loop: Header=BB344_10 Depth=1
	v_or_b32_e32 v42, 0x10000, v44
	v_cmp_eq_u32_sdwa s[0:1], v44, v3 src0_sel:WORD_0 src1_sel:DWORD
	s_nop 1
	v_cndmask_b32_e64 v42, v42, v44, s[0:1]
; %bb.38:                               ;   in Loop: Header=BB344_10 Depth=1
	s_or_b64 exec, exec, s[16:17]
	v_lshrrev_b16_e32 v43, 8, v43
	v_cvt_f32_fp8_sdwa v43, v43 src0_sel:BYTE_0
	s_nop 0
	v_mul_f32_e32 v44, s43, v43
	v_and_b32_e32 v43, 0x7f800000, v44
	v_cmp_ne_u32_e64 s[0:1], s46, v43
                                        ; implicit-def: $vgpr43
	s_and_saveexec_b64 s[16:17], s[0:1]
	s_xor_b64 s[0:1], exec, s[16:17]
; %bb.39:                               ;   in Loop: Header=BB344_10 Depth=1
	v_bfe_u32 v43, v44, 16, 1
	v_add3_u32 v43, v44, v43, s47
                                        ; implicit-def: $vgpr44
; %bb.40:                               ;   in Loop: Header=BB344_10 Depth=1
	s_andn2_saveexec_b64 s[16:17], s[0:1]
; %bb.41:                               ;   in Loop: Header=BB344_10 Depth=1
	v_or_b32_e32 v43, 0x10000, v44
	v_cmp_eq_u32_sdwa s[0:1], v44, v3 src0_sel:WORD_0 src1_sel:DWORD
	s_nop 1
	v_cndmask_b32_e64 v43, v43, v44, s[0:1]
; %bb.42:                               ;   in Loop: Header=BB344_10 Depth=1
	s_or_b64 exec, exec, s[16:17]
	global_load_ushort v45, v[8:9], off offset:512
	s_waitcnt vmcnt(0)
	v_and_b32_sdwa v44, s45, v45 dst_sel:DWORD dst_unused:UNUSED_PAD src0_sel:DWORD src1_sel:BYTE_0
	v_cvt_f32_fp8_sdwa v44, v44 src0_sel:BYTE_0
	s_nop 0
	v_mul_f32_e32 v46, s43, v44
	v_and_b32_e32 v44, 0x7f800000, v46
	v_cmp_ne_u32_e64 s[0:1], s46, v44
                                        ; implicit-def: $vgpr44
	s_and_saveexec_b64 s[16:17], s[0:1]
	s_xor_b64 s[0:1], exec, s[16:17]
; %bb.43:                               ;   in Loop: Header=BB344_10 Depth=1
	v_bfe_u32 v44, v46, 16, 1
	v_add3_u32 v44, v46, v44, s47
                                        ; implicit-def: $vgpr46
; %bb.44:                               ;   in Loop: Header=BB344_10 Depth=1
	s_andn2_saveexec_b64 s[16:17], s[0:1]
; %bb.45:                               ;   in Loop: Header=BB344_10 Depth=1
	v_or_b32_e32 v44, 0x10000, v46
	v_cmp_eq_u32_sdwa s[0:1], v46, v3 src0_sel:WORD_0 src1_sel:DWORD
	s_nop 1
	v_cndmask_b32_e64 v44, v44, v46, s[0:1]
; %bb.46:                               ;   in Loop: Header=BB344_10 Depth=1
	s_or_b64 exec, exec, s[16:17]
	v_lshrrev_b16_e32 v45, 8, v45
	v_cvt_f32_fp8_sdwa v45, v45 src0_sel:BYTE_0
	s_nop 0
	v_mul_f32_e32 v46, s43, v45
	v_and_b32_e32 v45, 0x7f800000, v46
	v_cmp_ne_u32_e64 s[0:1], s46, v45
                                        ; implicit-def: $vgpr45
	s_and_saveexec_b64 s[16:17], s[0:1]
	s_xor_b64 s[0:1], exec, s[16:17]
; %bb.47:                               ;   in Loop: Header=BB344_10 Depth=1
	v_bfe_u32 v45, v46, 16, 1
	v_add3_u32 v45, v46, v45, s47
                                        ; implicit-def: $vgpr46
; %bb.48:                               ;   in Loop: Header=BB344_10 Depth=1
	s_andn2_saveexec_b64 s[16:17], s[0:1]
; %bb.49:                               ;   in Loop: Header=BB344_10 Depth=1
	v_or_b32_e32 v45, 0x10000, v46
	v_cmp_eq_u32_sdwa s[0:1], v46, v3 src0_sel:WORD_0 src1_sel:DWORD
	s_nop 1
	v_cndmask_b32_e64 v45, v45, v46, s[0:1]
; %bb.50:                               ;   in Loop: Header=BB344_10 Depth=1
	s_or_b64 exec, exec, s[16:17]
	global_load_ushort v47, v[8:9], off offset:520
	s_waitcnt vmcnt(0)
	v_and_b32_sdwa v46, s45, v47 dst_sel:DWORD dst_unused:UNUSED_PAD src0_sel:DWORD src1_sel:BYTE_0
	v_cvt_f32_fp8_sdwa v46, v46 src0_sel:BYTE_0
	s_nop 0
	v_mul_f32_e32 v48, s43, v46
	v_and_b32_e32 v46, 0x7f800000, v48
	v_cmp_ne_u32_e64 s[0:1], s46, v46
                                        ; implicit-def: $vgpr46
	s_and_saveexec_b64 s[16:17], s[0:1]
	s_xor_b64 s[0:1], exec, s[16:17]
; %bb.51:                               ;   in Loop: Header=BB344_10 Depth=1
	v_bfe_u32 v46, v48, 16, 1
	v_add3_u32 v46, v48, v46, s47
                                        ; implicit-def: $vgpr48
; %bb.52:                               ;   in Loop: Header=BB344_10 Depth=1
	s_andn2_saveexec_b64 s[16:17], s[0:1]
; %bb.53:                               ;   in Loop: Header=BB344_10 Depth=1
	v_or_b32_e32 v46, 0x10000, v48
	v_cmp_eq_u32_sdwa s[0:1], v48, v3 src0_sel:WORD_0 src1_sel:DWORD
	s_nop 1
	v_cndmask_b32_e64 v46, v46, v48, s[0:1]
; %bb.54:                               ;   in Loop: Header=BB344_10 Depth=1
	s_or_b64 exec, exec, s[16:17]
	v_lshrrev_b16_e32 v47, 8, v47
	v_cvt_f32_fp8_sdwa v47, v47 src0_sel:BYTE_0
	s_nop 0
	v_mul_f32_e32 v48, s43, v47
	v_and_b32_e32 v47, 0x7f800000, v48
	v_cmp_ne_u32_e64 s[0:1], s46, v47
                                        ; implicit-def: $vgpr47
	s_and_saveexec_b64 s[16:17], s[0:1]
	s_xor_b64 s[0:1], exec, s[16:17]
; %bb.55:                               ;   in Loop: Header=BB344_10 Depth=1
	v_bfe_u32 v47, v48, 16, 1
	v_add3_u32 v47, v48, v47, s47
                                        ; implicit-def: $vgpr48
; %bb.56:                               ;   in Loop: Header=BB344_10 Depth=1
	s_andn2_saveexec_b64 s[16:17], s[0:1]
; %bb.57:                               ;   in Loop: Header=BB344_10 Depth=1
	v_or_b32_e32 v47, 0x10000, v48
	v_cmp_eq_u32_sdwa s[0:1], v48, v3 src0_sel:WORD_0 src1_sel:DWORD
	s_nop 1
	v_cndmask_b32_e64 v47, v47, v48, s[0:1]
; %bb.58:                               ;   in Loop: Header=BB344_10 Depth=1
	s_or_b64 exec, exec, s[16:17]
	global_load_ushort v49, v[8:9], off offset:768
	s_waitcnt vmcnt(0)
	v_and_b32_sdwa v48, s45, v49 dst_sel:DWORD dst_unused:UNUSED_PAD src0_sel:DWORD src1_sel:BYTE_0
	v_cvt_f32_fp8_sdwa v48, v48 src0_sel:BYTE_0
	s_nop 0
	v_mul_f32_e32 v50, s43, v48
	v_and_b32_e32 v48, 0x7f800000, v50
	v_cmp_ne_u32_e64 s[0:1], s46, v48
                                        ; implicit-def: $vgpr48
	s_and_saveexec_b64 s[16:17], s[0:1]
	s_xor_b64 s[0:1], exec, s[16:17]
; %bb.59:                               ;   in Loop: Header=BB344_10 Depth=1
	v_bfe_u32 v48, v50, 16, 1
	v_add3_u32 v48, v50, v48, s47
                                        ; implicit-def: $vgpr50
; %bb.60:                               ;   in Loop: Header=BB344_10 Depth=1
	s_andn2_saveexec_b64 s[16:17], s[0:1]
; %bb.61:                               ;   in Loop: Header=BB344_10 Depth=1
	v_or_b32_e32 v48, 0x10000, v50
	v_cmp_eq_u32_sdwa s[0:1], v50, v3 src0_sel:WORD_0 src1_sel:DWORD
	s_nop 1
	v_cndmask_b32_e64 v48, v48, v50, s[0:1]
; %bb.62:                               ;   in Loop: Header=BB344_10 Depth=1
	s_or_b64 exec, exec, s[16:17]
	v_lshrrev_b16_e32 v49, 8, v49
	v_cvt_f32_fp8_sdwa v49, v49 src0_sel:BYTE_0
	s_nop 0
	v_mul_f32_e32 v50, s43, v49
	v_and_b32_e32 v49, 0x7f800000, v50
	v_cmp_ne_u32_e64 s[0:1], s46, v49
                                        ; implicit-def: $vgpr49
	s_and_saveexec_b64 s[16:17], s[0:1]
	s_xor_b64 s[0:1], exec, s[16:17]
; %bb.63:                               ;   in Loop: Header=BB344_10 Depth=1
	v_bfe_u32 v49, v50, 16, 1
	v_add3_u32 v49, v50, v49, s47
                                        ; implicit-def: $vgpr50
; %bb.64:                               ;   in Loop: Header=BB344_10 Depth=1
	s_andn2_saveexec_b64 s[16:17], s[0:1]
; %bb.65:                               ;   in Loop: Header=BB344_10 Depth=1
	v_or_b32_e32 v49, 0x10000, v50
	v_cmp_eq_u32_sdwa s[0:1], v50, v3 src0_sel:WORD_0 src1_sel:DWORD
	s_nop 1
	v_cndmask_b32_e64 v49, v49, v50, s[0:1]
; %bb.66:                               ;   in Loop: Header=BB344_10 Depth=1
	s_or_b64 exec, exec, s[16:17]
	global_load_ushort v9, v[8:9], off offset:776
	s_waitcnt vmcnt(0)
	v_and_b32_sdwa v8, s45, v9 dst_sel:DWORD dst_unused:UNUSED_PAD src0_sel:DWORD src1_sel:BYTE_0
	v_cvt_f32_fp8_sdwa v8, v8 src0_sel:BYTE_0
	s_nop 0
	v_mul_f32_e32 v50, s43, v8
	v_and_b32_e32 v8, 0x7f800000, v50
	v_cmp_ne_u32_e64 s[0:1], s46, v8
                                        ; implicit-def: $vgpr8
	s_and_saveexec_b64 s[16:17], s[0:1]
	s_xor_b64 s[0:1], exec, s[16:17]
; %bb.67:                               ;   in Loop: Header=BB344_10 Depth=1
	v_bfe_u32 v8, v50, 16, 1
	v_add3_u32 v8, v50, v8, s47
                                        ; implicit-def: $vgpr50
; %bb.68:                               ;   in Loop: Header=BB344_10 Depth=1
	s_andn2_saveexec_b64 s[16:17], s[0:1]
; %bb.69:                               ;   in Loop: Header=BB344_10 Depth=1
	v_or_b32_e32 v8, 0x10000, v50
	v_cmp_eq_u32_sdwa s[0:1], v50, v3 src0_sel:WORD_0 src1_sel:DWORD
	s_nop 1
	v_cndmask_b32_e64 v8, v8, v50, s[0:1]
; %bb.70:                               ;   in Loop: Header=BB344_10 Depth=1
	s_or_b64 exec, exec, s[16:17]
	v_lshrrev_b16_e32 v9, 8, v9
	v_cvt_f32_fp8_sdwa v9, v9 src0_sel:BYTE_0
	s_nop 0
	v_mul_f32_e32 v50, s43, v9
	v_and_b32_e32 v9, 0x7f800000, v50
	v_cmp_ne_u32_e64 s[0:1], s46, v9
                                        ; implicit-def: $vgpr9
	s_and_saveexec_b64 s[16:17], s[0:1]
	s_xor_b64 s[0:1], exec, s[16:17]
; %bb.71:                               ;   in Loop: Header=BB344_10 Depth=1
	v_bfe_u32 v9, v50, 16, 1
	v_add3_u32 v9, v50, v9, s47
                                        ; implicit-def: $vgpr50
; %bb.72:                               ;   in Loop: Header=BB344_10 Depth=1
	s_andn2_saveexec_b64 s[16:17], s[0:1]
; %bb.73:                               ;   in Loop: Header=BB344_10 Depth=1
	v_or_b32_e32 v9, 0x10000, v50
	v_cmp_eq_u32_sdwa s[0:1], v50, v3 src0_sel:WORD_0 src1_sel:DWORD
	s_nop 1
	v_cndmask_b32_e64 v9, v9, v50, s[0:1]
; %bb.74:                               ;   in Loop: Header=BB344_10 Depth=1
	s_or_b64 exec, exec, s[16:17]
	v_and_b32_e32 v38, 0xffff0000, v38
	v_and_b32_e32 v39, 0xffff0000, v39
	;; [unrolled: 1-line block ×3, first 2 shown]
	v_mul_f32_e32 v38, v15, v38
	v_and_b32_e32 v37, 0xffff0000, v37
	v_fmac_f32_e32 v38, v1, v36
	v_mul_f32_e32 v36, v16, v39
	v_and_b32_e32 v41, 0xffff0000, v41
	v_and_b32_e32 v40, 0xffff0000, v40
	v_fmac_f32_e32 v36, v14, v37
	v_and_b32_e32 v43, 0xffff0000, v43
	v_and_b32_e32 v42, 0xffff0000, v42
	v_fmac_f32_e32 v38, v17, v40
	v_fmac_f32_e32 v36, v19, v41
	v_and_b32_e32 v45, 0xffff0000, v45
	v_and_b32_e32 v44, 0xffff0000, v44
	v_fmac_f32_e32 v38, v20, v42
	;; [unrolled: 4-line block ×5, first 2 shown]
	v_fmac_f32_e32 v36, v27, v49
	v_fmac_f32_e32 v38, v28, v8
	;; [unrolled: 1-line block ×3, first 2 shown]
	v_add_f32_e32 v8, v38, v36
	ds_bpermute_b32 v9, v31, v8
	s_waitcnt lgkmcnt(0)
	v_add_f32_e32 v8, v8, v9
	ds_bpermute_b32 v9, v32, v8
	s_and_saveexec_b64 s[16:17], vcc
	s_cbranch_execz .LBB344_9
; %bb.75:                               ;   in Loop: Header=BB344_10 Depth=1
	v_add_u32_e32 v36, s44, v33
	v_cvt_f32_i32_e32 v36, v36
	s_waitcnt lgkmcnt(0)
	v_add_f32_e32 v8, v8, v9
	v_cmp_gt_i32_e64 s[0:1], s33, v33
	v_max_f32_e32 v9, v30, v30
	v_mul_f32_e32 v36, s5, v36
	v_cndmask_b32_e64 v36, 0, v36, s[6:7]
	v_fmac_f32_e32 v36, s11, v8
	v_cndmask_b32_e64 v8, 0, v36, s[0:1]
	ds_write_b32 v34, v8
	v_max_f32_e32 v8, v9, v36
	v_cndmask_b32_e64 v30, v30, v8, s[0:1]
	s_branch .LBB344_9
.LBB344_76:
	s_or_b64 exec, exec, s[14:15]
.LBB344_77:
	s_or_b64 exec, exec, s[38:39]
	v_xor_b32_e32 v1, 32, v12
	v_cmp_lt_i32_e32 vcc, v1, v13
	v_xor_b32_e32 v4, 16, v12
	v_max_f32_e32 v3, v30, v30
	v_cndmask_b32_e32 v1, v12, v1, vcc
	v_lshlrev_b32_e32 v2, 2, v1
	ds_bpermute_b32 v1, v2, v30
	v_cmp_lt_i32_e32 vcc, v4, v13
	v_xor_b32_e32 v5, 8, v12
	s_waitcnt lgkmcnt(0)
	v_max_f32_e32 v1, v1, v1
	v_max_f32_e32 v1, v3, v1
	v_cndmask_b32_e32 v3, v12, v4, vcc
	v_lshlrev_b32_e32 v3, 2, v3
	ds_bpermute_b32 v4, v3, v1
	v_cmp_lt_i32_e32 vcc, v5, v13
	s_waitcnt lgkmcnt(0)
	v_max_f32_e32 v4, v4, v4
	v_max_f32_e32 v1, v1, v4
	v_cndmask_b32_e32 v4, v12, v5, vcc
	v_lshlrev_b32_e32 v7, 2, v4
	ds_bpermute_b32 v4, v7, v1
	v_xor_b32_e32 v5, 4, v12
	v_cmp_lt_i32_e32 vcc, v5, v13
	s_waitcnt lgkmcnt(0)
	v_max_f32_e32 v4, v4, v4
	v_max_f32_e32 v4, v1, v4
	v_cndmask_b32_e32 v1, v12, v5, vcc
	v_lshlrev_b32_e32 v8, 2, v1
	ds_bpermute_b32 v6, v8, v4
	v_and_b32_e32 v1, 63, v0
	v_cmp_eq_u32_e32 vcc, 0, v1
	v_lshlrev_b32_e32 v5, 2, v18
	s_and_saveexec_b64 s[0:1], vcc
	s_cbranch_execz .LBB344_79
; %bb.78:
	s_waitcnt lgkmcnt(0)
	v_max_f32_e32 v6, v6, v6
	v_max_f32_e32 v4, v4, v4
	;; [unrolled: 1-line block ×3, first 2 shown]
	ds_write_b32 v5, v4 offset:128
.LBB344_79:
	s_or_b64 exec, exec, s[0:1]
	v_cmp_gt_u32_e64 s[0:1], 2, v1
	v_mov_b32_e32 v4, 0xff7fffff
	s_waitcnt lgkmcnt(0)
	v_lshlrev_b32_e32 v6, 2, v1
	s_barrier
	s_and_saveexec_b64 s[6:7], s[0:1]
	s_cbranch_execz .LBB344_81
; %bb.80:
	ds_read_b32 v4, v6 offset:128
.LBB344_81:
	s_or_b64 exec, exec, s[6:7]
	v_xor_b32_e32 v9, 1, v12
	v_cmp_lt_i32_e64 s[6:7], v9, v13
	s_sub_i32 s3, s27, s3
	s_lshl_b32 s3, s3, 4
	v_cndmask_b32_e64 v9, v12, v9, s[6:7]
	v_lshlrev_b32_e32 v20, 2, v9
	s_waitcnt lgkmcnt(0)
	ds_bpermute_b32 v9, v20, v4
	v_max_f32_e32 v4, v4, v4
	s_add_i32 s3, s3, s40
	s_min_i32 s5, s3, s33
	s_sub_i32 s3, s5, s40
	s_waitcnt lgkmcnt(0)
	v_max_f32_e32 v9, v9, v9
	v_max_f32_e32 v4, v4, v9
	v_lshlrev_b32_e32 v9, 2, v12
	v_and_b32_e32 v9, 0xffffff00, v9
	ds_bpermute_b32 v4, v9, v4
	v_cmp_gt_i32_e64 s[6:7], s3, v0
	v_mov_b32_e32 v14, 0
	s_and_saveexec_b64 s[14:15], s[6:7]
	s_cbranch_execz .LBB344_85
; %bb.82:
	v_mov_b32_e32 v14, 0x90
	v_lshl_add_u32 v15, v0, 2, v14
	s_mov_b64 s[16:17], 0
	v_mov_b32_e32 v14, 0
	v_mov_b32_e32 v16, v0
.LBB344_83:                             ; =>This Inner Loop Header: Depth=1
	ds_read_b32 v17, v15
	v_add_u32_e32 v16, 0x80, v16
	v_cmp_le_i32_e64 s[10:11], s3, v16
	s_or_b64 s[16:17], s[10:11], s[16:17]
	s_waitcnt lgkmcnt(0)
	v_sub_f32_e32 v17, v17, v4
	v_mul_f32_e32 v17, 0x3fb8aa3b, v17
	v_exp_f32_e32 v17, v17
	ds_write_b32 v15, v17
	v_add_f32_e32 v14, v14, v17
	v_add_u32_e32 v15, 0x200, v15
	s_andn2_b64 exec, exec, s[16:17]
	s_cbranch_execnz .LBB344_83
; %bb.84:
	s_or_b64 exec, exec, s[16:17]
.LBB344_85:
	s_or_b64 exec, exec, s[14:15]
	ds_bpermute_b32 v2, v2, v14
	s_waitcnt lgkmcnt(0)
	v_add_f32_e32 v2, v14, v2
	ds_bpermute_b32 v3, v3, v2
	s_waitcnt lgkmcnt(0)
	v_add_f32_e32 v2, v2, v3
	ds_bpermute_b32 v3, v7, v2
	v_xor_b32_e32 v7, 2, v12
	v_cmp_lt_i32_e64 s[10:11], v7, v13
	s_waitcnt lgkmcnt(0)
	v_add_f32_e32 v2, v2, v3
	ds_bpermute_b32 v3, v8, v2
	v_cndmask_b32_e64 v7, v12, v7, s[10:11]
	s_waitcnt lgkmcnt(0)
	v_add_f32_e32 v2, v2, v3
	v_lshlrev_b32_e32 v3, 2, v7
	ds_bpermute_b32 v3, v3, v2
	s_waitcnt lgkmcnt(0)
	v_add_f32_e32 v2, v2, v3
	ds_bpermute_b32 v3, v20, v2
	s_waitcnt lgkmcnt(0)
	v_add_f32_e32 v2, v2, v3
	s_and_saveexec_b64 s[10:11], vcc
	s_cbranch_execz .LBB344_87
; %bb.86:
	ds_write_b32 v5, v2 offset:136
.LBB344_87:
	s_or_b64 exec, exec, s[10:11]
	s_waitcnt lgkmcnt(0)
	s_barrier
	s_and_saveexec_b64 s[10:11], s[0:1]
	s_cbranch_execz .LBB344_89
; %bb.88:
	ds_read_b32 v2, v6 offset:136
.LBB344_89:
	s_or_b64 exec, exec, s[10:11]
	s_waitcnt lgkmcnt(0)
	ds_bpermute_b32 v3, v20, v2
	s_waitcnt lgkmcnt(0)
	v_add_f32_e32 v2, v2, v3
	ds_bpermute_b32 v5, v9, v2
	s_and_saveexec_b64 s[0:1], s[6:7]
	s_cbranch_execz .LBB344_102
; %bb.90:
	s_waitcnt lgkmcnt(0)
	v_add_f32_e32 v2, 0x358637bd, v5
	v_div_scale_f32 v3, s[6:7], v2, v2, 1.0
	v_rcp_f32_e32 v6, v3
	v_div_scale_f32 v7, vcc, 1.0, v2, 1.0
	s_mov_b64 s[10:11], -1
	v_fma_f32 v8, -v3, v6, 1.0
	v_fmac_f32_e32 v6, v8, v6
	v_mul_f32_e32 v8, v7, v6
	v_fma_f32 v9, -v3, v8, v7
	v_fmac_f32_e32 v8, v9, v6
	v_fma_f32 v3, -v3, v8, v7
	v_div_fmas_f32 v3, v3, v6, v8
	v_div_fixup_f32 v2, v3, v2, 1.0
	v_xad_u32 v3, v0, -1, s5
	v_subrev_u32_e32 v6, s40, v3
	s_movk_i32 s5, 0x7f
	v_cmp_lt_u32_e32 vcc, s5, v6
	v_mov_b32_e32 v3, v0
	s_and_saveexec_b64 s[6:7], vcc
	s_cbranch_execz .LBB344_99
; %bb.91:
	v_lshrrev_b32_e32 v6, 7, v6
	v_add_u32_e32 v8, -1, v6
	v_lshrrev_b32_e32 v7, 1, v8
	v_mov_b32_e32 v3, v2
	v_add_u32_e32 v7, 1, v7
	v_cmp_lt_u32_e32 vcc, 13, v8
	v_mov_b32_e32 v12, 0
	s_and_saveexec_b64 s[10:11], vcc
	s_cbranch_execz .LBB344_95
; %bb.92:
	v_mov_b32_e32 v9, 0x90
	v_and_b32_e32 v8, -8, v7
	v_lshl_add_u32 v9, v0, 2, v9
	s_mov_b32 s5, 0
	s_mov_b64 s[14:15], 0
.LBB344_93:                             ; =>This Inner Loop Header: Depth=1
	ds_read2st64_b32 v[12:13], v9 offset1:2
	ds_read2st64_b32 v[14:15], v9 offset0:4 offset1:6
	ds_read2st64_b32 v[16:17], v9 offset0:8 offset1:10
	;; [unrolled: 1-line block ×3, first 2 shown]
	v_add_u32_e32 v8, -8, v8
	s_waitcnt lgkmcnt(3)
	v_pk_mul_f32 v[12:13], v[2:3], v[12:13]
	s_waitcnt lgkmcnt(2)
	v_pk_mul_f32 v[14:15], v[2:3], v[14:15]
	ds_write2st64_b32 v9, v12, v13 offset1:2
	ds_write2st64_b32 v9, v14, v15 offset0:4 offset1:6
	ds_read2st64_b32 v[14:15], v9 offset0:16 offset1:18
	s_waitcnt lgkmcnt(4)
	v_pk_mul_f32 v[12:13], v[2:3], v[16:17]
	ds_write2st64_b32 v9, v12, v13 offset0:8 offset1:10
	s_waitcnt lgkmcnt(4)
	v_pk_mul_f32 v[12:13], v[2:3], v[22:23]
	ds_write2st64_b32 v9, v12, v13 offset0:12 offset1:14
	ds_read2st64_b32 v[12:13], v9 offset0:20 offset1:22
	s_waitcnt lgkmcnt(3)
	v_pk_mul_f32 v[14:15], v[2:3], v[14:15]
	ds_read2st64_b32 v[16:17], v9 offset0:24 offset1:26
	ds_write2st64_b32 v9, v14, v15 offset0:16 offset1:18
	ds_read2st64_b32 v[14:15], v9 offset0:28 offset1:30
	s_waitcnt lgkmcnt(3)
	v_pk_mul_f32 v[12:13], v[2:3], v[12:13]
	ds_write2st64_b32 v9, v12, v13 offset0:20 offset1:22
	s_waitcnt lgkmcnt(3)
	v_pk_mul_f32 v[12:13], v[2:3], v[16:17]
	ds_write2st64_b32 v9, v12, v13 offset0:24 offset1:26
	s_waitcnt lgkmcnt(2)
	v_pk_mul_f32 v[12:13], v[2:3], v[14:15]
	s_add_i32 s5, s5, 16
	v_cmp_eq_u32_e32 vcc, 0, v8
	ds_write2st64_b32 v9, v12, v13 offset0:28 offset1:30
	v_add_u32_e32 v9, 0x2000, v9
	s_or_b64 s[14:15], vcc, s[14:15]
	v_mov_b32_e32 v12, s5
	s_andn2_b64 exec, exec, s[14:15]
	s_cbranch_execnz .LBB344_93
; %bb.94:
	s_or_b64 exec, exec, s[14:15]
.LBB344_95:
	s_or_b64 exec, exec, s[10:11]
	v_and_b32_e32 v7, 7, v7
	v_cmp_ne_u32_e32 vcc, 0, v7
	s_and_saveexec_b64 s[10:11], vcc
	s_cbranch_execz .LBB344_98
; %bb.96:
	v_lshlrev_b32_e32 v8, 9, v12
	v_lshlrev_b32_e32 v9, 2, v0
	s_movk_i32 s5, 0x90
	v_add3_u32 v8, v8, v9, s5
	s_mov_b64 s[14:15], 0
.LBB344_97:                             ; =>This Inner Loop Header: Depth=1
	ds_read2st64_b32 v[12:13], v8 offset1:2
	v_add_u32_e32 v7, -1, v7
	v_cmp_eq_u32_e32 vcc, 0, v7
	s_or_b64 s[14:15], vcc, s[14:15]
	s_waitcnt lgkmcnt(0)
	v_pk_mul_f32 v[12:13], v[2:3], v[12:13]
	ds_write2st64_b32 v8, v12, v13 offset1:2
	v_add_u32_e32 v8, 0x400, v8
	s_andn2_b64 exec, exec, s[14:15]
	s_cbranch_execnz .LBB344_97
.LBB344_98:
	s_or_b64 exec, exec, s[10:11]
	v_add_u32_e32 v6, 1, v6
	v_and_b32_e32 v7, 0x3fffffe, v6
	v_cmp_ne_u32_e32 vcc, v6, v7
	v_lshl_add_u32 v3, v7, 7, v0
	s_orn2_b64 s[10:11], vcc, exec
.LBB344_99:
	s_or_b64 exec, exec, s[6:7]
	s_and_b64 exec, exec, s[10:11]
	s_cbranch_execz .LBB344_102
; %bb.100:
	v_mov_b32_e32 v6, 0x90
	v_lshl_add_u32 v6, v3, 2, v6
	s_mov_b64 s[6:7], 0
.LBB344_101:                            ; =>This Inner Loop Header: Depth=1
	ds_read_b32 v7, v6
	v_add_u32_e32 v3, 0x80, v3
	v_cmp_le_i32_e32 vcc, s3, v3
	s_or_b64 s[6:7], vcc, s[6:7]
	s_waitcnt lgkmcnt(0)
	v_mul_f32_e32 v7, v2, v7
	ds_write_b32 v6, v7
	v_add_u32_e32 v6, 0x200, v6
	s_andn2_b64 exec, exec, s[6:7]
	s_cbranch_execnz .LBB344_101
.LBB344_102:
	s_or_b64 exec, exec, s[0:1]
	v_cmp_eq_u32_e32 vcc, 0, v0
	s_waitcnt lgkmcnt(0)
	s_barrier
	s_and_saveexec_b64 s[0:1], vcc
	s_cbranch_execz .LBB344_104
; %bb.103:
	s_mul_i32 s3, s12, s24
	s_mul_i32 s6, s3, s25
	s_ashr_i32 s7, s6, 31
	s_lshl_b64 s[6:7], s[6:7], 2
	s_add_u32 s5, s22, s6
	s_mul_i32 s2, s12, s2
	s_addc_u32 s10, s23, s7
	s_ashr_i32 s3, s2, 31
	s_lshl_b64 s[2:3], s[2:3], 2
	s_add_u32 s14, s5, s2
	s_addc_u32 s15, s10, s3
	s_ashr_i32 s5, s4, 31
	s_lshl_b64 s[10:11], s[4:5], 2
	s_add_u32 s14, s14, s10
	s_addc_u32 s15, s15, s11
	s_add_u32 s5, s20, s6
	s_addc_u32 s6, s21, s7
	;; [unrolled: 2-line block ×3, first 2 shown]
	s_add_u32 s2, s2, s10
	v_mov_b32_e32 v2, 0
	s_addc_u32 s3, s3, s11
	global_store_dword v2, v4, s[14:15]
	global_store_dword v2, v5, s[2:3]
.LBB344_104:
	s_or_b64 exec, exec, s[0:1]
	v_mov_b32_e32 v13, 0
	v_and_b32_e32 v21, 1, v0
	v_mov_b32_e32 v12, v13
	s_and_saveexec_b64 s[2:3], s[8:9]
	s_cbranch_execz .LBB344_272
; %bb.105:
	s_ashr_i32 s1, s42, 31
	v_lshlrev_b32_e32 v2, 3, v0
	s_add_u32 s0, s36, s42
	s_addc_u32 s1, s37, s1
	s_load_dword s10, s[18:19], 0x0
	v_and_b32_e32 v14, 0x1f8, v2
	v_mov_b32_e32 v15, 0
	v_and_b32_e32 v3, 8, v2
	s_add_i32 s11, s41, -1
	v_lshl_add_u64 v[16:17], s[0:1], 0, v[14:15]
	v_lshl_add_u32 v2, v18, 4, s40
	s_lshl_b64 s[0:1], s[34:35], 2
	v_add3_u32 v14, v2, v3, 7
	v_lshlrev_b32_e32 v2, 5, v21
	s_add_u32 s0, s30, s0
	v_lshl_or_b32 v2, v18, 6, v2
	s_addc_u32 s1, s31, s1
	s_mov_b32 s5, s13
	v_add_u32_e32 v22, 0x90, v2
	v_lshl_add_u64 v[18:19], v[10:11], 2, s[0:1]
	s_mov_b64 s[6:7], 0
	s_mov_b32 s13, 0x7f800000
	s_movk_i32 s14, 0x7fff
	v_mov_b32_e32 v12, 0
	v_mov_b32_e32 v13, v15
	s_branch .LBB344_107
.LBB344_106:                            ;   in Loop: Header=BB344_107 Depth=1
	s_or_b64 exec, exec, s[0:1]
	v_and_b32_e32 v33, 0xffff0000, v7
	v_and_b32_e32 v32, 0xffff0000, v5
	;; [unrolled: 1-line block ×4, first 2 shown]
	v_pk_add_f32 v[4:5], v[4:5], v[32:33]
	v_and_b32_e32 v31, 0xffff0000, v30
	v_and_b32_e32 v30, 0xffff0000, v9
	;; [unrolled: 1-line block ×4, first 2 shown]
	v_mov_b32_e32 v6, v5
	v_pk_add_f32 v[4:5], v[4:5], v[6:7]
	v_pk_add_f32 v[6:7], v[8:9], v[30:31]
	v_and_b32_e32 v8, 0xffff0000, v26
	v_pk_add_f32 v[4:5], v[4:5], v[6:7]
	v_mov_b32_e32 v6, v7
	v_pk_add_f32 v[4:5], v[4:5], v[6:7]
	v_and_b32_e32 v7, 0xffff0000, v3
	v_and_b32_e32 v6, 0xffff0000, v27
	;; [unrolled: 1-line block ×6, first 2 shown]
	v_pk_add_f32 v[2:3], v[2:3], v[26:27]
	v_and_b32_e32 v9, 0xffff0000, v28
	v_mov_b32_e32 v24, v3
	v_pk_add_f32 v[2:3], v[2:3], v[24:25]
	v_pk_add_f32 v[6:7], v[8:9], v[6:7]
	v_add_u32_e32 v10, 2, v10
	v_pk_add_f32 v[2:3], v[2:3], v[6:7]
	v_mov_b32_e32 v6, v7
	v_pk_add_f32 v[2:3], v[2:3], v[6:7]
	v_pk_add_f32 v[4:5], v[12:13], v[4:5]
	v_mov_b32_e32 v3, v2
	v_pk_add_f32 v[12:13], v[12:13], v[2:3]
	v_cmp_le_i32_e32 vcc, s27, v10
	v_mov_b32_e32 v12, v4
	v_add_u32_e32 v14, 32, v14
	v_add_u32_e32 v22, 0x80, v22
	s_or_b64 s[6:7], vcc, s[6:7]
	v_lshl_add_u64 v[18:19], v[18:19], 0, 8
	s_andn2_b64 exec, exec, s[6:7]
	s_cbranch_execz .LBB344_271
.LBB344_107:                            ; =>This Inner Loop Header: Depth=1
	global_load_dword v23, v[18:19], off
	ds_read2_b64 v[6:9], v22 offset1:1
	ds_read2_b64 v[2:5], v22 offset0:2 offset1:3
                                        ; implicit-def: $vgpr31
	s_waitcnt lgkmcnt(0)
	v_and_b32_e32 v11, 0x7f800000, v6
	v_cmp_ne_u32_e32 vcc, s13, v11
	s_and_saveexec_b64 s[0:1], vcc
	s_xor_b64 s[0:1], exec, s[0:1]
; %bb.108:                              ;   in Loop: Header=BB344_107 Depth=1
	v_bfe_u32 v11, v6, 16, 1
	v_add3_u32 v31, v6, v11, s14
; %bb.109:                              ;   in Loop: Header=BB344_107 Depth=1
	s_andn2_saveexec_b64 s[0:1], s[0:1]
; %bb.110:                              ;   in Loop: Header=BB344_107 Depth=1
	v_or_b32_e32 v11, 0x10000, v6
	v_cmp_eq_u32_sdwa vcc, v6, v15 src0_sel:WORD_0 src1_sel:DWORD
	s_nop 1
	v_cndmask_b32_e32 v31, v11, v6, vcc
; %bb.111:                              ;   in Loop: Header=BB344_107 Depth=1
	s_or_b64 exec, exec, s[0:1]
	v_and_b32_e32 v6, 0x7f800000, v7
	v_cmp_ne_u32_e32 vcc, s13, v6
                                        ; implicit-def: $vgpr32
	s_and_saveexec_b64 s[0:1], vcc
	s_xor_b64 s[0:1], exec, s[0:1]
; %bb.112:                              ;   in Loop: Header=BB344_107 Depth=1
	v_bfe_u32 v6, v7, 16, 1
	v_add3_u32 v32, v7, v6, s14
; %bb.113:                              ;   in Loop: Header=BB344_107 Depth=1
	s_andn2_saveexec_b64 s[0:1], s[0:1]
; %bb.114:                              ;   in Loop: Header=BB344_107 Depth=1
	v_or_b32_e32 v6, 0x10000, v7
	v_cmp_eq_u32_sdwa vcc, v7, v15 src0_sel:WORD_0 src1_sel:DWORD
	s_nop 1
	v_cndmask_b32_e32 v32, v6, v7, vcc
; %bb.115:                              ;   in Loop: Header=BB344_107 Depth=1
	s_or_b64 exec, exec, s[0:1]
	v_and_b32_e32 v6, 0x7f800000, v8
	v_cmp_ne_u32_e32 vcc, s13, v6
                                        ; implicit-def: $vgpr33
	s_and_saveexec_b64 s[0:1], vcc
	s_xor_b64 s[0:1], exec, s[0:1]
; %bb.116:                              ;   in Loop: Header=BB344_107 Depth=1
	v_bfe_u32 v6, v8, 16, 1
	v_add3_u32 v33, v8, v6, s14
; %bb.117:                              ;   in Loop: Header=BB344_107 Depth=1
	s_andn2_saveexec_b64 s[0:1], s[0:1]
; %bb.118:                              ;   in Loop: Header=BB344_107 Depth=1
	v_or_b32_e32 v6, 0x10000, v8
	v_cmp_eq_u32_sdwa vcc, v8, v15 src0_sel:WORD_0 src1_sel:DWORD
	s_nop 1
	v_cndmask_b32_e32 v33, v6, v8, vcc
; %bb.119:                              ;   in Loop: Header=BB344_107 Depth=1
	s_or_b64 exec, exec, s[0:1]
	v_and_b32_e32 v6, 0x7f800000, v9
	v_cmp_ne_u32_e32 vcc, s13, v6
                                        ; implicit-def: $vgpr34
	s_and_saveexec_b64 s[0:1], vcc
	s_xor_b64 s[0:1], exec, s[0:1]
; %bb.120:                              ;   in Loop: Header=BB344_107 Depth=1
	v_bfe_u32 v6, v9, 16, 1
	v_add3_u32 v34, v9, v6, s14
                                        ; implicit-def: $vgpr6_vgpr7_vgpr8_vgpr9
; %bb.121:                              ;   in Loop: Header=BB344_107 Depth=1
	s_andn2_saveexec_b64 s[0:1], s[0:1]
; %bb.122:                              ;   in Loop: Header=BB344_107 Depth=1
	v_or_b32_e32 v6, 0x10000, v9
	v_cmp_eq_u32_sdwa vcc, v9, v15 src0_sel:WORD_0 src1_sel:DWORD
	s_nop 1
	v_cndmask_b32_e32 v34, v6, v9, vcc
; %bb.123:                              ;   in Loop: Header=BB344_107 Depth=1
	s_or_b64 exec, exec, s[0:1]
	v_and_b32_e32 v6, 0x7f800000, v2
	v_cmp_ne_u32_e32 vcc, s13, v6
                                        ; implicit-def: $vgpr8
	s_and_saveexec_b64 s[0:1], vcc
	s_xor_b64 s[0:1], exec, s[0:1]
; %bb.124:                              ;   in Loop: Header=BB344_107 Depth=1
	v_bfe_u32 v6, v2, 16, 1
	v_add3_u32 v8, v2, v6, s14
; %bb.125:                              ;   in Loop: Header=BB344_107 Depth=1
	s_andn2_saveexec_b64 s[0:1], s[0:1]
; %bb.126:                              ;   in Loop: Header=BB344_107 Depth=1
	v_or_b32_e32 v6, 0x10000, v2
	v_cmp_eq_u32_sdwa vcc, v2, v15 src0_sel:WORD_0 src1_sel:DWORD
	s_nop 1
	v_cndmask_b32_e32 v8, v6, v2, vcc
; %bb.127:                              ;   in Loop: Header=BB344_107 Depth=1
	s_or_b64 exec, exec, s[0:1]
	v_and_b32_e32 v2, 0x7f800000, v3
	v_cmp_ne_u32_e32 vcc, s13, v2
                                        ; implicit-def: $vgpr9
	s_and_saveexec_b64 s[0:1], vcc
	s_xor_b64 s[0:1], exec, s[0:1]
; %bb.128:                              ;   in Loop: Header=BB344_107 Depth=1
	v_bfe_u32 v2, v3, 16, 1
	v_add3_u32 v9, v3, v2, s14
; %bb.129:                              ;   in Loop: Header=BB344_107 Depth=1
	s_andn2_saveexec_b64 s[0:1], s[0:1]
; %bb.130:                              ;   in Loop: Header=BB344_107 Depth=1
	v_or_b32_e32 v2, 0x10000, v3
	v_cmp_eq_u32_sdwa vcc, v3, v15 src0_sel:WORD_0 src1_sel:DWORD
	s_nop 1
	v_cndmask_b32_e32 v9, v2, v3, vcc
; %bb.131:                              ;   in Loop: Header=BB344_107 Depth=1
	s_or_b64 exec, exec, s[0:1]
	v_and_b32_e32 v2, 0x7f800000, v4
	v_cmp_ne_u32_e32 vcc, s13, v2
                                        ; implicit-def: $vgpr11
	s_and_saveexec_b64 s[0:1], vcc
	s_xor_b64 s[0:1], exec, s[0:1]
; %bb.132:                              ;   in Loop: Header=BB344_107 Depth=1
	v_bfe_u32 v2, v4, 16, 1
	v_add3_u32 v11, v4, v2, s14
; %bb.133:                              ;   in Loop: Header=BB344_107 Depth=1
	s_andn2_saveexec_b64 s[0:1], s[0:1]
; %bb.134:                              ;   in Loop: Header=BB344_107 Depth=1
	v_or_b32_e32 v2, 0x10000, v4
	v_cmp_eq_u32_sdwa vcc, v4, v15 src0_sel:WORD_0 src1_sel:DWORD
	s_nop 1
	v_cndmask_b32_e32 v11, v2, v4, vcc
; %bb.135:                              ;   in Loop: Header=BB344_107 Depth=1
	s_or_b64 exec, exec, s[0:1]
	v_and_b32_e32 v2, 0x7f800000, v5
	v_cmp_ne_u32_e32 vcc, s13, v2
                                        ; implicit-def: $vgpr30
	s_and_saveexec_b64 s[0:1], vcc
	s_xor_b64 s[0:1], exec, s[0:1]
; %bb.136:                              ;   in Loop: Header=BB344_107 Depth=1
	v_bfe_u32 v2, v5, 16, 1
	v_add3_u32 v30, v5, v2, s14
                                        ; implicit-def: $vgpr2_vgpr3_vgpr4_vgpr5
; %bb.137:                              ;   in Loop: Header=BB344_107 Depth=1
	s_andn2_saveexec_b64 s[0:1], s[0:1]
; %bb.138:                              ;   in Loop: Header=BB344_107 Depth=1
	v_or_b32_e32 v2, 0x10000, v5
	v_cmp_eq_u32_sdwa vcc, v5, v15 src0_sel:WORD_0 src1_sel:DWORD
	s_nop 1
	v_cndmask_b32_e32 v30, v2, v5, vcc
; %bb.139:                              ;   in Loop: Header=BB344_107 Depth=1
	s_or_b64 exec, exec, s[0:1]
	s_waitcnt vmcnt(0)
	v_mad_i64_i32 v[2:3], s[0:1], v23, s5, v[16:17]
	global_load_dwordx2 v[4:5], v[2:3], off
	s_waitcnt vmcnt(0)
	v_and_b32_e32 v6, 0xff, v4
	v_cvt_f32_fp8_sdwa v6, v6 src0_sel:BYTE_0
	s_nop 0
	v_mul_f32_e32 v7, s10, v6
	v_and_b32_e32 v6, 0x7f800000, v7
	v_cmp_ne_u32_e32 vcc, s13, v6
                                        ; implicit-def: $vgpr6
	s_and_saveexec_b64 s[0:1], vcc
	s_xor_b64 s[0:1], exec, s[0:1]
; %bb.140:                              ;   in Loop: Header=BB344_107 Depth=1
	v_bfe_u32 v6, v7, 16, 1
	v_add3_u32 v6, v7, v6, s14
                                        ; implicit-def: $vgpr7
; %bb.141:                              ;   in Loop: Header=BB344_107 Depth=1
	s_andn2_saveexec_b64 s[0:1], s[0:1]
; %bb.142:                              ;   in Loop: Header=BB344_107 Depth=1
	v_or_b32_e32 v6, 0x10000, v7
	v_cmp_eq_u32_sdwa vcc, v7, v15 src0_sel:WORD_0 src1_sel:DWORD
	s_nop 1
	v_cndmask_b32_e32 v6, v6, v7, vcc
; %bb.143:                              ;   in Loop: Header=BB344_107 Depth=1
	s_or_b64 exec, exec, s[0:1]
	v_bfe_u32 v7, v4, 8, 8
	v_cvt_f32_fp8_sdwa v7, v7 src0_sel:BYTE_0
	s_nop 0
	v_mul_f32_e32 v23, s10, v7
	v_and_b32_e32 v7, 0x7f800000, v23
	v_cmp_ne_u32_e32 vcc, s13, v7
                                        ; implicit-def: $vgpr7
	s_and_saveexec_b64 s[0:1], vcc
	s_xor_b64 s[0:1], exec, s[0:1]
; %bb.144:                              ;   in Loop: Header=BB344_107 Depth=1
	v_bfe_u32 v7, v23, 16, 1
	v_add3_u32 v7, v23, v7, s14
                                        ; implicit-def: $vgpr23
; %bb.145:                              ;   in Loop: Header=BB344_107 Depth=1
	s_andn2_saveexec_b64 s[0:1], s[0:1]
; %bb.146:                              ;   in Loop: Header=BB344_107 Depth=1
	v_or_b32_e32 v7, 0x10000, v23
	v_cmp_eq_u32_sdwa vcc, v23, v15 src0_sel:WORD_0 src1_sel:DWORD
	s_nop 1
	v_cndmask_b32_e32 v7, v7, v23, vcc
; %bb.147:                              ;   in Loop: Header=BB344_107 Depth=1
	s_or_b64 exec, exec, s[0:1]
	v_bfe_u32 v23, v4, 16, 8
	v_cvt_f32_fp8_sdwa v23, v23 src0_sel:BYTE_0
	s_nop 0
	v_mul_f32_e32 v23, s10, v23
	v_and_b32_e32 v24, 0x7f800000, v23
	v_cmp_ne_u32_e32 vcc, s13, v24
                                        ; implicit-def: $vgpr24
	s_and_saveexec_b64 s[0:1], vcc
	s_xor_b64 s[0:1], exec, s[0:1]
; %bb.148:                              ;   in Loop: Header=BB344_107 Depth=1
	v_bfe_u32 v24, v23, 16, 1
	v_add3_u32 v24, v23, v24, s14
                                        ; implicit-def: $vgpr23
; %bb.149:                              ;   in Loop: Header=BB344_107 Depth=1
	s_andn2_saveexec_b64 s[0:1], s[0:1]
; %bb.150:                              ;   in Loop: Header=BB344_107 Depth=1
	v_or_b32_e32 v24, 0x10000, v23
	v_cmp_eq_u32_sdwa vcc, v23, v15 src0_sel:WORD_0 src1_sel:DWORD
	s_nop 1
	v_cndmask_b32_e32 v24, v24, v23, vcc
; %bb.151:                              ;   in Loop: Header=BB344_107 Depth=1
	s_or_b64 exec, exec, s[0:1]
	v_lshrrev_b32_e32 v4, 24, v4
	v_cvt_f32_fp8_sdwa v4, v4 src0_sel:BYTE_0
	s_nop 0
	v_mul_f32_e32 v23, s10, v4
	v_and_b32_e32 v4, 0x7f800000, v23
	v_cmp_ne_u32_e32 vcc, s13, v4
                                        ; implicit-def: $vgpr4
	s_and_saveexec_b64 s[0:1], vcc
	s_xor_b64 s[0:1], exec, s[0:1]
; %bb.152:                              ;   in Loop: Header=BB344_107 Depth=1
	v_bfe_u32 v4, v23, 16, 1
	v_add3_u32 v4, v23, v4, s14
                                        ; implicit-def: $vgpr23
; %bb.153:                              ;   in Loop: Header=BB344_107 Depth=1
	s_andn2_saveexec_b64 s[0:1], s[0:1]
; %bb.154:                              ;   in Loop: Header=BB344_107 Depth=1
	v_or_b32_e32 v4, 0x10000, v23
	v_cmp_eq_u32_sdwa vcc, v23, v15 src0_sel:WORD_0 src1_sel:DWORD
	s_nop 1
	v_cndmask_b32_e32 v4, v4, v23, vcc
; %bb.155:                              ;   in Loop: Header=BB344_107 Depth=1
	s_or_b64 exec, exec, s[0:1]
	v_and_b32_e32 v23, 0xff, v5
	v_cvt_f32_fp8_sdwa v23, v23 src0_sel:BYTE_0
	s_nop 0
	v_mul_f32_e32 v23, s10, v23
	v_and_b32_e32 v25, 0x7f800000, v23
	v_cmp_ne_u32_e32 vcc, s13, v25
                                        ; implicit-def: $vgpr25
	s_and_saveexec_b64 s[0:1], vcc
	s_xor_b64 s[0:1], exec, s[0:1]
; %bb.156:                              ;   in Loop: Header=BB344_107 Depth=1
	v_bfe_u32 v25, v23, 16, 1
	v_add3_u32 v25, v23, v25, s14
                                        ; implicit-def: $vgpr23
; %bb.157:                              ;   in Loop: Header=BB344_107 Depth=1
	s_andn2_saveexec_b64 s[0:1], s[0:1]
; %bb.158:                              ;   in Loop: Header=BB344_107 Depth=1
	v_or_b32_e32 v25, 0x10000, v23
	v_cmp_eq_u32_sdwa vcc, v23, v15 src0_sel:WORD_0 src1_sel:DWORD
	s_nop 1
	v_cndmask_b32_e32 v25, v25, v23, vcc
; %bb.159:                              ;   in Loop: Header=BB344_107 Depth=1
	s_or_b64 exec, exec, s[0:1]
	v_bfe_u32 v23, v5, 8, 8
	v_cvt_f32_fp8_sdwa v23, v23 src0_sel:BYTE_0
	s_nop 0
	v_mul_f32_e32 v23, s10, v23
	v_and_b32_e32 v26, 0x7f800000, v23
	v_cmp_ne_u32_e32 vcc, s13, v26
                                        ; implicit-def: $vgpr26
	s_and_saveexec_b64 s[0:1], vcc
	s_xor_b64 s[0:1], exec, s[0:1]
; %bb.160:                              ;   in Loop: Header=BB344_107 Depth=1
	v_bfe_u32 v26, v23, 16, 1
	v_add3_u32 v26, v23, v26, s14
                                        ; implicit-def: $vgpr23
; %bb.161:                              ;   in Loop: Header=BB344_107 Depth=1
	s_andn2_saveexec_b64 s[0:1], s[0:1]
; %bb.162:                              ;   in Loop: Header=BB344_107 Depth=1
	v_or_b32_e32 v26, 0x10000, v23
	v_cmp_eq_u32_sdwa vcc, v23, v15 src0_sel:WORD_0 src1_sel:DWORD
	s_nop 1
	v_cndmask_b32_e32 v26, v26, v23, vcc
; %bb.163:                              ;   in Loop: Header=BB344_107 Depth=1
	s_or_b64 exec, exec, s[0:1]
	v_bfe_u32 v23, v5, 16, 8
	v_cvt_f32_fp8_sdwa v23, v23 src0_sel:BYTE_0
	s_nop 0
	v_mul_f32_e32 v23, s10, v23
	v_and_b32_e32 v27, 0x7f800000, v23
	v_cmp_ne_u32_e32 vcc, s13, v27
                                        ; implicit-def: $vgpr27
	s_and_saveexec_b64 s[0:1], vcc
	s_xor_b64 s[0:1], exec, s[0:1]
; %bb.164:                              ;   in Loop: Header=BB344_107 Depth=1
	v_bfe_u32 v27, v23, 16, 1
	v_add3_u32 v27, v23, v27, s14
                                        ; implicit-def: $vgpr23
; %bb.165:                              ;   in Loop: Header=BB344_107 Depth=1
	s_andn2_saveexec_b64 s[0:1], s[0:1]
; %bb.166:                              ;   in Loop: Header=BB344_107 Depth=1
	v_or_b32_e32 v27, 0x10000, v23
	v_cmp_eq_u32_sdwa vcc, v23, v15 src0_sel:WORD_0 src1_sel:DWORD
	s_nop 1
	v_cndmask_b32_e32 v27, v27, v23, vcc
; %bb.167:                              ;   in Loop: Header=BB344_107 Depth=1
	s_or_b64 exec, exec, s[0:1]
	v_lshrrev_b32_e32 v5, 24, v5
	v_cvt_f32_fp8_sdwa v5, v5 src0_sel:BYTE_0
                                        ; implicit-def: $vgpr28
	s_nop 0
	v_mul_f32_e32 v5, s10, v5
	v_and_b32_e32 v23, 0x7f800000, v5
	v_cmp_ne_u32_e32 vcc, s13, v23
	s_and_saveexec_b64 s[0:1], vcc
	s_xor_b64 s[0:1], exec, s[0:1]
; %bb.168:                              ;   in Loop: Header=BB344_107 Depth=1
	v_bfe_u32 v23, v5, 16, 1
	v_add3_u32 v28, v5, v23, s14
                                        ; implicit-def: $vgpr5
; %bb.169:                              ;   in Loop: Header=BB344_107 Depth=1
	s_andn2_saveexec_b64 s[0:1], s[0:1]
; %bb.170:                              ;   in Loop: Header=BB344_107 Depth=1
	v_or_b32_e32 v23, 0x10000, v5
	v_cmp_eq_u32_sdwa vcc, v5, v15 src0_sel:WORD_0 src1_sel:DWORD
	s_nop 1
	v_cndmask_b32_e32 v28, v23, v5, vcc
; %bb.171:                              ;   in Loop: Header=BB344_107 Depth=1
	s_or_b64 exec, exec, s[0:1]
	v_cmp_eq_u32_e32 vcc, s11, v10
	v_add_u32_e32 v23, -7, v14
	v_lshrrev_b32_e32 v37, 16, v26
	v_lshrrev_b32_e32 v36, 16, v25
	;; [unrolled: 1-line block ×8, first 2 shown]
	v_add_u32_e32 v29, -6, v14
	v_add_u32_e32 v28, -5, v14
	;; [unrolled: 1-line block ×6, first 2 shown]
	s_and_saveexec_b64 s[8:9], vcc
	s_cbranch_execz .LBB344_173
; %bb.172:                              ;   in Loop: Header=BB344_107 Depth=1
	v_cmp_gt_i32_e64 s[0:1], s33, v23
	s_nop 1
	v_cndmask_b32_e64 v4, 0, v4, s[0:1]
	v_cmp_gt_i32_e64 s[0:1], s33, v29
	s_nop 1
	v_cndmask_b32_e64 v5, 0, v5, s[0:1]
	;; [unrolled: 3-line block ×8, first 2 shown]
.LBB344_173:                            ;   in Loop: Header=BB344_107 Depth=1
	s_or_b64 exec, exec, s[8:9]
	v_and_b32_e32 v31, 0xffff0000, v31
	v_lshlrev_b32_e32 v4, 16, v4
	v_mul_f32_e32 v6, v31, v4
	v_and_b32_e32 v4, 0x7f800000, v6
	v_cmp_ne_u32_e64 s[0:1], s13, v4
                                        ; implicit-def: $vgpr4
	s_and_saveexec_b64 s[8:9], s[0:1]
	s_xor_b64 s[0:1], exec, s[8:9]
; %bb.174:                              ;   in Loop: Header=BB344_107 Depth=1
	v_bfe_u32 v4, v6, 16, 1
	v_add3_u32 v4, v6, v4, s14
                                        ; implicit-def: $vgpr6
; %bb.175:                              ;   in Loop: Header=BB344_107 Depth=1
	s_andn2_saveexec_b64 s[8:9], s[0:1]
; %bb.176:                              ;   in Loop: Header=BB344_107 Depth=1
	v_or_b32_e32 v4, 0x10000, v6
	v_cmp_eq_u32_sdwa s[0:1], v6, v15 src0_sel:WORD_0 src1_sel:DWORD
	s_nop 1
	v_cndmask_b32_e64 v4, v4, v6, s[0:1]
; %bb.177:                              ;   in Loop: Header=BB344_107 Depth=1
	s_or_b64 exec, exec, s[8:9]
	v_and_b32_e32 v32, 0xffff0000, v32
	v_lshlrev_b32_e32 v5, 16, v5
	v_mul_f32_e32 v6, v32, v5
	v_and_b32_e32 v5, 0x7f800000, v6
	v_cmp_ne_u32_e64 s[0:1], s13, v5
                                        ; implicit-def: $vgpr5
	s_and_saveexec_b64 s[8:9], s[0:1]
	s_xor_b64 s[0:1], exec, s[8:9]
; %bb.178:                              ;   in Loop: Header=BB344_107 Depth=1
	v_bfe_u32 v5, v6, 16, 1
	v_add3_u32 v5, v6, v5, s14
                                        ; implicit-def: $vgpr6
; %bb.179:                              ;   in Loop: Header=BB344_107 Depth=1
	s_andn2_saveexec_b64 s[8:9], s[0:1]
; %bb.180:                              ;   in Loop: Header=BB344_107 Depth=1
	v_or_b32_e32 v5, 0x10000, v6
	v_cmp_eq_u32_sdwa s[0:1], v6, v15 src0_sel:WORD_0 src1_sel:DWORD
	s_nop 1
	v_cndmask_b32_e64 v5, v5, v6, s[0:1]
; %bb.181:                              ;   in Loop: Header=BB344_107 Depth=1
	s_or_b64 exec, exec, s[8:9]
	v_and_b32_e32 v33, 0xffff0000, v33
	v_lshlrev_b32_e32 v6, 16, v40
	v_mul_f32_e32 v7, v33, v6
	v_and_b32_e32 v6, 0x7f800000, v7
	v_cmp_ne_u32_e64 s[0:1], s13, v6
                                        ; implicit-def: $vgpr6
	s_and_saveexec_b64 s[8:9], s[0:1]
	s_xor_b64 s[0:1], exec, s[8:9]
; %bb.182:                              ;   in Loop: Header=BB344_107 Depth=1
	v_bfe_u32 v6, v7, 16, 1
	v_add3_u32 v6, v7, v6, s14
                                        ; implicit-def: $vgpr7
; %bb.183:                              ;   in Loop: Header=BB344_107 Depth=1
	s_andn2_saveexec_b64 s[8:9], s[0:1]
; %bb.184:                              ;   in Loop: Header=BB344_107 Depth=1
	v_or_b32_e32 v6, 0x10000, v7
	v_cmp_eq_u32_sdwa s[0:1], v7, v15 src0_sel:WORD_0 src1_sel:DWORD
	s_nop 1
	v_cndmask_b32_e64 v6, v6, v7, s[0:1]
; %bb.185:                              ;   in Loop: Header=BB344_107 Depth=1
	s_or_b64 exec, exec, s[8:9]
	v_and_b32_e32 v34, 0xffff0000, v34
	v_lshlrev_b32_e32 v7, 16, v35
	v_mul_f32_e32 v35, v34, v7
	v_and_b32_e32 v7, 0x7f800000, v35
	v_cmp_ne_u32_e64 s[0:1], s13, v7
                                        ; implicit-def: $vgpr7
	s_and_saveexec_b64 s[8:9], s[0:1]
	s_xor_b64 s[0:1], exec, s[8:9]
; %bb.186:                              ;   in Loop: Header=BB344_107 Depth=1
	v_bfe_u32 v7, v35, 16, 1
	v_add3_u32 v7, v35, v7, s14
                                        ; implicit-def: $vgpr35
; %bb.187:                              ;   in Loop: Header=BB344_107 Depth=1
	s_andn2_saveexec_b64 s[8:9], s[0:1]
; %bb.188:                              ;   in Loop: Header=BB344_107 Depth=1
	v_or_b32_e32 v7, 0x10000, v35
	v_cmp_eq_u32_sdwa s[0:1], v35, v15 src0_sel:WORD_0 src1_sel:DWORD
	s_nop 1
	v_cndmask_b32_e64 v7, v7, v35, s[0:1]
; %bb.189:                              ;   in Loop: Header=BB344_107 Depth=1
	s_or_b64 exec, exec, s[8:9]
	v_and_b32_e32 v35, 0xffff0000, v8
	v_lshlrev_b32_e32 v8, 16, v36
	v_mul_f32_e32 v36, v35, v8
	v_and_b32_e32 v8, 0x7f800000, v36
	v_cmp_ne_u32_e64 s[0:1], s13, v8
                                        ; implicit-def: $vgpr8
	s_and_saveexec_b64 s[8:9], s[0:1]
	s_xor_b64 s[0:1], exec, s[8:9]
; %bb.190:                              ;   in Loop: Header=BB344_107 Depth=1
	v_bfe_u32 v8, v36, 16, 1
	v_add3_u32 v8, v36, v8, s14
                                        ; implicit-def: $vgpr36
; %bb.191:                              ;   in Loop: Header=BB344_107 Depth=1
	s_andn2_saveexec_b64 s[8:9], s[0:1]
; %bb.192:                              ;   in Loop: Header=BB344_107 Depth=1
	v_or_b32_e32 v8, 0x10000, v36
	v_cmp_eq_u32_sdwa s[0:1], v36, v15 src0_sel:WORD_0 src1_sel:DWORD
	s_nop 1
	v_cndmask_b32_e64 v8, v8, v36, s[0:1]
; %bb.193:                              ;   in Loop: Header=BB344_107 Depth=1
	s_or_b64 exec, exec, s[8:9]
	v_and_b32_e32 v36, 0xffff0000, v9
	v_lshlrev_b32_e32 v9, 16, v37
	v_mul_f32_e32 v37, v36, v9
	v_and_b32_e32 v9, 0x7f800000, v37
	v_cmp_ne_u32_e64 s[0:1], s13, v9
                                        ; implicit-def: $vgpr9
	s_and_saveexec_b64 s[8:9], s[0:1]
	s_xor_b64 s[0:1], exec, s[8:9]
; %bb.194:                              ;   in Loop: Header=BB344_107 Depth=1
	v_bfe_u32 v9, v37, 16, 1
	v_add3_u32 v9, v37, v9, s14
                                        ; implicit-def: $vgpr37
; %bb.195:                              ;   in Loop: Header=BB344_107 Depth=1
	s_andn2_saveexec_b64 s[8:9], s[0:1]
; %bb.196:                              ;   in Loop: Header=BB344_107 Depth=1
	v_or_b32_e32 v9, 0x10000, v37
	v_cmp_eq_u32_sdwa s[0:1], v37, v15 src0_sel:WORD_0 src1_sel:DWORD
	s_nop 1
	v_cndmask_b32_e64 v9, v9, v37, s[0:1]
; %bb.197:                              ;   in Loop: Header=BB344_107 Depth=1
	s_or_b64 exec, exec, s[8:9]
	v_and_b32_e32 v37, 0xffff0000, v11
	v_lshlrev_b32_e32 v11, 16, v38
	v_mul_f32_e32 v38, v37, v11
	v_and_b32_e32 v11, 0x7f800000, v38
	v_cmp_ne_u32_e64 s[0:1], s13, v11
                                        ; implicit-def: $vgpr11
	s_and_saveexec_b64 s[8:9], s[0:1]
	s_xor_b64 s[0:1], exec, s[8:9]
; %bb.198:                              ;   in Loop: Header=BB344_107 Depth=1
	v_bfe_u32 v11, v38, 16, 1
	v_add3_u32 v11, v38, v11, s14
                                        ; implicit-def: $vgpr38
; %bb.199:                              ;   in Loop: Header=BB344_107 Depth=1
	s_andn2_saveexec_b64 s[8:9], s[0:1]
; %bb.200:                              ;   in Loop: Header=BB344_107 Depth=1
	v_or_b32_e32 v11, 0x10000, v38
	v_cmp_eq_u32_sdwa s[0:1], v38, v15 src0_sel:WORD_0 src1_sel:DWORD
	s_nop 1
	v_cndmask_b32_e64 v11, v11, v38, s[0:1]
; %bb.201:                              ;   in Loop: Header=BB344_107 Depth=1
	s_or_b64 exec, exec, s[8:9]
	v_and_b32_e32 v38, 0xffff0000, v30
	v_lshlrev_b32_e32 v30, 16, v39
	v_mul_f32_e32 v39, v38, v30
	v_and_b32_e32 v30, 0x7f800000, v39
	v_cmp_ne_u32_e64 s[0:1], s13, v30
                                        ; implicit-def: $vgpr30
	s_and_saveexec_b64 s[8:9], s[0:1]
	s_xor_b64 s[0:1], exec, s[8:9]
; %bb.202:                              ;   in Loop: Header=BB344_107 Depth=1
	v_bfe_u32 v30, v39, 16, 1
	v_add3_u32 v30, v39, v30, s14
                                        ; implicit-def: $vgpr39
; %bb.203:                              ;   in Loop: Header=BB344_107 Depth=1
	s_andn2_saveexec_b64 s[8:9], s[0:1]
; %bb.204:                              ;   in Loop: Header=BB344_107 Depth=1
	v_or_b32_e32 v30, 0x10000, v39
	v_cmp_eq_u32_sdwa s[0:1], v39, v15 src0_sel:WORD_0 src1_sel:DWORD
	s_nop 1
	v_cndmask_b32_e64 v30, v30, v39, s[0:1]
; %bb.205:                              ;   in Loop: Header=BB344_107 Depth=1
	s_or_b64 exec, exec, s[8:9]
	global_load_dwordx2 v[2:3], v[2:3], off offset:512
	s_waitcnt vmcnt(0)
	v_and_b32_e32 v39, 0xff, v2
	v_cvt_f32_fp8_sdwa v39, v39 src0_sel:BYTE_0
	s_nop 0
	v_mul_f32_e32 v40, s10, v39
	v_and_b32_e32 v39, 0x7f800000, v40
	v_cmp_ne_u32_e64 s[0:1], s13, v39
                                        ; implicit-def: $vgpr39
	s_and_saveexec_b64 s[8:9], s[0:1]
	s_xor_b64 s[0:1], exec, s[8:9]
; %bb.206:                              ;   in Loop: Header=BB344_107 Depth=1
	v_bfe_u32 v39, v40, 16, 1
	v_add3_u32 v39, v40, v39, s14
                                        ; implicit-def: $vgpr40
; %bb.207:                              ;   in Loop: Header=BB344_107 Depth=1
	s_andn2_saveexec_b64 s[8:9], s[0:1]
; %bb.208:                              ;   in Loop: Header=BB344_107 Depth=1
	v_or_b32_e32 v39, 0x10000, v40
	v_cmp_eq_u32_sdwa s[0:1], v40, v15 src0_sel:WORD_0 src1_sel:DWORD
	s_nop 1
	v_cndmask_b32_e64 v39, v39, v40, s[0:1]
; %bb.209:                              ;   in Loop: Header=BB344_107 Depth=1
	s_or_b64 exec, exec, s[8:9]
	v_bfe_u32 v40, v2, 8, 8
	v_cvt_f32_fp8_sdwa v40, v40 src0_sel:BYTE_0
	s_nop 0
	v_mul_f32_e32 v41, s10, v40
	v_and_b32_e32 v40, 0x7f800000, v41
	v_cmp_ne_u32_e64 s[0:1], s13, v40
                                        ; implicit-def: $vgpr40
	s_and_saveexec_b64 s[8:9], s[0:1]
	s_xor_b64 s[0:1], exec, s[8:9]
; %bb.210:                              ;   in Loop: Header=BB344_107 Depth=1
	v_bfe_u32 v40, v41, 16, 1
	v_add3_u32 v40, v41, v40, s14
                                        ; implicit-def: $vgpr41
; %bb.211:                              ;   in Loop: Header=BB344_107 Depth=1
	s_andn2_saveexec_b64 s[8:9], s[0:1]
; %bb.212:                              ;   in Loop: Header=BB344_107 Depth=1
	v_or_b32_e32 v40, 0x10000, v41
	v_cmp_eq_u32_sdwa s[0:1], v41, v15 src0_sel:WORD_0 src1_sel:DWORD
	s_nop 1
	v_cndmask_b32_e64 v40, v40, v41, s[0:1]
; %bb.213:                              ;   in Loop: Header=BB344_107 Depth=1
	s_or_b64 exec, exec, s[8:9]
	v_bfe_u32 v41, v2, 16, 8
	v_cvt_f32_fp8_sdwa v41, v41 src0_sel:BYTE_0
	s_nop 0
	v_mul_f32_e32 v41, s10, v41
	v_and_b32_e32 v42, 0x7f800000, v41
	v_cmp_ne_u32_e64 s[0:1], s13, v42
                                        ; implicit-def: $vgpr42
	s_and_saveexec_b64 s[8:9], s[0:1]
	s_xor_b64 s[0:1], exec, s[8:9]
; %bb.214:                              ;   in Loop: Header=BB344_107 Depth=1
	v_bfe_u32 v42, v41, 16, 1
	v_add3_u32 v42, v41, v42, s14
                                        ; implicit-def: $vgpr41
; %bb.215:                              ;   in Loop: Header=BB344_107 Depth=1
	s_andn2_saveexec_b64 s[8:9], s[0:1]
; %bb.216:                              ;   in Loop: Header=BB344_107 Depth=1
	v_or_b32_e32 v42, 0x10000, v41
	v_cmp_eq_u32_sdwa s[0:1], v41, v15 src0_sel:WORD_0 src1_sel:DWORD
	s_nop 1
	v_cndmask_b32_e64 v42, v42, v41, s[0:1]
; %bb.217:                              ;   in Loop: Header=BB344_107 Depth=1
	s_or_b64 exec, exec, s[8:9]
	v_lshrrev_b32_e32 v2, 24, v2
	v_cvt_f32_fp8_sdwa v2, v2 src0_sel:BYTE_0
	s_nop 0
	v_mul_f32_e32 v41, s10, v2
	v_and_b32_e32 v2, 0x7f800000, v41
	v_cmp_ne_u32_e64 s[0:1], s13, v2
                                        ; implicit-def: $vgpr2
	s_and_saveexec_b64 s[8:9], s[0:1]
	s_xor_b64 s[0:1], exec, s[8:9]
; %bb.218:                              ;   in Loop: Header=BB344_107 Depth=1
	v_bfe_u32 v2, v41, 16, 1
	v_add3_u32 v2, v41, v2, s14
                                        ; implicit-def: $vgpr41
; %bb.219:                              ;   in Loop: Header=BB344_107 Depth=1
	s_andn2_saveexec_b64 s[8:9], s[0:1]
; %bb.220:                              ;   in Loop: Header=BB344_107 Depth=1
	v_or_b32_e32 v2, 0x10000, v41
	v_cmp_eq_u32_sdwa s[0:1], v41, v15 src0_sel:WORD_0 src1_sel:DWORD
	s_nop 1
	v_cndmask_b32_e64 v2, v2, v41, s[0:1]
; %bb.221:                              ;   in Loop: Header=BB344_107 Depth=1
	s_or_b64 exec, exec, s[8:9]
	v_and_b32_e32 v41, 0xff, v3
	v_cvt_f32_fp8_sdwa v41, v41 src0_sel:BYTE_0
	s_nop 0
	v_mul_f32_e32 v41, s10, v41
	v_and_b32_e32 v43, 0x7f800000, v41
	v_cmp_ne_u32_e64 s[0:1], s13, v43
                                        ; implicit-def: $vgpr43
	s_and_saveexec_b64 s[8:9], s[0:1]
	s_xor_b64 s[0:1], exec, s[8:9]
; %bb.222:                              ;   in Loop: Header=BB344_107 Depth=1
	v_bfe_u32 v43, v41, 16, 1
	v_add3_u32 v43, v41, v43, s14
                                        ; implicit-def: $vgpr41
; %bb.223:                              ;   in Loop: Header=BB344_107 Depth=1
	s_andn2_saveexec_b64 s[8:9], s[0:1]
; %bb.224:                              ;   in Loop: Header=BB344_107 Depth=1
	v_or_b32_e32 v43, 0x10000, v41
	v_cmp_eq_u32_sdwa s[0:1], v41, v15 src0_sel:WORD_0 src1_sel:DWORD
	s_nop 1
	v_cndmask_b32_e64 v43, v43, v41, s[0:1]
; %bb.225:                              ;   in Loop: Header=BB344_107 Depth=1
	s_or_b64 exec, exec, s[8:9]
	v_bfe_u32 v41, v3, 8, 8
	v_cvt_f32_fp8_sdwa v41, v41 src0_sel:BYTE_0
	s_nop 0
	v_mul_f32_e32 v44, s10, v41
	v_and_b32_e32 v41, 0x7f800000, v44
	v_cmp_ne_u32_e64 s[0:1], s13, v41
                                        ; implicit-def: $vgpr41
	s_and_saveexec_b64 s[8:9], s[0:1]
	s_xor_b64 s[0:1], exec, s[8:9]
; %bb.226:                              ;   in Loop: Header=BB344_107 Depth=1
	v_bfe_u32 v41, v44, 16, 1
	v_add3_u32 v41, v44, v41, s14
                                        ; implicit-def: $vgpr44
; %bb.227:                              ;   in Loop: Header=BB344_107 Depth=1
	s_andn2_saveexec_b64 s[8:9], s[0:1]
; %bb.228:                              ;   in Loop: Header=BB344_107 Depth=1
	v_or_b32_e32 v41, 0x10000, v44
	v_cmp_eq_u32_sdwa s[0:1], v44, v15 src0_sel:WORD_0 src1_sel:DWORD
	s_nop 1
	v_cndmask_b32_e64 v41, v41, v44, s[0:1]
; %bb.229:                              ;   in Loop: Header=BB344_107 Depth=1
	s_or_b64 exec, exec, s[8:9]
	v_bfe_u32 v44, v3, 16, 8
	v_cvt_f32_fp8_sdwa v44, v44 src0_sel:BYTE_0
	s_nop 0
	v_mul_f32_e32 v44, s10, v44
	v_and_b32_e32 v45, 0x7f800000, v44
	v_cmp_ne_u32_e64 s[0:1], s13, v45
                                        ; implicit-def: $vgpr45
	s_and_saveexec_b64 s[8:9], s[0:1]
	s_xor_b64 s[0:1], exec, s[8:9]
; %bb.230:                              ;   in Loop: Header=BB344_107 Depth=1
	v_bfe_u32 v45, v44, 16, 1
	v_add3_u32 v45, v44, v45, s14
                                        ; implicit-def: $vgpr44
; %bb.231:                              ;   in Loop: Header=BB344_107 Depth=1
	s_andn2_saveexec_b64 s[8:9], s[0:1]
; %bb.232:                              ;   in Loop: Header=BB344_107 Depth=1
	v_or_b32_e32 v45, 0x10000, v44
	v_cmp_eq_u32_sdwa s[0:1], v44, v15 src0_sel:WORD_0 src1_sel:DWORD
	s_nop 1
	v_cndmask_b32_e64 v45, v45, v44, s[0:1]
; %bb.233:                              ;   in Loop: Header=BB344_107 Depth=1
	s_or_b64 exec, exec, s[8:9]
	v_lshrrev_b32_e32 v3, 24, v3
	v_cvt_f32_fp8_sdwa v3, v3 src0_sel:BYTE_0
	s_nop 0
	v_mul_f32_e32 v44, s10, v3
	v_and_b32_e32 v3, 0x7f800000, v44
	v_cmp_ne_u32_e64 s[0:1], s13, v3
                                        ; implicit-def: $vgpr3
	s_and_saveexec_b64 s[8:9], s[0:1]
	s_xor_b64 s[0:1], exec, s[8:9]
; %bb.234:                              ;   in Loop: Header=BB344_107 Depth=1
	v_bfe_u32 v3, v44, 16, 1
	v_add3_u32 v3, v44, v3, s14
                                        ; implicit-def: $vgpr44
; %bb.235:                              ;   in Loop: Header=BB344_107 Depth=1
	s_andn2_saveexec_b64 s[8:9], s[0:1]
; %bb.236:                              ;   in Loop: Header=BB344_107 Depth=1
	v_or_b32_e32 v3, 0x10000, v44
	v_cmp_eq_u32_sdwa s[0:1], v44, v15 src0_sel:WORD_0 src1_sel:DWORD
	s_nop 1
	v_cndmask_b32_e64 v3, v3, v44, s[0:1]
; %bb.237:                              ;   in Loop: Header=BB344_107 Depth=1
	s_or_b64 exec, exec, s[8:9]
	v_lshrrev_b32_e32 v41, 16, v41
	v_lshrrev_b32_e32 v43, 16, v43
	v_lshrrev_b32_e32 v44, 16, v2
	v_lshrrev_b32_e32 v42, 16, v42
	v_lshrrev_b32_e32 v40, 16, v40
	v_lshrrev_b32_e32 v2, 16, v39
	v_lshrrev_b32_e32 v39, 16, v45
	v_lshrrev_b32_e32 v3, 16, v3
	s_and_saveexec_b64 s[0:1], vcc
	s_cbranch_execz .LBB344_239
; %bb.238:                              ;   in Loop: Header=BB344_107 Depth=1
	v_cmp_gt_i32_e32 vcc, s33, v23
	s_nop 1
	v_cndmask_b32_e32 v2, 0, v2, vcc
	v_cmp_gt_i32_e32 vcc, s33, v29
	s_nop 1
	v_cndmask_b32_e32 v40, 0, v40, vcc
	;; [unrolled: 3-line block ×8, first 2 shown]
.LBB344_239:                            ;   in Loop: Header=BB344_107 Depth=1
	s_or_b64 exec, exec, s[0:1]
	v_lshlrev_b32_e32 v2, 16, v2
	v_mul_f32_e32 v23, v31, v2
	v_and_b32_e32 v2, 0x7f800000, v23
	v_cmp_ne_u32_e32 vcc, s13, v2
                                        ; implicit-def: $vgpr2
	s_and_saveexec_b64 s[0:1], vcc
	s_xor_b64 s[0:1], exec, s[0:1]
; %bb.240:                              ;   in Loop: Header=BB344_107 Depth=1
	v_bfe_u32 v2, v23, 16, 1
	v_add3_u32 v2, v23, v2, s14
                                        ; implicit-def: $vgpr23
; %bb.241:                              ;   in Loop: Header=BB344_107 Depth=1
	s_andn2_saveexec_b64 s[0:1], s[0:1]
; %bb.242:                              ;   in Loop: Header=BB344_107 Depth=1
	v_or_b32_e32 v2, 0x10000, v23
	v_cmp_eq_u32_sdwa vcc, v23, v15 src0_sel:WORD_0 src1_sel:DWORD
	s_nop 1
	v_cndmask_b32_e32 v2, v2, v23, vcc
; %bb.243:                              ;   in Loop: Header=BB344_107 Depth=1
	s_or_b64 exec, exec, s[0:1]
	v_lshlrev_b32_e32 v23, 16, v40
	v_mul_f32_e32 v24, v32, v23
	v_and_b32_e32 v23, 0x7f800000, v24
	v_cmp_ne_u32_e32 vcc, s13, v23
                                        ; implicit-def: $vgpr23
	s_and_saveexec_b64 s[0:1], vcc
	s_xor_b64 s[0:1], exec, s[0:1]
; %bb.244:                              ;   in Loop: Header=BB344_107 Depth=1
	v_bfe_u32 v23, v24, 16, 1
	v_add3_u32 v23, v24, v23, s14
                                        ; implicit-def: $vgpr24
; %bb.245:                              ;   in Loop: Header=BB344_107 Depth=1
	s_andn2_saveexec_b64 s[0:1], s[0:1]
; %bb.246:                              ;   in Loop: Header=BB344_107 Depth=1
	v_or_b32_e32 v23, 0x10000, v24
	v_cmp_eq_u32_sdwa vcc, v24, v15 src0_sel:WORD_0 src1_sel:DWORD
	s_nop 1
	v_cndmask_b32_e32 v23, v23, v24, vcc
; %bb.247:                              ;   in Loop: Header=BB344_107 Depth=1
	s_or_b64 exec, exec, s[0:1]
	v_lshlrev_b32_e32 v24, 16, v42
	v_mul_f32_e32 v25, v33, v24
	v_and_b32_e32 v24, 0x7f800000, v25
	v_cmp_ne_u32_e32 vcc, s13, v24
                                        ; implicit-def: $vgpr24
	s_and_saveexec_b64 s[0:1], vcc
	s_xor_b64 s[0:1], exec, s[0:1]
; %bb.248:                              ;   in Loop: Header=BB344_107 Depth=1
	v_bfe_u32 v24, v25, 16, 1
	v_add3_u32 v24, v25, v24, s14
                                        ; implicit-def: $vgpr25
; %bb.249:                              ;   in Loop: Header=BB344_107 Depth=1
	s_andn2_saveexec_b64 s[0:1], s[0:1]
; %bb.250:                              ;   in Loop: Header=BB344_107 Depth=1
	v_or_b32_e32 v24, 0x10000, v25
	v_cmp_eq_u32_sdwa vcc, v25, v15 src0_sel:WORD_0 src1_sel:DWORD
	s_nop 1
	v_cndmask_b32_e32 v24, v24, v25, vcc
; %bb.251:                              ;   in Loop: Header=BB344_107 Depth=1
	s_or_b64 exec, exec, s[0:1]
	v_lshlrev_b32_e32 v25, 16, v44
	v_mul_f32_e32 v26, v34, v25
	v_and_b32_e32 v25, 0x7f800000, v26
	v_cmp_ne_u32_e32 vcc, s13, v25
                                        ; implicit-def: $vgpr25
	s_and_saveexec_b64 s[0:1], vcc
	s_xor_b64 s[0:1], exec, s[0:1]
; %bb.252:                              ;   in Loop: Header=BB344_107 Depth=1
	v_bfe_u32 v25, v26, 16, 1
	v_add3_u32 v25, v26, v25, s14
                                        ; implicit-def: $vgpr26
; %bb.253:                              ;   in Loop: Header=BB344_107 Depth=1
	s_andn2_saveexec_b64 s[0:1], s[0:1]
; %bb.254:                              ;   in Loop: Header=BB344_107 Depth=1
	v_or_b32_e32 v25, 0x10000, v26
	v_cmp_eq_u32_sdwa vcc, v26, v15 src0_sel:WORD_0 src1_sel:DWORD
	s_nop 1
	v_cndmask_b32_e32 v25, v25, v26, vcc
; %bb.255:                              ;   in Loop: Header=BB344_107 Depth=1
	s_or_b64 exec, exec, s[0:1]
	v_lshlrev_b32_e32 v26, 16, v43
	v_mul_f32_e32 v27, v35, v26
	v_and_b32_e32 v26, 0x7f800000, v27
	v_cmp_ne_u32_e32 vcc, s13, v26
                                        ; implicit-def: $vgpr26
	s_and_saveexec_b64 s[0:1], vcc
	s_xor_b64 s[0:1], exec, s[0:1]
; %bb.256:                              ;   in Loop: Header=BB344_107 Depth=1
	v_bfe_u32 v26, v27, 16, 1
	v_add3_u32 v26, v27, v26, s14
                                        ; implicit-def: $vgpr27
; %bb.257:                              ;   in Loop: Header=BB344_107 Depth=1
	s_andn2_saveexec_b64 s[0:1], s[0:1]
; %bb.258:                              ;   in Loop: Header=BB344_107 Depth=1
	v_or_b32_e32 v26, 0x10000, v27
	v_cmp_eq_u32_sdwa vcc, v27, v15 src0_sel:WORD_0 src1_sel:DWORD
	s_nop 1
	v_cndmask_b32_e32 v26, v26, v27, vcc
; %bb.259:                              ;   in Loop: Header=BB344_107 Depth=1
	s_or_b64 exec, exec, s[0:1]
	v_lshlrev_b32_e32 v27, 16, v41
	v_mul_f32_e32 v28, v36, v27
	v_and_b32_e32 v27, 0x7f800000, v28
	v_cmp_ne_u32_e32 vcc, s13, v27
                                        ; implicit-def: $vgpr27
	s_and_saveexec_b64 s[0:1], vcc
	s_xor_b64 s[0:1], exec, s[0:1]
; %bb.260:                              ;   in Loop: Header=BB344_107 Depth=1
	v_bfe_u32 v27, v28, 16, 1
	v_add3_u32 v27, v28, v27, s14
                                        ; implicit-def: $vgpr28
; %bb.261:                              ;   in Loop: Header=BB344_107 Depth=1
	s_andn2_saveexec_b64 s[0:1], s[0:1]
; %bb.262:                              ;   in Loop: Header=BB344_107 Depth=1
	v_or_b32_e32 v27, 0x10000, v28
	v_cmp_eq_u32_sdwa vcc, v28, v15 src0_sel:WORD_0 src1_sel:DWORD
	s_nop 1
	v_cndmask_b32_e32 v27, v27, v28, vcc
; %bb.263:                              ;   in Loop: Header=BB344_107 Depth=1
	s_or_b64 exec, exec, s[0:1]
	v_lshlrev_b32_e32 v28, 16, v39
	v_mul_f32_e32 v29, v37, v28
	v_and_b32_e32 v28, 0x7f800000, v29
	v_cmp_ne_u32_e32 vcc, s13, v28
                                        ; implicit-def: $vgpr28
	s_and_saveexec_b64 s[0:1], vcc
	s_xor_b64 s[0:1], exec, s[0:1]
; %bb.264:                              ;   in Loop: Header=BB344_107 Depth=1
	v_bfe_u32 v28, v29, 16, 1
	v_add3_u32 v28, v29, v28, s14
                                        ; implicit-def: $vgpr29
; %bb.265:                              ;   in Loop: Header=BB344_107 Depth=1
	s_andn2_saveexec_b64 s[0:1], s[0:1]
; %bb.266:                              ;   in Loop: Header=BB344_107 Depth=1
	v_or_b32_e32 v28, 0x10000, v29
	v_cmp_eq_u32_sdwa vcc, v29, v15 src0_sel:WORD_0 src1_sel:DWORD
	s_nop 1
	v_cndmask_b32_e32 v28, v28, v29, vcc
; %bb.267:                              ;   in Loop: Header=BB344_107 Depth=1
	s_or_b64 exec, exec, s[0:1]
	v_lshlrev_b32_e32 v3, 16, v3
	v_mul_f32_e32 v29, v38, v3
	v_and_b32_e32 v3, 0x7f800000, v29
	v_cmp_ne_u32_e32 vcc, s13, v3
                                        ; implicit-def: $vgpr3
	s_and_saveexec_b64 s[0:1], vcc
	s_xor_b64 s[0:1], exec, s[0:1]
; %bb.268:                              ;   in Loop: Header=BB344_107 Depth=1
	v_bfe_u32 v3, v29, 16, 1
	v_add3_u32 v3, v29, v3, s14
                                        ; implicit-def: $vgpr29
; %bb.269:                              ;   in Loop: Header=BB344_107 Depth=1
	s_andn2_saveexec_b64 s[0:1], s[0:1]
	s_cbranch_execz .LBB344_106
; %bb.270:                              ;   in Loop: Header=BB344_107 Depth=1
	v_or_b32_e32 v3, 0x10000, v29
	v_cmp_eq_u32_sdwa vcc, v29, v15 src0_sel:WORD_0 src1_sel:DWORD
	s_nop 1
	v_cndmask_b32_e32 v3, v3, v29, vcc
	s_branch .LBB344_106
.LBB344_271:
	s_or_b64 exec, exec, s[6:7]
.LBB344_272:
	s_or_b64 exec, exec, s[2:3]
	ds_bpermute_b32 v2, v20, v12
	ds_bpermute_b32 v3, v20, v13
	v_and_b32_e32 v4, 0x3c1, v0
	v_cmp_eq_u32_e32 vcc, 64, v4
	s_waitcnt lgkmcnt(0)
	s_barrier
	v_pk_add_f32 v[2:3], v[12:13], v[2:3]
	s_and_saveexec_b64 s[0:1], vcc
	s_cbranch_execz .LBB344_274
; %bb.273:
	v_mov_b32_e32 v4, 0x90
	v_lshl_add_u32 v1, v1, 1, v4
	ds_write2_b32 v1, v2, v3 offset1:32
.LBB344_274:
	s_or_b64 exec, exec, s[0:1]
	v_cmp_gt_u32_e32 vcc, 64, v0
	s_waitcnt lgkmcnt(0)
	s_barrier
	s_and_saveexec_b64 s[2:3], vcc
	s_cbranch_execz .LBB344_280
; %bb.275:
	v_cmp_eq_u32_e64 s[0:1], 0, v21
	v_lshrrev_b32_e32 v1, 1, v0
	s_and_saveexec_b64 s[6:7], s[0:1]
	s_cbranch_execz .LBB344_277
; %bb.276:
	v_mov_b32_e32 v4, 0x90
	v_lshl_add_u32 v4, v1, 2, v4
	ds_read_b32 v4, v4
	s_waitcnt lgkmcnt(0)
	v_add_f32_e32 v2, v2, v4
.LBB344_277:
	s_or_b64 exec, exec, s[6:7]
	s_and_saveexec_b64 s[6:7], s[0:1]
	s_cbranch_execz .LBB344_279
; %bb.278:
	v_mov_b32_e32 v4, 0x90
	v_lshl_add_u32 v1, v1, 2, v4
	ds_read_b32 v1, v1 offset:128
	s_waitcnt lgkmcnt(0)
	v_add_f32_e32 v3, v3, v1
.LBB344_279:
	s_or_b64 exec, exec, s[6:7]
.LBB344_280:
	s_or_b64 exec, exec, s[2:3]
	s_barrier
	s_and_saveexec_b64 s[0:1], vcc
	s_cbranch_execz .LBB344_291
; %bb.281:
	v_cmp_eq_u32_e32 vcc, 0, v21
	s_and_b64 exec, exec, vcc
	s_cbranch_execz .LBB344_291
; %bb.282:
	s_mov_b32 s0, 0x7f800000
	v_and_b32_e32 v1, 0x7f800000, v2
	v_cmp_ne_u32_e32 vcc, s0, v1
                                        ; implicit-def: $vgpr4
	s_and_saveexec_b64 s[0:1], vcc
	s_xor_b64 s[0:1], exec, s[0:1]
; %bb.283:
	v_bfe_u32 v1, v2, 16, 1
	s_movk_i32 s2, 0x7fff
	v_add3_u32 v4, v2, v1, s2
; %bb.284:
	s_andn2_saveexec_b64 s[0:1], s[0:1]
; %bb.285:
	v_mov_b32_e32 v1, 0
	v_or_b32_e32 v4, 0x10000, v2
	v_cmp_eq_u32_sdwa vcc, v2, v1 src0_sel:WORD_0 src1_sel:DWORD
	s_nop 1
	v_cndmask_b32_e32 v4, v4, v2, vcc
; %bb.286:
	s_or_b64 exec, exec, s[0:1]
	s_mul_i32 s0, s12, s24
	s_mul_i32 s0, s0, s25
	s_lshl_b32 s0, s0, 6
	s_ashr_i32 s1, s0, 31
	s_lshl_b64 s[0:1], s[0:1], 1
	s_add_u32 s2, s28, s0
	s_mul_i32 s0, s12, s26
	s_addc_u32 s3, s29, s1
	s_ashr_i32 s1, s0, 31
	s_lshl_b64 s[0:1], s[0:1], 1
	s_add_u32 s2, s2, s0
	s_addc_u32 s3, s3, s1
	s_lshl_b32 s0, s4, 6
	s_ashr_i32 s1, s0, 31
	s_lshl_b64 s[0:1], s[0:1], 1
	s_add_u32 s0, s2, s0
	s_mov_b32 s2, 0x7f800000
	v_and_b32_e32 v2, 0x7f800000, v3
	s_addc_u32 s1, s3, s1
	v_and_b32_e32 v0, 0x3fe, v0
	v_mov_b32_e32 v1, 0
	v_cmp_ne_u32_e32 vcc, s2, v2
	global_store_short_d16_hi v0, v4, s[0:1]
                                        ; implicit-def: $vgpr4
	s_and_saveexec_b64 s[2:3], vcc
	s_xor_b64 s[2:3], exec, s[2:3]
; %bb.287:
	v_bfe_u32 v2, v3, 16, 1
	s_movk_i32 s4, 0x7fff
	v_add3_u32 v4, v3, v2, s4
                                        ; implicit-def: $vgpr2_vgpr3
; %bb.288:
	s_or_saveexec_b64 s[2:3], s[2:3]
	v_lshl_add_u64 v[0:1], s[0:1], 0, v[0:1]
	s_xor_b64 exec, exec, s[2:3]
; %bb.289:
	v_mov_b32_e32 v2, 0
	v_or_b32_e32 v4, 0x10000, v3
	v_cmp_eq_u32_sdwa vcc, v3, v2 src0_sel:WORD_0 src1_sel:DWORD
	s_nop 1
	v_cndmask_b32_e32 v4, v4, v3, vcc
; %bb.290:
	s_or_b64 exec, exec, s[2:3]
	global_store_short_d16_hi v[0:1], v4, off offset:64
.LBB344_291:
	s_endpgm
	.section	.rodata,"a",@progbits
	.p2align	6, 0x0
	.amdhsa_kernel _ZN4vllm25paged_attention_v2_kernelI14__hip_bfloat16hLi64ELi16ELi128ELNS_18Fp8KVCacheDataTypeE1ELb0ELi512EEEvPfS3_PT_PKS4_PKT0_SA_ifPKiSC_iPKfiiiSE_SE_iiiii
		.amdhsa_group_segment_fixed_size 144
		.amdhsa_private_segment_fixed_size 0
		.amdhsa_kernarg_size 400
		.amdhsa_user_sgpr_count 2
		.amdhsa_user_sgpr_dispatch_ptr 0
		.amdhsa_user_sgpr_queue_ptr 0
		.amdhsa_user_sgpr_kernarg_segment_ptr 1
		.amdhsa_user_sgpr_dispatch_id 0
		.amdhsa_user_sgpr_kernarg_preload_length 0
		.amdhsa_user_sgpr_kernarg_preload_offset 0
		.amdhsa_user_sgpr_private_segment_size 0
		.amdhsa_uses_dynamic_stack 0
		.amdhsa_enable_private_segment 0
		.amdhsa_system_sgpr_workgroup_id_x 1
		.amdhsa_system_sgpr_workgroup_id_y 1
		.amdhsa_system_sgpr_workgroup_id_z 1
		.amdhsa_system_sgpr_workgroup_info 0
		.amdhsa_system_vgpr_workitem_id 0
		.amdhsa_next_free_vgpr 51
		.amdhsa_next_free_sgpr 48
		.amdhsa_accum_offset 52
		.amdhsa_reserve_vcc 1
		.amdhsa_float_round_mode_32 0
		.amdhsa_float_round_mode_16_64 0
		.amdhsa_float_denorm_mode_32 3
		.amdhsa_float_denorm_mode_16_64 3
		.amdhsa_dx10_clamp 1
		.amdhsa_ieee_mode 1
		.amdhsa_fp16_overflow 0
		.amdhsa_tg_split 0
		.amdhsa_exception_fp_ieee_invalid_op 0
		.amdhsa_exception_fp_denorm_src 0
		.amdhsa_exception_fp_ieee_div_zero 0
		.amdhsa_exception_fp_ieee_overflow 0
		.amdhsa_exception_fp_ieee_underflow 0
		.amdhsa_exception_fp_ieee_inexact 0
		.amdhsa_exception_int_div_zero 0
	.end_amdhsa_kernel
	.section	.text._ZN4vllm25paged_attention_v2_kernelI14__hip_bfloat16hLi64ELi16ELi128ELNS_18Fp8KVCacheDataTypeE1ELb0ELi512EEEvPfS3_PT_PKS4_PKT0_SA_ifPKiSC_iPKfiiiSE_SE_iiiii,"axG",@progbits,_ZN4vllm25paged_attention_v2_kernelI14__hip_bfloat16hLi64ELi16ELi128ELNS_18Fp8KVCacheDataTypeE1ELb0ELi512EEEvPfS3_PT_PKS4_PKT0_SA_ifPKiSC_iPKfiiiSE_SE_iiiii,comdat
.Lfunc_end344:
	.size	_ZN4vllm25paged_attention_v2_kernelI14__hip_bfloat16hLi64ELi16ELi128ELNS_18Fp8KVCacheDataTypeE1ELb0ELi512EEEvPfS3_PT_PKS4_PKT0_SA_ifPKiSC_iPKfiiiSE_SE_iiiii, .Lfunc_end344-_ZN4vllm25paged_attention_v2_kernelI14__hip_bfloat16hLi64ELi16ELi128ELNS_18Fp8KVCacheDataTypeE1ELb0ELi512EEEvPfS3_PT_PKS4_PKT0_SA_ifPKiSC_iPKfiiiSE_SE_iiiii
                                        ; -- End function
	.section	.AMDGPU.csdata,"",@progbits
; Kernel info:
; codeLenInByte = 9344
; NumSgprs: 54
; NumVgprs: 51
; NumAgprs: 0
; TotalNumVgprs: 51
; ScratchSize: 0
; MemoryBound: 0
; FloatMode: 240
; IeeeMode: 1
; LDSByteSize: 144 bytes/workgroup (compile time only)
; SGPRBlocks: 6
; VGPRBlocks: 6
; NumSGPRsForWavesPerEU: 54
; NumVGPRsForWavesPerEU: 51
; AccumOffset: 52
; Occupancy: 8
; WaveLimiterHint : 1
; COMPUTE_PGM_RSRC2:SCRATCH_EN: 0
; COMPUTE_PGM_RSRC2:USER_SGPR: 2
; COMPUTE_PGM_RSRC2:TRAP_HANDLER: 0
; COMPUTE_PGM_RSRC2:TGID_X_EN: 1
; COMPUTE_PGM_RSRC2:TGID_Y_EN: 1
; COMPUTE_PGM_RSRC2:TGID_Z_EN: 1
; COMPUTE_PGM_RSRC2:TIDIG_COMP_CNT: 0
; COMPUTE_PGM_RSRC3_GFX90A:ACCUM_OFFSET: 12
; COMPUTE_PGM_RSRC3_GFX90A:TG_SPLIT: 0
	.section	.text._ZN4vllm25paged_attention_v2_kernelI14__hip_bfloat16hLi80ELi16ELi128ELNS_18Fp8KVCacheDataTypeE1ELb0ELi512EEEvPfS3_PT_PKS4_PKT0_SA_ifPKiSC_iPKfiiiSE_SE_iiiii,"axG",@progbits,_ZN4vllm25paged_attention_v2_kernelI14__hip_bfloat16hLi80ELi16ELi128ELNS_18Fp8KVCacheDataTypeE1ELb0ELi512EEEvPfS3_PT_PKS4_PKT0_SA_ifPKiSC_iPKfiiiSE_SE_iiiii,comdat
	.protected	_ZN4vllm25paged_attention_v2_kernelI14__hip_bfloat16hLi80ELi16ELi128ELNS_18Fp8KVCacheDataTypeE1ELb0ELi512EEEvPfS3_PT_PKS4_PKT0_SA_ifPKiSC_iPKfiiiSE_SE_iiiii ; -- Begin function _ZN4vllm25paged_attention_v2_kernelI14__hip_bfloat16hLi80ELi16ELi128ELNS_18Fp8KVCacheDataTypeE1ELb0ELi512EEEvPfS3_PT_PKS4_PKT0_SA_ifPKiSC_iPKfiiiSE_SE_iiiii
	.globl	_ZN4vllm25paged_attention_v2_kernelI14__hip_bfloat16hLi80ELi16ELi128ELNS_18Fp8KVCacheDataTypeE1ELb0ELi512EEEvPfS3_PT_PKS4_PKT0_SA_ifPKiSC_iPKfiiiSE_SE_iiiii
	.p2align	8
	.type	_ZN4vllm25paged_attention_v2_kernelI14__hip_bfloat16hLi80ELi16ELi128ELNS_18Fp8KVCacheDataTypeE1ELb0ELi512EEEvPfS3_PT_PKS4_PKT0_SA_ifPKiSC_iPKfiiiSE_SE_iiiii,@function
_ZN4vllm25paged_attention_v2_kernelI14__hip_bfloat16hLi80ELi16ELi128ELNS_18Fp8KVCacheDataTypeE1ELb0ELi512EEEvPfS3_PT_PKS4_PKT0_SA_ifPKiSC_iPKfiiiSE_SE_iiiii: ; @_ZN4vllm25paged_attention_v2_kernelI14__hip_bfloat16hLi80ELi16ELi128ELNS_18Fp8KVCacheDataTypeE1ELb0ELi512EEEvPfS3_PT_PKS4_PKT0_SA_ifPKiSC_iPKfiiiSE_SE_iiiii
; %bb.0:
	s_load_dwordx2 s[6:7], s[0:1], 0x40
	s_mov_b32 s28, s3
	s_ashr_i32 s29, s3, 31
	s_lshl_b64 s[8:9], s[28:29], 2
	s_waitcnt lgkmcnt(0)
	s_add_u32 s6, s6, s8
	s_addc_u32 s7, s7, s9
	s_load_dword s29, s[6:7], 0x0
	s_lshl_b32 s40, s4, 9
	s_waitcnt lgkmcnt(0)
	s_cmp_ge_i32 s40, s29
	s_cbranch_scc1 .LBB345_386
; %bb.1:
	s_load_dword s5, s[0:1], 0x90
	s_load_dwordx2 s[10:11], s[0:1], 0x30
	s_mov_b32 s41, 0
	s_waitcnt lgkmcnt(0)
	s_abs_i32 s7, s5
	s_abs_i32 s3, s10
	v_cvt_f32_u32_e32 v1, s3
	s_sub_i32 s8, 0, s3
	s_xor_b32 s6, s5, s10
	s_ashr_i32 s6, s6, 31
	v_rcp_iflag_f32_e32 v1, v1
	s_nop 0
	v_mul_f32_e32 v1, 0x4f7ffffe, v1
	v_cvt_u32_f32_e32 v1, v1
	s_nop 0
	v_readfirstlane_b32 s9, v1
	s_mul_i32 s8, s8, s9
	s_mul_hi_u32 s8, s9, s8
	s_add_i32 s9, s9, s8
	s_mul_hi_u32 s8, s7, s9
	s_mul_i32 s9, s8, s3
	s_sub_i32 s7, s7, s9
	s_add_i32 s10, s8, 1
	s_sub_i32 s9, s7, s3
	s_cmp_ge_u32 s7, s3
	s_cselect_b32 s8, s10, s8
	s_cselect_b32 s7, s9, s7
	s_add_i32 s9, s8, 1
	s_cmp_ge_u32 s7, s3
	s_cselect_b32 s3, s9, s8
	s_xor_b32 s3, s3, s6
	s_sub_i32 s10, s3, s6
	s_abs_i32 s8, s10
	v_cvt_f32_u32_e32 v1, s8
	s_load_dwordx2 s[6:7], s[0:1], 0x50
	s_sub_i32 s3, 0, s8
	s_abs_i32 s9, s2
	v_rcp_iflag_f32_e32 v1, v1
	s_nop 0
	v_mul_f32_e32 v1, 0x4f7ffffe, v1
	v_cvt_u32_f32_e32 v1, v1
	s_nop 0
	v_readfirstlane_b32 s12, v1
	s_mul_i32 s3, s3, s12
	s_mul_hi_u32 s3, s12, s3
	s_add_i32 s12, s12, s3
	s_waitcnt lgkmcnt(0)
	s_cmp_eq_u64 s[6:7], 0
	s_mul_hi_u32 s16, s9, s12
	s_cbranch_scc1 .LBB345_3
; %bb.2:
	s_ashr_i32 s3, s2, 31
	s_lshl_b64 s[12:13], s[2:3], 2
	s_add_u32 s6, s6, s12
	s_addc_u32 s7, s7, s13
	s_load_dword s41, s[6:7], 0x0
.LBB345_3:
	s_load_dwordx4 s[12:15], s[0:1], 0x58
	s_ashr_i32 s17, s2, 31
	s_waitcnt lgkmcnt(0)
	s_ashr_i32 s15, s10, 31
	v_and_b32_e32 v6, 3, v0
	s_mul_i32 s24, s2, 0x50
	v_cmp_gt_u32_e32 vcc, 40, v0
	s_and_saveexec_b64 s[6:7], vcc
	s_cbranch_execz .LBB345_5
; %bb.4:
	s_load_dwordx2 s[18:19], s[0:1], 0x18
	s_mul_i32 s20, s28, s12
	s_ashr_i32 s21, s20, 31
	s_lshl_b64 s[20:21], s[20:21], 1
	v_lshlrev_b32_e32 v1, 2, v0
	s_waitcnt lgkmcnt(0)
	s_add_u32 s3, s18, s20
	s_addc_u32 s10, s19, s21
	s_ashr_i32 s25, s24, 31
	s_lshl_b64 s[18:19], s[24:25], 1
	s_add_u32 s18, s3, s18
	s_addc_u32 s19, s10, s19
	global_load_dword v1, v1, s[18:19]
	v_and_b32_e32 v2, 0x3fc, v0
	v_mad_u32_u24 v2, v6, 40, v2
	s_waitcnt vmcnt(0)
	ds_write_b32 v2, v1
.LBB345_5:
	s_or_b64 exec, exec, s[6:7]
	s_add_i32 s3, s29, 15
	s_ashr_i32 s6, s3, 31
	s_lshr_b32 s6, s6, 28
	s_add_i32 s3, s3, s6
	s_lshl_b32 s10, s4, 5
	s_mul_i32 s7, s16, s8
	s_ashr_i32 s3, s3, 4
	s_add_i32 s6, s10, 32
	s_sub_i32 s7, s9, s7
	s_min_i32 s33, s6, s3
	s_xor_b32 s6, s17, s15
	s_add_i32 s9, s16, 1
	s_sub_i32 s12, s7, s8
	s_cmp_ge_u32 s7, s8
	s_cselect_b32 s9, s9, s16
	s_cselect_b32 s7, s12, s7
	s_add_i32 s12, s9, 1
	s_cmp_ge_u32 s7, s8
	s_load_dwordx2 s[30:31], s[0:1], 0x38
	s_load_dword s8, s[0:1], 0x48
	v_lshrrev_b32_e32 v20, 6, v0
	s_cselect_b32 s7, s12, s9
	s_xor_b32 s7, s7, s6
	v_or_b32_e32 v12, s10, v20
	s_waitcnt lgkmcnt(0)
	s_mul_i32 s34, s28, s8
	s_sub_i32 s12, s7, s6
	s_ashr_i32 s35, s34, 31
	v_cmp_gt_i32_e64 s[8:9], s33, v12
	v_cmp_le_i32_e32 vcc, s33, v12
	v_mbcnt_lo_u32_b32 v7, -1, 0
	s_barrier
	s_waitcnt lgkmcnt(0)
                                        ; implicit-def: $sgpr15
                                        ; implicit-def: $vgpr10
                                        ; implicit-def: $vgpr11
	s_and_saveexec_b64 s[6:7], vcc
	s_xor_b64 s[6:7], exec, s[6:7]
; %bb.6:
	v_mbcnt_hi_u32_b32 v10, -1, v7
	v_and_b32_e32 v1, 64, v10
	v_add_u32_e32 v11, 64, v1
	s_mov_b32 s15, 0xff7fffff
                                        ; implicit-def: $vgpr6
                                        ; implicit-def: $vgpr7
; %bb.7:
	s_or_saveexec_b64 s[38:39], s[6:7]
	s_load_dwordx4 s[20:23], s[0:1], 0x0
	s_load_dwordx2 s[26:27], s[0:1], 0x10
	s_load_dword s25, s[0:1], 0x98
	s_load_dwordx2 s[36:37], s[0:1], 0x28
	s_load_dwordx4 s[16:19], s[0:1], 0x68
	v_mov_b32_e32 v34, s15
	s_mul_i32 s12, s12, s14
	v_ashrrev_i32_e32 v13, 31, v12
	s_xor_b64 exec, exec, s[38:39]
	s_cbranch_execz .LBB345_93
; %bb.8:
	v_mul_u32_u24_e32 v30, 40, v6
	ds_read2_b64 v[8:11], v30 offset1:1
	ds_read2_b64 v[26:29], v30 offset0:2 offset1:3
	s_load_dwordx2 s[0:1], s[0:1], 0x20
	s_ashr_i32 s6, s12, 31
	v_bfe_u32 v34, v0, 2, 4
	s_waitcnt lgkmcnt(0)
	v_lshlrev_b32_e32 v17, 16, v10
	v_and_b32_e32 v18, 0xffff0000, v10
	v_mbcnt_hi_u32_b32 v10, -1, v7
	v_and_b32_e32 v7, 64, v10
	v_lshlrev_b32_e32 v19, 16, v11
	v_and_b32_e32 v21, 0xffff0000, v11
	v_add_u32_e32 v11, 64, v7
	v_xor_b32_e32 v7, 2, v10
	v_cmp_lt_i32_e32 vcc, v7, v11
	s_add_u32 s0, s0, s12
	v_lshlrev_b32_e32 v1, 16, v8
	v_cndmask_b32_e32 v7, v10, v7, vcc
	v_and_b32_e32 v14, 0xffff0000, v8
	v_lshlrev_b32_e32 v15, 16, v9
	v_and_b32_e32 v16, 0xffff0000, v9
	ds_read_b64 v[8:9], v30 offset:32
	v_lshlrev_b32_e32 v35, 2, v7
	v_xor_b32_e32 v7, 1, v10
	v_lshlrev_b32_e32 v2, 4, v34
	s_addc_u32 s1, s1, s6
	v_mov_b32_e32 v3, 0
	v_cmp_lt_i32_e32 vcc, v7, v11
	s_load_dword s43, s[16:17], 0x0
	v_lshl_add_u64 v[4:5], s[0:1], 0, v[2:3]
	v_lshlrev_b32_e32 v2, 1, v6
	v_cndmask_b32_e32 v7, v10, v7, vcc
	v_cmp_eq_u32_e32 vcc, 0, v6
	s_sub_i32 s44, 1, s29
	v_lshlrev_b32_e32 v6, 4, v20
	s_lshl_b64 s[0:1], s[34:35], 2
	v_add3_u32 v37, s40, v6, v34
	v_lshlrev_b32_e32 v6, 2, v34
	s_add_u32 s0, s30, s0
	v_lshl_or_b32 v6, v20, 6, v6
	s_addc_u32 s1, s31, s1
	s_mov_b32 s42, s13
	v_lshlrev_b32_e32 v22, 16, v26
	v_and_b32_e32 v23, 0xffff0000, v26
	v_lshlrev_b32_e32 v24, 16, v27
	v_and_b32_e32 v25, 0xffff0000, v27
	v_lshlrev_b32_e32 v26, 16, v28
	v_and_b32_e32 v27, 0xffff0000, v28
	v_lshlrev_b32_e32 v28, 16, v29
	v_and_b32_e32 v29, 0xffff0000, v29
	s_waitcnt lgkmcnt(0)
	v_lshlrev_b32_e32 v30, 16, v8
	v_and_b32_e32 v31, 0xffff0000, v8
	v_lshlrev_b32_e32 v32, 16, v9
	v_and_b32_e32 v33, 0xffff0000, v9
	v_lshlrev_b32_e32 v36, 2, v7
	v_cmp_neq_f32_e64 s[6:7], s41, 0
	v_add_u32_e32 v38, 0xb0, v6
	v_lshl_add_u64 v[6:7], v[12:13], 2, s[0:1]
	s_mov_b64 s[14:15], 0
	v_mov_b32_e32 v34, 0xff7fffff
	s_mov_b32 s45, 0xffff
	s_mov_b32 s46, 0x7f800000
	s_movk_i32 s47, 0x7fff
	v_mov_b32_e32 v39, v12
	s_branch .LBB345_10
.LBB345_9:                              ;   in Loop: Header=BB345_10 Depth=1
	s_or_b64 exec, exec, s[16:17]
	v_add_u32_e32 v39, 2, v39
	v_cmp_le_i32_e64 s[0:1], s33, v39
	v_add_u32_e32 v37, 32, v37
	v_add_u32_e32 v38, 0x80, v38
	s_or_b64 s[14:15], s[0:1], s[14:15]
	v_lshl_add_u64 v[6:7], v[6:7], 0, 8
	s_andn2_b64 exec, exec, s[14:15]
	s_cbranch_execz .LBB345_92
.LBB345_10:                             ; =>This Inner Loop Header: Depth=1
	global_load_dword v8, v[6:7], off
	s_waitcnt vmcnt(0) lgkmcnt(0)
	v_mad_i64_i32 v[8:9], s[0:1], v8, s42, v[4:5]
	v_lshl_add_u64 v[8:9], v[8:9], 0, v[2:3]
	global_load_ushort v41, v[8:9], off
	s_waitcnt vmcnt(0)
	v_and_b32_sdwa v40, s45, v41 dst_sel:DWORD dst_unused:UNUSED_PAD src0_sel:DWORD src1_sel:BYTE_0
	v_cvt_f32_fp8_sdwa v40, v40 src0_sel:BYTE_0
	s_nop 0
	v_mul_f32_e32 v42, s43, v40
	v_and_b32_e32 v40, 0x7f800000, v42
	v_cmp_ne_u32_e64 s[0:1], s46, v40
                                        ; implicit-def: $vgpr40
	s_and_saveexec_b64 s[16:17], s[0:1]
	s_xor_b64 s[0:1], exec, s[16:17]
; %bb.11:                               ;   in Loop: Header=BB345_10 Depth=1
	v_bfe_u32 v40, v42, 16, 1
	v_add3_u32 v40, v42, v40, s47
                                        ; implicit-def: $vgpr42
; %bb.12:                               ;   in Loop: Header=BB345_10 Depth=1
	s_andn2_saveexec_b64 s[16:17], s[0:1]
; %bb.13:                               ;   in Loop: Header=BB345_10 Depth=1
	v_or_b32_e32 v40, 0x10000, v42
	v_cmp_eq_u32_sdwa s[0:1], v42, v3 src0_sel:WORD_0 src1_sel:DWORD
	s_nop 1
	v_cndmask_b32_e64 v40, v40, v42, s[0:1]
; %bb.14:                               ;   in Loop: Header=BB345_10 Depth=1
	s_or_b64 exec, exec, s[16:17]
	v_lshrrev_b16_e32 v41, 8, v41
	v_cvt_f32_fp8_sdwa v41, v41 src0_sel:BYTE_0
	s_nop 0
	v_mul_f32_e32 v42, s43, v41
	v_and_b32_e32 v41, 0x7f800000, v42
	v_cmp_ne_u32_e64 s[0:1], s46, v41
                                        ; implicit-def: $vgpr41
	s_and_saveexec_b64 s[16:17], s[0:1]
	s_xor_b64 s[0:1], exec, s[16:17]
; %bb.15:                               ;   in Loop: Header=BB345_10 Depth=1
	v_bfe_u32 v41, v42, 16, 1
	v_add3_u32 v41, v42, v41, s47
                                        ; implicit-def: $vgpr42
; %bb.16:                               ;   in Loop: Header=BB345_10 Depth=1
	s_andn2_saveexec_b64 s[16:17], s[0:1]
; %bb.17:                               ;   in Loop: Header=BB345_10 Depth=1
	v_or_b32_e32 v41, 0x10000, v42
	v_cmp_eq_u32_sdwa s[0:1], v42, v3 src0_sel:WORD_0 src1_sel:DWORD
	s_nop 1
	v_cndmask_b32_e64 v41, v41, v42, s[0:1]
; %bb.18:                               ;   in Loop: Header=BB345_10 Depth=1
	s_or_b64 exec, exec, s[16:17]
	global_load_ushort v43, v[8:9], off offset:8
	s_waitcnt vmcnt(0)
	v_and_b32_sdwa v42, s45, v43 dst_sel:DWORD dst_unused:UNUSED_PAD src0_sel:DWORD src1_sel:BYTE_0
	v_cvt_f32_fp8_sdwa v42, v42 src0_sel:BYTE_0
	s_nop 0
	v_mul_f32_e32 v44, s43, v42
	v_and_b32_e32 v42, 0x7f800000, v44
	v_cmp_ne_u32_e64 s[0:1], s46, v42
                                        ; implicit-def: $vgpr42
	s_and_saveexec_b64 s[16:17], s[0:1]
	s_xor_b64 s[0:1], exec, s[16:17]
; %bb.19:                               ;   in Loop: Header=BB345_10 Depth=1
	v_bfe_u32 v42, v44, 16, 1
	v_add3_u32 v42, v44, v42, s47
                                        ; implicit-def: $vgpr44
; %bb.20:                               ;   in Loop: Header=BB345_10 Depth=1
	s_andn2_saveexec_b64 s[16:17], s[0:1]
; %bb.21:                               ;   in Loop: Header=BB345_10 Depth=1
	v_or_b32_e32 v42, 0x10000, v44
	v_cmp_eq_u32_sdwa s[0:1], v44, v3 src0_sel:WORD_0 src1_sel:DWORD
	s_nop 1
	v_cndmask_b32_e64 v42, v42, v44, s[0:1]
; %bb.22:                               ;   in Loop: Header=BB345_10 Depth=1
	s_or_b64 exec, exec, s[16:17]
	v_lshrrev_b16_e32 v43, 8, v43
	v_cvt_f32_fp8_sdwa v43, v43 src0_sel:BYTE_0
	s_nop 0
	v_mul_f32_e32 v44, s43, v43
	v_and_b32_e32 v43, 0x7f800000, v44
	v_cmp_ne_u32_e64 s[0:1], s46, v43
                                        ; implicit-def: $vgpr43
	s_and_saveexec_b64 s[16:17], s[0:1]
	s_xor_b64 s[0:1], exec, s[16:17]
; %bb.23:                               ;   in Loop: Header=BB345_10 Depth=1
	v_bfe_u32 v43, v44, 16, 1
	v_add3_u32 v43, v44, v43, s47
                                        ; implicit-def: $vgpr44
; %bb.24:                               ;   in Loop: Header=BB345_10 Depth=1
	s_andn2_saveexec_b64 s[16:17], s[0:1]
; %bb.25:                               ;   in Loop: Header=BB345_10 Depth=1
	v_or_b32_e32 v43, 0x10000, v44
	v_cmp_eq_u32_sdwa s[0:1], v44, v3 src0_sel:WORD_0 src1_sel:DWORD
	s_nop 1
	v_cndmask_b32_e64 v43, v43, v44, s[0:1]
; %bb.26:                               ;   in Loop: Header=BB345_10 Depth=1
	s_or_b64 exec, exec, s[16:17]
	global_load_ushort v45, v[8:9], off offset:256
	s_waitcnt vmcnt(0)
	v_and_b32_sdwa v44, s45, v45 dst_sel:DWORD dst_unused:UNUSED_PAD src0_sel:DWORD src1_sel:BYTE_0
	v_cvt_f32_fp8_sdwa v44, v44 src0_sel:BYTE_0
	s_nop 0
	v_mul_f32_e32 v46, s43, v44
	v_and_b32_e32 v44, 0x7f800000, v46
	v_cmp_ne_u32_e64 s[0:1], s46, v44
                                        ; implicit-def: $vgpr44
	s_and_saveexec_b64 s[16:17], s[0:1]
	s_xor_b64 s[0:1], exec, s[16:17]
; %bb.27:                               ;   in Loop: Header=BB345_10 Depth=1
	v_bfe_u32 v44, v46, 16, 1
	v_add3_u32 v44, v46, v44, s47
                                        ; implicit-def: $vgpr46
; %bb.28:                               ;   in Loop: Header=BB345_10 Depth=1
	s_andn2_saveexec_b64 s[16:17], s[0:1]
; %bb.29:                               ;   in Loop: Header=BB345_10 Depth=1
	v_or_b32_e32 v44, 0x10000, v46
	v_cmp_eq_u32_sdwa s[0:1], v46, v3 src0_sel:WORD_0 src1_sel:DWORD
	s_nop 1
	v_cndmask_b32_e64 v44, v44, v46, s[0:1]
; %bb.30:                               ;   in Loop: Header=BB345_10 Depth=1
	s_or_b64 exec, exec, s[16:17]
	v_lshrrev_b16_e32 v45, 8, v45
	v_cvt_f32_fp8_sdwa v45, v45 src0_sel:BYTE_0
	s_nop 0
	v_mul_f32_e32 v46, s43, v45
	v_and_b32_e32 v45, 0x7f800000, v46
	v_cmp_ne_u32_e64 s[0:1], s46, v45
                                        ; implicit-def: $vgpr45
	s_and_saveexec_b64 s[16:17], s[0:1]
	s_xor_b64 s[0:1], exec, s[16:17]
; %bb.31:                               ;   in Loop: Header=BB345_10 Depth=1
	v_bfe_u32 v45, v46, 16, 1
	v_add3_u32 v45, v46, v45, s47
                                        ; implicit-def: $vgpr46
; %bb.32:                               ;   in Loop: Header=BB345_10 Depth=1
	s_andn2_saveexec_b64 s[16:17], s[0:1]
; %bb.33:                               ;   in Loop: Header=BB345_10 Depth=1
	v_or_b32_e32 v45, 0x10000, v46
	v_cmp_eq_u32_sdwa s[0:1], v46, v3 src0_sel:WORD_0 src1_sel:DWORD
	s_nop 1
	v_cndmask_b32_e64 v45, v45, v46, s[0:1]
; %bb.34:                               ;   in Loop: Header=BB345_10 Depth=1
	s_or_b64 exec, exec, s[16:17]
	global_load_ushort v47, v[8:9], off offset:264
	s_waitcnt vmcnt(0)
	v_and_b32_sdwa v46, s45, v47 dst_sel:DWORD dst_unused:UNUSED_PAD src0_sel:DWORD src1_sel:BYTE_0
	v_cvt_f32_fp8_sdwa v46, v46 src0_sel:BYTE_0
	s_nop 0
	v_mul_f32_e32 v48, s43, v46
	v_and_b32_e32 v46, 0x7f800000, v48
	v_cmp_ne_u32_e64 s[0:1], s46, v46
                                        ; implicit-def: $vgpr46
	s_and_saveexec_b64 s[16:17], s[0:1]
	s_xor_b64 s[0:1], exec, s[16:17]
; %bb.35:                               ;   in Loop: Header=BB345_10 Depth=1
	v_bfe_u32 v46, v48, 16, 1
	v_add3_u32 v46, v48, v46, s47
                                        ; implicit-def: $vgpr48
; %bb.36:                               ;   in Loop: Header=BB345_10 Depth=1
	s_andn2_saveexec_b64 s[16:17], s[0:1]
; %bb.37:                               ;   in Loop: Header=BB345_10 Depth=1
	v_or_b32_e32 v46, 0x10000, v48
	v_cmp_eq_u32_sdwa s[0:1], v48, v3 src0_sel:WORD_0 src1_sel:DWORD
	s_nop 1
	v_cndmask_b32_e64 v46, v46, v48, s[0:1]
; %bb.38:                               ;   in Loop: Header=BB345_10 Depth=1
	s_or_b64 exec, exec, s[16:17]
	v_lshrrev_b16_e32 v47, 8, v47
	v_cvt_f32_fp8_sdwa v47, v47 src0_sel:BYTE_0
	s_nop 0
	v_mul_f32_e32 v48, s43, v47
	v_and_b32_e32 v47, 0x7f800000, v48
	v_cmp_ne_u32_e64 s[0:1], s46, v47
                                        ; implicit-def: $vgpr47
	s_and_saveexec_b64 s[16:17], s[0:1]
	s_xor_b64 s[0:1], exec, s[16:17]
; %bb.39:                               ;   in Loop: Header=BB345_10 Depth=1
	v_bfe_u32 v47, v48, 16, 1
	v_add3_u32 v47, v48, v47, s47
                                        ; implicit-def: $vgpr48
; %bb.40:                               ;   in Loop: Header=BB345_10 Depth=1
	s_andn2_saveexec_b64 s[16:17], s[0:1]
; %bb.41:                               ;   in Loop: Header=BB345_10 Depth=1
	v_or_b32_e32 v47, 0x10000, v48
	v_cmp_eq_u32_sdwa s[0:1], v48, v3 src0_sel:WORD_0 src1_sel:DWORD
	s_nop 1
	v_cndmask_b32_e64 v47, v47, v48, s[0:1]
; %bb.42:                               ;   in Loop: Header=BB345_10 Depth=1
	s_or_b64 exec, exec, s[16:17]
	global_load_ushort v49, v[8:9], off offset:512
	s_waitcnt vmcnt(0)
	v_and_b32_sdwa v48, s45, v49 dst_sel:DWORD dst_unused:UNUSED_PAD src0_sel:DWORD src1_sel:BYTE_0
	v_cvt_f32_fp8_sdwa v48, v48 src0_sel:BYTE_0
	s_nop 0
	v_mul_f32_e32 v50, s43, v48
	v_and_b32_e32 v48, 0x7f800000, v50
	v_cmp_ne_u32_e64 s[0:1], s46, v48
                                        ; implicit-def: $vgpr48
	s_and_saveexec_b64 s[16:17], s[0:1]
	s_xor_b64 s[0:1], exec, s[16:17]
; %bb.43:                               ;   in Loop: Header=BB345_10 Depth=1
	v_bfe_u32 v48, v50, 16, 1
	v_add3_u32 v48, v50, v48, s47
                                        ; implicit-def: $vgpr50
; %bb.44:                               ;   in Loop: Header=BB345_10 Depth=1
	s_andn2_saveexec_b64 s[16:17], s[0:1]
; %bb.45:                               ;   in Loop: Header=BB345_10 Depth=1
	v_or_b32_e32 v48, 0x10000, v50
	v_cmp_eq_u32_sdwa s[0:1], v50, v3 src0_sel:WORD_0 src1_sel:DWORD
	s_nop 1
	v_cndmask_b32_e64 v48, v48, v50, s[0:1]
; %bb.46:                               ;   in Loop: Header=BB345_10 Depth=1
	s_or_b64 exec, exec, s[16:17]
	v_lshrrev_b16_e32 v49, 8, v49
	v_cvt_f32_fp8_sdwa v49, v49 src0_sel:BYTE_0
	s_nop 0
	v_mul_f32_e32 v50, s43, v49
	v_and_b32_e32 v49, 0x7f800000, v50
	v_cmp_ne_u32_e64 s[0:1], s46, v49
                                        ; implicit-def: $vgpr49
	s_and_saveexec_b64 s[16:17], s[0:1]
	s_xor_b64 s[0:1], exec, s[16:17]
; %bb.47:                               ;   in Loop: Header=BB345_10 Depth=1
	v_bfe_u32 v49, v50, 16, 1
	v_add3_u32 v49, v50, v49, s47
                                        ; implicit-def: $vgpr50
; %bb.48:                               ;   in Loop: Header=BB345_10 Depth=1
	s_andn2_saveexec_b64 s[16:17], s[0:1]
; %bb.49:                               ;   in Loop: Header=BB345_10 Depth=1
	v_or_b32_e32 v49, 0x10000, v50
	v_cmp_eq_u32_sdwa s[0:1], v50, v3 src0_sel:WORD_0 src1_sel:DWORD
	s_nop 1
	v_cndmask_b32_e64 v49, v49, v50, s[0:1]
; %bb.50:                               ;   in Loop: Header=BB345_10 Depth=1
	s_or_b64 exec, exec, s[16:17]
	global_load_ushort v51, v[8:9], off offset:520
	s_waitcnt vmcnt(0)
	v_and_b32_sdwa v50, s45, v51 dst_sel:DWORD dst_unused:UNUSED_PAD src0_sel:DWORD src1_sel:BYTE_0
	v_cvt_f32_fp8_sdwa v50, v50 src0_sel:BYTE_0
	s_nop 0
	v_mul_f32_e32 v52, s43, v50
	v_and_b32_e32 v50, 0x7f800000, v52
	v_cmp_ne_u32_e64 s[0:1], s46, v50
                                        ; implicit-def: $vgpr50
	s_and_saveexec_b64 s[16:17], s[0:1]
	s_xor_b64 s[0:1], exec, s[16:17]
; %bb.51:                               ;   in Loop: Header=BB345_10 Depth=1
	v_bfe_u32 v50, v52, 16, 1
	v_add3_u32 v50, v52, v50, s47
                                        ; implicit-def: $vgpr52
; %bb.52:                               ;   in Loop: Header=BB345_10 Depth=1
	s_andn2_saveexec_b64 s[16:17], s[0:1]
; %bb.53:                               ;   in Loop: Header=BB345_10 Depth=1
	v_or_b32_e32 v50, 0x10000, v52
	v_cmp_eq_u32_sdwa s[0:1], v52, v3 src0_sel:WORD_0 src1_sel:DWORD
	s_nop 1
	v_cndmask_b32_e64 v50, v50, v52, s[0:1]
; %bb.54:                               ;   in Loop: Header=BB345_10 Depth=1
	s_or_b64 exec, exec, s[16:17]
	v_lshrrev_b16_e32 v51, 8, v51
	v_cvt_f32_fp8_sdwa v51, v51 src0_sel:BYTE_0
	s_nop 0
	v_mul_f32_e32 v52, s43, v51
	v_and_b32_e32 v51, 0x7f800000, v52
	v_cmp_ne_u32_e64 s[0:1], s46, v51
                                        ; implicit-def: $vgpr51
	s_and_saveexec_b64 s[16:17], s[0:1]
	s_xor_b64 s[0:1], exec, s[16:17]
; %bb.55:                               ;   in Loop: Header=BB345_10 Depth=1
	v_bfe_u32 v51, v52, 16, 1
	v_add3_u32 v51, v52, v51, s47
                                        ; implicit-def: $vgpr52
; %bb.56:                               ;   in Loop: Header=BB345_10 Depth=1
	s_andn2_saveexec_b64 s[16:17], s[0:1]
; %bb.57:                               ;   in Loop: Header=BB345_10 Depth=1
	v_or_b32_e32 v51, 0x10000, v52
	v_cmp_eq_u32_sdwa s[0:1], v52, v3 src0_sel:WORD_0 src1_sel:DWORD
	s_nop 1
	v_cndmask_b32_e64 v51, v51, v52, s[0:1]
; %bb.58:                               ;   in Loop: Header=BB345_10 Depth=1
	s_or_b64 exec, exec, s[16:17]
	global_load_ushort v53, v[8:9], off offset:768
	s_waitcnt vmcnt(0)
	v_and_b32_sdwa v52, s45, v53 dst_sel:DWORD dst_unused:UNUSED_PAD src0_sel:DWORD src1_sel:BYTE_0
	v_cvt_f32_fp8_sdwa v52, v52 src0_sel:BYTE_0
	s_nop 0
	v_mul_f32_e32 v54, s43, v52
	v_and_b32_e32 v52, 0x7f800000, v54
	v_cmp_ne_u32_e64 s[0:1], s46, v52
                                        ; implicit-def: $vgpr52
	s_and_saveexec_b64 s[16:17], s[0:1]
	s_xor_b64 s[0:1], exec, s[16:17]
; %bb.59:                               ;   in Loop: Header=BB345_10 Depth=1
	v_bfe_u32 v52, v54, 16, 1
	v_add3_u32 v52, v54, v52, s47
                                        ; implicit-def: $vgpr54
; %bb.60:                               ;   in Loop: Header=BB345_10 Depth=1
	s_andn2_saveexec_b64 s[16:17], s[0:1]
; %bb.61:                               ;   in Loop: Header=BB345_10 Depth=1
	v_or_b32_e32 v52, 0x10000, v54
	v_cmp_eq_u32_sdwa s[0:1], v54, v3 src0_sel:WORD_0 src1_sel:DWORD
	s_nop 1
	v_cndmask_b32_e64 v52, v52, v54, s[0:1]
; %bb.62:                               ;   in Loop: Header=BB345_10 Depth=1
	s_or_b64 exec, exec, s[16:17]
	v_lshrrev_b16_e32 v53, 8, v53
	v_cvt_f32_fp8_sdwa v53, v53 src0_sel:BYTE_0
	s_nop 0
	v_mul_f32_e32 v54, s43, v53
	v_and_b32_e32 v53, 0x7f800000, v54
	v_cmp_ne_u32_e64 s[0:1], s46, v53
                                        ; implicit-def: $vgpr53
	s_and_saveexec_b64 s[16:17], s[0:1]
	s_xor_b64 s[0:1], exec, s[16:17]
; %bb.63:                               ;   in Loop: Header=BB345_10 Depth=1
	v_bfe_u32 v53, v54, 16, 1
	v_add3_u32 v53, v54, v53, s47
                                        ; implicit-def: $vgpr54
; %bb.64:                               ;   in Loop: Header=BB345_10 Depth=1
	s_andn2_saveexec_b64 s[16:17], s[0:1]
; %bb.65:                               ;   in Loop: Header=BB345_10 Depth=1
	v_or_b32_e32 v53, 0x10000, v54
	v_cmp_eq_u32_sdwa s[0:1], v54, v3 src0_sel:WORD_0 src1_sel:DWORD
	s_nop 1
	v_cndmask_b32_e64 v53, v53, v54, s[0:1]
; %bb.66:                               ;   in Loop: Header=BB345_10 Depth=1
	s_or_b64 exec, exec, s[16:17]
	global_load_ushort v55, v[8:9], off offset:776
	s_waitcnt vmcnt(0)
	v_and_b32_sdwa v54, s45, v55 dst_sel:DWORD dst_unused:UNUSED_PAD src0_sel:DWORD src1_sel:BYTE_0
	v_cvt_f32_fp8_sdwa v54, v54 src0_sel:BYTE_0
	s_nop 0
	v_mul_f32_e32 v56, s43, v54
	v_and_b32_e32 v54, 0x7f800000, v56
	v_cmp_ne_u32_e64 s[0:1], s46, v54
                                        ; implicit-def: $vgpr54
	s_and_saveexec_b64 s[16:17], s[0:1]
	s_xor_b64 s[0:1], exec, s[16:17]
; %bb.67:                               ;   in Loop: Header=BB345_10 Depth=1
	v_bfe_u32 v54, v56, 16, 1
	v_add3_u32 v54, v56, v54, s47
                                        ; implicit-def: $vgpr56
; %bb.68:                               ;   in Loop: Header=BB345_10 Depth=1
	s_andn2_saveexec_b64 s[16:17], s[0:1]
; %bb.69:                               ;   in Loop: Header=BB345_10 Depth=1
	v_or_b32_e32 v54, 0x10000, v56
	v_cmp_eq_u32_sdwa s[0:1], v56, v3 src0_sel:WORD_0 src1_sel:DWORD
	s_nop 1
	v_cndmask_b32_e64 v54, v54, v56, s[0:1]
; %bb.70:                               ;   in Loop: Header=BB345_10 Depth=1
	s_or_b64 exec, exec, s[16:17]
	v_lshrrev_b16_e32 v55, 8, v55
	v_cvt_f32_fp8_sdwa v55, v55 src0_sel:BYTE_0
	s_nop 0
	v_mul_f32_e32 v56, s43, v55
	v_and_b32_e32 v55, 0x7f800000, v56
	v_cmp_ne_u32_e64 s[0:1], s46, v55
                                        ; implicit-def: $vgpr55
	s_and_saveexec_b64 s[16:17], s[0:1]
	s_xor_b64 s[0:1], exec, s[16:17]
; %bb.71:                               ;   in Loop: Header=BB345_10 Depth=1
	v_bfe_u32 v55, v56, 16, 1
	v_add3_u32 v55, v56, v55, s47
                                        ; implicit-def: $vgpr56
; %bb.72:                               ;   in Loop: Header=BB345_10 Depth=1
	s_andn2_saveexec_b64 s[16:17], s[0:1]
; %bb.73:                               ;   in Loop: Header=BB345_10 Depth=1
	v_or_b32_e32 v55, 0x10000, v56
	v_cmp_eq_u32_sdwa s[0:1], v56, v3 src0_sel:WORD_0 src1_sel:DWORD
	s_nop 1
	v_cndmask_b32_e64 v55, v55, v56, s[0:1]
; %bb.74:                               ;   in Loop: Header=BB345_10 Depth=1
	s_or_b64 exec, exec, s[16:17]
	global_load_ushort v57, v[8:9], off offset:1024
	s_waitcnt vmcnt(0)
	v_and_b32_sdwa v56, s45, v57 dst_sel:DWORD dst_unused:UNUSED_PAD src0_sel:DWORD src1_sel:BYTE_0
	v_cvt_f32_fp8_sdwa v56, v56 src0_sel:BYTE_0
	s_nop 0
	v_mul_f32_e32 v58, s43, v56
	v_and_b32_e32 v56, 0x7f800000, v58
	v_cmp_ne_u32_e64 s[0:1], s46, v56
                                        ; implicit-def: $vgpr56
	s_and_saveexec_b64 s[16:17], s[0:1]
	s_xor_b64 s[0:1], exec, s[16:17]
; %bb.75:                               ;   in Loop: Header=BB345_10 Depth=1
	v_bfe_u32 v56, v58, 16, 1
	v_add3_u32 v56, v58, v56, s47
                                        ; implicit-def: $vgpr58
; %bb.76:                               ;   in Loop: Header=BB345_10 Depth=1
	s_andn2_saveexec_b64 s[16:17], s[0:1]
; %bb.77:                               ;   in Loop: Header=BB345_10 Depth=1
	v_or_b32_e32 v56, 0x10000, v58
	v_cmp_eq_u32_sdwa s[0:1], v58, v3 src0_sel:WORD_0 src1_sel:DWORD
	s_nop 1
	v_cndmask_b32_e64 v56, v56, v58, s[0:1]
; %bb.78:                               ;   in Loop: Header=BB345_10 Depth=1
	s_or_b64 exec, exec, s[16:17]
	v_lshrrev_b16_e32 v57, 8, v57
	v_cvt_f32_fp8_sdwa v57, v57 src0_sel:BYTE_0
	s_nop 0
	v_mul_f32_e32 v58, s43, v57
	v_and_b32_e32 v57, 0x7f800000, v58
	v_cmp_ne_u32_e64 s[0:1], s46, v57
                                        ; implicit-def: $vgpr57
	s_and_saveexec_b64 s[16:17], s[0:1]
	s_xor_b64 s[0:1], exec, s[16:17]
; %bb.79:                               ;   in Loop: Header=BB345_10 Depth=1
	v_bfe_u32 v57, v58, 16, 1
	v_add3_u32 v57, v58, v57, s47
                                        ; implicit-def: $vgpr58
; %bb.80:                               ;   in Loop: Header=BB345_10 Depth=1
	s_andn2_saveexec_b64 s[16:17], s[0:1]
; %bb.81:                               ;   in Loop: Header=BB345_10 Depth=1
	v_or_b32_e32 v57, 0x10000, v58
	v_cmp_eq_u32_sdwa s[0:1], v58, v3 src0_sel:WORD_0 src1_sel:DWORD
	s_nop 1
	v_cndmask_b32_e64 v57, v57, v58, s[0:1]
; %bb.82:                               ;   in Loop: Header=BB345_10 Depth=1
	s_or_b64 exec, exec, s[16:17]
	global_load_ushort v9, v[8:9], off offset:1032
	s_waitcnt vmcnt(0)
	v_and_b32_sdwa v8, s45, v9 dst_sel:DWORD dst_unused:UNUSED_PAD src0_sel:DWORD src1_sel:BYTE_0
	v_cvt_f32_fp8_sdwa v8, v8 src0_sel:BYTE_0
	s_nop 0
	v_mul_f32_e32 v58, s43, v8
	v_and_b32_e32 v8, 0x7f800000, v58
	v_cmp_ne_u32_e64 s[0:1], s46, v8
                                        ; implicit-def: $vgpr8
	s_and_saveexec_b64 s[16:17], s[0:1]
	s_xor_b64 s[0:1], exec, s[16:17]
; %bb.83:                               ;   in Loop: Header=BB345_10 Depth=1
	v_bfe_u32 v8, v58, 16, 1
	v_add3_u32 v8, v58, v8, s47
                                        ; implicit-def: $vgpr58
; %bb.84:                               ;   in Loop: Header=BB345_10 Depth=1
	s_andn2_saveexec_b64 s[16:17], s[0:1]
; %bb.85:                               ;   in Loop: Header=BB345_10 Depth=1
	v_or_b32_e32 v8, 0x10000, v58
	v_cmp_eq_u32_sdwa s[0:1], v58, v3 src0_sel:WORD_0 src1_sel:DWORD
	s_nop 1
	v_cndmask_b32_e64 v8, v8, v58, s[0:1]
; %bb.86:                               ;   in Loop: Header=BB345_10 Depth=1
	s_or_b64 exec, exec, s[16:17]
	v_lshrrev_b16_e32 v9, 8, v9
	v_cvt_f32_fp8_sdwa v9, v9 src0_sel:BYTE_0
	s_nop 0
	v_mul_f32_e32 v58, s43, v9
	v_and_b32_e32 v9, 0x7f800000, v58
	v_cmp_ne_u32_e64 s[0:1], s46, v9
                                        ; implicit-def: $vgpr9
	s_and_saveexec_b64 s[16:17], s[0:1]
	s_xor_b64 s[0:1], exec, s[16:17]
; %bb.87:                               ;   in Loop: Header=BB345_10 Depth=1
	v_bfe_u32 v9, v58, 16, 1
	v_add3_u32 v9, v58, v9, s47
                                        ; implicit-def: $vgpr58
; %bb.88:                               ;   in Loop: Header=BB345_10 Depth=1
	s_andn2_saveexec_b64 s[16:17], s[0:1]
; %bb.89:                               ;   in Loop: Header=BB345_10 Depth=1
	v_or_b32_e32 v9, 0x10000, v58
	v_cmp_eq_u32_sdwa s[0:1], v58, v3 src0_sel:WORD_0 src1_sel:DWORD
	s_nop 1
	v_cndmask_b32_e64 v9, v9, v58, s[0:1]
; %bb.90:                               ;   in Loop: Header=BB345_10 Depth=1
	s_or_b64 exec, exec, s[16:17]
	v_and_b32_e32 v42, 0xffff0000, v42
	v_and_b32_e32 v43, 0xffff0000, v43
	;; [unrolled: 1-line block ×3, first 2 shown]
	v_mul_f32_e32 v42, v15, v42
	v_and_b32_e32 v41, 0xffff0000, v41
	v_fmac_f32_e32 v42, v1, v40
	v_mul_f32_e32 v40, v16, v43
	v_and_b32_e32 v45, 0xffff0000, v45
	v_and_b32_e32 v44, 0xffff0000, v44
	v_fmac_f32_e32 v40, v14, v41
	v_and_b32_e32 v47, 0xffff0000, v47
	v_and_b32_e32 v46, 0xffff0000, v46
	v_fmac_f32_e32 v42, v17, v44
	v_fmac_f32_e32 v40, v18, v45
	v_and_b32_e32 v49, 0xffff0000, v49
	v_and_b32_e32 v48, 0xffff0000, v48
	v_fmac_f32_e32 v42, v19, v46
	;; [unrolled: 4-line block ×7, first 2 shown]
	v_fmac_f32_e32 v40, v31, v57
	v_fmac_f32_e32 v42, v32, v8
	;; [unrolled: 1-line block ×3, first 2 shown]
	v_add_f32_e32 v8, v42, v40
	ds_bpermute_b32 v9, v35, v8
	s_waitcnt lgkmcnt(0)
	v_add_f32_e32 v8, v8, v9
	ds_bpermute_b32 v9, v36, v8
	s_and_saveexec_b64 s[16:17], vcc
	s_cbranch_execz .LBB345_9
; %bb.91:                               ;   in Loop: Header=BB345_10 Depth=1
	v_add_u32_e32 v40, s44, v37
	v_cvt_f32_i32_e32 v40, v40
	s_waitcnt lgkmcnt(0)
	v_add_f32_e32 v8, v8, v9
	v_cmp_gt_i32_e64 s[0:1], s29, v37
	v_max_f32_e32 v9, v34, v34
	v_mul_f32_e32 v40, s41, v40
	v_cndmask_b32_e64 v40, 0, v40, s[6:7]
	v_fmac_f32_e32 v40, s11, v8
	v_cndmask_b32_e64 v8, 0, v40, s[0:1]
	ds_write_b32 v38, v8
	v_max_f32_e32 v8, v9, v40
	v_cndmask_b32_e64 v34, v34, v8, s[0:1]
	s_branch .LBB345_9
.LBB345_92:
	s_or_b64 exec, exec, s[14:15]
.LBB345_93:
	s_or_b64 exec, exec, s[38:39]
	v_xor_b32_e32 v1, 32, v10
	v_cmp_lt_i32_e32 vcc, v1, v11
	v_xor_b32_e32 v4, 16, v10
	v_max_f32_e32 v3, v34, v34
	v_cndmask_b32_e32 v1, v10, v1, vcc
	v_lshlrev_b32_e32 v2, 2, v1
	ds_bpermute_b32 v1, v2, v34
	v_cmp_lt_i32_e32 vcc, v4, v11
	v_xor_b32_e32 v5, 8, v10
	v_lshlrev_b32_e32 v6, 2, v20
	s_waitcnt lgkmcnt(0)
	v_max_f32_e32 v1, v1, v1
	v_max_f32_e32 v1, v3, v1
	v_cndmask_b32_e32 v3, v10, v4, vcc
	v_lshlrev_b32_e32 v3, 2, v3
	ds_bpermute_b32 v4, v3, v1
	v_cmp_lt_i32_e32 vcc, v5, v11
	s_waitcnt lgkmcnt(0)
	v_max_f32_e32 v4, v4, v4
	v_max_f32_e32 v1, v1, v4
	v_cndmask_b32_e32 v4, v10, v5, vcc
	v_lshlrev_b32_e32 v8, 2, v4
	ds_bpermute_b32 v4, v8, v1
	v_xor_b32_e32 v5, 4, v10
	v_cmp_lt_i32_e32 vcc, v5, v11
	s_waitcnt lgkmcnt(0)
	v_max_f32_e32 v4, v4, v4
	v_max_f32_e32 v1, v1, v4
	v_cndmask_b32_e32 v4, v10, v5, vcc
	v_lshlrev_b32_e32 v9, 2, v4
	ds_bpermute_b32 v5, v9, v1
	v_and_b32_e32 v4, 63, v0
	v_cmp_eq_u32_e32 vcc, 0, v4
	s_and_saveexec_b64 s[0:1], vcc
	s_cbranch_execz .LBB345_95
; %bb.94:
	s_waitcnt lgkmcnt(0)
	v_max_f32_e32 v5, v5, v5
	v_max_f32_e32 v1, v1, v1
	;; [unrolled: 1-line block ×3, first 2 shown]
	ds_write_b32 v6, v1 offset:160
.LBB345_95:
	s_or_b64 exec, exec, s[0:1]
	v_cmp_gt_u32_e64 s[0:1], 2, v4
	s_waitcnt lgkmcnt(0)
	v_mov_b32_e32 v5, 0xff7fffff
	v_lshlrev_b32_e32 v7, 2, v4
	s_barrier
	s_and_saveexec_b64 s[6:7], s[0:1]
	s_cbranch_execz .LBB345_97
; %bb.96:
	ds_read_b32 v5, v7 offset:160
.LBB345_97:
	s_or_b64 exec, exec, s[6:7]
	v_xor_b32_e32 v1, 1, v10
	v_cmp_lt_i32_e64 s[6:7], v1, v11
	v_mov_b32_e32 v15, 0
	s_nop 0
	v_cndmask_b32_e64 v1, v10, v1, s[6:7]
	v_lshlrev_b32_e32 v1, 2, v1
	s_waitcnt lgkmcnt(0)
	ds_bpermute_b32 v14, v1, v5
	v_max_f32_e32 v5, v5, v5
	s_sub_i32 s6, s33, s10
	s_lshl_b32 s6, s6, 4
	s_add_i32 s6, s6, s40
	s_waitcnt lgkmcnt(0)
	v_max_f32_e32 v14, v14, v14
	v_max_f32_e32 v5, v5, v14
	v_lshlrev_b32_e32 v14, 2, v10
	v_and_b32_e32 v14, 0xffffff00, v14
	ds_bpermute_b32 v5, v14, v5
	s_min_i32 s39, s6, s29
	s_sub_i32 s38, s39, s40
	v_cmp_gt_i32_e64 s[6:7], s38, v0
	s_and_saveexec_b64 s[14:15], s[6:7]
	s_cbranch_execz .LBB345_101
; %bb.98:
	v_mov_b32_e32 v15, 0xb0
	v_lshl_add_u32 v16, v0, 2, v15
	s_mov_b64 s[16:17], 0
	v_mov_b32_e32 v15, 0
	v_mov_b32_e32 v17, v0
.LBB345_99:                             ; =>This Inner Loop Header: Depth=1
	ds_read_b32 v18, v16
	v_add_u32_e32 v17, 0x80, v17
	v_cmp_le_i32_e64 s[10:11], s38, v17
	s_or_b64 s[16:17], s[10:11], s[16:17]
	s_waitcnt lgkmcnt(0)
	v_sub_f32_e32 v18, v18, v5
	v_mul_f32_e32 v18, 0x3fb8aa3b, v18
	v_exp_f32_e32 v18, v18
	ds_write_b32 v16, v18
	v_add_f32_e32 v15, v15, v18
	v_add_u32_e32 v16, 0x200, v16
	s_andn2_b64 exec, exec, s[16:17]
	s_cbranch_execnz .LBB345_99
; %bb.100:
	s_or_b64 exec, exec, s[16:17]
.LBB345_101:
	s_or_b64 exec, exec, s[14:15]
	ds_bpermute_b32 v2, v2, v15
	s_waitcnt lgkmcnt(0)
	v_add_f32_e32 v2, v15, v2
	ds_bpermute_b32 v3, v3, v2
	s_waitcnt lgkmcnt(0)
	v_add_f32_e32 v2, v2, v3
	ds_bpermute_b32 v3, v8, v2
	v_xor_b32_e32 v8, 2, v10
	v_cmp_lt_i32_e64 s[10:11], v8, v11
	s_waitcnt lgkmcnt(0)
	v_add_f32_e32 v2, v2, v3
	ds_bpermute_b32 v3, v9, v2
	v_cndmask_b32_e64 v8, v10, v8, s[10:11]
	s_waitcnt lgkmcnt(0)
	v_add_f32_e32 v2, v2, v3
	v_lshlrev_b32_e32 v3, 2, v8
	ds_bpermute_b32 v3, v3, v2
	s_waitcnt lgkmcnt(0)
	v_add_f32_e32 v2, v2, v3
	ds_bpermute_b32 v3, v1, v2
	s_waitcnt lgkmcnt(0)
	v_add_f32_e32 v2, v2, v3
	s_and_saveexec_b64 s[10:11], vcc
	s_cbranch_execz .LBB345_103
; %bb.102:
	ds_write_b32 v6, v2 offset:168
.LBB345_103:
	s_or_b64 exec, exec, s[10:11]
	s_waitcnt lgkmcnt(0)
	s_barrier
	s_and_saveexec_b64 s[10:11], s[0:1]
	s_cbranch_execz .LBB345_105
; %bb.104:
	ds_read_b32 v2, v7 offset:168
.LBB345_105:
	s_or_b64 exec, exec, s[10:11]
	s_waitcnt lgkmcnt(0)
	ds_bpermute_b32 v3, v1, v2
	s_waitcnt lgkmcnt(0)
	v_add_f32_e32 v2, v2, v3
	ds_bpermute_b32 v6, v14, v2
	s_and_saveexec_b64 s[0:1], s[6:7]
	s_cbranch_execz .LBB345_118
; %bb.106:
	s_waitcnt lgkmcnt(0)
	v_add_f32_e32 v2, 0x358637bd, v6
	v_div_scale_f32 v3, s[6:7], v2, v2, 1.0
	v_rcp_f32_e32 v7, v3
	v_div_scale_f32 v8, vcc, 1.0, v2, 1.0
	s_movk_i32 s6, 0x7f
	v_fma_f32 v9, -v3, v7, 1.0
	v_fmac_f32_e32 v7, v9, v7
	v_mul_f32_e32 v9, v8, v7
	v_fma_f32 v10, -v3, v9, v8
	v_fmac_f32_e32 v9, v10, v7
	v_fma_f32 v3, -v3, v9, v8
	v_div_fmas_f32 v3, v3, v7, v9
	v_div_fixup_f32 v2, v3, v2, 1.0
	v_xad_u32 v3, v0, -1, s39
	v_subrev_u32_e32 v7, s40, v3
	v_cmp_lt_u32_e32 vcc, s6, v7
	s_mov_b64 s[10:11], -1
	v_mov_b32_e32 v3, v0
	s_and_saveexec_b64 s[6:7], vcc
	s_cbranch_execz .LBB345_115
; %bb.107:
	v_lshrrev_b32_e32 v7, 7, v7
	v_add_u32_e32 v9, -1, v7
	v_lshrrev_b32_e32 v8, 1, v9
	v_mov_b32_e32 v3, v2
	v_add_u32_e32 v8, 1, v8
	v_cmp_lt_u32_e32 vcc, 13, v9
	v_mov_b32_e32 v11, 0
	s_and_saveexec_b64 s[10:11], vcc
	s_cbranch_execz .LBB345_111
; %bb.108:
	v_mov_b32_e32 v10, 0xb0
	v_and_b32_e32 v9, -8, v8
	v_lshl_add_u32 v10, v0, 2, v10
	s_mov_b32 s16, 0
	s_mov_b64 s[14:15], 0
.LBB345_109:                            ; =>This Inner Loop Header: Depth=1
	ds_read2st64_b32 v[14:15], v10 offset1:2
	ds_read2st64_b32 v[16:17], v10 offset0:4 offset1:6
	ds_read2st64_b32 v[18:19], v10 offset0:8 offset1:10
	;; [unrolled: 1-line block ×3, first 2 shown]
	v_add_u32_e32 v9, -8, v9
	s_waitcnt lgkmcnt(3)
	v_pk_mul_f32 v[14:15], v[2:3], v[14:15]
	s_waitcnt lgkmcnt(2)
	v_pk_mul_f32 v[16:17], v[2:3], v[16:17]
	ds_write2st64_b32 v10, v14, v15 offset1:2
	ds_write2st64_b32 v10, v16, v17 offset0:4 offset1:6
	ds_read2st64_b32 v[16:17], v10 offset0:16 offset1:18
	s_waitcnt lgkmcnt(4)
	v_pk_mul_f32 v[14:15], v[2:3], v[18:19]
	ds_write2st64_b32 v10, v14, v15 offset0:8 offset1:10
	s_waitcnt lgkmcnt(4)
	v_pk_mul_f32 v[14:15], v[2:3], v[22:23]
	ds_write2st64_b32 v10, v14, v15 offset0:12 offset1:14
	ds_read2st64_b32 v[14:15], v10 offset0:20 offset1:22
	s_waitcnt lgkmcnt(3)
	v_pk_mul_f32 v[16:17], v[2:3], v[16:17]
	ds_read2st64_b32 v[18:19], v10 offset0:24 offset1:26
	ds_write2st64_b32 v10, v16, v17 offset0:16 offset1:18
	ds_read2st64_b32 v[16:17], v10 offset0:28 offset1:30
	s_waitcnt lgkmcnt(3)
	v_pk_mul_f32 v[14:15], v[2:3], v[14:15]
	ds_write2st64_b32 v10, v14, v15 offset0:20 offset1:22
	s_waitcnt lgkmcnt(3)
	v_pk_mul_f32 v[14:15], v[2:3], v[18:19]
	ds_write2st64_b32 v10, v14, v15 offset0:24 offset1:26
	s_waitcnt lgkmcnt(2)
	v_pk_mul_f32 v[14:15], v[2:3], v[16:17]
	s_add_i32 s16, s16, 16
	v_cmp_eq_u32_e32 vcc, 0, v9
	ds_write2st64_b32 v10, v14, v15 offset0:28 offset1:30
	v_add_u32_e32 v10, 0x2000, v10
	s_or_b64 s[14:15], vcc, s[14:15]
	v_mov_b32_e32 v11, s16
	s_andn2_b64 exec, exec, s[14:15]
	s_cbranch_execnz .LBB345_109
; %bb.110:
	s_or_b64 exec, exec, s[14:15]
.LBB345_111:
	s_or_b64 exec, exec, s[10:11]
	v_and_b32_e32 v8, 7, v8
	v_cmp_ne_u32_e32 vcc, 0, v8
	s_and_saveexec_b64 s[10:11], vcc
	s_cbranch_execz .LBB345_114
; %bb.112:
	v_lshlrev_b32_e32 v9, 9, v11
	v_lshlrev_b32_e32 v10, 2, v0
	s_movk_i32 s14, 0xb0
	v_add3_u32 v9, v9, v10, s14
	s_mov_b64 s[14:15], 0
.LBB345_113:                            ; =>This Inner Loop Header: Depth=1
	ds_read2st64_b32 v[10:11], v9 offset1:2
	v_add_u32_e32 v8, -1, v8
	v_cmp_eq_u32_e32 vcc, 0, v8
	s_or_b64 s[14:15], vcc, s[14:15]
	s_waitcnt lgkmcnt(0)
	v_pk_mul_f32 v[10:11], v[2:3], v[10:11]
	ds_write2st64_b32 v9, v10, v11 offset1:2
	v_add_u32_e32 v9, 0x400, v9
	s_andn2_b64 exec, exec, s[14:15]
	s_cbranch_execnz .LBB345_113
.LBB345_114:
	s_or_b64 exec, exec, s[10:11]
	v_add_u32_e32 v7, 1, v7
	v_and_b32_e32 v8, 0x3fffffe, v7
	v_cmp_ne_u32_e32 vcc, v7, v8
	v_lshl_add_u32 v3, v8, 7, v0
	s_orn2_b64 s[10:11], vcc, exec
.LBB345_115:
	s_or_b64 exec, exec, s[6:7]
	s_and_b64 exec, exec, s[10:11]
	s_cbranch_execz .LBB345_118
; %bb.116:
	v_mov_b32_e32 v7, 0xb0
	v_lshl_add_u32 v7, v3, 2, v7
	s_mov_b64 s[6:7], 0
.LBB345_117:                            ; =>This Inner Loop Header: Depth=1
	ds_read_b32 v8, v7
	v_add_u32_e32 v3, 0x80, v3
	v_cmp_le_i32_e32 vcc, s38, v3
	s_or_b64 s[6:7], vcc, s[6:7]
	s_waitcnt lgkmcnt(0)
	v_mul_f32_e32 v8, v2, v8
	ds_write_b32 v7, v8
	v_add_u32_e32 v7, 0x200, v7
	s_andn2_b64 exec, exec, s[6:7]
	s_cbranch_execnz .LBB345_117
.LBB345_118:
	s_or_b64 exec, exec, s[0:1]
	s_mul_i32 s0, s25, s28
	v_cmp_eq_u32_e32 vcc, 0, v0
	s_mul_i32 s6, s0, s5
	s_waitcnt lgkmcnt(0)
	s_barrier
	s_and_saveexec_b64 s[0:1], vcc
	s_cbranch_execz .LBB345_120
; %bb.119:
	s_ashr_i32 s7, s6, 31
	s_lshl_b64 s[10:11], s[6:7], 2
	s_add_u32 s5, s22, s10
	s_mul_i32 s14, s25, s2
	s_addc_u32 s7, s23, s11
	s_ashr_i32 s15, s14, 31
	s_lshl_b64 s[14:15], s[14:15], 2
	s_add_u32 s2, s5, s14
	s_addc_u32 s7, s7, s15
	s_ashr_i32 s5, s4, 31
	s_lshl_b64 s[16:17], s[4:5], 2
	s_add_u32 s22, s2, s16
	s_addc_u32 s23, s7, s17
	s_add_u32 s2, s20, s10
	s_addc_u32 s5, s21, s11
	;; [unrolled: 2-line block ×3, first 2 shown]
	s_add_u32 s10, s2, s16
	v_mov_b32_e32 v2, 0
	s_addc_u32 s11, s5, s17
	global_store_dword v2, v5, s[22:23]
	global_store_dword v2, v6, s[10:11]
.LBB345_120:
	s_or_b64 exec, exec, s[0:1]
	v_mov_b32_e32 v10, 0
	v_lshrrev_b32_e32 v22, 1, v4
	v_and_b32_e32 v11, 1, v0
	v_mov_b32_e32 v17, v10
	v_mov_b32_e32 v16, v10
	s_and_saveexec_b64 s[10:11], s[8:9]
	s_cbranch_execz .LBB345_356
; %bb.121:
	s_ashr_i32 s0, s12, 31
	v_lshlrev_b32_e32 v2, 3, v0
	s_add_u32 s8, s36, s12
	v_and_b32_e32 v2, 8, v2
	s_addc_u32 s9, s37, s0
	s_load_dword s18, s[18:19], 0x0
	v_or_b32_e32 v3, 64, v22
	s_movk_i32 s0, 0x50
	s_add_i32 s7, s3, -1
	v_cmp_gt_u32_e32 vcc, s0, v3
	v_lshl_or_b32 v18, v3, 4, v2
	v_lshl_add_u32 v3, v20, 4, s40
	s_lshl_b64 s[0:1], s[34:35], 2
	v_lshl_or_b32 v14, v22, 4, v2
	v_add3_u32 v23, v3, v2, 7
	v_lshlrev_b32_e32 v2, 5, v11
	s_add_u32 s0, s30, s0
	v_mov_b32_e32 v15, 0
	v_lshl_or_b32 v2, v20, 6, v2
	s_addc_u32 s1, s31, s1
	s_mov_b32 s5, s13
	v_mov_b32_e32 v19, v15
	v_add_u32_e32 v24, 0xb0, v2
	v_lshl_add_u64 v[20:21], v[12:13], 2, s[0:1]
	s_mov_b64 s[12:13], 0
	s_mov_b32 s19, 0x7f800000
	s_movk_i32 s20, 0x7fff
	v_mov_b32_e32 v16, v15
	v_mov_b32_e32 v17, v15
	;; [unrolled: 1-line block ×3, first 2 shown]
	s_branch .LBB345_124
.LBB345_122:                            ;   in Loop: Header=BB345_124 Depth=1
	s_or_b64 exec, exec, s[2:3]
	v_and_b32_e32 v26, 0xffff0000, v9
	v_and_b32_e32 v9, 0xffff0000, v4
	v_and_b32_e32 v29, 0xffff0000, v7
	v_and_b32_e32 v28, 0xffff0000, v5
	v_and_b32_e32 v5, 0xffff0000, v6
	v_and_b32_e32 v4, 0xffff0000, v3
	v_and_b32_e32 v27, 0xffff0000, v13
	v_and_b32_e32 v8, 0xffff0000, v8
	v_pk_add_f32 v[2:3], v[4:5], v[28:29]
	v_pk_add_f32 v[4:5], v[8:9], v[26:27]
	v_add_f32_e32 v2, v2, v3
	v_add_f32_e32 v2, v2, v4
	;; [unrolled: 1-line block ×4, first 2 shown]
.LBB345_123:                            ;   in Loop: Header=BB345_124 Depth=1
	s_or_b64 exec, exec, s[14:15]
	v_add_u32_e32 v12, 2, v12
	v_cmp_le_i32_e64 s[0:1], s33, v12
	v_add_u32_e32 v23, 32, v23
	v_add_u32_e32 v24, 0x80, v24
	s_or_b64 s[12:13], s[0:1], s[12:13]
	v_lshl_add_u64 v[20:21], v[20:21], 0, 8
	s_andn2_b64 exec, exec, s[12:13]
	s_cbranch_execz .LBB345_355
.LBB345_124:                            ; =>This Inner Loop Header: Depth=1
	global_load_dword v32, v[20:21], off
	ds_read2_b64 v[6:9], v24 offset1:1
	ds_read2_b64 v[2:5], v24 offset0:2 offset1:3
                                        ; implicit-def: $vgpr29
	s_waitcnt lgkmcnt(0)
	v_and_b32_e32 v13, 0x7f800000, v6
	v_cmp_ne_u32_e64 s[0:1], s19, v13
	s_and_saveexec_b64 s[2:3], s[0:1]
	s_xor_b64 s[0:1], exec, s[2:3]
; %bb.125:                              ;   in Loop: Header=BB345_124 Depth=1
	v_bfe_u32 v13, v6, 16, 1
	v_add3_u32 v29, v6, v13, s20
; %bb.126:                              ;   in Loop: Header=BB345_124 Depth=1
	s_andn2_saveexec_b64 s[2:3], s[0:1]
; %bb.127:                              ;   in Loop: Header=BB345_124 Depth=1
	v_or_b32_e32 v13, 0x10000, v6
	v_cmp_eq_u32_sdwa s[0:1], v6, v15 src0_sel:WORD_0 src1_sel:DWORD
	s_nop 1
	v_cndmask_b32_e64 v29, v13, v6, s[0:1]
; %bb.128:                              ;   in Loop: Header=BB345_124 Depth=1
	s_or_b64 exec, exec, s[2:3]
	v_and_b32_e32 v6, 0x7f800000, v7
	v_cmp_ne_u32_e64 s[0:1], s19, v6
                                        ; implicit-def: $vgpr30
	s_and_saveexec_b64 s[2:3], s[0:1]
	s_xor_b64 s[0:1], exec, s[2:3]
; %bb.129:                              ;   in Loop: Header=BB345_124 Depth=1
	v_bfe_u32 v6, v7, 16, 1
	v_add3_u32 v30, v7, v6, s20
; %bb.130:                              ;   in Loop: Header=BB345_124 Depth=1
	s_andn2_saveexec_b64 s[2:3], s[0:1]
; %bb.131:                              ;   in Loop: Header=BB345_124 Depth=1
	v_or_b32_e32 v6, 0x10000, v7
	v_cmp_eq_u32_sdwa s[0:1], v7, v15 src0_sel:WORD_0 src1_sel:DWORD
	s_nop 1
	v_cndmask_b32_e64 v30, v6, v7, s[0:1]
; %bb.132:                              ;   in Loop: Header=BB345_124 Depth=1
	s_or_b64 exec, exec, s[2:3]
	v_and_b32_e32 v6, 0x7f800000, v8
	v_cmp_ne_u32_e64 s[0:1], s19, v6
                                        ; implicit-def: $vgpr31
	s_and_saveexec_b64 s[2:3], s[0:1]
	s_xor_b64 s[0:1], exec, s[2:3]
; %bb.133:                              ;   in Loop: Header=BB345_124 Depth=1
	v_bfe_u32 v6, v8, 16, 1
	v_add3_u32 v31, v8, v6, s20
; %bb.134:                              ;   in Loop: Header=BB345_124 Depth=1
	s_andn2_saveexec_b64 s[2:3], s[0:1]
; %bb.135:                              ;   in Loop: Header=BB345_124 Depth=1
	v_or_b32_e32 v6, 0x10000, v8
	v_cmp_eq_u32_sdwa s[0:1], v8, v15 src0_sel:WORD_0 src1_sel:DWORD
	s_nop 1
	v_cndmask_b32_e64 v31, v6, v8, s[0:1]
; %bb.136:                              ;   in Loop: Header=BB345_124 Depth=1
	s_or_b64 exec, exec, s[2:3]
	v_and_b32_e32 v6, 0x7f800000, v9
	v_cmp_ne_u32_e64 s[0:1], s19, v6
                                        ; implicit-def: $vgpr13
	s_and_saveexec_b64 s[2:3], s[0:1]
	s_xor_b64 s[0:1], exec, s[2:3]
; %bb.137:                              ;   in Loop: Header=BB345_124 Depth=1
	v_bfe_u32 v6, v9, 16, 1
	v_add3_u32 v13, v9, v6, s20
                                        ; implicit-def: $vgpr6_vgpr7_vgpr8_vgpr9
; %bb.138:                              ;   in Loop: Header=BB345_124 Depth=1
	s_andn2_saveexec_b64 s[2:3], s[0:1]
; %bb.139:                              ;   in Loop: Header=BB345_124 Depth=1
	v_or_b32_e32 v6, 0x10000, v9
	v_cmp_eq_u32_sdwa s[0:1], v9, v15 src0_sel:WORD_0 src1_sel:DWORD
	s_nop 1
	v_cndmask_b32_e64 v13, v6, v9, s[0:1]
; %bb.140:                              ;   in Loop: Header=BB345_124 Depth=1
	s_or_b64 exec, exec, s[2:3]
	v_and_b32_e32 v6, 0x7f800000, v2
	v_cmp_ne_u32_e64 s[0:1], s19, v6
                                        ; implicit-def: $vgpr25
	s_and_saveexec_b64 s[2:3], s[0:1]
	s_xor_b64 s[0:1], exec, s[2:3]
; %bb.141:                              ;   in Loop: Header=BB345_124 Depth=1
	v_bfe_u32 v6, v2, 16, 1
	v_add3_u32 v25, v2, v6, s20
; %bb.142:                              ;   in Loop: Header=BB345_124 Depth=1
	s_andn2_saveexec_b64 s[2:3], s[0:1]
; %bb.143:                              ;   in Loop: Header=BB345_124 Depth=1
	v_or_b32_e32 v6, 0x10000, v2
	v_cmp_eq_u32_sdwa s[0:1], v2, v15 src0_sel:WORD_0 src1_sel:DWORD
	s_nop 1
	v_cndmask_b32_e64 v25, v6, v2, s[0:1]
; %bb.144:                              ;   in Loop: Header=BB345_124 Depth=1
	s_or_b64 exec, exec, s[2:3]
	v_and_b32_e32 v2, 0x7f800000, v3
	v_cmp_ne_u32_e64 s[0:1], s19, v2
                                        ; implicit-def: $vgpr26
	s_and_saveexec_b64 s[2:3], s[0:1]
	s_xor_b64 s[0:1], exec, s[2:3]
; %bb.145:                              ;   in Loop: Header=BB345_124 Depth=1
	v_bfe_u32 v2, v3, 16, 1
	v_add3_u32 v26, v3, v2, s20
; %bb.146:                              ;   in Loop: Header=BB345_124 Depth=1
	s_andn2_saveexec_b64 s[2:3], s[0:1]
; %bb.147:                              ;   in Loop: Header=BB345_124 Depth=1
	v_or_b32_e32 v2, 0x10000, v3
	v_cmp_eq_u32_sdwa s[0:1], v3, v15 src0_sel:WORD_0 src1_sel:DWORD
	s_nop 1
	v_cndmask_b32_e64 v26, v2, v3, s[0:1]
; %bb.148:                              ;   in Loop: Header=BB345_124 Depth=1
	s_or_b64 exec, exec, s[2:3]
	v_and_b32_e32 v2, 0x7f800000, v4
	v_cmp_ne_u32_e64 s[0:1], s19, v2
                                        ; implicit-def: $vgpr27
	s_and_saveexec_b64 s[2:3], s[0:1]
	s_xor_b64 s[0:1], exec, s[2:3]
; %bb.149:                              ;   in Loop: Header=BB345_124 Depth=1
	v_bfe_u32 v2, v4, 16, 1
	v_add3_u32 v27, v4, v2, s20
; %bb.150:                              ;   in Loop: Header=BB345_124 Depth=1
	s_andn2_saveexec_b64 s[2:3], s[0:1]
; %bb.151:                              ;   in Loop: Header=BB345_124 Depth=1
	v_or_b32_e32 v2, 0x10000, v4
	v_cmp_eq_u32_sdwa s[0:1], v4, v15 src0_sel:WORD_0 src1_sel:DWORD
	s_nop 1
	v_cndmask_b32_e64 v27, v2, v4, s[0:1]
; %bb.152:                              ;   in Loop: Header=BB345_124 Depth=1
	s_or_b64 exec, exec, s[2:3]
	v_and_b32_e32 v2, 0x7f800000, v5
	v_cmp_ne_u32_e64 s[0:1], s19, v2
                                        ; implicit-def: $vgpr28
	s_and_saveexec_b64 s[2:3], s[0:1]
	s_xor_b64 s[0:1], exec, s[2:3]
; %bb.153:                              ;   in Loop: Header=BB345_124 Depth=1
	v_bfe_u32 v2, v5, 16, 1
	v_add3_u32 v28, v5, v2, s20
                                        ; implicit-def: $vgpr2_vgpr3_vgpr4_vgpr5
; %bb.154:                              ;   in Loop: Header=BB345_124 Depth=1
	s_andn2_saveexec_b64 s[2:3], s[0:1]
; %bb.155:                              ;   in Loop: Header=BB345_124 Depth=1
	v_or_b32_e32 v2, 0x10000, v5
	v_cmp_eq_u32_sdwa s[0:1], v5, v15 src0_sel:WORD_0 src1_sel:DWORD
	s_nop 1
	v_cndmask_b32_e64 v28, v2, v5, s[0:1]
; %bb.156:                              ;   in Loop: Header=BB345_124 Depth=1
	s_or_b64 exec, exec, s[2:3]
	v_mov_b64_e32 v[2:3], s[8:9]
	s_waitcnt vmcnt(0)
	v_mad_i64_i32 v[2:3], s[0:1], v32, s5, v[2:3]
	v_lshl_add_u64 v[4:5], v[2:3], 0, v[14:15]
	global_load_dwordx2 v[6:7], v[4:5], off
	s_waitcnt vmcnt(0)
	v_and_b32_e32 v8, 0xff, v6
	v_cvt_f32_fp8_sdwa v8, v8 src0_sel:BYTE_0
	s_nop 0
	v_mul_f32_e32 v9, s18, v8
	v_and_b32_e32 v8, 0x7f800000, v9
	v_cmp_ne_u32_e64 s[0:1], s19, v8
                                        ; implicit-def: $vgpr8
	s_and_saveexec_b64 s[2:3], s[0:1]
	s_xor_b64 s[0:1], exec, s[2:3]
; %bb.157:                              ;   in Loop: Header=BB345_124 Depth=1
	v_bfe_u32 v8, v9, 16, 1
	v_add3_u32 v8, v9, v8, s20
                                        ; implicit-def: $vgpr9
; %bb.158:                              ;   in Loop: Header=BB345_124 Depth=1
	s_andn2_saveexec_b64 s[2:3], s[0:1]
; %bb.159:                              ;   in Loop: Header=BB345_124 Depth=1
	v_or_b32_e32 v8, 0x10000, v9
	v_cmp_eq_u32_sdwa s[0:1], v9, v15 src0_sel:WORD_0 src1_sel:DWORD
	s_nop 1
	v_cndmask_b32_e64 v8, v8, v9, s[0:1]
; %bb.160:                              ;   in Loop: Header=BB345_124 Depth=1
	s_or_b64 exec, exec, s[2:3]
	v_bfe_u32 v9, v6, 8, 8
	v_cvt_f32_fp8_sdwa v9, v9 src0_sel:BYTE_0
	s_nop 0
	v_mul_f32_e32 v32, s18, v9
	v_and_b32_e32 v9, 0x7f800000, v32
	v_cmp_ne_u32_e64 s[0:1], s19, v9
                                        ; implicit-def: $vgpr9
	s_and_saveexec_b64 s[2:3], s[0:1]
	s_xor_b64 s[0:1], exec, s[2:3]
; %bb.161:                              ;   in Loop: Header=BB345_124 Depth=1
	v_bfe_u32 v9, v32, 16, 1
	v_add3_u32 v9, v32, v9, s20
                                        ; implicit-def: $vgpr32
; %bb.162:                              ;   in Loop: Header=BB345_124 Depth=1
	s_andn2_saveexec_b64 s[2:3], s[0:1]
; %bb.163:                              ;   in Loop: Header=BB345_124 Depth=1
	v_or_b32_e32 v9, 0x10000, v32
	v_cmp_eq_u32_sdwa s[0:1], v32, v15 src0_sel:WORD_0 src1_sel:DWORD
	s_nop 1
	v_cndmask_b32_e64 v9, v9, v32, s[0:1]
; %bb.164:                              ;   in Loop: Header=BB345_124 Depth=1
	s_or_b64 exec, exec, s[2:3]
	v_bfe_u32 v32, v6, 16, 8
	v_cvt_f32_fp8_sdwa v32, v32 src0_sel:BYTE_0
	s_nop 0
	v_mul_f32_e32 v33, s18, v32
	v_and_b32_e32 v32, 0x7f800000, v33
	v_cmp_ne_u32_e64 s[0:1], s19, v32
                                        ; implicit-def: $vgpr32
	s_and_saveexec_b64 s[2:3], s[0:1]
	s_xor_b64 s[0:1], exec, s[2:3]
; %bb.165:                              ;   in Loop: Header=BB345_124 Depth=1
	v_bfe_u32 v32, v33, 16, 1
	v_add3_u32 v32, v33, v32, s20
                                        ; implicit-def: $vgpr33
; %bb.166:                              ;   in Loop: Header=BB345_124 Depth=1
	s_andn2_saveexec_b64 s[2:3], s[0:1]
; %bb.167:                              ;   in Loop: Header=BB345_124 Depth=1
	v_or_b32_e32 v32, 0x10000, v33
	v_cmp_eq_u32_sdwa s[0:1], v33, v15 src0_sel:WORD_0 src1_sel:DWORD
	s_nop 1
	v_cndmask_b32_e64 v32, v32, v33, s[0:1]
; %bb.168:                              ;   in Loop: Header=BB345_124 Depth=1
	s_or_b64 exec, exec, s[2:3]
	v_lshrrev_b32_e32 v6, 24, v6
	v_cvt_f32_fp8_sdwa v6, v6 src0_sel:BYTE_0
                                        ; implicit-def: $vgpr35
	s_nop 0
	v_mul_f32_e32 v6, s18, v6
	v_and_b32_e32 v33, 0x7f800000, v6
	v_cmp_ne_u32_e64 s[0:1], s19, v33
	s_and_saveexec_b64 s[2:3], s[0:1]
	s_xor_b64 s[0:1], exec, s[2:3]
; %bb.169:                              ;   in Loop: Header=BB345_124 Depth=1
	v_bfe_u32 v33, v6, 16, 1
	v_add3_u32 v35, v6, v33, s20
                                        ; implicit-def: $vgpr6
; %bb.170:                              ;   in Loop: Header=BB345_124 Depth=1
	s_andn2_saveexec_b64 s[2:3], s[0:1]
; %bb.171:                              ;   in Loop: Header=BB345_124 Depth=1
	v_or_b32_e32 v33, 0x10000, v6
	v_cmp_eq_u32_sdwa s[0:1], v6, v15 src0_sel:WORD_0 src1_sel:DWORD
	s_nop 1
	v_cndmask_b32_e64 v35, v33, v6, s[0:1]
; %bb.172:                              ;   in Loop: Header=BB345_124 Depth=1
	s_or_b64 exec, exec, s[2:3]
	v_and_b32_e32 v6, 0xff, v7
	v_cvt_f32_fp8_sdwa v6, v6 src0_sel:BYTE_0
	s_nop 0
	v_mul_f32_e32 v6, s18, v6
	v_and_b32_e32 v33, 0x7f800000, v6
	v_cmp_ne_u32_e64 s[0:1], s19, v33
                                        ; implicit-def: $vgpr33
	s_and_saveexec_b64 s[2:3], s[0:1]
	s_xor_b64 s[0:1], exec, s[2:3]
; %bb.173:                              ;   in Loop: Header=BB345_124 Depth=1
	v_bfe_u32 v33, v6, 16, 1
	v_add3_u32 v33, v6, v33, s20
                                        ; implicit-def: $vgpr6
; %bb.174:                              ;   in Loop: Header=BB345_124 Depth=1
	s_andn2_saveexec_b64 s[2:3], s[0:1]
; %bb.175:                              ;   in Loop: Header=BB345_124 Depth=1
	v_or_b32_e32 v33, 0x10000, v6
	v_cmp_eq_u32_sdwa s[0:1], v6, v15 src0_sel:WORD_0 src1_sel:DWORD
	s_nop 1
	v_cndmask_b32_e64 v33, v33, v6, s[0:1]
; %bb.176:                              ;   in Loop: Header=BB345_124 Depth=1
	s_or_b64 exec, exec, s[2:3]
	v_bfe_u32 v6, v7, 8, 8
	v_cvt_f32_fp8_sdwa v6, v6 src0_sel:BYTE_0
	s_nop 0
	v_mul_f32_e32 v6, s18, v6
	v_and_b32_e32 v34, 0x7f800000, v6
	v_cmp_ne_u32_e64 s[0:1], s19, v34
                                        ; implicit-def: $vgpr34
	s_and_saveexec_b64 s[2:3], s[0:1]
	s_xor_b64 s[0:1], exec, s[2:3]
; %bb.177:                              ;   in Loop: Header=BB345_124 Depth=1
	v_bfe_u32 v34, v6, 16, 1
	v_add3_u32 v34, v6, v34, s20
                                        ; implicit-def: $vgpr6
; %bb.178:                              ;   in Loop: Header=BB345_124 Depth=1
	s_andn2_saveexec_b64 s[2:3], s[0:1]
; %bb.179:                              ;   in Loop: Header=BB345_124 Depth=1
	v_or_b32_e32 v34, 0x10000, v6
	v_cmp_eq_u32_sdwa s[0:1], v6, v15 src0_sel:WORD_0 src1_sel:DWORD
	s_nop 1
	v_cndmask_b32_e64 v34, v34, v6, s[0:1]
; %bb.180:                              ;   in Loop: Header=BB345_124 Depth=1
	s_or_b64 exec, exec, s[2:3]
	v_bfe_u32 v6, v7, 16, 8
	v_cvt_f32_fp8_sdwa v6, v6 src0_sel:BYTE_0
	s_nop 0
	v_mul_f32_e32 v6, s18, v6
	v_and_b32_e32 v36, 0x7f800000, v6
	v_cmp_ne_u32_e64 s[0:1], s19, v36
                                        ; implicit-def: $vgpr36
	s_and_saveexec_b64 s[2:3], s[0:1]
	s_xor_b64 s[0:1], exec, s[2:3]
; %bb.181:                              ;   in Loop: Header=BB345_124 Depth=1
	v_bfe_u32 v36, v6, 16, 1
	v_add3_u32 v36, v6, v36, s20
                                        ; implicit-def: $vgpr6
; %bb.182:                              ;   in Loop: Header=BB345_124 Depth=1
	s_andn2_saveexec_b64 s[2:3], s[0:1]
; %bb.183:                              ;   in Loop: Header=BB345_124 Depth=1
	v_or_b32_e32 v36, 0x10000, v6
	v_cmp_eq_u32_sdwa s[0:1], v6, v15 src0_sel:WORD_0 src1_sel:DWORD
	s_nop 1
	v_cndmask_b32_e64 v36, v36, v6, s[0:1]
; %bb.184:                              ;   in Loop: Header=BB345_124 Depth=1
	s_or_b64 exec, exec, s[2:3]
	v_lshrrev_b32_e32 v6, 24, v7
	v_cvt_f32_fp8_sdwa v6, v6 src0_sel:BYTE_0
	s_nop 0
	v_mul_f32_e32 v6, s18, v6
	v_and_b32_e32 v7, 0x7f800000, v6
	v_cmp_ne_u32_e64 s[0:1], s19, v7
                                        ; implicit-def: $vgpr7
	s_and_saveexec_b64 s[2:3], s[0:1]
	s_xor_b64 s[0:1], exec, s[2:3]
; %bb.185:                              ;   in Loop: Header=BB345_124 Depth=1
	v_bfe_u32 v7, v6, 16, 1
	v_add3_u32 v7, v6, v7, s20
                                        ; implicit-def: $vgpr6
; %bb.186:                              ;   in Loop: Header=BB345_124 Depth=1
	s_andn2_saveexec_b64 s[2:3], s[0:1]
; %bb.187:                              ;   in Loop: Header=BB345_124 Depth=1
	v_or_b32_e32 v7, 0x10000, v6
	v_cmp_eq_u32_sdwa s[0:1], v6, v15 src0_sel:WORD_0 src1_sel:DWORD
	s_nop 1
	v_cndmask_b32_e64 v7, v7, v6, s[0:1]
; %bb.188:                              ;   in Loop: Header=BB345_124 Depth=1
	s_or_b64 exec, exec, s[2:3]
	v_cmp_eq_u32_e64 s[0:1], s7, v12
	v_add_u32_e32 v6, -7, v23
	v_lshrrev_b32_e32 v34, 16, v34
	v_lshrrev_b32_e32 v33, 16, v33
	;; [unrolled: 1-line block ×8, first 2 shown]
	s_and_saveexec_b64 s[14:15], s[0:1]
	s_cbranch_execz .LBB345_190
; %bb.189:                              ;   in Loop: Header=BB345_124 Depth=1
	v_cmp_gt_i32_e64 s[2:3], s29, v6
	v_add_u32_e32 v7, -6, v23
	s_nop 0
	v_cndmask_b32_e64 v8, 0, v8, s[2:3]
	v_cmp_gt_i32_e64 s[2:3], s29, v7
	v_add_u32_e32 v7, -5, v23
	s_nop 0
	v_cndmask_b32_e64 v9, 0, v9, s[2:3]
	;; [unrolled: 4-line block ×6, first 2 shown]
	v_cmp_gt_i32_e64 s[2:3], s29, v7
	s_nop 1
	v_cndmask_b32_e64 v35, 0, v35, s[2:3]
	v_cmp_gt_i32_e64 s[2:3], s29, v23
	s_nop 1
	v_cndmask_b32_e64 v36, 0, v36, s[2:3]
.LBB345_190:                            ;   in Loop: Header=BB345_124 Depth=1
	s_or_b64 exec, exec, s[14:15]
	v_and_b32_e32 v7, 0xffff0000, v29
	v_lshlrev_b32_e32 v8, 16, v8
	v_mul_f32_e32 v8, v7, v8
	v_and_b32_e32 v29, 0x7f800000, v8
	v_cmp_ne_u32_e64 s[2:3], s19, v29
                                        ; implicit-def: $vgpr29
	s_and_saveexec_b64 s[14:15], s[2:3]
	s_xor_b64 s[2:3], exec, s[14:15]
; %bb.191:                              ;   in Loop: Header=BB345_124 Depth=1
	v_bfe_u32 v29, v8, 16, 1
	v_add3_u32 v29, v8, v29, s20
                                        ; implicit-def: $vgpr8
; %bb.192:                              ;   in Loop: Header=BB345_124 Depth=1
	s_andn2_saveexec_b64 s[14:15], s[2:3]
; %bb.193:                              ;   in Loop: Header=BB345_124 Depth=1
	v_or_b32_e32 v29, 0x10000, v8
	v_cmp_eq_u32_sdwa s[2:3], v8, v15 src0_sel:WORD_0 src1_sel:DWORD
	s_nop 1
	v_cndmask_b32_e64 v29, v29, v8, s[2:3]
; %bb.194:                              ;   in Loop: Header=BB345_124 Depth=1
	s_or_b64 exec, exec, s[14:15]
	v_and_b32_e32 v8, 0xffff0000, v30
	v_lshlrev_b32_e32 v9, 16, v9
	v_mul_f32_e32 v9, v8, v9
	v_and_b32_e32 v30, 0x7f800000, v9
	v_cmp_ne_u32_e64 s[2:3], s19, v30
                                        ; implicit-def: $vgpr30
	s_and_saveexec_b64 s[14:15], s[2:3]
	s_xor_b64 s[2:3], exec, s[14:15]
; %bb.195:                              ;   in Loop: Header=BB345_124 Depth=1
	v_bfe_u32 v30, v9, 16, 1
	v_add3_u32 v30, v9, v30, s20
                                        ; implicit-def: $vgpr9
; %bb.196:                              ;   in Loop: Header=BB345_124 Depth=1
	s_andn2_saveexec_b64 s[14:15], s[2:3]
; %bb.197:                              ;   in Loop: Header=BB345_124 Depth=1
	v_or_b32_e32 v30, 0x10000, v9
	v_cmp_eq_u32_sdwa s[2:3], v9, v15 src0_sel:WORD_0 src1_sel:DWORD
	s_nop 1
	v_cndmask_b32_e64 v30, v30, v9, s[2:3]
; %bb.198:                              ;   in Loop: Header=BB345_124 Depth=1
	s_or_b64 exec, exec, s[14:15]
	v_and_b32_e32 v9, 0xffff0000, v31
	v_lshlrev_b32_e32 v31, 16, v32
	v_mul_f32_e32 v32, v9, v31
	v_and_b32_e32 v31, 0x7f800000, v32
	v_cmp_ne_u32_e64 s[2:3], s19, v31
                                        ; implicit-def: $vgpr31
	s_and_saveexec_b64 s[14:15], s[2:3]
	s_xor_b64 s[2:3], exec, s[14:15]
; %bb.199:                              ;   in Loop: Header=BB345_124 Depth=1
	v_bfe_u32 v31, v32, 16, 1
	v_add3_u32 v31, v32, v31, s20
                                        ; implicit-def: $vgpr32
; %bb.200:                              ;   in Loop: Header=BB345_124 Depth=1
	s_andn2_saveexec_b64 s[14:15], s[2:3]
; %bb.201:                              ;   in Loop: Header=BB345_124 Depth=1
	v_or_b32_e32 v31, 0x10000, v32
	v_cmp_eq_u32_sdwa s[2:3], v32, v15 src0_sel:WORD_0 src1_sel:DWORD
	s_nop 1
	v_cndmask_b32_e64 v31, v31, v32, s[2:3]
; %bb.202:                              ;   in Loop: Header=BB345_124 Depth=1
	s_or_b64 exec, exec, s[14:15]
	v_and_b32_e32 v13, 0xffff0000, v13
	v_lshlrev_b32_e32 v32, 16, v37
	v_mul_f32_e32 v37, v13, v32
	v_and_b32_e32 v32, 0x7f800000, v37
	v_cmp_ne_u32_e64 s[2:3], s19, v32
                                        ; implicit-def: $vgpr32
	s_and_saveexec_b64 s[14:15], s[2:3]
	s_xor_b64 s[2:3], exec, s[14:15]
; %bb.203:                              ;   in Loop: Header=BB345_124 Depth=1
	v_bfe_u32 v32, v37, 16, 1
	v_add3_u32 v32, v37, v32, s20
                                        ; implicit-def: $vgpr37
; %bb.204:                              ;   in Loop: Header=BB345_124 Depth=1
	s_andn2_saveexec_b64 s[14:15], s[2:3]
; %bb.205:                              ;   in Loop: Header=BB345_124 Depth=1
	v_or_b32_e32 v32, 0x10000, v37
	v_cmp_eq_u32_sdwa s[2:3], v37, v15 src0_sel:WORD_0 src1_sel:DWORD
	s_nop 1
	v_cndmask_b32_e64 v32, v32, v37, s[2:3]
; %bb.206:                              ;   in Loop: Header=BB345_124 Depth=1
	s_or_b64 exec, exec, s[14:15]
	v_and_b32_e32 v25, 0xffff0000, v25
	v_lshlrev_b32_e32 v33, 16, v33
	v_mul_f32_e32 v37, v25, v33
	v_and_b32_e32 v33, 0x7f800000, v37
	v_cmp_ne_u32_e64 s[2:3], s19, v33
                                        ; implicit-def: $vgpr33
	s_and_saveexec_b64 s[14:15], s[2:3]
	s_xor_b64 s[2:3], exec, s[14:15]
; %bb.207:                              ;   in Loop: Header=BB345_124 Depth=1
	v_bfe_u32 v33, v37, 16, 1
	v_add3_u32 v33, v37, v33, s20
                                        ; implicit-def: $vgpr37
; %bb.208:                              ;   in Loop: Header=BB345_124 Depth=1
	s_andn2_saveexec_b64 s[14:15], s[2:3]
; %bb.209:                              ;   in Loop: Header=BB345_124 Depth=1
	v_or_b32_e32 v33, 0x10000, v37
	v_cmp_eq_u32_sdwa s[2:3], v37, v15 src0_sel:WORD_0 src1_sel:DWORD
	s_nop 1
	v_cndmask_b32_e64 v33, v33, v37, s[2:3]
; %bb.210:                              ;   in Loop: Header=BB345_124 Depth=1
	s_or_b64 exec, exec, s[14:15]
	v_and_b32_e32 v26, 0xffff0000, v26
	v_lshlrev_b32_e32 v34, 16, v34
	v_mul_f32_e32 v37, v26, v34
	v_and_b32_e32 v34, 0x7f800000, v37
	v_cmp_ne_u32_e64 s[2:3], s19, v34
                                        ; implicit-def: $vgpr34
	s_and_saveexec_b64 s[14:15], s[2:3]
	s_xor_b64 s[2:3], exec, s[14:15]
; %bb.211:                              ;   in Loop: Header=BB345_124 Depth=1
	v_bfe_u32 v34, v37, 16, 1
	v_add3_u32 v34, v37, v34, s20
                                        ; implicit-def: $vgpr37
; %bb.212:                              ;   in Loop: Header=BB345_124 Depth=1
	s_andn2_saveexec_b64 s[14:15], s[2:3]
; %bb.213:                              ;   in Loop: Header=BB345_124 Depth=1
	v_or_b32_e32 v34, 0x10000, v37
	v_cmp_eq_u32_sdwa s[2:3], v37, v15 src0_sel:WORD_0 src1_sel:DWORD
	s_nop 1
	v_cndmask_b32_e64 v34, v34, v37, s[2:3]
; %bb.214:                              ;   in Loop: Header=BB345_124 Depth=1
	s_or_b64 exec, exec, s[14:15]
	v_and_b32_e32 v27, 0xffff0000, v27
	v_lshlrev_b32_e32 v35, 16, v35
	v_mul_f32_e32 v37, v27, v35
	v_and_b32_e32 v35, 0x7f800000, v37
	v_cmp_ne_u32_e64 s[2:3], s19, v35
                                        ; implicit-def: $vgpr35
	s_and_saveexec_b64 s[14:15], s[2:3]
	s_xor_b64 s[2:3], exec, s[14:15]
; %bb.215:                              ;   in Loop: Header=BB345_124 Depth=1
	v_bfe_u32 v35, v37, 16, 1
	v_add3_u32 v35, v37, v35, s20
                                        ; implicit-def: $vgpr37
; %bb.216:                              ;   in Loop: Header=BB345_124 Depth=1
	s_andn2_saveexec_b64 s[14:15], s[2:3]
; %bb.217:                              ;   in Loop: Header=BB345_124 Depth=1
	v_or_b32_e32 v35, 0x10000, v37
	v_cmp_eq_u32_sdwa s[2:3], v37, v15 src0_sel:WORD_0 src1_sel:DWORD
	s_nop 1
	v_cndmask_b32_e64 v35, v35, v37, s[2:3]
; %bb.218:                              ;   in Loop: Header=BB345_124 Depth=1
	s_or_b64 exec, exec, s[14:15]
	v_and_b32_e32 v28, 0xffff0000, v28
	v_lshlrev_b32_e32 v36, 16, v36
	v_mul_f32_e32 v37, v28, v36
	v_and_b32_e32 v36, 0x7f800000, v37
	v_cmp_ne_u32_e64 s[2:3], s19, v36
                                        ; implicit-def: $vgpr36
	s_and_saveexec_b64 s[14:15], s[2:3]
	s_xor_b64 s[2:3], exec, s[14:15]
; %bb.219:                              ;   in Loop: Header=BB345_124 Depth=1
	v_bfe_u32 v36, v37, 16, 1
	v_add3_u32 v36, v37, v36, s20
                                        ; implicit-def: $vgpr37
; %bb.220:                              ;   in Loop: Header=BB345_124 Depth=1
	s_andn2_saveexec_b64 s[14:15], s[2:3]
; %bb.221:                              ;   in Loop: Header=BB345_124 Depth=1
	v_or_b32_e32 v36, 0x10000, v37
	v_cmp_eq_u32_sdwa s[2:3], v37, v15 src0_sel:WORD_0 src1_sel:DWORD
	s_nop 1
	v_cndmask_b32_e64 v36, v36, v37, s[2:3]
; %bb.222:                              ;   in Loop: Header=BB345_124 Depth=1
	s_or_b64 exec, exec, s[14:15]
	global_load_dwordx2 v[4:5], v[4:5], off offset:512
	s_waitcnt vmcnt(0)
	v_and_b32_e32 v37, 0xff, v4
	v_cvt_f32_fp8_sdwa v37, v37 src0_sel:BYTE_0
	s_nop 0
	v_mul_f32_e32 v38, s18, v37
	v_and_b32_e32 v37, 0x7f800000, v38
	v_cmp_ne_u32_e64 s[2:3], s19, v37
                                        ; implicit-def: $vgpr37
	s_and_saveexec_b64 s[14:15], s[2:3]
	s_xor_b64 s[2:3], exec, s[14:15]
; %bb.223:                              ;   in Loop: Header=BB345_124 Depth=1
	v_bfe_u32 v37, v38, 16, 1
	v_add3_u32 v37, v38, v37, s20
                                        ; implicit-def: $vgpr38
; %bb.224:                              ;   in Loop: Header=BB345_124 Depth=1
	s_andn2_saveexec_b64 s[14:15], s[2:3]
; %bb.225:                              ;   in Loop: Header=BB345_124 Depth=1
	v_or_b32_e32 v37, 0x10000, v38
	v_cmp_eq_u32_sdwa s[2:3], v38, v15 src0_sel:WORD_0 src1_sel:DWORD
	s_nop 1
	v_cndmask_b32_e64 v37, v37, v38, s[2:3]
; %bb.226:                              ;   in Loop: Header=BB345_124 Depth=1
	s_or_b64 exec, exec, s[14:15]
	v_bfe_u32 v38, v4, 8, 8
	v_cvt_f32_fp8_sdwa v38, v38 src0_sel:BYTE_0
	s_nop 0
	v_mul_f32_e32 v39, s18, v38
	v_and_b32_e32 v38, 0x7f800000, v39
	v_cmp_ne_u32_e64 s[2:3], s19, v38
                                        ; implicit-def: $vgpr38
	s_and_saveexec_b64 s[14:15], s[2:3]
	s_xor_b64 s[2:3], exec, s[14:15]
; %bb.227:                              ;   in Loop: Header=BB345_124 Depth=1
	v_bfe_u32 v38, v39, 16, 1
	v_add3_u32 v38, v39, v38, s20
                                        ; implicit-def: $vgpr39
; %bb.228:                              ;   in Loop: Header=BB345_124 Depth=1
	s_andn2_saveexec_b64 s[14:15], s[2:3]
; %bb.229:                              ;   in Loop: Header=BB345_124 Depth=1
	v_or_b32_e32 v38, 0x10000, v39
	v_cmp_eq_u32_sdwa s[2:3], v39, v15 src0_sel:WORD_0 src1_sel:DWORD
	s_nop 1
	v_cndmask_b32_e64 v38, v38, v39, s[2:3]
; %bb.230:                              ;   in Loop: Header=BB345_124 Depth=1
	s_or_b64 exec, exec, s[14:15]
	v_bfe_u32 v39, v4, 16, 8
	v_cvt_f32_fp8_sdwa v39, v39 src0_sel:BYTE_0
	s_nop 0
	v_mul_f32_e32 v39, s18, v39
	v_and_b32_e32 v40, 0x7f800000, v39
	v_cmp_ne_u32_e64 s[2:3], s19, v40
                                        ; implicit-def: $vgpr40
	s_and_saveexec_b64 s[14:15], s[2:3]
	s_xor_b64 s[2:3], exec, s[14:15]
; %bb.231:                              ;   in Loop: Header=BB345_124 Depth=1
	v_bfe_u32 v40, v39, 16, 1
	v_add3_u32 v40, v39, v40, s20
                                        ; implicit-def: $vgpr39
; %bb.232:                              ;   in Loop: Header=BB345_124 Depth=1
	s_andn2_saveexec_b64 s[14:15], s[2:3]
; %bb.233:                              ;   in Loop: Header=BB345_124 Depth=1
	v_or_b32_e32 v40, 0x10000, v39
	v_cmp_eq_u32_sdwa s[2:3], v39, v15 src0_sel:WORD_0 src1_sel:DWORD
	s_nop 1
	v_cndmask_b32_e64 v40, v40, v39, s[2:3]
; %bb.234:                              ;   in Loop: Header=BB345_124 Depth=1
	s_or_b64 exec, exec, s[14:15]
	v_lshrrev_b32_e32 v4, 24, v4
	v_cvt_f32_fp8_sdwa v4, v4 src0_sel:BYTE_0
	s_nop 0
	v_mul_f32_e32 v39, s18, v4
	v_and_b32_e32 v4, 0x7f800000, v39
	v_cmp_ne_u32_e64 s[2:3], s19, v4
                                        ; implicit-def: $vgpr4
	s_and_saveexec_b64 s[14:15], s[2:3]
	s_xor_b64 s[2:3], exec, s[14:15]
; %bb.235:                              ;   in Loop: Header=BB345_124 Depth=1
	v_bfe_u32 v4, v39, 16, 1
	v_add3_u32 v4, v39, v4, s20
                                        ; implicit-def: $vgpr39
; %bb.236:                              ;   in Loop: Header=BB345_124 Depth=1
	s_andn2_saveexec_b64 s[14:15], s[2:3]
; %bb.237:                              ;   in Loop: Header=BB345_124 Depth=1
	v_or_b32_e32 v4, 0x10000, v39
	v_cmp_eq_u32_sdwa s[2:3], v39, v15 src0_sel:WORD_0 src1_sel:DWORD
	s_nop 1
	v_cndmask_b32_e64 v4, v4, v39, s[2:3]
; %bb.238:                              ;   in Loop: Header=BB345_124 Depth=1
	s_or_b64 exec, exec, s[14:15]
	v_and_b32_e32 v39, 0xff, v5
	v_cvt_f32_fp8_sdwa v39, v39 src0_sel:BYTE_0
	s_nop 0
	v_mul_f32_e32 v39, s18, v39
	v_and_b32_e32 v41, 0x7f800000, v39
	v_cmp_ne_u32_e64 s[2:3], s19, v41
                                        ; implicit-def: $vgpr41
	s_and_saveexec_b64 s[14:15], s[2:3]
	s_xor_b64 s[2:3], exec, s[14:15]
; %bb.239:                              ;   in Loop: Header=BB345_124 Depth=1
	v_bfe_u32 v41, v39, 16, 1
	v_add3_u32 v41, v39, v41, s20
                                        ; implicit-def: $vgpr39
; %bb.240:                              ;   in Loop: Header=BB345_124 Depth=1
	s_andn2_saveexec_b64 s[14:15], s[2:3]
; %bb.241:                              ;   in Loop: Header=BB345_124 Depth=1
	v_or_b32_e32 v41, 0x10000, v39
	v_cmp_eq_u32_sdwa s[2:3], v39, v15 src0_sel:WORD_0 src1_sel:DWORD
	s_nop 1
	v_cndmask_b32_e64 v41, v41, v39, s[2:3]
; %bb.242:                              ;   in Loop: Header=BB345_124 Depth=1
	s_or_b64 exec, exec, s[14:15]
	v_bfe_u32 v39, v5, 8, 8
	v_cvt_f32_fp8_sdwa v39, v39 src0_sel:BYTE_0
	s_nop 0
	v_mul_f32_e32 v42, s18, v39
	v_and_b32_e32 v39, 0x7f800000, v42
	v_cmp_ne_u32_e64 s[2:3], s19, v39
                                        ; implicit-def: $vgpr39
	s_and_saveexec_b64 s[14:15], s[2:3]
	s_xor_b64 s[2:3], exec, s[14:15]
; %bb.243:                              ;   in Loop: Header=BB345_124 Depth=1
	v_bfe_u32 v39, v42, 16, 1
	v_add3_u32 v39, v42, v39, s20
                                        ; implicit-def: $vgpr42
; %bb.244:                              ;   in Loop: Header=BB345_124 Depth=1
	s_andn2_saveexec_b64 s[14:15], s[2:3]
; %bb.245:                              ;   in Loop: Header=BB345_124 Depth=1
	v_or_b32_e32 v39, 0x10000, v42
	v_cmp_eq_u32_sdwa s[2:3], v42, v15 src0_sel:WORD_0 src1_sel:DWORD
	s_nop 1
	v_cndmask_b32_e64 v39, v39, v42, s[2:3]
; %bb.246:                              ;   in Loop: Header=BB345_124 Depth=1
	s_or_b64 exec, exec, s[14:15]
	v_bfe_u32 v42, v5, 16, 8
	v_cvt_f32_fp8_sdwa v42, v42 src0_sel:BYTE_0
	s_nop 0
	v_mul_f32_e32 v42, s18, v42
	v_and_b32_e32 v43, 0x7f800000, v42
	v_cmp_ne_u32_e64 s[2:3], s19, v43
                                        ; implicit-def: $vgpr43
	s_and_saveexec_b64 s[14:15], s[2:3]
	s_xor_b64 s[2:3], exec, s[14:15]
; %bb.247:                              ;   in Loop: Header=BB345_124 Depth=1
	v_bfe_u32 v43, v42, 16, 1
	v_add3_u32 v43, v42, v43, s20
                                        ; implicit-def: $vgpr42
; %bb.248:                              ;   in Loop: Header=BB345_124 Depth=1
	s_andn2_saveexec_b64 s[14:15], s[2:3]
; %bb.249:                              ;   in Loop: Header=BB345_124 Depth=1
	v_or_b32_e32 v43, 0x10000, v42
	v_cmp_eq_u32_sdwa s[2:3], v42, v15 src0_sel:WORD_0 src1_sel:DWORD
	s_nop 1
	v_cndmask_b32_e64 v43, v43, v42, s[2:3]
; %bb.250:                              ;   in Loop: Header=BB345_124 Depth=1
	s_or_b64 exec, exec, s[14:15]
	v_lshrrev_b32_e32 v5, 24, v5
	v_cvt_f32_fp8_sdwa v5, v5 src0_sel:BYTE_0
                                        ; implicit-def: $vgpr44
	s_nop 0
	v_mul_f32_e32 v5, s18, v5
	v_and_b32_e32 v42, 0x7f800000, v5
	v_cmp_ne_u32_e64 s[2:3], s19, v42
	s_and_saveexec_b64 s[14:15], s[2:3]
	s_xor_b64 s[2:3], exec, s[14:15]
; %bb.251:                              ;   in Loop: Header=BB345_124 Depth=1
	v_bfe_u32 v42, v5, 16, 1
	v_add3_u32 v44, v5, v42, s20
                                        ; implicit-def: $vgpr5
; %bb.252:                              ;   in Loop: Header=BB345_124 Depth=1
	s_andn2_saveexec_b64 s[14:15], s[2:3]
; %bb.253:                              ;   in Loop: Header=BB345_124 Depth=1
	v_or_b32_e32 v42, 0x10000, v5
	v_cmp_eq_u32_sdwa s[2:3], v5, v15 src0_sel:WORD_0 src1_sel:DWORD
	s_nop 1
	v_cndmask_b32_e64 v44, v42, v5, s[2:3]
; %bb.254:                              ;   in Loop: Header=BB345_124 Depth=1
	s_or_b64 exec, exec, s[14:15]
	v_lshrrev_b32_e32 v39, 16, v39
	v_lshrrev_b32_e32 v41, 16, v41
	;; [unrolled: 1-line block ×8, first 2 shown]
	s_and_saveexec_b64 s[14:15], s[0:1]
	s_cbranch_execz .LBB345_256
; %bb.255:                              ;   in Loop: Header=BB345_124 Depth=1
	v_cmp_gt_i32_e64 s[2:3], s29, v6
	v_add_u32_e32 v43, -6, v23
	s_nop 0
	v_cndmask_b32_e64 v5, 0, v5, s[2:3]
	v_cmp_gt_i32_e64 s[2:3], s29, v43
	v_add_u32_e32 v43, -5, v23
	s_nop 0
	v_cndmask_b32_e64 v38, 0, v38, s[2:3]
	;; [unrolled: 4-line block ×6, first 2 shown]
	v_cmp_gt_i32_e64 s[2:3], s29, v43
	s_nop 1
	v_cndmask_b32_e64 v37, 0, v37, s[2:3]
	v_cmp_gt_i32_e64 s[2:3], s29, v23
	s_nop 1
	v_cndmask_b32_e64 v4, 0, v4, s[2:3]
.LBB345_256:                            ;   in Loop: Header=BB345_124 Depth=1
	s_or_b64 exec, exec, s[14:15]
	v_lshlrev_b32_e32 v5, 16, v5
	v_mul_f32_e32 v43, v7, v5
	v_and_b32_e32 v5, 0x7f800000, v43
	v_cmp_ne_u32_e64 s[2:3], s19, v5
                                        ; implicit-def: $vgpr5
	s_and_saveexec_b64 s[14:15], s[2:3]
	s_xor_b64 s[2:3], exec, s[14:15]
; %bb.257:                              ;   in Loop: Header=BB345_124 Depth=1
	v_bfe_u32 v5, v43, 16, 1
	v_add3_u32 v5, v43, v5, s20
                                        ; implicit-def: $vgpr43
; %bb.258:                              ;   in Loop: Header=BB345_124 Depth=1
	s_andn2_saveexec_b64 s[14:15], s[2:3]
; %bb.259:                              ;   in Loop: Header=BB345_124 Depth=1
	v_or_b32_e32 v5, 0x10000, v43
	v_cmp_eq_u32_sdwa s[2:3], v43, v15 src0_sel:WORD_0 src1_sel:DWORD
	s_nop 1
	v_cndmask_b32_e64 v5, v5, v43, s[2:3]
; %bb.260:                              ;   in Loop: Header=BB345_124 Depth=1
	s_or_b64 exec, exec, s[14:15]
	v_lshlrev_b32_e32 v38, 16, v38
	v_mul_f32_e32 v43, v8, v38
	v_and_b32_e32 v38, 0x7f800000, v43
	v_cmp_ne_u32_e64 s[2:3], s19, v38
                                        ; implicit-def: $vgpr38
	s_and_saveexec_b64 s[14:15], s[2:3]
	s_xor_b64 s[2:3], exec, s[14:15]
; %bb.261:                              ;   in Loop: Header=BB345_124 Depth=1
	v_bfe_u32 v38, v43, 16, 1
	v_add3_u32 v38, v43, v38, s20
                                        ; implicit-def: $vgpr43
; %bb.262:                              ;   in Loop: Header=BB345_124 Depth=1
	s_andn2_saveexec_b64 s[14:15], s[2:3]
; %bb.263:                              ;   in Loop: Header=BB345_124 Depth=1
	v_or_b32_e32 v38, 0x10000, v43
	v_cmp_eq_u32_sdwa s[2:3], v43, v15 src0_sel:WORD_0 src1_sel:DWORD
	s_nop 1
	v_cndmask_b32_e64 v38, v38, v43, s[2:3]
; %bb.264:                              ;   in Loop: Header=BB345_124 Depth=1
	s_or_b64 exec, exec, s[14:15]
	v_lshlrev_b32_e32 v40, 16, v40
	v_mul_f32_e32 v43, v9, v40
	v_and_b32_e32 v40, 0x7f800000, v43
	v_cmp_ne_u32_e64 s[2:3], s19, v40
                                        ; implicit-def: $vgpr40
	s_and_saveexec_b64 s[14:15], s[2:3]
	s_xor_b64 s[2:3], exec, s[14:15]
; %bb.265:                              ;   in Loop: Header=BB345_124 Depth=1
	v_bfe_u32 v40, v43, 16, 1
	v_add3_u32 v40, v43, v40, s20
                                        ; implicit-def: $vgpr43
; %bb.266:                              ;   in Loop: Header=BB345_124 Depth=1
	s_andn2_saveexec_b64 s[14:15], s[2:3]
; %bb.267:                              ;   in Loop: Header=BB345_124 Depth=1
	v_or_b32_e32 v40, 0x10000, v43
	v_cmp_eq_u32_sdwa s[2:3], v43, v15 src0_sel:WORD_0 src1_sel:DWORD
	s_nop 1
	v_cndmask_b32_e64 v40, v40, v43, s[2:3]
; %bb.268:                              ;   in Loop: Header=BB345_124 Depth=1
	s_or_b64 exec, exec, s[14:15]
	v_lshlrev_b32_e32 v42, 16, v42
	v_mul_f32_e32 v43, v13, v42
	v_and_b32_e32 v42, 0x7f800000, v43
	v_cmp_ne_u32_e64 s[2:3], s19, v42
                                        ; implicit-def: $vgpr42
	s_and_saveexec_b64 s[14:15], s[2:3]
	s_xor_b64 s[2:3], exec, s[14:15]
; %bb.269:                              ;   in Loop: Header=BB345_124 Depth=1
	v_bfe_u32 v42, v43, 16, 1
	v_add3_u32 v42, v43, v42, s20
                                        ; implicit-def: $vgpr43
; %bb.270:                              ;   in Loop: Header=BB345_124 Depth=1
	s_andn2_saveexec_b64 s[14:15], s[2:3]
; %bb.271:                              ;   in Loop: Header=BB345_124 Depth=1
	v_or_b32_e32 v42, 0x10000, v43
	v_cmp_eq_u32_sdwa s[2:3], v43, v15 src0_sel:WORD_0 src1_sel:DWORD
	s_nop 1
	v_cndmask_b32_e64 v42, v42, v43, s[2:3]
; %bb.272:                              ;   in Loop: Header=BB345_124 Depth=1
	s_or_b64 exec, exec, s[14:15]
	v_lshlrev_b32_e32 v41, 16, v41
	v_mul_f32_e32 v43, v25, v41
	v_and_b32_e32 v41, 0x7f800000, v43
	v_cmp_ne_u32_e64 s[2:3], s19, v41
                                        ; implicit-def: $vgpr41
	s_and_saveexec_b64 s[14:15], s[2:3]
	s_xor_b64 s[2:3], exec, s[14:15]
; %bb.273:                              ;   in Loop: Header=BB345_124 Depth=1
	v_bfe_u32 v41, v43, 16, 1
	v_add3_u32 v41, v43, v41, s20
                                        ; implicit-def: $vgpr43
; %bb.274:                              ;   in Loop: Header=BB345_124 Depth=1
	s_andn2_saveexec_b64 s[14:15], s[2:3]
; %bb.275:                              ;   in Loop: Header=BB345_124 Depth=1
	v_or_b32_e32 v41, 0x10000, v43
	v_cmp_eq_u32_sdwa s[2:3], v43, v15 src0_sel:WORD_0 src1_sel:DWORD
	s_nop 1
	v_cndmask_b32_e64 v41, v41, v43, s[2:3]
; %bb.276:                              ;   in Loop: Header=BB345_124 Depth=1
	s_or_b64 exec, exec, s[14:15]
	v_lshlrev_b32_e32 v39, 16, v39
	v_mul_f32_e32 v43, v26, v39
	v_and_b32_e32 v39, 0x7f800000, v43
	v_cmp_ne_u32_e64 s[2:3], s19, v39
                                        ; implicit-def: $vgpr39
	s_and_saveexec_b64 s[14:15], s[2:3]
	s_xor_b64 s[2:3], exec, s[14:15]
; %bb.277:                              ;   in Loop: Header=BB345_124 Depth=1
	v_bfe_u32 v39, v43, 16, 1
	v_add3_u32 v39, v43, v39, s20
                                        ; implicit-def: $vgpr43
; %bb.278:                              ;   in Loop: Header=BB345_124 Depth=1
	s_andn2_saveexec_b64 s[14:15], s[2:3]
; %bb.279:                              ;   in Loop: Header=BB345_124 Depth=1
	v_or_b32_e32 v39, 0x10000, v43
	v_cmp_eq_u32_sdwa s[2:3], v43, v15 src0_sel:WORD_0 src1_sel:DWORD
	s_nop 1
	v_cndmask_b32_e64 v39, v39, v43, s[2:3]
; %bb.280:                              ;   in Loop: Header=BB345_124 Depth=1
	s_or_b64 exec, exec, s[14:15]
	v_lshlrev_b32_e32 v37, 16, v37
	v_mul_f32_e32 v43, v27, v37
	v_and_b32_e32 v37, 0x7f800000, v43
	v_cmp_ne_u32_e64 s[2:3], s19, v37
                                        ; implicit-def: $vgpr37
	s_and_saveexec_b64 s[14:15], s[2:3]
	s_xor_b64 s[2:3], exec, s[14:15]
; %bb.281:                              ;   in Loop: Header=BB345_124 Depth=1
	v_bfe_u32 v37, v43, 16, 1
	v_add3_u32 v37, v43, v37, s20
                                        ; implicit-def: $vgpr43
; %bb.282:                              ;   in Loop: Header=BB345_124 Depth=1
	s_andn2_saveexec_b64 s[14:15], s[2:3]
; %bb.283:                              ;   in Loop: Header=BB345_124 Depth=1
	v_or_b32_e32 v37, 0x10000, v43
	v_cmp_eq_u32_sdwa s[2:3], v43, v15 src0_sel:WORD_0 src1_sel:DWORD
	s_nop 1
	v_cndmask_b32_e64 v37, v37, v43, s[2:3]
; %bb.284:                              ;   in Loop: Header=BB345_124 Depth=1
	s_or_b64 exec, exec, s[14:15]
	v_lshlrev_b32_e32 v4, 16, v4
	v_mul_f32_e32 v43, v28, v4
	v_and_b32_e32 v4, 0x7f800000, v43
	v_cmp_ne_u32_e64 s[2:3], s19, v4
                                        ; implicit-def: $vgpr4
	s_and_saveexec_b64 s[14:15], s[2:3]
	s_xor_b64 s[2:3], exec, s[14:15]
; %bb.285:                              ;   in Loop: Header=BB345_124 Depth=1
	v_bfe_u32 v4, v43, 16, 1
	v_add3_u32 v4, v43, v4, s20
                                        ; implicit-def: $vgpr43
; %bb.286:                              ;   in Loop: Header=BB345_124 Depth=1
	s_andn2_saveexec_b64 s[14:15], s[2:3]
; %bb.287:                              ;   in Loop: Header=BB345_124 Depth=1
	v_or_b32_e32 v4, 0x10000, v43
	v_cmp_eq_u32_sdwa s[2:3], v43, v15 src0_sel:WORD_0 src1_sel:DWORD
	s_nop 1
	v_cndmask_b32_e64 v4, v4, v43, s[2:3]
; %bb.288:                              ;   in Loop: Header=BB345_124 Depth=1
	s_or_b64 exec, exec, s[14:15]
	v_and_b32_e32 v44, 0xffff0000, v34
	v_and_b32_e32 v34, 0xffff0000, v33
	v_and_b32_e32 v33, 0xffff0000, v32
	v_and_b32_e32 v32, 0xffff0000, v30
	v_and_b32_e32 v31, 0xffff0000, v31
	v_and_b32_e32 v30, 0xffff0000, v29
	v_and_b32_e32 v45, 0xffff0000, v36
	v_and_b32_e32 v35, 0xffff0000, v35
	v_pk_add_f32 v[30:31], v[30:31], v[32:33]
	v_pk_add_f32 v[32:33], v[34:35], v[44:45]
	v_add_f32_e32 v29, v30, v31
	v_add_f32_e32 v29, v29, v32
	v_add_f32_e32 v29, v29, v33
	v_and_b32_e32 v33, 0xffff0000, v37
	v_and_b32_e32 v35, 0xffff0000, v42
	;; [unrolled: 1-line block ×8, first 2 shown]
	v_pk_add_f32 v[4:5], v[36:37], v[34:35]
	v_pk_add_f32 v[30:31], v[32:33], v[30:31]
	v_add_f32_e32 v4, v4, v5
	v_add_f32_e32 v4, v4, v30
	;; [unrolled: 1-line block ×5, first 2 shown]
	s_and_saveexec_b64 s[14:15], vcc
	s_cbranch_execz .LBB345_123
; %bb.289:                              ;   in Loop: Header=BB345_124 Depth=1
	v_lshl_add_u64 v[2:3], v[2:3], 0, v[18:19]
	global_load_dwordx2 v[2:3], v[2:3], off
	s_waitcnt vmcnt(0)
	v_and_b32_e32 v4, 0xff, v2
	v_cvt_f32_fp8_sdwa v4, v4 src0_sel:BYTE_0
	s_nop 0
	v_mul_f32_e32 v5, s18, v4
	v_and_b32_e32 v4, 0x7f800000, v5
	v_cmp_ne_u32_e64 s[2:3], s19, v4
                                        ; implicit-def: $vgpr4
	s_and_saveexec_b64 s[16:17], s[2:3]
	s_xor_b64 s[2:3], exec, s[16:17]
; %bb.290:                              ;   in Loop: Header=BB345_124 Depth=1
	v_bfe_u32 v4, v5, 16, 1
	v_add3_u32 v4, v5, v4, s20
                                        ; implicit-def: $vgpr5
; %bb.291:                              ;   in Loop: Header=BB345_124 Depth=1
	s_andn2_saveexec_b64 s[16:17], s[2:3]
; %bb.292:                              ;   in Loop: Header=BB345_124 Depth=1
	v_or_b32_e32 v4, 0x10000, v5
	v_cmp_eq_u32_sdwa s[2:3], v5, v15 src0_sel:WORD_0 src1_sel:DWORD
	s_nop 1
	v_cndmask_b32_e64 v4, v4, v5, s[2:3]
; %bb.293:                              ;   in Loop: Header=BB345_124 Depth=1
	s_or_b64 exec, exec, s[16:17]
	v_bfe_u32 v5, v2, 8, 8
	v_cvt_f32_fp8_sdwa v5, v5 src0_sel:BYTE_0
	s_nop 0
	v_mul_f32_e32 v29, s18, v5
	v_and_b32_e32 v5, 0x7f800000, v29
	v_cmp_ne_u32_e64 s[2:3], s19, v5
                                        ; implicit-def: $vgpr5
	s_and_saveexec_b64 s[16:17], s[2:3]
	s_xor_b64 s[2:3], exec, s[16:17]
; %bb.294:                              ;   in Loop: Header=BB345_124 Depth=1
	v_bfe_u32 v5, v29, 16, 1
	v_add3_u32 v5, v29, v5, s20
                                        ; implicit-def: $vgpr29
; %bb.295:                              ;   in Loop: Header=BB345_124 Depth=1
	s_andn2_saveexec_b64 s[16:17], s[2:3]
; %bb.296:                              ;   in Loop: Header=BB345_124 Depth=1
	v_or_b32_e32 v5, 0x10000, v29
	v_cmp_eq_u32_sdwa s[2:3], v29, v15 src0_sel:WORD_0 src1_sel:DWORD
	s_nop 1
	v_cndmask_b32_e64 v5, v5, v29, s[2:3]
; %bb.297:                              ;   in Loop: Header=BB345_124 Depth=1
	s_or_b64 exec, exec, s[16:17]
	v_bfe_u32 v29, v2, 16, 8
	v_cvt_f32_fp8_sdwa v29, v29 src0_sel:BYTE_0
	s_nop 0
	v_mul_f32_e32 v29, s18, v29
	v_and_b32_e32 v30, 0x7f800000, v29
	v_cmp_ne_u32_e64 s[2:3], s19, v30
                                        ; implicit-def: $vgpr30
	s_and_saveexec_b64 s[16:17], s[2:3]
	s_xor_b64 s[2:3], exec, s[16:17]
; %bb.298:                              ;   in Loop: Header=BB345_124 Depth=1
	v_bfe_u32 v30, v29, 16, 1
	v_add3_u32 v30, v29, v30, s20
                                        ; implicit-def: $vgpr29
; %bb.299:                              ;   in Loop: Header=BB345_124 Depth=1
	s_andn2_saveexec_b64 s[16:17], s[2:3]
; %bb.300:                              ;   in Loop: Header=BB345_124 Depth=1
	v_or_b32_e32 v30, 0x10000, v29
	v_cmp_eq_u32_sdwa s[2:3], v29, v15 src0_sel:WORD_0 src1_sel:DWORD
	s_nop 1
	v_cndmask_b32_e64 v30, v30, v29, s[2:3]
; %bb.301:                              ;   in Loop: Header=BB345_124 Depth=1
	s_or_b64 exec, exec, s[16:17]
	v_lshrrev_b32_e32 v2, 24, v2
	v_cvt_f32_fp8_sdwa v2, v2 src0_sel:BYTE_0
	s_nop 0
	v_mul_f32_e32 v29, s18, v2
	v_and_b32_e32 v2, 0x7f800000, v29
	v_cmp_ne_u32_e64 s[2:3], s19, v2
                                        ; implicit-def: $vgpr2
	s_and_saveexec_b64 s[16:17], s[2:3]
	s_xor_b64 s[2:3], exec, s[16:17]
; %bb.302:                              ;   in Loop: Header=BB345_124 Depth=1
	v_bfe_u32 v2, v29, 16, 1
	v_add3_u32 v2, v29, v2, s20
                                        ; implicit-def: $vgpr29
; %bb.303:                              ;   in Loop: Header=BB345_124 Depth=1
	s_andn2_saveexec_b64 s[16:17], s[2:3]
; %bb.304:                              ;   in Loop: Header=BB345_124 Depth=1
	v_or_b32_e32 v2, 0x10000, v29
	v_cmp_eq_u32_sdwa s[2:3], v29, v15 src0_sel:WORD_0 src1_sel:DWORD
	s_nop 1
	v_cndmask_b32_e64 v2, v2, v29, s[2:3]
; %bb.305:                              ;   in Loop: Header=BB345_124 Depth=1
	s_or_b64 exec, exec, s[16:17]
	v_and_b32_e32 v29, 0xff, v3
	v_cvt_f32_fp8_sdwa v29, v29 src0_sel:BYTE_0
	s_nop 0
	v_mul_f32_e32 v29, s18, v29
	v_and_b32_e32 v31, 0x7f800000, v29
	v_cmp_ne_u32_e64 s[2:3], s19, v31
                                        ; implicit-def: $vgpr31
	s_and_saveexec_b64 s[16:17], s[2:3]
	s_xor_b64 s[2:3], exec, s[16:17]
; %bb.306:                              ;   in Loop: Header=BB345_124 Depth=1
	v_bfe_u32 v31, v29, 16, 1
	v_add3_u32 v31, v29, v31, s20
                                        ; implicit-def: $vgpr29
; %bb.307:                              ;   in Loop: Header=BB345_124 Depth=1
	s_andn2_saveexec_b64 s[16:17], s[2:3]
; %bb.308:                              ;   in Loop: Header=BB345_124 Depth=1
	v_or_b32_e32 v31, 0x10000, v29
	v_cmp_eq_u32_sdwa s[2:3], v29, v15 src0_sel:WORD_0 src1_sel:DWORD
	s_nop 1
	v_cndmask_b32_e64 v31, v31, v29, s[2:3]
; %bb.309:                              ;   in Loop: Header=BB345_124 Depth=1
	s_or_b64 exec, exec, s[16:17]
	v_bfe_u32 v29, v3, 8, 8
	v_cvt_f32_fp8_sdwa v29, v29 src0_sel:BYTE_0
	s_nop 0
	v_mul_f32_e32 v32, s18, v29
	v_and_b32_e32 v29, 0x7f800000, v32
	v_cmp_ne_u32_e64 s[2:3], s19, v29
                                        ; implicit-def: $vgpr29
	s_and_saveexec_b64 s[16:17], s[2:3]
	s_xor_b64 s[2:3], exec, s[16:17]
; %bb.310:                              ;   in Loop: Header=BB345_124 Depth=1
	v_bfe_u32 v29, v32, 16, 1
	v_add3_u32 v29, v32, v29, s20
                                        ; implicit-def: $vgpr32
; %bb.311:                              ;   in Loop: Header=BB345_124 Depth=1
	s_andn2_saveexec_b64 s[16:17], s[2:3]
; %bb.312:                              ;   in Loop: Header=BB345_124 Depth=1
	v_or_b32_e32 v29, 0x10000, v32
	v_cmp_eq_u32_sdwa s[2:3], v32, v15 src0_sel:WORD_0 src1_sel:DWORD
	s_nop 1
	v_cndmask_b32_e64 v29, v29, v32, s[2:3]
; %bb.313:                              ;   in Loop: Header=BB345_124 Depth=1
	s_or_b64 exec, exec, s[16:17]
	v_bfe_u32 v32, v3, 16, 8
	v_cvt_f32_fp8_sdwa v32, v32 src0_sel:BYTE_0
	s_nop 0
	v_mul_f32_e32 v32, s18, v32
	v_and_b32_e32 v33, 0x7f800000, v32
	v_cmp_ne_u32_e64 s[2:3], s19, v33
                                        ; implicit-def: $vgpr33
	s_and_saveexec_b64 s[16:17], s[2:3]
	s_xor_b64 s[2:3], exec, s[16:17]
; %bb.314:                              ;   in Loop: Header=BB345_124 Depth=1
	v_bfe_u32 v33, v32, 16, 1
	v_add3_u32 v33, v32, v33, s20
                                        ; implicit-def: $vgpr32
; %bb.315:                              ;   in Loop: Header=BB345_124 Depth=1
	s_andn2_saveexec_b64 s[16:17], s[2:3]
; %bb.316:                              ;   in Loop: Header=BB345_124 Depth=1
	v_or_b32_e32 v33, 0x10000, v32
	v_cmp_eq_u32_sdwa s[2:3], v32, v15 src0_sel:WORD_0 src1_sel:DWORD
	s_nop 1
	v_cndmask_b32_e64 v33, v33, v32, s[2:3]
; %bb.317:                              ;   in Loop: Header=BB345_124 Depth=1
	s_or_b64 exec, exec, s[16:17]
	v_lshrrev_b32_e32 v3, 24, v3
	v_cvt_f32_fp8_sdwa v3, v3 src0_sel:BYTE_0
                                        ; implicit-def: $vgpr34
	s_nop 0
	v_mul_f32_e32 v3, s18, v3
	v_and_b32_e32 v32, 0x7f800000, v3
	v_cmp_ne_u32_e64 s[2:3], s19, v32
	s_and_saveexec_b64 s[16:17], s[2:3]
	s_xor_b64 s[2:3], exec, s[16:17]
; %bb.318:                              ;   in Loop: Header=BB345_124 Depth=1
	v_bfe_u32 v32, v3, 16, 1
	v_add3_u32 v34, v3, v32, s20
                                        ; implicit-def: $vgpr3
; %bb.319:                              ;   in Loop: Header=BB345_124 Depth=1
	s_andn2_saveexec_b64 s[16:17], s[2:3]
; %bb.320:                              ;   in Loop: Header=BB345_124 Depth=1
	v_or_b32_e32 v32, 0x10000, v3
	v_cmp_eq_u32_sdwa s[2:3], v3, v15 src0_sel:WORD_0 src1_sel:DWORD
	s_nop 1
	v_cndmask_b32_e64 v34, v32, v3, s[2:3]
; %bb.321:                              ;   in Loop: Header=BB345_124 Depth=1
	s_or_b64 exec, exec, s[16:17]
	v_lshrrev_b32_e32 v29, 16, v29
	v_lshrrev_b32_e32 v31, 16, v31
	;; [unrolled: 1-line block ×8, first 2 shown]
	s_and_saveexec_b64 s[2:3], s[0:1]
	s_cbranch_execz .LBB345_323
; %bb.322:                              ;   in Loop: Header=BB345_124 Depth=1
	v_cmp_gt_i32_e64 s[0:1], s29, v6
	v_add_u32_e32 v6, -6, v23
	s_nop 0
	v_cndmask_b32_e64 v3, 0, v3, s[0:1]
	v_cmp_gt_i32_e64 s[0:1], s29, v6
	v_add_u32_e32 v6, -5, v23
	s_nop 0
	v_cndmask_b32_e64 v5, 0, v5, s[0:1]
	;; [unrolled: 4-line block ×6, first 2 shown]
	v_cmp_gt_i32_e64 s[0:1], s29, v6
	s_nop 1
	v_cndmask_b32_e64 v4, 0, v4, s[0:1]
	v_cmp_gt_i32_e64 s[0:1], s29, v23
	s_nop 1
	v_cndmask_b32_e64 v2, 0, v2, s[0:1]
.LBB345_323:                            ;   in Loop: Header=BB345_124 Depth=1
	s_or_b64 exec, exec, s[2:3]
	v_lshlrev_b32_e32 v3, 16, v3
	v_mul_f32_e32 v6, v7, v3
	v_and_b32_e32 v3, 0x7f800000, v6
	v_cmp_ne_u32_e64 s[0:1], s19, v3
                                        ; implicit-def: $vgpr3
	s_and_saveexec_b64 s[2:3], s[0:1]
	s_xor_b64 s[0:1], exec, s[2:3]
; %bb.324:                              ;   in Loop: Header=BB345_124 Depth=1
	v_bfe_u32 v3, v6, 16, 1
	v_add3_u32 v3, v6, v3, s20
                                        ; implicit-def: $vgpr6
; %bb.325:                              ;   in Loop: Header=BB345_124 Depth=1
	s_andn2_saveexec_b64 s[2:3], s[0:1]
; %bb.326:                              ;   in Loop: Header=BB345_124 Depth=1
	v_or_b32_e32 v3, 0x10000, v6
	v_cmp_eq_u32_sdwa s[0:1], v6, v15 src0_sel:WORD_0 src1_sel:DWORD
	s_nop 1
	v_cndmask_b32_e64 v3, v3, v6, s[0:1]
; %bb.327:                              ;   in Loop: Header=BB345_124 Depth=1
	s_or_b64 exec, exec, s[2:3]
	v_lshlrev_b32_e32 v5, 16, v5
	v_mul_f32_e32 v6, v8, v5
	v_and_b32_e32 v5, 0x7f800000, v6
	v_cmp_ne_u32_e64 s[0:1], s19, v5
                                        ; implicit-def: $vgpr5
	s_and_saveexec_b64 s[2:3], s[0:1]
	s_xor_b64 s[0:1], exec, s[2:3]
; %bb.328:                              ;   in Loop: Header=BB345_124 Depth=1
	v_bfe_u32 v5, v6, 16, 1
	v_add3_u32 v5, v6, v5, s20
                                        ; implicit-def: $vgpr6
; %bb.329:                              ;   in Loop: Header=BB345_124 Depth=1
	s_andn2_saveexec_b64 s[2:3], s[0:1]
; %bb.330:                              ;   in Loop: Header=BB345_124 Depth=1
	v_or_b32_e32 v5, 0x10000, v6
	v_cmp_eq_u32_sdwa s[0:1], v6, v15 src0_sel:WORD_0 src1_sel:DWORD
	s_nop 1
	v_cndmask_b32_e64 v5, v5, v6, s[0:1]
; %bb.331:                              ;   in Loop: Header=BB345_124 Depth=1
	s_or_b64 exec, exec, s[2:3]
	v_lshlrev_b32_e32 v6, 16, v30
	v_mul_f32_e32 v7, v9, v6
	v_and_b32_e32 v6, 0x7f800000, v7
	v_cmp_ne_u32_e64 s[0:1], s19, v6
                                        ; implicit-def: $vgpr6
	s_and_saveexec_b64 s[2:3], s[0:1]
	s_xor_b64 s[0:1], exec, s[2:3]
; %bb.332:                              ;   in Loop: Header=BB345_124 Depth=1
	v_bfe_u32 v6, v7, 16, 1
	v_add3_u32 v6, v7, v6, s20
                                        ; implicit-def: $vgpr7
; %bb.333:                              ;   in Loop: Header=BB345_124 Depth=1
	s_andn2_saveexec_b64 s[2:3], s[0:1]
; %bb.334:                              ;   in Loop: Header=BB345_124 Depth=1
	v_or_b32_e32 v6, 0x10000, v7
	v_cmp_eq_u32_sdwa s[0:1], v7, v15 src0_sel:WORD_0 src1_sel:DWORD
	s_nop 1
	v_cndmask_b32_e64 v6, v6, v7, s[0:1]
; %bb.335:                              ;   in Loop: Header=BB345_124 Depth=1
	s_or_b64 exec, exec, s[2:3]
	v_lshlrev_b32_e32 v7, 16, v32
	v_mul_f32_e32 v8, v13, v7
	v_and_b32_e32 v7, 0x7f800000, v8
	v_cmp_ne_u32_e64 s[0:1], s19, v7
                                        ; implicit-def: $vgpr7
	s_and_saveexec_b64 s[2:3], s[0:1]
	s_xor_b64 s[0:1], exec, s[2:3]
; %bb.336:                              ;   in Loop: Header=BB345_124 Depth=1
	v_bfe_u32 v7, v8, 16, 1
	v_add3_u32 v7, v8, v7, s20
                                        ; implicit-def: $vgpr8
; %bb.337:                              ;   in Loop: Header=BB345_124 Depth=1
	s_andn2_saveexec_b64 s[2:3], s[0:1]
; %bb.338:                              ;   in Loop: Header=BB345_124 Depth=1
	v_or_b32_e32 v7, 0x10000, v8
	v_cmp_eq_u32_sdwa s[0:1], v8, v15 src0_sel:WORD_0 src1_sel:DWORD
	s_nop 1
	v_cndmask_b32_e64 v7, v7, v8, s[0:1]
; %bb.339:                              ;   in Loop: Header=BB345_124 Depth=1
	s_or_b64 exec, exec, s[2:3]
	v_lshlrev_b32_e32 v8, 16, v31
	v_mul_f32_e32 v9, v25, v8
	v_and_b32_e32 v8, 0x7f800000, v9
	v_cmp_ne_u32_e64 s[0:1], s19, v8
                                        ; implicit-def: $vgpr8
	s_and_saveexec_b64 s[2:3], s[0:1]
	s_xor_b64 s[0:1], exec, s[2:3]
; %bb.340:                              ;   in Loop: Header=BB345_124 Depth=1
	v_bfe_u32 v8, v9, 16, 1
	v_add3_u32 v8, v9, v8, s20
                                        ; implicit-def: $vgpr9
; %bb.341:                              ;   in Loop: Header=BB345_124 Depth=1
	s_andn2_saveexec_b64 s[2:3], s[0:1]
; %bb.342:                              ;   in Loop: Header=BB345_124 Depth=1
	v_or_b32_e32 v8, 0x10000, v9
	v_cmp_eq_u32_sdwa s[0:1], v9, v15 src0_sel:WORD_0 src1_sel:DWORD
	s_nop 1
	v_cndmask_b32_e64 v8, v8, v9, s[0:1]
; %bb.343:                              ;   in Loop: Header=BB345_124 Depth=1
	s_or_b64 exec, exec, s[2:3]
	v_lshlrev_b32_e32 v9, 16, v29
	v_mul_f32_e32 v13, v26, v9
	v_and_b32_e32 v9, 0x7f800000, v13
	v_cmp_ne_u32_e64 s[0:1], s19, v9
                                        ; implicit-def: $vgpr9
	s_and_saveexec_b64 s[2:3], s[0:1]
	s_xor_b64 s[0:1], exec, s[2:3]
; %bb.344:                              ;   in Loop: Header=BB345_124 Depth=1
	v_bfe_u32 v9, v13, 16, 1
	v_add3_u32 v9, v13, v9, s20
                                        ; implicit-def: $vgpr13
; %bb.345:                              ;   in Loop: Header=BB345_124 Depth=1
	s_andn2_saveexec_b64 s[2:3], s[0:1]
; %bb.346:                              ;   in Loop: Header=BB345_124 Depth=1
	v_or_b32_e32 v9, 0x10000, v13
	v_cmp_eq_u32_sdwa s[0:1], v13, v15 src0_sel:WORD_0 src1_sel:DWORD
	s_nop 1
	v_cndmask_b32_e64 v9, v9, v13, s[0:1]
; %bb.347:                              ;   in Loop: Header=BB345_124 Depth=1
	s_or_b64 exec, exec, s[2:3]
	v_lshlrev_b32_e32 v4, 16, v4
	v_mul_f32_e32 v13, v27, v4
	v_and_b32_e32 v4, 0x7f800000, v13
	v_cmp_ne_u32_e64 s[0:1], s19, v4
                                        ; implicit-def: $vgpr4
	s_and_saveexec_b64 s[2:3], s[0:1]
	s_xor_b64 s[0:1], exec, s[2:3]
; %bb.348:                              ;   in Loop: Header=BB345_124 Depth=1
	v_bfe_u32 v4, v13, 16, 1
	v_add3_u32 v4, v13, v4, s20
                                        ; implicit-def: $vgpr13
; %bb.349:                              ;   in Loop: Header=BB345_124 Depth=1
	s_andn2_saveexec_b64 s[2:3], s[0:1]
; %bb.350:                              ;   in Loop: Header=BB345_124 Depth=1
	v_or_b32_e32 v4, 0x10000, v13
	v_cmp_eq_u32_sdwa s[0:1], v13, v15 src0_sel:WORD_0 src1_sel:DWORD
	s_nop 1
	v_cndmask_b32_e64 v4, v4, v13, s[0:1]
; %bb.351:                              ;   in Loop: Header=BB345_124 Depth=1
	s_or_b64 exec, exec, s[2:3]
	v_lshlrev_b32_e32 v2, 16, v2
	v_mul_f32_e32 v2, v28, v2
	v_and_b32_e32 v13, 0x7f800000, v2
	v_cmp_ne_u32_e64 s[0:1], s19, v13
                                        ; implicit-def: $vgpr13
	s_and_saveexec_b64 s[2:3], s[0:1]
	s_xor_b64 s[0:1], exec, s[2:3]
; %bb.352:                              ;   in Loop: Header=BB345_124 Depth=1
	v_bfe_u32 v13, v2, 16, 1
	v_add3_u32 v13, v2, v13, s20
                                        ; implicit-def: $vgpr2
; %bb.353:                              ;   in Loop: Header=BB345_124 Depth=1
	s_andn2_saveexec_b64 s[2:3], s[0:1]
	s_cbranch_execz .LBB345_122
; %bb.354:                              ;   in Loop: Header=BB345_124 Depth=1
	v_or_b32_e32 v13, 0x10000, v2
	v_cmp_eq_u32_sdwa s[0:1], v2, v15 src0_sel:WORD_0 src1_sel:DWORD
	s_nop 1
	v_cndmask_b32_e64 v13, v13, v2, s[0:1]
	s_branch .LBB345_122
.LBB345_355:
	s_or_b64 exec, exec, s[12:13]
.LBB345_356:
	s_or_b64 exec, exec, s[10:11]
	ds_bpermute_b32 v2, v1, v16
	ds_bpermute_b32 v3, v1, v17
	;; [unrolled: 1-line block ×3, first 2 shown]
	s_waitcnt lgkmcnt(0)
	s_barrier
	v_pk_add_f32 v[4:5], v[16:17], v[2:3]
	v_add_f32_e32 v2, v10, v1
	v_and_b32_e32 v1, 0x3c0, v0
	v_cmp_eq_u32_e32 vcc, 64, v1
	s_and_saveexec_b64 s[2:3], vcc
	s_cbranch_execz .LBB345_361
; %bb.357:
	v_cmp_eq_u32_e32 vcc, 0, v11
	s_and_saveexec_b64 s[0:1], vcc
	s_cbranch_execz .LBB345_359
; %bb.358:
	v_mov_b32_e32 v1, 0xb0
	v_lshl_add_u32 v1, v22, 2, v1
	ds_write2_b32 v1, v4, v5 offset1:32
.LBB345_359:
	s_or_b64 exec, exec, s[0:1]
	v_or_b32_e32 v1, 64, v22
	s_movk_i32 s0, 0x50
	v_cmp_gt_u32_e64 s[0:1], s0, v1
	s_and_b64 s[0:1], vcc, s[0:1]
	s_and_b64 exec, exec, s[0:1]
	s_cbranch_execz .LBB345_361
; %bb.360:
	v_mov_b32_e32 v1, 0xb0
	v_lshl_add_u32 v1, v22, 2, v1
	ds_write_b32 v1, v2 offset:256
.LBB345_361:
	s_or_b64 exec, exec, s[2:3]
	v_cmp_gt_u32_e32 vcc, 64, v0
	v_cmp_lt_u32_e64 s[0:1], 63, v0
	s_waitcnt lgkmcnt(0)
	s_barrier
	s_and_saveexec_b64 s[2:3], s[0:1]
	s_xor_b64 s[0:1], exec, s[2:3]
	s_or_saveexec_b64 s[8:9], s[0:1]
	v_lshrrev_b32_e32 v3, 1, v0
	s_xor_b64 exec, exec, s[8:9]
	s_cbranch_execz .LBB345_369
; %bb.362:
	v_cmp_eq_u32_e64 s[0:1], 0, v11
	s_and_saveexec_b64 s[2:3], s[0:1]
	s_cbranch_execz .LBB345_364
; %bb.363:
	v_mov_b32_e32 v0, 0xb0
	v_lshl_add_u32 v0, v3, 2, v0
	ds_read_b32 v0, v0
	s_waitcnt lgkmcnt(0)
	v_add_f32_e32 v4, v4, v0
.LBB345_364:
	s_or_b64 exec, exec, s[2:3]
	s_and_saveexec_b64 s[2:3], s[0:1]
	s_cbranch_execz .LBB345_366
; %bb.365:
	v_mov_b32_e32 v0, 0xb0
	v_lshl_add_u32 v0, v3, 2, v0
	ds_read_b32 v0, v0 offset:128
	s_waitcnt lgkmcnt(0)
	v_add_f32_e32 v5, v5, v0
.LBB345_366:
	s_or_b64 exec, exec, s[2:3]
	v_or_b32_e32 v0, 64, v3
	s_movk_i32 s2, 0x50
	v_cmp_gt_u32_e64 s[2:3], s2, v0
	s_and_b64 s[2:3], s[0:1], s[2:3]
	s_and_saveexec_b64 s[0:1], s[2:3]
	s_cbranch_execz .LBB345_368
; %bb.367:
	v_mov_b32_e32 v0, 0xb0
	v_lshl_add_u32 v0, v3, 2, v0
	ds_read_b32 v0, v0 offset:256
	s_waitcnt lgkmcnt(0)
	v_add_f32_e32 v2, v2, v0
.LBB345_368:
	s_or_b64 exec, exec, s[0:1]
.LBB345_369:
	s_or_b64 exec, exec, s[8:9]
	s_barrier
	s_and_saveexec_b64 s[0:1], vcc
	s_cbranch_execz .LBB345_386
; %bb.370:
	s_mul_i32 s0, s6, 0x50
	s_ashr_i32 s1, s0, 31
	s_lshl_b64 s[0:1], s[0:1], 1
	s_add_u32 s2, s26, s0
	s_mul_i32 s0, s25, s24
	s_addc_u32 s3, s27, s1
	s_ashr_i32 s1, s0, 31
	s_lshl_b64 s[0:1], s[0:1], 1
	s_add_u32 s2, s2, s0
	s_mul_i32 s0, s4, 0x50
	s_addc_u32 s3, s3, s1
	s_ashr_i32 s1, s0, 31
	s_lshl_b64 s[0:1], s[0:1], 1
	s_add_u32 s2, s2, s0
	s_addc_u32 s3, s3, s1
	v_cmp_eq_u32_e32 vcc, 0, v11
	s_and_saveexec_b64 s[4:5], vcc
	s_cbranch_execz .LBB345_380
; %bb.371:
	s_mov_b32 s0, 0x7f800000
	v_and_b32_e32 v0, 0x7f800000, v4
	v_cmp_ne_u32_e64 s[0:1], s0, v0
                                        ; implicit-def: $vgpr6
	s_and_saveexec_b64 s[6:7], s[0:1]
	s_xor_b64 s[0:1], exec, s[6:7]
; %bb.372:
	v_bfe_u32 v0, v4, 16, 1
	s_movk_i32 s6, 0x7fff
	v_add3_u32 v6, v4, v0, s6
; %bb.373:
	s_andn2_saveexec_b64 s[6:7], s[0:1]
; %bb.374:
	v_mov_b32_e32 v0, 0
	v_or_b32_e32 v1, 0x10000, v4
	v_cmp_eq_u32_sdwa s[0:1], v4, v0 src0_sel:WORD_0 src1_sel:DWORD
	s_nop 1
	v_cndmask_b32_e64 v6, v1, v4, s[0:1]
; %bb.375:
	s_or_b64 exec, exec, s[6:7]
	s_mov_b32 s0, 0x7f800000
	v_and_b32_e32 v4, 0x7f800000, v5
	v_lshlrev_b32_e32 v0, 1, v3
	v_mov_b32_e32 v1, 0
	v_cmp_ne_u32_e64 s[0:1], s0, v4
	global_store_short_d16_hi v0, v6, s[2:3]
                                        ; implicit-def: $vgpr7
	s_and_saveexec_b64 s[6:7], s[0:1]
	s_xor_b64 s[0:1], exec, s[6:7]
; %bb.376:
	v_bfe_u32 v4, v5, 16, 1
	s_movk_i32 s6, 0x7fff
	v_add3_u32 v7, v5, v4, s6
                                        ; implicit-def: $vgpr4_vgpr5_vgpr6
; %bb.377:
	s_or_saveexec_b64 s[6:7], s[0:1]
	v_lshl_add_u64 v[0:1], s[2:3], 0, v[0:1]
	s_xor_b64 exec, exec, s[6:7]
; %bb.378:
	v_mov_b32_e32 v4, 0
	v_or_b32_e32 v6, 0x10000, v5
	v_cmp_eq_u32_sdwa s[0:1], v5, v4 src0_sel:WORD_0 src1_sel:DWORD
	s_nop 1
	v_cndmask_b32_e64 v7, v6, v5, s[0:1]
; %bb.379:
	s_or_b64 exec, exec, s[6:7]
	global_store_short_d16_hi v[0:1], v7, off offset:64
.LBB345_380:
	s_or_b64 exec, exec, s[4:5]
	v_or_b32_e32 v0, 64, v3
	s_movk_i32 s0, 0x50
	v_cmp_gt_u32_e64 s[0:1], s0, v0
	s_and_b64 s[0:1], vcc, s[0:1]
	s_and_b64 exec, exec, s[0:1]
	s_cbranch_execz .LBB345_386
; %bb.381:
	s_mov_b32 s0, 0x7f800000
	v_and_b32_e32 v0, 0x7f800000, v2
	v_cmp_ne_u32_e32 vcc, s0, v0
                                        ; implicit-def: $vgpr0
	s_and_saveexec_b64 s[0:1], vcc
	s_xor_b64 s[0:1], exec, s[0:1]
; %bb.382:
	v_bfe_u32 v0, v2, 16, 1
	s_movk_i32 s4, 0x7fff
	v_add3_u32 v0, v2, v0, s4
                                        ; implicit-def: $vgpr2
; %bb.383:
	s_andn2_saveexec_b64 s[0:1], s[0:1]
; %bb.384:
	v_mov_b32_e32 v0, 0
	v_or_b32_e32 v1, 0x10000, v2
	v_cmp_eq_u32_sdwa vcc, v2, v0 src0_sel:WORD_0 src1_sel:DWORD
	s_nop 1
	v_cndmask_b32_e32 v0, v1, v2, vcc
; %bb.385:
	s_or_b64 exec, exec, s[0:1]
	v_lshlrev_b32_e32 v1, 1, v3
	global_store_short_d16_hi v1, v0, s[2:3] offset:128
.LBB345_386:
	s_endpgm
	.section	.rodata,"a",@progbits
	.p2align	6, 0x0
	.amdhsa_kernel _ZN4vllm25paged_attention_v2_kernelI14__hip_bfloat16hLi80ELi16ELi128ELNS_18Fp8KVCacheDataTypeE1ELb0ELi512EEEvPfS3_PT_PKS4_PKT0_SA_ifPKiSC_iPKfiiiSE_SE_iiiii
		.amdhsa_group_segment_fixed_size 176
		.amdhsa_private_segment_fixed_size 0
		.amdhsa_kernarg_size 400
		.amdhsa_user_sgpr_count 2
		.amdhsa_user_sgpr_dispatch_ptr 0
		.amdhsa_user_sgpr_queue_ptr 0
		.amdhsa_user_sgpr_kernarg_segment_ptr 1
		.amdhsa_user_sgpr_dispatch_id 0
		.amdhsa_user_sgpr_kernarg_preload_length 0
		.amdhsa_user_sgpr_kernarg_preload_offset 0
		.amdhsa_user_sgpr_private_segment_size 0
		.amdhsa_uses_dynamic_stack 0
		.amdhsa_enable_private_segment 0
		.amdhsa_system_sgpr_workgroup_id_x 1
		.amdhsa_system_sgpr_workgroup_id_y 1
		.amdhsa_system_sgpr_workgroup_id_z 1
		.amdhsa_system_sgpr_workgroup_info 0
		.amdhsa_system_vgpr_workitem_id 0
		.amdhsa_next_free_vgpr 59
		.amdhsa_next_free_sgpr 48
		.amdhsa_accum_offset 60
		.amdhsa_reserve_vcc 1
		.amdhsa_float_round_mode_32 0
		.amdhsa_float_round_mode_16_64 0
		.amdhsa_float_denorm_mode_32 3
		.amdhsa_float_denorm_mode_16_64 3
		.amdhsa_dx10_clamp 1
		.amdhsa_ieee_mode 1
		.amdhsa_fp16_overflow 0
		.amdhsa_tg_split 0
		.amdhsa_exception_fp_ieee_invalid_op 0
		.amdhsa_exception_fp_denorm_src 0
		.amdhsa_exception_fp_ieee_div_zero 0
		.amdhsa_exception_fp_ieee_overflow 0
		.amdhsa_exception_fp_ieee_underflow 0
		.amdhsa_exception_fp_ieee_inexact 0
		.amdhsa_exception_int_div_zero 0
	.end_amdhsa_kernel
	.section	.text._ZN4vllm25paged_attention_v2_kernelI14__hip_bfloat16hLi80ELi16ELi128ELNS_18Fp8KVCacheDataTypeE1ELb0ELi512EEEvPfS3_PT_PKS4_PKT0_SA_ifPKiSC_iPKfiiiSE_SE_iiiii,"axG",@progbits,_ZN4vllm25paged_attention_v2_kernelI14__hip_bfloat16hLi80ELi16ELi128ELNS_18Fp8KVCacheDataTypeE1ELb0ELi512EEEvPfS3_PT_PKS4_PKT0_SA_ifPKiSC_iPKfiiiSE_SE_iiiii,comdat
.Lfunc_end345:
	.size	_ZN4vllm25paged_attention_v2_kernelI14__hip_bfloat16hLi80ELi16ELi128ELNS_18Fp8KVCacheDataTypeE1ELb0ELi512EEEvPfS3_PT_PKS4_PKT0_SA_ifPKiSC_iPKfiiiSE_SE_iiiii, .Lfunc_end345-_ZN4vllm25paged_attention_v2_kernelI14__hip_bfloat16hLi80ELi16ELi128ELNS_18Fp8KVCacheDataTypeE1ELb0ELi512EEEvPfS3_PT_PKS4_PKT0_SA_ifPKiSC_iPKfiiiSE_SE_iiiii
                                        ; -- End function
	.section	.AMDGPU.csdata,"",@progbits
; Kernel info:
; codeLenInByte = 12248
; NumSgprs: 54
; NumVgprs: 59
; NumAgprs: 0
; TotalNumVgprs: 59
; ScratchSize: 0
; MemoryBound: 0
; FloatMode: 240
; IeeeMode: 1
; LDSByteSize: 176 bytes/workgroup (compile time only)
; SGPRBlocks: 6
; VGPRBlocks: 7
; NumSGPRsForWavesPerEU: 54
; NumVGPRsForWavesPerEU: 59
; AccumOffset: 60
; Occupancy: 8
; WaveLimiterHint : 1
; COMPUTE_PGM_RSRC2:SCRATCH_EN: 0
; COMPUTE_PGM_RSRC2:USER_SGPR: 2
; COMPUTE_PGM_RSRC2:TRAP_HANDLER: 0
; COMPUTE_PGM_RSRC2:TGID_X_EN: 1
; COMPUTE_PGM_RSRC2:TGID_Y_EN: 1
; COMPUTE_PGM_RSRC2:TGID_Z_EN: 1
; COMPUTE_PGM_RSRC2:TIDIG_COMP_CNT: 0
; COMPUTE_PGM_RSRC3_GFX90A:ACCUM_OFFSET: 14
; COMPUTE_PGM_RSRC3_GFX90A:TG_SPLIT: 0
	.section	.text._ZN4vllm25paged_attention_v2_kernelI14__hip_bfloat16hLi96ELi16ELi128ELNS_18Fp8KVCacheDataTypeE1ELb0ELi512EEEvPfS3_PT_PKS4_PKT0_SA_ifPKiSC_iPKfiiiSE_SE_iiiii,"axG",@progbits,_ZN4vllm25paged_attention_v2_kernelI14__hip_bfloat16hLi96ELi16ELi128ELNS_18Fp8KVCacheDataTypeE1ELb0ELi512EEEvPfS3_PT_PKS4_PKT0_SA_ifPKiSC_iPKfiiiSE_SE_iiiii,comdat
	.protected	_ZN4vllm25paged_attention_v2_kernelI14__hip_bfloat16hLi96ELi16ELi128ELNS_18Fp8KVCacheDataTypeE1ELb0ELi512EEEvPfS3_PT_PKS4_PKT0_SA_ifPKiSC_iPKfiiiSE_SE_iiiii ; -- Begin function _ZN4vllm25paged_attention_v2_kernelI14__hip_bfloat16hLi96ELi16ELi128ELNS_18Fp8KVCacheDataTypeE1ELb0ELi512EEEvPfS3_PT_PKS4_PKT0_SA_ifPKiSC_iPKfiiiSE_SE_iiiii
	.globl	_ZN4vllm25paged_attention_v2_kernelI14__hip_bfloat16hLi96ELi16ELi128ELNS_18Fp8KVCacheDataTypeE1ELb0ELi512EEEvPfS3_PT_PKS4_PKT0_SA_ifPKiSC_iPKfiiiSE_SE_iiiii
	.p2align	8
	.type	_ZN4vllm25paged_attention_v2_kernelI14__hip_bfloat16hLi96ELi16ELi128ELNS_18Fp8KVCacheDataTypeE1ELb0ELi512EEEvPfS3_PT_PKS4_PKT0_SA_ifPKiSC_iPKfiiiSE_SE_iiiii,@function
_ZN4vllm25paged_attention_v2_kernelI14__hip_bfloat16hLi96ELi16ELi128ELNS_18Fp8KVCacheDataTypeE1ELb0ELi512EEEvPfS3_PT_PKS4_PKT0_SA_ifPKiSC_iPKfiiiSE_SE_iiiii: ; @_ZN4vllm25paged_attention_v2_kernelI14__hip_bfloat16hLi96ELi16ELi128ELNS_18Fp8KVCacheDataTypeE1ELb0ELi512EEEvPfS3_PT_PKS4_PKT0_SA_ifPKiSC_iPKfiiiSE_SE_iiiii
; %bb.0:
	s_load_dwordx2 s[6:7], s[0:1], 0x40
	s_mov_b32 s24, s3
	s_ashr_i32 s25, s3, 31
	s_lshl_b64 s[8:9], s[24:25], 2
	s_waitcnt lgkmcnt(0)
	s_add_u32 s6, s6, s8
	s_addc_u32 s7, s7, s9
	s_load_dword s33, s[6:7], 0x0
	s_lshl_b32 s40, s4, 9
	s_waitcnt lgkmcnt(0)
	s_cmp_ge_i32 s40, s33
	s_cbranch_scc1 .LBB346_393
; %bb.1:
	s_load_dword s25, s[0:1], 0x90
	s_load_dwordx2 s[10:11], s[0:1], 0x30
	s_waitcnt lgkmcnt(0)
	s_abs_i32 s6, s25
	s_abs_i32 s3, s10
	v_cvt_f32_u32_e32 v1, s3
	s_sub_i32 s7, 0, s3
	s_xor_b32 s5, s25, s10
	s_ashr_i32 s5, s5, 31
	v_rcp_iflag_f32_e32 v1, v1
	s_nop 0
	v_mul_f32_e32 v1, 0x4f7ffffe, v1
	v_cvt_u32_f32_e32 v1, v1
	s_nop 0
	v_readfirstlane_b32 s8, v1
	s_mul_i32 s7, s7, s8
	s_mul_hi_u32 s7, s8, s7
	s_add_i32 s8, s8, s7
	s_mul_hi_u32 s7, s6, s8
	s_mul_i32 s8, s7, s3
	s_sub_i32 s6, s6, s8
	s_add_i32 s9, s7, 1
	s_sub_i32 s8, s6, s3
	s_cmp_ge_u32 s6, s3
	s_cselect_b32 s7, s9, s7
	s_cselect_b32 s6, s8, s6
	s_add_i32 s8, s7, 1
	s_cmp_ge_u32 s6, s3
	s_cselect_b32 s3, s8, s7
	s_xor_b32 s3, s3, s5
	s_sub_i32 s17, s3, s5
	s_abs_i32 s8, s17
	v_cvt_f32_u32_e32 v1, s8
	s_load_dwordx2 s[6:7], s[0:1], 0x50
	s_sub_i32 s3, 0, s8
	s_abs_i32 s9, s2
	v_rcp_iflag_f32_e32 v1, v1
	s_mov_b32 s5, 0
	v_mul_f32_e32 v1, 0x4f7ffffe, v1
	v_cvt_u32_f32_e32 v1, v1
	s_nop 0
	v_readfirstlane_b32 s10, v1
	s_mul_i32 s3, s3, s10
	s_mul_hi_u32 s3, s10, s3
	s_add_i32 s10, s10, s3
	s_waitcnt lgkmcnt(0)
	s_cmp_eq_u64 s[6:7], 0
	s_mul_hi_u32 s10, s9, s10
	s_cbranch_scc1 .LBB346_3
; %bb.2:
	s_ashr_i32 s3, s2, 31
	s_lshl_b64 s[12:13], s[2:3], 2
	s_add_u32 s6, s6, s12
	s_addc_u32 s7, s7, s13
	s_load_dword s5, s[6:7], 0x0
.LBB346_3:
	s_load_dwordx4 s[12:15], s[0:1], 0x58
	s_ashr_i32 s16, s2, 31
	s_waitcnt lgkmcnt(0)
	s_ashr_i32 s15, s17, 31
	v_and_b32_e32 v6, 3, v0
	s_mul_i32 s26, s2, 0x60
	v_cmp_gt_u32_e32 vcc, 48, v0
	s_and_saveexec_b64 s[6:7], vcc
	s_cbranch_execz .LBB346_5
; %bb.4:
	s_load_dwordx2 s[18:19], s[0:1], 0x18
	s_mul_i32 s20, s24, s12
	s_ashr_i32 s21, s20, 31
	s_lshl_b64 s[20:21], s[20:21], 1
	v_lshlrev_b32_e32 v1, 2, v0
	s_waitcnt lgkmcnt(0)
	s_add_u32 s3, s18, s20
	s_addc_u32 s12, s19, s21
	s_ashr_i32 s27, s26, 31
	s_lshl_b64 s[18:19], s[26:27], 1
	s_add_u32 s18, s3, s18
	s_addc_u32 s19, s12, s19
	global_load_dword v1, v1, s[18:19]
	v_and_b32_e32 v2, 0x3fc, v0
	v_mad_u32_u24 v2, v6, 48, v2
	s_waitcnt vmcnt(0)
	ds_write_b32 v2, v1
.LBB346_5:
	s_or_b64 exec, exec, s[6:7]
	s_add_i32 s3, s33, 15
	s_ashr_i32 s6, s3, 31
	s_lshr_b32 s6, s6, 28
	s_add_i32 s3, s3, s6
	s_ashr_i32 s41, s3, 4
	s_lshl_b32 s3, s4, 5
	s_mul_i32 s7, s10, s8
	s_add_i32 s6, s3, 32
	s_sub_i32 s7, s9, s7
	s_min_i32 s27, s6, s41
	s_xor_b32 s6, s16, s15
	s_add_i32 s9, s10, 1
	s_sub_i32 s12, s7, s8
	s_cmp_ge_u32 s7, s8
	s_cselect_b32 s9, s9, s10
	s_cselect_b32 s7, s12, s7
	s_add_i32 s10, s9, 1
	s_cmp_ge_u32 s7, s8
	s_load_dwordx2 s[30:31], s[0:1], 0x38
	s_load_dword s8, s[0:1], 0x48
	v_lshrrev_b32_e32 v18, 6, v0
	s_cselect_b32 s7, s10, s9
	s_xor_b32 s7, s7, s6
	v_or_b32_e32 v10, s3, v18
	s_waitcnt lgkmcnt(0)
	s_mul_i32 s34, s24, s8
	s_sub_i32 s42, s7, s6
	s_ashr_i32 s35, s34, 31
	v_cmp_gt_i32_e64 s[8:9], s27, v10
	v_cmp_le_i32_e32 vcc, s27, v10
	v_mbcnt_lo_u32_b32 v7, -1, 0
	s_barrier
	s_waitcnt lgkmcnt(0)
                                        ; implicit-def: $sgpr10
                                        ; implicit-def: $vgpr12
                                        ; implicit-def: $vgpr13
	s_and_saveexec_b64 s[6:7], vcc
	s_xor_b64 s[6:7], exec, s[6:7]
; %bb.6:
	v_mbcnt_hi_u32_b32 v12, -1, v7
	v_and_b32_e32 v1, 64, v12
	v_add_u32_e32 v13, 64, v1
	s_mov_b32 s10, 0xff7fffff
                                        ; implicit-def: $vgpr6
                                        ; implicit-def: $vgpr7
; %bb.7:
	s_or_saveexec_b64 s[38:39], s[6:7]
	s_load_dwordx4 s[20:23], s[0:1], 0x0
	s_load_dwordx2 s[28:29], s[0:1], 0x10
	s_load_dword s12, s[0:1], 0x98
	s_load_dwordx2 s[36:37], s[0:1], 0x28
	s_load_dwordx4 s[16:19], s[0:1], 0x68
	v_mov_b32_e32 v38, s10
	s_mul_i32 s42, s42, s14
	v_ashrrev_i32_e32 v11, 31, v10
	s_xor_b64 exec, exec, s[38:39]
	s_cbranch_execz .LBB346_109
; %bb.8:
	s_load_dwordx2 s[0:1], s[0:1], 0x20
	v_mbcnt_hi_u32_b32 v12, -1, v7
	v_and_b32_e32 v7, 64, v12
	v_add_u32_e32 v13, 64, v7
	v_xor_b32_e32 v7, 2, v12
	v_cmp_lt_i32_e32 vcc, v7, v13
	s_ashr_i32 s6, s42, 31
	v_mul_u32_u24_e32 v1, 48, v6
	v_cndmask_b32_e32 v7, v12, v7, vcc
	v_bfe_u32 v8, v0, 2, 4
	s_waitcnt lgkmcnt(0)
	s_add_u32 s0, s0, s42
	ds_read_b128 v[20:23], v1
	ds_read_b128 v[26:29], v1 offset:16
	ds_read_b128 v[34:37], v1 offset:32
	v_lshlrev_b32_e32 v39, 2, v7
	v_xor_b32_e32 v7, 1, v12
	v_lshlrev_b32_e32 v2, 4, v8
	s_addc_u32 s1, s1, s6
	v_mov_b32_e32 v3, 0
	v_cmp_lt_i32_e32 vcc, v7, v13
	s_load_dword s43, s[16:17], 0x0
	v_lshl_add_u64 v[4:5], s[0:1], 0, v[2:3]
	v_lshlrev_b32_e32 v2, 1, v6
	v_cndmask_b32_e32 v7, v12, v7, vcc
	v_cmp_eq_u32_e32 vcc, 0, v6
	s_sub_i32 s44, 1, s33
	v_lshlrev_b32_e32 v6, 4, v18
	s_lshl_b64 s[0:1], s[34:35], 2
	v_add3_u32 v41, s40, v6, v8
	v_lshlrev_b32_e32 v6, 2, v8
	s_add_u32 s0, s30, s0
	v_lshl_or_b32 v6, v18, 6, v6
	s_addc_u32 s1, s31, s1
	s_mov_b32 s10, s13
	s_waitcnt lgkmcnt(0)
	v_lshlrev_b32_e32 v1, 16, v20
	v_and_b32_e32 v14, 0xffff0000, v20
	v_lshlrev_b32_e32 v15, 16, v21
	v_and_b32_e32 v16, 0xffff0000, v21
	;; [unrolled: 2-line block ×12, first 2 shown]
	v_lshlrev_b32_e32 v40, 2, v7
	v_cmp_neq_f32_e64 s[6:7], s5, 0
	v_add_u32_e32 v42, 0xd0, v6
	v_lshl_add_u64 v[6:7], v[10:11], 2, s[0:1]
	s_mov_b64 s[14:15], 0
	v_mov_b32_e32 v38, 0xff7fffff
	s_mov_b32 s45, 0xffff
	s_mov_b32 s46, 0x7f800000
	s_movk_i32 s47, 0x7fff
	v_mov_b32_e32 v43, v10
	s_branch .LBB346_10
.LBB346_9:                              ;   in Loop: Header=BB346_10 Depth=1
	s_or_b64 exec, exec, s[16:17]
	v_add_u32_e32 v43, 2, v43
	v_cmp_le_i32_e64 s[0:1], s27, v43
	v_add_u32_e32 v41, 32, v41
	v_add_u32_e32 v42, 0x80, v42
	s_or_b64 s[14:15], s[0:1], s[14:15]
	v_lshl_add_u64 v[6:7], v[6:7], 0, 8
	s_andn2_b64 exec, exec, s[14:15]
	s_cbranch_execz .LBB346_108
.LBB346_10:                             ; =>This Inner Loop Header: Depth=1
	global_load_dword v8, v[6:7], off
	s_waitcnt vmcnt(0) lgkmcnt(0)
	v_mad_i64_i32 v[8:9], s[0:1], v8, s10, v[4:5]
	v_lshl_add_u64 v[8:9], v[8:9], 0, v[2:3]
	global_load_ushort v45, v[8:9], off
	s_waitcnt vmcnt(0)
	v_and_b32_sdwa v44, s45, v45 dst_sel:DWORD dst_unused:UNUSED_PAD src0_sel:DWORD src1_sel:BYTE_0
	v_cvt_f32_fp8_sdwa v44, v44 src0_sel:BYTE_0
	s_nop 0
	v_mul_f32_e32 v46, s43, v44
	v_and_b32_e32 v44, 0x7f800000, v46
	v_cmp_ne_u32_e64 s[0:1], s46, v44
                                        ; implicit-def: $vgpr44
	s_and_saveexec_b64 s[16:17], s[0:1]
	s_xor_b64 s[0:1], exec, s[16:17]
; %bb.11:                               ;   in Loop: Header=BB346_10 Depth=1
	v_bfe_u32 v44, v46, 16, 1
	v_add3_u32 v44, v46, v44, s47
                                        ; implicit-def: $vgpr46
; %bb.12:                               ;   in Loop: Header=BB346_10 Depth=1
	s_andn2_saveexec_b64 s[16:17], s[0:1]
; %bb.13:                               ;   in Loop: Header=BB346_10 Depth=1
	v_or_b32_e32 v44, 0x10000, v46
	v_cmp_eq_u32_sdwa s[0:1], v46, v3 src0_sel:WORD_0 src1_sel:DWORD
	s_nop 1
	v_cndmask_b32_e64 v44, v44, v46, s[0:1]
; %bb.14:                               ;   in Loop: Header=BB346_10 Depth=1
	s_or_b64 exec, exec, s[16:17]
	v_lshrrev_b16_e32 v45, 8, v45
	v_cvt_f32_fp8_sdwa v45, v45 src0_sel:BYTE_0
	s_nop 0
	v_mul_f32_e32 v46, s43, v45
	v_and_b32_e32 v45, 0x7f800000, v46
	v_cmp_ne_u32_e64 s[0:1], s46, v45
                                        ; implicit-def: $vgpr45
	s_and_saveexec_b64 s[16:17], s[0:1]
	s_xor_b64 s[0:1], exec, s[16:17]
; %bb.15:                               ;   in Loop: Header=BB346_10 Depth=1
	v_bfe_u32 v45, v46, 16, 1
	v_add3_u32 v45, v46, v45, s47
                                        ; implicit-def: $vgpr46
; %bb.16:                               ;   in Loop: Header=BB346_10 Depth=1
	s_andn2_saveexec_b64 s[16:17], s[0:1]
; %bb.17:                               ;   in Loop: Header=BB346_10 Depth=1
	v_or_b32_e32 v45, 0x10000, v46
	v_cmp_eq_u32_sdwa s[0:1], v46, v3 src0_sel:WORD_0 src1_sel:DWORD
	s_nop 1
	v_cndmask_b32_e64 v45, v45, v46, s[0:1]
; %bb.18:                               ;   in Loop: Header=BB346_10 Depth=1
	s_or_b64 exec, exec, s[16:17]
	global_load_ushort v47, v[8:9], off offset:8
	s_waitcnt vmcnt(0)
	v_and_b32_sdwa v46, s45, v47 dst_sel:DWORD dst_unused:UNUSED_PAD src0_sel:DWORD src1_sel:BYTE_0
	v_cvt_f32_fp8_sdwa v46, v46 src0_sel:BYTE_0
	s_nop 0
	v_mul_f32_e32 v48, s43, v46
	v_and_b32_e32 v46, 0x7f800000, v48
	v_cmp_ne_u32_e64 s[0:1], s46, v46
                                        ; implicit-def: $vgpr46
	s_and_saveexec_b64 s[16:17], s[0:1]
	s_xor_b64 s[0:1], exec, s[16:17]
; %bb.19:                               ;   in Loop: Header=BB346_10 Depth=1
	v_bfe_u32 v46, v48, 16, 1
	v_add3_u32 v46, v48, v46, s47
                                        ; implicit-def: $vgpr48
; %bb.20:                               ;   in Loop: Header=BB346_10 Depth=1
	s_andn2_saveexec_b64 s[16:17], s[0:1]
; %bb.21:                               ;   in Loop: Header=BB346_10 Depth=1
	v_or_b32_e32 v46, 0x10000, v48
	v_cmp_eq_u32_sdwa s[0:1], v48, v3 src0_sel:WORD_0 src1_sel:DWORD
	s_nop 1
	v_cndmask_b32_e64 v46, v46, v48, s[0:1]
; %bb.22:                               ;   in Loop: Header=BB346_10 Depth=1
	s_or_b64 exec, exec, s[16:17]
	v_lshrrev_b16_e32 v47, 8, v47
	v_cvt_f32_fp8_sdwa v47, v47 src0_sel:BYTE_0
	s_nop 0
	v_mul_f32_e32 v48, s43, v47
	v_and_b32_e32 v47, 0x7f800000, v48
	v_cmp_ne_u32_e64 s[0:1], s46, v47
                                        ; implicit-def: $vgpr47
	s_and_saveexec_b64 s[16:17], s[0:1]
	s_xor_b64 s[0:1], exec, s[16:17]
; %bb.23:                               ;   in Loop: Header=BB346_10 Depth=1
	v_bfe_u32 v47, v48, 16, 1
	v_add3_u32 v47, v48, v47, s47
                                        ; implicit-def: $vgpr48
; %bb.24:                               ;   in Loop: Header=BB346_10 Depth=1
	s_andn2_saveexec_b64 s[16:17], s[0:1]
; %bb.25:                               ;   in Loop: Header=BB346_10 Depth=1
	v_or_b32_e32 v47, 0x10000, v48
	v_cmp_eq_u32_sdwa s[0:1], v48, v3 src0_sel:WORD_0 src1_sel:DWORD
	s_nop 1
	v_cndmask_b32_e64 v47, v47, v48, s[0:1]
; %bb.26:                               ;   in Loop: Header=BB346_10 Depth=1
	s_or_b64 exec, exec, s[16:17]
	global_load_ushort v49, v[8:9], off offset:256
	s_waitcnt vmcnt(0)
	v_and_b32_sdwa v48, s45, v49 dst_sel:DWORD dst_unused:UNUSED_PAD src0_sel:DWORD src1_sel:BYTE_0
	v_cvt_f32_fp8_sdwa v48, v48 src0_sel:BYTE_0
	s_nop 0
	v_mul_f32_e32 v50, s43, v48
	v_and_b32_e32 v48, 0x7f800000, v50
	v_cmp_ne_u32_e64 s[0:1], s46, v48
                                        ; implicit-def: $vgpr48
	s_and_saveexec_b64 s[16:17], s[0:1]
	s_xor_b64 s[0:1], exec, s[16:17]
; %bb.27:                               ;   in Loop: Header=BB346_10 Depth=1
	v_bfe_u32 v48, v50, 16, 1
	v_add3_u32 v48, v50, v48, s47
                                        ; implicit-def: $vgpr50
; %bb.28:                               ;   in Loop: Header=BB346_10 Depth=1
	s_andn2_saveexec_b64 s[16:17], s[0:1]
; %bb.29:                               ;   in Loop: Header=BB346_10 Depth=1
	v_or_b32_e32 v48, 0x10000, v50
	v_cmp_eq_u32_sdwa s[0:1], v50, v3 src0_sel:WORD_0 src1_sel:DWORD
	s_nop 1
	v_cndmask_b32_e64 v48, v48, v50, s[0:1]
; %bb.30:                               ;   in Loop: Header=BB346_10 Depth=1
	s_or_b64 exec, exec, s[16:17]
	v_lshrrev_b16_e32 v49, 8, v49
	v_cvt_f32_fp8_sdwa v49, v49 src0_sel:BYTE_0
	s_nop 0
	v_mul_f32_e32 v50, s43, v49
	v_and_b32_e32 v49, 0x7f800000, v50
	v_cmp_ne_u32_e64 s[0:1], s46, v49
                                        ; implicit-def: $vgpr49
	s_and_saveexec_b64 s[16:17], s[0:1]
	s_xor_b64 s[0:1], exec, s[16:17]
; %bb.31:                               ;   in Loop: Header=BB346_10 Depth=1
	v_bfe_u32 v49, v50, 16, 1
	v_add3_u32 v49, v50, v49, s47
                                        ; implicit-def: $vgpr50
; %bb.32:                               ;   in Loop: Header=BB346_10 Depth=1
	s_andn2_saveexec_b64 s[16:17], s[0:1]
; %bb.33:                               ;   in Loop: Header=BB346_10 Depth=1
	v_or_b32_e32 v49, 0x10000, v50
	v_cmp_eq_u32_sdwa s[0:1], v50, v3 src0_sel:WORD_0 src1_sel:DWORD
	s_nop 1
	v_cndmask_b32_e64 v49, v49, v50, s[0:1]
; %bb.34:                               ;   in Loop: Header=BB346_10 Depth=1
	s_or_b64 exec, exec, s[16:17]
	global_load_ushort v51, v[8:9], off offset:264
	s_waitcnt vmcnt(0)
	v_and_b32_sdwa v50, s45, v51 dst_sel:DWORD dst_unused:UNUSED_PAD src0_sel:DWORD src1_sel:BYTE_0
	v_cvt_f32_fp8_sdwa v50, v50 src0_sel:BYTE_0
	s_nop 0
	v_mul_f32_e32 v52, s43, v50
	v_and_b32_e32 v50, 0x7f800000, v52
	v_cmp_ne_u32_e64 s[0:1], s46, v50
                                        ; implicit-def: $vgpr50
	s_and_saveexec_b64 s[16:17], s[0:1]
	s_xor_b64 s[0:1], exec, s[16:17]
; %bb.35:                               ;   in Loop: Header=BB346_10 Depth=1
	v_bfe_u32 v50, v52, 16, 1
	v_add3_u32 v50, v52, v50, s47
                                        ; implicit-def: $vgpr52
; %bb.36:                               ;   in Loop: Header=BB346_10 Depth=1
	s_andn2_saveexec_b64 s[16:17], s[0:1]
; %bb.37:                               ;   in Loop: Header=BB346_10 Depth=1
	v_or_b32_e32 v50, 0x10000, v52
	v_cmp_eq_u32_sdwa s[0:1], v52, v3 src0_sel:WORD_0 src1_sel:DWORD
	s_nop 1
	v_cndmask_b32_e64 v50, v50, v52, s[0:1]
; %bb.38:                               ;   in Loop: Header=BB346_10 Depth=1
	s_or_b64 exec, exec, s[16:17]
	v_lshrrev_b16_e32 v51, 8, v51
	v_cvt_f32_fp8_sdwa v51, v51 src0_sel:BYTE_0
	s_nop 0
	v_mul_f32_e32 v52, s43, v51
	v_and_b32_e32 v51, 0x7f800000, v52
	v_cmp_ne_u32_e64 s[0:1], s46, v51
                                        ; implicit-def: $vgpr51
	s_and_saveexec_b64 s[16:17], s[0:1]
	s_xor_b64 s[0:1], exec, s[16:17]
; %bb.39:                               ;   in Loop: Header=BB346_10 Depth=1
	v_bfe_u32 v51, v52, 16, 1
	v_add3_u32 v51, v52, v51, s47
                                        ; implicit-def: $vgpr52
; %bb.40:                               ;   in Loop: Header=BB346_10 Depth=1
	s_andn2_saveexec_b64 s[16:17], s[0:1]
; %bb.41:                               ;   in Loop: Header=BB346_10 Depth=1
	v_or_b32_e32 v51, 0x10000, v52
	v_cmp_eq_u32_sdwa s[0:1], v52, v3 src0_sel:WORD_0 src1_sel:DWORD
	s_nop 1
	v_cndmask_b32_e64 v51, v51, v52, s[0:1]
; %bb.42:                               ;   in Loop: Header=BB346_10 Depth=1
	s_or_b64 exec, exec, s[16:17]
	global_load_ushort v53, v[8:9], off offset:512
	s_waitcnt vmcnt(0)
	v_and_b32_sdwa v52, s45, v53 dst_sel:DWORD dst_unused:UNUSED_PAD src0_sel:DWORD src1_sel:BYTE_0
	v_cvt_f32_fp8_sdwa v52, v52 src0_sel:BYTE_0
	s_nop 0
	v_mul_f32_e32 v54, s43, v52
	v_and_b32_e32 v52, 0x7f800000, v54
	v_cmp_ne_u32_e64 s[0:1], s46, v52
                                        ; implicit-def: $vgpr52
	s_and_saveexec_b64 s[16:17], s[0:1]
	s_xor_b64 s[0:1], exec, s[16:17]
; %bb.43:                               ;   in Loop: Header=BB346_10 Depth=1
	v_bfe_u32 v52, v54, 16, 1
	v_add3_u32 v52, v54, v52, s47
                                        ; implicit-def: $vgpr54
; %bb.44:                               ;   in Loop: Header=BB346_10 Depth=1
	s_andn2_saveexec_b64 s[16:17], s[0:1]
; %bb.45:                               ;   in Loop: Header=BB346_10 Depth=1
	v_or_b32_e32 v52, 0x10000, v54
	v_cmp_eq_u32_sdwa s[0:1], v54, v3 src0_sel:WORD_0 src1_sel:DWORD
	s_nop 1
	v_cndmask_b32_e64 v52, v52, v54, s[0:1]
; %bb.46:                               ;   in Loop: Header=BB346_10 Depth=1
	s_or_b64 exec, exec, s[16:17]
	v_lshrrev_b16_e32 v53, 8, v53
	v_cvt_f32_fp8_sdwa v53, v53 src0_sel:BYTE_0
	s_nop 0
	v_mul_f32_e32 v54, s43, v53
	v_and_b32_e32 v53, 0x7f800000, v54
	v_cmp_ne_u32_e64 s[0:1], s46, v53
                                        ; implicit-def: $vgpr53
	s_and_saveexec_b64 s[16:17], s[0:1]
	s_xor_b64 s[0:1], exec, s[16:17]
; %bb.47:                               ;   in Loop: Header=BB346_10 Depth=1
	v_bfe_u32 v53, v54, 16, 1
	v_add3_u32 v53, v54, v53, s47
                                        ; implicit-def: $vgpr54
; %bb.48:                               ;   in Loop: Header=BB346_10 Depth=1
	s_andn2_saveexec_b64 s[16:17], s[0:1]
; %bb.49:                               ;   in Loop: Header=BB346_10 Depth=1
	v_or_b32_e32 v53, 0x10000, v54
	v_cmp_eq_u32_sdwa s[0:1], v54, v3 src0_sel:WORD_0 src1_sel:DWORD
	s_nop 1
	v_cndmask_b32_e64 v53, v53, v54, s[0:1]
; %bb.50:                               ;   in Loop: Header=BB346_10 Depth=1
	s_or_b64 exec, exec, s[16:17]
	global_load_ushort v55, v[8:9], off offset:520
	s_waitcnt vmcnt(0)
	v_and_b32_sdwa v54, s45, v55 dst_sel:DWORD dst_unused:UNUSED_PAD src0_sel:DWORD src1_sel:BYTE_0
	v_cvt_f32_fp8_sdwa v54, v54 src0_sel:BYTE_0
	s_nop 0
	v_mul_f32_e32 v56, s43, v54
	v_and_b32_e32 v54, 0x7f800000, v56
	v_cmp_ne_u32_e64 s[0:1], s46, v54
                                        ; implicit-def: $vgpr54
	s_and_saveexec_b64 s[16:17], s[0:1]
	s_xor_b64 s[0:1], exec, s[16:17]
; %bb.51:                               ;   in Loop: Header=BB346_10 Depth=1
	v_bfe_u32 v54, v56, 16, 1
	v_add3_u32 v54, v56, v54, s47
                                        ; implicit-def: $vgpr56
; %bb.52:                               ;   in Loop: Header=BB346_10 Depth=1
	s_andn2_saveexec_b64 s[16:17], s[0:1]
; %bb.53:                               ;   in Loop: Header=BB346_10 Depth=1
	v_or_b32_e32 v54, 0x10000, v56
	v_cmp_eq_u32_sdwa s[0:1], v56, v3 src0_sel:WORD_0 src1_sel:DWORD
	s_nop 1
	v_cndmask_b32_e64 v54, v54, v56, s[0:1]
; %bb.54:                               ;   in Loop: Header=BB346_10 Depth=1
	s_or_b64 exec, exec, s[16:17]
	v_lshrrev_b16_e32 v55, 8, v55
	v_cvt_f32_fp8_sdwa v55, v55 src0_sel:BYTE_0
	s_nop 0
	v_mul_f32_e32 v56, s43, v55
	v_and_b32_e32 v55, 0x7f800000, v56
	v_cmp_ne_u32_e64 s[0:1], s46, v55
                                        ; implicit-def: $vgpr55
	s_and_saveexec_b64 s[16:17], s[0:1]
	s_xor_b64 s[0:1], exec, s[16:17]
; %bb.55:                               ;   in Loop: Header=BB346_10 Depth=1
	v_bfe_u32 v55, v56, 16, 1
	v_add3_u32 v55, v56, v55, s47
                                        ; implicit-def: $vgpr56
; %bb.56:                               ;   in Loop: Header=BB346_10 Depth=1
	s_andn2_saveexec_b64 s[16:17], s[0:1]
; %bb.57:                               ;   in Loop: Header=BB346_10 Depth=1
	v_or_b32_e32 v55, 0x10000, v56
	v_cmp_eq_u32_sdwa s[0:1], v56, v3 src0_sel:WORD_0 src1_sel:DWORD
	s_nop 1
	v_cndmask_b32_e64 v55, v55, v56, s[0:1]
; %bb.58:                               ;   in Loop: Header=BB346_10 Depth=1
	s_or_b64 exec, exec, s[16:17]
	global_load_ushort v57, v[8:9], off offset:768
	s_waitcnt vmcnt(0)
	v_and_b32_sdwa v56, s45, v57 dst_sel:DWORD dst_unused:UNUSED_PAD src0_sel:DWORD src1_sel:BYTE_0
	v_cvt_f32_fp8_sdwa v56, v56 src0_sel:BYTE_0
	s_nop 0
	v_mul_f32_e32 v58, s43, v56
	v_and_b32_e32 v56, 0x7f800000, v58
	v_cmp_ne_u32_e64 s[0:1], s46, v56
                                        ; implicit-def: $vgpr56
	s_and_saveexec_b64 s[16:17], s[0:1]
	s_xor_b64 s[0:1], exec, s[16:17]
; %bb.59:                               ;   in Loop: Header=BB346_10 Depth=1
	v_bfe_u32 v56, v58, 16, 1
	v_add3_u32 v56, v58, v56, s47
                                        ; implicit-def: $vgpr58
; %bb.60:                               ;   in Loop: Header=BB346_10 Depth=1
	s_andn2_saveexec_b64 s[16:17], s[0:1]
; %bb.61:                               ;   in Loop: Header=BB346_10 Depth=1
	v_or_b32_e32 v56, 0x10000, v58
	v_cmp_eq_u32_sdwa s[0:1], v58, v3 src0_sel:WORD_0 src1_sel:DWORD
	s_nop 1
	v_cndmask_b32_e64 v56, v56, v58, s[0:1]
; %bb.62:                               ;   in Loop: Header=BB346_10 Depth=1
	s_or_b64 exec, exec, s[16:17]
	v_lshrrev_b16_e32 v57, 8, v57
	v_cvt_f32_fp8_sdwa v57, v57 src0_sel:BYTE_0
	s_nop 0
	v_mul_f32_e32 v58, s43, v57
	v_and_b32_e32 v57, 0x7f800000, v58
	v_cmp_ne_u32_e64 s[0:1], s46, v57
                                        ; implicit-def: $vgpr57
	s_and_saveexec_b64 s[16:17], s[0:1]
	s_xor_b64 s[0:1], exec, s[16:17]
; %bb.63:                               ;   in Loop: Header=BB346_10 Depth=1
	v_bfe_u32 v57, v58, 16, 1
	v_add3_u32 v57, v58, v57, s47
                                        ; implicit-def: $vgpr58
; %bb.64:                               ;   in Loop: Header=BB346_10 Depth=1
	s_andn2_saveexec_b64 s[16:17], s[0:1]
; %bb.65:                               ;   in Loop: Header=BB346_10 Depth=1
	v_or_b32_e32 v57, 0x10000, v58
	v_cmp_eq_u32_sdwa s[0:1], v58, v3 src0_sel:WORD_0 src1_sel:DWORD
	s_nop 1
	v_cndmask_b32_e64 v57, v57, v58, s[0:1]
; %bb.66:                               ;   in Loop: Header=BB346_10 Depth=1
	s_or_b64 exec, exec, s[16:17]
	global_load_ushort v59, v[8:9], off offset:776
	s_waitcnt vmcnt(0)
	v_and_b32_sdwa v58, s45, v59 dst_sel:DWORD dst_unused:UNUSED_PAD src0_sel:DWORD src1_sel:BYTE_0
	v_cvt_f32_fp8_sdwa v58, v58 src0_sel:BYTE_0
	s_nop 0
	v_mul_f32_e32 v60, s43, v58
	v_and_b32_e32 v58, 0x7f800000, v60
	v_cmp_ne_u32_e64 s[0:1], s46, v58
                                        ; implicit-def: $vgpr58
	s_and_saveexec_b64 s[16:17], s[0:1]
	s_xor_b64 s[0:1], exec, s[16:17]
; %bb.67:                               ;   in Loop: Header=BB346_10 Depth=1
	v_bfe_u32 v58, v60, 16, 1
	v_add3_u32 v58, v60, v58, s47
                                        ; implicit-def: $vgpr60
; %bb.68:                               ;   in Loop: Header=BB346_10 Depth=1
	s_andn2_saveexec_b64 s[16:17], s[0:1]
; %bb.69:                               ;   in Loop: Header=BB346_10 Depth=1
	v_or_b32_e32 v58, 0x10000, v60
	v_cmp_eq_u32_sdwa s[0:1], v60, v3 src0_sel:WORD_0 src1_sel:DWORD
	s_nop 1
	v_cndmask_b32_e64 v58, v58, v60, s[0:1]
; %bb.70:                               ;   in Loop: Header=BB346_10 Depth=1
	s_or_b64 exec, exec, s[16:17]
	v_lshrrev_b16_e32 v59, 8, v59
	v_cvt_f32_fp8_sdwa v59, v59 src0_sel:BYTE_0
	s_nop 0
	v_mul_f32_e32 v60, s43, v59
	v_and_b32_e32 v59, 0x7f800000, v60
	v_cmp_ne_u32_e64 s[0:1], s46, v59
                                        ; implicit-def: $vgpr59
	s_and_saveexec_b64 s[16:17], s[0:1]
	s_xor_b64 s[0:1], exec, s[16:17]
; %bb.71:                               ;   in Loop: Header=BB346_10 Depth=1
	v_bfe_u32 v59, v60, 16, 1
	v_add3_u32 v59, v60, v59, s47
                                        ; implicit-def: $vgpr60
; %bb.72:                               ;   in Loop: Header=BB346_10 Depth=1
	s_andn2_saveexec_b64 s[16:17], s[0:1]
; %bb.73:                               ;   in Loop: Header=BB346_10 Depth=1
	v_or_b32_e32 v59, 0x10000, v60
	v_cmp_eq_u32_sdwa s[0:1], v60, v3 src0_sel:WORD_0 src1_sel:DWORD
	s_nop 1
	v_cndmask_b32_e64 v59, v59, v60, s[0:1]
; %bb.74:                               ;   in Loop: Header=BB346_10 Depth=1
	s_or_b64 exec, exec, s[16:17]
	global_load_ushort v61, v[8:9], off offset:1024
	s_waitcnt vmcnt(0)
	v_and_b32_sdwa v60, s45, v61 dst_sel:DWORD dst_unused:UNUSED_PAD src0_sel:DWORD src1_sel:BYTE_0
	v_cvt_f32_fp8_sdwa v60, v60 src0_sel:BYTE_0
	s_nop 0
	v_mul_f32_e32 v62, s43, v60
	v_and_b32_e32 v60, 0x7f800000, v62
	v_cmp_ne_u32_e64 s[0:1], s46, v60
                                        ; implicit-def: $vgpr60
	s_and_saveexec_b64 s[16:17], s[0:1]
	s_xor_b64 s[0:1], exec, s[16:17]
; %bb.75:                               ;   in Loop: Header=BB346_10 Depth=1
	v_bfe_u32 v60, v62, 16, 1
	v_add3_u32 v60, v62, v60, s47
                                        ; implicit-def: $vgpr62
; %bb.76:                               ;   in Loop: Header=BB346_10 Depth=1
	s_andn2_saveexec_b64 s[16:17], s[0:1]
; %bb.77:                               ;   in Loop: Header=BB346_10 Depth=1
	v_or_b32_e32 v60, 0x10000, v62
	v_cmp_eq_u32_sdwa s[0:1], v62, v3 src0_sel:WORD_0 src1_sel:DWORD
	s_nop 1
	v_cndmask_b32_e64 v60, v60, v62, s[0:1]
; %bb.78:                               ;   in Loop: Header=BB346_10 Depth=1
	s_or_b64 exec, exec, s[16:17]
	v_lshrrev_b16_e32 v61, 8, v61
	v_cvt_f32_fp8_sdwa v61, v61 src0_sel:BYTE_0
	s_nop 0
	v_mul_f32_e32 v62, s43, v61
	v_and_b32_e32 v61, 0x7f800000, v62
	v_cmp_ne_u32_e64 s[0:1], s46, v61
                                        ; implicit-def: $vgpr61
	s_and_saveexec_b64 s[16:17], s[0:1]
	s_xor_b64 s[0:1], exec, s[16:17]
; %bb.79:                               ;   in Loop: Header=BB346_10 Depth=1
	v_bfe_u32 v61, v62, 16, 1
	v_add3_u32 v61, v62, v61, s47
                                        ; implicit-def: $vgpr62
; %bb.80:                               ;   in Loop: Header=BB346_10 Depth=1
	s_andn2_saveexec_b64 s[16:17], s[0:1]
; %bb.81:                               ;   in Loop: Header=BB346_10 Depth=1
	v_or_b32_e32 v61, 0x10000, v62
	v_cmp_eq_u32_sdwa s[0:1], v62, v3 src0_sel:WORD_0 src1_sel:DWORD
	s_nop 1
	v_cndmask_b32_e64 v61, v61, v62, s[0:1]
; %bb.82:                               ;   in Loop: Header=BB346_10 Depth=1
	s_or_b64 exec, exec, s[16:17]
	global_load_ushort v63, v[8:9], off offset:1032
	s_waitcnt vmcnt(0)
	v_and_b32_sdwa v62, s45, v63 dst_sel:DWORD dst_unused:UNUSED_PAD src0_sel:DWORD src1_sel:BYTE_0
	v_cvt_f32_fp8_sdwa v62, v62 src0_sel:BYTE_0
	s_nop 0
	v_mul_f32_e32 v64, s43, v62
	v_and_b32_e32 v62, 0x7f800000, v64
	v_cmp_ne_u32_e64 s[0:1], s46, v62
                                        ; implicit-def: $vgpr62
	s_and_saveexec_b64 s[16:17], s[0:1]
	s_xor_b64 s[0:1], exec, s[16:17]
; %bb.83:                               ;   in Loop: Header=BB346_10 Depth=1
	v_bfe_u32 v62, v64, 16, 1
	v_add3_u32 v62, v64, v62, s47
                                        ; implicit-def: $vgpr64
; %bb.84:                               ;   in Loop: Header=BB346_10 Depth=1
	s_andn2_saveexec_b64 s[16:17], s[0:1]
; %bb.85:                               ;   in Loop: Header=BB346_10 Depth=1
	v_or_b32_e32 v62, 0x10000, v64
	v_cmp_eq_u32_sdwa s[0:1], v64, v3 src0_sel:WORD_0 src1_sel:DWORD
	s_nop 1
	v_cndmask_b32_e64 v62, v62, v64, s[0:1]
; %bb.86:                               ;   in Loop: Header=BB346_10 Depth=1
	s_or_b64 exec, exec, s[16:17]
	v_lshrrev_b16_e32 v63, 8, v63
	v_cvt_f32_fp8_sdwa v63, v63 src0_sel:BYTE_0
	s_nop 0
	v_mul_f32_e32 v64, s43, v63
	v_and_b32_e32 v63, 0x7f800000, v64
	v_cmp_ne_u32_e64 s[0:1], s46, v63
                                        ; implicit-def: $vgpr63
	s_and_saveexec_b64 s[16:17], s[0:1]
	s_xor_b64 s[0:1], exec, s[16:17]
; %bb.87:                               ;   in Loop: Header=BB346_10 Depth=1
	v_bfe_u32 v63, v64, 16, 1
	v_add3_u32 v63, v64, v63, s47
                                        ; implicit-def: $vgpr64
; %bb.88:                               ;   in Loop: Header=BB346_10 Depth=1
	s_andn2_saveexec_b64 s[16:17], s[0:1]
; %bb.89:                               ;   in Loop: Header=BB346_10 Depth=1
	v_or_b32_e32 v63, 0x10000, v64
	v_cmp_eq_u32_sdwa s[0:1], v64, v3 src0_sel:WORD_0 src1_sel:DWORD
	s_nop 1
	v_cndmask_b32_e64 v63, v63, v64, s[0:1]
; %bb.90:                               ;   in Loop: Header=BB346_10 Depth=1
	s_or_b64 exec, exec, s[16:17]
	global_load_ushort v65, v[8:9], off offset:1280
	s_waitcnt vmcnt(0)
	v_and_b32_sdwa v64, s45, v65 dst_sel:DWORD dst_unused:UNUSED_PAD src0_sel:DWORD src1_sel:BYTE_0
	v_cvt_f32_fp8_sdwa v64, v64 src0_sel:BYTE_0
	s_nop 0
	v_mul_f32_e32 v66, s43, v64
	v_and_b32_e32 v64, 0x7f800000, v66
	v_cmp_ne_u32_e64 s[0:1], s46, v64
                                        ; implicit-def: $vgpr64
	s_and_saveexec_b64 s[16:17], s[0:1]
	s_xor_b64 s[0:1], exec, s[16:17]
; %bb.91:                               ;   in Loop: Header=BB346_10 Depth=1
	v_bfe_u32 v64, v66, 16, 1
	v_add3_u32 v64, v66, v64, s47
                                        ; implicit-def: $vgpr66
; %bb.92:                               ;   in Loop: Header=BB346_10 Depth=1
	s_andn2_saveexec_b64 s[16:17], s[0:1]
; %bb.93:                               ;   in Loop: Header=BB346_10 Depth=1
	v_or_b32_e32 v64, 0x10000, v66
	v_cmp_eq_u32_sdwa s[0:1], v66, v3 src0_sel:WORD_0 src1_sel:DWORD
	s_nop 1
	v_cndmask_b32_e64 v64, v64, v66, s[0:1]
; %bb.94:                               ;   in Loop: Header=BB346_10 Depth=1
	s_or_b64 exec, exec, s[16:17]
	v_lshrrev_b16_e32 v65, 8, v65
	v_cvt_f32_fp8_sdwa v65, v65 src0_sel:BYTE_0
	s_nop 0
	v_mul_f32_e32 v66, s43, v65
	v_and_b32_e32 v65, 0x7f800000, v66
	v_cmp_ne_u32_e64 s[0:1], s46, v65
                                        ; implicit-def: $vgpr65
	s_and_saveexec_b64 s[16:17], s[0:1]
	s_xor_b64 s[0:1], exec, s[16:17]
; %bb.95:                               ;   in Loop: Header=BB346_10 Depth=1
	v_bfe_u32 v65, v66, 16, 1
	v_add3_u32 v65, v66, v65, s47
                                        ; implicit-def: $vgpr66
; %bb.96:                               ;   in Loop: Header=BB346_10 Depth=1
	s_andn2_saveexec_b64 s[16:17], s[0:1]
; %bb.97:                               ;   in Loop: Header=BB346_10 Depth=1
	v_or_b32_e32 v65, 0x10000, v66
	v_cmp_eq_u32_sdwa s[0:1], v66, v3 src0_sel:WORD_0 src1_sel:DWORD
	s_nop 1
	v_cndmask_b32_e64 v65, v65, v66, s[0:1]
; %bb.98:                               ;   in Loop: Header=BB346_10 Depth=1
	s_or_b64 exec, exec, s[16:17]
	global_load_ushort v9, v[8:9], off offset:1288
	s_waitcnt vmcnt(0)
	v_and_b32_sdwa v8, s45, v9 dst_sel:DWORD dst_unused:UNUSED_PAD src0_sel:DWORD src1_sel:BYTE_0
	v_cvt_f32_fp8_sdwa v8, v8 src0_sel:BYTE_0
	s_nop 0
	v_mul_f32_e32 v66, s43, v8
	v_and_b32_e32 v8, 0x7f800000, v66
	v_cmp_ne_u32_e64 s[0:1], s46, v8
                                        ; implicit-def: $vgpr8
	s_and_saveexec_b64 s[16:17], s[0:1]
	s_xor_b64 s[0:1], exec, s[16:17]
; %bb.99:                               ;   in Loop: Header=BB346_10 Depth=1
	v_bfe_u32 v8, v66, 16, 1
	v_add3_u32 v8, v66, v8, s47
                                        ; implicit-def: $vgpr66
; %bb.100:                              ;   in Loop: Header=BB346_10 Depth=1
	s_andn2_saveexec_b64 s[16:17], s[0:1]
; %bb.101:                              ;   in Loop: Header=BB346_10 Depth=1
	v_or_b32_e32 v8, 0x10000, v66
	v_cmp_eq_u32_sdwa s[0:1], v66, v3 src0_sel:WORD_0 src1_sel:DWORD
	s_nop 1
	v_cndmask_b32_e64 v8, v8, v66, s[0:1]
; %bb.102:                              ;   in Loop: Header=BB346_10 Depth=1
	s_or_b64 exec, exec, s[16:17]
	v_lshrrev_b16_e32 v9, 8, v9
	v_cvt_f32_fp8_sdwa v9, v9 src0_sel:BYTE_0
	s_nop 0
	v_mul_f32_e32 v66, s43, v9
	v_and_b32_e32 v9, 0x7f800000, v66
	v_cmp_ne_u32_e64 s[0:1], s46, v9
                                        ; implicit-def: $vgpr9
	s_and_saveexec_b64 s[16:17], s[0:1]
	s_xor_b64 s[0:1], exec, s[16:17]
; %bb.103:                              ;   in Loop: Header=BB346_10 Depth=1
	v_bfe_u32 v9, v66, 16, 1
	v_add3_u32 v9, v66, v9, s47
                                        ; implicit-def: $vgpr66
; %bb.104:                              ;   in Loop: Header=BB346_10 Depth=1
	s_andn2_saveexec_b64 s[16:17], s[0:1]
; %bb.105:                              ;   in Loop: Header=BB346_10 Depth=1
	v_or_b32_e32 v9, 0x10000, v66
	v_cmp_eq_u32_sdwa s[0:1], v66, v3 src0_sel:WORD_0 src1_sel:DWORD
	s_nop 1
	v_cndmask_b32_e64 v9, v9, v66, s[0:1]
; %bb.106:                              ;   in Loop: Header=BB346_10 Depth=1
	s_or_b64 exec, exec, s[16:17]
	v_and_b32_e32 v46, 0xffff0000, v46
	v_and_b32_e32 v47, 0xffff0000, v47
	;; [unrolled: 1-line block ×3, first 2 shown]
	v_mul_f32_e32 v46, v15, v46
	v_and_b32_e32 v45, 0xffff0000, v45
	v_fmac_f32_e32 v46, v1, v44
	v_mul_f32_e32 v44, v16, v47
	v_and_b32_e32 v49, 0xffff0000, v49
	v_and_b32_e32 v48, 0xffff0000, v48
	v_fmac_f32_e32 v44, v14, v45
	v_and_b32_e32 v51, 0xffff0000, v51
	v_and_b32_e32 v50, 0xffff0000, v50
	v_fmac_f32_e32 v46, v17, v48
	v_fmac_f32_e32 v44, v19, v49
	v_and_b32_e32 v53, 0xffff0000, v53
	v_and_b32_e32 v52, 0xffff0000, v52
	v_fmac_f32_e32 v46, v20, v50
	;; [unrolled: 4-line block ×9, first 2 shown]
	v_fmac_f32_e32 v44, v35, v65
	v_fmac_f32_e32 v46, v36, v8
	;; [unrolled: 1-line block ×3, first 2 shown]
	v_add_f32_e32 v8, v46, v44
	ds_bpermute_b32 v9, v39, v8
	s_waitcnt lgkmcnt(0)
	v_add_f32_e32 v8, v8, v9
	ds_bpermute_b32 v9, v40, v8
	s_and_saveexec_b64 s[16:17], vcc
	s_cbranch_execz .LBB346_9
; %bb.107:                              ;   in Loop: Header=BB346_10 Depth=1
	v_add_u32_e32 v44, s44, v41
	v_cvt_f32_i32_e32 v44, v44
	s_waitcnt lgkmcnt(0)
	v_add_f32_e32 v8, v8, v9
	v_cmp_gt_i32_e64 s[0:1], s33, v41
	v_max_f32_e32 v9, v38, v38
	v_mul_f32_e32 v44, s5, v44
	v_cndmask_b32_e64 v44, 0, v44, s[6:7]
	v_fmac_f32_e32 v44, s11, v8
	v_cndmask_b32_e64 v8, 0, v44, s[0:1]
	ds_write_b32 v42, v8
	v_max_f32_e32 v8, v9, v44
	v_cndmask_b32_e64 v38, v38, v8, s[0:1]
	s_branch .LBB346_9
.LBB346_108:
	s_or_b64 exec, exec, s[14:15]
.LBB346_109:
	s_or_b64 exec, exec, s[38:39]
	v_xor_b32_e32 v1, 32, v12
	v_cmp_lt_i32_e32 vcc, v1, v13
	v_xor_b32_e32 v4, 16, v12
	v_max_f32_e32 v3, v38, v38
	v_cndmask_b32_e32 v1, v12, v1, vcc
	v_lshlrev_b32_e32 v2, 2, v1
	ds_bpermute_b32 v1, v2, v38
	v_cmp_lt_i32_e32 vcc, v4, v13
	v_xor_b32_e32 v5, 8, v12
	s_waitcnt lgkmcnt(0)
	v_max_f32_e32 v1, v1, v1
	v_max_f32_e32 v1, v3, v1
	v_cndmask_b32_e32 v3, v12, v4, vcc
	v_lshlrev_b32_e32 v3, 2, v3
	ds_bpermute_b32 v4, v3, v1
	v_cmp_lt_i32_e32 vcc, v5, v13
	s_waitcnt lgkmcnt(0)
	v_max_f32_e32 v4, v4, v4
	v_max_f32_e32 v1, v1, v4
	v_cndmask_b32_e32 v4, v12, v5, vcc
	v_lshlrev_b32_e32 v7, 2, v4
	ds_bpermute_b32 v4, v7, v1
	v_xor_b32_e32 v5, 4, v12
	v_cmp_lt_i32_e32 vcc, v5, v13
	s_waitcnt lgkmcnt(0)
	v_max_f32_e32 v4, v4, v4
	v_max_f32_e32 v4, v1, v4
	v_cndmask_b32_e32 v1, v12, v5, vcc
	v_lshlrev_b32_e32 v8, 2, v1
	ds_bpermute_b32 v6, v8, v4
	v_and_b32_e32 v1, 63, v0
	v_cmp_eq_u32_e32 vcc, 0, v1
	v_lshlrev_b32_e32 v5, 2, v18
	s_and_saveexec_b64 s[0:1], vcc
	s_cbranch_execz .LBB346_111
; %bb.110:
	s_waitcnt lgkmcnt(0)
	v_max_f32_e32 v6, v6, v6
	v_max_f32_e32 v4, v4, v4
	;; [unrolled: 1-line block ×3, first 2 shown]
	ds_write_b32 v5, v4 offset:192
.LBB346_111:
	s_or_b64 exec, exec, s[0:1]
	v_cmp_gt_u32_e64 s[0:1], 2, v1
	v_mov_b32_e32 v4, 0xff7fffff
	s_waitcnt lgkmcnt(0)
	v_lshlrev_b32_e32 v6, 2, v1
	s_barrier
	s_and_saveexec_b64 s[6:7], s[0:1]
	s_cbranch_execz .LBB346_113
; %bb.112:
	ds_read_b32 v4, v6 offset:192
.LBB346_113:
	s_or_b64 exec, exec, s[6:7]
	v_xor_b32_e32 v9, 1, v12
	v_cmp_lt_i32_e64 s[6:7], v9, v13
	s_sub_i32 s3, s27, s3
	s_lshl_b32 s3, s3, 4
	v_cndmask_b32_e64 v9, v12, v9, s[6:7]
	v_lshlrev_b32_e32 v20, 2, v9
	s_waitcnt lgkmcnt(0)
	ds_bpermute_b32 v9, v20, v4
	v_max_f32_e32 v4, v4, v4
	s_add_i32 s3, s3, s40
	s_min_i32 s5, s3, s33
	s_sub_i32 s3, s5, s40
	s_waitcnt lgkmcnt(0)
	v_max_f32_e32 v9, v9, v9
	v_max_f32_e32 v4, v4, v9
	v_lshlrev_b32_e32 v9, 2, v12
	v_and_b32_e32 v9, 0xffffff00, v9
	ds_bpermute_b32 v4, v9, v4
	v_cmp_gt_i32_e64 s[6:7], s3, v0
	v_mov_b32_e32 v14, 0
	s_and_saveexec_b64 s[14:15], s[6:7]
	s_cbranch_execz .LBB346_117
; %bb.114:
	v_mov_b32_e32 v14, 0xd0
	v_lshl_add_u32 v15, v0, 2, v14
	s_mov_b64 s[16:17], 0
	v_mov_b32_e32 v14, 0
	v_mov_b32_e32 v16, v0
.LBB346_115:                            ; =>This Inner Loop Header: Depth=1
	ds_read_b32 v17, v15
	v_add_u32_e32 v16, 0x80, v16
	v_cmp_le_i32_e64 s[10:11], s3, v16
	s_or_b64 s[16:17], s[10:11], s[16:17]
	s_waitcnt lgkmcnt(0)
	v_sub_f32_e32 v17, v17, v4
	v_mul_f32_e32 v17, 0x3fb8aa3b, v17
	v_exp_f32_e32 v17, v17
	ds_write_b32 v15, v17
	v_add_f32_e32 v14, v14, v17
	v_add_u32_e32 v15, 0x200, v15
	s_andn2_b64 exec, exec, s[16:17]
	s_cbranch_execnz .LBB346_115
; %bb.116:
	s_or_b64 exec, exec, s[16:17]
.LBB346_117:
	s_or_b64 exec, exec, s[14:15]
	ds_bpermute_b32 v2, v2, v14
	s_waitcnt lgkmcnt(0)
	v_add_f32_e32 v2, v14, v2
	ds_bpermute_b32 v3, v3, v2
	s_waitcnt lgkmcnt(0)
	v_add_f32_e32 v2, v2, v3
	ds_bpermute_b32 v3, v7, v2
	v_xor_b32_e32 v7, 2, v12
	v_cmp_lt_i32_e64 s[10:11], v7, v13
	s_waitcnt lgkmcnt(0)
	v_add_f32_e32 v2, v2, v3
	ds_bpermute_b32 v3, v8, v2
	v_cndmask_b32_e64 v7, v12, v7, s[10:11]
	s_waitcnt lgkmcnt(0)
	v_add_f32_e32 v2, v2, v3
	v_lshlrev_b32_e32 v3, 2, v7
	ds_bpermute_b32 v3, v3, v2
	s_waitcnt lgkmcnt(0)
	v_add_f32_e32 v2, v2, v3
	ds_bpermute_b32 v3, v20, v2
	s_waitcnt lgkmcnt(0)
	v_add_f32_e32 v2, v2, v3
	s_and_saveexec_b64 s[10:11], vcc
	s_cbranch_execz .LBB346_119
; %bb.118:
	ds_write_b32 v5, v2 offset:200
.LBB346_119:
	s_or_b64 exec, exec, s[10:11]
	s_waitcnt lgkmcnt(0)
	s_barrier
	s_and_saveexec_b64 s[10:11], s[0:1]
	s_cbranch_execz .LBB346_121
; %bb.120:
	ds_read_b32 v2, v6 offset:200
.LBB346_121:
	s_or_b64 exec, exec, s[10:11]
	s_waitcnt lgkmcnt(0)
	ds_bpermute_b32 v3, v20, v2
	s_waitcnt lgkmcnt(0)
	v_add_f32_e32 v2, v2, v3
	ds_bpermute_b32 v5, v9, v2
	s_and_saveexec_b64 s[0:1], s[6:7]
	s_cbranch_execz .LBB346_134
; %bb.122:
	s_waitcnt lgkmcnt(0)
	v_add_f32_e32 v2, 0x358637bd, v5
	v_div_scale_f32 v3, s[6:7], v2, v2, 1.0
	v_rcp_f32_e32 v6, v3
	v_div_scale_f32 v7, vcc, 1.0, v2, 1.0
	s_mov_b64 s[10:11], -1
	v_fma_f32 v8, -v3, v6, 1.0
	v_fmac_f32_e32 v6, v8, v6
	v_mul_f32_e32 v8, v7, v6
	v_fma_f32 v9, -v3, v8, v7
	v_fmac_f32_e32 v8, v9, v6
	v_fma_f32 v3, -v3, v8, v7
	v_div_fmas_f32 v3, v3, v6, v8
	v_div_fixup_f32 v2, v3, v2, 1.0
	v_xad_u32 v3, v0, -1, s5
	v_subrev_u32_e32 v6, s40, v3
	s_movk_i32 s5, 0x7f
	v_cmp_lt_u32_e32 vcc, s5, v6
	v_mov_b32_e32 v3, v0
	s_and_saveexec_b64 s[6:7], vcc
	s_cbranch_execz .LBB346_131
; %bb.123:
	v_lshrrev_b32_e32 v6, 7, v6
	v_add_u32_e32 v8, -1, v6
	v_lshrrev_b32_e32 v7, 1, v8
	v_mov_b32_e32 v3, v2
	v_add_u32_e32 v7, 1, v7
	v_cmp_lt_u32_e32 vcc, 13, v8
	v_mov_b32_e32 v12, 0
	s_and_saveexec_b64 s[10:11], vcc
	s_cbranch_execz .LBB346_127
; %bb.124:
	v_mov_b32_e32 v9, 0xd0
	v_and_b32_e32 v8, -8, v7
	v_lshl_add_u32 v9, v0, 2, v9
	s_mov_b32 s5, 0
	s_mov_b64 s[14:15], 0
.LBB346_125:                            ; =>This Inner Loop Header: Depth=1
	ds_read2st64_b32 v[12:13], v9 offset1:2
	ds_read2st64_b32 v[14:15], v9 offset0:4 offset1:6
	ds_read2st64_b32 v[16:17], v9 offset0:8 offset1:10
	;; [unrolled: 1-line block ×3, first 2 shown]
	v_add_u32_e32 v8, -8, v8
	s_waitcnt lgkmcnt(3)
	v_pk_mul_f32 v[12:13], v[2:3], v[12:13]
	s_waitcnt lgkmcnt(2)
	v_pk_mul_f32 v[14:15], v[2:3], v[14:15]
	ds_write2st64_b32 v9, v12, v13 offset1:2
	ds_write2st64_b32 v9, v14, v15 offset0:4 offset1:6
	ds_read2st64_b32 v[14:15], v9 offset0:16 offset1:18
	s_waitcnt lgkmcnt(4)
	v_pk_mul_f32 v[12:13], v[2:3], v[16:17]
	ds_write2st64_b32 v9, v12, v13 offset0:8 offset1:10
	s_waitcnt lgkmcnt(4)
	v_pk_mul_f32 v[12:13], v[2:3], v[22:23]
	ds_write2st64_b32 v9, v12, v13 offset0:12 offset1:14
	ds_read2st64_b32 v[12:13], v9 offset0:20 offset1:22
	s_waitcnt lgkmcnt(3)
	v_pk_mul_f32 v[14:15], v[2:3], v[14:15]
	ds_read2st64_b32 v[16:17], v9 offset0:24 offset1:26
	ds_write2st64_b32 v9, v14, v15 offset0:16 offset1:18
	ds_read2st64_b32 v[14:15], v9 offset0:28 offset1:30
	s_waitcnt lgkmcnt(3)
	v_pk_mul_f32 v[12:13], v[2:3], v[12:13]
	ds_write2st64_b32 v9, v12, v13 offset0:20 offset1:22
	s_waitcnt lgkmcnt(3)
	v_pk_mul_f32 v[12:13], v[2:3], v[16:17]
	ds_write2st64_b32 v9, v12, v13 offset0:24 offset1:26
	s_waitcnt lgkmcnt(2)
	v_pk_mul_f32 v[12:13], v[2:3], v[14:15]
	s_add_i32 s5, s5, 16
	v_cmp_eq_u32_e32 vcc, 0, v8
	ds_write2st64_b32 v9, v12, v13 offset0:28 offset1:30
	v_add_u32_e32 v9, 0x2000, v9
	s_or_b64 s[14:15], vcc, s[14:15]
	v_mov_b32_e32 v12, s5
	s_andn2_b64 exec, exec, s[14:15]
	s_cbranch_execnz .LBB346_125
; %bb.126:
	s_or_b64 exec, exec, s[14:15]
.LBB346_127:
	s_or_b64 exec, exec, s[10:11]
	v_and_b32_e32 v7, 7, v7
	v_cmp_ne_u32_e32 vcc, 0, v7
	s_and_saveexec_b64 s[10:11], vcc
	s_cbranch_execz .LBB346_130
; %bb.128:
	v_lshlrev_b32_e32 v8, 9, v12
	v_lshlrev_b32_e32 v9, 2, v0
	s_movk_i32 s5, 0xd0
	v_add3_u32 v8, v8, v9, s5
	s_mov_b64 s[14:15], 0
.LBB346_129:                            ; =>This Inner Loop Header: Depth=1
	ds_read2st64_b32 v[12:13], v8 offset1:2
	v_add_u32_e32 v7, -1, v7
	v_cmp_eq_u32_e32 vcc, 0, v7
	s_or_b64 s[14:15], vcc, s[14:15]
	s_waitcnt lgkmcnt(0)
	v_pk_mul_f32 v[12:13], v[2:3], v[12:13]
	ds_write2st64_b32 v8, v12, v13 offset1:2
	v_add_u32_e32 v8, 0x400, v8
	s_andn2_b64 exec, exec, s[14:15]
	s_cbranch_execnz .LBB346_129
.LBB346_130:
	s_or_b64 exec, exec, s[10:11]
	v_add_u32_e32 v6, 1, v6
	v_and_b32_e32 v7, 0x3fffffe, v6
	v_cmp_ne_u32_e32 vcc, v6, v7
	v_lshl_add_u32 v3, v7, 7, v0
	s_orn2_b64 s[10:11], vcc, exec
.LBB346_131:
	s_or_b64 exec, exec, s[6:7]
	s_and_b64 exec, exec, s[10:11]
	s_cbranch_execz .LBB346_134
; %bb.132:
	v_mov_b32_e32 v6, 0xd0
	v_lshl_add_u32 v6, v3, 2, v6
	s_mov_b64 s[6:7], 0
.LBB346_133:                            ; =>This Inner Loop Header: Depth=1
	ds_read_b32 v7, v6
	v_add_u32_e32 v3, 0x80, v3
	v_cmp_le_i32_e32 vcc, s3, v3
	s_or_b64 s[6:7], vcc, s[6:7]
	s_waitcnt lgkmcnt(0)
	v_mul_f32_e32 v7, v2, v7
	ds_write_b32 v6, v7
	v_add_u32_e32 v6, 0x200, v6
	s_andn2_b64 exec, exec, s[6:7]
	s_cbranch_execnz .LBB346_133
.LBB346_134:
	s_or_b64 exec, exec, s[0:1]
	v_cmp_eq_u32_e32 vcc, 0, v0
	s_waitcnt lgkmcnt(0)
	s_barrier
	s_and_saveexec_b64 s[0:1], vcc
	s_cbranch_execz .LBB346_136
; %bb.135:
	s_mul_i32 s3, s12, s24
	s_mul_i32 s6, s3, s25
	s_ashr_i32 s7, s6, 31
	s_lshl_b64 s[6:7], s[6:7], 2
	s_add_u32 s5, s22, s6
	s_mul_i32 s2, s12, s2
	s_addc_u32 s10, s23, s7
	s_ashr_i32 s3, s2, 31
	s_lshl_b64 s[2:3], s[2:3], 2
	s_add_u32 s14, s5, s2
	s_addc_u32 s15, s10, s3
	s_ashr_i32 s5, s4, 31
	s_lshl_b64 s[10:11], s[4:5], 2
	s_add_u32 s14, s14, s10
	s_addc_u32 s15, s15, s11
	s_add_u32 s5, s20, s6
	s_addc_u32 s6, s21, s7
	;; [unrolled: 2-line block ×3, first 2 shown]
	s_add_u32 s2, s2, s10
	v_mov_b32_e32 v2, 0
	s_addc_u32 s3, s3, s11
	global_store_dword v2, v4, s[14:15]
	global_store_dword v2, v5, s[2:3]
.LBB346_136:
	s_or_b64 exec, exec, s[0:1]
	v_mov_b32_e32 v14, 0
	v_and_b32_e32 v21, 1, v0
	v_mov_b32_e32 v13, 0
	v_mov_b32_e32 v12, 0
	s_and_saveexec_b64 s[2:3], s[8:9]
	s_cbranch_execz .LBB346_370
; %bb.137:
	s_ashr_i32 s1, s42, 31
	v_lshlrev_b32_e32 v2, 3, v0
	s_add_u32 s0, s36, s42
	s_addc_u32 s1, s37, s1
	s_load_dword s10, s[18:19], 0x0
	v_and_b32_e32 v14, 0x1f8, v2
	v_mov_b32_e32 v15, 0
	v_and_b32_e32 v3, 8, v2
	s_add_i32 s11, s41, -1
	v_lshl_add_u64 v[16:17], s[0:1], 0, v[14:15]
	v_lshl_add_u32 v2, v18, 4, s40
	s_lshl_b64 s[0:1], s[34:35], 2
	v_add3_u32 v22, v2, v3, 7
	v_lshlrev_b32_e32 v2, 5, v21
	s_add_u32 s0, s30, s0
	v_lshl_or_b32 v2, v18, 6, v2
	s_addc_u32 s1, s31, s1
	s_mov_b32 s5, s13
	v_add_u32_e32 v23, 0xd0, v2
	v_lshl_add_u64 v[18:19], v[10:11], 2, s[0:1]
	s_mov_b64 s[6:7], 0
	s_mov_b32 s13, 0x7f800000
	s_movk_i32 s14, 0x7fff
	v_mov_b32_e32 v12, 0
	v_mov_b32_e32 v13, 0
	;; [unrolled: 1-line block ×3, first 2 shown]
	s_branch .LBB346_139
.LBB346_138:                            ;   in Loop: Header=BB346_139 Depth=1
	s_or_b64 exec, exec, s[0:1]
	v_and_b32_e32 v35, 0xffff0000, v9
	v_and_b32_e32 v34, 0xffff0000, v7
	;; [unrolled: 1-line block ×8, first 2 shown]
	v_pk_add_f32 v[6:7], v[6:7], v[34:35]
	v_pk_add_f32 v[8:9], v[24:25], v[32:33]
	v_add_f32_e32 v6, v6, v7
	v_add_f32_e32 v6, v6, v8
	v_add_f32_e32 v6, v6, v9
	v_and_b32_e32 v25, 0xffff0000, v43
	v_and_b32_e32 v24, 0xffff0000, v5
	v_and_b32_e32 v5, 0xffff0000, v42
	v_and_b32_e32 v4, 0xffff0000, v4
	v_add_f32_e32 v12, v12, v6
	v_and_b32_e32 v7, 0xffff0000, v47
	v_and_b32_e32 v6, 0xffff0000, v45
	;; [unrolled: 1-line block ×4, first 2 shown]
	v_pk_add_f32 v[4:5], v[4:5], v[24:25]
	v_pk_add_f32 v[6:7], v[8:9], v[6:7]
	v_add_f32_e32 v4, v4, v5
	v_add_f32_e32 v4, v4, v6
	;; [unrolled: 1-line block ×3, first 2 shown]
	v_and_b32_e32 v5, 0xffff0000, v3
	v_and_b32_e32 v9, 0xffff0000, v28
	v_and_b32_e32 v8, 0xffff0000, v26
	v_and_b32_e32 v3, 0xffff0000, v27
	v_and_b32_e32 v2, 0xffff0000, v2
	v_add_f32_e32 v13, v13, v4
	v_and_b32_e32 v4, 0xffff0000, v30
	v_and_b32_e32 v7, 0xffff0000, v31
	;; [unrolled: 1-line block ×3, first 2 shown]
	v_pk_add_f32 v[2:3], v[2:3], v[8:9]
	v_pk_add_f32 v[4:5], v[6:7], v[4:5]
	v_add_f32_e32 v2, v2, v3
	v_add_f32_e32 v2, v2, v4
	v_add_u32_e32 v10, 2, v10
	v_add_f32_e32 v2, v2, v5
	v_cmp_le_i32_e32 vcc, s27, v10
	v_add_f32_e32 v14, v14, v2
	v_add_u32_e32 v22, 32, v22
	v_add_u32_e32 v23, 0x80, v23
	s_or_b64 s[6:7], vcc, s[6:7]
	v_lshl_add_u64 v[18:19], v[18:19], 0, 8
	s_andn2_b64 exec, exec, s[6:7]
	s_cbranch_execz .LBB346_369
.LBB346_139:                            ; =>This Inner Loop Header: Depth=1
	global_load_dword v26, v[18:19], off
	ds_read2_b64 v[6:9], v23 offset1:1
	ds_read2_b64 v[2:5], v23 offset0:2 offset1:3
                                        ; implicit-def: $vgpr34
	s_waitcnt lgkmcnt(0)
	v_and_b32_e32 v11, 0x7f800000, v6
	v_cmp_ne_u32_e32 vcc, s13, v11
	s_and_saveexec_b64 s[0:1], vcc
	s_xor_b64 s[0:1], exec, s[0:1]
; %bb.140:                              ;   in Loop: Header=BB346_139 Depth=1
	v_bfe_u32 v11, v6, 16, 1
	v_add3_u32 v34, v6, v11, s14
; %bb.141:                              ;   in Loop: Header=BB346_139 Depth=1
	s_andn2_saveexec_b64 s[0:1], s[0:1]
; %bb.142:                              ;   in Loop: Header=BB346_139 Depth=1
	v_or_b32_e32 v11, 0x10000, v6
	v_cmp_eq_u32_sdwa vcc, v6, v15 src0_sel:WORD_0 src1_sel:DWORD
	s_nop 1
	v_cndmask_b32_e32 v34, v11, v6, vcc
; %bb.143:                              ;   in Loop: Header=BB346_139 Depth=1
	s_or_b64 exec, exec, s[0:1]
	v_and_b32_e32 v6, 0x7f800000, v7
	v_cmp_ne_u32_e32 vcc, s13, v6
                                        ; implicit-def: $vgpr35
	s_and_saveexec_b64 s[0:1], vcc
	s_xor_b64 s[0:1], exec, s[0:1]
; %bb.144:                              ;   in Loop: Header=BB346_139 Depth=1
	v_bfe_u32 v6, v7, 16, 1
	v_add3_u32 v35, v7, v6, s14
; %bb.145:                              ;   in Loop: Header=BB346_139 Depth=1
	s_andn2_saveexec_b64 s[0:1], s[0:1]
; %bb.146:                              ;   in Loop: Header=BB346_139 Depth=1
	v_or_b32_e32 v6, 0x10000, v7
	v_cmp_eq_u32_sdwa vcc, v7, v15 src0_sel:WORD_0 src1_sel:DWORD
	s_nop 1
	v_cndmask_b32_e32 v35, v6, v7, vcc
; %bb.147:                              ;   in Loop: Header=BB346_139 Depth=1
	s_or_b64 exec, exec, s[0:1]
	v_and_b32_e32 v6, 0x7f800000, v8
	v_cmp_ne_u32_e32 vcc, s13, v6
                                        ; implicit-def: $vgpr36
	s_and_saveexec_b64 s[0:1], vcc
	s_xor_b64 s[0:1], exec, s[0:1]
; %bb.148:                              ;   in Loop: Header=BB346_139 Depth=1
	v_bfe_u32 v6, v8, 16, 1
	v_add3_u32 v36, v8, v6, s14
; %bb.149:                              ;   in Loop: Header=BB346_139 Depth=1
	s_andn2_saveexec_b64 s[0:1], s[0:1]
; %bb.150:                              ;   in Loop: Header=BB346_139 Depth=1
	v_or_b32_e32 v6, 0x10000, v8
	v_cmp_eq_u32_sdwa vcc, v8, v15 src0_sel:WORD_0 src1_sel:DWORD
	s_nop 1
	v_cndmask_b32_e32 v36, v6, v8, vcc
; %bb.151:                              ;   in Loop: Header=BB346_139 Depth=1
	s_or_b64 exec, exec, s[0:1]
	v_and_b32_e32 v6, 0x7f800000, v9
	v_cmp_ne_u32_e32 vcc, s13, v6
                                        ; implicit-def: $vgpr37
	s_and_saveexec_b64 s[0:1], vcc
	s_xor_b64 s[0:1], exec, s[0:1]
; %bb.152:                              ;   in Loop: Header=BB346_139 Depth=1
	v_bfe_u32 v6, v9, 16, 1
	v_add3_u32 v37, v9, v6, s14
                                        ; implicit-def: $vgpr6_vgpr7_vgpr8_vgpr9
; %bb.153:                              ;   in Loop: Header=BB346_139 Depth=1
	s_andn2_saveexec_b64 s[0:1], s[0:1]
; %bb.154:                              ;   in Loop: Header=BB346_139 Depth=1
	v_or_b32_e32 v6, 0x10000, v9
	v_cmp_eq_u32_sdwa vcc, v9, v15 src0_sel:WORD_0 src1_sel:DWORD
	s_nop 1
	v_cndmask_b32_e32 v37, v6, v9, vcc
; %bb.155:                              ;   in Loop: Header=BB346_139 Depth=1
	s_or_b64 exec, exec, s[0:1]
	v_and_b32_e32 v6, 0x7f800000, v2
	v_cmp_ne_u32_e32 vcc, s13, v6
                                        ; implicit-def: $vgpr11
	s_and_saveexec_b64 s[0:1], vcc
	s_xor_b64 s[0:1], exec, s[0:1]
; %bb.156:                              ;   in Loop: Header=BB346_139 Depth=1
	v_bfe_u32 v6, v2, 16, 1
	v_add3_u32 v11, v2, v6, s14
; %bb.157:                              ;   in Loop: Header=BB346_139 Depth=1
	s_andn2_saveexec_b64 s[0:1], s[0:1]
; %bb.158:                              ;   in Loop: Header=BB346_139 Depth=1
	v_or_b32_e32 v6, 0x10000, v2
	v_cmp_eq_u32_sdwa vcc, v2, v15 src0_sel:WORD_0 src1_sel:DWORD
	s_nop 1
	v_cndmask_b32_e32 v11, v6, v2, vcc
; %bb.159:                              ;   in Loop: Header=BB346_139 Depth=1
	s_or_b64 exec, exec, s[0:1]
	v_and_b32_e32 v2, 0x7f800000, v3
	v_cmp_ne_u32_e32 vcc, s13, v2
                                        ; implicit-def: $vgpr24
	s_and_saveexec_b64 s[0:1], vcc
	s_xor_b64 s[0:1], exec, s[0:1]
; %bb.160:                              ;   in Loop: Header=BB346_139 Depth=1
	v_bfe_u32 v2, v3, 16, 1
	v_add3_u32 v24, v3, v2, s14
; %bb.161:                              ;   in Loop: Header=BB346_139 Depth=1
	s_andn2_saveexec_b64 s[0:1], s[0:1]
; %bb.162:                              ;   in Loop: Header=BB346_139 Depth=1
	v_or_b32_e32 v2, 0x10000, v3
	v_cmp_eq_u32_sdwa vcc, v3, v15 src0_sel:WORD_0 src1_sel:DWORD
	s_nop 1
	v_cndmask_b32_e32 v24, v2, v3, vcc
; %bb.163:                              ;   in Loop: Header=BB346_139 Depth=1
	s_or_b64 exec, exec, s[0:1]
	v_and_b32_e32 v2, 0x7f800000, v4
	v_cmp_ne_u32_e32 vcc, s13, v2
                                        ; implicit-def: $vgpr25
	s_and_saveexec_b64 s[0:1], vcc
	s_xor_b64 s[0:1], exec, s[0:1]
; %bb.164:                              ;   in Loop: Header=BB346_139 Depth=1
	v_bfe_u32 v2, v4, 16, 1
	v_add3_u32 v25, v4, v2, s14
; %bb.165:                              ;   in Loop: Header=BB346_139 Depth=1
	s_andn2_saveexec_b64 s[0:1], s[0:1]
; %bb.166:                              ;   in Loop: Header=BB346_139 Depth=1
	v_or_b32_e32 v2, 0x10000, v4
	v_cmp_eq_u32_sdwa vcc, v4, v15 src0_sel:WORD_0 src1_sel:DWORD
	s_nop 1
	v_cndmask_b32_e32 v25, v2, v4, vcc
; %bb.167:                              ;   in Loop: Header=BB346_139 Depth=1
	s_or_b64 exec, exec, s[0:1]
	v_and_b32_e32 v2, 0x7f800000, v5
	v_cmp_ne_u32_e32 vcc, s13, v2
                                        ; implicit-def: $vgpr33
	s_and_saveexec_b64 s[0:1], vcc
	s_xor_b64 s[0:1], exec, s[0:1]
; %bb.168:                              ;   in Loop: Header=BB346_139 Depth=1
	v_bfe_u32 v2, v5, 16, 1
	v_add3_u32 v33, v5, v2, s14
                                        ; implicit-def: $vgpr2_vgpr3_vgpr4_vgpr5
; %bb.169:                              ;   in Loop: Header=BB346_139 Depth=1
	s_andn2_saveexec_b64 s[0:1], s[0:1]
; %bb.170:                              ;   in Loop: Header=BB346_139 Depth=1
	v_or_b32_e32 v2, 0x10000, v5
	v_cmp_eq_u32_sdwa vcc, v5, v15 src0_sel:WORD_0 src1_sel:DWORD
	s_nop 1
	v_cndmask_b32_e32 v33, v2, v5, vcc
; %bb.171:                              ;   in Loop: Header=BB346_139 Depth=1
	s_or_b64 exec, exec, s[0:1]
	s_waitcnt vmcnt(0)
	v_mad_i64_i32 v[2:3], s[0:1], v26, s5, v[16:17]
	global_load_dwordx2 v[4:5], v[2:3], off
	s_waitcnt vmcnt(0)
	v_and_b32_e32 v6, 0xff, v4
	v_cvt_f32_fp8_sdwa v6, v6 src0_sel:BYTE_0
	s_nop 0
	v_mul_f32_e32 v7, s10, v6
	v_and_b32_e32 v6, 0x7f800000, v7
	v_cmp_ne_u32_e32 vcc, s13, v6
                                        ; implicit-def: $vgpr6
	s_and_saveexec_b64 s[0:1], vcc
	s_xor_b64 s[0:1], exec, s[0:1]
; %bb.172:                              ;   in Loop: Header=BB346_139 Depth=1
	v_bfe_u32 v6, v7, 16, 1
	v_add3_u32 v6, v7, v6, s14
                                        ; implicit-def: $vgpr7
; %bb.173:                              ;   in Loop: Header=BB346_139 Depth=1
	s_andn2_saveexec_b64 s[0:1], s[0:1]
; %bb.174:                              ;   in Loop: Header=BB346_139 Depth=1
	v_or_b32_e32 v6, 0x10000, v7
	v_cmp_eq_u32_sdwa vcc, v7, v15 src0_sel:WORD_0 src1_sel:DWORD
	s_nop 1
	v_cndmask_b32_e32 v6, v6, v7, vcc
; %bb.175:                              ;   in Loop: Header=BB346_139 Depth=1
	s_or_b64 exec, exec, s[0:1]
	v_bfe_u32 v7, v4, 8, 8
	v_cvt_f32_fp8_sdwa v7, v7 src0_sel:BYTE_0
	s_nop 0
	v_mul_f32_e32 v8, s10, v7
	v_and_b32_e32 v7, 0x7f800000, v8
	v_cmp_ne_u32_e32 vcc, s13, v7
                                        ; implicit-def: $vgpr7
	s_and_saveexec_b64 s[0:1], vcc
	s_xor_b64 s[0:1], exec, s[0:1]
; %bb.176:                              ;   in Loop: Header=BB346_139 Depth=1
	v_bfe_u32 v7, v8, 16, 1
	v_add3_u32 v7, v8, v7, s14
                                        ; implicit-def: $vgpr8
; %bb.177:                              ;   in Loop: Header=BB346_139 Depth=1
	s_andn2_saveexec_b64 s[0:1], s[0:1]
; %bb.178:                              ;   in Loop: Header=BB346_139 Depth=1
	v_or_b32_e32 v7, 0x10000, v8
	v_cmp_eq_u32_sdwa vcc, v8, v15 src0_sel:WORD_0 src1_sel:DWORD
	s_nop 1
	v_cndmask_b32_e32 v7, v7, v8, vcc
; %bb.179:                              ;   in Loop: Header=BB346_139 Depth=1
	s_or_b64 exec, exec, s[0:1]
	v_bfe_u32 v8, v4, 16, 8
	v_cvt_f32_fp8_sdwa v8, v8 src0_sel:BYTE_0
	s_nop 0
	v_mul_f32_e32 v9, s10, v8
	v_and_b32_e32 v8, 0x7f800000, v9
	v_cmp_ne_u32_e32 vcc, s13, v8
                                        ; implicit-def: $vgpr8
	s_and_saveexec_b64 s[0:1], vcc
	s_xor_b64 s[0:1], exec, s[0:1]
; %bb.180:                              ;   in Loop: Header=BB346_139 Depth=1
	v_bfe_u32 v8, v9, 16, 1
	v_add3_u32 v8, v9, v8, s14
                                        ; implicit-def: $vgpr9
; %bb.181:                              ;   in Loop: Header=BB346_139 Depth=1
	s_andn2_saveexec_b64 s[0:1], s[0:1]
; %bb.182:                              ;   in Loop: Header=BB346_139 Depth=1
	v_or_b32_e32 v8, 0x10000, v9
	v_cmp_eq_u32_sdwa vcc, v9, v15 src0_sel:WORD_0 src1_sel:DWORD
	s_nop 1
	v_cndmask_b32_e32 v8, v8, v9, vcc
; %bb.183:                              ;   in Loop: Header=BB346_139 Depth=1
	s_or_b64 exec, exec, s[0:1]
	v_lshrrev_b32_e32 v4, 24, v4
	v_cvt_f32_fp8_sdwa v4, v4 src0_sel:BYTE_0
	s_nop 0
	v_mul_f32_e32 v9, s10, v4
	v_and_b32_e32 v4, 0x7f800000, v9
	v_cmp_ne_u32_e32 vcc, s13, v4
                                        ; implicit-def: $vgpr4
	s_and_saveexec_b64 s[0:1], vcc
	s_xor_b64 s[0:1], exec, s[0:1]
; %bb.184:                              ;   in Loop: Header=BB346_139 Depth=1
	v_bfe_u32 v4, v9, 16, 1
	v_add3_u32 v4, v9, v4, s14
                                        ; implicit-def: $vgpr9
; %bb.185:                              ;   in Loop: Header=BB346_139 Depth=1
	s_andn2_saveexec_b64 s[0:1], s[0:1]
; %bb.186:                              ;   in Loop: Header=BB346_139 Depth=1
	v_or_b32_e32 v4, 0x10000, v9
	v_cmp_eq_u32_sdwa vcc, v9, v15 src0_sel:WORD_0 src1_sel:DWORD
	s_nop 1
	v_cndmask_b32_e32 v4, v4, v9, vcc
; %bb.187:                              ;   in Loop: Header=BB346_139 Depth=1
	s_or_b64 exec, exec, s[0:1]
	v_and_b32_e32 v9, 0xff, v5
	v_cvt_f32_fp8_sdwa v9, v9 src0_sel:BYTE_0
	s_nop 0
	v_mul_f32_e32 v26, s10, v9
	v_and_b32_e32 v9, 0x7f800000, v26
	v_cmp_ne_u32_e32 vcc, s13, v9
                                        ; implicit-def: $vgpr9
	s_and_saveexec_b64 s[0:1], vcc
	s_xor_b64 s[0:1], exec, s[0:1]
; %bb.188:                              ;   in Loop: Header=BB346_139 Depth=1
	v_bfe_u32 v9, v26, 16, 1
	v_add3_u32 v9, v26, v9, s14
                                        ; implicit-def: $vgpr26
; %bb.189:                              ;   in Loop: Header=BB346_139 Depth=1
	s_andn2_saveexec_b64 s[0:1], s[0:1]
; %bb.190:                              ;   in Loop: Header=BB346_139 Depth=1
	v_or_b32_e32 v9, 0x10000, v26
	v_cmp_eq_u32_sdwa vcc, v26, v15 src0_sel:WORD_0 src1_sel:DWORD
	s_nop 1
	v_cndmask_b32_e32 v9, v9, v26, vcc
; %bb.191:                              ;   in Loop: Header=BB346_139 Depth=1
	s_or_b64 exec, exec, s[0:1]
	v_bfe_u32 v26, v5, 8, 8
	v_cvt_f32_fp8_sdwa v26, v26 src0_sel:BYTE_0
	s_nop 0
	v_mul_f32_e32 v26, s10, v26
	v_and_b32_e32 v27, 0x7f800000, v26
	v_cmp_ne_u32_e32 vcc, s13, v27
                                        ; implicit-def: $vgpr27
	s_and_saveexec_b64 s[0:1], vcc
	s_xor_b64 s[0:1], exec, s[0:1]
; %bb.192:                              ;   in Loop: Header=BB346_139 Depth=1
	v_bfe_u32 v27, v26, 16, 1
	v_add3_u32 v27, v26, v27, s14
                                        ; implicit-def: $vgpr26
; %bb.193:                              ;   in Loop: Header=BB346_139 Depth=1
	s_andn2_saveexec_b64 s[0:1], s[0:1]
; %bb.194:                              ;   in Loop: Header=BB346_139 Depth=1
	v_or_b32_e32 v27, 0x10000, v26
	v_cmp_eq_u32_sdwa vcc, v26, v15 src0_sel:WORD_0 src1_sel:DWORD
	s_nop 1
	v_cndmask_b32_e32 v27, v27, v26, vcc
; %bb.195:                              ;   in Loop: Header=BB346_139 Depth=1
	s_or_b64 exec, exec, s[0:1]
	v_bfe_u32 v26, v5, 16, 8
	v_cvt_f32_fp8_sdwa v26, v26 src0_sel:BYTE_0
	s_nop 0
	v_mul_f32_e32 v26, s10, v26
	v_and_b32_e32 v28, 0x7f800000, v26
	v_cmp_ne_u32_e32 vcc, s13, v28
                                        ; implicit-def: $vgpr28
	s_and_saveexec_b64 s[0:1], vcc
	s_xor_b64 s[0:1], exec, s[0:1]
; %bb.196:                              ;   in Loop: Header=BB346_139 Depth=1
	v_bfe_u32 v28, v26, 16, 1
	v_add3_u32 v28, v26, v28, s14
                                        ; implicit-def: $vgpr26
; %bb.197:                              ;   in Loop: Header=BB346_139 Depth=1
	s_andn2_saveexec_b64 s[0:1], s[0:1]
; %bb.198:                              ;   in Loop: Header=BB346_139 Depth=1
	v_or_b32_e32 v28, 0x10000, v26
	v_cmp_eq_u32_sdwa vcc, v26, v15 src0_sel:WORD_0 src1_sel:DWORD
	s_nop 1
	v_cndmask_b32_e32 v28, v28, v26, vcc
; %bb.199:                              ;   in Loop: Header=BB346_139 Depth=1
	s_or_b64 exec, exec, s[0:1]
	v_lshrrev_b32_e32 v5, 24, v5
	v_cvt_f32_fp8_sdwa v5, v5 src0_sel:BYTE_0
                                        ; implicit-def: $vgpr29
	s_nop 0
	v_mul_f32_e32 v5, s10, v5
	v_and_b32_e32 v26, 0x7f800000, v5
	v_cmp_ne_u32_e32 vcc, s13, v26
	s_and_saveexec_b64 s[0:1], vcc
	s_xor_b64 s[0:1], exec, s[0:1]
; %bb.200:                              ;   in Loop: Header=BB346_139 Depth=1
	v_bfe_u32 v26, v5, 16, 1
	v_add3_u32 v29, v5, v26, s14
                                        ; implicit-def: $vgpr5
; %bb.201:                              ;   in Loop: Header=BB346_139 Depth=1
	s_andn2_saveexec_b64 s[0:1], s[0:1]
; %bb.202:                              ;   in Loop: Header=BB346_139 Depth=1
	v_or_b32_e32 v26, 0x10000, v5
	v_cmp_eq_u32_sdwa vcc, v5, v15 src0_sel:WORD_0 src1_sel:DWORD
	s_nop 1
	v_cndmask_b32_e32 v29, v26, v5, vcc
; %bb.203:                              ;   in Loop: Header=BB346_139 Depth=1
	s_or_b64 exec, exec, s[0:1]
	v_cmp_eq_u32_e32 vcc, s11, v10
	v_add_u32_e32 v26, -7, v22
	v_lshrrev_b32_e32 v40, 16, v27
	v_lshrrev_b32_e32 v39, 16, v9
	;; [unrolled: 1-line block ×8, first 2 shown]
	v_add_u32_e32 v32, -6, v22
	v_add_u32_e32 v31, -5, v22
	;; [unrolled: 1-line block ×6, first 2 shown]
	s_and_saveexec_b64 s[8:9], vcc
	s_cbranch_execz .LBB346_205
; %bb.204:                              ;   in Loop: Header=BB346_139 Depth=1
	v_cmp_gt_i32_e64 s[0:1], s33, v26
	s_nop 1
	v_cndmask_b32_e64 v6, 0, v6, s[0:1]
	v_cmp_gt_i32_e64 s[0:1], s33, v32
	s_nop 1
	v_cndmask_b32_e64 v7, 0, v7, s[0:1]
	;; [unrolled: 3-line block ×8, first 2 shown]
.LBB346_205:                            ;   in Loop: Header=BB346_139 Depth=1
	s_or_b64 exec, exec, s[8:9]
	v_and_b32_e32 v34, 0xffff0000, v34
	v_lshlrev_b32_e32 v6, 16, v6
	v_mul_f32_e32 v38, v34, v6
	v_and_b32_e32 v6, 0x7f800000, v38
	v_cmp_ne_u32_e64 s[0:1], s13, v6
                                        ; implicit-def: $vgpr6
	s_and_saveexec_b64 s[8:9], s[0:1]
	s_xor_b64 s[0:1], exec, s[8:9]
; %bb.206:                              ;   in Loop: Header=BB346_139 Depth=1
	v_bfe_u32 v6, v38, 16, 1
	v_add3_u32 v6, v38, v6, s14
                                        ; implicit-def: $vgpr38
; %bb.207:                              ;   in Loop: Header=BB346_139 Depth=1
	s_andn2_saveexec_b64 s[8:9], s[0:1]
; %bb.208:                              ;   in Loop: Header=BB346_139 Depth=1
	v_or_b32_e32 v6, 0x10000, v38
	v_cmp_eq_u32_sdwa s[0:1], v38, v15 src0_sel:WORD_0 src1_sel:DWORD
	s_nop 1
	v_cndmask_b32_e64 v6, v6, v38, s[0:1]
; %bb.209:                              ;   in Loop: Header=BB346_139 Depth=1
	s_or_b64 exec, exec, s[8:9]
	v_and_b32_e32 v35, 0xffff0000, v35
	v_lshlrev_b32_e32 v7, 16, v7
	v_mul_f32_e32 v38, v35, v7
	v_and_b32_e32 v7, 0x7f800000, v38
	v_cmp_ne_u32_e64 s[0:1], s13, v7
                                        ; implicit-def: $vgpr7
	s_and_saveexec_b64 s[8:9], s[0:1]
	s_xor_b64 s[0:1], exec, s[8:9]
; %bb.210:                              ;   in Loop: Header=BB346_139 Depth=1
	v_bfe_u32 v7, v38, 16, 1
	v_add3_u32 v7, v38, v7, s14
                                        ; implicit-def: $vgpr38
; %bb.211:                              ;   in Loop: Header=BB346_139 Depth=1
	s_andn2_saveexec_b64 s[8:9], s[0:1]
; %bb.212:                              ;   in Loop: Header=BB346_139 Depth=1
	v_or_b32_e32 v7, 0x10000, v38
	v_cmp_eq_u32_sdwa s[0:1], v38, v15 src0_sel:WORD_0 src1_sel:DWORD
	s_nop 1
	v_cndmask_b32_e64 v7, v7, v38, s[0:1]
; %bb.213:                              ;   in Loop: Header=BB346_139 Depth=1
	s_or_b64 exec, exec, s[8:9]
	v_and_b32_e32 v36, 0xffff0000, v36
	v_lshlrev_b32_e32 v8, 16, v8
	v_mul_f32_e32 v38, v36, v8
	v_and_b32_e32 v8, 0x7f800000, v38
	v_cmp_ne_u32_e64 s[0:1], s13, v8
                                        ; implicit-def: $vgpr8
	s_and_saveexec_b64 s[8:9], s[0:1]
	s_xor_b64 s[0:1], exec, s[8:9]
; %bb.214:                              ;   in Loop: Header=BB346_139 Depth=1
	v_bfe_u32 v8, v38, 16, 1
	v_add3_u32 v8, v38, v8, s14
                                        ; implicit-def: $vgpr38
; %bb.215:                              ;   in Loop: Header=BB346_139 Depth=1
	s_andn2_saveexec_b64 s[8:9], s[0:1]
; %bb.216:                              ;   in Loop: Header=BB346_139 Depth=1
	v_or_b32_e32 v8, 0x10000, v38
	v_cmp_eq_u32_sdwa s[0:1], v38, v15 src0_sel:WORD_0 src1_sel:DWORD
	s_nop 1
	v_cndmask_b32_e64 v8, v8, v38, s[0:1]
; %bb.217:                              ;   in Loop: Header=BB346_139 Depth=1
	s_or_b64 exec, exec, s[8:9]
	v_and_b32_e32 v37, 0xffff0000, v37
	v_lshlrev_b32_e32 v9, 16, v9
	v_mul_f32_e32 v38, v37, v9
	v_and_b32_e32 v9, 0x7f800000, v38
	v_cmp_ne_u32_e64 s[0:1], s13, v9
                                        ; implicit-def: $vgpr9
	s_and_saveexec_b64 s[8:9], s[0:1]
	s_xor_b64 s[0:1], exec, s[8:9]
; %bb.218:                              ;   in Loop: Header=BB346_139 Depth=1
	v_bfe_u32 v9, v38, 16, 1
	v_add3_u32 v9, v38, v9, s14
                                        ; implicit-def: $vgpr38
; %bb.219:                              ;   in Loop: Header=BB346_139 Depth=1
	s_andn2_saveexec_b64 s[8:9], s[0:1]
; %bb.220:                              ;   in Loop: Header=BB346_139 Depth=1
	v_or_b32_e32 v9, 0x10000, v38
	v_cmp_eq_u32_sdwa s[0:1], v38, v15 src0_sel:WORD_0 src1_sel:DWORD
	s_nop 1
	v_cndmask_b32_e64 v9, v9, v38, s[0:1]
; %bb.221:                              ;   in Loop: Header=BB346_139 Depth=1
	s_or_b64 exec, exec, s[8:9]
	v_and_b32_e32 v38, 0xffff0000, v11
	v_lshlrev_b32_e32 v11, 16, v39
	v_mul_f32_e32 v39, v38, v11
	v_and_b32_e32 v11, 0x7f800000, v39
	v_cmp_ne_u32_e64 s[0:1], s13, v11
                                        ; implicit-def: $vgpr11
	s_and_saveexec_b64 s[8:9], s[0:1]
	s_xor_b64 s[0:1], exec, s[8:9]
; %bb.222:                              ;   in Loop: Header=BB346_139 Depth=1
	v_bfe_u32 v11, v39, 16, 1
	v_add3_u32 v11, v39, v11, s14
                                        ; implicit-def: $vgpr39
; %bb.223:                              ;   in Loop: Header=BB346_139 Depth=1
	s_andn2_saveexec_b64 s[8:9], s[0:1]
; %bb.224:                              ;   in Loop: Header=BB346_139 Depth=1
	v_or_b32_e32 v11, 0x10000, v39
	v_cmp_eq_u32_sdwa s[0:1], v39, v15 src0_sel:WORD_0 src1_sel:DWORD
	s_nop 1
	v_cndmask_b32_e64 v11, v11, v39, s[0:1]
; %bb.225:                              ;   in Loop: Header=BB346_139 Depth=1
	s_or_b64 exec, exec, s[8:9]
	v_and_b32_e32 v39, 0xffff0000, v24
	v_lshlrev_b32_e32 v24, 16, v40
	v_mul_f32_e32 v40, v39, v24
	v_and_b32_e32 v24, 0x7f800000, v40
	v_cmp_ne_u32_e64 s[0:1], s13, v24
                                        ; implicit-def: $vgpr24
	s_and_saveexec_b64 s[8:9], s[0:1]
	s_xor_b64 s[0:1], exec, s[8:9]
; %bb.226:                              ;   in Loop: Header=BB346_139 Depth=1
	v_bfe_u32 v24, v40, 16, 1
	v_add3_u32 v24, v40, v24, s14
                                        ; implicit-def: $vgpr40
; %bb.227:                              ;   in Loop: Header=BB346_139 Depth=1
	s_andn2_saveexec_b64 s[8:9], s[0:1]
; %bb.228:                              ;   in Loop: Header=BB346_139 Depth=1
	v_or_b32_e32 v24, 0x10000, v40
	v_cmp_eq_u32_sdwa s[0:1], v40, v15 src0_sel:WORD_0 src1_sel:DWORD
	s_nop 1
	v_cndmask_b32_e64 v24, v24, v40, s[0:1]
; %bb.229:                              ;   in Loop: Header=BB346_139 Depth=1
	s_or_b64 exec, exec, s[8:9]
	v_and_b32_e32 v40, 0xffff0000, v25
	v_lshlrev_b32_e32 v5, 16, v5
	v_mul_f32_e32 v5, v40, v5
	v_and_b32_e32 v25, 0x7f800000, v5
	v_cmp_ne_u32_e64 s[0:1], s13, v25
                                        ; implicit-def: $vgpr25
	s_and_saveexec_b64 s[8:9], s[0:1]
	s_xor_b64 s[0:1], exec, s[8:9]
; %bb.230:                              ;   in Loop: Header=BB346_139 Depth=1
	v_bfe_u32 v25, v5, 16, 1
	v_add3_u32 v25, v5, v25, s14
                                        ; implicit-def: $vgpr5
; %bb.231:                              ;   in Loop: Header=BB346_139 Depth=1
	s_andn2_saveexec_b64 s[8:9], s[0:1]
; %bb.232:                              ;   in Loop: Header=BB346_139 Depth=1
	v_or_b32_e32 v25, 0x10000, v5
	v_cmp_eq_u32_sdwa s[0:1], v5, v15 src0_sel:WORD_0 src1_sel:DWORD
	s_nop 1
	v_cndmask_b32_e64 v25, v25, v5, s[0:1]
; %bb.233:                              ;   in Loop: Header=BB346_139 Depth=1
	s_or_b64 exec, exec, s[8:9]
	v_and_b32_e32 v41, 0xffff0000, v33
	v_lshlrev_b32_e32 v4, 16, v4
	v_mul_f32_e32 v4, v41, v4
	v_and_b32_e32 v5, 0x7f800000, v4
	v_cmp_ne_u32_e64 s[0:1], s13, v5
                                        ; implicit-def: $vgpr33
	s_and_saveexec_b64 s[8:9], s[0:1]
	s_xor_b64 s[0:1], exec, s[8:9]
; %bb.234:                              ;   in Loop: Header=BB346_139 Depth=1
	v_bfe_u32 v5, v4, 16, 1
	v_add3_u32 v33, v4, v5, s14
                                        ; implicit-def: $vgpr4
; %bb.235:                              ;   in Loop: Header=BB346_139 Depth=1
	s_andn2_saveexec_b64 s[8:9], s[0:1]
; %bb.236:                              ;   in Loop: Header=BB346_139 Depth=1
	v_or_b32_e32 v5, 0x10000, v4
	v_cmp_eq_u32_sdwa s[0:1], v4, v15 src0_sel:WORD_0 src1_sel:DWORD
	s_nop 1
	v_cndmask_b32_e64 v33, v5, v4, s[0:1]
; %bb.237:                              ;   in Loop: Header=BB346_139 Depth=1
	s_or_b64 exec, exec, s[8:9]
	global_load_dwordx2 v[4:5], v[2:3], off offset:512
	s_waitcnt vmcnt(0)
	v_and_b32_e32 v42, 0xff, v4
	v_cvt_f32_fp8_sdwa v42, v42 src0_sel:BYTE_0
	s_nop 0
	v_mul_f32_e32 v43, s10, v42
	v_and_b32_e32 v42, 0x7f800000, v43
	v_cmp_ne_u32_e64 s[0:1], s13, v42
                                        ; implicit-def: $vgpr42
	s_and_saveexec_b64 s[8:9], s[0:1]
	s_xor_b64 s[0:1], exec, s[8:9]
; %bb.238:                              ;   in Loop: Header=BB346_139 Depth=1
	v_bfe_u32 v42, v43, 16, 1
	v_add3_u32 v42, v43, v42, s14
                                        ; implicit-def: $vgpr43
; %bb.239:                              ;   in Loop: Header=BB346_139 Depth=1
	s_andn2_saveexec_b64 s[8:9], s[0:1]
; %bb.240:                              ;   in Loop: Header=BB346_139 Depth=1
	v_or_b32_e32 v42, 0x10000, v43
	v_cmp_eq_u32_sdwa s[0:1], v43, v15 src0_sel:WORD_0 src1_sel:DWORD
	s_nop 1
	v_cndmask_b32_e64 v42, v42, v43, s[0:1]
; %bb.241:                              ;   in Loop: Header=BB346_139 Depth=1
	s_or_b64 exec, exec, s[8:9]
	v_bfe_u32 v43, v4, 8, 8
	v_cvt_f32_fp8_sdwa v43, v43 src0_sel:BYTE_0
	s_nop 0
	v_mul_f32_e32 v44, s10, v43
	v_and_b32_e32 v43, 0x7f800000, v44
	v_cmp_ne_u32_e64 s[0:1], s13, v43
                                        ; implicit-def: $vgpr43
	s_and_saveexec_b64 s[8:9], s[0:1]
	s_xor_b64 s[0:1], exec, s[8:9]
; %bb.242:                              ;   in Loop: Header=BB346_139 Depth=1
	v_bfe_u32 v43, v44, 16, 1
	v_add3_u32 v43, v44, v43, s14
                                        ; implicit-def: $vgpr44
; %bb.243:                              ;   in Loop: Header=BB346_139 Depth=1
	s_andn2_saveexec_b64 s[8:9], s[0:1]
; %bb.244:                              ;   in Loop: Header=BB346_139 Depth=1
	v_or_b32_e32 v43, 0x10000, v44
	v_cmp_eq_u32_sdwa s[0:1], v44, v15 src0_sel:WORD_0 src1_sel:DWORD
	s_nop 1
	v_cndmask_b32_e64 v43, v43, v44, s[0:1]
; %bb.245:                              ;   in Loop: Header=BB346_139 Depth=1
	s_or_b64 exec, exec, s[8:9]
	v_bfe_u32 v44, v4, 16, 8
	v_cvt_f32_fp8_sdwa v44, v44 src0_sel:BYTE_0
	s_nop 0
	v_mul_f32_e32 v45, s10, v44
	v_and_b32_e32 v44, 0x7f800000, v45
	v_cmp_ne_u32_e64 s[0:1], s13, v44
                                        ; implicit-def: $vgpr44
	s_and_saveexec_b64 s[8:9], s[0:1]
	s_xor_b64 s[0:1], exec, s[8:9]
; %bb.246:                              ;   in Loop: Header=BB346_139 Depth=1
	v_bfe_u32 v44, v45, 16, 1
	v_add3_u32 v44, v45, v44, s14
                                        ; implicit-def: $vgpr45
; %bb.247:                              ;   in Loop: Header=BB346_139 Depth=1
	s_andn2_saveexec_b64 s[8:9], s[0:1]
; %bb.248:                              ;   in Loop: Header=BB346_139 Depth=1
	v_or_b32_e32 v44, 0x10000, v45
	v_cmp_eq_u32_sdwa s[0:1], v45, v15 src0_sel:WORD_0 src1_sel:DWORD
	s_nop 1
	v_cndmask_b32_e64 v44, v44, v45, s[0:1]
; %bb.249:                              ;   in Loop: Header=BB346_139 Depth=1
	s_or_b64 exec, exec, s[8:9]
	v_lshrrev_b32_e32 v4, 24, v4
	v_cvt_f32_fp8_sdwa v4, v4 src0_sel:BYTE_0
	s_nop 0
	v_mul_f32_e32 v45, s10, v4
	v_and_b32_e32 v4, 0x7f800000, v45
	v_cmp_ne_u32_e64 s[0:1], s13, v4
                                        ; implicit-def: $vgpr4
	s_and_saveexec_b64 s[8:9], s[0:1]
	s_xor_b64 s[0:1], exec, s[8:9]
; %bb.250:                              ;   in Loop: Header=BB346_139 Depth=1
	v_bfe_u32 v4, v45, 16, 1
	v_add3_u32 v4, v45, v4, s14
                                        ; implicit-def: $vgpr45
; %bb.251:                              ;   in Loop: Header=BB346_139 Depth=1
	s_andn2_saveexec_b64 s[8:9], s[0:1]
; %bb.252:                              ;   in Loop: Header=BB346_139 Depth=1
	v_or_b32_e32 v4, 0x10000, v45
	v_cmp_eq_u32_sdwa s[0:1], v45, v15 src0_sel:WORD_0 src1_sel:DWORD
	s_nop 1
	v_cndmask_b32_e64 v4, v4, v45, s[0:1]
; %bb.253:                              ;   in Loop: Header=BB346_139 Depth=1
	s_or_b64 exec, exec, s[8:9]
	v_and_b32_e32 v45, 0xff, v5
	v_cvt_f32_fp8_sdwa v45, v45 src0_sel:BYTE_0
	s_nop 0
	v_mul_f32_e32 v45, s10, v45
	v_and_b32_e32 v46, 0x7f800000, v45
	v_cmp_ne_u32_e64 s[0:1], s13, v46
                                        ; implicit-def: $vgpr46
	s_and_saveexec_b64 s[8:9], s[0:1]
	s_xor_b64 s[0:1], exec, s[8:9]
; %bb.254:                              ;   in Loop: Header=BB346_139 Depth=1
	v_bfe_u32 v46, v45, 16, 1
	v_add3_u32 v46, v45, v46, s14
                                        ; implicit-def: $vgpr45
; %bb.255:                              ;   in Loop: Header=BB346_139 Depth=1
	s_andn2_saveexec_b64 s[8:9], s[0:1]
; %bb.256:                              ;   in Loop: Header=BB346_139 Depth=1
	v_or_b32_e32 v46, 0x10000, v45
	v_cmp_eq_u32_sdwa s[0:1], v45, v15 src0_sel:WORD_0 src1_sel:DWORD
	s_nop 1
	v_cndmask_b32_e64 v46, v46, v45, s[0:1]
; %bb.257:                              ;   in Loop: Header=BB346_139 Depth=1
	s_or_b64 exec, exec, s[8:9]
	v_bfe_u32 v45, v5, 8, 8
	v_cvt_f32_fp8_sdwa v45, v45 src0_sel:BYTE_0
	s_nop 0
	v_mul_f32_e32 v47, s10, v45
	v_and_b32_e32 v45, 0x7f800000, v47
	v_cmp_ne_u32_e64 s[0:1], s13, v45
                                        ; implicit-def: $vgpr45
	s_and_saveexec_b64 s[8:9], s[0:1]
	s_xor_b64 s[0:1], exec, s[8:9]
; %bb.258:                              ;   in Loop: Header=BB346_139 Depth=1
	v_bfe_u32 v45, v47, 16, 1
	v_add3_u32 v45, v47, v45, s14
                                        ; implicit-def: $vgpr47
; %bb.259:                              ;   in Loop: Header=BB346_139 Depth=1
	s_andn2_saveexec_b64 s[8:9], s[0:1]
; %bb.260:                              ;   in Loop: Header=BB346_139 Depth=1
	v_or_b32_e32 v45, 0x10000, v47
	v_cmp_eq_u32_sdwa s[0:1], v47, v15 src0_sel:WORD_0 src1_sel:DWORD
	s_nop 1
	v_cndmask_b32_e64 v45, v45, v47, s[0:1]
; %bb.261:                              ;   in Loop: Header=BB346_139 Depth=1
	s_or_b64 exec, exec, s[8:9]
	v_bfe_u32 v47, v5, 16, 8
	v_cvt_f32_fp8_sdwa v47, v47 src0_sel:BYTE_0
	s_nop 0
	v_mul_f32_e32 v48, s10, v47
	v_and_b32_e32 v47, 0x7f800000, v48
	v_cmp_ne_u32_e64 s[0:1], s13, v47
                                        ; implicit-def: $vgpr47
	s_and_saveexec_b64 s[8:9], s[0:1]
	s_xor_b64 s[0:1], exec, s[8:9]
; %bb.262:                              ;   in Loop: Header=BB346_139 Depth=1
	v_bfe_u32 v47, v48, 16, 1
	v_add3_u32 v47, v48, v47, s14
                                        ; implicit-def: $vgpr48
; %bb.263:                              ;   in Loop: Header=BB346_139 Depth=1
	s_andn2_saveexec_b64 s[8:9], s[0:1]
; %bb.264:                              ;   in Loop: Header=BB346_139 Depth=1
	v_or_b32_e32 v47, 0x10000, v48
	v_cmp_eq_u32_sdwa s[0:1], v48, v15 src0_sel:WORD_0 src1_sel:DWORD
	s_nop 1
	v_cndmask_b32_e64 v47, v47, v48, s[0:1]
; %bb.265:                              ;   in Loop: Header=BB346_139 Depth=1
	s_or_b64 exec, exec, s[8:9]
	v_lshrrev_b32_e32 v5, 24, v5
	v_cvt_f32_fp8_sdwa v5, v5 src0_sel:BYTE_0
                                        ; implicit-def: $vgpr50
	s_nop 0
	v_mul_f32_e32 v5, s10, v5
	v_and_b32_e32 v48, 0x7f800000, v5
	v_cmp_ne_u32_e64 s[0:1], s13, v48
	s_and_saveexec_b64 s[8:9], s[0:1]
	s_xor_b64 s[0:1], exec, s[8:9]
; %bb.266:                              ;   in Loop: Header=BB346_139 Depth=1
	v_bfe_u32 v48, v5, 16, 1
	v_add3_u32 v50, v5, v48, s14
                                        ; implicit-def: $vgpr5
; %bb.267:                              ;   in Loop: Header=BB346_139 Depth=1
	s_andn2_saveexec_b64 s[8:9], s[0:1]
; %bb.268:                              ;   in Loop: Header=BB346_139 Depth=1
	v_or_b32_e32 v48, 0x10000, v5
	v_cmp_eq_u32_sdwa s[0:1], v5, v15 src0_sel:WORD_0 src1_sel:DWORD
	s_nop 1
	v_cndmask_b32_e64 v50, v48, v5, s[0:1]
; %bb.269:                              ;   in Loop: Header=BB346_139 Depth=1
	s_or_b64 exec, exec, s[8:9]
	v_lshrrev_b32_e32 v45, 16, v45
	v_lshrrev_b32_e32 v48, 16, v46
	;; [unrolled: 1-line block ×8, first 2 shown]
	s_and_saveexec_b64 s[8:9], vcc
	s_cbranch_execz .LBB346_271
; %bb.270:                              ;   in Loop: Header=BB346_139 Depth=1
	v_cmp_gt_i32_e64 s[0:1], s33, v26
	s_nop 1
	v_cndmask_b32_e64 v4, 0, v4, s[0:1]
	v_cmp_gt_i32_e64 s[0:1], s33, v32
	s_nop 1
	v_cndmask_b32_e64 v5, 0, v5, s[0:1]
	;; [unrolled: 3-line block ×8, first 2 shown]
.LBB346_271:                            ;   in Loop: Header=BB346_139 Depth=1
	s_or_b64 exec, exec, s[8:9]
	v_lshlrev_b32_e32 v4, 16, v4
	v_mul_f32_e32 v42, v34, v4
	v_and_b32_e32 v4, 0x7f800000, v42
	v_cmp_ne_u32_e64 s[0:1], s13, v4
                                        ; implicit-def: $vgpr4
	s_and_saveexec_b64 s[8:9], s[0:1]
	s_xor_b64 s[0:1], exec, s[8:9]
; %bb.272:                              ;   in Loop: Header=BB346_139 Depth=1
	v_bfe_u32 v4, v42, 16, 1
	v_add3_u32 v4, v42, v4, s14
                                        ; implicit-def: $vgpr42
; %bb.273:                              ;   in Loop: Header=BB346_139 Depth=1
	s_andn2_saveexec_b64 s[8:9], s[0:1]
; %bb.274:                              ;   in Loop: Header=BB346_139 Depth=1
	v_or_b32_e32 v4, 0x10000, v42
	v_cmp_eq_u32_sdwa s[0:1], v42, v15 src0_sel:WORD_0 src1_sel:DWORD
	s_nop 1
	v_cndmask_b32_e64 v4, v4, v42, s[0:1]
; %bb.275:                              ;   in Loop: Header=BB346_139 Depth=1
	s_or_b64 exec, exec, s[8:9]
	v_lshlrev_b32_e32 v5, 16, v5
	v_mul_f32_e32 v42, v35, v5
	v_and_b32_e32 v5, 0x7f800000, v42
	v_cmp_ne_u32_e64 s[0:1], s13, v5
                                        ; implicit-def: $vgpr5
	s_and_saveexec_b64 s[8:9], s[0:1]
	s_xor_b64 s[0:1], exec, s[8:9]
; %bb.276:                              ;   in Loop: Header=BB346_139 Depth=1
	v_bfe_u32 v5, v42, 16, 1
	v_add3_u32 v5, v42, v5, s14
                                        ; implicit-def: $vgpr42
; %bb.277:                              ;   in Loop: Header=BB346_139 Depth=1
	s_andn2_saveexec_b64 s[8:9], s[0:1]
; %bb.278:                              ;   in Loop: Header=BB346_139 Depth=1
	v_or_b32_e32 v5, 0x10000, v42
	v_cmp_eq_u32_sdwa s[0:1], v42, v15 src0_sel:WORD_0 src1_sel:DWORD
	s_nop 1
	v_cndmask_b32_e64 v5, v5, v42, s[0:1]
; %bb.279:                              ;   in Loop: Header=BB346_139 Depth=1
	s_or_b64 exec, exec, s[8:9]
	v_lshlrev_b32_e32 v42, 16, v44
	v_mul_f32_e32 v43, v36, v42
	v_and_b32_e32 v42, 0x7f800000, v43
	v_cmp_ne_u32_e64 s[0:1], s13, v42
                                        ; implicit-def: $vgpr42
	s_and_saveexec_b64 s[8:9], s[0:1]
	s_xor_b64 s[0:1], exec, s[8:9]
; %bb.280:                              ;   in Loop: Header=BB346_139 Depth=1
	v_bfe_u32 v42, v43, 16, 1
	v_add3_u32 v42, v43, v42, s14
                                        ; implicit-def: $vgpr43
; %bb.281:                              ;   in Loop: Header=BB346_139 Depth=1
	s_andn2_saveexec_b64 s[8:9], s[0:1]
; %bb.282:                              ;   in Loop: Header=BB346_139 Depth=1
	v_or_b32_e32 v42, 0x10000, v43
	v_cmp_eq_u32_sdwa s[0:1], v43, v15 src0_sel:WORD_0 src1_sel:DWORD
	s_nop 1
	v_cndmask_b32_e64 v42, v42, v43, s[0:1]
; %bb.283:                              ;   in Loop: Header=BB346_139 Depth=1
	s_or_b64 exec, exec, s[8:9]
	v_lshlrev_b32_e32 v43, 16, v49
	v_mul_f32_e32 v44, v37, v43
	v_and_b32_e32 v43, 0x7f800000, v44
	v_cmp_ne_u32_e64 s[0:1], s13, v43
                                        ; implicit-def: $vgpr43
	s_and_saveexec_b64 s[8:9], s[0:1]
	s_xor_b64 s[0:1], exec, s[8:9]
; %bb.284:                              ;   in Loop: Header=BB346_139 Depth=1
	v_bfe_u32 v43, v44, 16, 1
	v_add3_u32 v43, v44, v43, s14
                                        ; implicit-def: $vgpr44
; %bb.285:                              ;   in Loop: Header=BB346_139 Depth=1
	s_andn2_saveexec_b64 s[8:9], s[0:1]
; %bb.286:                              ;   in Loop: Header=BB346_139 Depth=1
	v_or_b32_e32 v43, 0x10000, v44
	v_cmp_eq_u32_sdwa s[0:1], v44, v15 src0_sel:WORD_0 src1_sel:DWORD
	s_nop 1
	v_cndmask_b32_e64 v43, v43, v44, s[0:1]
; %bb.287:                              ;   in Loop: Header=BB346_139 Depth=1
	s_or_b64 exec, exec, s[8:9]
	v_lshlrev_b32_e32 v44, 16, v48
	v_mul_f32_e32 v48, v38, v44
	v_and_b32_e32 v44, 0x7f800000, v48
	v_cmp_ne_u32_e64 s[0:1], s13, v44
                                        ; implicit-def: $vgpr44
	s_and_saveexec_b64 s[8:9], s[0:1]
	s_xor_b64 s[0:1], exec, s[8:9]
; %bb.288:                              ;   in Loop: Header=BB346_139 Depth=1
	v_bfe_u32 v44, v48, 16, 1
	v_add3_u32 v44, v48, v44, s14
                                        ; implicit-def: $vgpr48
; %bb.289:                              ;   in Loop: Header=BB346_139 Depth=1
	s_andn2_saveexec_b64 s[8:9], s[0:1]
; %bb.290:                              ;   in Loop: Header=BB346_139 Depth=1
	v_or_b32_e32 v44, 0x10000, v48
	v_cmp_eq_u32_sdwa s[0:1], v48, v15 src0_sel:WORD_0 src1_sel:DWORD
	s_nop 1
	v_cndmask_b32_e64 v44, v44, v48, s[0:1]
; %bb.291:                              ;   in Loop: Header=BB346_139 Depth=1
	s_or_b64 exec, exec, s[8:9]
	v_lshlrev_b32_e32 v45, 16, v45
	v_mul_f32_e32 v48, v39, v45
	v_and_b32_e32 v45, 0x7f800000, v48
	v_cmp_ne_u32_e64 s[0:1], s13, v45
                                        ; implicit-def: $vgpr45
	s_and_saveexec_b64 s[8:9], s[0:1]
	s_xor_b64 s[0:1], exec, s[8:9]
; %bb.292:                              ;   in Loop: Header=BB346_139 Depth=1
	v_bfe_u32 v45, v48, 16, 1
	v_add3_u32 v45, v48, v45, s14
                                        ; implicit-def: $vgpr48
; %bb.293:                              ;   in Loop: Header=BB346_139 Depth=1
	s_andn2_saveexec_b64 s[8:9], s[0:1]
; %bb.294:                              ;   in Loop: Header=BB346_139 Depth=1
	v_or_b32_e32 v45, 0x10000, v48
	v_cmp_eq_u32_sdwa s[0:1], v48, v15 src0_sel:WORD_0 src1_sel:DWORD
	s_nop 1
	v_cndmask_b32_e64 v45, v45, v48, s[0:1]
; %bb.295:                              ;   in Loop: Header=BB346_139 Depth=1
	s_or_b64 exec, exec, s[8:9]
	v_lshlrev_b32_e32 v46, 16, v46
	v_mul_f32_e32 v48, v40, v46
	v_and_b32_e32 v46, 0x7f800000, v48
	v_cmp_ne_u32_e64 s[0:1], s13, v46
                                        ; implicit-def: $vgpr46
	s_and_saveexec_b64 s[8:9], s[0:1]
	s_xor_b64 s[0:1], exec, s[8:9]
; %bb.296:                              ;   in Loop: Header=BB346_139 Depth=1
	v_bfe_u32 v46, v48, 16, 1
	v_add3_u32 v46, v48, v46, s14
                                        ; implicit-def: $vgpr48
; %bb.297:                              ;   in Loop: Header=BB346_139 Depth=1
	s_andn2_saveexec_b64 s[8:9], s[0:1]
; %bb.298:                              ;   in Loop: Header=BB346_139 Depth=1
	v_or_b32_e32 v46, 0x10000, v48
	v_cmp_eq_u32_sdwa s[0:1], v48, v15 src0_sel:WORD_0 src1_sel:DWORD
	s_nop 1
	v_cndmask_b32_e64 v46, v46, v48, s[0:1]
; %bb.299:                              ;   in Loop: Header=BB346_139 Depth=1
	s_or_b64 exec, exec, s[8:9]
	v_lshlrev_b32_e32 v47, 16, v47
	v_mul_f32_e32 v48, v41, v47
	v_and_b32_e32 v47, 0x7f800000, v48
	v_cmp_ne_u32_e64 s[0:1], s13, v47
                                        ; implicit-def: $vgpr47
	s_and_saveexec_b64 s[8:9], s[0:1]
	s_xor_b64 s[0:1], exec, s[8:9]
; %bb.300:                              ;   in Loop: Header=BB346_139 Depth=1
	v_bfe_u32 v47, v48, 16, 1
	v_add3_u32 v47, v48, v47, s14
                                        ; implicit-def: $vgpr48
; %bb.301:                              ;   in Loop: Header=BB346_139 Depth=1
	s_andn2_saveexec_b64 s[8:9], s[0:1]
; %bb.302:                              ;   in Loop: Header=BB346_139 Depth=1
	v_or_b32_e32 v47, 0x10000, v48
	v_cmp_eq_u32_sdwa s[0:1], v48, v15 src0_sel:WORD_0 src1_sel:DWORD
	s_nop 1
	v_cndmask_b32_e64 v47, v47, v48, s[0:1]
; %bb.303:                              ;   in Loop: Header=BB346_139 Depth=1
	s_or_b64 exec, exec, s[8:9]
	global_load_dwordx2 v[2:3], v[2:3], off offset:1024
	s_waitcnt vmcnt(0)
	v_and_b32_e32 v48, 0xff, v2
	v_cvt_f32_fp8_sdwa v48, v48 src0_sel:BYTE_0
	s_nop 0
	v_mul_f32_e32 v49, s10, v48
	v_and_b32_e32 v48, 0x7f800000, v49
	v_cmp_ne_u32_e64 s[0:1], s13, v48
                                        ; implicit-def: $vgpr48
	s_and_saveexec_b64 s[8:9], s[0:1]
	s_xor_b64 s[0:1], exec, s[8:9]
; %bb.304:                              ;   in Loop: Header=BB346_139 Depth=1
	v_bfe_u32 v48, v49, 16, 1
	v_add3_u32 v48, v49, v48, s14
                                        ; implicit-def: $vgpr49
; %bb.305:                              ;   in Loop: Header=BB346_139 Depth=1
	s_andn2_saveexec_b64 s[8:9], s[0:1]
; %bb.306:                              ;   in Loop: Header=BB346_139 Depth=1
	v_or_b32_e32 v48, 0x10000, v49
	v_cmp_eq_u32_sdwa s[0:1], v49, v15 src0_sel:WORD_0 src1_sel:DWORD
	s_nop 1
	v_cndmask_b32_e64 v48, v48, v49, s[0:1]
; %bb.307:                              ;   in Loop: Header=BB346_139 Depth=1
	s_or_b64 exec, exec, s[8:9]
	v_bfe_u32 v49, v2, 8, 8
	v_cvt_f32_fp8_sdwa v49, v49 src0_sel:BYTE_0
	s_nop 0
	v_mul_f32_e32 v50, s10, v49
	v_and_b32_e32 v49, 0x7f800000, v50
	v_cmp_ne_u32_e64 s[0:1], s13, v49
                                        ; implicit-def: $vgpr49
	s_and_saveexec_b64 s[8:9], s[0:1]
	s_xor_b64 s[0:1], exec, s[8:9]
; %bb.308:                              ;   in Loop: Header=BB346_139 Depth=1
	v_bfe_u32 v49, v50, 16, 1
	v_add3_u32 v49, v50, v49, s14
                                        ; implicit-def: $vgpr50
; %bb.309:                              ;   in Loop: Header=BB346_139 Depth=1
	s_andn2_saveexec_b64 s[8:9], s[0:1]
; %bb.310:                              ;   in Loop: Header=BB346_139 Depth=1
	v_or_b32_e32 v49, 0x10000, v50
	v_cmp_eq_u32_sdwa s[0:1], v50, v15 src0_sel:WORD_0 src1_sel:DWORD
	s_nop 1
	v_cndmask_b32_e64 v49, v49, v50, s[0:1]
; %bb.311:                              ;   in Loop: Header=BB346_139 Depth=1
	s_or_b64 exec, exec, s[8:9]
	v_bfe_u32 v50, v2, 16, 8
	v_cvt_f32_fp8_sdwa v50, v50 src0_sel:BYTE_0
	s_nop 0
	v_mul_f32_e32 v50, s10, v50
	v_and_b32_e32 v51, 0x7f800000, v50
	v_cmp_ne_u32_e64 s[0:1], s13, v51
                                        ; implicit-def: $vgpr51
	s_and_saveexec_b64 s[8:9], s[0:1]
	s_xor_b64 s[0:1], exec, s[8:9]
; %bb.312:                              ;   in Loop: Header=BB346_139 Depth=1
	v_bfe_u32 v51, v50, 16, 1
	v_add3_u32 v51, v50, v51, s14
                                        ; implicit-def: $vgpr50
; %bb.313:                              ;   in Loop: Header=BB346_139 Depth=1
	s_andn2_saveexec_b64 s[8:9], s[0:1]
; %bb.314:                              ;   in Loop: Header=BB346_139 Depth=1
	v_or_b32_e32 v51, 0x10000, v50
	v_cmp_eq_u32_sdwa s[0:1], v50, v15 src0_sel:WORD_0 src1_sel:DWORD
	s_nop 1
	v_cndmask_b32_e64 v51, v51, v50, s[0:1]
; %bb.315:                              ;   in Loop: Header=BB346_139 Depth=1
	s_or_b64 exec, exec, s[8:9]
	v_lshrrev_b32_e32 v2, 24, v2
	v_cvt_f32_fp8_sdwa v2, v2 src0_sel:BYTE_0
	s_nop 0
	v_mul_f32_e32 v50, s10, v2
	v_and_b32_e32 v2, 0x7f800000, v50
	v_cmp_ne_u32_e64 s[0:1], s13, v2
                                        ; implicit-def: $vgpr2
	s_and_saveexec_b64 s[8:9], s[0:1]
	s_xor_b64 s[0:1], exec, s[8:9]
; %bb.316:                              ;   in Loop: Header=BB346_139 Depth=1
	v_bfe_u32 v2, v50, 16, 1
	v_add3_u32 v2, v50, v2, s14
                                        ; implicit-def: $vgpr50
; %bb.317:                              ;   in Loop: Header=BB346_139 Depth=1
	s_andn2_saveexec_b64 s[8:9], s[0:1]
; %bb.318:                              ;   in Loop: Header=BB346_139 Depth=1
	v_or_b32_e32 v2, 0x10000, v50
	v_cmp_eq_u32_sdwa s[0:1], v50, v15 src0_sel:WORD_0 src1_sel:DWORD
	s_nop 1
	v_cndmask_b32_e64 v2, v2, v50, s[0:1]
; %bb.319:                              ;   in Loop: Header=BB346_139 Depth=1
	s_or_b64 exec, exec, s[8:9]
	v_and_b32_e32 v50, 0xff, v3
	v_cvt_f32_fp8_sdwa v50, v50 src0_sel:BYTE_0
	s_nop 0
	v_mul_f32_e32 v50, s10, v50
	v_and_b32_e32 v52, 0x7f800000, v50
	v_cmp_ne_u32_e64 s[0:1], s13, v52
                                        ; implicit-def: $vgpr52
	s_and_saveexec_b64 s[8:9], s[0:1]
	s_xor_b64 s[0:1], exec, s[8:9]
; %bb.320:                              ;   in Loop: Header=BB346_139 Depth=1
	v_bfe_u32 v52, v50, 16, 1
	v_add3_u32 v52, v50, v52, s14
                                        ; implicit-def: $vgpr50
; %bb.321:                              ;   in Loop: Header=BB346_139 Depth=1
	s_andn2_saveexec_b64 s[8:9], s[0:1]
; %bb.322:                              ;   in Loop: Header=BB346_139 Depth=1
	v_or_b32_e32 v52, 0x10000, v50
	v_cmp_eq_u32_sdwa s[0:1], v50, v15 src0_sel:WORD_0 src1_sel:DWORD
	s_nop 1
	v_cndmask_b32_e64 v52, v52, v50, s[0:1]
; %bb.323:                              ;   in Loop: Header=BB346_139 Depth=1
	s_or_b64 exec, exec, s[8:9]
	v_bfe_u32 v50, v3, 8, 8
	v_cvt_f32_fp8_sdwa v50, v50 src0_sel:BYTE_0
	s_nop 0
	v_mul_f32_e32 v53, s10, v50
	v_and_b32_e32 v50, 0x7f800000, v53
	v_cmp_ne_u32_e64 s[0:1], s13, v50
                                        ; implicit-def: $vgpr50
	s_and_saveexec_b64 s[8:9], s[0:1]
	s_xor_b64 s[0:1], exec, s[8:9]
; %bb.324:                              ;   in Loop: Header=BB346_139 Depth=1
	v_bfe_u32 v50, v53, 16, 1
	v_add3_u32 v50, v53, v50, s14
                                        ; implicit-def: $vgpr53
; %bb.325:                              ;   in Loop: Header=BB346_139 Depth=1
	s_andn2_saveexec_b64 s[8:9], s[0:1]
; %bb.326:                              ;   in Loop: Header=BB346_139 Depth=1
	v_or_b32_e32 v50, 0x10000, v53
	v_cmp_eq_u32_sdwa s[0:1], v53, v15 src0_sel:WORD_0 src1_sel:DWORD
	s_nop 1
	v_cndmask_b32_e64 v50, v50, v53, s[0:1]
; %bb.327:                              ;   in Loop: Header=BB346_139 Depth=1
	s_or_b64 exec, exec, s[8:9]
	v_bfe_u32 v53, v3, 16, 8
	v_cvt_f32_fp8_sdwa v53, v53 src0_sel:BYTE_0
	s_nop 0
	v_mul_f32_e32 v53, s10, v53
	v_and_b32_e32 v54, 0x7f800000, v53
	v_cmp_ne_u32_e64 s[0:1], s13, v54
                                        ; implicit-def: $vgpr54
	s_and_saveexec_b64 s[8:9], s[0:1]
	s_xor_b64 s[0:1], exec, s[8:9]
; %bb.328:                              ;   in Loop: Header=BB346_139 Depth=1
	v_bfe_u32 v54, v53, 16, 1
	v_add3_u32 v54, v53, v54, s14
                                        ; implicit-def: $vgpr53
; %bb.329:                              ;   in Loop: Header=BB346_139 Depth=1
	s_andn2_saveexec_b64 s[8:9], s[0:1]
; %bb.330:                              ;   in Loop: Header=BB346_139 Depth=1
	v_or_b32_e32 v54, 0x10000, v53
	v_cmp_eq_u32_sdwa s[0:1], v53, v15 src0_sel:WORD_0 src1_sel:DWORD
	s_nop 1
	v_cndmask_b32_e64 v54, v54, v53, s[0:1]
; %bb.331:                              ;   in Loop: Header=BB346_139 Depth=1
	s_or_b64 exec, exec, s[8:9]
	v_lshrrev_b32_e32 v3, 24, v3
	v_cvt_f32_fp8_sdwa v3, v3 src0_sel:BYTE_0
	s_nop 0
	v_mul_f32_e32 v53, s10, v3
	v_and_b32_e32 v3, 0x7f800000, v53
	v_cmp_ne_u32_e64 s[0:1], s13, v3
                                        ; implicit-def: $vgpr3
	s_and_saveexec_b64 s[8:9], s[0:1]
	s_xor_b64 s[0:1], exec, s[8:9]
; %bb.332:                              ;   in Loop: Header=BB346_139 Depth=1
	v_bfe_u32 v3, v53, 16, 1
	v_add3_u32 v3, v53, v3, s14
                                        ; implicit-def: $vgpr53
; %bb.333:                              ;   in Loop: Header=BB346_139 Depth=1
	s_andn2_saveexec_b64 s[8:9], s[0:1]
; %bb.334:                              ;   in Loop: Header=BB346_139 Depth=1
	v_or_b32_e32 v3, 0x10000, v53
	v_cmp_eq_u32_sdwa s[0:1], v53, v15 src0_sel:WORD_0 src1_sel:DWORD
	s_nop 1
	v_cndmask_b32_e64 v3, v3, v53, s[0:1]
; %bb.335:                              ;   in Loop: Header=BB346_139 Depth=1
	s_or_b64 exec, exec, s[8:9]
	v_lshrrev_b32_e32 v50, 16, v50
	v_lshrrev_b32_e32 v52, 16, v52
	v_lshrrev_b32_e32 v53, 16, v2
	v_lshrrev_b32_e32 v51, 16, v51
	v_lshrrev_b32_e32 v49, 16, v49
	v_lshrrev_b32_e32 v2, 16, v48
	v_lshrrev_b32_e32 v48, 16, v54
	v_lshrrev_b32_e32 v3, 16, v3
	s_and_saveexec_b64 s[0:1], vcc
	s_cbranch_execz .LBB346_337
; %bb.336:                              ;   in Loop: Header=BB346_139 Depth=1
	v_cmp_gt_i32_e32 vcc, s33, v26
	s_nop 1
	v_cndmask_b32_e32 v2, 0, v2, vcc
	v_cmp_gt_i32_e32 vcc, s33, v32
	s_nop 1
	v_cndmask_b32_e32 v49, 0, v49, vcc
	;; [unrolled: 3-line block ×8, first 2 shown]
.LBB346_337:                            ;   in Loop: Header=BB346_139 Depth=1
	s_or_b64 exec, exec, s[0:1]
	v_lshlrev_b32_e32 v2, 16, v2
	v_mul_f32_e32 v26, v34, v2
	v_and_b32_e32 v2, 0x7f800000, v26
	v_cmp_ne_u32_e32 vcc, s13, v2
                                        ; implicit-def: $vgpr2
	s_and_saveexec_b64 s[0:1], vcc
	s_xor_b64 s[0:1], exec, s[0:1]
; %bb.338:                              ;   in Loop: Header=BB346_139 Depth=1
	v_bfe_u32 v2, v26, 16, 1
	v_add3_u32 v2, v26, v2, s14
                                        ; implicit-def: $vgpr26
; %bb.339:                              ;   in Loop: Header=BB346_139 Depth=1
	s_andn2_saveexec_b64 s[0:1], s[0:1]
; %bb.340:                              ;   in Loop: Header=BB346_139 Depth=1
	v_or_b32_e32 v2, 0x10000, v26
	v_cmp_eq_u32_sdwa vcc, v26, v15 src0_sel:WORD_0 src1_sel:DWORD
	s_nop 1
	v_cndmask_b32_e32 v2, v2, v26, vcc
; %bb.341:                              ;   in Loop: Header=BB346_139 Depth=1
	s_or_b64 exec, exec, s[0:1]
	v_lshlrev_b32_e32 v26, 16, v49
	v_mul_f32_e32 v27, v35, v26
	v_and_b32_e32 v26, 0x7f800000, v27
	v_cmp_ne_u32_e32 vcc, s13, v26
                                        ; implicit-def: $vgpr26
	s_and_saveexec_b64 s[0:1], vcc
	s_xor_b64 s[0:1], exec, s[0:1]
; %bb.342:                              ;   in Loop: Header=BB346_139 Depth=1
	v_bfe_u32 v26, v27, 16, 1
	v_add3_u32 v26, v27, v26, s14
                                        ; implicit-def: $vgpr27
; %bb.343:                              ;   in Loop: Header=BB346_139 Depth=1
	s_andn2_saveexec_b64 s[0:1], s[0:1]
; %bb.344:                              ;   in Loop: Header=BB346_139 Depth=1
	v_or_b32_e32 v26, 0x10000, v27
	v_cmp_eq_u32_sdwa vcc, v27, v15 src0_sel:WORD_0 src1_sel:DWORD
	s_nop 1
	v_cndmask_b32_e32 v26, v26, v27, vcc
; %bb.345:                              ;   in Loop: Header=BB346_139 Depth=1
	s_or_b64 exec, exec, s[0:1]
	v_lshlrev_b32_e32 v27, 16, v51
	v_mul_f32_e32 v28, v36, v27
	v_and_b32_e32 v27, 0x7f800000, v28
	v_cmp_ne_u32_e32 vcc, s13, v27
                                        ; implicit-def: $vgpr27
	s_and_saveexec_b64 s[0:1], vcc
	s_xor_b64 s[0:1], exec, s[0:1]
; %bb.346:                              ;   in Loop: Header=BB346_139 Depth=1
	v_bfe_u32 v27, v28, 16, 1
	v_add3_u32 v27, v28, v27, s14
                                        ; implicit-def: $vgpr28
; %bb.347:                              ;   in Loop: Header=BB346_139 Depth=1
	s_andn2_saveexec_b64 s[0:1], s[0:1]
; %bb.348:                              ;   in Loop: Header=BB346_139 Depth=1
	v_or_b32_e32 v27, 0x10000, v28
	v_cmp_eq_u32_sdwa vcc, v28, v15 src0_sel:WORD_0 src1_sel:DWORD
	s_nop 1
	v_cndmask_b32_e32 v27, v27, v28, vcc
; %bb.349:                              ;   in Loop: Header=BB346_139 Depth=1
	s_or_b64 exec, exec, s[0:1]
	v_lshlrev_b32_e32 v28, 16, v53
	v_mul_f32_e32 v29, v37, v28
	v_and_b32_e32 v28, 0x7f800000, v29
	v_cmp_ne_u32_e32 vcc, s13, v28
                                        ; implicit-def: $vgpr28
	s_and_saveexec_b64 s[0:1], vcc
	s_xor_b64 s[0:1], exec, s[0:1]
; %bb.350:                              ;   in Loop: Header=BB346_139 Depth=1
	v_bfe_u32 v28, v29, 16, 1
	v_add3_u32 v28, v29, v28, s14
                                        ; implicit-def: $vgpr29
; %bb.351:                              ;   in Loop: Header=BB346_139 Depth=1
	s_andn2_saveexec_b64 s[0:1], s[0:1]
; %bb.352:                              ;   in Loop: Header=BB346_139 Depth=1
	v_or_b32_e32 v28, 0x10000, v29
	v_cmp_eq_u32_sdwa vcc, v29, v15 src0_sel:WORD_0 src1_sel:DWORD
	s_nop 1
	v_cndmask_b32_e32 v28, v28, v29, vcc
; %bb.353:                              ;   in Loop: Header=BB346_139 Depth=1
	s_or_b64 exec, exec, s[0:1]
	v_lshlrev_b32_e32 v29, 16, v52
	v_mul_f32_e32 v30, v38, v29
	v_and_b32_e32 v29, 0x7f800000, v30
	v_cmp_ne_u32_e32 vcc, s13, v29
                                        ; implicit-def: $vgpr29
	s_and_saveexec_b64 s[0:1], vcc
	s_xor_b64 s[0:1], exec, s[0:1]
; %bb.354:                              ;   in Loop: Header=BB346_139 Depth=1
	v_bfe_u32 v29, v30, 16, 1
	v_add3_u32 v29, v30, v29, s14
                                        ; implicit-def: $vgpr30
; %bb.355:                              ;   in Loop: Header=BB346_139 Depth=1
	s_andn2_saveexec_b64 s[0:1], s[0:1]
; %bb.356:                              ;   in Loop: Header=BB346_139 Depth=1
	v_or_b32_e32 v29, 0x10000, v30
	v_cmp_eq_u32_sdwa vcc, v30, v15 src0_sel:WORD_0 src1_sel:DWORD
	s_nop 1
	v_cndmask_b32_e32 v29, v29, v30, vcc
; %bb.357:                              ;   in Loop: Header=BB346_139 Depth=1
	s_or_b64 exec, exec, s[0:1]
	v_lshlrev_b32_e32 v30, 16, v50
	v_mul_f32_e32 v31, v39, v30
	v_and_b32_e32 v30, 0x7f800000, v31
	v_cmp_ne_u32_e32 vcc, s13, v30
                                        ; implicit-def: $vgpr30
	s_and_saveexec_b64 s[0:1], vcc
	s_xor_b64 s[0:1], exec, s[0:1]
; %bb.358:                              ;   in Loop: Header=BB346_139 Depth=1
	v_bfe_u32 v30, v31, 16, 1
	v_add3_u32 v30, v31, v30, s14
                                        ; implicit-def: $vgpr31
; %bb.359:                              ;   in Loop: Header=BB346_139 Depth=1
	s_andn2_saveexec_b64 s[0:1], s[0:1]
; %bb.360:                              ;   in Loop: Header=BB346_139 Depth=1
	v_or_b32_e32 v30, 0x10000, v31
	v_cmp_eq_u32_sdwa vcc, v31, v15 src0_sel:WORD_0 src1_sel:DWORD
	s_nop 1
	v_cndmask_b32_e32 v30, v30, v31, vcc
; %bb.361:                              ;   in Loop: Header=BB346_139 Depth=1
	s_or_b64 exec, exec, s[0:1]
	v_lshlrev_b32_e32 v31, 16, v48
	v_mul_f32_e32 v32, v40, v31
	v_and_b32_e32 v31, 0x7f800000, v32
	v_cmp_ne_u32_e32 vcc, s13, v31
                                        ; implicit-def: $vgpr31
	s_and_saveexec_b64 s[0:1], vcc
	s_xor_b64 s[0:1], exec, s[0:1]
; %bb.362:                              ;   in Loop: Header=BB346_139 Depth=1
	v_bfe_u32 v31, v32, 16, 1
	v_add3_u32 v31, v32, v31, s14
                                        ; implicit-def: $vgpr32
; %bb.363:                              ;   in Loop: Header=BB346_139 Depth=1
	s_andn2_saveexec_b64 s[0:1], s[0:1]
; %bb.364:                              ;   in Loop: Header=BB346_139 Depth=1
	v_or_b32_e32 v31, 0x10000, v32
	v_cmp_eq_u32_sdwa vcc, v32, v15 src0_sel:WORD_0 src1_sel:DWORD
	s_nop 1
	v_cndmask_b32_e32 v31, v31, v32, vcc
; %bb.365:                              ;   in Loop: Header=BB346_139 Depth=1
	s_or_b64 exec, exec, s[0:1]
	v_lshlrev_b32_e32 v3, 16, v3
	v_mul_f32_e32 v32, v41, v3
	v_and_b32_e32 v3, 0x7f800000, v32
	v_cmp_ne_u32_e32 vcc, s13, v3
                                        ; implicit-def: $vgpr3
	s_and_saveexec_b64 s[0:1], vcc
	s_xor_b64 s[0:1], exec, s[0:1]
; %bb.366:                              ;   in Loop: Header=BB346_139 Depth=1
	v_bfe_u32 v3, v32, 16, 1
	v_add3_u32 v3, v32, v3, s14
                                        ; implicit-def: $vgpr32
; %bb.367:                              ;   in Loop: Header=BB346_139 Depth=1
	s_andn2_saveexec_b64 s[0:1], s[0:1]
	s_cbranch_execz .LBB346_138
; %bb.368:                              ;   in Loop: Header=BB346_139 Depth=1
	v_or_b32_e32 v3, 0x10000, v32
	v_cmp_eq_u32_sdwa vcc, v32, v15 src0_sel:WORD_0 src1_sel:DWORD
	s_nop 1
	v_cndmask_b32_e32 v3, v3, v32, vcc
	s_branch .LBB346_138
.LBB346_369:
	s_or_b64 exec, exec, s[6:7]
.LBB346_370:
	s_or_b64 exec, exec, s[2:3]
	ds_bpermute_b32 v2, v20, v12
	ds_bpermute_b32 v3, v20, v13
	;; [unrolled: 1-line block ×3, first 2 shown]
	s_waitcnt lgkmcnt(0)
	s_barrier
	v_pk_add_f32 v[4:5], v[12:13], v[2:3]
	v_and_b32_e32 v3, 0x3c1, v0
	v_add_f32_e32 v2, v14, v6
	v_cmp_eq_u32_e32 vcc, 64, v3
	s_and_saveexec_b64 s[0:1], vcc
	s_cbranch_execz .LBB346_372
; %bb.371:
	v_mov_b32_e32 v3, 0xd0
	v_lshl_add_u32 v1, v1, 1, v3
	ds_write2_b32 v1, v4, v5 offset1:32
	ds_write_b32 v1, v2 offset:256
.LBB346_372:
	s_or_b64 exec, exec, s[0:1]
	v_cmp_gt_u32_e32 vcc, 64, v0
	v_cmp_lt_u32_e64 s[0:1], 63, v0
	s_waitcnt lgkmcnt(0)
	s_barrier
	s_and_saveexec_b64 s[2:3], s[0:1]
	s_xor_b64 s[0:1], exec, s[2:3]
	s_andn2_saveexec_b64 s[2:3], s[0:1]
	s_cbranch_execz .LBB346_378
; %bb.373:
	v_cmp_eq_u32_e64 s[0:1], 0, v21
	v_lshrrev_b32_e32 v1, 1, v0
	s_and_saveexec_b64 s[6:7], s[0:1]
	s_cbranch_execnz .LBB346_394
; %bb.374:
	s_or_b64 exec, exec, s[6:7]
	s_and_saveexec_b64 s[6:7], s[0:1]
	s_cbranch_execnz .LBB346_395
.LBB346_375:
	s_or_b64 exec, exec, s[6:7]
	s_and_saveexec_b64 s[6:7], s[0:1]
	s_cbranch_execz .LBB346_377
.LBB346_376:
	v_mov_b32_e32 v3, 0xd0
	v_lshl_add_u32 v1, v1, 2, v3
	ds_read_b32 v1, v1 offset:256
	s_waitcnt lgkmcnt(0)
	v_add_f32_e32 v2, v2, v1
.LBB346_377:
	s_or_b64 exec, exec, s[6:7]
.LBB346_378:
	s_or_b64 exec, exec, s[2:3]
	s_barrier
	s_and_saveexec_b64 s[0:1], vcc
	s_cbranch_execz .LBB346_393
; %bb.379:
	v_cmp_eq_u32_e32 vcc, 0, v21
	s_and_b64 exec, exec, vcc
	s_cbranch_execz .LBB346_393
; %bb.380:
	s_mov_b32 s0, 0x7f800000
	v_and_b32_e32 v1, 0x7f800000, v4
	v_cmp_ne_u32_e32 vcc, s0, v1
                                        ; implicit-def: $vgpr3
	s_and_saveexec_b64 s[0:1], vcc
	s_xor_b64 s[0:1], exec, s[0:1]
; %bb.381:
	v_bfe_u32 v1, v4, 16, 1
	s_movk_i32 s2, 0x7fff
	v_add3_u32 v3, v4, v1, s2
; %bb.382:
	s_andn2_saveexec_b64 s[0:1], s[0:1]
; %bb.383:
	v_mov_b32_e32 v1, 0
	v_or_b32_e32 v3, 0x10000, v4
	v_cmp_eq_u32_sdwa vcc, v4, v1 src0_sel:WORD_0 src1_sel:DWORD
	s_nop 1
	v_cndmask_b32_e32 v3, v3, v4, vcc
; %bb.384:
	s_or_b64 exec, exec, s[0:1]
	s_mul_i32 s0, s12, s24
	s_mul_i32 s0, s0, s25
	s_mulk_i32 s0, 0x60
	s_ashr_i32 s1, s0, 31
	s_lshl_b64 s[0:1], s[0:1], 1
	s_add_u32 s2, s28, s0
	s_mul_i32 s0, s12, s26
	s_addc_u32 s3, s29, s1
	s_ashr_i32 s1, s0, 31
	s_lshl_b64 s[0:1], s[0:1], 1
	s_add_u32 s2, s2, s0
	s_mul_i32 s0, s4, 0x60
	s_addc_u32 s3, s3, s1
	s_ashr_i32 s1, s0, 31
	s_lshl_b64 s[0:1], s[0:1], 1
	s_add_u32 s0, s2, s0
	s_addc_u32 s1, s3, s1
	v_and_b32_e32 v0, 0x3fe, v0
	global_store_short_d16_hi v0, v3, s[0:1]
	s_mov_b32 s2, 0x7f800000
	v_and_b32_e32 v3, 0x7f800000, v5
	v_mov_b32_e32 v1, 0
	v_cmp_ne_u32_e32 vcc, s2, v3
                                        ; implicit-def: $vgpr3
	s_and_saveexec_b64 s[2:3], vcc
	s_xor_b64 s[2:3], exec, s[2:3]
; %bb.385:
	v_bfe_u32 v3, v5, 16, 1
	s_movk_i32 s4, 0x7fff
	v_add3_u32 v3, v5, v3, s4
                                        ; implicit-def: $vgpr4_vgpr5_vgpr6
; %bb.386:
	s_or_saveexec_b64 s[2:3], s[2:3]
	v_lshl_add_u64 v[0:1], s[0:1], 0, v[0:1]
	s_xor_b64 exec, exec, s[2:3]
; %bb.387:
	v_mov_b32_e32 v3, 0
	v_or_b32_e32 v4, 0x10000, v5
	v_cmp_eq_u32_sdwa vcc, v5, v3 src0_sel:WORD_0 src1_sel:DWORD
	s_nop 1
	v_cndmask_b32_e32 v3, v4, v5, vcc
; %bb.388:
	s_or_b64 exec, exec, s[2:3]
	global_store_short_d16_hi v[0:1], v3, off offset:64
	s_mov_b32 s0, 0x7f800000
	v_and_b32_e32 v3, 0x7f800000, v2
	v_cmp_ne_u32_e32 vcc, s0, v3
                                        ; implicit-def: $vgpr3
	s_and_saveexec_b64 s[0:1], vcc
	s_xor_b64 s[0:1], exec, s[0:1]
; %bb.389:
	v_bfe_u32 v3, v2, 16, 1
	s_movk_i32 s2, 0x7fff
	v_add3_u32 v3, v2, v3, s2
                                        ; implicit-def: $vgpr2
; %bb.390:
	s_andn2_saveexec_b64 s[0:1], s[0:1]
; %bb.391:
	v_mov_b32_e32 v3, 0
	v_or_b32_e32 v4, 0x10000, v2
	v_cmp_eq_u32_sdwa vcc, v2, v3 src0_sel:WORD_0 src1_sel:DWORD
	s_nop 1
	v_cndmask_b32_e32 v3, v4, v2, vcc
; %bb.392:
	s_or_b64 exec, exec, s[0:1]
	global_store_short_d16_hi v[0:1], v3, off offset:128
.LBB346_393:
	s_endpgm
.LBB346_394:
	v_mov_b32_e32 v3, 0xd0
	v_lshl_add_u32 v3, v1, 2, v3
	ds_read_b32 v3, v3
	s_waitcnt lgkmcnt(0)
	v_add_f32_e32 v4, v4, v3
	s_or_b64 exec, exec, s[6:7]
	s_and_saveexec_b64 s[6:7], s[0:1]
	s_cbranch_execz .LBB346_375
.LBB346_395:
	v_mov_b32_e32 v3, 0xd0
	v_lshl_add_u32 v3, v1, 2, v3
	ds_read_b32 v3, v3 offset:128
	s_waitcnt lgkmcnt(0)
	v_add_f32_e32 v5, v5, v3
	s_or_b64 exec, exec, s[6:7]
	s_and_saveexec_b64 s[6:7], s[0:1]
	s_cbranch_execnz .LBB346_376
	s_branch .LBB346_377
	.section	.rodata,"a",@progbits
	.p2align	6, 0x0
	.amdhsa_kernel _ZN4vllm25paged_attention_v2_kernelI14__hip_bfloat16hLi96ELi16ELi128ELNS_18Fp8KVCacheDataTypeE1ELb0ELi512EEEvPfS3_PT_PKS4_PKT0_SA_ifPKiSC_iPKfiiiSE_SE_iiiii
		.amdhsa_group_segment_fixed_size 208
		.amdhsa_private_segment_fixed_size 0
		.amdhsa_kernarg_size 400
		.amdhsa_user_sgpr_count 2
		.amdhsa_user_sgpr_dispatch_ptr 0
		.amdhsa_user_sgpr_queue_ptr 0
		.amdhsa_user_sgpr_kernarg_segment_ptr 1
		.amdhsa_user_sgpr_dispatch_id 0
		.amdhsa_user_sgpr_kernarg_preload_length 0
		.amdhsa_user_sgpr_kernarg_preload_offset 0
		.amdhsa_user_sgpr_private_segment_size 0
		.amdhsa_uses_dynamic_stack 0
		.amdhsa_enable_private_segment 0
		.amdhsa_system_sgpr_workgroup_id_x 1
		.amdhsa_system_sgpr_workgroup_id_y 1
		.amdhsa_system_sgpr_workgroup_id_z 1
		.amdhsa_system_sgpr_workgroup_info 0
		.amdhsa_system_vgpr_workitem_id 0
		.amdhsa_next_free_vgpr 67
		.amdhsa_next_free_sgpr 48
		.amdhsa_accum_offset 68
		.amdhsa_reserve_vcc 1
		.amdhsa_float_round_mode_32 0
		.amdhsa_float_round_mode_16_64 0
		.amdhsa_float_denorm_mode_32 3
		.amdhsa_float_denorm_mode_16_64 3
		.amdhsa_dx10_clamp 1
		.amdhsa_ieee_mode 1
		.amdhsa_fp16_overflow 0
		.amdhsa_tg_split 0
		.amdhsa_exception_fp_ieee_invalid_op 0
		.amdhsa_exception_fp_denorm_src 0
		.amdhsa_exception_fp_ieee_div_zero 0
		.amdhsa_exception_fp_ieee_overflow 0
		.amdhsa_exception_fp_ieee_underflow 0
		.amdhsa_exception_fp_ieee_inexact 0
		.amdhsa_exception_int_div_zero 0
	.end_amdhsa_kernel
	.section	.text._ZN4vllm25paged_attention_v2_kernelI14__hip_bfloat16hLi96ELi16ELi128ELNS_18Fp8KVCacheDataTypeE1ELb0ELi512EEEvPfS3_PT_PKS4_PKT0_SA_ifPKiSC_iPKfiiiSE_SE_iiiii,"axG",@progbits,_ZN4vllm25paged_attention_v2_kernelI14__hip_bfloat16hLi96ELi16ELi128ELNS_18Fp8KVCacheDataTypeE1ELb0ELi512EEEvPfS3_PT_PKS4_PKT0_SA_ifPKiSC_iPKfiiiSE_SE_iiiii,comdat
.Lfunc_end346:
	.size	_ZN4vllm25paged_attention_v2_kernelI14__hip_bfloat16hLi96ELi16ELi128ELNS_18Fp8KVCacheDataTypeE1ELb0ELi512EEEvPfS3_PT_PKS4_PKT0_SA_ifPKiSC_iPKfiiiSE_SE_iiiii, .Lfunc_end346-_ZN4vllm25paged_attention_v2_kernelI14__hip_bfloat16hLi96ELi16ELi128ELNS_18Fp8KVCacheDataTypeE1ELb0ELi512EEEvPfS3_PT_PKS4_PKT0_SA_ifPKiSC_iPKfiiiSE_SE_iiiii
                                        ; -- End function
	.section	.AMDGPU.csdata,"",@progbits
; Kernel info:
; codeLenInByte = 12264
; NumSgprs: 54
; NumVgprs: 67
; NumAgprs: 0
; TotalNumVgprs: 67
; ScratchSize: 0
; MemoryBound: 0
; FloatMode: 240
; IeeeMode: 1
; LDSByteSize: 208 bytes/workgroup (compile time only)
; SGPRBlocks: 6
; VGPRBlocks: 8
; NumSGPRsForWavesPerEU: 54
; NumVGPRsForWavesPerEU: 67
; AccumOffset: 68
; Occupancy: 7
; WaveLimiterHint : 1
; COMPUTE_PGM_RSRC2:SCRATCH_EN: 0
; COMPUTE_PGM_RSRC2:USER_SGPR: 2
; COMPUTE_PGM_RSRC2:TRAP_HANDLER: 0
; COMPUTE_PGM_RSRC2:TGID_X_EN: 1
; COMPUTE_PGM_RSRC2:TGID_Y_EN: 1
; COMPUTE_PGM_RSRC2:TGID_Z_EN: 1
; COMPUTE_PGM_RSRC2:TIDIG_COMP_CNT: 0
; COMPUTE_PGM_RSRC3_GFX90A:ACCUM_OFFSET: 16
; COMPUTE_PGM_RSRC3_GFX90A:TG_SPLIT: 0
	.section	.text._ZN4vllm25paged_attention_v2_kernelI14__hip_bfloat16hLi112ELi16ELi128ELNS_18Fp8KVCacheDataTypeE1ELb0ELi512EEEvPfS3_PT_PKS4_PKT0_SA_ifPKiSC_iPKfiiiSE_SE_iiiii,"axG",@progbits,_ZN4vllm25paged_attention_v2_kernelI14__hip_bfloat16hLi112ELi16ELi128ELNS_18Fp8KVCacheDataTypeE1ELb0ELi512EEEvPfS3_PT_PKS4_PKT0_SA_ifPKiSC_iPKfiiiSE_SE_iiiii,comdat
	.protected	_ZN4vllm25paged_attention_v2_kernelI14__hip_bfloat16hLi112ELi16ELi128ELNS_18Fp8KVCacheDataTypeE1ELb0ELi512EEEvPfS3_PT_PKS4_PKT0_SA_ifPKiSC_iPKfiiiSE_SE_iiiii ; -- Begin function _ZN4vllm25paged_attention_v2_kernelI14__hip_bfloat16hLi112ELi16ELi128ELNS_18Fp8KVCacheDataTypeE1ELb0ELi512EEEvPfS3_PT_PKS4_PKT0_SA_ifPKiSC_iPKfiiiSE_SE_iiiii
	.globl	_ZN4vllm25paged_attention_v2_kernelI14__hip_bfloat16hLi112ELi16ELi128ELNS_18Fp8KVCacheDataTypeE1ELb0ELi512EEEvPfS3_PT_PKS4_PKT0_SA_ifPKiSC_iPKfiiiSE_SE_iiiii
	.p2align	8
	.type	_ZN4vllm25paged_attention_v2_kernelI14__hip_bfloat16hLi112ELi16ELi128ELNS_18Fp8KVCacheDataTypeE1ELb0ELi512EEEvPfS3_PT_PKS4_PKT0_SA_ifPKiSC_iPKfiiiSE_SE_iiiii,@function
_ZN4vllm25paged_attention_v2_kernelI14__hip_bfloat16hLi112ELi16ELi128ELNS_18Fp8KVCacheDataTypeE1ELb0ELi512EEEvPfS3_PT_PKS4_PKT0_SA_ifPKiSC_iPKfiiiSE_SE_iiiii: ; @_ZN4vllm25paged_attention_v2_kernelI14__hip_bfloat16hLi112ELi16ELi128ELNS_18Fp8KVCacheDataTypeE1ELb0ELi512EEEvPfS3_PT_PKS4_PKT0_SA_ifPKiSC_iPKfiiiSE_SE_iiiii
; %bb.0:
	s_load_dwordx2 s[6:7], s[0:1], 0x40
	s_mov_b32 s28, s3
	s_ashr_i32 s29, s3, 31
	s_lshl_b64 s[8:9], s[28:29], 2
	s_waitcnt lgkmcnt(0)
	s_add_u32 s6, s6, s8
	s_addc_u32 s7, s7, s9
	s_load_dword s29, s[6:7], 0x0
	s_lshl_b32 s40, s4, 9
	s_waitcnt lgkmcnt(0)
	s_cmp_ge_i32 s40, s29
	s_cbranch_scc1 .LBB347_488
; %bb.1:
	s_load_dword s5, s[0:1], 0x90
	s_load_dwordx2 s[10:11], s[0:1], 0x30
	s_mov_b32 s41, 0
	s_waitcnt lgkmcnt(0)
	s_abs_i32 s7, s5
	s_abs_i32 s3, s10
	v_cvt_f32_u32_e32 v1, s3
	s_sub_i32 s8, 0, s3
	s_xor_b32 s6, s5, s10
	s_ashr_i32 s6, s6, 31
	v_rcp_iflag_f32_e32 v1, v1
	s_nop 0
	v_mul_f32_e32 v1, 0x4f7ffffe, v1
	v_cvt_u32_f32_e32 v1, v1
	s_nop 0
	v_readfirstlane_b32 s9, v1
	s_mul_i32 s8, s8, s9
	s_mul_hi_u32 s8, s9, s8
	s_add_i32 s9, s9, s8
	s_mul_hi_u32 s8, s7, s9
	s_mul_i32 s9, s8, s3
	s_sub_i32 s7, s7, s9
	s_add_i32 s10, s8, 1
	s_sub_i32 s9, s7, s3
	s_cmp_ge_u32 s7, s3
	s_cselect_b32 s8, s10, s8
	s_cselect_b32 s7, s9, s7
	s_add_i32 s9, s8, 1
	s_cmp_ge_u32 s7, s3
	s_cselect_b32 s3, s9, s8
	s_xor_b32 s3, s3, s6
	s_sub_i32 s10, s3, s6
	s_abs_i32 s8, s10
	v_cvt_f32_u32_e32 v1, s8
	s_load_dwordx2 s[6:7], s[0:1], 0x50
	s_sub_i32 s3, 0, s8
	s_abs_i32 s9, s2
	v_rcp_iflag_f32_e32 v1, v1
	s_nop 0
	v_mul_f32_e32 v1, 0x4f7ffffe, v1
	v_cvt_u32_f32_e32 v1, v1
	s_nop 0
	v_readfirstlane_b32 s12, v1
	s_mul_i32 s3, s3, s12
	s_mul_hi_u32 s3, s12, s3
	s_add_i32 s12, s12, s3
	s_waitcnt lgkmcnt(0)
	s_cmp_eq_u64 s[6:7], 0
	s_mul_hi_u32 s16, s9, s12
	s_cbranch_scc1 .LBB347_3
; %bb.2:
	s_ashr_i32 s3, s2, 31
	s_lshl_b64 s[12:13], s[2:3], 2
	s_add_u32 s6, s6, s12
	s_addc_u32 s7, s7, s13
	s_load_dword s41, s[6:7], 0x0
.LBB347_3:
	s_load_dwordx4 s[12:15], s[0:1], 0x58
	s_ashr_i32 s17, s2, 31
	s_waitcnt lgkmcnt(0)
	s_ashr_i32 s15, s10, 31
	v_and_b32_e32 v6, 3, v0
	s_mul_i32 s24, s2, 0x70
	v_cmp_gt_u32_e32 vcc, 56, v0
	s_and_saveexec_b64 s[6:7], vcc
	s_cbranch_execz .LBB347_5
; %bb.4:
	s_load_dwordx2 s[18:19], s[0:1], 0x18
	s_mul_i32 s20, s28, s12
	s_ashr_i32 s21, s20, 31
	s_lshl_b64 s[20:21], s[20:21], 1
	v_lshlrev_b32_e32 v1, 2, v0
	s_waitcnt lgkmcnt(0)
	s_add_u32 s3, s18, s20
	s_addc_u32 s10, s19, s21
	s_ashr_i32 s25, s24, 31
	s_lshl_b64 s[18:19], s[24:25], 1
	s_add_u32 s18, s3, s18
	s_addc_u32 s19, s10, s19
	global_load_dword v1, v1, s[18:19]
	v_and_b32_e32 v2, 0x3fc, v0
	v_mad_u32_u24 v2, v6, 56, v2
	s_waitcnt vmcnt(0)
	ds_write_b32 v2, v1
.LBB347_5:
	s_or_b64 exec, exec, s[6:7]
	s_add_i32 s3, s29, 15
	s_ashr_i32 s6, s3, 31
	s_lshr_b32 s6, s6, 28
	s_add_i32 s3, s3, s6
	s_lshl_b32 s10, s4, 5
	s_mul_i32 s7, s16, s8
	s_ashr_i32 s3, s3, 4
	s_add_i32 s6, s10, 32
	s_sub_i32 s7, s9, s7
	s_min_i32 s33, s6, s3
	s_xor_b32 s6, s17, s15
	s_add_i32 s9, s16, 1
	s_sub_i32 s12, s7, s8
	s_cmp_ge_u32 s7, s8
	s_cselect_b32 s9, s9, s16
	s_cselect_b32 s7, s12, s7
	s_add_i32 s12, s9, 1
	s_cmp_ge_u32 s7, s8
	s_load_dwordx2 s[30:31], s[0:1], 0x38
	s_load_dword s8, s[0:1], 0x48
	v_lshrrev_b32_e32 v20, 6, v0
	s_cselect_b32 s7, s12, s9
	s_xor_b32 s7, s7, s6
	v_or_b32_e32 v10, s10, v20
	s_waitcnt lgkmcnt(0)
	s_mul_i32 s34, s28, s8
	s_sub_i32 s12, s7, s6
	s_ashr_i32 s35, s34, 31
	v_cmp_gt_i32_e64 s[8:9], s33, v10
	v_cmp_le_i32_e32 vcc, s33, v10
	v_mbcnt_lo_u32_b32 v7, -1, 0
	s_barrier
	s_waitcnt lgkmcnt(0)
                                        ; implicit-def: $sgpr15
                                        ; implicit-def: $vgpr12
                                        ; implicit-def: $vgpr13
	s_and_saveexec_b64 s[6:7], vcc
	s_xor_b64 s[6:7], exec, s[6:7]
; %bb.6:
	v_mbcnt_hi_u32_b32 v12, -1, v7
	v_and_b32_e32 v1, 64, v12
	v_add_u32_e32 v13, 64, v1
	s_mov_b32 s15, 0xff7fffff
                                        ; implicit-def: $vgpr6
                                        ; implicit-def: $vgpr7
; %bb.7:
	s_or_saveexec_b64 s[38:39], s[6:7]
	s_load_dwordx4 s[20:23], s[0:1], 0x0
	s_load_dwordx2 s[26:27], s[0:1], 0x10
	s_load_dword s25, s[0:1], 0x98
	s_load_dwordx2 s[36:37], s[0:1], 0x28
	s_load_dwordx4 s[16:19], s[0:1], 0x68
	v_mov_b32_e32 v42, s15
	s_mul_i32 s12, s12, s14
	v_ashrrev_i32_e32 v11, 31, v10
	s_xor_b64 exec, exec, s[38:39]
	s_cbranch_execz .LBB347_125
; %bb.8:
	s_load_dwordx2 s[0:1], s[0:1], 0x20
	v_mbcnt_hi_u32_b32 v12, -1, v7
	v_and_b32_e32 v7, 64, v12
	v_add_u32_e32 v13, 64, v7
	v_xor_b32_e32 v7, 2, v12
	v_cmp_lt_i32_e32 vcc, v7, v13
	s_ashr_i32 s6, s12, 31
	v_mul_u32_u24_e32 v8, 56, v6
	v_cndmask_b32_e32 v7, v12, v7, vcc
	v_bfe_u32 v42, v0, 2, 4
	s_waitcnt lgkmcnt(0)
	s_add_u32 s0, s0, s12
	ds_read2_b64 v[22:25], v8 offset1:1
	ds_read2_b64 v[26:29], v8 offset0:2 offset1:3
	ds_read2_b64 v[34:37], v8 offset0:4 offset1:5
	ds_read_b64 v[8:9], v8 offset:48
	v_lshlrev_b32_e32 v43, 2, v7
	v_xor_b32_e32 v7, 1, v12
	v_lshlrev_b32_e32 v2, 4, v42
	s_addc_u32 s1, s1, s6
	v_mov_b32_e32 v3, 0
	v_cmp_lt_i32_e32 vcc, v7, v13
	s_load_dword s43, s[16:17], 0x0
	v_lshl_add_u64 v[4:5], s[0:1], 0, v[2:3]
	v_lshlrev_b32_e32 v2, 1, v6
	v_cndmask_b32_e32 v7, v12, v7, vcc
	v_cmp_eq_u32_e32 vcc, 0, v6
	s_sub_i32 s44, 1, s29
	v_lshlrev_b32_e32 v6, 4, v20
	s_lshl_b64 s[0:1], s[34:35], 2
	v_add3_u32 v45, s40, v6, v42
	v_lshlrev_b32_e32 v6, 2, v42
	s_add_u32 s0, s30, s0
	v_lshl_or_b32 v6, v20, 6, v6
	s_addc_u32 s1, s31, s1
	s_mov_b32 s42, s13
	s_waitcnt lgkmcnt(0)
	v_lshlrev_b32_e32 v1, 16, v22
	v_and_b32_e32 v14, 0xffff0000, v22
	v_lshlrev_b32_e32 v15, 16, v23
	v_and_b32_e32 v16, 0xffff0000, v23
	;; [unrolled: 2-line block ×14, first 2 shown]
	v_lshlrev_b32_e32 v44, 2, v7
	v_cmp_neq_f32_e64 s[6:7], s41, 0
	v_add_u32_e32 v46, 0xf0, v6
	v_lshl_add_u64 v[6:7], v[10:11], 2, s[0:1]
	s_mov_b64 s[14:15], 0
	v_mov_b32_e32 v42, 0xff7fffff
	s_mov_b32 s45, 0xffff
	s_mov_b32 s46, 0x7f800000
	s_movk_i32 s47, 0x7fff
	v_mov_b32_e32 v47, v10
	s_branch .LBB347_10
.LBB347_9:                              ;   in Loop: Header=BB347_10 Depth=1
	s_or_b64 exec, exec, s[16:17]
	v_add_u32_e32 v47, 2, v47
	v_cmp_le_i32_e64 s[0:1], s33, v47
	v_add_u32_e32 v45, 32, v45
	v_add_u32_e32 v46, 0x80, v46
	s_or_b64 s[14:15], s[0:1], s[14:15]
	v_lshl_add_u64 v[6:7], v[6:7], 0, 8
	s_andn2_b64 exec, exec, s[14:15]
	s_cbranch_execz .LBB347_124
.LBB347_10:                             ; =>This Inner Loop Header: Depth=1
	global_load_dword v8, v[6:7], off
	s_waitcnt vmcnt(0) lgkmcnt(0)
	v_mad_i64_i32 v[8:9], s[0:1], v8, s42, v[4:5]
	v_lshl_add_u64 v[8:9], v[8:9], 0, v[2:3]
	global_load_ushort v49, v[8:9], off
	s_waitcnt vmcnt(0)
	v_and_b32_sdwa v48, s45, v49 dst_sel:DWORD dst_unused:UNUSED_PAD src0_sel:DWORD src1_sel:BYTE_0
	v_cvt_f32_fp8_sdwa v48, v48 src0_sel:BYTE_0
	s_nop 0
	v_mul_f32_e32 v50, s43, v48
	v_and_b32_e32 v48, 0x7f800000, v50
	v_cmp_ne_u32_e64 s[0:1], s46, v48
                                        ; implicit-def: $vgpr48
	s_and_saveexec_b64 s[16:17], s[0:1]
	s_xor_b64 s[0:1], exec, s[16:17]
; %bb.11:                               ;   in Loop: Header=BB347_10 Depth=1
	v_bfe_u32 v48, v50, 16, 1
	v_add3_u32 v48, v50, v48, s47
                                        ; implicit-def: $vgpr50
; %bb.12:                               ;   in Loop: Header=BB347_10 Depth=1
	s_andn2_saveexec_b64 s[16:17], s[0:1]
; %bb.13:                               ;   in Loop: Header=BB347_10 Depth=1
	v_or_b32_e32 v48, 0x10000, v50
	v_cmp_eq_u32_sdwa s[0:1], v50, v3 src0_sel:WORD_0 src1_sel:DWORD
	s_nop 1
	v_cndmask_b32_e64 v48, v48, v50, s[0:1]
; %bb.14:                               ;   in Loop: Header=BB347_10 Depth=1
	s_or_b64 exec, exec, s[16:17]
	v_lshrrev_b16_e32 v49, 8, v49
	v_cvt_f32_fp8_sdwa v49, v49 src0_sel:BYTE_0
	s_nop 0
	v_mul_f32_e32 v50, s43, v49
	v_and_b32_e32 v49, 0x7f800000, v50
	v_cmp_ne_u32_e64 s[0:1], s46, v49
                                        ; implicit-def: $vgpr49
	s_and_saveexec_b64 s[16:17], s[0:1]
	s_xor_b64 s[0:1], exec, s[16:17]
; %bb.15:                               ;   in Loop: Header=BB347_10 Depth=1
	v_bfe_u32 v49, v50, 16, 1
	v_add3_u32 v49, v50, v49, s47
                                        ; implicit-def: $vgpr50
; %bb.16:                               ;   in Loop: Header=BB347_10 Depth=1
	s_andn2_saveexec_b64 s[16:17], s[0:1]
; %bb.17:                               ;   in Loop: Header=BB347_10 Depth=1
	v_or_b32_e32 v49, 0x10000, v50
	v_cmp_eq_u32_sdwa s[0:1], v50, v3 src0_sel:WORD_0 src1_sel:DWORD
	s_nop 1
	v_cndmask_b32_e64 v49, v49, v50, s[0:1]
; %bb.18:                               ;   in Loop: Header=BB347_10 Depth=1
	s_or_b64 exec, exec, s[16:17]
	global_load_ushort v51, v[8:9], off offset:8
	s_waitcnt vmcnt(0)
	v_and_b32_sdwa v50, s45, v51 dst_sel:DWORD dst_unused:UNUSED_PAD src0_sel:DWORD src1_sel:BYTE_0
	v_cvt_f32_fp8_sdwa v50, v50 src0_sel:BYTE_0
	s_nop 0
	v_mul_f32_e32 v52, s43, v50
	v_and_b32_e32 v50, 0x7f800000, v52
	v_cmp_ne_u32_e64 s[0:1], s46, v50
                                        ; implicit-def: $vgpr50
	s_and_saveexec_b64 s[16:17], s[0:1]
	s_xor_b64 s[0:1], exec, s[16:17]
; %bb.19:                               ;   in Loop: Header=BB347_10 Depth=1
	v_bfe_u32 v50, v52, 16, 1
	v_add3_u32 v50, v52, v50, s47
                                        ; implicit-def: $vgpr52
; %bb.20:                               ;   in Loop: Header=BB347_10 Depth=1
	s_andn2_saveexec_b64 s[16:17], s[0:1]
; %bb.21:                               ;   in Loop: Header=BB347_10 Depth=1
	v_or_b32_e32 v50, 0x10000, v52
	v_cmp_eq_u32_sdwa s[0:1], v52, v3 src0_sel:WORD_0 src1_sel:DWORD
	s_nop 1
	v_cndmask_b32_e64 v50, v50, v52, s[0:1]
; %bb.22:                               ;   in Loop: Header=BB347_10 Depth=1
	s_or_b64 exec, exec, s[16:17]
	v_lshrrev_b16_e32 v51, 8, v51
	v_cvt_f32_fp8_sdwa v51, v51 src0_sel:BYTE_0
	s_nop 0
	v_mul_f32_e32 v52, s43, v51
	v_and_b32_e32 v51, 0x7f800000, v52
	v_cmp_ne_u32_e64 s[0:1], s46, v51
                                        ; implicit-def: $vgpr51
	s_and_saveexec_b64 s[16:17], s[0:1]
	s_xor_b64 s[0:1], exec, s[16:17]
; %bb.23:                               ;   in Loop: Header=BB347_10 Depth=1
	v_bfe_u32 v51, v52, 16, 1
	v_add3_u32 v51, v52, v51, s47
                                        ; implicit-def: $vgpr52
; %bb.24:                               ;   in Loop: Header=BB347_10 Depth=1
	s_andn2_saveexec_b64 s[16:17], s[0:1]
; %bb.25:                               ;   in Loop: Header=BB347_10 Depth=1
	v_or_b32_e32 v51, 0x10000, v52
	v_cmp_eq_u32_sdwa s[0:1], v52, v3 src0_sel:WORD_0 src1_sel:DWORD
	s_nop 1
	v_cndmask_b32_e64 v51, v51, v52, s[0:1]
; %bb.26:                               ;   in Loop: Header=BB347_10 Depth=1
	s_or_b64 exec, exec, s[16:17]
	global_load_ushort v53, v[8:9], off offset:256
	s_waitcnt vmcnt(0)
	v_and_b32_sdwa v52, s45, v53 dst_sel:DWORD dst_unused:UNUSED_PAD src0_sel:DWORD src1_sel:BYTE_0
	v_cvt_f32_fp8_sdwa v52, v52 src0_sel:BYTE_0
	s_nop 0
	v_mul_f32_e32 v54, s43, v52
	v_and_b32_e32 v52, 0x7f800000, v54
	v_cmp_ne_u32_e64 s[0:1], s46, v52
                                        ; implicit-def: $vgpr52
	s_and_saveexec_b64 s[16:17], s[0:1]
	s_xor_b64 s[0:1], exec, s[16:17]
; %bb.27:                               ;   in Loop: Header=BB347_10 Depth=1
	v_bfe_u32 v52, v54, 16, 1
	v_add3_u32 v52, v54, v52, s47
                                        ; implicit-def: $vgpr54
; %bb.28:                               ;   in Loop: Header=BB347_10 Depth=1
	s_andn2_saveexec_b64 s[16:17], s[0:1]
; %bb.29:                               ;   in Loop: Header=BB347_10 Depth=1
	v_or_b32_e32 v52, 0x10000, v54
	v_cmp_eq_u32_sdwa s[0:1], v54, v3 src0_sel:WORD_0 src1_sel:DWORD
	s_nop 1
	v_cndmask_b32_e64 v52, v52, v54, s[0:1]
; %bb.30:                               ;   in Loop: Header=BB347_10 Depth=1
	s_or_b64 exec, exec, s[16:17]
	v_lshrrev_b16_e32 v53, 8, v53
	v_cvt_f32_fp8_sdwa v53, v53 src0_sel:BYTE_0
	s_nop 0
	v_mul_f32_e32 v54, s43, v53
	v_and_b32_e32 v53, 0x7f800000, v54
	v_cmp_ne_u32_e64 s[0:1], s46, v53
                                        ; implicit-def: $vgpr53
	s_and_saveexec_b64 s[16:17], s[0:1]
	s_xor_b64 s[0:1], exec, s[16:17]
; %bb.31:                               ;   in Loop: Header=BB347_10 Depth=1
	v_bfe_u32 v53, v54, 16, 1
	v_add3_u32 v53, v54, v53, s47
                                        ; implicit-def: $vgpr54
; %bb.32:                               ;   in Loop: Header=BB347_10 Depth=1
	s_andn2_saveexec_b64 s[16:17], s[0:1]
; %bb.33:                               ;   in Loop: Header=BB347_10 Depth=1
	v_or_b32_e32 v53, 0x10000, v54
	v_cmp_eq_u32_sdwa s[0:1], v54, v3 src0_sel:WORD_0 src1_sel:DWORD
	s_nop 1
	v_cndmask_b32_e64 v53, v53, v54, s[0:1]
; %bb.34:                               ;   in Loop: Header=BB347_10 Depth=1
	s_or_b64 exec, exec, s[16:17]
	global_load_ushort v55, v[8:9], off offset:264
	s_waitcnt vmcnt(0)
	v_and_b32_sdwa v54, s45, v55 dst_sel:DWORD dst_unused:UNUSED_PAD src0_sel:DWORD src1_sel:BYTE_0
	v_cvt_f32_fp8_sdwa v54, v54 src0_sel:BYTE_0
	s_nop 0
	v_mul_f32_e32 v56, s43, v54
	v_and_b32_e32 v54, 0x7f800000, v56
	v_cmp_ne_u32_e64 s[0:1], s46, v54
                                        ; implicit-def: $vgpr54
	s_and_saveexec_b64 s[16:17], s[0:1]
	s_xor_b64 s[0:1], exec, s[16:17]
; %bb.35:                               ;   in Loop: Header=BB347_10 Depth=1
	v_bfe_u32 v54, v56, 16, 1
	v_add3_u32 v54, v56, v54, s47
                                        ; implicit-def: $vgpr56
; %bb.36:                               ;   in Loop: Header=BB347_10 Depth=1
	s_andn2_saveexec_b64 s[16:17], s[0:1]
; %bb.37:                               ;   in Loop: Header=BB347_10 Depth=1
	v_or_b32_e32 v54, 0x10000, v56
	v_cmp_eq_u32_sdwa s[0:1], v56, v3 src0_sel:WORD_0 src1_sel:DWORD
	s_nop 1
	v_cndmask_b32_e64 v54, v54, v56, s[0:1]
; %bb.38:                               ;   in Loop: Header=BB347_10 Depth=1
	s_or_b64 exec, exec, s[16:17]
	v_lshrrev_b16_e32 v55, 8, v55
	v_cvt_f32_fp8_sdwa v55, v55 src0_sel:BYTE_0
	s_nop 0
	v_mul_f32_e32 v56, s43, v55
	v_and_b32_e32 v55, 0x7f800000, v56
	v_cmp_ne_u32_e64 s[0:1], s46, v55
                                        ; implicit-def: $vgpr55
	s_and_saveexec_b64 s[16:17], s[0:1]
	s_xor_b64 s[0:1], exec, s[16:17]
; %bb.39:                               ;   in Loop: Header=BB347_10 Depth=1
	v_bfe_u32 v55, v56, 16, 1
	v_add3_u32 v55, v56, v55, s47
                                        ; implicit-def: $vgpr56
; %bb.40:                               ;   in Loop: Header=BB347_10 Depth=1
	s_andn2_saveexec_b64 s[16:17], s[0:1]
; %bb.41:                               ;   in Loop: Header=BB347_10 Depth=1
	v_or_b32_e32 v55, 0x10000, v56
	v_cmp_eq_u32_sdwa s[0:1], v56, v3 src0_sel:WORD_0 src1_sel:DWORD
	s_nop 1
	v_cndmask_b32_e64 v55, v55, v56, s[0:1]
; %bb.42:                               ;   in Loop: Header=BB347_10 Depth=1
	s_or_b64 exec, exec, s[16:17]
	global_load_ushort v57, v[8:9], off offset:512
	s_waitcnt vmcnt(0)
	v_and_b32_sdwa v56, s45, v57 dst_sel:DWORD dst_unused:UNUSED_PAD src0_sel:DWORD src1_sel:BYTE_0
	v_cvt_f32_fp8_sdwa v56, v56 src0_sel:BYTE_0
	s_nop 0
	v_mul_f32_e32 v58, s43, v56
	v_and_b32_e32 v56, 0x7f800000, v58
	v_cmp_ne_u32_e64 s[0:1], s46, v56
                                        ; implicit-def: $vgpr56
	s_and_saveexec_b64 s[16:17], s[0:1]
	s_xor_b64 s[0:1], exec, s[16:17]
; %bb.43:                               ;   in Loop: Header=BB347_10 Depth=1
	v_bfe_u32 v56, v58, 16, 1
	v_add3_u32 v56, v58, v56, s47
                                        ; implicit-def: $vgpr58
; %bb.44:                               ;   in Loop: Header=BB347_10 Depth=1
	s_andn2_saveexec_b64 s[16:17], s[0:1]
; %bb.45:                               ;   in Loop: Header=BB347_10 Depth=1
	v_or_b32_e32 v56, 0x10000, v58
	v_cmp_eq_u32_sdwa s[0:1], v58, v3 src0_sel:WORD_0 src1_sel:DWORD
	s_nop 1
	v_cndmask_b32_e64 v56, v56, v58, s[0:1]
; %bb.46:                               ;   in Loop: Header=BB347_10 Depth=1
	s_or_b64 exec, exec, s[16:17]
	v_lshrrev_b16_e32 v57, 8, v57
	v_cvt_f32_fp8_sdwa v57, v57 src0_sel:BYTE_0
	s_nop 0
	v_mul_f32_e32 v58, s43, v57
	v_and_b32_e32 v57, 0x7f800000, v58
	v_cmp_ne_u32_e64 s[0:1], s46, v57
                                        ; implicit-def: $vgpr57
	s_and_saveexec_b64 s[16:17], s[0:1]
	s_xor_b64 s[0:1], exec, s[16:17]
; %bb.47:                               ;   in Loop: Header=BB347_10 Depth=1
	v_bfe_u32 v57, v58, 16, 1
	v_add3_u32 v57, v58, v57, s47
                                        ; implicit-def: $vgpr58
; %bb.48:                               ;   in Loop: Header=BB347_10 Depth=1
	s_andn2_saveexec_b64 s[16:17], s[0:1]
; %bb.49:                               ;   in Loop: Header=BB347_10 Depth=1
	v_or_b32_e32 v57, 0x10000, v58
	v_cmp_eq_u32_sdwa s[0:1], v58, v3 src0_sel:WORD_0 src1_sel:DWORD
	s_nop 1
	v_cndmask_b32_e64 v57, v57, v58, s[0:1]
; %bb.50:                               ;   in Loop: Header=BB347_10 Depth=1
	s_or_b64 exec, exec, s[16:17]
	global_load_ushort v59, v[8:9], off offset:520
	s_waitcnt vmcnt(0)
	v_and_b32_sdwa v58, s45, v59 dst_sel:DWORD dst_unused:UNUSED_PAD src0_sel:DWORD src1_sel:BYTE_0
	v_cvt_f32_fp8_sdwa v58, v58 src0_sel:BYTE_0
	s_nop 0
	v_mul_f32_e32 v60, s43, v58
	v_and_b32_e32 v58, 0x7f800000, v60
	v_cmp_ne_u32_e64 s[0:1], s46, v58
                                        ; implicit-def: $vgpr58
	s_and_saveexec_b64 s[16:17], s[0:1]
	s_xor_b64 s[0:1], exec, s[16:17]
; %bb.51:                               ;   in Loop: Header=BB347_10 Depth=1
	v_bfe_u32 v58, v60, 16, 1
	v_add3_u32 v58, v60, v58, s47
                                        ; implicit-def: $vgpr60
; %bb.52:                               ;   in Loop: Header=BB347_10 Depth=1
	s_andn2_saveexec_b64 s[16:17], s[0:1]
; %bb.53:                               ;   in Loop: Header=BB347_10 Depth=1
	v_or_b32_e32 v58, 0x10000, v60
	v_cmp_eq_u32_sdwa s[0:1], v60, v3 src0_sel:WORD_0 src1_sel:DWORD
	s_nop 1
	v_cndmask_b32_e64 v58, v58, v60, s[0:1]
; %bb.54:                               ;   in Loop: Header=BB347_10 Depth=1
	s_or_b64 exec, exec, s[16:17]
	v_lshrrev_b16_e32 v59, 8, v59
	v_cvt_f32_fp8_sdwa v59, v59 src0_sel:BYTE_0
	s_nop 0
	v_mul_f32_e32 v60, s43, v59
	v_and_b32_e32 v59, 0x7f800000, v60
	v_cmp_ne_u32_e64 s[0:1], s46, v59
                                        ; implicit-def: $vgpr59
	s_and_saveexec_b64 s[16:17], s[0:1]
	s_xor_b64 s[0:1], exec, s[16:17]
; %bb.55:                               ;   in Loop: Header=BB347_10 Depth=1
	v_bfe_u32 v59, v60, 16, 1
	v_add3_u32 v59, v60, v59, s47
                                        ; implicit-def: $vgpr60
; %bb.56:                               ;   in Loop: Header=BB347_10 Depth=1
	s_andn2_saveexec_b64 s[16:17], s[0:1]
; %bb.57:                               ;   in Loop: Header=BB347_10 Depth=1
	v_or_b32_e32 v59, 0x10000, v60
	v_cmp_eq_u32_sdwa s[0:1], v60, v3 src0_sel:WORD_0 src1_sel:DWORD
	s_nop 1
	v_cndmask_b32_e64 v59, v59, v60, s[0:1]
; %bb.58:                               ;   in Loop: Header=BB347_10 Depth=1
	s_or_b64 exec, exec, s[16:17]
	global_load_ushort v61, v[8:9], off offset:768
	s_waitcnt vmcnt(0)
	v_and_b32_sdwa v60, s45, v61 dst_sel:DWORD dst_unused:UNUSED_PAD src0_sel:DWORD src1_sel:BYTE_0
	v_cvt_f32_fp8_sdwa v60, v60 src0_sel:BYTE_0
	s_nop 0
	v_mul_f32_e32 v62, s43, v60
	v_and_b32_e32 v60, 0x7f800000, v62
	v_cmp_ne_u32_e64 s[0:1], s46, v60
                                        ; implicit-def: $vgpr60
	s_and_saveexec_b64 s[16:17], s[0:1]
	s_xor_b64 s[0:1], exec, s[16:17]
; %bb.59:                               ;   in Loop: Header=BB347_10 Depth=1
	v_bfe_u32 v60, v62, 16, 1
	v_add3_u32 v60, v62, v60, s47
                                        ; implicit-def: $vgpr62
; %bb.60:                               ;   in Loop: Header=BB347_10 Depth=1
	s_andn2_saveexec_b64 s[16:17], s[0:1]
; %bb.61:                               ;   in Loop: Header=BB347_10 Depth=1
	v_or_b32_e32 v60, 0x10000, v62
	v_cmp_eq_u32_sdwa s[0:1], v62, v3 src0_sel:WORD_0 src1_sel:DWORD
	s_nop 1
	v_cndmask_b32_e64 v60, v60, v62, s[0:1]
; %bb.62:                               ;   in Loop: Header=BB347_10 Depth=1
	s_or_b64 exec, exec, s[16:17]
	v_lshrrev_b16_e32 v61, 8, v61
	v_cvt_f32_fp8_sdwa v61, v61 src0_sel:BYTE_0
	s_nop 0
	v_mul_f32_e32 v62, s43, v61
	v_and_b32_e32 v61, 0x7f800000, v62
	v_cmp_ne_u32_e64 s[0:1], s46, v61
                                        ; implicit-def: $vgpr61
	s_and_saveexec_b64 s[16:17], s[0:1]
	s_xor_b64 s[0:1], exec, s[16:17]
; %bb.63:                               ;   in Loop: Header=BB347_10 Depth=1
	v_bfe_u32 v61, v62, 16, 1
	v_add3_u32 v61, v62, v61, s47
                                        ; implicit-def: $vgpr62
; %bb.64:                               ;   in Loop: Header=BB347_10 Depth=1
	s_andn2_saveexec_b64 s[16:17], s[0:1]
; %bb.65:                               ;   in Loop: Header=BB347_10 Depth=1
	v_or_b32_e32 v61, 0x10000, v62
	v_cmp_eq_u32_sdwa s[0:1], v62, v3 src0_sel:WORD_0 src1_sel:DWORD
	s_nop 1
	v_cndmask_b32_e64 v61, v61, v62, s[0:1]
; %bb.66:                               ;   in Loop: Header=BB347_10 Depth=1
	s_or_b64 exec, exec, s[16:17]
	global_load_ushort v63, v[8:9], off offset:776
	s_waitcnt vmcnt(0)
	v_and_b32_sdwa v62, s45, v63 dst_sel:DWORD dst_unused:UNUSED_PAD src0_sel:DWORD src1_sel:BYTE_0
	v_cvt_f32_fp8_sdwa v62, v62 src0_sel:BYTE_0
	s_nop 0
	v_mul_f32_e32 v64, s43, v62
	v_and_b32_e32 v62, 0x7f800000, v64
	v_cmp_ne_u32_e64 s[0:1], s46, v62
                                        ; implicit-def: $vgpr62
	s_and_saveexec_b64 s[16:17], s[0:1]
	s_xor_b64 s[0:1], exec, s[16:17]
; %bb.67:                               ;   in Loop: Header=BB347_10 Depth=1
	v_bfe_u32 v62, v64, 16, 1
	v_add3_u32 v62, v64, v62, s47
                                        ; implicit-def: $vgpr64
; %bb.68:                               ;   in Loop: Header=BB347_10 Depth=1
	s_andn2_saveexec_b64 s[16:17], s[0:1]
; %bb.69:                               ;   in Loop: Header=BB347_10 Depth=1
	v_or_b32_e32 v62, 0x10000, v64
	v_cmp_eq_u32_sdwa s[0:1], v64, v3 src0_sel:WORD_0 src1_sel:DWORD
	s_nop 1
	v_cndmask_b32_e64 v62, v62, v64, s[0:1]
; %bb.70:                               ;   in Loop: Header=BB347_10 Depth=1
	s_or_b64 exec, exec, s[16:17]
	v_lshrrev_b16_e32 v63, 8, v63
	v_cvt_f32_fp8_sdwa v63, v63 src0_sel:BYTE_0
	s_nop 0
	v_mul_f32_e32 v64, s43, v63
	v_and_b32_e32 v63, 0x7f800000, v64
	v_cmp_ne_u32_e64 s[0:1], s46, v63
                                        ; implicit-def: $vgpr63
	s_and_saveexec_b64 s[16:17], s[0:1]
	s_xor_b64 s[0:1], exec, s[16:17]
; %bb.71:                               ;   in Loop: Header=BB347_10 Depth=1
	v_bfe_u32 v63, v64, 16, 1
	v_add3_u32 v63, v64, v63, s47
                                        ; implicit-def: $vgpr64
; %bb.72:                               ;   in Loop: Header=BB347_10 Depth=1
	s_andn2_saveexec_b64 s[16:17], s[0:1]
; %bb.73:                               ;   in Loop: Header=BB347_10 Depth=1
	v_or_b32_e32 v63, 0x10000, v64
	v_cmp_eq_u32_sdwa s[0:1], v64, v3 src0_sel:WORD_0 src1_sel:DWORD
	s_nop 1
	v_cndmask_b32_e64 v63, v63, v64, s[0:1]
; %bb.74:                               ;   in Loop: Header=BB347_10 Depth=1
	s_or_b64 exec, exec, s[16:17]
	global_load_ushort v65, v[8:9], off offset:1024
	s_waitcnt vmcnt(0)
	v_and_b32_sdwa v64, s45, v65 dst_sel:DWORD dst_unused:UNUSED_PAD src0_sel:DWORD src1_sel:BYTE_0
	v_cvt_f32_fp8_sdwa v64, v64 src0_sel:BYTE_0
	s_nop 0
	v_mul_f32_e32 v66, s43, v64
	v_and_b32_e32 v64, 0x7f800000, v66
	v_cmp_ne_u32_e64 s[0:1], s46, v64
                                        ; implicit-def: $vgpr64
	s_and_saveexec_b64 s[16:17], s[0:1]
	s_xor_b64 s[0:1], exec, s[16:17]
; %bb.75:                               ;   in Loop: Header=BB347_10 Depth=1
	v_bfe_u32 v64, v66, 16, 1
	v_add3_u32 v64, v66, v64, s47
                                        ; implicit-def: $vgpr66
; %bb.76:                               ;   in Loop: Header=BB347_10 Depth=1
	s_andn2_saveexec_b64 s[16:17], s[0:1]
; %bb.77:                               ;   in Loop: Header=BB347_10 Depth=1
	v_or_b32_e32 v64, 0x10000, v66
	v_cmp_eq_u32_sdwa s[0:1], v66, v3 src0_sel:WORD_0 src1_sel:DWORD
	s_nop 1
	v_cndmask_b32_e64 v64, v64, v66, s[0:1]
; %bb.78:                               ;   in Loop: Header=BB347_10 Depth=1
	s_or_b64 exec, exec, s[16:17]
	v_lshrrev_b16_e32 v65, 8, v65
	v_cvt_f32_fp8_sdwa v65, v65 src0_sel:BYTE_0
	s_nop 0
	v_mul_f32_e32 v66, s43, v65
	v_and_b32_e32 v65, 0x7f800000, v66
	v_cmp_ne_u32_e64 s[0:1], s46, v65
                                        ; implicit-def: $vgpr65
	s_and_saveexec_b64 s[16:17], s[0:1]
	s_xor_b64 s[0:1], exec, s[16:17]
; %bb.79:                               ;   in Loop: Header=BB347_10 Depth=1
	v_bfe_u32 v65, v66, 16, 1
	v_add3_u32 v65, v66, v65, s47
                                        ; implicit-def: $vgpr66
; %bb.80:                               ;   in Loop: Header=BB347_10 Depth=1
	s_andn2_saveexec_b64 s[16:17], s[0:1]
; %bb.81:                               ;   in Loop: Header=BB347_10 Depth=1
	v_or_b32_e32 v65, 0x10000, v66
	v_cmp_eq_u32_sdwa s[0:1], v66, v3 src0_sel:WORD_0 src1_sel:DWORD
	s_nop 1
	v_cndmask_b32_e64 v65, v65, v66, s[0:1]
; %bb.82:                               ;   in Loop: Header=BB347_10 Depth=1
	s_or_b64 exec, exec, s[16:17]
	global_load_ushort v67, v[8:9], off offset:1032
	s_waitcnt vmcnt(0)
	v_and_b32_sdwa v66, s45, v67 dst_sel:DWORD dst_unused:UNUSED_PAD src0_sel:DWORD src1_sel:BYTE_0
	v_cvt_f32_fp8_sdwa v66, v66 src0_sel:BYTE_0
	s_nop 0
	v_mul_f32_e32 v68, s43, v66
	v_and_b32_e32 v66, 0x7f800000, v68
	v_cmp_ne_u32_e64 s[0:1], s46, v66
                                        ; implicit-def: $vgpr66
	s_and_saveexec_b64 s[16:17], s[0:1]
	s_xor_b64 s[0:1], exec, s[16:17]
; %bb.83:                               ;   in Loop: Header=BB347_10 Depth=1
	v_bfe_u32 v66, v68, 16, 1
	v_add3_u32 v66, v68, v66, s47
                                        ; implicit-def: $vgpr68
; %bb.84:                               ;   in Loop: Header=BB347_10 Depth=1
	s_andn2_saveexec_b64 s[16:17], s[0:1]
; %bb.85:                               ;   in Loop: Header=BB347_10 Depth=1
	v_or_b32_e32 v66, 0x10000, v68
	v_cmp_eq_u32_sdwa s[0:1], v68, v3 src0_sel:WORD_0 src1_sel:DWORD
	s_nop 1
	v_cndmask_b32_e64 v66, v66, v68, s[0:1]
; %bb.86:                               ;   in Loop: Header=BB347_10 Depth=1
	s_or_b64 exec, exec, s[16:17]
	v_lshrrev_b16_e32 v67, 8, v67
	v_cvt_f32_fp8_sdwa v67, v67 src0_sel:BYTE_0
	s_nop 0
	v_mul_f32_e32 v68, s43, v67
	v_and_b32_e32 v67, 0x7f800000, v68
	v_cmp_ne_u32_e64 s[0:1], s46, v67
                                        ; implicit-def: $vgpr67
	s_and_saveexec_b64 s[16:17], s[0:1]
	s_xor_b64 s[0:1], exec, s[16:17]
; %bb.87:                               ;   in Loop: Header=BB347_10 Depth=1
	v_bfe_u32 v67, v68, 16, 1
	v_add3_u32 v67, v68, v67, s47
                                        ; implicit-def: $vgpr68
; %bb.88:                               ;   in Loop: Header=BB347_10 Depth=1
	s_andn2_saveexec_b64 s[16:17], s[0:1]
; %bb.89:                               ;   in Loop: Header=BB347_10 Depth=1
	v_or_b32_e32 v67, 0x10000, v68
	v_cmp_eq_u32_sdwa s[0:1], v68, v3 src0_sel:WORD_0 src1_sel:DWORD
	s_nop 1
	v_cndmask_b32_e64 v67, v67, v68, s[0:1]
; %bb.90:                               ;   in Loop: Header=BB347_10 Depth=1
	s_or_b64 exec, exec, s[16:17]
	global_load_ushort v69, v[8:9], off offset:1280
	s_waitcnt vmcnt(0)
	v_and_b32_sdwa v68, s45, v69 dst_sel:DWORD dst_unused:UNUSED_PAD src0_sel:DWORD src1_sel:BYTE_0
	v_cvt_f32_fp8_sdwa v68, v68 src0_sel:BYTE_0
	s_nop 0
	v_mul_f32_e32 v70, s43, v68
	v_and_b32_e32 v68, 0x7f800000, v70
	v_cmp_ne_u32_e64 s[0:1], s46, v68
                                        ; implicit-def: $vgpr68
	s_and_saveexec_b64 s[16:17], s[0:1]
	s_xor_b64 s[0:1], exec, s[16:17]
; %bb.91:                               ;   in Loop: Header=BB347_10 Depth=1
	v_bfe_u32 v68, v70, 16, 1
	v_add3_u32 v68, v70, v68, s47
                                        ; implicit-def: $vgpr70
; %bb.92:                               ;   in Loop: Header=BB347_10 Depth=1
	s_andn2_saveexec_b64 s[16:17], s[0:1]
; %bb.93:                               ;   in Loop: Header=BB347_10 Depth=1
	v_or_b32_e32 v68, 0x10000, v70
	v_cmp_eq_u32_sdwa s[0:1], v70, v3 src0_sel:WORD_0 src1_sel:DWORD
	s_nop 1
	v_cndmask_b32_e64 v68, v68, v70, s[0:1]
; %bb.94:                               ;   in Loop: Header=BB347_10 Depth=1
	s_or_b64 exec, exec, s[16:17]
	v_lshrrev_b16_e32 v69, 8, v69
	v_cvt_f32_fp8_sdwa v69, v69 src0_sel:BYTE_0
	s_nop 0
	v_mul_f32_e32 v70, s43, v69
	v_and_b32_e32 v69, 0x7f800000, v70
	v_cmp_ne_u32_e64 s[0:1], s46, v69
                                        ; implicit-def: $vgpr69
	s_and_saveexec_b64 s[16:17], s[0:1]
	s_xor_b64 s[0:1], exec, s[16:17]
; %bb.95:                               ;   in Loop: Header=BB347_10 Depth=1
	v_bfe_u32 v69, v70, 16, 1
	v_add3_u32 v69, v70, v69, s47
                                        ; implicit-def: $vgpr70
; %bb.96:                               ;   in Loop: Header=BB347_10 Depth=1
	s_andn2_saveexec_b64 s[16:17], s[0:1]
; %bb.97:                               ;   in Loop: Header=BB347_10 Depth=1
	v_or_b32_e32 v69, 0x10000, v70
	v_cmp_eq_u32_sdwa s[0:1], v70, v3 src0_sel:WORD_0 src1_sel:DWORD
	s_nop 1
	v_cndmask_b32_e64 v69, v69, v70, s[0:1]
; %bb.98:                               ;   in Loop: Header=BB347_10 Depth=1
	s_or_b64 exec, exec, s[16:17]
	global_load_ushort v71, v[8:9], off offset:1288
	s_waitcnt vmcnt(0)
	v_and_b32_sdwa v70, s45, v71 dst_sel:DWORD dst_unused:UNUSED_PAD src0_sel:DWORD src1_sel:BYTE_0
	v_cvt_f32_fp8_sdwa v70, v70 src0_sel:BYTE_0
	s_nop 0
	v_mul_f32_e32 v72, s43, v70
	v_and_b32_e32 v70, 0x7f800000, v72
	v_cmp_ne_u32_e64 s[0:1], s46, v70
                                        ; implicit-def: $vgpr70
	s_and_saveexec_b64 s[16:17], s[0:1]
	s_xor_b64 s[0:1], exec, s[16:17]
; %bb.99:                               ;   in Loop: Header=BB347_10 Depth=1
	v_bfe_u32 v70, v72, 16, 1
	v_add3_u32 v70, v72, v70, s47
                                        ; implicit-def: $vgpr72
; %bb.100:                              ;   in Loop: Header=BB347_10 Depth=1
	s_andn2_saveexec_b64 s[16:17], s[0:1]
; %bb.101:                              ;   in Loop: Header=BB347_10 Depth=1
	v_or_b32_e32 v70, 0x10000, v72
	v_cmp_eq_u32_sdwa s[0:1], v72, v3 src0_sel:WORD_0 src1_sel:DWORD
	s_nop 1
	v_cndmask_b32_e64 v70, v70, v72, s[0:1]
; %bb.102:                              ;   in Loop: Header=BB347_10 Depth=1
	s_or_b64 exec, exec, s[16:17]
	v_lshrrev_b16_e32 v71, 8, v71
	v_cvt_f32_fp8_sdwa v71, v71 src0_sel:BYTE_0
	s_nop 0
	v_mul_f32_e32 v72, s43, v71
	v_and_b32_e32 v71, 0x7f800000, v72
	v_cmp_ne_u32_e64 s[0:1], s46, v71
                                        ; implicit-def: $vgpr71
	s_and_saveexec_b64 s[16:17], s[0:1]
	s_xor_b64 s[0:1], exec, s[16:17]
; %bb.103:                              ;   in Loop: Header=BB347_10 Depth=1
	v_bfe_u32 v71, v72, 16, 1
	v_add3_u32 v71, v72, v71, s47
                                        ; implicit-def: $vgpr72
; %bb.104:                              ;   in Loop: Header=BB347_10 Depth=1
	s_andn2_saveexec_b64 s[16:17], s[0:1]
; %bb.105:                              ;   in Loop: Header=BB347_10 Depth=1
	v_or_b32_e32 v71, 0x10000, v72
	v_cmp_eq_u32_sdwa s[0:1], v72, v3 src0_sel:WORD_0 src1_sel:DWORD
	s_nop 1
	v_cndmask_b32_e64 v71, v71, v72, s[0:1]
; %bb.106:                              ;   in Loop: Header=BB347_10 Depth=1
	s_or_b64 exec, exec, s[16:17]
	global_load_ushort v73, v[8:9], off offset:1536
	s_waitcnt vmcnt(0)
	v_and_b32_sdwa v72, s45, v73 dst_sel:DWORD dst_unused:UNUSED_PAD src0_sel:DWORD src1_sel:BYTE_0
	v_cvt_f32_fp8_sdwa v72, v72 src0_sel:BYTE_0
	s_nop 0
	v_mul_f32_e32 v74, s43, v72
	v_and_b32_e32 v72, 0x7f800000, v74
	v_cmp_ne_u32_e64 s[0:1], s46, v72
                                        ; implicit-def: $vgpr72
	s_and_saveexec_b64 s[16:17], s[0:1]
	s_xor_b64 s[0:1], exec, s[16:17]
; %bb.107:                              ;   in Loop: Header=BB347_10 Depth=1
	v_bfe_u32 v72, v74, 16, 1
	v_add3_u32 v72, v74, v72, s47
                                        ; implicit-def: $vgpr74
; %bb.108:                              ;   in Loop: Header=BB347_10 Depth=1
	s_andn2_saveexec_b64 s[16:17], s[0:1]
; %bb.109:                              ;   in Loop: Header=BB347_10 Depth=1
	v_or_b32_e32 v72, 0x10000, v74
	v_cmp_eq_u32_sdwa s[0:1], v74, v3 src0_sel:WORD_0 src1_sel:DWORD
	s_nop 1
	v_cndmask_b32_e64 v72, v72, v74, s[0:1]
; %bb.110:                              ;   in Loop: Header=BB347_10 Depth=1
	s_or_b64 exec, exec, s[16:17]
	v_lshrrev_b16_e32 v73, 8, v73
	v_cvt_f32_fp8_sdwa v73, v73 src0_sel:BYTE_0
	s_nop 0
	v_mul_f32_e32 v74, s43, v73
	v_and_b32_e32 v73, 0x7f800000, v74
	v_cmp_ne_u32_e64 s[0:1], s46, v73
                                        ; implicit-def: $vgpr73
	s_and_saveexec_b64 s[16:17], s[0:1]
	s_xor_b64 s[0:1], exec, s[16:17]
; %bb.111:                              ;   in Loop: Header=BB347_10 Depth=1
	v_bfe_u32 v73, v74, 16, 1
	v_add3_u32 v73, v74, v73, s47
                                        ; implicit-def: $vgpr74
; %bb.112:                              ;   in Loop: Header=BB347_10 Depth=1
	s_andn2_saveexec_b64 s[16:17], s[0:1]
; %bb.113:                              ;   in Loop: Header=BB347_10 Depth=1
	v_or_b32_e32 v73, 0x10000, v74
	v_cmp_eq_u32_sdwa s[0:1], v74, v3 src0_sel:WORD_0 src1_sel:DWORD
	s_nop 1
	v_cndmask_b32_e64 v73, v73, v74, s[0:1]
; %bb.114:                              ;   in Loop: Header=BB347_10 Depth=1
	s_or_b64 exec, exec, s[16:17]
	global_load_ushort v9, v[8:9], off offset:1544
	s_waitcnt vmcnt(0)
	v_and_b32_sdwa v8, s45, v9 dst_sel:DWORD dst_unused:UNUSED_PAD src0_sel:DWORD src1_sel:BYTE_0
	v_cvt_f32_fp8_sdwa v8, v8 src0_sel:BYTE_0
	s_nop 0
	v_mul_f32_e32 v74, s43, v8
	v_and_b32_e32 v8, 0x7f800000, v74
	v_cmp_ne_u32_e64 s[0:1], s46, v8
                                        ; implicit-def: $vgpr8
	s_and_saveexec_b64 s[16:17], s[0:1]
	s_xor_b64 s[0:1], exec, s[16:17]
; %bb.115:                              ;   in Loop: Header=BB347_10 Depth=1
	v_bfe_u32 v8, v74, 16, 1
	v_add3_u32 v8, v74, v8, s47
                                        ; implicit-def: $vgpr74
; %bb.116:                              ;   in Loop: Header=BB347_10 Depth=1
	s_andn2_saveexec_b64 s[16:17], s[0:1]
; %bb.117:                              ;   in Loop: Header=BB347_10 Depth=1
	v_or_b32_e32 v8, 0x10000, v74
	v_cmp_eq_u32_sdwa s[0:1], v74, v3 src0_sel:WORD_0 src1_sel:DWORD
	s_nop 1
	v_cndmask_b32_e64 v8, v8, v74, s[0:1]
; %bb.118:                              ;   in Loop: Header=BB347_10 Depth=1
	s_or_b64 exec, exec, s[16:17]
	v_lshrrev_b16_e32 v9, 8, v9
	v_cvt_f32_fp8_sdwa v9, v9 src0_sel:BYTE_0
	s_nop 0
	v_mul_f32_e32 v74, s43, v9
	v_and_b32_e32 v9, 0x7f800000, v74
	v_cmp_ne_u32_e64 s[0:1], s46, v9
                                        ; implicit-def: $vgpr9
	s_and_saveexec_b64 s[16:17], s[0:1]
	s_xor_b64 s[0:1], exec, s[16:17]
; %bb.119:                              ;   in Loop: Header=BB347_10 Depth=1
	v_bfe_u32 v9, v74, 16, 1
	v_add3_u32 v9, v74, v9, s47
                                        ; implicit-def: $vgpr74
; %bb.120:                              ;   in Loop: Header=BB347_10 Depth=1
	s_andn2_saveexec_b64 s[16:17], s[0:1]
; %bb.121:                              ;   in Loop: Header=BB347_10 Depth=1
	v_or_b32_e32 v9, 0x10000, v74
	v_cmp_eq_u32_sdwa s[0:1], v74, v3 src0_sel:WORD_0 src1_sel:DWORD
	s_nop 1
	v_cndmask_b32_e64 v9, v9, v74, s[0:1]
; %bb.122:                              ;   in Loop: Header=BB347_10 Depth=1
	s_or_b64 exec, exec, s[16:17]
	v_and_b32_e32 v50, 0xffff0000, v50
	v_and_b32_e32 v51, 0xffff0000, v51
	;; [unrolled: 1-line block ×3, first 2 shown]
	v_mul_f32_e32 v50, v15, v50
	v_and_b32_e32 v49, 0xffff0000, v49
	v_fmac_f32_e32 v50, v1, v48
	v_mul_f32_e32 v48, v16, v51
	v_and_b32_e32 v53, 0xffff0000, v53
	v_and_b32_e32 v52, 0xffff0000, v52
	v_fmac_f32_e32 v48, v14, v49
	v_and_b32_e32 v55, 0xffff0000, v55
	v_and_b32_e32 v54, 0xffff0000, v54
	v_fmac_f32_e32 v50, v17, v52
	v_fmac_f32_e32 v48, v18, v53
	v_and_b32_e32 v57, 0xffff0000, v57
	v_and_b32_e32 v56, 0xffff0000, v56
	v_fmac_f32_e32 v50, v19, v54
	;; [unrolled: 4-line block ×11, first 2 shown]
	v_fmac_f32_e32 v48, v39, v73
	v_fmac_f32_e32 v50, v40, v8
	;; [unrolled: 1-line block ×3, first 2 shown]
	v_add_f32_e32 v8, v50, v48
	ds_bpermute_b32 v9, v43, v8
	s_waitcnt lgkmcnt(0)
	v_add_f32_e32 v8, v8, v9
	ds_bpermute_b32 v9, v44, v8
	s_and_saveexec_b64 s[16:17], vcc
	s_cbranch_execz .LBB347_9
; %bb.123:                              ;   in Loop: Header=BB347_10 Depth=1
	v_add_u32_e32 v48, s44, v45
	v_cvt_f32_i32_e32 v48, v48
	s_waitcnt lgkmcnt(0)
	v_add_f32_e32 v8, v8, v9
	v_cmp_gt_i32_e64 s[0:1], s29, v45
	v_max_f32_e32 v9, v42, v42
	v_mul_f32_e32 v48, s41, v48
	v_cndmask_b32_e64 v48, 0, v48, s[6:7]
	v_fmac_f32_e32 v48, s11, v8
	v_cndmask_b32_e64 v8, 0, v48, s[0:1]
	ds_write_b32 v46, v8
	v_max_f32_e32 v8, v9, v48
	v_cndmask_b32_e64 v42, v42, v8, s[0:1]
	s_branch .LBB347_9
.LBB347_124:
	s_or_b64 exec, exec, s[14:15]
.LBB347_125:
	s_or_b64 exec, exec, s[38:39]
	v_xor_b32_e32 v1, 32, v12
	v_cmp_lt_i32_e32 vcc, v1, v13
	v_xor_b32_e32 v4, 16, v12
	v_max_f32_e32 v3, v42, v42
	v_cndmask_b32_e32 v1, v12, v1, vcc
	v_lshlrev_b32_e32 v2, 2, v1
	ds_bpermute_b32 v1, v2, v42
	v_cmp_lt_i32_e32 vcc, v4, v13
	v_xor_b32_e32 v5, 8, v12
	v_lshlrev_b32_e32 v6, 2, v20
	s_waitcnt lgkmcnt(0)
	v_max_f32_e32 v1, v1, v1
	v_max_f32_e32 v1, v3, v1
	v_cndmask_b32_e32 v3, v12, v4, vcc
	v_lshlrev_b32_e32 v3, 2, v3
	ds_bpermute_b32 v4, v3, v1
	v_cmp_lt_i32_e32 vcc, v5, v13
	s_waitcnt lgkmcnt(0)
	v_max_f32_e32 v4, v4, v4
	v_max_f32_e32 v1, v1, v4
	v_cndmask_b32_e32 v4, v12, v5, vcc
	v_lshlrev_b32_e32 v8, 2, v4
	ds_bpermute_b32 v4, v8, v1
	v_xor_b32_e32 v5, 4, v12
	v_cmp_lt_i32_e32 vcc, v5, v13
	s_waitcnt lgkmcnt(0)
	v_max_f32_e32 v4, v4, v4
	v_max_f32_e32 v1, v1, v4
	v_cndmask_b32_e32 v4, v12, v5, vcc
	v_lshlrev_b32_e32 v9, 2, v4
	ds_bpermute_b32 v5, v9, v1
	v_and_b32_e32 v4, 63, v0
	v_cmp_eq_u32_e32 vcc, 0, v4
	s_and_saveexec_b64 s[0:1], vcc
	s_cbranch_execz .LBB347_127
; %bb.126:
	s_waitcnt lgkmcnt(0)
	v_max_f32_e32 v5, v5, v5
	v_max_f32_e32 v1, v1, v1
	;; [unrolled: 1-line block ×3, first 2 shown]
	ds_write_b32 v6, v1 offset:224
.LBB347_127:
	s_or_b64 exec, exec, s[0:1]
	v_cmp_gt_u32_e64 s[0:1], 2, v4
	s_waitcnt lgkmcnt(0)
	v_mov_b32_e32 v5, 0xff7fffff
	v_lshlrev_b32_e32 v7, 2, v4
	s_barrier
	s_and_saveexec_b64 s[6:7], s[0:1]
	s_cbranch_execz .LBB347_129
; %bb.128:
	ds_read_b32 v5, v7 offset:224
.LBB347_129:
	s_or_b64 exec, exec, s[6:7]
	v_xor_b32_e32 v1, 1, v12
	v_cmp_lt_i32_e64 s[6:7], v1, v13
	v_mov_b32_e32 v15, 0
	s_nop 0
	v_cndmask_b32_e64 v1, v12, v1, s[6:7]
	v_lshlrev_b32_e32 v1, 2, v1
	s_waitcnt lgkmcnt(0)
	ds_bpermute_b32 v14, v1, v5
	v_max_f32_e32 v5, v5, v5
	s_sub_i32 s6, s33, s10
	s_lshl_b32 s6, s6, 4
	s_add_i32 s6, s6, s40
	s_waitcnt lgkmcnt(0)
	v_max_f32_e32 v14, v14, v14
	v_max_f32_e32 v5, v5, v14
	v_lshlrev_b32_e32 v14, 2, v12
	v_and_b32_e32 v14, 0xffffff00, v14
	ds_bpermute_b32 v5, v14, v5
	s_min_i32 s39, s6, s29
	s_sub_i32 s38, s39, s40
	v_cmp_gt_i32_e64 s[6:7], s38, v0
	s_and_saveexec_b64 s[14:15], s[6:7]
	s_cbranch_execz .LBB347_133
; %bb.130:
	v_mov_b32_e32 v15, 0xf0
	v_lshl_add_u32 v16, v0, 2, v15
	s_mov_b64 s[16:17], 0
	v_mov_b32_e32 v15, 0
	v_mov_b32_e32 v17, v0
.LBB347_131:                            ; =>This Inner Loop Header: Depth=1
	ds_read_b32 v18, v16
	v_add_u32_e32 v17, 0x80, v17
	v_cmp_le_i32_e64 s[10:11], s38, v17
	s_or_b64 s[16:17], s[10:11], s[16:17]
	s_waitcnt lgkmcnt(0)
	v_sub_f32_e32 v18, v18, v5
	v_mul_f32_e32 v18, 0x3fb8aa3b, v18
	v_exp_f32_e32 v18, v18
	ds_write_b32 v16, v18
	v_add_f32_e32 v15, v15, v18
	v_add_u32_e32 v16, 0x200, v16
	s_andn2_b64 exec, exec, s[16:17]
	s_cbranch_execnz .LBB347_131
; %bb.132:
	s_or_b64 exec, exec, s[16:17]
.LBB347_133:
	s_or_b64 exec, exec, s[14:15]
	ds_bpermute_b32 v2, v2, v15
	s_waitcnt lgkmcnt(0)
	v_add_f32_e32 v2, v15, v2
	ds_bpermute_b32 v3, v3, v2
	s_waitcnt lgkmcnt(0)
	v_add_f32_e32 v2, v2, v3
	ds_bpermute_b32 v3, v8, v2
	v_xor_b32_e32 v8, 2, v12
	v_cmp_lt_i32_e64 s[10:11], v8, v13
	s_waitcnt lgkmcnt(0)
	v_add_f32_e32 v2, v2, v3
	ds_bpermute_b32 v3, v9, v2
	v_cndmask_b32_e64 v8, v12, v8, s[10:11]
	s_waitcnt lgkmcnt(0)
	v_add_f32_e32 v2, v2, v3
	v_lshlrev_b32_e32 v3, 2, v8
	ds_bpermute_b32 v3, v3, v2
	s_waitcnt lgkmcnt(0)
	v_add_f32_e32 v2, v2, v3
	ds_bpermute_b32 v3, v1, v2
	s_waitcnt lgkmcnt(0)
	v_add_f32_e32 v2, v2, v3
	s_and_saveexec_b64 s[10:11], vcc
	s_cbranch_execz .LBB347_135
; %bb.134:
	ds_write_b32 v6, v2 offset:232
.LBB347_135:
	s_or_b64 exec, exec, s[10:11]
	s_waitcnt lgkmcnt(0)
	s_barrier
	s_and_saveexec_b64 s[10:11], s[0:1]
	s_cbranch_execz .LBB347_137
; %bb.136:
	ds_read_b32 v2, v7 offset:232
.LBB347_137:
	s_or_b64 exec, exec, s[10:11]
	s_waitcnt lgkmcnt(0)
	ds_bpermute_b32 v3, v1, v2
	s_waitcnt lgkmcnt(0)
	v_add_f32_e32 v2, v2, v3
	ds_bpermute_b32 v6, v14, v2
	s_and_saveexec_b64 s[0:1], s[6:7]
	s_cbranch_execz .LBB347_150
; %bb.138:
	s_waitcnt lgkmcnt(0)
	v_add_f32_e32 v2, 0x358637bd, v6
	v_div_scale_f32 v3, s[6:7], v2, v2, 1.0
	v_rcp_f32_e32 v7, v3
	v_div_scale_f32 v8, vcc, 1.0, v2, 1.0
	s_movk_i32 s6, 0x7f
	v_fma_f32 v9, -v3, v7, 1.0
	v_fmac_f32_e32 v7, v9, v7
	v_mul_f32_e32 v9, v8, v7
	v_fma_f32 v12, -v3, v9, v8
	v_fmac_f32_e32 v9, v12, v7
	v_fma_f32 v3, -v3, v9, v8
	v_div_fmas_f32 v3, v3, v7, v9
	v_div_fixup_f32 v2, v3, v2, 1.0
	v_xad_u32 v3, v0, -1, s39
	v_subrev_u32_e32 v7, s40, v3
	v_cmp_lt_u32_e32 vcc, s6, v7
	s_mov_b64 s[10:11], -1
	v_mov_b32_e32 v3, v0
	s_and_saveexec_b64 s[6:7], vcc
	s_cbranch_execz .LBB347_147
; %bb.139:
	v_lshrrev_b32_e32 v7, 7, v7
	v_add_u32_e32 v9, -1, v7
	v_lshrrev_b32_e32 v8, 1, v9
	v_mov_b32_e32 v3, v2
	v_add_u32_e32 v8, 1, v8
	v_cmp_lt_u32_e32 vcc, 13, v9
	v_mov_b32_e32 v13, 0
	s_and_saveexec_b64 s[10:11], vcc
	s_cbranch_execz .LBB347_143
; %bb.140:
	v_mov_b32_e32 v12, 0xf0
	v_and_b32_e32 v9, -8, v8
	v_lshl_add_u32 v12, v0, 2, v12
	s_mov_b32 s16, 0
	s_mov_b64 s[14:15], 0
.LBB347_141:                            ; =>This Inner Loop Header: Depth=1
	ds_read2st64_b32 v[14:15], v12 offset1:2
	ds_read2st64_b32 v[16:17], v12 offset0:4 offset1:6
	ds_read2st64_b32 v[18:19], v12 offset0:8 offset1:10
	;; [unrolled: 1-line block ×3, first 2 shown]
	v_add_u32_e32 v9, -8, v9
	s_waitcnt lgkmcnt(3)
	v_pk_mul_f32 v[14:15], v[2:3], v[14:15]
	s_waitcnt lgkmcnt(2)
	v_pk_mul_f32 v[16:17], v[2:3], v[16:17]
	ds_write2st64_b32 v12, v14, v15 offset1:2
	ds_write2st64_b32 v12, v16, v17 offset0:4 offset1:6
	ds_read2st64_b32 v[16:17], v12 offset0:16 offset1:18
	s_waitcnt lgkmcnt(4)
	v_pk_mul_f32 v[14:15], v[2:3], v[18:19]
	ds_write2st64_b32 v12, v14, v15 offset0:8 offset1:10
	s_waitcnt lgkmcnt(4)
	v_pk_mul_f32 v[14:15], v[2:3], v[22:23]
	ds_write2st64_b32 v12, v14, v15 offset0:12 offset1:14
	ds_read2st64_b32 v[14:15], v12 offset0:20 offset1:22
	s_waitcnt lgkmcnt(3)
	v_pk_mul_f32 v[16:17], v[2:3], v[16:17]
	ds_read2st64_b32 v[18:19], v12 offset0:24 offset1:26
	ds_write2st64_b32 v12, v16, v17 offset0:16 offset1:18
	ds_read2st64_b32 v[16:17], v12 offset0:28 offset1:30
	s_waitcnt lgkmcnt(3)
	v_pk_mul_f32 v[14:15], v[2:3], v[14:15]
	ds_write2st64_b32 v12, v14, v15 offset0:20 offset1:22
	s_waitcnt lgkmcnt(3)
	v_pk_mul_f32 v[14:15], v[2:3], v[18:19]
	ds_write2st64_b32 v12, v14, v15 offset0:24 offset1:26
	s_waitcnt lgkmcnt(2)
	v_pk_mul_f32 v[14:15], v[2:3], v[16:17]
	s_add_i32 s16, s16, 16
	v_cmp_eq_u32_e32 vcc, 0, v9
	ds_write2st64_b32 v12, v14, v15 offset0:28 offset1:30
	v_add_u32_e32 v12, 0x2000, v12
	s_or_b64 s[14:15], vcc, s[14:15]
	v_mov_b32_e32 v13, s16
	s_andn2_b64 exec, exec, s[14:15]
	s_cbranch_execnz .LBB347_141
; %bb.142:
	s_or_b64 exec, exec, s[14:15]
.LBB347_143:
	s_or_b64 exec, exec, s[10:11]
	v_and_b32_e32 v8, 7, v8
	v_cmp_ne_u32_e32 vcc, 0, v8
	s_and_saveexec_b64 s[10:11], vcc
	s_cbranch_execz .LBB347_146
; %bb.144:
	v_lshlrev_b32_e32 v9, 9, v13
	v_lshlrev_b32_e32 v12, 2, v0
	s_movk_i32 s14, 0xf0
	v_add3_u32 v9, v9, v12, s14
	s_mov_b64 s[14:15], 0
.LBB347_145:                            ; =>This Inner Loop Header: Depth=1
	ds_read2st64_b32 v[12:13], v9 offset1:2
	v_add_u32_e32 v8, -1, v8
	v_cmp_eq_u32_e32 vcc, 0, v8
	s_or_b64 s[14:15], vcc, s[14:15]
	s_waitcnt lgkmcnt(0)
	v_pk_mul_f32 v[12:13], v[2:3], v[12:13]
	ds_write2st64_b32 v9, v12, v13 offset1:2
	v_add_u32_e32 v9, 0x400, v9
	s_andn2_b64 exec, exec, s[14:15]
	s_cbranch_execnz .LBB347_145
.LBB347_146:
	s_or_b64 exec, exec, s[10:11]
	v_add_u32_e32 v7, 1, v7
	v_and_b32_e32 v8, 0x3fffffe, v7
	v_cmp_ne_u32_e32 vcc, v7, v8
	v_lshl_add_u32 v3, v8, 7, v0
	s_orn2_b64 s[10:11], vcc, exec
.LBB347_147:
	s_or_b64 exec, exec, s[6:7]
	s_and_b64 exec, exec, s[10:11]
	s_cbranch_execz .LBB347_150
; %bb.148:
	v_mov_b32_e32 v7, 0xf0
	v_lshl_add_u32 v7, v3, 2, v7
	s_mov_b64 s[6:7], 0
.LBB347_149:                            ; =>This Inner Loop Header: Depth=1
	ds_read_b32 v8, v7
	v_add_u32_e32 v3, 0x80, v3
	v_cmp_le_i32_e32 vcc, s38, v3
	s_or_b64 s[6:7], vcc, s[6:7]
	s_waitcnt lgkmcnt(0)
	v_mul_f32_e32 v8, v2, v8
	ds_write_b32 v7, v8
	v_add_u32_e32 v7, 0x200, v7
	s_andn2_b64 exec, exec, s[6:7]
	s_cbranch_execnz .LBB347_149
.LBB347_150:
	s_or_b64 exec, exec, s[0:1]
	s_mul_i32 s0, s25, s28
	v_cmp_eq_u32_e32 vcc, 0, v0
	s_mul_i32 s6, s0, s5
	s_waitcnt lgkmcnt(0)
	s_barrier
	s_and_saveexec_b64 s[0:1], vcc
	s_cbranch_execz .LBB347_152
; %bb.151:
	s_ashr_i32 s7, s6, 31
	s_lshl_b64 s[10:11], s[6:7], 2
	s_add_u32 s5, s22, s10
	s_mul_i32 s14, s25, s2
	s_addc_u32 s7, s23, s11
	s_ashr_i32 s15, s14, 31
	s_lshl_b64 s[14:15], s[14:15], 2
	s_add_u32 s2, s5, s14
	s_addc_u32 s7, s7, s15
	s_ashr_i32 s5, s4, 31
	s_lshl_b64 s[16:17], s[4:5], 2
	s_add_u32 s22, s2, s16
	s_addc_u32 s23, s7, s17
	s_add_u32 s2, s20, s10
	s_addc_u32 s5, s21, s11
	;; [unrolled: 2-line block ×3, first 2 shown]
	s_add_u32 s10, s2, s16
	v_mov_b32_e32 v2, 0
	s_addc_u32 s11, s5, s17
	global_store_dword v2, v5, s[22:23]
	global_store_dword v2, v6, s[10:11]
.LBB347_152:
	s_or_b64 exec, exec, s[0:1]
	v_mov_b32_e32 v13, 0
	v_lshrrev_b32_e32 v23, 1, v4
	v_and_b32_e32 v22, 1, v0
	v_mov_b32_e32 v12, 0
	v_mov_b32_e32 v17, 0
	;; [unrolled: 1-line block ×3, first 2 shown]
	s_and_saveexec_b64 s[10:11], s[8:9]
	s_cbranch_execz .LBB347_454
; %bb.153:
	s_ashr_i32 s0, s12, 31
	v_lshlrev_b32_e32 v2, 3, v0
	s_add_u32 s8, s36, s12
	v_and_b32_e32 v2, 8, v2
	s_addc_u32 s9, s37, s0
	s_load_dword s18, s[18:19], 0x0
	v_or_b32_e32 v3, 0x60, v23
	s_movk_i32 s0, 0x70
	s_add_i32 s7, s3, -1
	v_cmp_gt_u32_e32 vcc, s0, v3
	v_lshl_or_b32 v18, v3, 4, v2
	v_lshl_add_u32 v3, v20, 4, s40
	s_lshl_b64 s[0:1], s[34:35], 2
	v_lshl_or_b32 v14, v23, 4, v2
	v_add3_u32 v24, v3, v2, 7
	v_lshlrev_b32_e32 v2, 5, v22
	s_add_u32 s0, s30, s0
	v_mov_b32_e32 v15, 0
	v_lshl_or_b32 v2, v20, 6, v2
	s_addc_u32 s1, s31, s1
	s_mov_b32 s5, s13
	v_mov_b32_e32 v19, v15
	v_add_u32_e32 v25, 0xf0, v2
	v_lshl_add_u64 v[20:21], v[10:11], 2, s[0:1]
	s_mov_b64 s[12:13], 0
	s_mov_b32 s19, 0x7f800000
	s_movk_i32 s20, 0x7fff
	v_mov_b32_e32 v16, v15
	v_mov_b32_e32 v17, v15
	;; [unrolled: 1-line block ×4, first 2 shown]
	s_branch .LBB347_156
.LBB347_154:                            ;   in Loop: Header=BB347_156 Depth=1
	s_or_b64 exec, exec, s[2:3]
	v_and_b32_e32 v39, 0xffff0000, v37
	v_and_b32_e32 v38, 0xffff0000, v35
	;; [unrolled: 1-line block ×8, first 2 shown]
	v_pk_add_f32 v[2:3], v[32:33], v[36:37]
	v_pk_add_f32 v[32:33], v[34:35], v[38:39]
	v_add_f32_e32 v2, v2, v3
	v_add_f32_e32 v2, v2, v32
	;; [unrolled: 1-line block ×4, first 2 shown]
.LBB347_155:                            ;   in Loop: Header=BB347_156 Depth=1
	s_or_b64 exec, exec, s[14:15]
	v_and_b32_e32 v2, 0xffff0000, v28
	v_and_b32_e32 v28, 0xffff0000, v27
	;; [unrolled: 1-line block ×8, first 2 shown]
	v_pk_add_f32 v[8:9], v[8:9], v[26:27]
	v_pk_add_f32 v[2:3], v[28:29], v[2:3]
	v_add_f32_e32 v8, v8, v9
	v_add_f32_e32 v2, v8, v2
	;; [unrolled: 1-line block ×3, first 2 shown]
	v_and_b32_e32 v27, 0xffff0000, v41
	v_and_b32_e32 v26, 0xffff0000, v7
	;; [unrolled: 1-line block ×4, first 2 shown]
	v_add_f32_e32 v16, v16, v2
	v_and_b32_e32 v3, 0xffff0000, v45
	v_and_b32_e32 v2, 0xffff0000, v43
	;; [unrolled: 1-line block ×4, first 2 shown]
	v_pk_add_f32 v[6:7], v[6:7], v[26:27]
	v_pk_add_f32 v[2:3], v[8:9], v[2:3]
	v_add_f32_e32 v6, v6, v7
	v_add_f32_e32 v2, v6, v2
	;; [unrolled: 1-line block ×3, first 2 shown]
	v_and_b32_e32 v9, 0xffff0000, v47
	v_and_b32_e32 v8, 0xffff0000, v5
	v_and_b32_e32 v5, 0xffff0000, v46
	v_and_b32_e32 v4, 0xffff0000, v4
	v_add_f32_e32 v17, v17, v2
	v_and_b32_e32 v3, 0xffff0000, v51
	v_and_b32_e32 v2, 0xffff0000, v49
	;; [unrolled: 1-line block ×4, first 2 shown]
	v_pk_add_f32 v[4:5], v[4:5], v[8:9]
	v_pk_add_f32 v[2:3], v[6:7], v[2:3]
	v_add_f32_e32 v4, v4, v5
	v_add_f32_e32 v2, v4, v2
	v_add_u32_e32 v10, 2, v10
	v_add_f32_e32 v2, v2, v3
	v_cmp_le_i32_e64 s[0:1], s33, v10
	v_add_f32_e32 v12, v12, v2
	v_add_u32_e32 v24, 32, v24
	v_add_u32_e32 v25, 0x80, v25
	s_or_b64 s[12:13], s[0:1], s[12:13]
	v_lshl_add_u64 v[20:21], v[20:21], 0, 8
	s_andn2_b64 exec, exec, s[12:13]
	s_cbranch_execz .LBB347_453
.LBB347_156:                            ; =>This Inner Loop Header: Depth=1
	global_load_dword v31, v[20:21], off
	ds_read2_b64 v[6:9], v25 offset1:1
	ds_read2_b64 v[2:5], v25 offset0:2 offset1:3
                                        ; implicit-def: $vgpr32
	s_waitcnt lgkmcnt(0)
	v_and_b32_e32 v11, 0x7f800000, v6
	v_cmp_ne_u32_e64 s[0:1], s19, v11
	s_and_saveexec_b64 s[2:3], s[0:1]
	s_xor_b64 s[0:1], exec, s[2:3]
; %bb.157:                              ;   in Loop: Header=BB347_156 Depth=1
	v_bfe_u32 v11, v6, 16, 1
	v_add3_u32 v32, v6, v11, s20
; %bb.158:                              ;   in Loop: Header=BB347_156 Depth=1
	s_andn2_saveexec_b64 s[2:3], s[0:1]
; %bb.159:                              ;   in Loop: Header=BB347_156 Depth=1
	v_or_b32_e32 v11, 0x10000, v6
	v_cmp_eq_u32_sdwa s[0:1], v6, v15 src0_sel:WORD_0 src1_sel:DWORD
	s_nop 1
	v_cndmask_b32_e64 v32, v11, v6, s[0:1]
; %bb.160:                              ;   in Loop: Header=BB347_156 Depth=1
	s_or_b64 exec, exec, s[2:3]
	v_and_b32_e32 v6, 0x7f800000, v7
	v_cmp_ne_u32_e64 s[0:1], s19, v6
                                        ; implicit-def: $vgpr33
	s_and_saveexec_b64 s[2:3], s[0:1]
	s_xor_b64 s[0:1], exec, s[2:3]
; %bb.161:                              ;   in Loop: Header=BB347_156 Depth=1
	v_bfe_u32 v6, v7, 16, 1
	v_add3_u32 v33, v7, v6, s20
; %bb.162:                              ;   in Loop: Header=BB347_156 Depth=1
	s_andn2_saveexec_b64 s[2:3], s[0:1]
; %bb.163:                              ;   in Loop: Header=BB347_156 Depth=1
	v_or_b32_e32 v6, 0x10000, v7
	v_cmp_eq_u32_sdwa s[0:1], v7, v15 src0_sel:WORD_0 src1_sel:DWORD
	s_nop 1
	v_cndmask_b32_e64 v33, v6, v7, s[0:1]
; %bb.164:                              ;   in Loop: Header=BB347_156 Depth=1
	s_or_b64 exec, exec, s[2:3]
	v_and_b32_e32 v6, 0x7f800000, v8
	v_cmp_ne_u32_e64 s[0:1], s19, v6
                                        ; implicit-def: $vgpr11
	s_and_saveexec_b64 s[2:3], s[0:1]
	s_xor_b64 s[0:1], exec, s[2:3]
; %bb.165:                              ;   in Loop: Header=BB347_156 Depth=1
	v_bfe_u32 v6, v8, 16, 1
	v_add3_u32 v11, v8, v6, s20
; %bb.166:                              ;   in Loop: Header=BB347_156 Depth=1
	s_andn2_saveexec_b64 s[2:3], s[0:1]
; %bb.167:                              ;   in Loop: Header=BB347_156 Depth=1
	v_or_b32_e32 v6, 0x10000, v8
	v_cmp_eq_u32_sdwa s[0:1], v8, v15 src0_sel:WORD_0 src1_sel:DWORD
	s_nop 1
	v_cndmask_b32_e64 v11, v6, v8, s[0:1]
; %bb.168:                              ;   in Loop: Header=BB347_156 Depth=1
	s_or_b64 exec, exec, s[2:3]
	v_and_b32_e32 v6, 0x7f800000, v9
	v_cmp_ne_u32_e64 s[0:1], s19, v6
                                        ; implicit-def: $vgpr26
	s_and_saveexec_b64 s[2:3], s[0:1]
	s_xor_b64 s[0:1], exec, s[2:3]
; %bb.169:                              ;   in Loop: Header=BB347_156 Depth=1
	v_bfe_u32 v6, v9, 16, 1
	v_add3_u32 v26, v9, v6, s20
                                        ; implicit-def: $vgpr6_vgpr7_vgpr8_vgpr9
; %bb.170:                              ;   in Loop: Header=BB347_156 Depth=1
	s_andn2_saveexec_b64 s[2:3], s[0:1]
; %bb.171:                              ;   in Loop: Header=BB347_156 Depth=1
	v_or_b32_e32 v6, 0x10000, v9
	v_cmp_eq_u32_sdwa s[0:1], v9, v15 src0_sel:WORD_0 src1_sel:DWORD
	s_nop 1
	v_cndmask_b32_e64 v26, v6, v9, s[0:1]
; %bb.172:                              ;   in Loop: Header=BB347_156 Depth=1
	s_or_b64 exec, exec, s[2:3]
	v_and_b32_e32 v6, 0x7f800000, v2
	v_cmp_ne_u32_e64 s[0:1], s19, v6
                                        ; implicit-def: $vgpr27
	s_and_saveexec_b64 s[2:3], s[0:1]
	s_xor_b64 s[0:1], exec, s[2:3]
; %bb.173:                              ;   in Loop: Header=BB347_156 Depth=1
	v_bfe_u32 v6, v2, 16, 1
	v_add3_u32 v27, v2, v6, s20
; %bb.174:                              ;   in Loop: Header=BB347_156 Depth=1
	s_andn2_saveexec_b64 s[2:3], s[0:1]
; %bb.175:                              ;   in Loop: Header=BB347_156 Depth=1
	v_or_b32_e32 v6, 0x10000, v2
	v_cmp_eq_u32_sdwa s[0:1], v2, v15 src0_sel:WORD_0 src1_sel:DWORD
	s_nop 1
	v_cndmask_b32_e64 v27, v6, v2, s[0:1]
; %bb.176:                              ;   in Loop: Header=BB347_156 Depth=1
	s_or_b64 exec, exec, s[2:3]
	v_and_b32_e32 v2, 0x7f800000, v3
	v_cmp_ne_u32_e64 s[0:1], s19, v2
                                        ; implicit-def: $vgpr28
	s_and_saveexec_b64 s[2:3], s[0:1]
	s_xor_b64 s[0:1], exec, s[2:3]
; %bb.177:                              ;   in Loop: Header=BB347_156 Depth=1
	v_bfe_u32 v2, v3, 16, 1
	v_add3_u32 v28, v3, v2, s20
; %bb.178:                              ;   in Loop: Header=BB347_156 Depth=1
	s_andn2_saveexec_b64 s[2:3], s[0:1]
; %bb.179:                              ;   in Loop: Header=BB347_156 Depth=1
	v_or_b32_e32 v2, 0x10000, v3
	v_cmp_eq_u32_sdwa s[0:1], v3, v15 src0_sel:WORD_0 src1_sel:DWORD
	s_nop 1
	v_cndmask_b32_e64 v28, v2, v3, s[0:1]
; %bb.180:                              ;   in Loop: Header=BB347_156 Depth=1
	s_or_b64 exec, exec, s[2:3]
	v_and_b32_e32 v2, 0x7f800000, v4
	v_cmp_ne_u32_e64 s[0:1], s19, v2
                                        ; implicit-def: $vgpr29
	s_and_saveexec_b64 s[2:3], s[0:1]
	s_xor_b64 s[0:1], exec, s[2:3]
; %bb.181:                              ;   in Loop: Header=BB347_156 Depth=1
	v_bfe_u32 v2, v4, 16, 1
	v_add3_u32 v29, v4, v2, s20
; %bb.182:                              ;   in Loop: Header=BB347_156 Depth=1
	s_andn2_saveexec_b64 s[2:3], s[0:1]
; %bb.183:                              ;   in Loop: Header=BB347_156 Depth=1
	v_or_b32_e32 v2, 0x10000, v4
	v_cmp_eq_u32_sdwa s[0:1], v4, v15 src0_sel:WORD_0 src1_sel:DWORD
	s_nop 1
	v_cndmask_b32_e64 v29, v2, v4, s[0:1]
; %bb.184:                              ;   in Loop: Header=BB347_156 Depth=1
	s_or_b64 exec, exec, s[2:3]
	v_and_b32_e32 v2, 0x7f800000, v5
	v_cmp_ne_u32_e64 s[0:1], s19, v2
                                        ; implicit-def: $vgpr30
	s_and_saveexec_b64 s[2:3], s[0:1]
	s_xor_b64 s[0:1], exec, s[2:3]
; %bb.185:                              ;   in Loop: Header=BB347_156 Depth=1
	v_bfe_u32 v2, v5, 16, 1
	v_add3_u32 v30, v5, v2, s20
                                        ; implicit-def: $vgpr2_vgpr3_vgpr4_vgpr5
; %bb.186:                              ;   in Loop: Header=BB347_156 Depth=1
	s_andn2_saveexec_b64 s[2:3], s[0:1]
; %bb.187:                              ;   in Loop: Header=BB347_156 Depth=1
	v_or_b32_e32 v2, 0x10000, v5
	v_cmp_eq_u32_sdwa s[0:1], v5, v15 src0_sel:WORD_0 src1_sel:DWORD
	s_nop 1
	v_cndmask_b32_e64 v30, v2, v5, s[0:1]
; %bb.188:                              ;   in Loop: Header=BB347_156 Depth=1
	s_or_b64 exec, exec, s[2:3]
	v_mov_b64_e32 v[2:3], s[8:9]
	s_waitcnt vmcnt(0)
	v_mad_i64_i32 v[2:3], s[0:1], v31, s5, v[2:3]
	v_lshl_add_u64 v[4:5], v[2:3], 0, v[14:15]
	global_load_dwordx2 v[6:7], v[4:5], off
	s_waitcnt vmcnt(0)
	v_and_b32_e32 v8, 0xff, v6
	v_cvt_f32_fp8_sdwa v8, v8 src0_sel:BYTE_0
	s_nop 0
	v_mul_f32_e32 v9, s18, v8
	v_and_b32_e32 v8, 0x7f800000, v9
	v_cmp_ne_u32_e64 s[0:1], s19, v8
                                        ; implicit-def: $vgpr8
	s_and_saveexec_b64 s[2:3], s[0:1]
	s_xor_b64 s[0:1], exec, s[2:3]
; %bb.189:                              ;   in Loop: Header=BB347_156 Depth=1
	v_bfe_u32 v8, v9, 16, 1
	v_add3_u32 v8, v9, v8, s20
                                        ; implicit-def: $vgpr9
; %bb.190:                              ;   in Loop: Header=BB347_156 Depth=1
	s_andn2_saveexec_b64 s[2:3], s[0:1]
; %bb.191:                              ;   in Loop: Header=BB347_156 Depth=1
	v_or_b32_e32 v8, 0x10000, v9
	v_cmp_eq_u32_sdwa s[0:1], v9, v15 src0_sel:WORD_0 src1_sel:DWORD
	s_nop 1
	v_cndmask_b32_e64 v8, v8, v9, s[0:1]
; %bb.192:                              ;   in Loop: Header=BB347_156 Depth=1
	s_or_b64 exec, exec, s[2:3]
	v_bfe_u32 v9, v6, 8, 8
	v_cvt_f32_fp8_sdwa v9, v9 src0_sel:BYTE_0
	s_nop 0
	v_mul_f32_e32 v31, s18, v9
	v_and_b32_e32 v9, 0x7f800000, v31
	v_cmp_ne_u32_e64 s[0:1], s19, v9
                                        ; implicit-def: $vgpr9
	s_and_saveexec_b64 s[2:3], s[0:1]
	s_xor_b64 s[0:1], exec, s[2:3]
; %bb.193:                              ;   in Loop: Header=BB347_156 Depth=1
	v_bfe_u32 v9, v31, 16, 1
	v_add3_u32 v9, v31, v9, s20
                                        ; implicit-def: $vgpr31
; %bb.194:                              ;   in Loop: Header=BB347_156 Depth=1
	s_andn2_saveexec_b64 s[2:3], s[0:1]
; %bb.195:                              ;   in Loop: Header=BB347_156 Depth=1
	v_or_b32_e32 v9, 0x10000, v31
	v_cmp_eq_u32_sdwa s[0:1], v31, v15 src0_sel:WORD_0 src1_sel:DWORD
	s_nop 1
	v_cndmask_b32_e64 v9, v9, v31, s[0:1]
; %bb.196:                              ;   in Loop: Header=BB347_156 Depth=1
	s_or_b64 exec, exec, s[2:3]
	v_bfe_u32 v31, v6, 16, 8
	v_cvt_f32_fp8_sdwa v31, v31 src0_sel:BYTE_0
	s_nop 0
	v_mul_f32_e32 v31, s18, v31
	v_and_b32_e32 v34, 0x7f800000, v31
	v_cmp_ne_u32_e64 s[0:1], s19, v34
                                        ; implicit-def: $vgpr34
	s_and_saveexec_b64 s[2:3], s[0:1]
	s_xor_b64 s[0:1], exec, s[2:3]
; %bb.197:                              ;   in Loop: Header=BB347_156 Depth=1
	v_bfe_u32 v34, v31, 16, 1
	v_add3_u32 v34, v31, v34, s20
                                        ; implicit-def: $vgpr31
; %bb.198:                              ;   in Loop: Header=BB347_156 Depth=1
	s_andn2_saveexec_b64 s[2:3], s[0:1]
; %bb.199:                              ;   in Loop: Header=BB347_156 Depth=1
	v_or_b32_e32 v34, 0x10000, v31
	v_cmp_eq_u32_sdwa s[0:1], v31, v15 src0_sel:WORD_0 src1_sel:DWORD
	s_nop 1
	v_cndmask_b32_e64 v34, v34, v31, s[0:1]
; %bb.200:                              ;   in Loop: Header=BB347_156 Depth=1
	s_or_b64 exec, exec, s[2:3]
	v_lshrrev_b32_e32 v6, 24, v6
	v_cvt_f32_fp8_sdwa v6, v6 src0_sel:BYTE_0
	s_nop 0
	v_mul_f32_e32 v31, s18, v6
	v_and_b32_e32 v6, 0x7f800000, v31
	v_cmp_ne_u32_e64 s[0:1], s19, v6
                                        ; implicit-def: $vgpr6
	s_and_saveexec_b64 s[2:3], s[0:1]
	s_xor_b64 s[0:1], exec, s[2:3]
; %bb.201:                              ;   in Loop: Header=BB347_156 Depth=1
	v_bfe_u32 v6, v31, 16, 1
	v_add3_u32 v6, v31, v6, s20
                                        ; implicit-def: $vgpr31
; %bb.202:                              ;   in Loop: Header=BB347_156 Depth=1
	s_andn2_saveexec_b64 s[2:3], s[0:1]
; %bb.203:                              ;   in Loop: Header=BB347_156 Depth=1
	v_or_b32_e32 v6, 0x10000, v31
	v_cmp_eq_u32_sdwa s[0:1], v31, v15 src0_sel:WORD_0 src1_sel:DWORD
	s_nop 1
	v_cndmask_b32_e64 v6, v6, v31, s[0:1]
; %bb.204:                              ;   in Loop: Header=BB347_156 Depth=1
	s_or_b64 exec, exec, s[2:3]
	v_and_b32_e32 v31, 0xff, v7
	v_cvt_f32_fp8_sdwa v31, v31 src0_sel:BYTE_0
	s_nop 0
	v_mul_f32_e32 v31, s18, v31
	v_and_b32_e32 v35, 0x7f800000, v31
	v_cmp_ne_u32_e64 s[0:1], s19, v35
                                        ; implicit-def: $vgpr35
	s_and_saveexec_b64 s[2:3], s[0:1]
	s_xor_b64 s[0:1], exec, s[2:3]
; %bb.205:                              ;   in Loop: Header=BB347_156 Depth=1
	v_bfe_u32 v35, v31, 16, 1
	v_add3_u32 v35, v31, v35, s20
                                        ; implicit-def: $vgpr31
; %bb.206:                              ;   in Loop: Header=BB347_156 Depth=1
	s_andn2_saveexec_b64 s[2:3], s[0:1]
; %bb.207:                              ;   in Loop: Header=BB347_156 Depth=1
	v_or_b32_e32 v35, 0x10000, v31
	v_cmp_eq_u32_sdwa s[0:1], v31, v15 src0_sel:WORD_0 src1_sel:DWORD
	s_nop 1
	v_cndmask_b32_e64 v35, v35, v31, s[0:1]
; %bb.208:                              ;   in Loop: Header=BB347_156 Depth=1
	s_or_b64 exec, exec, s[2:3]
	v_bfe_u32 v31, v7, 8, 8
	v_cvt_f32_fp8_sdwa v31, v31 src0_sel:BYTE_0
	s_nop 0
	v_mul_f32_e32 v31, s18, v31
	v_and_b32_e32 v36, 0x7f800000, v31
	v_cmp_ne_u32_e64 s[0:1], s19, v36
                                        ; implicit-def: $vgpr36
	s_and_saveexec_b64 s[2:3], s[0:1]
	s_xor_b64 s[0:1], exec, s[2:3]
; %bb.209:                              ;   in Loop: Header=BB347_156 Depth=1
	v_bfe_u32 v36, v31, 16, 1
	v_add3_u32 v36, v31, v36, s20
                                        ; implicit-def: $vgpr31
; %bb.210:                              ;   in Loop: Header=BB347_156 Depth=1
	s_andn2_saveexec_b64 s[2:3], s[0:1]
; %bb.211:                              ;   in Loop: Header=BB347_156 Depth=1
	v_or_b32_e32 v36, 0x10000, v31
	v_cmp_eq_u32_sdwa s[0:1], v31, v15 src0_sel:WORD_0 src1_sel:DWORD
	s_nop 1
	v_cndmask_b32_e64 v36, v36, v31, s[0:1]
; %bb.212:                              ;   in Loop: Header=BB347_156 Depth=1
	s_or_b64 exec, exec, s[2:3]
	v_bfe_u32 v31, v7, 16, 8
	v_cvt_f32_fp8_sdwa v31, v31 src0_sel:BYTE_0
                                        ; implicit-def: $vgpr39
	s_nop 0
	v_mul_f32_e32 v31, s18, v31
	v_and_b32_e32 v37, 0x7f800000, v31
	v_cmp_ne_u32_e64 s[0:1], s19, v37
	s_and_saveexec_b64 s[2:3], s[0:1]
	s_xor_b64 s[0:1], exec, s[2:3]
; %bb.213:                              ;   in Loop: Header=BB347_156 Depth=1
	v_bfe_u32 v37, v31, 16, 1
	v_add3_u32 v39, v31, v37, s20
                                        ; implicit-def: $vgpr31
; %bb.214:                              ;   in Loop: Header=BB347_156 Depth=1
	s_andn2_saveexec_b64 s[2:3], s[0:1]
; %bb.215:                              ;   in Loop: Header=BB347_156 Depth=1
	v_or_b32_e32 v37, 0x10000, v31
	v_cmp_eq_u32_sdwa s[0:1], v31, v15 src0_sel:WORD_0 src1_sel:DWORD
	s_nop 1
	v_cndmask_b32_e64 v39, v37, v31, s[0:1]
; %bb.216:                              ;   in Loop: Header=BB347_156 Depth=1
	s_or_b64 exec, exec, s[2:3]
	v_lshrrev_b32_e32 v7, 24, v7
	v_cvt_f32_fp8_sdwa v7, v7 src0_sel:BYTE_0
                                        ; implicit-def: $vgpr40
	s_nop 0
	v_mul_f32_e32 v7, s18, v7
	v_and_b32_e32 v31, 0x7f800000, v7
	v_cmp_ne_u32_e64 s[0:1], s19, v31
	s_and_saveexec_b64 s[2:3], s[0:1]
	s_xor_b64 s[0:1], exec, s[2:3]
; %bb.217:                              ;   in Loop: Header=BB347_156 Depth=1
	v_bfe_u32 v31, v7, 16, 1
	v_add3_u32 v40, v7, v31, s20
                                        ; implicit-def: $vgpr7
; %bb.218:                              ;   in Loop: Header=BB347_156 Depth=1
	s_andn2_saveexec_b64 s[2:3], s[0:1]
; %bb.219:                              ;   in Loop: Header=BB347_156 Depth=1
	v_or_b32_e32 v31, 0x10000, v7
	v_cmp_eq_u32_sdwa s[0:1], v7, v15 src0_sel:WORD_0 src1_sel:DWORD
	s_nop 1
	v_cndmask_b32_e64 v40, v31, v7, s[0:1]
; %bb.220:                              ;   in Loop: Header=BB347_156 Depth=1
	s_or_b64 exec, exec, s[2:3]
	v_cmp_eq_u32_e64 s[0:1], s7, v10
	v_add_u32_e32 v31, -7, v24
	v_lshrrev_b32_e32 v38, 16, v36
	v_lshrrev_b32_e32 v37, 16, v35
	;; [unrolled: 1-line block ×8, first 2 shown]
	s_and_saveexec_b64 s[14:15], s[0:1]
	s_cbranch_execz .LBB347_222
; %bb.221:                              ;   in Loop: Header=BB347_156 Depth=1
	v_cmp_gt_i32_e64 s[2:3], s29, v31
	v_add_u32_e32 v34, -6, v24
	s_nop 0
	v_cndmask_b32_e64 v8, 0, v8, s[2:3]
	v_cmp_gt_i32_e64 s[2:3], s29, v34
	v_add_u32_e32 v34, -5, v24
	s_nop 0
	v_cndmask_b32_e64 v9, 0, v9, s[2:3]
	;; [unrolled: 4-line block ×6, first 2 shown]
	v_cmp_gt_i32_e64 s[2:3], s29, v34
	s_nop 1
	v_cndmask_b32_e64 v7, 0, v7, s[2:3]
	v_cmp_gt_i32_e64 s[2:3], s29, v24
	s_nop 1
	v_cndmask_b32_e64 v6, 0, v6, s[2:3]
.LBB347_222:                            ;   in Loop: Header=BB347_156 Depth=1
	s_or_b64 exec, exec, s[14:15]
	v_and_b32_e32 v32, 0xffff0000, v32
	v_lshlrev_b32_e32 v8, 16, v8
	v_mul_f32_e32 v34, v32, v8
	v_and_b32_e32 v8, 0x7f800000, v34
	v_cmp_ne_u32_e64 s[2:3], s19, v8
                                        ; implicit-def: $vgpr8
	s_and_saveexec_b64 s[14:15], s[2:3]
	s_xor_b64 s[2:3], exec, s[14:15]
; %bb.223:                              ;   in Loop: Header=BB347_156 Depth=1
	v_bfe_u32 v8, v34, 16, 1
	v_add3_u32 v8, v34, v8, s20
                                        ; implicit-def: $vgpr34
; %bb.224:                              ;   in Loop: Header=BB347_156 Depth=1
	s_andn2_saveexec_b64 s[14:15], s[2:3]
; %bb.225:                              ;   in Loop: Header=BB347_156 Depth=1
	v_or_b32_e32 v8, 0x10000, v34
	v_cmp_eq_u32_sdwa s[2:3], v34, v15 src0_sel:WORD_0 src1_sel:DWORD
	s_nop 1
	v_cndmask_b32_e64 v8, v8, v34, s[2:3]
; %bb.226:                              ;   in Loop: Header=BB347_156 Depth=1
	s_or_b64 exec, exec, s[14:15]
	v_and_b32_e32 v33, 0xffff0000, v33
	v_lshlrev_b32_e32 v9, 16, v9
	v_mul_f32_e32 v34, v33, v9
	v_and_b32_e32 v9, 0x7f800000, v34
	v_cmp_ne_u32_e64 s[2:3], s19, v9
                                        ; implicit-def: $vgpr9
	s_and_saveexec_b64 s[14:15], s[2:3]
	s_xor_b64 s[2:3], exec, s[14:15]
; %bb.227:                              ;   in Loop: Header=BB347_156 Depth=1
	v_bfe_u32 v9, v34, 16, 1
	v_add3_u32 v9, v34, v9, s20
                                        ; implicit-def: $vgpr34
; %bb.228:                              ;   in Loop: Header=BB347_156 Depth=1
	s_andn2_saveexec_b64 s[14:15], s[2:3]
; %bb.229:                              ;   in Loop: Header=BB347_156 Depth=1
	v_or_b32_e32 v9, 0x10000, v34
	v_cmp_eq_u32_sdwa s[2:3], v34, v15 src0_sel:WORD_0 src1_sel:DWORD
	s_nop 1
	v_cndmask_b32_e64 v9, v9, v34, s[2:3]
; %bb.230:                              ;   in Loop: Header=BB347_156 Depth=1
	s_or_b64 exec, exec, s[14:15]
	v_and_b32_e32 v34, 0xffff0000, v11
	v_lshlrev_b32_e32 v11, 16, v35
	v_mul_f32_e32 v35, v34, v11
	v_and_b32_e32 v11, 0x7f800000, v35
	v_cmp_ne_u32_e64 s[2:3], s19, v11
                                        ; implicit-def: $vgpr11
	s_and_saveexec_b64 s[14:15], s[2:3]
	s_xor_b64 s[2:3], exec, s[14:15]
; %bb.231:                              ;   in Loop: Header=BB347_156 Depth=1
	v_bfe_u32 v11, v35, 16, 1
	v_add3_u32 v11, v35, v11, s20
                                        ; implicit-def: $vgpr35
; %bb.232:                              ;   in Loop: Header=BB347_156 Depth=1
	s_andn2_saveexec_b64 s[14:15], s[2:3]
; %bb.233:                              ;   in Loop: Header=BB347_156 Depth=1
	v_or_b32_e32 v11, 0x10000, v35
	v_cmp_eq_u32_sdwa s[2:3], v35, v15 src0_sel:WORD_0 src1_sel:DWORD
	s_nop 1
	v_cndmask_b32_e64 v11, v11, v35, s[2:3]
; %bb.234:                              ;   in Loop: Header=BB347_156 Depth=1
	s_or_b64 exec, exec, s[14:15]
	v_and_b32_e32 v35, 0xffff0000, v26
	v_lshlrev_b32_e32 v26, 16, v36
	v_mul_f32_e32 v36, v35, v26
	v_and_b32_e32 v26, 0x7f800000, v36
	v_cmp_ne_u32_e64 s[2:3], s19, v26
                                        ; implicit-def: $vgpr26
	s_and_saveexec_b64 s[14:15], s[2:3]
	s_xor_b64 s[2:3], exec, s[14:15]
; %bb.235:                              ;   in Loop: Header=BB347_156 Depth=1
	v_bfe_u32 v26, v36, 16, 1
	v_add3_u32 v26, v36, v26, s20
                                        ; implicit-def: $vgpr36
; %bb.236:                              ;   in Loop: Header=BB347_156 Depth=1
	s_andn2_saveexec_b64 s[14:15], s[2:3]
; %bb.237:                              ;   in Loop: Header=BB347_156 Depth=1
	v_or_b32_e32 v26, 0x10000, v36
	v_cmp_eq_u32_sdwa s[2:3], v36, v15 src0_sel:WORD_0 src1_sel:DWORD
	s_nop 1
	v_cndmask_b32_e64 v26, v26, v36, s[2:3]
; %bb.238:                              ;   in Loop: Header=BB347_156 Depth=1
	s_or_b64 exec, exec, s[14:15]
	v_and_b32_e32 v36, 0xffff0000, v27
	v_lshlrev_b32_e32 v27, 16, v37
	v_mul_f32_e32 v37, v36, v27
	v_and_b32_e32 v27, 0x7f800000, v37
	v_cmp_ne_u32_e64 s[2:3], s19, v27
                                        ; implicit-def: $vgpr27
	s_and_saveexec_b64 s[14:15], s[2:3]
	s_xor_b64 s[2:3], exec, s[14:15]
; %bb.239:                              ;   in Loop: Header=BB347_156 Depth=1
	v_bfe_u32 v27, v37, 16, 1
	v_add3_u32 v27, v37, v27, s20
                                        ; implicit-def: $vgpr37
; %bb.240:                              ;   in Loop: Header=BB347_156 Depth=1
	s_andn2_saveexec_b64 s[14:15], s[2:3]
; %bb.241:                              ;   in Loop: Header=BB347_156 Depth=1
	v_or_b32_e32 v27, 0x10000, v37
	v_cmp_eq_u32_sdwa s[2:3], v37, v15 src0_sel:WORD_0 src1_sel:DWORD
	s_nop 1
	v_cndmask_b32_e64 v27, v27, v37, s[2:3]
; %bb.242:                              ;   in Loop: Header=BB347_156 Depth=1
	s_or_b64 exec, exec, s[14:15]
	v_and_b32_e32 v37, 0xffff0000, v28
	v_lshlrev_b32_e32 v28, 16, v38
	v_mul_f32_e32 v38, v37, v28
	v_and_b32_e32 v28, 0x7f800000, v38
	v_cmp_ne_u32_e64 s[2:3], s19, v28
                                        ; implicit-def: $vgpr28
	s_and_saveexec_b64 s[14:15], s[2:3]
	s_xor_b64 s[2:3], exec, s[14:15]
; %bb.243:                              ;   in Loop: Header=BB347_156 Depth=1
	v_bfe_u32 v28, v38, 16, 1
	v_add3_u32 v28, v38, v28, s20
                                        ; implicit-def: $vgpr38
; %bb.244:                              ;   in Loop: Header=BB347_156 Depth=1
	s_andn2_saveexec_b64 s[14:15], s[2:3]
; %bb.245:                              ;   in Loop: Header=BB347_156 Depth=1
	v_or_b32_e32 v28, 0x10000, v38
	v_cmp_eq_u32_sdwa s[2:3], v38, v15 src0_sel:WORD_0 src1_sel:DWORD
	s_nop 1
	v_cndmask_b32_e64 v28, v28, v38, s[2:3]
; %bb.246:                              ;   in Loop: Header=BB347_156 Depth=1
	s_or_b64 exec, exec, s[14:15]
	v_and_b32_e32 v38, 0xffff0000, v29
	v_lshlrev_b32_e32 v7, 16, v7
	v_mul_f32_e32 v7, v38, v7
	v_and_b32_e32 v29, 0x7f800000, v7
	v_cmp_ne_u32_e64 s[2:3], s19, v29
                                        ; implicit-def: $vgpr29
	s_and_saveexec_b64 s[14:15], s[2:3]
	s_xor_b64 s[2:3], exec, s[14:15]
; %bb.247:                              ;   in Loop: Header=BB347_156 Depth=1
	v_bfe_u32 v29, v7, 16, 1
	v_add3_u32 v29, v7, v29, s20
                                        ; implicit-def: $vgpr7
; %bb.248:                              ;   in Loop: Header=BB347_156 Depth=1
	s_andn2_saveexec_b64 s[14:15], s[2:3]
; %bb.249:                              ;   in Loop: Header=BB347_156 Depth=1
	v_or_b32_e32 v29, 0x10000, v7
	v_cmp_eq_u32_sdwa s[2:3], v7, v15 src0_sel:WORD_0 src1_sel:DWORD
	s_nop 1
	v_cndmask_b32_e64 v29, v29, v7, s[2:3]
; %bb.250:                              ;   in Loop: Header=BB347_156 Depth=1
	s_or_b64 exec, exec, s[14:15]
	v_and_b32_e32 v39, 0xffff0000, v30
	v_lshlrev_b32_e32 v6, 16, v6
	v_mul_f32_e32 v6, v39, v6
	v_and_b32_e32 v7, 0x7f800000, v6
	v_cmp_ne_u32_e64 s[2:3], s19, v7
                                        ; implicit-def: $vgpr30
	s_and_saveexec_b64 s[14:15], s[2:3]
	s_xor_b64 s[2:3], exec, s[14:15]
; %bb.251:                              ;   in Loop: Header=BB347_156 Depth=1
	v_bfe_u32 v7, v6, 16, 1
	v_add3_u32 v30, v6, v7, s20
                                        ; implicit-def: $vgpr6
; %bb.252:                              ;   in Loop: Header=BB347_156 Depth=1
	s_andn2_saveexec_b64 s[14:15], s[2:3]
; %bb.253:                              ;   in Loop: Header=BB347_156 Depth=1
	v_or_b32_e32 v7, 0x10000, v6
	v_cmp_eq_u32_sdwa s[2:3], v6, v15 src0_sel:WORD_0 src1_sel:DWORD
	s_nop 1
	v_cndmask_b32_e64 v30, v7, v6, s[2:3]
; %bb.254:                              ;   in Loop: Header=BB347_156 Depth=1
	s_or_b64 exec, exec, s[14:15]
	global_load_dwordx2 v[6:7], v[4:5], off offset:512
	s_waitcnt vmcnt(0)
	v_and_b32_e32 v40, 0xff, v6
	v_cvt_f32_fp8_sdwa v40, v40 src0_sel:BYTE_0
	s_nop 0
	v_mul_f32_e32 v41, s18, v40
	v_and_b32_e32 v40, 0x7f800000, v41
	v_cmp_ne_u32_e64 s[2:3], s19, v40
                                        ; implicit-def: $vgpr40
	s_and_saveexec_b64 s[14:15], s[2:3]
	s_xor_b64 s[2:3], exec, s[14:15]
; %bb.255:                              ;   in Loop: Header=BB347_156 Depth=1
	v_bfe_u32 v40, v41, 16, 1
	v_add3_u32 v40, v41, v40, s20
                                        ; implicit-def: $vgpr41
; %bb.256:                              ;   in Loop: Header=BB347_156 Depth=1
	s_andn2_saveexec_b64 s[14:15], s[2:3]
; %bb.257:                              ;   in Loop: Header=BB347_156 Depth=1
	v_or_b32_e32 v40, 0x10000, v41
	v_cmp_eq_u32_sdwa s[2:3], v41, v15 src0_sel:WORD_0 src1_sel:DWORD
	s_nop 1
	v_cndmask_b32_e64 v40, v40, v41, s[2:3]
; %bb.258:                              ;   in Loop: Header=BB347_156 Depth=1
	s_or_b64 exec, exec, s[14:15]
	v_bfe_u32 v41, v6, 8, 8
	v_cvt_f32_fp8_sdwa v41, v41 src0_sel:BYTE_0
	s_nop 0
	v_mul_f32_e32 v42, s18, v41
	v_and_b32_e32 v41, 0x7f800000, v42
	v_cmp_ne_u32_e64 s[2:3], s19, v41
                                        ; implicit-def: $vgpr41
	s_and_saveexec_b64 s[14:15], s[2:3]
	s_xor_b64 s[2:3], exec, s[14:15]
; %bb.259:                              ;   in Loop: Header=BB347_156 Depth=1
	v_bfe_u32 v41, v42, 16, 1
	v_add3_u32 v41, v42, v41, s20
                                        ; implicit-def: $vgpr42
; %bb.260:                              ;   in Loop: Header=BB347_156 Depth=1
	s_andn2_saveexec_b64 s[14:15], s[2:3]
; %bb.261:                              ;   in Loop: Header=BB347_156 Depth=1
	v_or_b32_e32 v41, 0x10000, v42
	v_cmp_eq_u32_sdwa s[2:3], v42, v15 src0_sel:WORD_0 src1_sel:DWORD
	s_nop 1
	v_cndmask_b32_e64 v41, v41, v42, s[2:3]
; %bb.262:                              ;   in Loop: Header=BB347_156 Depth=1
	s_or_b64 exec, exec, s[14:15]
	v_bfe_u32 v42, v6, 16, 8
	v_cvt_f32_fp8_sdwa v42, v42 src0_sel:BYTE_0
	s_nop 0
	v_mul_f32_e32 v43, s18, v42
	v_and_b32_e32 v42, 0x7f800000, v43
	v_cmp_ne_u32_e64 s[2:3], s19, v42
                                        ; implicit-def: $vgpr42
	s_and_saveexec_b64 s[14:15], s[2:3]
	s_xor_b64 s[2:3], exec, s[14:15]
; %bb.263:                              ;   in Loop: Header=BB347_156 Depth=1
	v_bfe_u32 v42, v43, 16, 1
	v_add3_u32 v42, v43, v42, s20
                                        ; implicit-def: $vgpr43
; %bb.264:                              ;   in Loop: Header=BB347_156 Depth=1
	s_andn2_saveexec_b64 s[14:15], s[2:3]
; %bb.265:                              ;   in Loop: Header=BB347_156 Depth=1
	v_or_b32_e32 v42, 0x10000, v43
	v_cmp_eq_u32_sdwa s[2:3], v43, v15 src0_sel:WORD_0 src1_sel:DWORD
	s_nop 1
	v_cndmask_b32_e64 v42, v42, v43, s[2:3]
; %bb.266:                              ;   in Loop: Header=BB347_156 Depth=1
	s_or_b64 exec, exec, s[14:15]
	v_lshrrev_b32_e32 v6, 24, v6
	v_cvt_f32_fp8_sdwa v6, v6 src0_sel:BYTE_0
	s_nop 0
	v_mul_f32_e32 v43, s18, v6
	v_and_b32_e32 v6, 0x7f800000, v43
	v_cmp_ne_u32_e64 s[2:3], s19, v6
                                        ; implicit-def: $vgpr6
	s_and_saveexec_b64 s[14:15], s[2:3]
	s_xor_b64 s[2:3], exec, s[14:15]
; %bb.267:                              ;   in Loop: Header=BB347_156 Depth=1
	v_bfe_u32 v6, v43, 16, 1
	v_add3_u32 v6, v43, v6, s20
                                        ; implicit-def: $vgpr43
; %bb.268:                              ;   in Loop: Header=BB347_156 Depth=1
	s_andn2_saveexec_b64 s[14:15], s[2:3]
; %bb.269:                              ;   in Loop: Header=BB347_156 Depth=1
	v_or_b32_e32 v6, 0x10000, v43
	v_cmp_eq_u32_sdwa s[2:3], v43, v15 src0_sel:WORD_0 src1_sel:DWORD
	s_nop 1
	v_cndmask_b32_e64 v6, v6, v43, s[2:3]
; %bb.270:                              ;   in Loop: Header=BB347_156 Depth=1
	s_or_b64 exec, exec, s[14:15]
	v_and_b32_e32 v43, 0xff, v7
	v_cvt_f32_fp8_sdwa v43, v43 src0_sel:BYTE_0
	s_nop 0
	v_mul_f32_e32 v43, s18, v43
	v_and_b32_e32 v44, 0x7f800000, v43
	v_cmp_ne_u32_e64 s[2:3], s19, v44
                                        ; implicit-def: $vgpr44
	s_and_saveexec_b64 s[14:15], s[2:3]
	s_xor_b64 s[2:3], exec, s[14:15]
; %bb.271:                              ;   in Loop: Header=BB347_156 Depth=1
	v_bfe_u32 v44, v43, 16, 1
	v_add3_u32 v44, v43, v44, s20
                                        ; implicit-def: $vgpr43
; %bb.272:                              ;   in Loop: Header=BB347_156 Depth=1
	s_andn2_saveexec_b64 s[14:15], s[2:3]
; %bb.273:                              ;   in Loop: Header=BB347_156 Depth=1
	v_or_b32_e32 v44, 0x10000, v43
	v_cmp_eq_u32_sdwa s[2:3], v43, v15 src0_sel:WORD_0 src1_sel:DWORD
	s_nop 1
	v_cndmask_b32_e64 v44, v44, v43, s[2:3]
; %bb.274:                              ;   in Loop: Header=BB347_156 Depth=1
	s_or_b64 exec, exec, s[14:15]
	v_bfe_u32 v43, v7, 8, 8
	v_cvt_f32_fp8_sdwa v43, v43 src0_sel:BYTE_0
	s_nop 0
	v_mul_f32_e32 v45, s18, v43
	v_and_b32_e32 v43, 0x7f800000, v45
	v_cmp_ne_u32_e64 s[2:3], s19, v43
                                        ; implicit-def: $vgpr43
	s_and_saveexec_b64 s[14:15], s[2:3]
	s_xor_b64 s[2:3], exec, s[14:15]
; %bb.275:                              ;   in Loop: Header=BB347_156 Depth=1
	v_bfe_u32 v43, v45, 16, 1
	v_add3_u32 v43, v45, v43, s20
                                        ; implicit-def: $vgpr45
; %bb.276:                              ;   in Loop: Header=BB347_156 Depth=1
	s_andn2_saveexec_b64 s[14:15], s[2:3]
; %bb.277:                              ;   in Loop: Header=BB347_156 Depth=1
	v_or_b32_e32 v43, 0x10000, v45
	v_cmp_eq_u32_sdwa s[2:3], v45, v15 src0_sel:WORD_0 src1_sel:DWORD
	s_nop 1
	v_cndmask_b32_e64 v43, v43, v45, s[2:3]
; %bb.278:                              ;   in Loop: Header=BB347_156 Depth=1
	s_or_b64 exec, exec, s[14:15]
	v_bfe_u32 v45, v7, 16, 8
	v_cvt_f32_fp8_sdwa v45, v45 src0_sel:BYTE_0
	s_nop 0
	v_mul_f32_e32 v46, s18, v45
	v_and_b32_e32 v45, 0x7f800000, v46
	v_cmp_ne_u32_e64 s[2:3], s19, v45
                                        ; implicit-def: $vgpr45
	s_and_saveexec_b64 s[14:15], s[2:3]
	s_xor_b64 s[2:3], exec, s[14:15]
; %bb.279:                              ;   in Loop: Header=BB347_156 Depth=1
	v_bfe_u32 v45, v46, 16, 1
	v_add3_u32 v45, v46, v45, s20
                                        ; implicit-def: $vgpr46
; %bb.280:                              ;   in Loop: Header=BB347_156 Depth=1
	s_andn2_saveexec_b64 s[14:15], s[2:3]
; %bb.281:                              ;   in Loop: Header=BB347_156 Depth=1
	v_or_b32_e32 v45, 0x10000, v46
	v_cmp_eq_u32_sdwa s[2:3], v46, v15 src0_sel:WORD_0 src1_sel:DWORD
	s_nop 1
	v_cndmask_b32_e64 v45, v45, v46, s[2:3]
; %bb.282:                              ;   in Loop: Header=BB347_156 Depth=1
	s_or_b64 exec, exec, s[14:15]
	v_lshrrev_b32_e32 v7, 24, v7
	v_cvt_f32_fp8_sdwa v7, v7 src0_sel:BYTE_0
                                        ; implicit-def: $vgpr48
	s_nop 0
	v_mul_f32_e32 v7, s18, v7
	v_and_b32_e32 v46, 0x7f800000, v7
	v_cmp_ne_u32_e64 s[2:3], s19, v46
	s_and_saveexec_b64 s[14:15], s[2:3]
	s_xor_b64 s[2:3], exec, s[14:15]
; %bb.283:                              ;   in Loop: Header=BB347_156 Depth=1
	v_bfe_u32 v46, v7, 16, 1
	v_add3_u32 v48, v7, v46, s20
                                        ; implicit-def: $vgpr7
; %bb.284:                              ;   in Loop: Header=BB347_156 Depth=1
	s_andn2_saveexec_b64 s[14:15], s[2:3]
; %bb.285:                              ;   in Loop: Header=BB347_156 Depth=1
	v_or_b32_e32 v46, 0x10000, v7
	v_cmp_eq_u32_sdwa s[2:3], v7, v15 src0_sel:WORD_0 src1_sel:DWORD
	s_nop 1
	v_cndmask_b32_e64 v48, v46, v7, s[2:3]
; %bb.286:                              ;   in Loop: Header=BB347_156 Depth=1
	s_or_b64 exec, exec, s[14:15]
	v_lshrrev_b32_e32 v43, 16, v43
	v_lshrrev_b32_e32 v46, 16, v44
	;; [unrolled: 1-line block ×8, first 2 shown]
	s_and_saveexec_b64 s[14:15], s[0:1]
	s_cbranch_execz .LBB347_288
; %bb.287:                              ;   in Loop: Header=BB347_156 Depth=1
	v_cmp_gt_i32_e64 s[2:3], s29, v31
	v_add_u32_e32 v40, -6, v24
	s_nop 0
	v_cndmask_b32_e64 v6, 0, v6, s[2:3]
	v_cmp_gt_i32_e64 s[2:3], s29, v40
	v_add_u32_e32 v40, -5, v24
	s_nop 0
	v_cndmask_b32_e64 v7, 0, v7, s[2:3]
	;; [unrolled: 4-line block ×6, first 2 shown]
	v_cmp_gt_i32_e64 s[2:3], s29, v40
	s_nop 1
	v_cndmask_b32_e64 v44, 0, v44, s[2:3]
	v_cmp_gt_i32_e64 s[2:3], s29, v24
	s_nop 1
	v_cndmask_b32_e64 v45, 0, v45, s[2:3]
.LBB347_288:                            ;   in Loop: Header=BB347_156 Depth=1
	s_or_b64 exec, exec, s[14:15]
	v_lshlrev_b32_e32 v6, 16, v6
	v_mul_f32_e32 v40, v32, v6
	v_and_b32_e32 v6, 0x7f800000, v40
	v_cmp_ne_u32_e64 s[2:3], s19, v6
                                        ; implicit-def: $vgpr6
	s_and_saveexec_b64 s[14:15], s[2:3]
	s_xor_b64 s[2:3], exec, s[14:15]
; %bb.289:                              ;   in Loop: Header=BB347_156 Depth=1
	v_bfe_u32 v6, v40, 16, 1
	v_add3_u32 v6, v40, v6, s20
                                        ; implicit-def: $vgpr40
; %bb.290:                              ;   in Loop: Header=BB347_156 Depth=1
	s_andn2_saveexec_b64 s[14:15], s[2:3]
; %bb.291:                              ;   in Loop: Header=BB347_156 Depth=1
	v_or_b32_e32 v6, 0x10000, v40
	v_cmp_eq_u32_sdwa s[2:3], v40, v15 src0_sel:WORD_0 src1_sel:DWORD
	s_nop 1
	v_cndmask_b32_e64 v6, v6, v40, s[2:3]
; %bb.292:                              ;   in Loop: Header=BB347_156 Depth=1
	s_or_b64 exec, exec, s[14:15]
	v_lshlrev_b32_e32 v7, 16, v7
	v_mul_f32_e32 v40, v33, v7
	v_and_b32_e32 v7, 0x7f800000, v40
	v_cmp_ne_u32_e64 s[2:3], s19, v7
                                        ; implicit-def: $vgpr7
	s_and_saveexec_b64 s[14:15], s[2:3]
	s_xor_b64 s[2:3], exec, s[14:15]
; %bb.293:                              ;   in Loop: Header=BB347_156 Depth=1
	v_bfe_u32 v7, v40, 16, 1
	v_add3_u32 v7, v40, v7, s20
                                        ; implicit-def: $vgpr40
; %bb.294:                              ;   in Loop: Header=BB347_156 Depth=1
	s_andn2_saveexec_b64 s[14:15], s[2:3]
; %bb.295:                              ;   in Loop: Header=BB347_156 Depth=1
	v_or_b32_e32 v7, 0x10000, v40
	v_cmp_eq_u32_sdwa s[2:3], v40, v15 src0_sel:WORD_0 src1_sel:DWORD
	s_nop 1
	v_cndmask_b32_e64 v7, v7, v40, s[2:3]
; %bb.296:                              ;   in Loop: Header=BB347_156 Depth=1
	s_or_b64 exec, exec, s[14:15]
	v_lshlrev_b32_e32 v40, 16, v42
	v_mul_f32_e32 v41, v34, v40
	v_and_b32_e32 v40, 0x7f800000, v41
	v_cmp_ne_u32_e64 s[2:3], s19, v40
                                        ; implicit-def: $vgpr40
	s_and_saveexec_b64 s[14:15], s[2:3]
	s_xor_b64 s[2:3], exec, s[14:15]
; %bb.297:                              ;   in Loop: Header=BB347_156 Depth=1
	v_bfe_u32 v40, v41, 16, 1
	v_add3_u32 v40, v41, v40, s20
                                        ; implicit-def: $vgpr41
; %bb.298:                              ;   in Loop: Header=BB347_156 Depth=1
	s_andn2_saveexec_b64 s[14:15], s[2:3]
; %bb.299:                              ;   in Loop: Header=BB347_156 Depth=1
	v_or_b32_e32 v40, 0x10000, v41
	v_cmp_eq_u32_sdwa s[2:3], v41, v15 src0_sel:WORD_0 src1_sel:DWORD
	s_nop 1
	v_cndmask_b32_e64 v40, v40, v41, s[2:3]
; %bb.300:                              ;   in Loop: Header=BB347_156 Depth=1
	s_or_b64 exec, exec, s[14:15]
	v_lshlrev_b32_e32 v41, 16, v47
	v_mul_f32_e32 v42, v35, v41
	v_and_b32_e32 v41, 0x7f800000, v42
	v_cmp_ne_u32_e64 s[2:3], s19, v41
                                        ; implicit-def: $vgpr41
	s_and_saveexec_b64 s[14:15], s[2:3]
	s_xor_b64 s[2:3], exec, s[14:15]
; %bb.301:                              ;   in Loop: Header=BB347_156 Depth=1
	v_bfe_u32 v41, v42, 16, 1
	v_add3_u32 v41, v42, v41, s20
                                        ; implicit-def: $vgpr42
; %bb.302:                              ;   in Loop: Header=BB347_156 Depth=1
	s_andn2_saveexec_b64 s[14:15], s[2:3]
; %bb.303:                              ;   in Loop: Header=BB347_156 Depth=1
	v_or_b32_e32 v41, 0x10000, v42
	v_cmp_eq_u32_sdwa s[2:3], v42, v15 src0_sel:WORD_0 src1_sel:DWORD
	s_nop 1
	v_cndmask_b32_e64 v41, v41, v42, s[2:3]
; %bb.304:                              ;   in Loop: Header=BB347_156 Depth=1
	s_or_b64 exec, exec, s[14:15]
	v_lshlrev_b32_e32 v42, 16, v46
	v_mul_f32_e32 v46, v36, v42
	v_and_b32_e32 v42, 0x7f800000, v46
	v_cmp_ne_u32_e64 s[2:3], s19, v42
                                        ; implicit-def: $vgpr42
	s_and_saveexec_b64 s[14:15], s[2:3]
	s_xor_b64 s[2:3], exec, s[14:15]
; %bb.305:                              ;   in Loop: Header=BB347_156 Depth=1
	v_bfe_u32 v42, v46, 16, 1
	v_add3_u32 v42, v46, v42, s20
                                        ; implicit-def: $vgpr46
; %bb.306:                              ;   in Loop: Header=BB347_156 Depth=1
	s_andn2_saveexec_b64 s[14:15], s[2:3]
; %bb.307:                              ;   in Loop: Header=BB347_156 Depth=1
	v_or_b32_e32 v42, 0x10000, v46
	v_cmp_eq_u32_sdwa s[2:3], v46, v15 src0_sel:WORD_0 src1_sel:DWORD
	s_nop 1
	v_cndmask_b32_e64 v42, v42, v46, s[2:3]
; %bb.308:                              ;   in Loop: Header=BB347_156 Depth=1
	s_or_b64 exec, exec, s[14:15]
	v_lshlrev_b32_e32 v43, 16, v43
	v_mul_f32_e32 v46, v37, v43
	v_and_b32_e32 v43, 0x7f800000, v46
	v_cmp_ne_u32_e64 s[2:3], s19, v43
                                        ; implicit-def: $vgpr43
	s_and_saveexec_b64 s[14:15], s[2:3]
	s_xor_b64 s[2:3], exec, s[14:15]
; %bb.309:                              ;   in Loop: Header=BB347_156 Depth=1
	v_bfe_u32 v43, v46, 16, 1
	v_add3_u32 v43, v46, v43, s20
                                        ; implicit-def: $vgpr46
; %bb.310:                              ;   in Loop: Header=BB347_156 Depth=1
	s_andn2_saveexec_b64 s[14:15], s[2:3]
; %bb.311:                              ;   in Loop: Header=BB347_156 Depth=1
	v_or_b32_e32 v43, 0x10000, v46
	v_cmp_eq_u32_sdwa s[2:3], v46, v15 src0_sel:WORD_0 src1_sel:DWORD
	s_nop 1
	v_cndmask_b32_e64 v43, v43, v46, s[2:3]
; %bb.312:                              ;   in Loop: Header=BB347_156 Depth=1
	s_or_b64 exec, exec, s[14:15]
	v_lshlrev_b32_e32 v44, 16, v44
	v_mul_f32_e32 v46, v38, v44
	v_and_b32_e32 v44, 0x7f800000, v46
	v_cmp_ne_u32_e64 s[2:3], s19, v44
                                        ; implicit-def: $vgpr44
	s_and_saveexec_b64 s[14:15], s[2:3]
	s_xor_b64 s[2:3], exec, s[14:15]
; %bb.313:                              ;   in Loop: Header=BB347_156 Depth=1
	v_bfe_u32 v44, v46, 16, 1
	v_add3_u32 v44, v46, v44, s20
                                        ; implicit-def: $vgpr46
; %bb.314:                              ;   in Loop: Header=BB347_156 Depth=1
	s_andn2_saveexec_b64 s[14:15], s[2:3]
; %bb.315:                              ;   in Loop: Header=BB347_156 Depth=1
	v_or_b32_e32 v44, 0x10000, v46
	v_cmp_eq_u32_sdwa s[2:3], v46, v15 src0_sel:WORD_0 src1_sel:DWORD
	s_nop 1
	v_cndmask_b32_e64 v44, v44, v46, s[2:3]
; %bb.316:                              ;   in Loop: Header=BB347_156 Depth=1
	s_or_b64 exec, exec, s[14:15]
	v_lshlrev_b32_e32 v45, 16, v45
	v_mul_f32_e32 v46, v39, v45
	v_and_b32_e32 v45, 0x7f800000, v46
	v_cmp_ne_u32_e64 s[2:3], s19, v45
                                        ; implicit-def: $vgpr45
	s_and_saveexec_b64 s[14:15], s[2:3]
	s_xor_b64 s[2:3], exec, s[14:15]
; %bb.317:                              ;   in Loop: Header=BB347_156 Depth=1
	v_bfe_u32 v45, v46, 16, 1
	v_add3_u32 v45, v46, v45, s20
                                        ; implicit-def: $vgpr46
; %bb.318:                              ;   in Loop: Header=BB347_156 Depth=1
	s_andn2_saveexec_b64 s[14:15], s[2:3]
; %bb.319:                              ;   in Loop: Header=BB347_156 Depth=1
	v_or_b32_e32 v45, 0x10000, v46
	v_cmp_eq_u32_sdwa s[2:3], v46, v15 src0_sel:WORD_0 src1_sel:DWORD
	s_nop 1
	v_cndmask_b32_e64 v45, v45, v46, s[2:3]
; %bb.320:                              ;   in Loop: Header=BB347_156 Depth=1
	s_or_b64 exec, exec, s[14:15]
	global_load_dwordx2 v[4:5], v[4:5], off offset:1024
	s_waitcnt vmcnt(0)
	v_and_b32_e32 v46, 0xff, v4
	v_cvt_f32_fp8_sdwa v46, v46 src0_sel:BYTE_0
	s_nop 0
	v_mul_f32_e32 v47, s18, v46
	v_and_b32_e32 v46, 0x7f800000, v47
	v_cmp_ne_u32_e64 s[2:3], s19, v46
                                        ; implicit-def: $vgpr46
	s_and_saveexec_b64 s[14:15], s[2:3]
	s_xor_b64 s[2:3], exec, s[14:15]
; %bb.321:                              ;   in Loop: Header=BB347_156 Depth=1
	v_bfe_u32 v46, v47, 16, 1
	v_add3_u32 v46, v47, v46, s20
                                        ; implicit-def: $vgpr47
; %bb.322:                              ;   in Loop: Header=BB347_156 Depth=1
	s_andn2_saveexec_b64 s[14:15], s[2:3]
; %bb.323:                              ;   in Loop: Header=BB347_156 Depth=1
	v_or_b32_e32 v46, 0x10000, v47
	v_cmp_eq_u32_sdwa s[2:3], v47, v15 src0_sel:WORD_0 src1_sel:DWORD
	s_nop 1
	v_cndmask_b32_e64 v46, v46, v47, s[2:3]
; %bb.324:                              ;   in Loop: Header=BB347_156 Depth=1
	s_or_b64 exec, exec, s[14:15]
	v_bfe_u32 v47, v4, 8, 8
	v_cvt_f32_fp8_sdwa v47, v47 src0_sel:BYTE_0
	s_nop 0
	v_mul_f32_e32 v48, s18, v47
	v_and_b32_e32 v47, 0x7f800000, v48
	v_cmp_ne_u32_e64 s[2:3], s19, v47
                                        ; implicit-def: $vgpr47
	s_and_saveexec_b64 s[14:15], s[2:3]
	s_xor_b64 s[2:3], exec, s[14:15]
; %bb.325:                              ;   in Loop: Header=BB347_156 Depth=1
	v_bfe_u32 v47, v48, 16, 1
	v_add3_u32 v47, v48, v47, s20
                                        ; implicit-def: $vgpr48
; %bb.326:                              ;   in Loop: Header=BB347_156 Depth=1
	s_andn2_saveexec_b64 s[14:15], s[2:3]
; %bb.327:                              ;   in Loop: Header=BB347_156 Depth=1
	v_or_b32_e32 v47, 0x10000, v48
	v_cmp_eq_u32_sdwa s[2:3], v48, v15 src0_sel:WORD_0 src1_sel:DWORD
	s_nop 1
	v_cndmask_b32_e64 v47, v47, v48, s[2:3]
; %bb.328:                              ;   in Loop: Header=BB347_156 Depth=1
	s_or_b64 exec, exec, s[14:15]
	v_bfe_u32 v48, v4, 16, 8
	v_cvt_f32_fp8_sdwa v48, v48 src0_sel:BYTE_0
	s_nop 0
	v_mul_f32_e32 v49, s18, v48
	v_and_b32_e32 v48, 0x7f800000, v49
	v_cmp_ne_u32_e64 s[2:3], s19, v48
                                        ; implicit-def: $vgpr48
	s_and_saveexec_b64 s[14:15], s[2:3]
	s_xor_b64 s[2:3], exec, s[14:15]
; %bb.329:                              ;   in Loop: Header=BB347_156 Depth=1
	v_bfe_u32 v48, v49, 16, 1
	v_add3_u32 v48, v49, v48, s20
                                        ; implicit-def: $vgpr49
; %bb.330:                              ;   in Loop: Header=BB347_156 Depth=1
	s_andn2_saveexec_b64 s[14:15], s[2:3]
; %bb.331:                              ;   in Loop: Header=BB347_156 Depth=1
	v_or_b32_e32 v48, 0x10000, v49
	v_cmp_eq_u32_sdwa s[2:3], v49, v15 src0_sel:WORD_0 src1_sel:DWORD
	s_nop 1
	v_cndmask_b32_e64 v48, v48, v49, s[2:3]
; %bb.332:                              ;   in Loop: Header=BB347_156 Depth=1
	s_or_b64 exec, exec, s[14:15]
	v_lshrrev_b32_e32 v4, 24, v4
	v_cvt_f32_fp8_sdwa v4, v4 src0_sel:BYTE_0
	s_nop 0
	v_mul_f32_e32 v49, s18, v4
	v_and_b32_e32 v4, 0x7f800000, v49
	v_cmp_ne_u32_e64 s[2:3], s19, v4
                                        ; implicit-def: $vgpr4
	s_and_saveexec_b64 s[14:15], s[2:3]
	s_xor_b64 s[2:3], exec, s[14:15]
; %bb.333:                              ;   in Loop: Header=BB347_156 Depth=1
	v_bfe_u32 v4, v49, 16, 1
	v_add3_u32 v4, v49, v4, s20
                                        ; implicit-def: $vgpr49
; %bb.334:                              ;   in Loop: Header=BB347_156 Depth=1
	s_andn2_saveexec_b64 s[14:15], s[2:3]
; %bb.335:                              ;   in Loop: Header=BB347_156 Depth=1
	v_or_b32_e32 v4, 0x10000, v49
	v_cmp_eq_u32_sdwa s[2:3], v49, v15 src0_sel:WORD_0 src1_sel:DWORD
	s_nop 1
	v_cndmask_b32_e64 v4, v4, v49, s[2:3]
; %bb.336:                              ;   in Loop: Header=BB347_156 Depth=1
	s_or_b64 exec, exec, s[14:15]
	v_and_b32_e32 v49, 0xff, v5
	v_cvt_f32_fp8_sdwa v49, v49 src0_sel:BYTE_0
	s_nop 0
	v_mul_f32_e32 v49, s18, v49
	v_and_b32_e32 v50, 0x7f800000, v49
	v_cmp_ne_u32_e64 s[2:3], s19, v50
                                        ; implicit-def: $vgpr50
	s_and_saveexec_b64 s[14:15], s[2:3]
	s_xor_b64 s[2:3], exec, s[14:15]
; %bb.337:                              ;   in Loop: Header=BB347_156 Depth=1
	v_bfe_u32 v50, v49, 16, 1
	v_add3_u32 v50, v49, v50, s20
                                        ; implicit-def: $vgpr49
; %bb.338:                              ;   in Loop: Header=BB347_156 Depth=1
	s_andn2_saveexec_b64 s[14:15], s[2:3]
; %bb.339:                              ;   in Loop: Header=BB347_156 Depth=1
	v_or_b32_e32 v50, 0x10000, v49
	v_cmp_eq_u32_sdwa s[2:3], v49, v15 src0_sel:WORD_0 src1_sel:DWORD
	s_nop 1
	v_cndmask_b32_e64 v50, v50, v49, s[2:3]
; %bb.340:                              ;   in Loop: Header=BB347_156 Depth=1
	s_or_b64 exec, exec, s[14:15]
	v_bfe_u32 v49, v5, 8, 8
	v_cvt_f32_fp8_sdwa v49, v49 src0_sel:BYTE_0
	s_nop 0
	v_mul_f32_e32 v51, s18, v49
	v_and_b32_e32 v49, 0x7f800000, v51
	v_cmp_ne_u32_e64 s[2:3], s19, v49
                                        ; implicit-def: $vgpr49
	s_and_saveexec_b64 s[14:15], s[2:3]
	s_xor_b64 s[2:3], exec, s[14:15]
; %bb.341:                              ;   in Loop: Header=BB347_156 Depth=1
	v_bfe_u32 v49, v51, 16, 1
	v_add3_u32 v49, v51, v49, s20
                                        ; implicit-def: $vgpr51
; %bb.342:                              ;   in Loop: Header=BB347_156 Depth=1
	s_andn2_saveexec_b64 s[14:15], s[2:3]
; %bb.343:                              ;   in Loop: Header=BB347_156 Depth=1
	v_or_b32_e32 v49, 0x10000, v51
	v_cmp_eq_u32_sdwa s[2:3], v51, v15 src0_sel:WORD_0 src1_sel:DWORD
	s_nop 1
	v_cndmask_b32_e64 v49, v49, v51, s[2:3]
; %bb.344:                              ;   in Loop: Header=BB347_156 Depth=1
	s_or_b64 exec, exec, s[14:15]
	v_bfe_u32 v51, v5, 16, 8
	v_cvt_f32_fp8_sdwa v51, v51 src0_sel:BYTE_0
	s_nop 0
	v_mul_f32_e32 v52, s18, v51
	v_and_b32_e32 v51, 0x7f800000, v52
	v_cmp_ne_u32_e64 s[2:3], s19, v51
                                        ; implicit-def: $vgpr51
	s_and_saveexec_b64 s[14:15], s[2:3]
	s_xor_b64 s[2:3], exec, s[14:15]
; %bb.345:                              ;   in Loop: Header=BB347_156 Depth=1
	v_bfe_u32 v51, v52, 16, 1
	v_add3_u32 v51, v52, v51, s20
                                        ; implicit-def: $vgpr52
; %bb.346:                              ;   in Loop: Header=BB347_156 Depth=1
	s_andn2_saveexec_b64 s[14:15], s[2:3]
; %bb.347:                              ;   in Loop: Header=BB347_156 Depth=1
	v_or_b32_e32 v51, 0x10000, v52
	v_cmp_eq_u32_sdwa s[2:3], v52, v15 src0_sel:WORD_0 src1_sel:DWORD
	s_nop 1
	v_cndmask_b32_e64 v51, v51, v52, s[2:3]
; %bb.348:                              ;   in Loop: Header=BB347_156 Depth=1
	s_or_b64 exec, exec, s[14:15]
	v_lshrrev_b32_e32 v5, 24, v5
	v_cvt_f32_fp8_sdwa v5, v5 src0_sel:BYTE_0
                                        ; implicit-def: $vgpr54
	s_nop 0
	v_mul_f32_e32 v5, s18, v5
	v_and_b32_e32 v52, 0x7f800000, v5
	v_cmp_ne_u32_e64 s[2:3], s19, v52
	s_and_saveexec_b64 s[14:15], s[2:3]
	s_xor_b64 s[2:3], exec, s[14:15]
; %bb.349:                              ;   in Loop: Header=BB347_156 Depth=1
	v_bfe_u32 v52, v5, 16, 1
	v_add3_u32 v54, v5, v52, s20
                                        ; implicit-def: $vgpr5
; %bb.350:                              ;   in Loop: Header=BB347_156 Depth=1
	s_andn2_saveexec_b64 s[14:15], s[2:3]
; %bb.351:                              ;   in Loop: Header=BB347_156 Depth=1
	v_or_b32_e32 v52, 0x10000, v5
	v_cmp_eq_u32_sdwa s[2:3], v5, v15 src0_sel:WORD_0 src1_sel:DWORD
	s_nop 1
	v_cndmask_b32_e64 v54, v52, v5, s[2:3]
; %bb.352:                              ;   in Loop: Header=BB347_156 Depth=1
	s_or_b64 exec, exec, s[14:15]
	v_lshrrev_b32_e32 v49, 16, v49
	v_lshrrev_b32_e32 v52, 16, v50
	v_lshrrev_b32_e32 v53, 16, v4
	v_lshrrev_b32_e32 v48, 16, v48
	v_lshrrev_b32_e32 v5, 16, v47
	v_lshrrev_b32_e32 v4, 16, v46
	v_lshrrev_b32_e32 v50, 16, v51
	v_lshrrev_b32_e32 v51, 16, v54
	s_and_saveexec_b64 s[14:15], s[0:1]
	s_cbranch_execz .LBB347_354
; %bb.353:                              ;   in Loop: Header=BB347_156 Depth=1
	v_cmp_gt_i32_e64 s[2:3], s29, v31
	v_add_u32_e32 v46, -6, v24
	s_nop 0
	v_cndmask_b32_e64 v4, 0, v4, s[2:3]
	v_cmp_gt_i32_e64 s[2:3], s29, v46
	v_add_u32_e32 v46, -5, v24
	s_nop 0
	v_cndmask_b32_e64 v5, 0, v5, s[2:3]
	;; [unrolled: 4-line block ×6, first 2 shown]
	v_cmp_gt_i32_e64 s[2:3], s29, v46
	s_nop 1
	v_cndmask_b32_e64 v50, 0, v50, s[2:3]
	v_cmp_gt_i32_e64 s[2:3], s29, v24
	s_nop 1
	v_cndmask_b32_e64 v51, 0, v51, s[2:3]
.LBB347_354:                            ;   in Loop: Header=BB347_156 Depth=1
	s_or_b64 exec, exec, s[14:15]
	v_lshlrev_b32_e32 v4, 16, v4
	v_mul_f32_e32 v46, v32, v4
	v_and_b32_e32 v4, 0x7f800000, v46
	v_cmp_ne_u32_e64 s[2:3], s19, v4
                                        ; implicit-def: $vgpr4
	s_and_saveexec_b64 s[14:15], s[2:3]
	s_xor_b64 s[2:3], exec, s[14:15]
; %bb.355:                              ;   in Loop: Header=BB347_156 Depth=1
	v_bfe_u32 v4, v46, 16, 1
	v_add3_u32 v4, v46, v4, s20
                                        ; implicit-def: $vgpr46
; %bb.356:                              ;   in Loop: Header=BB347_156 Depth=1
	s_andn2_saveexec_b64 s[14:15], s[2:3]
; %bb.357:                              ;   in Loop: Header=BB347_156 Depth=1
	v_or_b32_e32 v4, 0x10000, v46
	v_cmp_eq_u32_sdwa s[2:3], v46, v15 src0_sel:WORD_0 src1_sel:DWORD
	s_nop 1
	v_cndmask_b32_e64 v4, v4, v46, s[2:3]
; %bb.358:                              ;   in Loop: Header=BB347_156 Depth=1
	s_or_b64 exec, exec, s[14:15]
	v_lshlrev_b32_e32 v5, 16, v5
	v_mul_f32_e32 v46, v33, v5
	v_and_b32_e32 v5, 0x7f800000, v46
	v_cmp_ne_u32_e64 s[2:3], s19, v5
                                        ; implicit-def: $vgpr5
	s_and_saveexec_b64 s[14:15], s[2:3]
	s_xor_b64 s[2:3], exec, s[14:15]
; %bb.359:                              ;   in Loop: Header=BB347_156 Depth=1
	v_bfe_u32 v5, v46, 16, 1
	v_add3_u32 v5, v46, v5, s20
                                        ; implicit-def: $vgpr46
; %bb.360:                              ;   in Loop: Header=BB347_156 Depth=1
	s_andn2_saveexec_b64 s[14:15], s[2:3]
; %bb.361:                              ;   in Loop: Header=BB347_156 Depth=1
	v_or_b32_e32 v5, 0x10000, v46
	v_cmp_eq_u32_sdwa s[2:3], v46, v15 src0_sel:WORD_0 src1_sel:DWORD
	s_nop 1
	v_cndmask_b32_e64 v5, v5, v46, s[2:3]
; %bb.362:                              ;   in Loop: Header=BB347_156 Depth=1
	s_or_b64 exec, exec, s[14:15]
	v_lshlrev_b32_e32 v46, 16, v48
	v_mul_f32_e32 v47, v34, v46
	v_and_b32_e32 v46, 0x7f800000, v47
	v_cmp_ne_u32_e64 s[2:3], s19, v46
                                        ; implicit-def: $vgpr46
	s_and_saveexec_b64 s[14:15], s[2:3]
	s_xor_b64 s[2:3], exec, s[14:15]
; %bb.363:                              ;   in Loop: Header=BB347_156 Depth=1
	v_bfe_u32 v46, v47, 16, 1
	v_add3_u32 v46, v47, v46, s20
                                        ; implicit-def: $vgpr47
; %bb.364:                              ;   in Loop: Header=BB347_156 Depth=1
	s_andn2_saveexec_b64 s[14:15], s[2:3]
; %bb.365:                              ;   in Loop: Header=BB347_156 Depth=1
	v_or_b32_e32 v46, 0x10000, v47
	v_cmp_eq_u32_sdwa s[2:3], v47, v15 src0_sel:WORD_0 src1_sel:DWORD
	s_nop 1
	v_cndmask_b32_e64 v46, v46, v47, s[2:3]
; %bb.366:                              ;   in Loop: Header=BB347_156 Depth=1
	s_or_b64 exec, exec, s[14:15]
	v_lshlrev_b32_e32 v47, 16, v53
	v_mul_f32_e32 v48, v35, v47
	v_and_b32_e32 v47, 0x7f800000, v48
	v_cmp_ne_u32_e64 s[2:3], s19, v47
                                        ; implicit-def: $vgpr47
	s_and_saveexec_b64 s[14:15], s[2:3]
	s_xor_b64 s[2:3], exec, s[14:15]
; %bb.367:                              ;   in Loop: Header=BB347_156 Depth=1
	v_bfe_u32 v47, v48, 16, 1
	v_add3_u32 v47, v48, v47, s20
                                        ; implicit-def: $vgpr48
; %bb.368:                              ;   in Loop: Header=BB347_156 Depth=1
	s_andn2_saveexec_b64 s[14:15], s[2:3]
; %bb.369:                              ;   in Loop: Header=BB347_156 Depth=1
	v_or_b32_e32 v47, 0x10000, v48
	v_cmp_eq_u32_sdwa s[2:3], v48, v15 src0_sel:WORD_0 src1_sel:DWORD
	s_nop 1
	v_cndmask_b32_e64 v47, v47, v48, s[2:3]
; %bb.370:                              ;   in Loop: Header=BB347_156 Depth=1
	s_or_b64 exec, exec, s[14:15]
	v_lshlrev_b32_e32 v48, 16, v52
	v_mul_f32_e32 v52, v36, v48
	v_and_b32_e32 v48, 0x7f800000, v52
	v_cmp_ne_u32_e64 s[2:3], s19, v48
                                        ; implicit-def: $vgpr48
	s_and_saveexec_b64 s[14:15], s[2:3]
	s_xor_b64 s[2:3], exec, s[14:15]
; %bb.371:                              ;   in Loop: Header=BB347_156 Depth=1
	v_bfe_u32 v48, v52, 16, 1
	v_add3_u32 v48, v52, v48, s20
                                        ; implicit-def: $vgpr52
; %bb.372:                              ;   in Loop: Header=BB347_156 Depth=1
	s_andn2_saveexec_b64 s[14:15], s[2:3]
; %bb.373:                              ;   in Loop: Header=BB347_156 Depth=1
	v_or_b32_e32 v48, 0x10000, v52
	v_cmp_eq_u32_sdwa s[2:3], v52, v15 src0_sel:WORD_0 src1_sel:DWORD
	s_nop 1
	v_cndmask_b32_e64 v48, v48, v52, s[2:3]
; %bb.374:                              ;   in Loop: Header=BB347_156 Depth=1
	s_or_b64 exec, exec, s[14:15]
	v_lshlrev_b32_e32 v49, 16, v49
	v_mul_f32_e32 v52, v37, v49
	v_and_b32_e32 v49, 0x7f800000, v52
	v_cmp_ne_u32_e64 s[2:3], s19, v49
                                        ; implicit-def: $vgpr49
	s_and_saveexec_b64 s[14:15], s[2:3]
	s_xor_b64 s[2:3], exec, s[14:15]
; %bb.375:                              ;   in Loop: Header=BB347_156 Depth=1
	v_bfe_u32 v49, v52, 16, 1
	v_add3_u32 v49, v52, v49, s20
                                        ; implicit-def: $vgpr52
; %bb.376:                              ;   in Loop: Header=BB347_156 Depth=1
	s_andn2_saveexec_b64 s[14:15], s[2:3]
; %bb.377:                              ;   in Loop: Header=BB347_156 Depth=1
	v_or_b32_e32 v49, 0x10000, v52
	v_cmp_eq_u32_sdwa s[2:3], v52, v15 src0_sel:WORD_0 src1_sel:DWORD
	s_nop 1
	v_cndmask_b32_e64 v49, v49, v52, s[2:3]
; %bb.378:                              ;   in Loop: Header=BB347_156 Depth=1
	s_or_b64 exec, exec, s[14:15]
	v_lshlrev_b32_e32 v50, 16, v50
	v_mul_f32_e32 v52, v38, v50
	v_and_b32_e32 v50, 0x7f800000, v52
	v_cmp_ne_u32_e64 s[2:3], s19, v50
                                        ; implicit-def: $vgpr50
	s_and_saveexec_b64 s[14:15], s[2:3]
	s_xor_b64 s[2:3], exec, s[14:15]
; %bb.379:                              ;   in Loop: Header=BB347_156 Depth=1
	v_bfe_u32 v50, v52, 16, 1
	v_add3_u32 v50, v52, v50, s20
                                        ; implicit-def: $vgpr52
; %bb.380:                              ;   in Loop: Header=BB347_156 Depth=1
	s_andn2_saveexec_b64 s[14:15], s[2:3]
; %bb.381:                              ;   in Loop: Header=BB347_156 Depth=1
	v_or_b32_e32 v50, 0x10000, v52
	v_cmp_eq_u32_sdwa s[2:3], v52, v15 src0_sel:WORD_0 src1_sel:DWORD
	s_nop 1
	v_cndmask_b32_e64 v50, v50, v52, s[2:3]
; %bb.382:                              ;   in Loop: Header=BB347_156 Depth=1
	s_or_b64 exec, exec, s[14:15]
	v_lshlrev_b32_e32 v51, 16, v51
	v_mul_f32_e32 v52, v39, v51
	v_and_b32_e32 v51, 0x7f800000, v52
	v_cmp_ne_u32_e64 s[2:3], s19, v51
                                        ; implicit-def: $vgpr51
	s_and_saveexec_b64 s[14:15], s[2:3]
	s_xor_b64 s[2:3], exec, s[14:15]
	s_cbranch_execnz .LBB347_385
; %bb.383:                              ;   in Loop: Header=BB347_156 Depth=1
	s_andn2_saveexec_b64 s[14:15], s[2:3]
	s_cbranch_execnz .LBB347_386
.LBB347_384:                            ;   in Loop: Header=BB347_156 Depth=1
	s_or_b64 exec, exec, s[14:15]
	s_and_saveexec_b64 s[14:15], vcc
	s_cbranch_execz .LBB347_155
	s_branch .LBB347_387
.LBB347_385:                            ;   in Loop: Header=BB347_156 Depth=1
	v_bfe_u32 v51, v52, 16, 1
	v_add3_u32 v51, v52, v51, s20
                                        ; implicit-def: $vgpr52
	s_andn2_saveexec_b64 s[14:15], s[2:3]
	s_cbranch_execz .LBB347_384
.LBB347_386:                            ;   in Loop: Header=BB347_156 Depth=1
	v_or_b32_e32 v51, 0x10000, v52
	v_cmp_eq_u32_sdwa s[2:3], v52, v15 src0_sel:WORD_0 src1_sel:DWORD
	s_nop 1
	v_cndmask_b32_e64 v51, v51, v52, s[2:3]
	s_or_b64 exec, exec, s[14:15]
	s_and_saveexec_b64 s[14:15], vcc
	s_cbranch_execz .LBB347_155
.LBB347_387:                            ;   in Loop: Header=BB347_156 Depth=1
	v_lshl_add_u64 v[2:3], v[2:3], 0, v[18:19]
	global_load_dwordx2 v[2:3], v[2:3], off
	s_waitcnt vmcnt(0)
	v_and_b32_e32 v52, 0xff, v2
	v_cvt_f32_fp8_sdwa v52, v52 src0_sel:BYTE_0
	s_nop 0
	v_mul_f32_e32 v53, s18, v52
	v_and_b32_e32 v52, 0x7f800000, v53
	v_cmp_ne_u32_e64 s[2:3], s19, v52
                                        ; implicit-def: $vgpr52
	s_and_saveexec_b64 s[16:17], s[2:3]
	s_xor_b64 s[2:3], exec, s[16:17]
; %bb.388:                              ;   in Loop: Header=BB347_156 Depth=1
	v_bfe_u32 v52, v53, 16, 1
	v_add3_u32 v52, v53, v52, s20
                                        ; implicit-def: $vgpr53
; %bb.389:                              ;   in Loop: Header=BB347_156 Depth=1
	s_andn2_saveexec_b64 s[16:17], s[2:3]
; %bb.390:                              ;   in Loop: Header=BB347_156 Depth=1
	v_or_b32_e32 v52, 0x10000, v53
	v_cmp_eq_u32_sdwa s[2:3], v53, v15 src0_sel:WORD_0 src1_sel:DWORD
	s_nop 1
	v_cndmask_b32_e64 v52, v52, v53, s[2:3]
; %bb.391:                              ;   in Loop: Header=BB347_156 Depth=1
	s_or_b64 exec, exec, s[16:17]
	v_bfe_u32 v53, v2, 8, 8
	v_cvt_f32_fp8_sdwa v53, v53 src0_sel:BYTE_0
	s_nop 0
	v_mul_f32_e32 v54, s18, v53
	v_and_b32_e32 v53, 0x7f800000, v54
	v_cmp_ne_u32_e64 s[2:3], s19, v53
                                        ; implicit-def: $vgpr53
	s_and_saveexec_b64 s[16:17], s[2:3]
	s_xor_b64 s[2:3], exec, s[16:17]
; %bb.392:                              ;   in Loop: Header=BB347_156 Depth=1
	v_bfe_u32 v53, v54, 16, 1
	v_add3_u32 v53, v54, v53, s20
                                        ; implicit-def: $vgpr54
; %bb.393:                              ;   in Loop: Header=BB347_156 Depth=1
	s_andn2_saveexec_b64 s[16:17], s[2:3]
; %bb.394:                              ;   in Loop: Header=BB347_156 Depth=1
	v_or_b32_e32 v53, 0x10000, v54
	v_cmp_eq_u32_sdwa s[2:3], v54, v15 src0_sel:WORD_0 src1_sel:DWORD
	s_nop 1
	v_cndmask_b32_e64 v53, v53, v54, s[2:3]
; %bb.395:                              ;   in Loop: Header=BB347_156 Depth=1
	s_or_b64 exec, exec, s[16:17]
	v_bfe_u32 v54, v2, 16, 8
	v_cvt_f32_fp8_sdwa v54, v54 src0_sel:BYTE_0
	s_nop 0
	v_mul_f32_e32 v54, s18, v54
	v_and_b32_e32 v55, 0x7f800000, v54
	v_cmp_ne_u32_e64 s[2:3], s19, v55
                                        ; implicit-def: $vgpr55
	s_and_saveexec_b64 s[16:17], s[2:3]
	s_xor_b64 s[2:3], exec, s[16:17]
; %bb.396:                              ;   in Loop: Header=BB347_156 Depth=1
	v_bfe_u32 v55, v54, 16, 1
	v_add3_u32 v55, v54, v55, s20
                                        ; implicit-def: $vgpr54
; %bb.397:                              ;   in Loop: Header=BB347_156 Depth=1
	s_andn2_saveexec_b64 s[16:17], s[2:3]
; %bb.398:                              ;   in Loop: Header=BB347_156 Depth=1
	v_or_b32_e32 v55, 0x10000, v54
	v_cmp_eq_u32_sdwa s[2:3], v54, v15 src0_sel:WORD_0 src1_sel:DWORD
	s_nop 1
	v_cndmask_b32_e64 v55, v55, v54, s[2:3]
; %bb.399:                              ;   in Loop: Header=BB347_156 Depth=1
	s_or_b64 exec, exec, s[16:17]
	v_lshrrev_b32_e32 v2, 24, v2
	v_cvt_f32_fp8_sdwa v2, v2 src0_sel:BYTE_0
	s_nop 0
	v_mul_f32_e32 v54, s18, v2
	v_and_b32_e32 v2, 0x7f800000, v54
	v_cmp_ne_u32_e64 s[2:3], s19, v2
                                        ; implicit-def: $vgpr2
	s_and_saveexec_b64 s[16:17], s[2:3]
	s_xor_b64 s[2:3], exec, s[16:17]
; %bb.400:                              ;   in Loop: Header=BB347_156 Depth=1
	v_bfe_u32 v2, v54, 16, 1
	v_add3_u32 v2, v54, v2, s20
                                        ; implicit-def: $vgpr54
; %bb.401:                              ;   in Loop: Header=BB347_156 Depth=1
	s_andn2_saveexec_b64 s[16:17], s[2:3]
; %bb.402:                              ;   in Loop: Header=BB347_156 Depth=1
	v_or_b32_e32 v2, 0x10000, v54
	v_cmp_eq_u32_sdwa s[2:3], v54, v15 src0_sel:WORD_0 src1_sel:DWORD
	s_nop 1
	v_cndmask_b32_e64 v2, v2, v54, s[2:3]
; %bb.403:                              ;   in Loop: Header=BB347_156 Depth=1
	s_or_b64 exec, exec, s[16:17]
	v_and_b32_e32 v54, 0xff, v3
	v_cvt_f32_fp8_sdwa v54, v54 src0_sel:BYTE_0
	s_nop 0
	v_mul_f32_e32 v54, s18, v54
	v_and_b32_e32 v56, 0x7f800000, v54
	v_cmp_ne_u32_e64 s[2:3], s19, v56
                                        ; implicit-def: $vgpr56
	s_and_saveexec_b64 s[16:17], s[2:3]
	s_xor_b64 s[2:3], exec, s[16:17]
; %bb.404:                              ;   in Loop: Header=BB347_156 Depth=1
	v_bfe_u32 v56, v54, 16, 1
	v_add3_u32 v56, v54, v56, s20
                                        ; implicit-def: $vgpr54
; %bb.405:                              ;   in Loop: Header=BB347_156 Depth=1
	s_andn2_saveexec_b64 s[16:17], s[2:3]
; %bb.406:                              ;   in Loop: Header=BB347_156 Depth=1
	v_or_b32_e32 v56, 0x10000, v54
	v_cmp_eq_u32_sdwa s[2:3], v54, v15 src0_sel:WORD_0 src1_sel:DWORD
	s_nop 1
	v_cndmask_b32_e64 v56, v56, v54, s[2:3]
; %bb.407:                              ;   in Loop: Header=BB347_156 Depth=1
	s_or_b64 exec, exec, s[16:17]
	v_bfe_u32 v54, v3, 8, 8
	v_cvt_f32_fp8_sdwa v54, v54 src0_sel:BYTE_0
	s_nop 0
	v_mul_f32_e32 v57, s18, v54
	v_and_b32_e32 v54, 0x7f800000, v57
	v_cmp_ne_u32_e64 s[2:3], s19, v54
                                        ; implicit-def: $vgpr54
	s_and_saveexec_b64 s[16:17], s[2:3]
	s_xor_b64 s[2:3], exec, s[16:17]
; %bb.408:                              ;   in Loop: Header=BB347_156 Depth=1
	v_bfe_u32 v54, v57, 16, 1
	v_add3_u32 v54, v57, v54, s20
                                        ; implicit-def: $vgpr57
; %bb.409:                              ;   in Loop: Header=BB347_156 Depth=1
	s_andn2_saveexec_b64 s[16:17], s[2:3]
; %bb.410:                              ;   in Loop: Header=BB347_156 Depth=1
	v_or_b32_e32 v54, 0x10000, v57
	v_cmp_eq_u32_sdwa s[2:3], v57, v15 src0_sel:WORD_0 src1_sel:DWORD
	s_nop 1
	v_cndmask_b32_e64 v54, v54, v57, s[2:3]
; %bb.411:                              ;   in Loop: Header=BB347_156 Depth=1
	s_or_b64 exec, exec, s[16:17]
	v_bfe_u32 v57, v3, 16, 8
	v_cvt_f32_fp8_sdwa v57, v57 src0_sel:BYTE_0
	s_nop 0
	v_mul_f32_e32 v57, s18, v57
	v_and_b32_e32 v58, 0x7f800000, v57
	v_cmp_ne_u32_e64 s[2:3], s19, v58
                                        ; implicit-def: $vgpr58
	s_and_saveexec_b64 s[16:17], s[2:3]
	s_xor_b64 s[2:3], exec, s[16:17]
; %bb.412:                              ;   in Loop: Header=BB347_156 Depth=1
	v_bfe_u32 v58, v57, 16, 1
	v_add3_u32 v58, v57, v58, s20
                                        ; implicit-def: $vgpr57
; %bb.413:                              ;   in Loop: Header=BB347_156 Depth=1
	s_andn2_saveexec_b64 s[16:17], s[2:3]
; %bb.414:                              ;   in Loop: Header=BB347_156 Depth=1
	v_or_b32_e32 v58, 0x10000, v57
	v_cmp_eq_u32_sdwa s[2:3], v57, v15 src0_sel:WORD_0 src1_sel:DWORD
	s_nop 1
	v_cndmask_b32_e64 v58, v58, v57, s[2:3]
; %bb.415:                              ;   in Loop: Header=BB347_156 Depth=1
	s_or_b64 exec, exec, s[16:17]
	v_lshrrev_b32_e32 v3, 24, v3
	v_cvt_f32_fp8_sdwa v3, v3 src0_sel:BYTE_0
                                        ; implicit-def: $vgpr59
	s_nop 0
	v_mul_f32_e32 v3, s18, v3
	v_and_b32_e32 v57, 0x7f800000, v3
	v_cmp_ne_u32_e64 s[2:3], s19, v57
	s_and_saveexec_b64 s[16:17], s[2:3]
	s_xor_b64 s[2:3], exec, s[16:17]
; %bb.416:                              ;   in Loop: Header=BB347_156 Depth=1
	v_bfe_u32 v57, v3, 16, 1
	v_add3_u32 v59, v3, v57, s20
                                        ; implicit-def: $vgpr3
; %bb.417:                              ;   in Loop: Header=BB347_156 Depth=1
	s_andn2_saveexec_b64 s[16:17], s[2:3]
; %bb.418:                              ;   in Loop: Header=BB347_156 Depth=1
	v_or_b32_e32 v57, 0x10000, v3
	v_cmp_eq_u32_sdwa s[2:3], v3, v15 src0_sel:WORD_0 src1_sel:DWORD
	s_nop 1
	v_cndmask_b32_e64 v59, v57, v3, s[2:3]
; %bb.419:                              ;   in Loop: Header=BB347_156 Depth=1
	s_or_b64 exec, exec, s[16:17]
	v_lshrrev_b32_e32 v54, 16, v54
	v_lshrrev_b32_e32 v56, 16, v56
	;; [unrolled: 1-line block ×8, first 2 shown]
	s_and_saveexec_b64 s[2:3], s[0:1]
	s_cbranch_execz .LBB347_421
; %bb.420:                              ;   in Loop: Header=BB347_156 Depth=1
	v_cmp_gt_i32_e64 s[0:1], s29, v31
	v_add_u32_e32 v31, -6, v24
	s_nop 0
	v_cndmask_b32_e64 v3, 0, v3, s[0:1]
	v_cmp_gt_i32_e64 s[0:1], s29, v31
	v_add_u32_e32 v31, -5, v24
	s_nop 0
	v_cndmask_b32_e64 v53, 0, v53, s[0:1]
	v_cmp_gt_i32_e64 s[0:1], s29, v31
	v_add_u32_e32 v31, -4, v24
	s_nop 0
	v_cndmask_b32_e64 v55, 0, v55, s[0:1]
	v_cmp_gt_i32_e64 s[0:1], s29, v31
	v_add_u32_e32 v31, -3, v24
	s_nop 0
	v_cndmask_b32_e64 v57, 0, v57, s[0:1]
	v_cmp_gt_i32_e64 s[0:1], s29, v31
	v_add_u32_e32 v31, -2, v24
	s_nop 0
	v_cndmask_b32_e64 v56, 0, v56, s[0:1]
	v_cmp_gt_i32_e64 s[0:1], s29, v31
	v_add_u32_e32 v31, -1, v24
	s_nop 0
	v_cndmask_b32_e64 v54, 0, v54, s[0:1]
	v_cmp_gt_i32_e64 s[0:1], s29, v31
	s_nop 1
	v_cndmask_b32_e64 v52, 0, v52, s[0:1]
	v_cmp_gt_i32_e64 s[0:1], s29, v24
	s_nop 1
	v_cndmask_b32_e64 v2, 0, v2, s[0:1]
.LBB347_421:                            ;   in Loop: Header=BB347_156 Depth=1
	s_or_b64 exec, exec, s[2:3]
	v_lshlrev_b32_e32 v3, 16, v3
	v_mul_f32_e32 v31, v32, v3
	v_and_b32_e32 v3, 0x7f800000, v31
	v_cmp_ne_u32_e64 s[0:1], s19, v3
                                        ; implicit-def: $vgpr3
	s_and_saveexec_b64 s[2:3], s[0:1]
	s_xor_b64 s[0:1], exec, s[2:3]
; %bb.422:                              ;   in Loop: Header=BB347_156 Depth=1
	v_bfe_u32 v3, v31, 16, 1
	v_add3_u32 v3, v31, v3, s20
                                        ; implicit-def: $vgpr31
; %bb.423:                              ;   in Loop: Header=BB347_156 Depth=1
	s_andn2_saveexec_b64 s[2:3], s[0:1]
; %bb.424:                              ;   in Loop: Header=BB347_156 Depth=1
	v_or_b32_e32 v3, 0x10000, v31
	v_cmp_eq_u32_sdwa s[0:1], v31, v15 src0_sel:WORD_0 src1_sel:DWORD
	s_nop 1
	v_cndmask_b32_e64 v3, v3, v31, s[0:1]
; %bb.425:                              ;   in Loop: Header=BB347_156 Depth=1
	s_or_b64 exec, exec, s[2:3]
	v_lshlrev_b32_e32 v31, 16, v53
	v_mul_f32_e32 v32, v33, v31
	v_and_b32_e32 v31, 0x7f800000, v32
	v_cmp_ne_u32_e64 s[0:1], s19, v31
                                        ; implicit-def: $vgpr31
	s_and_saveexec_b64 s[2:3], s[0:1]
	s_xor_b64 s[0:1], exec, s[2:3]
; %bb.426:                              ;   in Loop: Header=BB347_156 Depth=1
	v_bfe_u32 v31, v32, 16, 1
	v_add3_u32 v31, v32, v31, s20
                                        ; implicit-def: $vgpr32
; %bb.427:                              ;   in Loop: Header=BB347_156 Depth=1
	s_andn2_saveexec_b64 s[2:3], s[0:1]
; %bb.428:                              ;   in Loop: Header=BB347_156 Depth=1
	v_or_b32_e32 v31, 0x10000, v32
	v_cmp_eq_u32_sdwa s[0:1], v32, v15 src0_sel:WORD_0 src1_sel:DWORD
	s_nop 1
	v_cndmask_b32_e64 v31, v31, v32, s[0:1]
; %bb.429:                              ;   in Loop: Header=BB347_156 Depth=1
	s_or_b64 exec, exec, s[2:3]
	v_lshlrev_b32_e32 v32, 16, v55
	v_mul_f32_e32 v33, v34, v32
	v_and_b32_e32 v32, 0x7f800000, v33
	v_cmp_ne_u32_e64 s[0:1], s19, v32
                                        ; implicit-def: $vgpr32
	s_and_saveexec_b64 s[2:3], s[0:1]
	s_xor_b64 s[0:1], exec, s[2:3]
; %bb.430:                              ;   in Loop: Header=BB347_156 Depth=1
	v_bfe_u32 v32, v33, 16, 1
	v_add3_u32 v32, v33, v32, s20
                                        ; implicit-def: $vgpr33
; %bb.431:                              ;   in Loop: Header=BB347_156 Depth=1
	s_andn2_saveexec_b64 s[2:3], s[0:1]
; %bb.432:                              ;   in Loop: Header=BB347_156 Depth=1
	v_or_b32_e32 v32, 0x10000, v33
	v_cmp_eq_u32_sdwa s[0:1], v33, v15 src0_sel:WORD_0 src1_sel:DWORD
	s_nop 1
	v_cndmask_b32_e64 v32, v32, v33, s[0:1]
; %bb.433:                              ;   in Loop: Header=BB347_156 Depth=1
	s_or_b64 exec, exec, s[2:3]
	v_lshlrev_b32_e32 v33, 16, v57
	v_mul_f32_e32 v34, v35, v33
	v_and_b32_e32 v33, 0x7f800000, v34
	v_cmp_ne_u32_e64 s[0:1], s19, v33
                                        ; implicit-def: $vgpr33
	s_and_saveexec_b64 s[2:3], s[0:1]
	s_xor_b64 s[0:1], exec, s[2:3]
; %bb.434:                              ;   in Loop: Header=BB347_156 Depth=1
	v_bfe_u32 v33, v34, 16, 1
	v_add3_u32 v33, v34, v33, s20
                                        ; implicit-def: $vgpr34
; %bb.435:                              ;   in Loop: Header=BB347_156 Depth=1
	s_andn2_saveexec_b64 s[2:3], s[0:1]
; %bb.436:                              ;   in Loop: Header=BB347_156 Depth=1
	v_or_b32_e32 v33, 0x10000, v34
	v_cmp_eq_u32_sdwa s[0:1], v34, v15 src0_sel:WORD_0 src1_sel:DWORD
	s_nop 1
	v_cndmask_b32_e64 v33, v33, v34, s[0:1]
; %bb.437:                              ;   in Loop: Header=BB347_156 Depth=1
	s_or_b64 exec, exec, s[2:3]
	v_lshlrev_b32_e32 v34, 16, v56
	v_mul_f32_e32 v35, v36, v34
	v_and_b32_e32 v34, 0x7f800000, v35
	v_cmp_ne_u32_e64 s[0:1], s19, v34
                                        ; implicit-def: $vgpr34
	s_and_saveexec_b64 s[2:3], s[0:1]
	s_xor_b64 s[0:1], exec, s[2:3]
; %bb.438:                              ;   in Loop: Header=BB347_156 Depth=1
	v_bfe_u32 v34, v35, 16, 1
	v_add3_u32 v34, v35, v34, s20
                                        ; implicit-def: $vgpr35
; %bb.439:                              ;   in Loop: Header=BB347_156 Depth=1
	s_andn2_saveexec_b64 s[2:3], s[0:1]
; %bb.440:                              ;   in Loop: Header=BB347_156 Depth=1
	v_or_b32_e32 v34, 0x10000, v35
	v_cmp_eq_u32_sdwa s[0:1], v35, v15 src0_sel:WORD_0 src1_sel:DWORD
	s_nop 1
	v_cndmask_b32_e64 v34, v34, v35, s[0:1]
; %bb.441:                              ;   in Loop: Header=BB347_156 Depth=1
	s_or_b64 exec, exec, s[2:3]
	v_lshlrev_b32_e32 v35, 16, v54
	v_mul_f32_e32 v36, v37, v35
	v_and_b32_e32 v35, 0x7f800000, v36
	v_cmp_ne_u32_e64 s[0:1], s19, v35
                                        ; implicit-def: $vgpr35
	s_and_saveexec_b64 s[2:3], s[0:1]
	s_xor_b64 s[0:1], exec, s[2:3]
; %bb.442:                              ;   in Loop: Header=BB347_156 Depth=1
	v_bfe_u32 v35, v36, 16, 1
	v_add3_u32 v35, v36, v35, s20
                                        ; implicit-def: $vgpr36
; %bb.443:                              ;   in Loop: Header=BB347_156 Depth=1
	s_andn2_saveexec_b64 s[2:3], s[0:1]
; %bb.444:                              ;   in Loop: Header=BB347_156 Depth=1
	v_or_b32_e32 v35, 0x10000, v36
	v_cmp_eq_u32_sdwa s[0:1], v36, v15 src0_sel:WORD_0 src1_sel:DWORD
	s_nop 1
	v_cndmask_b32_e64 v35, v35, v36, s[0:1]
; %bb.445:                              ;   in Loop: Header=BB347_156 Depth=1
	s_or_b64 exec, exec, s[2:3]
	v_lshlrev_b32_e32 v36, 16, v52
	v_mul_f32_e32 v37, v38, v36
	v_and_b32_e32 v36, 0x7f800000, v37
	v_cmp_ne_u32_e64 s[0:1], s19, v36
                                        ; implicit-def: $vgpr36
	s_and_saveexec_b64 s[2:3], s[0:1]
	s_xor_b64 s[0:1], exec, s[2:3]
; %bb.446:                              ;   in Loop: Header=BB347_156 Depth=1
	v_bfe_u32 v36, v37, 16, 1
	v_add3_u32 v36, v37, v36, s20
                                        ; implicit-def: $vgpr37
; %bb.447:                              ;   in Loop: Header=BB347_156 Depth=1
	s_andn2_saveexec_b64 s[2:3], s[0:1]
; %bb.448:                              ;   in Loop: Header=BB347_156 Depth=1
	v_or_b32_e32 v36, 0x10000, v37
	v_cmp_eq_u32_sdwa s[0:1], v37, v15 src0_sel:WORD_0 src1_sel:DWORD
	s_nop 1
	v_cndmask_b32_e64 v36, v36, v37, s[0:1]
; %bb.449:                              ;   in Loop: Header=BB347_156 Depth=1
	s_or_b64 exec, exec, s[2:3]
	v_lshlrev_b32_e32 v2, 16, v2
	v_mul_f32_e32 v2, v39, v2
	v_and_b32_e32 v37, 0x7f800000, v2
	v_cmp_ne_u32_e64 s[0:1], s19, v37
                                        ; implicit-def: $vgpr37
	s_and_saveexec_b64 s[2:3], s[0:1]
	s_xor_b64 s[0:1], exec, s[2:3]
; %bb.450:                              ;   in Loop: Header=BB347_156 Depth=1
	v_bfe_u32 v37, v2, 16, 1
	v_add3_u32 v37, v2, v37, s20
                                        ; implicit-def: $vgpr2
; %bb.451:                              ;   in Loop: Header=BB347_156 Depth=1
	s_andn2_saveexec_b64 s[2:3], s[0:1]
	s_cbranch_execz .LBB347_154
; %bb.452:                              ;   in Loop: Header=BB347_156 Depth=1
	v_or_b32_e32 v37, 0x10000, v2
	v_cmp_eq_u32_sdwa s[0:1], v2, v15 src0_sel:WORD_0 src1_sel:DWORD
	s_nop 1
	v_cndmask_b32_e64 v37, v37, v2, s[0:1]
	s_branch .LBB347_154
.LBB347_453:
	s_or_b64 exec, exec, s[12:13]
.LBB347_454:
	s_or_b64 exec, exec, s[10:11]
	ds_bpermute_b32 v2, v1, v16
	ds_bpermute_b32 v3, v1, v17
	;; [unrolled: 1-line block ×4, first 2 shown]
	v_and_b32_e32 v1, 0x3c0, v0
	v_cmp_eq_u32_e32 vcc, 64, v1
	s_waitcnt lgkmcnt(2)
	v_pk_add_f32 v[4:5], v[16:17], v[2:3]
	s_waitcnt lgkmcnt(0)
	v_pk_add_f32 v[2:3], v[12:13], v[6:7]
	s_barrier
	s_and_saveexec_b64 s[2:3], vcc
	s_cbranch_execz .LBB347_459
; %bb.455:
	v_cmp_eq_u32_e32 vcc, 0, v22
	s_and_saveexec_b64 s[0:1], vcc
	s_cbranch_execz .LBB347_457
; %bb.456:
	v_mov_b32_e32 v1, 0xf0
	v_lshl_add_u32 v1, v23, 2, v1
	ds_write2_b32 v1, v4, v5 offset1:32
	ds_write_b32 v1, v2 offset:256
.LBB347_457:
	s_or_b64 exec, exec, s[0:1]
	v_or_b32_e32 v1, 0x60, v23
	s_movk_i32 s0, 0x70
	v_cmp_gt_u32_e64 s[0:1], s0, v1
	s_and_b64 s[0:1], vcc, s[0:1]
	s_and_b64 exec, exec, s[0:1]
	s_cbranch_execz .LBB347_459
; %bb.458:
	v_mov_b32_e32 v1, 0xf0
	v_lshl_add_u32 v1, v23, 2, v1
	ds_write_b32 v1, v3 offset:384
.LBB347_459:
	s_or_b64 exec, exec, s[2:3]
	v_cmp_gt_u32_e32 vcc, 64, v0
	v_lshrrev_b32_e32 v6, 1, v0
	s_waitcnt lgkmcnt(0)
	s_barrier
	s_and_saveexec_b64 s[8:9], vcc
	s_cbranch_execz .LBB347_467
; %bb.460:
	v_cmp_eq_u32_e64 s[0:1], 0, v22
	s_and_saveexec_b64 s[2:3], s[0:1]
	s_cbranch_execnz .LBB347_489
; %bb.461:
	s_or_b64 exec, exec, s[2:3]
	s_and_saveexec_b64 s[2:3], s[0:1]
	s_cbranch_execnz .LBB347_490
.LBB347_462:
	s_or_b64 exec, exec, s[2:3]
	s_and_saveexec_b64 s[2:3], s[0:1]
	s_cbranch_execz .LBB347_464
.LBB347_463:
	v_mov_b32_e32 v0, 0xf0
	v_lshl_add_u32 v0, v6, 2, v0
	ds_read_b32 v0, v0 offset:256
	s_waitcnt lgkmcnt(0)
	v_add_f32_e32 v2, v2, v0
.LBB347_464:
	s_or_b64 exec, exec, s[2:3]
	v_or_b32_e32 v0, 0x60, v6
	s_movk_i32 s2, 0x70
	v_cmp_gt_u32_e64 s[2:3], s2, v0
	s_and_b64 s[2:3], s[0:1], s[2:3]
	s_and_saveexec_b64 s[0:1], s[2:3]
	s_cbranch_execz .LBB347_466
; %bb.465:
	v_mov_b32_e32 v0, 0xf0
	v_lshl_add_u32 v0, v6, 2, v0
	ds_read_b32 v0, v0 offset:384
	s_waitcnt lgkmcnt(0)
	v_add_f32_e32 v3, v3, v0
.LBB347_466:
	s_or_b64 exec, exec, s[0:1]
.LBB347_467:
	s_or_b64 exec, exec, s[8:9]
	s_barrier
	s_and_saveexec_b64 s[0:1], vcc
	s_cbranch_execz .LBB347_488
; %bb.468:
	s_mul_i32 s0, s6, 0x70
	s_ashr_i32 s1, s0, 31
	s_lshl_b64 s[0:1], s[0:1], 1
	s_add_u32 s2, s26, s0
	s_mul_i32 s0, s25, s24
	s_addc_u32 s3, s27, s1
	s_ashr_i32 s1, s0, 31
	s_lshl_b64 s[0:1], s[0:1], 1
	s_add_u32 s2, s2, s0
	s_mul_i32 s0, s4, 0x70
	s_addc_u32 s3, s3, s1
	s_ashr_i32 s1, s0, 31
	s_lshl_b64 s[0:1], s[0:1], 1
	s_add_u32 s2, s2, s0
	s_addc_u32 s3, s3, s1
	v_cmp_eq_u32_e32 vcc, 0, v22
	s_and_saveexec_b64 s[4:5], vcc
	s_cbranch_execz .LBB347_482
; %bb.469:
	s_mov_b32 s0, 0x7f800000
	v_and_b32_e32 v0, 0x7f800000, v4
	v_cmp_ne_u32_e64 s[0:1], s0, v0
                                        ; implicit-def: $vgpr7
	s_and_saveexec_b64 s[6:7], s[0:1]
	s_xor_b64 s[0:1], exec, s[6:7]
; %bb.470:
	v_bfe_u32 v0, v4, 16, 1
	s_movk_i32 s6, 0x7fff
	v_add3_u32 v7, v4, v0, s6
; %bb.471:
	s_andn2_saveexec_b64 s[6:7], s[0:1]
; %bb.472:
	v_mov_b32_e32 v0, 0
	v_or_b32_e32 v1, 0x10000, v4
	v_cmp_eq_u32_sdwa s[0:1], v4, v0 src0_sel:WORD_0 src1_sel:DWORD
	s_nop 1
	v_cndmask_b32_e64 v7, v1, v4, s[0:1]
; %bb.473:
	s_or_b64 exec, exec, s[6:7]
	s_mov_b32 s0, 0x7f800000
	v_and_b32_e32 v4, 0x7f800000, v5
	v_lshlrev_b32_e32 v0, 1, v6
	v_mov_b32_e32 v1, 0
	v_cmp_ne_u32_e64 s[0:1], s0, v4
	global_store_short_d16_hi v0, v7, s[2:3]
                                        ; implicit-def: $vgpr4
	s_and_saveexec_b64 s[6:7], s[0:1]
	s_xor_b64 s[0:1], exec, s[6:7]
; %bb.474:
	v_bfe_u32 v4, v5, 16, 1
	s_movk_i32 s6, 0x7fff
	v_add3_u32 v4, v5, v4, s6
; %bb.475:
	s_or_saveexec_b64 s[6:7], s[0:1]
	v_lshl_add_u64 v[0:1], s[2:3], 0, v[0:1]
	s_xor_b64 exec, exec, s[6:7]
; %bb.476:
	v_mov_b32_e32 v4, 0
	v_or_b32_e32 v7, 0x10000, v5
	v_cmp_eq_u32_sdwa s[0:1], v5, v4 src0_sel:WORD_0 src1_sel:DWORD
	s_nop 1
	v_cndmask_b32_e64 v4, v7, v5, s[0:1]
; %bb.477:
	s_or_b64 exec, exec, s[6:7]
	global_store_short_d16_hi v[0:1], v4, off offset:64
	s_mov_b32 s0, 0x7f800000
	v_and_b32_e32 v4, 0x7f800000, v2
	v_cmp_ne_u32_e64 s[0:1], s0, v4
                                        ; implicit-def: $vgpr4
	s_and_saveexec_b64 s[6:7], s[0:1]
	s_xor_b64 s[0:1], exec, s[6:7]
; %bb.478:
	v_bfe_u32 v4, v2, 16, 1
	s_movk_i32 s6, 0x7fff
	v_add3_u32 v4, v2, v4, s6
; %bb.479:
	s_andn2_saveexec_b64 s[6:7], s[0:1]
; %bb.480:
	v_mov_b32_e32 v4, 0
	v_or_b32_e32 v5, 0x10000, v2
	v_cmp_eq_u32_sdwa s[0:1], v2, v4 src0_sel:WORD_0 src1_sel:DWORD
	s_nop 1
	v_cndmask_b32_e64 v4, v5, v2, s[0:1]
; %bb.481:
	s_or_b64 exec, exec, s[6:7]
	global_store_short_d16_hi v[0:1], v4, off offset:128
.LBB347_482:
	s_or_b64 exec, exec, s[4:5]
	v_or_b32_e32 v0, 0x60, v6
	s_movk_i32 s0, 0x70
	v_cmp_gt_u32_e64 s[0:1], s0, v0
	s_and_b64 s[0:1], vcc, s[0:1]
	s_and_b64 exec, exec, s[0:1]
	s_cbranch_execz .LBB347_488
; %bb.483:
	s_mov_b32 s0, 0x7f800000
	v_and_b32_e32 v0, 0x7f800000, v3
	v_cmp_ne_u32_e32 vcc, s0, v0
                                        ; implicit-def: $vgpr4
	s_and_saveexec_b64 s[0:1], vcc
	s_xor_b64 s[0:1], exec, s[0:1]
; %bb.484:
	v_bfe_u32 v0, v3, 16, 1
	s_movk_i32 s4, 0x7fff
	v_add3_u32 v4, v3, v0, s4
                                        ; implicit-def: $vgpr0_vgpr1_vgpr2_vgpr3
; %bb.485:
	s_andn2_saveexec_b64 s[0:1], s[0:1]
; %bb.486:
	v_mov_b32_e32 v0, 0
	v_or_b32_e32 v1, 0x10000, v3
	v_cmp_eq_u32_sdwa vcc, v3, v0 src0_sel:WORD_0 src1_sel:DWORD
	s_nop 1
	v_cndmask_b32_e32 v4, v1, v3, vcc
; %bb.487:
	s_or_b64 exec, exec, s[0:1]
	v_lshlrev_b32_e32 v0, 1, v6
	global_store_short_d16_hi v0, v4, s[2:3] offset:192
.LBB347_488:
	s_endpgm
.LBB347_489:
	v_mov_b32_e32 v0, 0xf0
	v_lshl_add_u32 v0, v6, 2, v0
	ds_read_b32 v0, v0
	s_waitcnt lgkmcnt(0)
	v_add_f32_e32 v4, v4, v0
	s_or_b64 exec, exec, s[2:3]
	s_and_saveexec_b64 s[2:3], s[0:1]
	s_cbranch_execz .LBB347_462
.LBB347_490:
	v_mov_b32_e32 v0, 0xf0
	v_lshl_add_u32 v0, v6, 2, v0
	ds_read_b32 v0, v0 offset:128
	s_waitcnt lgkmcnt(0)
	v_add_f32_e32 v5, v5, v0
	s_or_b64 exec, exec, s[2:3]
	s_and_saveexec_b64 s[2:3], s[0:1]
	s_cbranch_execnz .LBB347_463
	s_branch .LBB347_464
	.section	.rodata,"a",@progbits
	.p2align	6, 0x0
	.amdhsa_kernel _ZN4vllm25paged_attention_v2_kernelI14__hip_bfloat16hLi112ELi16ELi128ELNS_18Fp8KVCacheDataTypeE1ELb0ELi512EEEvPfS3_PT_PKS4_PKT0_SA_ifPKiSC_iPKfiiiSE_SE_iiiii
		.amdhsa_group_segment_fixed_size 240
		.amdhsa_private_segment_fixed_size 0
		.amdhsa_kernarg_size 400
		.amdhsa_user_sgpr_count 2
		.amdhsa_user_sgpr_dispatch_ptr 0
		.amdhsa_user_sgpr_queue_ptr 0
		.amdhsa_user_sgpr_kernarg_segment_ptr 1
		.amdhsa_user_sgpr_dispatch_id 0
		.amdhsa_user_sgpr_kernarg_preload_length 0
		.amdhsa_user_sgpr_kernarg_preload_offset 0
		.amdhsa_user_sgpr_private_segment_size 0
		.amdhsa_uses_dynamic_stack 0
		.amdhsa_enable_private_segment 0
		.amdhsa_system_sgpr_workgroup_id_x 1
		.amdhsa_system_sgpr_workgroup_id_y 1
		.amdhsa_system_sgpr_workgroup_id_z 1
		.amdhsa_system_sgpr_workgroup_info 0
		.amdhsa_system_vgpr_workitem_id 0
		.amdhsa_next_free_vgpr 75
		.amdhsa_next_free_sgpr 48
		.amdhsa_accum_offset 76
		.amdhsa_reserve_vcc 1
		.amdhsa_float_round_mode_32 0
		.amdhsa_float_round_mode_16_64 0
		.amdhsa_float_denorm_mode_32 3
		.amdhsa_float_denorm_mode_16_64 3
		.amdhsa_dx10_clamp 1
		.amdhsa_ieee_mode 1
		.amdhsa_fp16_overflow 0
		.amdhsa_tg_split 0
		.amdhsa_exception_fp_ieee_invalid_op 0
		.amdhsa_exception_fp_denorm_src 0
		.amdhsa_exception_fp_ieee_div_zero 0
		.amdhsa_exception_fp_ieee_overflow 0
		.amdhsa_exception_fp_ieee_underflow 0
		.amdhsa_exception_fp_ieee_inexact 0
		.amdhsa_exception_int_div_zero 0
	.end_amdhsa_kernel
	.section	.text._ZN4vllm25paged_attention_v2_kernelI14__hip_bfloat16hLi112ELi16ELi128ELNS_18Fp8KVCacheDataTypeE1ELb0ELi512EEEvPfS3_PT_PKS4_PKT0_SA_ifPKiSC_iPKfiiiSE_SE_iiiii,"axG",@progbits,_ZN4vllm25paged_attention_v2_kernelI14__hip_bfloat16hLi112ELi16ELi128ELNS_18Fp8KVCacheDataTypeE1ELb0ELi512EEEvPfS3_PT_PKS4_PKT0_SA_ifPKiSC_iPKfiiiSE_SE_iiiii,comdat
.Lfunc_end347:
	.size	_ZN4vllm25paged_attention_v2_kernelI14__hip_bfloat16hLi112ELi16ELi128ELNS_18Fp8KVCacheDataTypeE1ELb0ELi512EEEvPfS3_PT_PKS4_PKT0_SA_ifPKiSC_iPKfiiiSE_SE_iiiii, .Lfunc_end347-_ZN4vllm25paged_attention_v2_kernelI14__hip_bfloat16hLi112ELi16ELi128ELNS_18Fp8KVCacheDataTypeE1ELb0ELi512EEEvPfS3_PT_PKS4_PKT0_SA_ifPKiSC_iPKfiiiSE_SE_iiiii
                                        ; -- End function
	.section	.AMDGPU.csdata,"",@progbits
; Kernel info:
; codeLenInByte = 15264
; NumSgprs: 54
; NumVgprs: 75
; NumAgprs: 0
; TotalNumVgprs: 75
; ScratchSize: 0
; MemoryBound: 0
; FloatMode: 240
; IeeeMode: 1
; LDSByteSize: 240 bytes/workgroup (compile time only)
; SGPRBlocks: 6
; VGPRBlocks: 9
; NumSGPRsForWavesPerEU: 54
; NumVGPRsForWavesPerEU: 75
; AccumOffset: 76
; Occupancy: 6
; WaveLimiterHint : 1
; COMPUTE_PGM_RSRC2:SCRATCH_EN: 0
; COMPUTE_PGM_RSRC2:USER_SGPR: 2
; COMPUTE_PGM_RSRC2:TRAP_HANDLER: 0
; COMPUTE_PGM_RSRC2:TGID_X_EN: 1
; COMPUTE_PGM_RSRC2:TGID_Y_EN: 1
; COMPUTE_PGM_RSRC2:TGID_Z_EN: 1
; COMPUTE_PGM_RSRC2:TIDIG_COMP_CNT: 0
; COMPUTE_PGM_RSRC3_GFX90A:ACCUM_OFFSET: 18
; COMPUTE_PGM_RSRC3_GFX90A:TG_SPLIT: 0
	.section	.text._ZN4vllm25paged_attention_v2_kernelI14__hip_bfloat16hLi120ELi16ELi128ELNS_18Fp8KVCacheDataTypeE1ELb0ELi512EEEvPfS3_PT_PKS4_PKT0_SA_ifPKiSC_iPKfiiiSE_SE_iiiii,"axG",@progbits,_ZN4vllm25paged_attention_v2_kernelI14__hip_bfloat16hLi120ELi16ELi128ELNS_18Fp8KVCacheDataTypeE1ELb0ELi512EEEvPfS3_PT_PKS4_PKT0_SA_ifPKiSC_iPKfiiiSE_SE_iiiii,comdat
	.protected	_ZN4vllm25paged_attention_v2_kernelI14__hip_bfloat16hLi120ELi16ELi128ELNS_18Fp8KVCacheDataTypeE1ELb0ELi512EEEvPfS3_PT_PKS4_PKT0_SA_ifPKiSC_iPKfiiiSE_SE_iiiii ; -- Begin function _ZN4vllm25paged_attention_v2_kernelI14__hip_bfloat16hLi120ELi16ELi128ELNS_18Fp8KVCacheDataTypeE1ELb0ELi512EEEvPfS3_PT_PKS4_PKT0_SA_ifPKiSC_iPKfiiiSE_SE_iiiii
	.globl	_ZN4vllm25paged_attention_v2_kernelI14__hip_bfloat16hLi120ELi16ELi128ELNS_18Fp8KVCacheDataTypeE1ELb0ELi512EEEvPfS3_PT_PKS4_PKT0_SA_ifPKiSC_iPKfiiiSE_SE_iiiii
	.p2align	8
	.type	_ZN4vllm25paged_attention_v2_kernelI14__hip_bfloat16hLi120ELi16ELi128ELNS_18Fp8KVCacheDataTypeE1ELb0ELi512EEEvPfS3_PT_PKS4_PKT0_SA_ifPKiSC_iPKfiiiSE_SE_iiiii,@function
_ZN4vllm25paged_attention_v2_kernelI14__hip_bfloat16hLi120ELi16ELi128ELNS_18Fp8KVCacheDataTypeE1ELb0ELi512EEEvPfS3_PT_PKS4_PKT0_SA_ifPKiSC_iPKfiiiSE_SE_iiiii: ; @_ZN4vllm25paged_attention_v2_kernelI14__hip_bfloat16hLi120ELi16ELi128ELNS_18Fp8KVCacheDataTypeE1ELb0ELi512EEEvPfS3_PT_PKS4_PKT0_SA_ifPKiSC_iPKfiiiSE_SE_iiiii
; %bb.0:
	s_load_dwordx2 s[6:7], s[0:1], 0x40
	s_mov_b32 s28, s3
	s_ashr_i32 s29, s3, 31
	s_lshl_b64 s[8:9], s[28:29], 2
	s_waitcnt lgkmcnt(0)
	s_add_u32 s6, s6, s8
	s_addc_u32 s7, s7, s9
	s_load_dword s29, s[6:7], 0x0
	s_lshl_b32 s40, s4, 9
	s_waitcnt lgkmcnt(0)
	s_cmp_ge_i32 s40, s29
	s_cbranch_scc1 .LBB348_496
; %bb.1:
	s_load_dword s5, s[0:1], 0x90
	s_load_dwordx2 s[10:11], s[0:1], 0x30
	s_mov_b32 s41, 0
	s_waitcnt lgkmcnt(0)
	s_abs_i32 s7, s5
	s_abs_i32 s3, s10
	v_cvt_f32_u32_e32 v1, s3
	s_sub_i32 s8, 0, s3
	s_xor_b32 s6, s5, s10
	s_ashr_i32 s6, s6, 31
	v_rcp_iflag_f32_e32 v1, v1
	s_nop 0
	v_mul_f32_e32 v1, 0x4f7ffffe, v1
	v_cvt_u32_f32_e32 v1, v1
	s_nop 0
	v_readfirstlane_b32 s9, v1
	s_mul_i32 s8, s8, s9
	s_mul_hi_u32 s8, s9, s8
	s_add_i32 s9, s9, s8
	s_mul_hi_u32 s8, s7, s9
	s_mul_i32 s9, s8, s3
	s_sub_i32 s7, s7, s9
	s_add_i32 s10, s8, 1
	s_sub_i32 s9, s7, s3
	s_cmp_ge_u32 s7, s3
	s_cselect_b32 s8, s10, s8
	s_cselect_b32 s7, s9, s7
	s_add_i32 s9, s8, 1
	s_cmp_ge_u32 s7, s3
	s_cselect_b32 s3, s9, s8
	s_xor_b32 s3, s3, s6
	s_sub_i32 s10, s3, s6
	s_abs_i32 s8, s10
	v_cvt_f32_u32_e32 v1, s8
	s_load_dwordx2 s[6:7], s[0:1], 0x50
	s_sub_i32 s3, 0, s8
	s_abs_i32 s9, s2
	v_rcp_iflag_f32_e32 v1, v1
	s_nop 0
	v_mul_f32_e32 v1, 0x4f7ffffe, v1
	v_cvt_u32_f32_e32 v1, v1
	s_nop 0
	v_readfirstlane_b32 s12, v1
	s_mul_i32 s3, s3, s12
	s_mul_hi_u32 s3, s12, s3
	s_add_i32 s12, s12, s3
	s_waitcnt lgkmcnt(0)
	s_cmp_eq_u64 s[6:7], 0
	s_mul_hi_u32 s16, s9, s12
	s_cbranch_scc1 .LBB348_3
; %bb.2:
	s_ashr_i32 s3, s2, 31
	s_lshl_b64 s[12:13], s[2:3], 2
	s_add_u32 s6, s6, s12
	s_addc_u32 s7, s7, s13
	s_load_dword s41, s[6:7], 0x0
.LBB348_3:
	s_load_dwordx4 s[12:15], s[0:1], 0x58
	s_ashr_i32 s17, s2, 31
	s_waitcnt lgkmcnt(0)
	s_ashr_i32 s15, s10, 31
	v_and_b32_e32 v6, 3, v0
	s_mul_i32 s24, s2, 0x78
	v_cmp_gt_u32_e32 vcc, 60, v0
	s_and_saveexec_b64 s[6:7], vcc
	s_cbranch_execz .LBB348_5
; %bb.4:
	s_load_dwordx2 s[18:19], s[0:1], 0x18
	s_mul_i32 s20, s28, s12
	s_ashr_i32 s21, s20, 31
	s_lshl_b64 s[20:21], s[20:21], 1
	v_lshlrev_b32_e32 v1, 2, v0
	s_waitcnt lgkmcnt(0)
	s_add_u32 s3, s18, s20
	s_addc_u32 s10, s19, s21
	s_ashr_i32 s25, s24, 31
	s_lshl_b64 s[18:19], s[24:25], 1
	s_add_u32 s18, s3, s18
	s_addc_u32 s19, s10, s19
	global_load_dword v1, v1, s[18:19]
	v_and_b32_e32 v2, 0x3fc, v0
	v_mad_u32_u24 v2, v6, 60, v2
	s_waitcnt vmcnt(0)
	ds_write_b32 v2, v1
.LBB348_5:
	s_or_b64 exec, exec, s[6:7]
	s_add_i32 s3, s29, 15
	s_ashr_i32 s6, s3, 31
	s_lshr_b32 s6, s6, 28
	s_add_i32 s3, s3, s6
	s_lshl_b32 s10, s4, 5
	s_mul_i32 s7, s16, s8
	s_ashr_i32 s3, s3, 4
	s_add_i32 s6, s10, 32
	s_sub_i32 s7, s9, s7
	s_min_i32 s33, s6, s3
	s_xor_b32 s6, s17, s15
	s_add_i32 s9, s16, 1
	s_sub_i32 s12, s7, s8
	s_cmp_ge_u32 s7, s8
	s_cselect_b32 s9, s9, s16
	s_cselect_b32 s7, s12, s7
	s_add_i32 s12, s9, 1
	s_cmp_ge_u32 s7, s8
	s_load_dwordx2 s[30:31], s[0:1], 0x38
	s_load_dword s8, s[0:1], 0x48
	v_lshrrev_b32_e32 v20, 6, v0
	s_cselect_b32 s7, s12, s9
	s_xor_b32 s7, s7, s6
	v_or_b32_e32 v10, s10, v20
	s_waitcnt lgkmcnt(0)
	s_mul_i32 s34, s28, s8
	s_sub_i32 s12, s7, s6
	s_ashr_i32 s35, s34, 31
	v_cmp_gt_i32_e64 s[8:9], s33, v10
	v_cmp_le_i32_e32 vcc, s33, v10
	v_mbcnt_lo_u32_b32 v7, -1, 0
	s_barrier
	s_waitcnt lgkmcnt(0)
                                        ; implicit-def: $sgpr15
                                        ; implicit-def: $vgpr12
                                        ; implicit-def: $vgpr13
	s_and_saveexec_b64 s[6:7], vcc
	s_xor_b64 s[6:7], exec, s[6:7]
; %bb.6:
	v_mbcnt_hi_u32_b32 v12, -1, v7
	v_and_b32_e32 v1, 64, v12
	v_add_u32_e32 v13, 64, v1
	s_mov_b32 s15, 0xff7fffff
                                        ; implicit-def: $vgpr6
                                        ; implicit-def: $vgpr7
; %bb.7:
	s_or_saveexec_b64 s[38:39], s[6:7]
	s_load_dwordx4 s[20:23], s[0:1], 0x0
	s_load_dwordx2 s[26:27], s[0:1], 0x10
	s_load_dword s25, s[0:1], 0x98
	s_load_dwordx2 s[36:37], s[0:1], 0x28
	s_load_dwordx4 s[16:19], s[0:1], 0x68
	v_mov_b32_e32 v44, s15
	s_mul_i32 s12, s12, s14
	v_ashrrev_i32_e32 v11, 31, v10
	s_xor_b64 exec, exec, s[38:39]
	s_cbranch_execz .LBB348_133
; %bb.8:
	v_mul_u32_u24_e32 v30, 60, v6
	ds_read2_b32 v[8:9], v30 offset1:1
	ds_read2_b32 v[12:13], v30 offset0:2 offset1:3
	ds_read2_b32 v[24:25], v30 offset0:4 offset1:5
	;; [unrolled: 1-line block ×3, first 2 shown]
	s_load_dwordx2 s[0:1], s[0:1], 0x20
	s_ashr_i32 s6, s12, 31
	s_waitcnt lgkmcnt(0)
	v_lshlrev_b32_e32 v17, 16, v12
	v_lshlrev_b32_e32 v1, 16, v8
	v_and_b32_e32 v14, 0xffff0000, v8
	v_lshlrev_b32_e32 v15, 16, v9
	v_and_b32_e32 v16, 0xffff0000, v9
	v_and_b32_e32 v18, 0xffff0000, v12
	v_lshlrev_b32_e32 v19, 16, v13
	v_and_b32_e32 v21, 0xffff0000, v13
	ds_read2_b32 v[8:9], v30 offset0:8 offset1:9
	ds_read2_b32 v[12:13], v30 offset0:10 offset1:11
	;; [unrolled: 1-line block ×3, first 2 shown]
	ds_read_b32 v43, v30 offset:56
	v_bfe_u32 v44, v0, 2, 4
	s_add_u32 s0, s0, s12
	s_waitcnt lgkmcnt(2)
	v_lshlrev_b32_e32 v34, 16, v12
	v_and_b32_e32 v35, 0xffff0000, v12
	v_mbcnt_hi_u32_b32 v12, -1, v7
	v_and_b32_e32 v7, 64, v12
	v_lshlrev_b32_e32 v36, 16, v13
	v_and_b32_e32 v37, 0xffff0000, v13
	v_add_u32_e32 v13, 64, v7
	v_xor_b32_e32 v7, 2, v12
	v_cmp_lt_i32_e32 vcc, v7, v13
	v_lshlrev_b32_e32 v2, 4, v44
	s_addc_u32 s1, s1, s6
	v_cndmask_b32_e32 v7, v12, v7, vcc
	v_lshlrev_b32_e32 v45, 2, v7
	v_xor_b32_e32 v7, 1, v12
	v_mov_b32_e32 v3, 0
	v_cmp_lt_i32_e32 vcc, v7, v13
	s_load_dword s43, s[16:17], 0x0
	v_lshl_add_u64 v[4:5], s[0:1], 0, v[2:3]
	v_lshlrev_b32_e32 v2, 1, v6
	v_cndmask_b32_e32 v7, v12, v7, vcc
	v_cmp_eq_u32_e32 vcc, 0, v6
	s_sub_i32 s44, 1, s29
	v_lshlrev_b32_e32 v6, 4, v20
	s_lshl_b64 s[0:1], s[34:35], 2
	v_add3_u32 v47, s40, v6, v44
	v_lshlrev_b32_e32 v6, 2, v44
	s_add_u32 s0, s30, s0
	v_lshl_or_b32 v6, v20, 6, v6
	s_addc_u32 s1, s31, s1
	s_mov_b32 s42, s13
	v_lshlrev_b32_e32 v22, 16, v24
	v_and_b32_e32 v23, 0xffff0000, v24
	v_lshlrev_b32_e32 v24, 16, v25
	v_and_b32_e32 v25, 0xffff0000, v25
	;; [unrolled: 2-line block ×6, first 2 shown]
	s_waitcnt lgkmcnt(0)
	v_lshlrev_b32_e32 v38, 16, v40
	v_and_b32_e32 v39, 0xffff0000, v40
	v_lshlrev_b32_e32 v40, 16, v41
	v_and_b32_e32 v41, 0xffff0000, v41
	;; [unrolled: 2-line block ×3, first 2 shown]
	v_lshlrev_b32_e32 v46, 2, v7
	v_cmp_neq_f32_e64 s[6:7], s41, 0
	v_add_u32_e32 v48, 0x100, v6
	v_lshl_add_u64 v[6:7], v[10:11], 2, s[0:1]
	s_mov_b64 s[14:15], 0
	v_mov_b32_e32 v44, 0xff7fffff
	s_mov_b32 s45, 0xffff
	s_mov_b32 s46, 0x7f800000
	s_movk_i32 s47, 0x7fff
	v_mov_b32_e32 v49, v10
	s_branch .LBB348_10
.LBB348_9:                              ;   in Loop: Header=BB348_10 Depth=1
	s_or_b64 exec, exec, s[16:17]
	v_add_u32_e32 v49, 2, v49
	v_cmp_le_i32_e64 s[0:1], s33, v49
	v_add_u32_e32 v47, 32, v47
	v_add_u32_e32 v48, 0x80, v48
	s_or_b64 s[14:15], s[0:1], s[14:15]
	v_lshl_add_u64 v[6:7], v[6:7], 0, 8
	s_andn2_b64 exec, exec, s[14:15]
	s_cbranch_execz .LBB348_132
.LBB348_10:                             ; =>This Inner Loop Header: Depth=1
	global_load_dword v8, v[6:7], off
	s_waitcnt vmcnt(0) lgkmcnt(0)
	v_mad_i64_i32 v[8:9], s[0:1], v8, s42, v[4:5]
	v_lshl_add_u64 v[8:9], v[8:9], 0, v[2:3]
	global_load_ushort v51, v[8:9], off
	s_waitcnt vmcnt(0)
	v_and_b32_sdwa v50, s45, v51 dst_sel:DWORD dst_unused:UNUSED_PAD src0_sel:DWORD src1_sel:BYTE_0
	v_cvt_f32_fp8_sdwa v50, v50 src0_sel:BYTE_0
	s_nop 0
	v_mul_f32_e32 v52, s43, v50
	v_and_b32_e32 v50, 0x7f800000, v52
	v_cmp_ne_u32_e64 s[0:1], s46, v50
                                        ; implicit-def: $vgpr50
	s_and_saveexec_b64 s[16:17], s[0:1]
	s_xor_b64 s[0:1], exec, s[16:17]
; %bb.11:                               ;   in Loop: Header=BB348_10 Depth=1
	v_bfe_u32 v50, v52, 16, 1
	v_add3_u32 v50, v52, v50, s47
                                        ; implicit-def: $vgpr52
; %bb.12:                               ;   in Loop: Header=BB348_10 Depth=1
	s_andn2_saveexec_b64 s[16:17], s[0:1]
; %bb.13:                               ;   in Loop: Header=BB348_10 Depth=1
	v_or_b32_e32 v50, 0x10000, v52
	v_cmp_eq_u32_sdwa s[0:1], v52, v3 src0_sel:WORD_0 src1_sel:DWORD
	s_nop 1
	v_cndmask_b32_e64 v50, v50, v52, s[0:1]
; %bb.14:                               ;   in Loop: Header=BB348_10 Depth=1
	s_or_b64 exec, exec, s[16:17]
	v_lshrrev_b16_e32 v51, 8, v51
	v_cvt_f32_fp8_sdwa v51, v51 src0_sel:BYTE_0
	s_nop 0
	v_mul_f32_e32 v52, s43, v51
	v_and_b32_e32 v51, 0x7f800000, v52
	v_cmp_ne_u32_e64 s[0:1], s46, v51
                                        ; implicit-def: $vgpr51
	s_and_saveexec_b64 s[16:17], s[0:1]
	s_xor_b64 s[0:1], exec, s[16:17]
; %bb.15:                               ;   in Loop: Header=BB348_10 Depth=1
	v_bfe_u32 v51, v52, 16, 1
	v_add3_u32 v51, v52, v51, s47
                                        ; implicit-def: $vgpr52
; %bb.16:                               ;   in Loop: Header=BB348_10 Depth=1
	s_andn2_saveexec_b64 s[16:17], s[0:1]
; %bb.17:                               ;   in Loop: Header=BB348_10 Depth=1
	v_or_b32_e32 v51, 0x10000, v52
	v_cmp_eq_u32_sdwa s[0:1], v52, v3 src0_sel:WORD_0 src1_sel:DWORD
	s_nop 1
	v_cndmask_b32_e64 v51, v51, v52, s[0:1]
; %bb.18:                               ;   in Loop: Header=BB348_10 Depth=1
	s_or_b64 exec, exec, s[16:17]
	global_load_ushort v53, v[8:9], off offset:8
	s_waitcnt vmcnt(0)
	v_and_b32_sdwa v52, s45, v53 dst_sel:DWORD dst_unused:UNUSED_PAD src0_sel:DWORD src1_sel:BYTE_0
	v_cvt_f32_fp8_sdwa v52, v52 src0_sel:BYTE_0
	s_nop 0
	v_mul_f32_e32 v54, s43, v52
	v_and_b32_e32 v52, 0x7f800000, v54
	v_cmp_ne_u32_e64 s[0:1], s46, v52
                                        ; implicit-def: $vgpr52
	s_and_saveexec_b64 s[16:17], s[0:1]
	s_xor_b64 s[0:1], exec, s[16:17]
; %bb.19:                               ;   in Loop: Header=BB348_10 Depth=1
	v_bfe_u32 v52, v54, 16, 1
	v_add3_u32 v52, v54, v52, s47
                                        ; implicit-def: $vgpr54
; %bb.20:                               ;   in Loop: Header=BB348_10 Depth=1
	s_andn2_saveexec_b64 s[16:17], s[0:1]
; %bb.21:                               ;   in Loop: Header=BB348_10 Depth=1
	v_or_b32_e32 v52, 0x10000, v54
	v_cmp_eq_u32_sdwa s[0:1], v54, v3 src0_sel:WORD_0 src1_sel:DWORD
	s_nop 1
	v_cndmask_b32_e64 v52, v52, v54, s[0:1]
; %bb.22:                               ;   in Loop: Header=BB348_10 Depth=1
	s_or_b64 exec, exec, s[16:17]
	v_lshrrev_b16_e32 v53, 8, v53
	v_cvt_f32_fp8_sdwa v53, v53 src0_sel:BYTE_0
	s_nop 0
	v_mul_f32_e32 v54, s43, v53
	v_and_b32_e32 v53, 0x7f800000, v54
	v_cmp_ne_u32_e64 s[0:1], s46, v53
                                        ; implicit-def: $vgpr53
	s_and_saveexec_b64 s[16:17], s[0:1]
	s_xor_b64 s[0:1], exec, s[16:17]
; %bb.23:                               ;   in Loop: Header=BB348_10 Depth=1
	v_bfe_u32 v53, v54, 16, 1
	v_add3_u32 v53, v54, v53, s47
                                        ; implicit-def: $vgpr54
; %bb.24:                               ;   in Loop: Header=BB348_10 Depth=1
	s_andn2_saveexec_b64 s[16:17], s[0:1]
; %bb.25:                               ;   in Loop: Header=BB348_10 Depth=1
	v_or_b32_e32 v53, 0x10000, v54
	v_cmp_eq_u32_sdwa s[0:1], v54, v3 src0_sel:WORD_0 src1_sel:DWORD
	s_nop 1
	v_cndmask_b32_e64 v53, v53, v54, s[0:1]
; %bb.26:                               ;   in Loop: Header=BB348_10 Depth=1
	s_or_b64 exec, exec, s[16:17]
	global_load_ushort v55, v[8:9], off offset:256
	s_waitcnt vmcnt(0)
	v_and_b32_sdwa v54, s45, v55 dst_sel:DWORD dst_unused:UNUSED_PAD src0_sel:DWORD src1_sel:BYTE_0
	v_cvt_f32_fp8_sdwa v54, v54 src0_sel:BYTE_0
	s_nop 0
	v_mul_f32_e32 v56, s43, v54
	v_and_b32_e32 v54, 0x7f800000, v56
	v_cmp_ne_u32_e64 s[0:1], s46, v54
                                        ; implicit-def: $vgpr54
	s_and_saveexec_b64 s[16:17], s[0:1]
	s_xor_b64 s[0:1], exec, s[16:17]
; %bb.27:                               ;   in Loop: Header=BB348_10 Depth=1
	v_bfe_u32 v54, v56, 16, 1
	v_add3_u32 v54, v56, v54, s47
                                        ; implicit-def: $vgpr56
; %bb.28:                               ;   in Loop: Header=BB348_10 Depth=1
	s_andn2_saveexec_b64 s[16:17], s[0:1]
; %bb.29:                               ;   in Loop: Header=BB348_10 Depth=1
	v_or_b32_e32 v54, 0x10000, v56
	v_cmp_eq_u32_sdwa s[0:1], v56, v3 src0_sel:WORD_0 src1_sel:DWORD
	s_nop 1
	v_cndmask_b32_e64 v54, v54, v56, s[0:1]
; %bb.30:                               ;   in Loop: Header=BB348_10 Depth=1
	s_or_b64 exec, exec, s[16:17]
	v_lshrrev_b16_e32 v55, 8, v55
	v_cvt_f32_fp8_sdwa v55, v55 src0_sel:BYTE_0
	s_nop 0
	v_mul_f32_e32 v56, s43, v55
	v_and_b32_e32 v55, 0x7f800000, v56
	v_cmp_ne_u32_e64 s[0:1], s46, v55
                                        ; implicit-def: $vgpr55
	s_and_saveexec_b64 s[16:17], s[0:1]
	s_xor_b64 s[0:1], exec, s[16:17]
; %bb.31:                               ;   in Loop: Header=BB348_10 Depth=1
	v_bfe_u32 v55, v56, 16, 1
	v_add3_u32 v55, v56, v55, s47
                                        ; implicit-def: $vgpr56
; %bb.32:                               ;   in Loop: Header=BB348_10 Depth=1
	s_andn2_saveexec_b64 s[16:17], s[0:1]
; %bb.33:                               ;   in Loop: Header=BB348_10 Depth=1
	v_or_b32_e32 v55, 0x10000, v56
	v_cmp_eq_u32_sdwa s[0:1], v56, v3 src0_sel:WORD_0 src1_sel:DWORD
	s_nop 1
	v_cndmask_b32_e64 v55, v55, v56, s[0:1]
; %bb.34:                               ;   in Loop: Header=BB348_10 Depth=1
	s_or_b64 exec, exec, s[16:17]
	global_load_ushort v57, v[8:9], off offset:264
	s_waitcnt vmcnt(0)
	v_and_b32_sdwa v56, s45, v57 dst_sel:DWORD dst_unused:UNUSED_PAD src0_sel:DWORD src1_sel:BYTE_0
	v_cvt_f32_fp8_sdwa v56, v56 src0_sel:BYTE_0
	s_nop 0
	v_mul_f32_e32 v58, s43, v56
	v_and_b32_e32 v56, 0x7f800000, v58
	v_cmp_ne_u32_e64 s[0:1], s46, v56
                                        ; implicit-def: $vgpr56
	s_and_saveexec_b64 s[16:17], s[0:1]
	s_xor_b64 s[0:1], exec, s[16:17]
; %bb.35:                               ;   in Loop: Header=BB348_10 Depth=1
	v_bfe_u32 v56, v58, 16, 1
	v_add3_u32 v56, v58, v56, s47
                                        ; implicit-def: $vgpr58
; %bb.36:                               ;   in Loop: Header=BB348_10 Depth=1
	s_andn2_saveexec_b64 s[16:17], s[0:1]
; %bb.37:                               ;   in Loop: Header=BB348_10 Depth=1
	v_or_b32_e32 v56, 0x10000, v58
	v_cmp_eq_u32_sdwa s[0:1], v58, v3 src0_sel:WORD_0 src1_sel:DWORD
	s_nop 1
	v_cndmask_b32_e64 v56, v56, v58, s[0:1]
; %bb.38:                               ;   in Loop: Header=BB348_10 Depth=1
	s_or_b64 exec, exec, s[16:17]
	v_lshrrev_b16_e32 v57, 8, v57
	v_cvt_f32_fp8_sdwa v57, v57 src0_sel:BYTE_0
	s_nop 0
	v_mul_f32_e32 v58, s43, v57
	v_and_b32_e32 v57, 0x7f800000, v58
	v_cmp_ne_u32_e64 s[0:1], s46, v57
                                        ; implicit-def: $vgpr57
	s_and_saveexec_b64 s[16:17], s[0:1]
	s_xor_b64 s[0:1], exec, s[16:17]
; %bb.39:                               ;   in Loop: Header=BB348_10 Depth=1
	v_bfe_u32 v57, v58, 16, 1
	v_add3_u32 v57, v58, v57, s47
                                        ; implicit-def: $vgpr58
; %bb.40:                               ;   in Loop: Header=BB348_10 Depth=1
	s_andn2_saveexec_b64 s[16:17], s[0:1]
; %bb.41:                               ;   in Loop: Header=BB348_10 Depth=1
	v_or_b32_e32 v57, 0x10000, v58
	v_cmp_eq_u32_sdwa s[0:1], v58, v3 src0_sel:WORD_0 src1_sel:DWORD
	s_nop 1
	v_cndmask_b32_e64 v57, v57, v58, s[0:1]
; %bb.42:                               ;   in Loop: Header=BB348_10 Depth=1
	s_or_b64 exec, exec, s[16:17]
	global_load_ushort v59, v[8:9], off offset:512
	s_waitcnt vmcnt(0)
	v_and_b32_sdwa v58, s45, v59 dst_sel:DWORD dst_unused:UNUSED_PAD src0_sel:DWORD src1_sel:BYTE_0
	v_cvt_f32_fp8_sdwa v58, v58 src0_sel:BYTE_0
	s_nop 0
	v_mul_f32_e32 v60, s43, v58
	v_and_b32_e32 v58, 0x7f800000, v60
	v_cmp_ne_u32_e64 s[0:1], s46, v58
                                        ; implicit-def: $vgpr58
	s_and_saveexec_b64 s[16:17], s[0:1]
	s_xor_b64 s[0:1], exec, s[16:17]
; %bb.43:                               ;   in Loop: Header=BB348_10 Depth=1
	v_bfe_u32 v58, v60, 16, 1
	v_add3_u32 v58, v60, v58, s47
                                        ; implicit-def: $vgpr60
; %bb.44:                               ;   in Loop: Header=BB348_10 Depth=1
	s_andn2_saveexec_b64 s[16:17], s[0:1]
; %bb.45:                               ;   in Loop: Header=BB348_10 Depth=1
	v_or_b32_e32 v58, 0x10000, v60
	v_cmp_eq_u32_sdwa s[0:1], v60, v3 src0_sel:WORD_0 src1_sel:DWORD
	s_nop 1
	v_cndmask_b32_e64 v58, v58, v60, s[0:1]
; %bb.46:                               ;   in Loop: Header=BB348_10 Depth=1
	s_or_b64 exec, exec, s[16:17]
	v_lshrrev_b16_e32 v59, 8, v59
	v_cvt_f32_fp8_sdwa v59, v59 src0_sel:BYTE_0
	s_nop 0
	v_mul_f32_e32 v60, s43, v59
	v_and_b32_e32 v59, 0x7f800000, v60
	v_cmp_ne_u32_e64 s[0:1], s46, v59
                                        ; implicit-def: $vgpr59
	s_and_saveexec_b64 s[16:17], s[0:1]
	s_xor_b64 s[0:1], exec, s[16:17]
; %bb.47:                               ;   in Loop: Header=BB348_10 Depth=1
	v_bfe_u32 v59, v60, 16, 1
	v_add3_u32 v59, v60, v59, s47
                                        ; implicit-def: $vgpr60
; %bb.48:                               ;   in Loop: Header=BB348_10 Depth=1
	s_andn2_saveexec_b64 s[16:17], s[0:1]
; %bb.49:                               ;   in Loop: Header=BB348_10 Depth=1
	v_or_b32_e32 v59, 0x10000, v60
	v_cmp_eq_u32_sdwa s[0:1], v60, v3 src0_sel:WORD_0 src1_sel:DWORD
	s_nop 1
	v_cndmask_b32_e64 v59, v59, v60, s[0:1]
; %bb.50:                               ;   in Loop: Header=BB348_10 Depth=1
	s_or_b64 exec, exec, s[16:17]
	global_load_ushort v61, v[8:9], off offset:520
	s_waitcnt vmcnt(0)
	v_and_b32_sdwa v60, s45, v61 dst_sel:DWORD dst_unused:UNUSED_PAD src0_sel:DWORD src1_sel:BYTE_0
	v_cvt_f32_fp8_sdwa v60, v60 src0_sel:BYTE_0
	s_nop 0
	v_mul_f32_e32 v62, s43, v60
	v_and_b32_e32 v60, 0x7f800000, v62
	v_cmp_ne_u32_e64 s[0:1], s46, v60
                                        ; implicit-def: $vgpr60
	s_and_saveexec_b64 s[16:17], s[0:1]
	s_xor_b64 s[0:1], exec, s[16:17]
; %bb.51:                               ;   in Loop: Header=BB348_10 Depth=1
	v_bfe_u32 v60, v62, 16, 1
	v_add3_u32 v60, v62, v60, s47
                                        ; implicit-def: $vgpr62
; %bb.52:                               ;   in Loop: Header=BB348_10 Depth=1
	s_andn2_saveexec_b64 s[16:17], s[0:1]
; %bb.53:                               ;   in Loop: Header=BB348_10 Depth=1
	v_or_b32_e32 v60, 0x10000, v62
	v_cmp_eq_u32_sdwa s[0:1], v62, v3 src0_sel:WORD_0 src1_sel:DWORD
	s_nop 1
	v_cndmask_b32_e64 v60, v60, v62, s[0:1]
; %bb.54:                               ;   in Loop: Header=BB348_10 Depth=1
	s_or_b64 exec, exec, s[16:17]
	v_lshrrev_b16_e32 v61, 8, v61
	v_cvt_f32_fp8_sdwa v61, v61 src0_sel:BYTE_0
	s_nop 0
	v_mul_f32_e32 v62, s43, v61
	v_and_b32_e32 v61, 0x7f800000, v62
	v_cmp_ne_u32_e64 s[0:1], s46, v61
                                        ; implicit-def: $vgpr61
	s_and_saveexec_b64 s[16:17], s[0:1]
	s_xor_b64 s[0:1], exec, s[16:17]
; %bb.55:                               ;   in Loop: Header=BB348_10 Depth=1
	v_bfe_u32 v61, v62, 16, 1
	v_add3_u32 v61, v62, v61, s47
                                        ; implicit-def: $vgpr62
; %bb.56:                               ;   in Loop: Header=BB348_10 Depth=1
	s_andn2_saveexec_b64 s[16:17], s[0:1]
; %bb.57:                               ;   in Loop: Header=BB348_10 Depth=1
	v_or_b32_e32 v61, 0x10000, v62
	v_cmp_eq_u32_sdwa s[0:1], v62, v3 src0_sel:WORD_0 src1_sel:DWORD
	s_nop 1
	v_cndmask_b32_e64 v61, v61, v62, s[0:1]
; %bb.58:                               ;   in Loop: Header=BB348_10 Depth=1
	s_or_b64 exec, exec, s[16:17]
	global_load_ushort v63, v[8:9], off offset:768
	s_waitcnt vmcnt(0)
	v_and_b32_sdwa v62, s45, v63 dst_sel:DWORD dst_unused:UNUSED_PAD src0_sel:DWORD src1_sel:BYTE_0
	v_cvt_f32_fp8_sdwa v62, v62 src0_sel:BYTE_0
	s_nop 0
	v_mul_f32_e32 v64, s43, v62
	v_and_b32_e32 v62, 0x7f800000, v64
	v_cmp_ne_u32_e64 s[0:1], s46, v62
                                        ; implicit-def: $vgpr62
	s_and_saveexec_b64 s[16:17], s[0:1]
	s_xor_b64 s[0:1], exec, s[16:17]
; %bb.59:                               ;   in Loop: Header=BB348_10 Depth=1
	v_bfe_u32 v62, v64, 16, 1
	v_add3_u32 v62, v64, v62, s47
                                        ; implicit-def: $vgpr64
; %bb.60:                               ;   in Loop: Header=BB348_10 Depth=1
	s_andn2_saveexec_b64 s[16:17], s[0:1]
; %bb.61:                               ;   in Loop: Header=BB348_10 Depth=1
	v_or_b32_e32 v62, 0x10000, v64
	v_cmp_eq_u32_sdwa s[0:1], v64, v3 src0_sel:WORD_0 src1_sel:DWORD
	s_nop 1
	v_cndmask_b32_e64 v62, v62, v64, s[0:1]
; %bb.62:                               ;   in Loop: Header=BB348_10 Depth=1
	s_or_b64 exec, exec, s[16:17]
	v_lshrrev_b16_e32 v63, 8, v63
	v_cvt_f32_fp8_sdwa v63, v63 src0_sel:BYTE_0
	s_nop 0
	v_mul_f32_e32 v64, s43, v63
	v_and_b32_e32 v63, 0x7f800000, v64
	v_cmp_ne_u32_e64 s[0:1], s46, v63
                                        ; implicit-def: $vgpr63
	s_and_saveexec_b64 s[16:17], s[0:1]
	s_xor_b64 s[0:1], exec, s[16:17]
; %bb.63:                               ;   in Loop: Header=BB348_10 Depth=1
	v_bfe_u32 v63, v64, 16, 1
	v_add3_u32 v63, v64, v63, s47
                                        ; implicit-def: $vgpr64
; %bb.64:                               ;   in Loop: Header=BB348_10 Depth=1
	s_andn2_saveexec_b64 s[16:17], s[0:1]
; %bb.65:                               ;   in Loop: Header=BB348_10 Depth=1
	v_or_b32_e32 v63, 0x10000, v64
	v_cmp_eq_u32_sdwa s[0:1], v64, v3 src0_sel:WORD_0 src1_sel:DWORD
	s_nop 1
	v_cndmask_b32_e64 v63, v63, v64, s[0:1]
; %bb.66:                               ;   in Loop: Header=BB348_10 Depth=1
	s_or_b64 exec, exec, s[16:17]
	global_load_ushort v65, v[8:9], off offset:776
	s_waitcnt vmcnt(0)
	v_and_b32_sdwa v64, s45, v65 dst_sel:DWORD dst_unused:UNUSED_PAD src0_sel:DWORD src1_sel:BYTE_0
	v_cvt_f32_fp8_sdwa v64, v64 src0_sel:BYTE_0
	s_nop 0
	v_mul_f32_e32 v66, s43, v64
	v_and_b32_e32 v64, 0x7f800000, v66
	v_cmp_ne_u32_e64 s[0:1], s46, v64
                                        ; implicit-def: $vgpr64
	s_and_saveexec_b64 s[16:17], s[0:1]
	s_xor_b64 s[0:1], exec, s[16:17]
; %bb.67:                               ;   in Loop: Header=BB348_10 Depth=1
	v_bfe_u32 v64, v66, 16, 1
	v_add3_u32 v64, v66, v64, s47
                                        ; implicit-def: $vgpr66
; %bb.68:                               ;   in Loop: Header=BB348_10 Depth=1
	s_andn2_saveexec_b64 s[16:17], s[0:1]
; %bb.69:                               ;   in Loop: Header=BB348_10 Depth=1
	v_or_b32_e32 v64, 0x10000, v66
	v_cmp_eq_u32_sdwa s[0:1], v66, v3 src0_sel:WORD_0 src1_sel:DWORD
	s_nop 1
	v_cndmask_b32_e64 v64, v64, v66, s[0:1]
; %bb.70:                               ;   in Loop: Header=BB348_10 Depth=1
	s_or_b64 exec, exec, s[16:17]
	v_lshrrev_b16_e32 v65, 8, v65
	v_cvt_f32_fp8_sdwa v65, v65 src0_sel:BYTE_0
	s_nop 0
	v_mul_f32_e32 v66, s43, v65
	v_and_b32_e32 v65, 0x7f800000, v66
	v_cmp_ne_u32_e64 s[0:1], s46, v65
                                        ; implicit-def: $vgpr65
	s_and_saveexec_b64 s[16:17], s[0:1]
	s_xor_b64 s[0:1], exec, s[16:17]
; %bb.71:                               ;   in Loop: Header=BB348_10 Depth=1
	v_bfe_u32 v65, v66, 16, 1
	v_add3_u32 v65, v66, v65, s47
                                        ; implicit-def: $vgpr66
; %bb.72:                               ;   in Loop: Header=BB348_10 Depth=1
	s_andn2_saveexec_b64 s[16:17], s[0:1]
; %bb.73:                               ;   in Loop: Header=BB348_10 Depth=1
	v_or_b32_e32 v65, 0x10000, v66
	v_cmp_eq_u32_sdwa s[0:1], v66, v3 src0_sel:WORD_0 src1_sel:DWORD
	s_nop 1
	v_cndmask_b32_e64 v65, v65, v66, s[0:1]
; %bb.74:                               ;   in Loop: Header=BB348_10 Depth=1
	s_or_b64 exec, exec, s[16:17]
	global_load_ushort v67, v[8:9], off offset:1024
	s_waitcnt vmcnt(0)
	v_and_b32_sdwa v66, s45, v67 dst_sel:DWORD dst_unused:UNUSED_PAD src0_sel:DWORD src1_sel:BYTE_0
	v_cvt_f32_fp8_sdwa v66, v66 src0_sel:BYTE_0
	s_nop 0
	v_mul_f32_e32 v68, s43, v66
	v_and_b32_e32 v66, 0x7f800000, v68
	v_cmp_ne_u32_e64 s[0:1], s46, v66
                                        ; implicit-def: $vgpr66
	s_and_saveexec_b64 s[16:17], s[0:1]
	s_xor_b64 s[0:1], exec, s[16:17]
; %bb.75:                               ;   in Loop: Header=BB348_10 Depth=1
	v_bfe_u32 v66, v68, 16, 1
	v_add3_u32 v66, v68, v66, s47
                                        ; implicit-def: $vgpr68
; %bb.76:                               ;   in Loop: Header=BB348_10 Depth=1
	s_andn2_saveexec_b64 s[16:17], s[0:1]
; %bb.77:                               ;   in Loop: Header=BB348_10 Depth=1
	v_or_b32_e32 v66, 0x10000, v68
	v_cmp_eq_u32_sdwa s[0:1], v68, v3 src0_sel:WORD_0 src1_sel:DWORD
	s_nop 1
	v_cndmask_b32_e64 v66, v66, v68, s[0:1]
; %bb.78:                               ;   in Loop: Header=BB348_10 Depth=1
	s_or_b64 exec, exec, s[16:17]
	v_lshrrev_b16_e32 v67, 8, v67
	v_cvt_f32_fp8_sdwa v67, v67 src0_sel:BYTE_0
	s_nop 0
	v_mul_f32_e32 v68, s43, v67
	v_and_b32_e32 v67, 0x7f800000, v68
	v_cmp_ne_u32_e64 s[0:1], s46, v67
                                        ; implicit-def: $vgpr67
	s_and_saveexec_b64 s[16:17], s[0:1]
	s_xor_b64 s[0:1], exec, s[16:17]
; %bb.79:                               ;   in Loop: Header=BB348_10 Depth=1
	v_bfe_u32 v67, v68, 16, 1
	v_add3_u32 v67, v68, v67, s47
                                        ; implicit-def: $vgpr68
; %bb.80:                               ;   in Loop: Header=BB348_10 Depth=1
	s_andn2_saveexec_b64 s[16:17], s[0:1]
; %bb.81:                               ;   in Loop: Header=BB348_10 Depth=1
	v_or_b32_e32 v67, 0x10000, v68
	v_cmp_eq_u32_sdwa s[0:1], v68, v3 src0_sel:WORD_0 src1_sel:DWORD
	s_nop 1
	v_cndmask_b32_e64 v67, v67, v68, s[0:1]
; %bb.82:                               ;   in Loop: Header=BB348_10 Depth=1
	s_or_b64 exec, exec, s[16:17]
	global_load_ushort v69, v[8:9], off offset:1032
	s_waitcnt vmcnt(0)
	v_and_b32_sdwa v68, s45, v69 dst_sel:DWORD dst_unused:UNUSED_PAD src0_sel:DWORD src1_sel:BYTE_0
	v_cvt_f32_fp8_sdwa v68, v68 src0_sel:BYTE_0
	s_nop 0
	v_mul_f32_e32 v70, s43, v68
	v_and_b32_e32 v68, 0x7f800000, v70
	v_cmp_ne_u32_e64 s[0:1], s46, v68
                                        ; implicit-def: $vgpr68
	s_and_saveexec_b64 s[16:17], s[0:1]
	s_xor_b64 s[0:1], exec, s[16:17]
; %bb.83:                               ;   in Loop: Header=BB348_10 Depth=1
	v_bfe_u32 v68, v70, 16, 1
	v_add3_u32 v68, v70, v68, s47
                                        ; implicit-def: $vgpr70
; %bb.84:                               ;   in Loop: Header=BB348_10 Depth=1
	s_andn2_saveexec_b64 s[16:17], s[0:1]
; %bb.85:                               ;   in Loop: Header=BB348_10 Depth=1
	v_or_b32_e32 v68, 0x10000, v70
	v_cmp_eq_u32_sdwa s[0:1], v70, v3 src0_sel:WORD_0 src1_sel:DWORD
	s_nop 1
	v_cndmask_b32_e64 v68, v68, v70, s[0:1]
; %bb.86:                               ;   in Loop: Header=BB348_10 Depth=1
	s_or_b64 exec, exec, s[16:17]
	v_lshrrev_b16_e32 v69, 8, v69
	v_cvt_f32_fp8_sdwa v69, v69 src0_sel:BYTE_0
	s_nop 0
	v_mul_f32_e32 v70, s43, v69
	v_and_b32_e32 v69, 0x7f800000, v70
	v_cmp_ne_u32_e64 s[0:1], s46, v69
                                        ; implicit-def: $vgpr69
	s_and_saveexec_b64 s[16:17], s[0:1]
	s_xor_b64 s[0:1], exec, s[16:17]
; %bb.87:                               ;   in Loop: Header=BB348_10 Depth=1
	v_bfe_u32 v69, v70, 16, 1
	v_add3_u32 v69, v70, v69, s47
                                        ; implicit-def: $vgpr70
; %bb.88:                               ;   in Loop: Header=BB348_10 Depth=1
	s_andn2_saveexec_b64 s[16:17], s[0:1]
; %bb.89:                               ;   in Loop: Header=BB348_10 Depth=1
	v_or_b32_e32 v69, 0x10000, v70
	v_cmp_eq_u32_sdwa s[0:1], v70, v3 src0_sel:WORD_0 src1_sel:DWORD
	s_nop 1
	v_cndmask_b32_e64 v69, v69, v70, s[0:1]
; %bb.90:                               ;   in Loop: Header=BB348_10 Depth=1
	s_or_b64 exec, exec, s[16:17]
	global_load_ushort v71, v[8:9], off offset:1280
	s_waitcnt vmcnt(0)
	v_and_b32_sdwa v70, s45, v71 dst_sel:DWORD dst_unused:UNUSED_PAD src0_sel:DWORD src1_sel:BYTE_0
	v_cvt_f32_fp8_sdwa v70, v70 src0_sel:BYTE_0
	s_nop 0
	v_mul_f32_e32 v72, s43, v70
	v_and_b32_e32 v70, 0x7f800000, v72
	v_cmp_ne_u32_e64 s[0:1], s46, v70
                                        ; implicit-def: $vgpr70
	s_and_saveexec_b64 s[16:17], s[0:1]
	s_xor_b64 s[0:1], exec, s[16:17]
; %bb.91:                               ;   in Loop: Header=BB348_10 Depth=1
	v_bfe_u32 v70, v72, 16, 1
	v_add3_u32 v70, v72, v70, s47
                                        ; implicit-def: $vgpr72
; %bb.92:                               ;   in Loop: Header=BB348_10 Depth=1
	s_andn2_saveexec_b64 s[16:17], s[0:1]
; %bb.93:                               ;   in Loop: Header=BB348_10 Depth=1
	v_or_b32_e32 v70, 0x10000, v72
	v_cmp_eq_u32_sdwa s[0:1], v72, v3 src0_sel:WORD_0 src1_sel:DWORD
	s_nop 1
	v_cndmask_b32_e64 v70, v70, v72, s[0:1]
; %bb.94:                               ;   in Loop: Header=BB348_10 Depth=1
	s_or_b64 exec, exec, s[16:17]
	v_lshrrev_b16_e32 v71, 8, v71
	v_cvt_f32_fp8_sdwa v71, v71 src0_sel:BYTE_0
	s_nop 0
	v_mul_f32_e32 v72, s43, v71
	v_and_b32_e32 v71, 0x7f800000, v72
	v_cmp_ne_u32_e64 s[0:1], s46, v71
                                        ; implicit-def: $vgpr71
	s_and_saveexec_b64 s[16:17], s[0:1]
	s_xor_b64 s[0:1], exec, s[16:17]
; %bb.95:                               ;   in Loop: Header=BB348_10 Depth=1
	v_bfe_u32 v71, v72, 16, 1
	v_add3_u32 v71, v72, v71, s47
                                        ; implicit-def: $vgpr72
; %bb.96:                               ;   in Loop: Header=BB348_10 Depth=1
	s_andn2_saveexec_b64 s[16:17], s[0:1]
; %bb.97:                               ;   in Loop: Header=BB348_10 Depth=1
	v_or_b32_e32 v71, 0x10000, v72
	v_cmp_eq_u32_sdwa s[0:1], v72, v3 src0_sel:WORD_0 src1_sel:DWORD
	s_nop 1
	v_cndmask_b32_e64 v71, v71, v72, s[0:1]
; %bb.98:                               ;   in Loop: Header=BB348_10 Depth=1
	s_or_b64 exec, exec, s[16:17]
	global_load_ushort v73, v[8:9], off offset:1288
	s_waitcnt vmcnt(0)
	v_and_b32_sdwa v72, s45, v73 dst_sel:DWORD dst_unused:UNUSED_PAD src0_sel:DWORD src1_sel:BYTE_0
	v_cvt_f32_fp8_sdwa v72, v72 src0_sel:BYTE_0
	s_nop 0
	v_mul_f32_e32 v74, s43, v72
	v_and_b32_e32 v72, 0x7f800000, v74
	v_cmp_ne_u32_e64 s[0:1], s46, v72
                                        ; implicit-def: $vgpr72
	s_and_saveexec_b64 s[16:17], s[0:1]
	s_xor_b64 s[0:1], exec, s[16:17]
; %bb.99:                               ;   in Loop: Header=BB348_10 Depth=1
	v_bfe_u32 v72, v74, 16, 1
	v_add3_u32 v72, v74, v72, s47
                                        ; implicit-def: $vgpr74
; %bb.100:                              ;   in Loop: Header=BB348_10 Depth=1
	s_andn2_saveexec_b64 s[16:17], s[0:1]
; %bb.101:                              ;   in Loop: Header=BB348_10 Depth=1
	v_or_b32_e32 v72, 0x10000, v74
	v_cmp_eq_u32_sdwa s[0:1], v74, v3 src0_sel:WORD_0 src1_sel:DWORD
	s_nop 1
	v_cndmask_b32_e64 v72, v72, v74, s[0:1]
; %bb.102:                              ;   in Loop: Header=BB348_10 Depth=1
	s_or_b64 exec, exec, s[16:17]
	v_lshrrev_b16_e32 v73, 8, v73
	v_cvt_f32_fp8_sdwa v73, v73 src0_sel:BYTE_0
	s_nop 0
	v_mul_f32_e32 v74, s43, v73
	v_and_b32_e32 v73, 0x7f800000, v74
	v_cmp_ne_u32_e64 s[0:1], s46, v73
                                        ; implicit-def: $vgpr73
	s_and_saveexec_b64 s[16:17], s[0:1]
	s_xor_b64 s[0:1], exec, s[16:17]
; %bb.103:                              ;   in Loop: Header=BB348_10 Depth=1
	v_bfe_u32 v73, v74, 16, 1
	v_add3_u32 v73, v74, v73, s47
                                        ; implicit-def: $vgpr74
; %bb.104:                              ;   in Loop: Header=BB348_10 Depth=1
	s_andn2_saveexec_b64 s[16:17], s[0:1]
; %bb.105:                              ;   in Loop: Header=BB348_10 Depth=1
	v_or_b32_e32 v73, 0x10000, v74
	v_cmp_eq_u32_sdwa s[0:1], v74, v3 src0_sel:WORD_0 src1_sel:DWORD
	s_nop 1
	v_cndmask_b32_e64 v73, v73, v74, s[0:1]
; %bb.106:                              ;   in Loop: Header=BB348_10 Depth=1
	s_or_b64 exec, exec, s[16:17]
	global_load_ushort v75, v[8:9], off offset:1536
	s_waitcnt vmcnt(0)
	v_and_b32_sdwa v74, s45, v75 dst_sel:DWORD dst_unused:UNUSED_PAD src0_sel:DWORD src1_sel:BYTE_0
	v_cvt_f32_fp8_sdwa v74, v74 src0_sel:BYTE_0
	s_nop 0
	v_mul_f32_e32 v76, s43, v74
	v_and_b32_e32 v74, 0x7f800000, v76
	v_cmp_ne_u32_e64 s[0:1], s46, v74
                                        ; implicit-def: $vgpr74
	s_and_saveexec_b64 s[16:17], s[0:1]
	s_xor_b64 s[0:1], exec, s[16:17]
; %bb.107:                              ;   in Loop: Header=BB348_10 Depth=1
	v_bfe_u32 v74, v76, 16, 1
	v_add3_u32 v74, v76, v74, s47
                                        ; implicit-def: $vgpr76
; %bb.108:                              ;   in Loop: Header=BB348_10 Depth=1
	s_andn2_saveexec_b64 s[16:17], s[0:1]
; %bb.109:                              ;   in Loop: Header=BB348_10 Depth=1
	v_or_b32_e32 v74, 0x10000, v76
	v_cmp_eq_u32_sdwa s[0:1], v76, v3 src0_sel:WORD_0 src1_sel:DWORD
	s_nop 1
	v_cndmask_b32_e64 v74, v74, v76, s[0:1]
; %bb.110:                              ;   in Loop: Header=BB348_10 Depth=1
	s_or_b64 exec, exec, s[16:17]
	v_lshrrev_b16_e32 v75, 8, v75
	v_cvt_f32_fp8_sdwa v75, v75 src0_sel:BYTE_0
	s_nop 0
	v_mul_f32_e32 v76, s43, v75
	v_and_b32_e32 v75, 0x7f800000, v76
	v_cmp_ne_u32_e64 s[0:1], s46, v75
                                        ; implicit-def: $vgpr75
	s_and_saveexec_b64 s[16:17], s[0:1]
	s_xor_b64 s[0:1], exec, s[16:17]
; %bb.111:                              ;   in Loop: Header=BB348_10 Depth=1
	v_bfe_u32 v75, v76, 16, 1
	v_add3_u32 v75, v76, v75, s47
                                        ; implicit-def: $vgpr76
; %bb.112:                              ;   in Loop: Header=BB348_10 Depth=1
	s_andn2_saveexec_b64 s[16:17], s[0:1]
; %bb.113:                              ;   in Loop: Header=BB348_10 Depth=1
	v_or_b32_e32 v75, 0x10000, v76
	v_cmp_eq_u32_sdwa s[0:1], v76, v3 src0_sel:WORD_0 src1_sel:DWORD
	s_nop 1
	v_cndmask_b32_e64 v75, v75, v76, s[0:1]
; %bb.114:                              ;   in Loop: Header=BB348_10 Depth=1
	s_or_b64 exec, exec, s[16:17]
	global_load_ushort v77, v[8:9], off offset:1544
	s_waitcnt vmcnt(0)
	v_and_b32_sdwa v76, s45, v77 dst_sel:DWORD dst_unused:UNUSED_PAD src0_sel:DWORD src1_sel:BYTE_0
	v_cvt_f32_fp8_sdwa v76, v76 src0_sel:BYTE_0
	s_nop 0
	v_mul_f32_e32 v78, s43, v76
	v_and_b32_e32 v76, 0x7f800000, v78
	v_cmp_ne_u32_e64 s[0:1], s46, v76
                                        ; implicit-def: $vgpr76
	s_and_saveexec_b64 s[16:17], s[0:1]
	s_xor_b64 s[0:1], exec, s[16:17]
; %bb.115:                              ;   in Loop: Header=BB348_10 Depth=1
	v_bfe_u32 v76, v78, 16, 1
	v_add3_u32 v76, v78, v76, s47
                                        ; implicit-def: $vgpr78
; %bb.116:                              ;   in Loop: Header=BB348_10 Depth=1
	s_andn2_saveexec_b64 s[16:17], s[0:1]
; %bb.117:                              ;   in Loop: Header=BB348_10 Depth=1
	v_or_b32_e32 v76, 0x10000, v78
	v_cmp_eq_u32_sdwa s[0:1], v78, v3 src0_sel:WORD_0 src1_sel:DWORD
	s_nop 1
	v_cndmask_b32_e64 v76, v76, v78, s[0:1]
; %bb.118:                              ;   in Loop: Header=BB348_10 Depth=1
	s_or_b64 exec, exec, s[16:17]
	v_lshrrev_b16_e32 v77, 8, v77
	v_cvt_f32_fp8_sdwa v77, v77 src0_sel:BYTE_0
	s_nop 0
	v_mul_f32_e32 v78, s43, v77
	v_and_b32_e32 v77, 0x7f800000, v78
	v_cmp_ne_u32_e64 s[0:1], s46, v77
                                        ; implicit-def: $vgpr77
	s_and_saveexec_b64 s[16:17], s[0:1]
	s_xor_b64 s[0:1], exec, s[16:17]
; %bb.119:                              ;   in Loop: Header=BB348_10 Depth=1
	v_bfe_u32 v77, v78, 16, 1
	v_add3_u32 v77, v78, v77, s47
                                        ; implicit-def: $vgpr78
; %bb.120:                              ;   in Loop: Header=BB348_10 Depth=1
	s_andn2_saveexec_b64 s[16:17], s[0:1]
; %bb.121:                              ;   in Loop: Header=BB348_10 Depth=1
	v_or_b32_e32 v77, 0x10000, v78
	v_cmp_eq_u32_sdwa s[0:1], v78, v3 src0_sel:WORD_0 src1_sel:DWORD
	s_nop 1
	v_cndmask_b32_e64 v77, v77, v78, s[0:1]
; %bb.122:                              ;   in Loop: Header=BB348_10 Depth=1
	s_or_b64 exec, exec, s[16:17]
	global_load_ushort v9, v[8:9], off offset:1792
	s_waitcnt vmcnt(0)
	v_and_b32_sdwa v8, s45, v9 dst_sel:DWORD dst_unused:UNUSED_PAD src0_sel:DWORD src1_sel:BYTE_0
	v_cvt_f32_fp8_sdwa v8, v8 src0_sel:BYTE_0
	s_nop 0
	v_mul_f32_e32 v78, s43, v8
	v_and_b32_e32 v8, 0x7f800000, v78
	v_cmp_ne_u32_e64 s[0:1], s46, v8
                                        ; implicit-def: $vgpr8
	s_and_saveexec_b64 s[16:17], s[0:1]
	s_xor_b64 s[0:1], exec, s[16:17]
; %bb.123:                              ;   in Loop: Header=BB348_10 Depth=1
	v_bfe_u32 v8, v78, 16, 1
	v_add3_u32 v8, v78, v8, s47
                                        ; implicit-def: $vgpr78
; %bb.124:                              ;   in Loop: Header=BB348_10 Depth=1
	s_andn2_saveexec_b64 s[16:17], s[0:1]
; %bb.125:                              ;   in Loop: Header=BB348_10 Depth=1
	v_or_b32_e32 v8, 0x10000, v78
	v_cmp_eq_u32_sdwa s[0:1], v78, v3 src0_sel:WORD_0 src1_sel:DWORD
	s_nop 1
	v_cndmask_b32_e64 v8, v8, v78, s[0:1]
; %bb.126:                              ;   in Loop: Header=BB348_10 Depth=1
	s_or_b64 exec, exec, s[16:17]
	v_lshrrev_b16_e32 v9, 8, v9
	v_cvt_f32_fp8_sdwa v9, v9 src0_sel:BYTE_0
	s_nop 0
	v_mul_f32_e32 v78, s43, v9
	v_and_b32_e32 v9, 0x7f800000, v78
	v_cmp_ne_u32_e64 s[0:1], s46, v9
                                        ; implicit-def: $vgpr9
	s_and_saveexec_b64 s[16:17], s[0:1]
	s_xor_b64 s[0:1], exec, s[16:17]
; %bb.127:                              ;   in Loop: Header=BB348_10 Depth=1
	v_bfe_u32 v9, v78, 16, 1
	v_add3_u32 v9, v78, v9, s47
                                        ; implicit-def: $vgpr78
; %bb.128:                              ;   in Loop: Header=BB348_10 Depth=1
	s_andn2_saveexec_b64 s[16:17], s[0:1]
; %bb.129:                              ;   in Loop: Header=BB348_10 Depth=1
	v_or_b32_e32 v9, 0x10000, v78
	v_cmp_eq_u32_sdwa s[0:1], v78, v3 src0_sel:WORD_0 src1_sel:DWORD
	s_nop 1
	v_cndmask_b32_e64 v9, v9, v78, s[0:1]
; %bb.130:                              ;   in Loop: Header=BB348_10 Depth=1
	s_or_b64 exec, exec, s[16:17]
	v_and_b32_e32 v52, 0xffff0000, v52
	v_and_b32_e32 v53, 0xffff0000, v53
	;; [unrolled: 1-line block ×3, first 2 shown]
	v_mul_f32_e32 v52, v15, v52
	v_and_b32_e32 v51, 0xffff0000, v51
	v_fmac_f32_e32 v52, v1, v50
	v_mul_f32_e32 v50, v16, v53
	v_and_b32_e32 v55, 0xffff0000, v55
	v_and_b32_e32 v54, 0xffff0000, v54
	v_fmac_f32_e32 v50, v14, v51
	v_and_b32_e32 v57, 0xffff0000, v57
	v_and_b32_e32 v56, 0xffff0000, v56
	v_fmac_f32_e32 v52, v17, v54
	v_fmac_f32_e32 v50, v18, v55
	v_and_b32_e32 v59, 0xffff0000, v59
	v_and_b32_e32 v58, 0xffff0000, v58
	v_fmac_f32_e32 v52, v19, v56
	v_fmac_f32_e32 v50, v21, v57
	v_and_b32_e32 v61, 0xffff0000, v61
	v_and_b32_e32 v60, 0xffff0000, v60
	v_fmac_f32_e32 v52, v22, v58
	v_fmac_f32_e32 v50, v23, v59
	v_and_b32_e32 v63, 0xffff0000, v63
	v_and_b32_e32 v62, 0xffff0000, v62
	v_fmac_f32_e32 v52, v24, v60
	v_fmac_f32_e32 v50, v25, v61
	v_and_b32_e32 v65, 0xffff0000, v65
	v_and_b32_e32 v64, 0xffff0000, v64
	v_fmac_f32_e32 v52, v26, v62
	v_fmac_f32_e32 v50, v27, v63
	v_and_b32_e32 v67, 0xffff0000, v67
	v_and_b32_e32 v66, 0xffff0000, v66
	v_fmac_f32_e32 v52, v28, v64
	v_fmac_f32_e32 v50, v29, v65
	v_and_b32_e32 v69, 0xffff0000, v69
	v_and_b32_e32 v68, 0xffff0000, v68
	v_fmac_f32_e32 v52, v30, v66
	v_fmac_f32_e32 v50, v31, v67
	v_and_b32_e32 v71, 0xffff0000, v71
	v_and_b32_e32 v70, 0xffff0000, v70
	v_fmac_f32_e32 v52, v32, v68
	v_fmac_f32_e32 v50, v33, v69
	v_and_b32_e32 v73, 0xffff0000, v73
	v_and_b32_e32 v72, 0xffff0000, v72
	v_fmac_f32_e32 v52, v34, v70
	v_fmac_f32_e32 v50, v35, v71
	v_and_b32_e32 v75, 0xffff0000, v75
	v_and_b32_e32 v74, 0xffff0000, v74
	v_fmac_f32_e32 v52, v36, v72
	v_fmac_f32_e32 v50, v37, v73
	v_and_b32_e32 v77, 0xffff0000, v77
	v_and_b32_e32 v76, 0xffff0000, v76
	v_fmac_f32_e32 v52, v38, v74
	v_fmac_f32_e32 v50, v39, v75
	v_and_b32_e32 v8, 0xffff0000, v8
	v_and_b32_e32 v9, 0xffff0000, v9
	v_fmac_f32_e32 v52, v40, v76
	v_fmac_f32_e32 v50, v41, v77
	v_fmac_f32_e32 v52, v42, v8
	;; [unrolled: 1-line block ×3, first 2 shown]
	v_add_f32_e32 v8, v52, v50
	ds_bpermute_b32 v9, v45, v8
	s_waitcnt lgkmcnt(0)
	v_add_f32_e32 v8, v8, v9
	ds_bpermute_b32 v9, v46, v8
	s_and_saveexec_b64 s[16:17], vcc
	s_cbranch_execz .LBB348_9
; %bb.131:                              ;   in Loop: Header=BB348_10 Depth=1
	v_add_u32_e32 v50, s44, v47
	v_cvt_f32_i32_e32 v50, v50
	s_waitcnt lgkmcnt(0)
	v_add_f32_e32 v8, v8, v9
	v_cmp_gt_i32_e64 s[0:1], s29, v47
	v_max_f32_e32 v9, v44, v44
	v_mul_f32_e32 v50, s41, v50
	v_cndmask_b32_e64 v50, 0, v50, s[6:7]
	v_fmac_f32_e32 v50, s11, v8
	v_cndmask_b32_e64 v8, 0, v50, s[0:1]
	ds_write_b32 v48, v8
	v_max_f32_e32 v8, v9, v50
	v_cndmask_b32_e64 v44, v44, v8, s[0:1]
	s_branch .LBB348_9
.LBB348_132:
	s_or_b64 exec, exec, s[14:15]
.LBB348_133:
	s_or_b64 exec, exec, s[38:39]
	v_xor_b32_e32 v1, 32, v12
	v_cmp_lt_i32_e32 vcc, v1, v13
	v_xor_b32_e32 v4, 16, v12
	v_max_f32_e32 v3, v44, v44
	v_cndmask_b32_e32 v1, v12, v1, vcc
	v_lshlrev_b32_e32 v2, 2, v1
	ds_bpermute_b32 v1, v2, v44
	v_cmp_lt_i32_e32 vcc, v4, v13
	v_xor_b32_e32 v5, 8, v12
	v_lshlrev_b32_e32 v6, 2, v20
	s_waitcnt lgkmcnt(0)
	v_max_f32_e32 v1, v1, v1
	v_max_f32_e32 v1, v3, v1
	v_cndmask_b32_e32 v3, v12, v4, vcc
	v_lshlrev_b32_e32 v3, 2, v3
	ds_bpermute_b32 v4, v3, v1
	v_cmp_lt_i32_e32 vcc, v5, v13
	s_waitcnt lgkmcnt(0)
	v_max_f32_e32 v4, v4, v4
	v_max_f32_e32 v1, v1, v4
	v_cndmask_b32_e32 v4, v12, v5, vcc
	v_lshlrev_b32_e32 v8, 2, v4
	ds_bpermute_b32 v4, v8, v1
	v_xor_b32_e32 v5, 4, v12
	v_cmp_lt_i32_e32 vcc, v5, v13
	s_waitcnt lgkmcnt(0)
	v_max_f32_e32 v4, v4, v4
	v_max_f32_e32 v1, v1, v4
	v_cndmask_b32_e32 v4, v12, v5, vcc
	v_lshlrev_b32_e32 v9, 2, v4
	ds_bpermute_b32 v5, v9, v1
	v_and_b32_e32 v4, 63, v0
	v_cmp_eq_u32_e32 vcc, 0, v4
	s_and_saveexec_b64 s[0:1], vcc
	s_cbranch_execz .LBB348_135
; %bb.134:
	s_waitcnt lgkmcnt(0)
	v_max_f32_e32 v5, v5, v5
	v_max_f32_e32 v1, v1, v1
	v_max_f32_e32 v1, v1, v5
	ds_write_b32 v6, v1 offset:240
.LBB348_135:
	s_or_b64 exec, exec, s[0:1]
	v_cmp_gt_u32_e64 s[0:1], 2, v4
	s_waitcnt lgkmcnt(0)
	v_mov_b32_e32 v5, 0xff7fffff
	v_lshlrev_b32_e32 v7, 2, v4
	s_barrier
	s_and_saveexec_b64 s[6:7], s[0:1]
	s_cbranch_execz .LBB348_137
; %bb.136:
	ds_read_b32 v5, v7 offset:240
.LBB348_137:
	s_or_b64 exec, exec, s[6:7]
	v_xor_b32_e32 v1, 1, v12
	v_cmp_lt_i32_e64 s[6:7], v1, v13
	v_mov_b32_e32 v15, 0
	s_nop 0
	v_cndmask_b32_e64 v1, v12, v1, s[6:7]
	v_lshlrev_b32_e32 v1, 2, v1
	s_waitcnt lgkmcnt(0)
	ds_bpermute_b32 v14, v1, v5
	v_max_f32_e32 v5, v5, v5
	s_sub_i32 s6, s33, s10
	s_lshl_b32 s6, s6, 4
	s_add_i32 s6, s6, s40
	s_waitcnt lgkmcnt(0)
	v_max_f32_e32 v14, v14, v14
	v_max_f32_e32 v5, v5, v14
	v_lshlrev_b32_e32 v14, 2, v12
	v_and_b32_e32 v14, 0xffffff00, v14
	ds_bpermute_b32 v5, v14, v5
	s_min_i32 s39, s6, s29
	s_sub_i32 s38, s39, s40
	v_cmp_gt_i32_e64 s[6:7], s38, v0
	s_and_saveexec_b64 s[14:15], s[6:7]
	s_cbranch_execz .LBB348_141
; %bb.138:
	v_mov_b32_e32 v15, 0x100
	v_lshl_add_u32 v16, v0, 2, v15
	s_mov_b64 s[16:17], 0
	v_mov_b32_e32 v15, 0
	v_mov_b32_e32 v17, v0
.LBB348_139:                            ; =>This Inner Loop Header: Depth=1
	ds_read_b32 v18, v16
	v_add_u32_e32 v17, 0x80, v17
	v_cmp_le_i32_e64 s[10:11], s38, v17
	s_or_b64 s[16:17], s[10:11], s[16:17]
	s_waitcnt lgkmcnt(0)
	v_sub_f32_e32 v18, v18, v5
	v_mul_f32_e32 v18, 0x3fb8aa3b, v18
	v_exp_f32_e32 v18, v18
	ds_write_b32 v16, v18
	v_add_f32_e32 v15, v15, v18
	v_add_u32_e32 v16, 0x200, v16
	s_andn2_b64 exec, exec, s[16:17]
	s_cbranch_execnz .LBB348_139
; %bb.140:
	s_or_b64 exec, exec, s[16:17]
.LBB348_141:
	s_or_b64 exec, exec, s[14:15]
	ds_bpermute_b32 v2, v2, v15
	s_waitcnt lgkmcnt(0)
	v_add_f32_e32 v2, v15, v2
	ds_bpermute_b32 v3, v3, v2
	s_waitcnt lgkmcnt(0)
	v_add_f32_e32 v2, v2, v3
	ds_bpermute_b32 v3, v8, v2
	v_xor_b32_e32 v8, 2, v12
	v_cmp_lt_i32_e64 s[10:11], v8, v13
	s_waitcnt lgkmcnt(0)
	v_add_f32_e32 v2, v2, v3
	ds_bpermute_b32 v3, v9, v2
	v_cndmask_b32_e64 v8, v12, v8, s[10:11]
	s_waitcnt lgkmcnt(0)
	v_add_f32_e32 v2, v2, v3
	v_lshlrev_b32_e32 v3, 2, v8
	ds_bpermute_b32 v3, v3, v2
	s_waitcnt lgkmcnt(0)
	v_add_f32_e32 v2, v2, v3
	ds_bpermute_b32 v3, v1, v2
	s_waitcnt lgkmcnt(0)
	v_add_f32_e32 v2, v2, v3
	s_and_saveexec_b64 s[10:11], vcc
	s_cbranch_execz .LBB348_143
; %bb.142:
	ds_write_b32 v6, v2 offset:248
.LBB348_143:
	s_or_b64 exec, exec, s[10:11]
	s_waitcnt lgkmcnt(0)
	s_barrier
	s_and_saveexec_b64 s[10:11], s[0:1]
	s_cbranch_execz .LBB348_145
; %bb.144:
	ds_read_b32 v2, v7 offset:248
.LBB348_145:
	s_or_b64 exec, exec, s[10:11]
	s_waitcnt lgkmcnt(0)
	ds_bpermute_b32 v3, v1, v2
	s_waitcnt lgkmcnt(0)
	v_add_f32_e32 v2, v2, v3
	ds_bpermute_b32 v6, v14, v2
	s_and_saveexec_b64 s[0:1], s[6:7]
	s_cbranch_execz .LBB348_158
; %bb.146:
	s_waitcnt lgkmcnt(0)
	v_add_f32_e32 v2, 0x358637bd, v6
	v_div_scale_f32 v3, s[6:7], v2, v2, 1.0
	v_rcp_f32_e32 v7, v3
	v_div_scale_f32 v8, vcc, 1.0, v2, 1.0
	s_movk_i32 s6, 0x7f
	v_fma_f32 v9, -v3, v7, 1.0
	v_fmac_f32_e32 v7, v9, v7
	v_mul_f32_e32 v9, v8, v7
	v_fma_f32 v12, -v3, v9, v8
	v_fmac_f32_e32 v9, v12, v7
	v_fma_f32 v3, -v3, v9, v8
	v_div_fmas_f32 v3, v3, v7, v9
	v_div_fixup_f32 v2, v3, v2, 1.0
	v_xad_u32 v3, v0, -1, s39
	v_subrev_u32_e32 v7, s40, v3
	v_cmp_lt_u32_e32 vcc, s6, v7
	s_mov_b64 s[10:11], -1
	v_mov_b32_e32 v3, v0
	s_and_saveexec_b64 s[6:7], vcc
	s_cbranch_execz .LBB348_155
; %bb.147:
	v_lshrrev_b32_e32 v7, 7, v7
	v_add_u32_e32 v9, -1, v7
	v_lshrrev_b32_e32 v8, 1, v9
	v_mov_b32_e32 v3, v2
	v_add_u32_e32 v8, 1, v8
	v_cmp_lt_u32_e32 vcc, 13, v9
	v_mov_b32_e32 v13, 0
	s_and_saveexec_b64 s[10:11], vcc
	s_cbranch_execz .LBB348_151
; %bb.148:
	v_mov_b32_e32 v12, 0x100
	v_and_b32_e32 v9, -8, v8
	v_lshl_add_u32 v12, v0, 2, v12
	s_mov_b32 s16, 0
	s_mov_b64 s[14:15], 0
.LBB348_149:                            ; =>This Inner Loop Header: Depth=1
	ds_read2st64_b32 v[14:15], v12 offset1:2
	ds_read2st64_b32 v[16:17], v12 offset0:4 offset1:6
	ds_read2st64_b32 v[18:19], v12 offset0:8 offset1:10
	;; [unrolled: 1-line block ×3, first 2 shown]
	v_add_u32_e32 v9, -8, v9
	s_waitcnt lgkmcnt(3)
	v_pk_mul_f32 v[14:15], v[2:3], v[14:15]
	s_waitcnt lgkmcnt(2)
	v_pk_mul_f32 v[16:17], v[2:3], v[16:17]
	ds_write2st64_b32 v12, v14, v15 offset1:2
	ds_write2st64_b32 v12, v16, v17 offset0:4 offset1:6
	ds_read2st64_b32 v[16:17], v12 offset0:16 offset1:18
	s_waitcnt lgkmcnt(4)
	v_pk_mul_f32 v[14:15], v[2:3], v[18:19]
	ds_write2st64_b32 v12, v14, v15 offset0:8 offset1:10
	s_waitcnt lgkmcnt(4)
	v_pk_mul_f32 v[14:15], v[2:3], v[22:23]
	ds_write2st64_b32 v12, v14, v15 offset0:12 offset1:14
	ds_read2st64_b32 v[14:15], v12 offset0:20 offset1:22
	s_waitcnt lgkmcnt(3)
	v_pk_mul_f32 v[16:17], v[2:3], v[16:17]
	ds_read2st64_b32 v[18:19], v12 offset0:24 offset1:26
	ds_write2st64_b32 v12, v16, v17 offset0:16 offset1:18
	ds_read2st64_b32 v[16:17], v12 offset0:28 offset1:30
	s_waitcnt lgkmcnt(3)
	v_pk_mul_f32 v[14:15], v[2:3], v[14:15]
	ds_write2st64_b32 v12, v14, v15 offset0:20 offset1:22
	s_waitcnt lgkmcnt(3)
	v_pk_mul_f32 v[14:15], v[2:3], v[18:19]
	ds_write2st64_b32 v12, v14, v15 offset0:24 offset1:26
	s_waitcnt lgkmcnt(2)
	v_pk_mul_f32 v[14:15], v[2:3], v[16:17]
	s_add_i32 s16, s16, 16
	v_cmp_eq_u32_e32 vcc, 0, v9
	ds_write2st64_b32 v12, v14, v15 offset0:28 offset1:30
	v_add_u32_e32 v12, 0x2000, v12
	s_or_b64 s[14:15], vcc, s[14:15]
	v_mov_b32_e32 v13, s16
	s_andn2_b64 exec, exec, s[14:15]
	s_cbranch_execnz .LBB348_149
; %bb.150:
	s_or_b64 exec, exec, s[14:15]
.LBB348_151:
	s_or_b64 exec, exec, s[10:11]
	v_and_b32_e32 v8, 7, v8
	v_cmp_ne_u32_e32 vcc, 0, v8
	s_and_saveexec_b64 s[10:11], vcc
	s_cbranch_execz .LBB348_154
; %bb.152:
	v_lshlrev_b32_e32 v9, 9, v13
	v_lshlrev_b32_e32 v12, 2, v0
	s_movk_i32 s14, 0x100
	v_add3_u32 v9, v9, v12, s14
	s_mov_b64 s[14:15], 0
.LBB348_153:                            ; =>This Inner Loop Header: Depth=1
	ds_read2st64_b32 v[12:13], v9 offset1:2
	v_add_u32_e32 v8, -1, v8
	v_cmp_eq_u32_e32 vcc, 0, v8
	s_or_b64 s[14:15], vcc, s[14:15]
	s_waitcnt lgkmcnt(0)
	v_pk_mul_f32 v[12:13], v[2:3], v[12:13]
	ds_write2st64_b32 v9, v12, v13 offset1:2
	v_add_u32_e32 v9, 0x400, v9
	s_andn2_b64 exec, exec, s[14:15]
	s_cbranch_execnz .LBB348_153
.LBB348_154:
	s_or_b64 exec, exec, s[10:11]
	v_add_u32_e32 v7, 1, v7
	v_and_b32_e32 v8, 0x3fffffe, v7
	v_cmp_ne_u32_e32 vcc, v7, v8
	v_lshl_add_u32 v3, v8, 7, v0
	s_orn2_b64 s[10:11], vcc, exec
.LBB348_155:
	s_or_b64 exec, exec, s[6:7]
	s_and_b64 exec, exec, s[10:11]
	s_cbranch_execz .LBB348_158
; %bb.156:
	v_mov_b32_e32 v7, 0x100
	v_lshl_add_u32 v7, v3, 2, v7
	s_mov_b64 s[6:7], 0
.LBB348_157:                            ; =>This Inner Loop Header: Depth=1
	ds_read_b32 v8, v7
	v_add_u32_e32 v3, 0x80, v3
	v_cmp_le_i32_e32 vcc, s38, v3
	s_or_b64 s[6:7], vcc, s[6:7]
	s_waitcnt lgkmcnt(0)
	v_mul_f32_e32 v8, v2, v8
	ds_write_b32 v7, v8
	v_add_u32_e32 v7, 0x200, v7
	s_andn2_b64 exec, exec, s[6:7]
	s_cbranch_execnz .LBB348_157
.LBB348_158:
	s_or_b64 exec, exec, s[0:1]
	s_mul_i32 s0, s25, s28
	v_cmp_eq_u32_e32 vcc, 0, v0
	s_mul_i32 s6, s0, s5
	s_waitcnt lgkmcnt(0)
	s_barrier
	s_and_saveexec_b64 s[0:1], vcc
	s_cbranch_execz .LBB348_160
; %bb.159:
	s_ashr_i32 s7, s6, 31
	s_lshl_b64 s[10:11], s[6:7], 2
	s_add_u32 s5, s22, s10
	s_mul_i32 s14, s25, s2
	s_addc_u32 s7, s23, s11
	s_ashr_i32 s15, s14, 31
	s_lshl_b64 s[14:15], s[14:15], 2
	s_add_u32 s2, s5, s14
	s_addc_u32 s7, s7, s15
	s_ashr_i32 s5, s4, 31
	s_lshl_b64 s[16:17], s[4:5], 2
	s_add_u32 s22, s2, s16
	s_addc_u32 s23, s7, s17
	s_add_u32 s2, s20, s10
	s_addc_u32 s5, s21, s11
	;; [unrolled: 2-line block ×3, first 2 shown]
	s_add_u32 s10, s2, s16
	v_mov_b32_e32 v2, 0
	s_addc_u32 s11, s5, s17
	global_store_dword v2, v5, s[22:23]
	global_store_dword v2, v6, s[10:11]
.LBB348_160:
	s_or_b64 exec, exec, s[0:1]
	v_mov_b32_e32 v13, 0
	v_lshrrev_b32_e32 v23, 1, v4
	v_and_b32_e32 v22, 1, v0
	v_mov_b32_e32 v12, 0
	v_mov_b32_e32 v17, 0
	;; [unrolled: 1-line block ×3, first 2 shown]
	s_and_saveexec_b64 s[10:11], s[8:9]
	s_cbranch_execz .LBB348_462
; %bb.161:
	s_ashr_i32 s0, s12, 31
	v_lshlrev_b32_e32 v2, 3, v0
	s_add_u32 s8, s36, s12
	v_and_b32_e32 v2, 8, v2
	s_addc_u32 s9, s37, s0
	s_load_dword s18, s[18:19], 0x0
	v_or_b32_e32 v3, 0x60, v23
	s_movk_i32 s0, 0x78
	s_add_i32 s7, s3, -1
	v_cmp_gt_u32_e32 vcc, s0, v3
	v_lshl_or_b32 v18, v3, 4, v2
	v_lshl_add_u32 v3, v20, 4, s40
	s_lshl_b64 s[0:1], s[34:35], 2
	v_lshl_or_b32 v14, v23, 4, v2
	v_add3_u32 v24, v3, v2, 7
	v_lshlrev_b32_e32 v2, 5, v22
	s_add_u32 s0, s30, s0
	v_mov_b32_e32 v15, 0
	v_lshl_or_b32 v2, v20, 6, v2
	s_addc_u32 s1, s31, s1
	s_mov_b32 s5, s13
	v_mov_b32_e32 v19, v15
	v_add_u32_e32 v25, 0x100, v2
	v_lshl_add_u64 v[20:21], v[10:11], 2, s[0:1]
	s_mov_b64 s[12:13], 0
	s_mov_b32 s19, 0x7f800000
	s_movk_i32 s20, 0x7fff
	v_mov_b32_e32 v16, v15
	v_mov_b32_e32 v17, v15
	v_mov_b32_e32 v12, v15
	v_mov_b32_e32 v13, v15
	s_branch .LBB348_164
.LBB348_162:                            ;   in Loop: Header=BB348_164 Depth=1
	s_or_b64 exec, exec, s[2:3]
	v_and_b32_e32 v39, 0xffff0000, v37
	v_and_b32_e32 v38, 0xffff0000, v35
	;; [unrolled: 1-line block ×8, first 2 shown]
	v_pk_add_f32 v[2:3], v[32:33], v[36:37]
	v_pk_add_f32 v[32:33], v[34:35], v[38:39]
	v_add_f32_e32 v2, v2, v3
	v_add_f32_e32 v2, v2, v32
	;; [unrolled: 1-line block ×4, first 2 shown]
.LBB348_163:                            ;   in Loop: Header=BB348_164 Depth=1
	s_or_b64 exec, exec, s[14:15]
	v_and_b32_e32 v2, 0xffff0000, v28
	v_and_b32_e32 v28, 0xffff0000, v27
	;; [unrolled: 1-line block ×8, first 2 shown]
	v_pk_add_f32 v[8:9], v[8:9], v[26:27]
	v_pk_add_f32 v[2:3], v[28:29], v[2:3]
	v_add_f32_e32 v8, v8, v9
	v_add_f32_e32 v2, v8, v2
	v_add_f32_e32 v2, v2, v3
	v_and_b32_e32 v27, 0xffff0000, v41
	v_and_b32_e32 v26, 0xffff0000, v7
	;; [unrolled: 1-line block ×4, first 2 shown]
	v_add_f32_e32 v16, v16, v2
	v_and_b32_e32 v3, 0xffff0000, v45
	v_and_b32_e32 v2, 0xffff0000, v43
	;; [unrolled: 1-line block ×4, first 2 shown]
	v_pk_add_f32 v[6:7], v[6:7], v[26:27]
	v_pk_add_f32 v[2:3], v[8:9], v[2:3]
	v_add_f32_e32 v6, v6, v7
	v_add_f32_e32 v2, v6, v2
	;; [unrolled: 1-line block ×3, first 2 shown]
	v_and_b32_e32 v9, 0xffff0000, v47
	v_and_b32_e32 v8, 0xffff0000, v5
	v_and_b32_e32 v5, 0xffff0000, v46
	v_and_b32_e32 v4, 0xffff0000, v4
	v_add_f32_e32 v17, v17, v2
	v_and_b32_e32 v3, 0xffff0000, v51
	v_and_b32_e32 v2, 0xffff0000, v49
	;; [unrolled: 1-line block ×4, first 2 shown]
	v_pk_add_f32 v[4:5], v[4:5], v[8:9]
	v_pk_add_f32 v[2:3], v[6:7], v[2:3]
	v_add_f32_e32 v4, v4, v5
	v_add_f32_e32 v2, v4, v2
	v_add_u32_e32 v10, 2, v10
	v_add_f32_e32 v2, v2, v3
	v_cmp_le_i32_e64 s[0:1], s33, v10
	v_add_f32_e32 v12, v12, v2
	v_add_u32_e32 v24, 32, v24
	v_add_u32_e32 v25, 0x80, v25
	s_or_b64 s[12:13], s[0:1], s[12:13]
	v_lshl_add_u64 v[20:21], v[20:21], 0, 8
	s_andn2_b64 exec, exec, s[12:13]
	s_cbranch_execz .LBB348_461
.LBB348_164:                            ; =>This Inner Loop Header: Depth=1
	global_load_dword v31, v[20:21], off
	ds_read2_b64 v[6:9], v25 offset1:1
	ds_read2_b64 v[2:5], v25 offset0:2 offset1:3
                                        ; implicit-def: $vgpr32
	s_waitcnt lgkmcnt(0)
	v_and_b32_e32 v11, 0x7f800000, v6
	v_cmp_ne_u32_e64 s[0:1], s19, v11
	s_and_saveexec_b64 s[2:3], s[0:1]
	s_xor_b64 s[0:1], exec, s[2:3]
; %bb.165:                              ;   in Loop: Header=BB348_164 Depth=1
	v_bfe_u32 v11, v6, 16, 1
	v_add3_u32 v32, v6, v11, s20
; %bb.166:                              ;   in Loop: Header=BB348_164 Depth=1
	s_andn2_saveexec_b64 s[2:3], s[0:1]
; %bb.167:                              ;   in Loop: Header=BB348_164 Depth=1
	v_or_b32_e32 v11, 0x10000, v6
	v_cmp_eq_u32_sdwa s[0:1], v6, v15 src0_sel:WORD_0 src1_sel:DWORD
	s_nop 1
	v_cndmask_b32_e64 v32, v11, v6, s[0:1]
; %bb.168:                              ;   in Loop: Header=BB348_164 Depth=1
	s_or_b64 exec, exec, s[2:3]
	v_and_b32_e32 v6, 0x7f800000, v7
	v_cmp_ne_u32_e64 s[0:1], s19, v6
                                        ; implicit-def: $vgpr33
	s_and_saveexec_b64 s[2:3], s[0:1]
	s_xor_b64 s[0:1], exec, s[2:3]
; %bb.169:                              ;   in Loop: Header=BB348_164 Depth=1
	v_bfe_u32 v6, v7, 16, 1
	v_add3_u32 v33, v7, v6, s20
; %bb.170:                              ;   in Loop: Header=BB348_164 Depth=1
	s_andn2_saveexec_b64 s[2:3], s[0:1]
; %bb.171:                              ;   in Loop: Header=BB348_164 Depth=1
	v_or_b32_e32 v6, 0x10000, v7
	v_cmp_eq_u32_sdwa s[0:1], v7, v15 src0_sel:WORD_0 src1_sel:DWORD
	s_nop 1
	v_cndmask_b32_e64 v33, v6, v7, s[0:1]
; %bb.172:                              ;   in Loop: Header=BB348_164 Depth=1
	s_or_b64 exec, exec, s[2:3]
	v_and_b32_e32 v6, 0x7f800000, v8
	v_cmp_ne_u32_e64 s[0:1], s19, v6
                                        ; implicit-def: $vgpr11
	s_and_saveexec_b64 s[2:3], s[0:1]
	s_xor_b64 s[0:1], exec, s[2:3]
; %bb.173:                              ;   in Loop: Header=BB348_164 Depth=1
	v_bfe_u32 v6, v8, 16, 1
	v_add3_u32 v11, v8, v6, s20
; %bb.174:                              ;   in Loop: Header=BB348_164 Depth=1
	s_andn2_saveexec_b64 s[2:3], s[0:1]
; %bb.175:                              ;   in Loop: Header=BB348_164 Depth=1
	v_or_b32_e32 v6, 0x10000, v8
	v_cmp_eq_u32_sdwa s[0:1], v8, v15 src0_sel:WORD_0 src1_sel:DWORD
	s_nop 1
	v_cndmask_b32_e64 v11, v6, v8, s[0:1]
; %bb.176:                              ;   in Loop: Header=BB348_164 Depth=1
	s_or_b64 exec, exec, s[2:3]
	v_and_b32_e32 v6, 0x7f800000, v9
	v_cmp_ne_u32_e64 s[0:1], s19, v6
                                        ; implicit-def: $vgpr26
	s_and_saveexec_b64 s[2:3], s[0:1]
	s_xor_b64 s[0:1], exec, s[2:3]
; %bb.177:                              ;   in Loop: Header=BB348_164 Depth=1
	v_bfe_u32 v6, v9, 16, 1
	v_add3_u32 v26, v9, v6, s20
                                        ; implicit-def: $vgpr6_vgpr7_vgpr8_vgpr9
; %bb.178:                              ;   in Loop: Header=BB348_164 Depth=1
	s_andn2_saveexec_b64 s[2:3], s[0:1]
; %bb.179:                              ;   in Loop: Header=BB348_164 Depth=1
	v_or_b32_e32 v6, 0x10000, v9
	v_cmp_eq_u32_sdwa s[0:1], v9, v15 src0_sel:WORD_0 src1_sel:DWORD
	s_nop 1
	v_cndmask_b32_e64 v26, v6, v9, s[0:1]
; %bb.180:                              ;   in Loop: Header=BB348_164 Depth=1
	s_or_b64 exec, exec, s[2:3]
	v_and_b32_e32 v6, 0x7f800000, v2
	v_cmp_ne_u32_e64 s[0:1], s19, v6
                                        ; implicit-def: $vgpr27
	s_and_saveexec_b64 s[2:3], s[0:1]
	s_xor_b64 s[0:1], exec, s[2:3]
; %bb.181:                              ;   in Loop: Header=BB348_164 Depth=1
	v_bfe_u32 v6, v2, 16, 1
	v_add3_u32 v27, v2, v6, s20
; %bb.182:                              ;   in Loop: Header=BB348_164 Depth=1
	s_andn2_saveexec_b64 s[2:3], s[0:1]
; %bb.183:                              ;   in Loop: Header=BB348_164 Depth=1
	v_or_b32_e32 v6, 0x10000, v2
	v_cmp_eq_u32_sdwa s[0:1], v2, v15 src0_sel:WORD_0 src1_sel:DWORD
	s_nop 1
	v_cndmask_b32_e64 v27, v6, v2, s[0:1]
; %bb.184:                              ;   in Loop: Header=BB348_164 Depth=1
	s_or_b64 exec, exec, s[2:3]
	v_and_b32_e32 v2, 0x7f800000, v3
	v_cmp_ne_u32_e64 s[0:1], s19, v2
                                        ; implicit-def: $vgpr28
	s_and_saveexec_b64 s[2:3], s[0:1]
	s_xor_b64 s[0:1], exec, s[2:3]
; %bb.185:                              ;   in Loop: Header=BB348_164 Depth=1
	v_bfe_u32 v2, v3, 16, 1
	v_add3_u32 v28, v3, v2, s20
; %bb.186:                              ;   in Loop: Header=BB348_164 Depth=1
	s_andn2_saveexec_b64 s[2:3], s[0:1]
; %bb.187:                              ;   in Loop: Header=BB348_164 Depth=1
	v_or_b32_e32 v2, 0x10000, v3
	v_cmp_eq_u32_sdwa s[0:1], v3, v15 src0_sel:WORD_0 src1_sel:DWORD
	s_nop 1
	v_cndmask_b32_e64 v28, v2, v3, s[0:1]
; %bb.188:                              ;   in Loop: Header=BB348_164 Depth=1
	s_or_b64 exec, exec, s[2:3]
	v_and_b32_e32 v2, 0x7f800000, v4
	v_cmp_ne_u32_e64 s[0:1], s19, v2
                                        ; implicit-def: $vgpr29
	s_and_saveexec_b64 s[2:3], s[0:1]
	s_xor_b64 s[0:1], exec, s[2:3]
; %bb.189:                              ;   in Loop: Header=BB348_164 Depth=1
	v_bfe_u32 v2, v4, 16, 1
	v_add3_u32 v29, v4, v2, s20
; %bb.190:                              ;   in Loop: Header=BB348_164 Depth=1
	s_andn2_saveexec_b64 s[2:3], s[0:1]
; %bb.191:                              ;   in Loop: Header=BB348_164 Depth=1
	v_or_b32_e32 v2, 0x10000, v4
	v_cmp_eq_u32_sdwa s[0:1], v4, v15 src0_sel:WORD_0 src1_sel:DWORD
	s_nop 1
	v_cndmask_b32_e64 v29, v2, v4, s[0:1]
; %bb.192:                              ;   in Loop: Header=BB348_164 Depth=1
	s_or_b64 exec, exec, s[2:3]
	v_and_b32_e32 v2, 0x7f800000, v5
	v_cmp_ne_u32_e64 s[0:1], s19, v2
                                        ; implicit-def: $vgpr30
	s_and_saveexec_b64 s[2:3], s[0:1]
	s_xor_b64 s[0:1], exec, s[2:3]
; %bb.193:                              ;   in Loop: Header=BB348_164 Depth=1
	v_bfe_u32 v2, v5, 16, 1
	v_add3_u32 v30, v5, v2, s20
                                        ; implicit-def: $vgpr2_vgpr3_vgpr4_vgpr5
; %bb.194:                              ;   in Loop: Header=BB348_164 Depth=1
	s_andn2_saveexec_b64 s[2:3], s[0:1]
; %bb.195:                              ;   in Loop: Header=BB348_164 Depth=1
	v_or_b32_e32 v2, 0x10000, v5
	v_cmp_eq_u32_sdwa s[0:1], v5, v15 src0_sel:WORD_0 src1_sel:DWORD
	s_nop 1
	v_cndmask_b32_e64 v30, v2, v5, s[0:1]
; %bb.196:                              ;   in Loop: Header=BB348_164 Depth=1
	s_or_b64 exec, exec, s[2:3]
	v_mov_b64_e32 v[2:3], s[8:9]
	s_waitcnt vmcnt(0)
	v_mad_i64_i32 v[2:3], s[0:1], v31, s5, v[2:3]
	v_lshl_add_u64 v[4:5], v[2:3], 0, v[14:15]
	global_load_dwordx2 v[6:7], v[4:5], off
	s_waitcnt vmcnt(0)
	v_and_b32_e32 v8, 0xff, v6
	v_cvt_f32_fp8_sdwa v8, v8 src0_sel:BYTE_0
	s_nop 0
	v_mul_f32_e32 v9, s18, v8
	v_and_b32_e32 v8, 0x7f800000, v9
	v_cmp_ne_u32_e64 s[0:1], s19, v8
                                        ; implicit-def: $vgpr8
	s_and_saveexec_b64 s[2:3], s[0:1]
	s_xor_b64 s[0:1], exec, s[2:3]
; %bb.197:                              ;   in Loop: Header=BB348_164 Depth=1
	v_bfe_u32 v8, v9, 16, 1
	v_add3_u32 v8, v9, v8, s20
                                        ; implicit-def: $vgpr9
; %bb.198:                              ;   in Loop: Header=BB348_164 Depth=1
	s_andn2_saveexec_b64 s[2:3], s[0:1]
; %bb.199:                              ;   in Loop: Header=BB348_164 Depth=1
	v_or_b32_e32 v8, 0x10000, v9
	v_cmp_eq_u32_sdwa s[0:1], v9, v15 src0_sel:WORD_0 src1_sel:DWORD
	s_nop 1
	v_cndmask_b32_e64 v8, v8, v9, s[0:1]
; %bb.200:                              ;   in Loop: Header=BB348_164 Depth=1
	s_or_b64 exec, exec, s[2:3]
	v_bfe_u32 v9, v6, 8, 8
	v_cvt_f32_fp8_sdwa v9, v9 src0_sel:BYTE_0
	s_nop 0
	v_mul_f32_e32 v31, s18, v9
	v_and_b32_e32 v9, 0x7f800000, v31
	v_cmp_ne_u32_e64 s[0:1], s19, v9
                                        ; implicit-def: $vgpr9
	s_and_saveexec_b64 s[2:3], s[0:1]
	s_xor_b64 s[0:1], exec, s[2:3]
; %bb.201:                              ;   in Loop: Header=BB348_164 Depth=1
	v_bfe_u32 v9, v31, 16, 1
	v_add3_u32 v9, v31, v9, s20
                                        ; implicit-def: $vgpr31
; %bb.202:                              ;   in Loop: Header=BB348_164 Depth=1
	s_andn2_saveexec_b64 s[2:3], s[0:1]
; %bb.203:                              ;   in Loop: Header=BB348_164 Depth=1
	v_or_b32_e32 v9, 0x10000, v31
	v_cmp_eq_u32_sdwa s[0:1], v31, v15 src0_sel:WORD_0 src1_sel:DWORD
	s_nop 1
	v_cndmask_b32_e64 v9, v9, v31, s[0:1]
; %bb.204:                              ;   in Loop: Header=BB348_164 Depth=1
	s_or_b64 exec, exec, s[2:3]
	v_bfe_u32 v31, v6, 16, 8
	v_cvt_f32_fp8_sdwa v31, v31 src0_sel:BYTE_0
	s_nop 0
	v_mul_f32_e32 v31, s18, v31
	v_and_b32_e32 v34, 0x7f800000, v31
	v_cmp_ne_u32_e64 s[0:1], s19, v34
                                        ; implicit-def: $vgpr34
	s_and_saveexec_b64 s[2:3], s[0:1]
	s_xor_b64 s[0:1], exec, s[2:3]
; %bb.205:                              ;   in Loop: Header=BB348_164 Depth=1
	v_bfe_u32 v34, v31, 16, 1
	v_add3_u32 v34, v31, v34, s20
                                        ; implicit-def: $vgpr31
; %bb.206:                              ;   in Loop: Header=BB348_164 Depth=1
	s_andn2_saveexec_b64 s[2:3], s[0:1]
; %bb.207:                              ;   in Loop: Header=BB348_164 Depth=1
	v_or_b32_e32 v34, 0x10000, v31
	v_cmp_eq_u32_sdwa s[0:1], v31, v15 src0_sel:WORD_0 src1_sel:DWORD
	s_nop 1
	v_cndmask_b32_e64 v34, v34, v31, s[0:1]
; %bb.208:                              ;   in Loop: Header=BB348_164 Depth=1
	s_or_b64 exec, exec, s[2:3]
	v_lshrrev_b32_e32 v6, 24, v6
	v_cvt_f32_fp8_sdwa v6, v6 src0_sel:BYTE_0
	s_nop 0
	v_mul_f32_e32 v31, s18, v6
	v_and_b32_e32 v6, 0x7f800000, v31
	v_cmp_ne_u32_e64 s[0:1], s19, v6
                                        ; implicit-def: $vgpr6
	s_and_saveexec_b64 s[2:3], s[0:1]
	s_xor_b64 s[0:1], exec, s[2:3]
; %bb.209:                              ;   in Loop: Header=BB348_164 Depth=1
	v_bfe_u32 v6, v31, 16, 1
	v_add3_u32 v6, v31, v6, s20
                                        ; implicit-def: $vgpr31
; %bb.210:                              ;   in Loop: Header=BB348_164 Depth=1
	s_andn2_saveexec_b64 s[2:3], s[0:1]
; %bb.211:                              ;   in Loop: Header=BB348_164 Depth=1
	v_or_b32_e32 v6, 0x10000, v31
	v_cmp_eq_u32_sdwa s[0:1], v31, v15 src0_sel:WORD_0 src1_sel:DWORD
	s_nop 1
	v_cndmask_b32_e64 v6, v6, v31, s[0:1]
; %bb.212:                              ;   in Loop: Header=BB348_164 Depth=1
	s_or_b64 exec, exec, s[2:3]
	v_and_b32_e32 v31, 0xff, v7
	v_cvt_f32_fp8_sdwa v31, v31 src0_sel:BYTE_0
	s_nop 0
	v_mul_f32_e32 v31, s18, v31
	v_and_b32_e32 v35, 0x7f800000, v31
	v_cmp_ne_u32_e64 s[0:1], s19, v35
                                        ; implicit-def: $vgpr35
	s_and_saveexec_b64 s[2:3], s[0:1]
	s_xor_b64 s[0:1], exec, s[2:3]
; %bb.213:                              ;   in Loop: Header=BB348_164 Depth=1
	v_bfe_u32 v35, v31, 16, 1
	v_add3_u32 v35, v31, v35, s20
                                        ; implicit-def: $vgpr31
; %bb.214:                              ;   in Loop: Header=BB348_164 Depth=1
	s_andn2_saveexec_b64 s[2:3], s[0:1]
; %bb.215:                              ;   in Loop: Header=BB348_164 Depth=1
	v_or_b32_e32 v35, 0x10000, v31
	v_cmp_eq_u32_sdwa s[0:1], v31, v15 src0_sel:WORD_0 src1_sel:DWORD
	s_nop 1
	v_cndmask_b32_e64 v35, v35, v31, s[0:1]
; %bb.216:                              ;   in Loop: Header=BB348_164 Depth=1
	s_or_b64 exec, exec, s[2:3]
	v_bfe_u32 v31, v7, 8, 8
	v_cvt_f32_fp8_sdwa v31, v31 src0_sel:BYTE_0
	s_nop 0
	v_mul_f32_e32 v31, s18, v31
	v_and_b32_e32 v36, 0x7f800000, v31
	v_cmp_ne_u32_e64 s[0:1], s19, v36
                                        ; implicit-def: $vgpr36
	s_and_saveexec_b64 s[2:3], s[0:1]
	s_xor_b64 s[0:1], exec, s[2:3]
; %bb.217:                              ;   in Loop: Header=BB348_164 Depth=1
	v_bfe_u32 v36, v31, 16, 1
	v_add3_u32 v36, v31, v36, s20
                                        ; implicit-def: $vgpr31
; %bb.218:                              ;   in Loop: Header=BB348_164 Depth=1
	s_andn2_saveexec_b64 s[2:3], s[0:1]
; %bb.219:                              ;   in Loop: Header=BB348_164 Depth=1
	v_or_b32_e32 v36, 0x10000, v31
	v_cmp_eq_u32_sdwa s[0:1], v31, v15 src0_sel:WORD_0 src1_sel:DWORD
	s_nop 1
	v_cndmask_b32_e64 v36, v36, v31, s[0:1]
; %bb.220:                              ;   in Loop: Header=BB348_164 Depth=1
	s_or_b64 exec, exec, s[2:3]
	v_bfe_u32 v31, v7, 16, 8
	v_cvt_f32_fp8_sdwa v31, v31 src0_sel:BYTE_0
                                        ; implicit-def: $vgpr39
	s_nop 0
	v_mul_f32_e32 v31, s18, v31
	v_and_b32_e32 v37, 0x7f800000, v31
	v_cmp_ne_u32_e64 s[0:1], s19, v37
	s_and_saveexec_b64 s[2:3], s[0:1]
	s_xor_b64 s[0:1], exec, s[2:3]
; %bb.221:                              ;   in Loop: Header=BB348_164 Depth=1
	v_bfe_u32 v37, v31, 16, 1
	v_add3_u32 v39, v31, v37, s20
                                        ; implicit-def: $vgpr31
; %bb.222:                              ;   in Loop: Header=BB348_164 Depth=1
	s_andn2_saveexec_b64 s[2:3], s[0:1]
; %bb.223:                              ;   in Loop: Header=BB348_164 Depth=1
	v_or_b32_e32 v37, 0x10000, v31
	v_cmp_eq_u32_sdwa s[0:1], v31, v15 src0_sel:WORD_0 src1_sel:DWORD
	s_nop 1
	v_cndmask_b32_e64 v39, v37, v31, s[0:1]
; %bb.224:                              ;   in Loop: Header=BB348_164 Depth=1
	s_or_b64 exec, exec, s[2:3]
	v_lshrrev_b32_e32 v7, 24, v7
	v_cvt_f32_fp8_sdwa v7, v7 src0_sel:BYTE_0
                                        ; implicit-def: $vgpr40
	s_nop 0
	v_mul_f32_e32 v7, s18, v7
	v_and_b32_e32 v31, 0x7f800000, v7
	v_cmp_ne_u32_e64 s[0:1], s19, v31
	s_and_saveexec_b64 s[2:3], s[0:1]
	s_xor_b64 s[0:1], exec, s[2:3]
; %bb.225:                              ;   in Loop: Header=BB348_164 Depth=1
	v_bfe_u32 v31, v7, 16, 1
	v_add3_u32 v40, v7, v31, s20
                                        ; implicit-def: $vgpr7
; %bb.226:                              ;   in Loop: Header=BB348_164 Depth=1
	s_andn2_saveexec_b64 s[2:3], s[0:1]
; %bb.227:                              ;   in Loop: Header=BB348_164 Depth=1
	v_or_b32_e32 v31, 0x10000, v7
	v_cmp_eq_u32_sdwa s[0:1], v7, v15 src0_sel:WORD_0 src1_sel:DWORD
	s_nop 1
	v_cndmask_b32_e64 v40, v31, v7, s[0:1]
; %bb.228:                              ;   in Loop: Header=BB348_164 Depth=1
	s_or_b64 exec, exec, s[2:3]
	v_cmp_eq_u32_e64 s[0:1], s7, v10
	v_add_u32_e32 v31, -7, v24
	v_lshrrev_b32_e32 v38, 16, v36
	v_lshrrev_b32_e32 v37, 16, v35
	;; [unrolled: 1-line block ×8, first 2 shown]
	s_and_saveexec_b64 s[14:15], s[0:1]
	s_cbranch_execz .LBB348_230
; %bb.229:                              ;   in Loop: Header=BB348_164 Depth=1
	v_cmp_gt_i32_e64 s[2:3], s29, v31
	v_add_u32_e32 v34, -6, v24
	s_nop 0
	v_cndmask_b32_e64 v8, 0, v8, s[2:3]
	v_cmp_gt_i32_e64 s[2:3], s29, v34
	v_add_u32_e32 v34, -5, v24
	s_nop 0
	v_cndmask_b32_e64 v9, 0, v9, s[2:3]
	;; [unrolled: 4-line block ×6, first 2 shown]
	v_cmp_gt_i32_e64 s[2:3], s29, v34
	s_nop 1
	v_cndmask_b32_e64 v7, 0, v7, s[2:3]
	v_cmp_gt_i32_e64 s[2:3], s29, v24
	s_nop 1
	v_cndmask_b32_e64 v6, 0, v6, s[2:3]
.LBB348_230:                            ;   in Loop: Header=BB348_164 Depth=1
	s_or_b64 exec, exec, s[14:15]
	v_and_b32_e32 v32, 0xffff0000, v32
	v_lshlrev_b32_e32 v8, 16, v8
	v_mul_f32_e32 v34, v32, v8
	v_and_b32_e32 v8, 0x7f800000, v34
	v_cmp_ne_u32_e64 s[2:3], s19, v8
                                        ; implicit-def: $vgpr8
	s_and_saveexec_b64 s[14:15], s[2:3]
	s_xor_b64 s[2:3], exec, s[14:15]
; %bb.231:                              ;   in Loop: Header=BB348_164 Depth=1
	v_bfe_u32 v8, v34, 16, 1
	v_add3_u32 v8, v34, v8, s20
                                        ; implicit-def: $vgpr34
; %bb.232:                              ;   in Loop: Header=BB348_164 Depth=1
	s_andn2_saveexec_b64 s[14:15], s[2:3]
; %bb.233:                              ;   in Loop: Header=BB348_164 Depth=1
	v_or_b32_e32 v8, 0x10000, v34
	v_cmp_eq_u32_sdwa s[2:3], v34, v15 src0_sel:WORD_0 src1_sel:DWORD
	s_nop 1
	v_cndmask_b32_e64 v8, v8, v34, s[2:3]
; %bb.234:                              ;   in Loop: Header=BB348_164 Depth=1
	s_or_b64 exec, exec, s[14:15]
	v_and_b32_e32 v33, 0xffff0000, v33
	v_lshlrev_b32_e32 v9, 16, v9
	v_mul_f32_e32 v34, v33, v9
	v_and_b32_e32 v9, 0x7f800000, v34
	v_cmp_ne_u32_e64 s[2:3], s19, v9
                                        ; implicit-def: $vgpr9
	s_and_saveexec_b64 s[14:15], s[2:3]
	s_xor_b64 s[2:3], exec, s[14:15]
; %bb.235:                              ;   in Loop: Header=BB348_164 Depth=1
	v_bfe_u32 v9, v34, 16, 1
	v_add3_u32 v9, v34, v9, s20
                                        ; implicit-def: $vgpr34
; %bb.236:                              ;   in Loop: Header=BB348_164 Depth=1
	s_andn2_saveexec_b64 s[14:15], s[2:3]
; %bb.237:                              ;   in Loop: Header=BB348_164 Depth=1
	v_or_b32_e32 v9, 0x10000, v34
	v_cmp_eq_u32_sdwa s[2:3], v34, v15 src0_sel:WORD_0 src1_sel:DWORD
	s_nop 1
	v_cndmask_b32_e64 v9, v9, v34, s[2:3]
; %bb.238:                              ;   in Loop: Header=BB348_164 Depth=1
	s_or_b64 exec, exec, s[14:15]
	v_and_b32_e32 v34, 0xffff0000, v11
	v_lshlrev_b32_e32 v11, 16, v35
	v_mul_f32_e32 v35, v34, v11
	v_and_b32_e32 v11, 0x7f800000, v35
	v_cmp_ne_u32_e64 s[2:3], s19, v11
                                        ; implicit-def: $vgpr11
	s_and_saveexec_b64 s[14:15], s[2:3]
	s_xor_b64 s[2:3], exec, s[14:15]
; %bb.239:                              ;   in Loop: Header=BB348_164 Depth=1
	v_bfe_u32 v11, v35, 16, 1
	v_add3_u32 v11, v35, v11, s20
                                        ; implicit-def: $vgpr35
; %bb.240:                              ;   in Loop: Header=BB348_164 Depth=1
	s_andn2_saveexec_b64 s[14:15], s[2:3]
; %bb.241:                              ;   in Loop: Header=BB348_164 Depth=1
	v_or_b32_e32 v11, 0x10000, v35
	v_cmp_eq_u32_sdwa s[2:3], v35, v15 src0_sel:WORD_0 src1_sel:DWORD
	s_nop 1
	v_cndmask_b32_e64 v11, v11, v35, s[2:3]
; %bb.242:                              ;   in Loop: Header=BB348_164 Depth=1
	s_or_b64 exec, exec, s[14:15]
	v_and_b32_e32 v35, 0xffff0000, v26
	v_lshlrev_b32_e32 v26, 16, v36
	v_mul_f32_e32 v36, v35, v26
	v_and_b32_e32 v26, 0x7f800000, v36
	v_cmp_ne_u32_e64 s[2:3], s19, v26
                                        ; implicit-def: $vgpr26
	s_and_saveexec_b64 s[14:15], s[2:3]
	s_xor_b64 s[2:3], exec, s[14:15]
; %bb.243:                              ;   in Loop: Header=BB348_164 Depth=1
	v_bfe_u32 v26, v36, 16, 1
	v_add3_u32 v26, v36, v26, s20
                                        ; implicit-def: $vgpr36
; %bb.244:                              ;   in Loop: Header=BB348_164 Depth=1
	s_andn2_saveexec_b64 s[14:15], s[2:3]
; %bb.245:                              ;   in Loop: Header=BB348_164 Depth=1
	v_or_b32_e32 v26, 0x10000, v36
	v_cmp_eq_u32_sdwa s[2:3], v36, v15 src0_sel:WORD_0 src1_sel:DWORD
	s_nop 1
	v_cndmask_b32_e64 v26, v26, v36, s[2:3]
; %bb.246:                              ;   in Loop: Header=BB348_164 Depth=1
	s_or_b64 exec, exec, s[14:15]
	v_and_b32_e32 v36, 0xffff0000, v27
	v_lshlrev_b32_e32 v27, 16, v37
	v_mul_f32_e32 v37, v36, v27
	v_and_b32_e32 v27, 0x7f800000, v37
	v_cmp_ne_u32_e64 s[2:3], s19, v27
                                        ; implicit-def: $vgpr27
	s_and_saveexec_b64 s[14:15], s[2:3]
	s_xor_b64 s[2:3], exec, s[14:15]
; %bb.247:                              ;   in Loop: Header=BB348_164 Depth=1
	v_bfe_u32 v27, v37, 16, 1
	v_add3_u32 v27, v37, v27, s20
                                        ; implicit-def: $vgpr37
; %bb.248:                              ;   in Loop: Header=BB348_164 Depth=1
	s_andn2_saveexec_b64 s[14:15], s[2:3]
; %bb.249:                              ;   in Loop: Header=BB348_164 Depth=1
	v_or_b32_e32 v27, 0x10000, v37
	v_cmp_eq_u32_sdwa s[2:3], v37, v15 src0_sel:WORD_0 src1_sel:DWORD
	s_nop 1
	v_cndmask_b32_e64 v27, v27, v37, s[2:3]
; %bb.250:                              ;   in Loop: Header=BB348_164 Depth=1
	s_or_b64 exec, exec, s[14:15]
	v_and_b32_e32 v37, 0xffff0000, v28
	v_lshlrev_b32_e32 v28, 16, v38
	v_mul_f32_e32 v38, v37, v28
	v_and_b32_e32 v28, 0x7f800000, v38
	v_cmp_ne_u32_e64 s[2:3], s19, v28
                                        ; implicit-def: $vgpr28
	s_and_saveexec_b64 s[14:15], s[2:3]
	s_xor_b64 s[2:3], exec, s[14:15]
; %bb.251:                              ;   in Loop: Header=BB348_164 Depth=1
	v_bfe_u32 v28, v38, 16, 1
	v_add3_u32 v28, v38, v28, s20
                                        ; implicit-def: $vgpr38
; %bb.252:                              ;   in Loop: Header=BB348_164 Depth=1
	s_andn2_saveexec_b64 s[14:15], s[2:3]
; %bb.253:                              ;   in Loop: Header=BB348_164 Depth=1
	v_or_b32_e32 v28, 0x10000, v38
	v_cmp_eq_u32_sdwa s[2:3], v38, v15 src0_sel:WORD_0 src1_sel:DWORD
	s_nop 1
	v_cndmask_b32_e64 v28, v28, v38, s[2:3]
; %bb.254:                              ;   in Loop: Header=BB348_164 Depth=1
	s_or_b64 exec, exec, s[14:15]
	v_and_b32_e32 v38, 0xffff0000, v29
	v_lshlrev_b32_e32 v7, 16, v7
	v_mul_f32_e32 v7, v38, v7
	v_and_b32_e32 v29, 0x7f800000, v7
	v_cmp_ne_u32_e64 s[2:3], s19, v29
                                        ; implicit-def: $vgpr29
	s_and_saveexec_b64 s[14:15], s[2:3]
	s_xor_b64 s[2:3], exec, s[14:15]
; %bb.255:                              ;   in Loop: Header=BB348_164 Depth=1
	v_bfe_u32 v29, v7, 16, 1
	v_add3_u32 v29, v7, v29, s20
                                        ; implicit-def: $vgpr7
; %bb.256:                              ;   in Loop: Header=BB348_164 Depth=1
	s_andn2_saveexec_b64 s[14:15], s[2:3]
; %bb.257:                              ;   in Loop: Header=BB348_164 Depth=1
	v_or_b32_e32 v29, 0x10000, v7
	v_cmp_eq_u32_sdwa s[2:3], v7, v15 src0_sel:WORD_0 src1_sel:DWORD
	s_nop 1
	v_cndmask_b32_e64 v29, v29, v7, s[2:3]
; %bb.258:                              ;   in Loop: Header=BB348_164 Depth=1
	s_or_b64 exec, exec, s[14:15]
	v_and_b32_e32 v39, 0xffff0000, v30
	v_lshlrev_b32_e32 v6, 16, v6
	v_mul_f32_e32 v6, v39, v6
	v_and_b32_e32 v7, 0x7f800000, v6
	v_cmp_ne_u32_e64 s[2:3], s19, v7
                                        ; implicit-def: $vgpr30
	s_and_saveexec_b64 s[14:15], s[2:3]
	s_xor_b64 s[2:3], exec, s[14:15]
; %bb.259:                              ;   in Loop: Header=BB348_164 Depth=1
	v_bfe_u32 v7, v6, 16, 1
	v_add3_u32 v30, v6, v7, s20
                                        ; implicit-def: $vgpr6
; %bb.260:                              ;   in Loop: Header=BB348_164 Depth=1
	s_andn2_saveexec_b64 s[14:15], s[2:3]
; %bb.261:                              ;   in Loop: Header=BB348_164 Depth=1
	v_or_b32_e32 v7, 0x10000, v6
	v_cmp_eq_u32_sdwa s[2:3], v6, v15 src0_sel:WORD_0 src1_sel:DWORD
	s_nop 1
	v_cndmask_b32_e64 v30, v7, v6, s[2:3]
; %bb.262:                              ;   in Loop: Header=BB348_164 Depth=1
	s_or_b64 exec, exec, s[14:15]
	global_load_dwordx2 v[6:7], v[4:5], off offset:512
	s_waitcnt vmcnt(0)
	v_and_b32_e32 v40, 0xff, v6
	v_cvt_f32_fp8_sdwa v40, v40 src0_sel:BYTE_0
	s_nop 0
	v_mul_f32_e32 v41, s18, v40
	v_and_b32_e32 v40, 0x7f800000, v41
	v_cmp_ne_u32_e64 s[2:3], s19, v40
                                        ; implicit-def: $vgpr40
	s_and_saveexec_b64 s[14:15], s[2:3]
	s_xor_b64 s[2:3], exec, s[14:15]
; %bb.263:                              ;   in Loop: Header=BB348_164 Depth=1
	v_bfe_u32 v40, v41, 16, 1
	v_add3_u32 v40, v41, v40, s20
                                        ; implicit-def: $vgpr41
; %bb.264:                              ;   in Loop: Header=BB348_164 Depth=1
	s_andn2_saveexec_b64 s[14:15], s[2:3]
; %bb.265:                              ;   in Loop: Header=BB348_164 Depth=1
	v_or_b32_e32 v40, 0x10000, v41
	v_cmp_eq_u32_sdwa s[2:3], v41, v15 src0_sel:WORD_0 src1_sel:DWORD
	s_nop 1
	v_cndmask_b32_e64 v40, v40, v41, s[2:3]
; %bb.266:                              ;   in Loop: Header=BB348_164 Depth=1
	s_or_b64 exec, exec, s[14:15]
	v_bfe_u32 v41, v6, 8, 8
	v_cvt_f32_fp8_sdwa v41, v41 src0_sel:BYTE_0
	s_nop 0
	v_mul_f32_e32 v42, s18, v41
	v_and_b32_e32 v41, 0x7f800000, v42
	v_cmp_ne_u32_e64 s[2:3], s19, v41
                                        ; implicit-def: $vgpr41
	s_and_saveexec_b64 s[14:15], s[2:3]
	s_xor_b64 s[2:3], exec, s[14:15]
; %bb.267:                              ;   in Loop: Header=BB348_164 Depth=1
	v_bfe_u32 v41, v42, 16, 1
	v_add3_u32 v41, v42, v41, s20
                                        ; implicit-def: $vgpr42
; %bb.268:                              ;   in Loop: Header=BB348_164 Depth=1
	s_andn2_saveexec_b64 s[14:15], s[2:3]
; %bb.269:                              ;   in Loop: Header=BB348_164 Depth=1
	v_or_b32_e32 v41, 0x10000, v42
	v_cmp_eq_u32_sdwa s[2:3], v42, v15 src0_sel:WORD_0 src1_sel:DWORD
	s_nop 1
	v_cndmask_b32_e64 v41, v41, v42, s[2:3]
; %bb.270:                              ;   in Loop: Header=BB348_164 Depth=1
	s_or_b64 exec, exec, s[14:15]
	v_bfe_u32 v42, v6, 16, 8
	v_cvt_f32_fp8_sdwa v42, v42 src0_sel:BYTE_0
	s_nop 0
	v_mul_f32_e32 v43, s18, v42
	v_and_b32_e32 v42, 0x7f800000, v43
	v_cmp_ne_u32_e64 s[2:3], s19, v42
                                        ; implicit-def: $vgpr42
	s_and_saveexec_b64 s[14:15], s[2:3]
	s_xor_b64 s[2:3], exec, s[14:15]
; %bb.271:                              ;   in Loop: Header=BB348_164 Depth=1
	v_bfe_u32 v42, v43, 16, 1
	v_add3_u32 v42, v43, v42, s20
                                        ; implicit-def: $vgpr43
; %bb.272:                              ;   in Loop: Header=BB348_164 Depth=1
	s_andn2_saveexec_b64 s[14:15], s[2:3]
; %bb.273:                              ;   in Loop: Header=BB348_164 Depth=1
	v_or_b32_e32 v42, 0x10000, v43
	v_cmp_eq_u32_sdwa s[2:3], v43, v15 src0_sel:WORD_0 src1_sel:DWORD
	s_nop 1
	v_cndmask_b32_e64 v42, v42, v43, s[2:3]
; %bb.274:                              ;   in Loop: Header=BB348_164 Depth=1
	s_or_b64 exec, exec, s[14:15]
	v_lshrrev_b32_e32 v6, 24, v6
	v_cvt_f32_fp8_sdwa v6, v6 src0_sel:BYTE_0
	s_nop 0
	v_mul_f32_e32 v43, s18, v6
	v_and_b32_e32 v6, 0x7f800000, v43
	v_cmp_ne_u32_e64 s[2:3], s19, v6
                                        ; implicit-def: $vgpr6
	s_and_saveexec_b64 s[14:15], s[2:3]
	s_xor_b64 s[2:3], exec, s[14:15]
; %bb.275:                              ;   in Loop: Header=BB348_164 Depth=1
	v_bfe_u32 v6, v43, 16, 1
	v_add3_u32 v6, v43, v6, s20
                                        ; implicit-def: $vgpr43
; %bb.276:                              ;   in Loop: Header=BB348_164 Depth=1
	s_andn2_saveexec_b64 s[14:15], s[2:3]
; %bb.277:                              ;   in Loop: Header=BB348_164 Depth=1
	v_or_b32_e32 v6, 0x10000, v43
	v_cmp_eq_u32_sdwa s[2:3], v43, v15 src0_sel:WORD_0 src1_sel:DWORD
	s_nop 1
	v_cndmask_b32_e64 v6, v6, v43, s[2:3]
; %bb.278:                              ;   in Loop: Header=BB348_164 Depth=1
	s_or_b64 exec, exec, s[14:15]
	v_and_b32_e32 v43, 0xff, v7
	v_cvt_f32_fp8_sdwa v43, v43 src0_sel:BYTE_0
	s_nop 0
	v_mul_f32_e32 v43, s18, v43
	v_and_b32_e32 v44, 0x7f800000, v43
	v_cmp_ne_u32_e64 s[2:3], s19, v44
                                        ; implicit-def: $vgpr44
	s_and_saveexec_b64 s[14:15], s[2:3]
	s_xor_b64 s[2:3], exec, s[14:15]
; %bb.279:                              ;   in Loop: Header=BB348_164 Depth=1
	v_bfe_u32 v44, v43, 16, 1
	v_add3_u32 v44, v43, v44, s20
                                        ; implicit-def: $vgpr43
; %bb.280:                              ;   in Loop: Header=BB348_164 Depth=1
	s_andn2_saveexec_b64 s[14:15], s[2:3]
; %bb.281:                              ;   in Loop: Header=BB348_164 Depth=1
	v_or_b32_e32 v44, 0x10000, v43
	v_cmp_eq_u32_sdwa s[2:3], v43, v15 src0_sel:WORD_0 src1_sel:DWORD
	s_nop 1
	v_cndmask_b32_e64 v44, v44, v43, s[2:3]
; %bb.282:                              ;   in Loop: Header=BB348_164 Depth=1
	s_or_b64 exec, exec, s[14:15]
	v_bfe_u32 v43, v7, 8, 8
	v_cvt_f32_fp8_sdwa v43, v43 src0_sel:BYTE_0
	s_nop 0
	v_mul_f32_e32 v45, s18, v43
	v_and_b32_e32 v43, 0x7f800000, v45
	v_cmp_ne_u32_e64 s[2:3], s19, v43
                                        ; implicit-def: $vgpr43
	s_and_saveexec_b64 s[14:15], s[2:3]
	s_xor_b64 s[2:3], exec, s[14:15]
; %bb.283:                              ;   in Loop: Header=BB348_164 Depth=1
	v_bfe_u32 v43, v45, 16, 1
	v_add3_u32 v43, v45, v43, s20
                                        ; implicit-def: $vgpr45
; %bb.284:                              ;   in Loop: Header=BB348_164 Depth=1
	s_andn2_saveexec_b64 s[14:15], s[2:3]
; %bb.285:                              ;   in Loop: Header=BB348_164 Depth=1
	v_or_b32_e32 v43, 0x10000, v45
	v_cmp_eq_u32_sdwa s[2:3], v45, v15 src0_sel:WORD_0 src1_sel:DWORD
	s_nop 1
	v_cndmask_b32_e64 v43, v43, v45, s[2:3]
; %bb.286:                              ;   in Loop: Header=BB348_164 Depth=1
	s_or_b64 exec, exec, s[14:15]
	v_bfe_u32 v45, v7, 16, 8
	v_cvt_f32_fp8_sdwa v45, v45 src0_sel:BYTE_0
	s_nop 0
	v_mul_f32_e32 v46, s18, v45
	v_and_b32_e32 v45, 0x7f800000, v46
	v_cmp_ne_u32_e64 s[2:3], s19, v45
                                        ; implicit-def: $vgpr45
	s_and_saveexec_b64 s[14:15], s[2:3]
	s_xor_b64 s[2:3], exec, s[14:15]
; %bb.287:                              ;   in Loop: Header=BB348_164 Depth=1
	v_bfe_u32 v45, v46, 16, 1
	v_add3_u32 v45, v46, v45, s20
                                        ; implicit-def: $vgpr46
; %bb.288:                              ;   in Loop: Header=BB348_164 Depth=1
	s_andn2_saveexec_b64 s[14:15], s[2:3]
; %bb.289:                              ;   in Loop: Header=BB348_164 Depth=1
	v_or_b32_e32 v45, 0x10000, v46
	v_cmp_eq_u32_sdwa s[2:3], v46, v15 src0_sel:WORD_0 src1_sel:DWORD
	s_nop 1
	v_cndmask_b32_e64 v45, v45, v46, s[2:3]
; %bb.290:                              ;   in Loop: Header=BB348_164 Depth=1
	s_or_b64 exec, exec, s[14:15]
	v_lshrrev_b32_e32 v7, 24, v7
	v_cvt_f32_fp8_sdwa v7, v7 src0_sel:BYTE_0
                                        ; implicit-def: $vgpr48
	s_nop 0
	v_mul_f32_e32 v7, s18, v7
	v_and_b32_e32 v46, 0x7f800000, v7
	v_cmp_ne_u32_e64 s[2:3], s19, v46
	s_and_saveexec_b64 s[14:15], s[2:3]
	s_xor_b64 s[2:3], exec, s[14:15]
; %bb.291:                              ;   in Loop: Header=BB348_164 Depth=1
	v_bfe_u32 v46, v7, 16, 1
	v_add3_u32 v48, v7, v46, s20
                                        ; implicit-def: $vgpr7
; %bb.292:                              ;   in Loop: Header=BB348_164 Depth=1
	s_andn2_saveexec_b64 s[14:15], s[2:3]
; %bb.293:                              ;   in Loop: Header=BB348_164 Depth=1
	v_or_b32_e32 v46, 0x10000, v7
	v_cmp_eq_u32_sdwa s[2:3], v7, v15 src0_sel:WORD_0 src1_sel:DWORD
	s_nop 1
	v_cndmask_b32_e64 v48, v46, v7, s[2:3]
; %bb.294:                              ;   in Loop: Header=BB348_164 Depth=1
	s_or_b64 exec, exec, s[14:15]
	v_lshrrev_b32_e32 v43, 16, v43
	v_lshrrev_b32_e32 v46, 16, v44
	;; [unrolled: 1-line block ×8, first 2 shown]
	s_and_saveexec_b64 s[14:15], s[0:1]
	s_cbranch_execz .LBB348_296
; %bb.295:                              ;   in Loop: Header=BB348_164 Depth=1
	v_cmp_gt_i32_e64 s[2:3], s29, v31
	v_add_u32_e32 v40, -6, v24
	s_nop 0
	v_cndmask_b32_e64 v6, 0, v6, s[2:3]
	v_cmp_gt_i32_e64 s[2:3], s29, v40
	v_add_u32_e32 v40, -5, v24
	s_nop 0
	v_cndmask_b32_e64 v7, 0, v7, s[2:3]
	;; [unrolled: 4-line block ×6, first 2 shown]
	v_cmp_gt_i32_e64 s[2:3], s29, v40
	s_nop 1
	v_cndmask_b32_e64 v44, 0, v44, s[2:3]
	v_cmp_gt_i32_e64 s[2:3], s29, v24
	s_nop 1
	v_cndmask_b32_e64 v45, 0, v45, s[2:3]
.LBB348_296:                            ;   in Loop: Header=BB348_164 Depth=1
	s_or_b64 exec, exec, s[14:15]
	v_lshlrev_b32_e32 v6, 16, v6
	v_mul_f32_e32 v40, v32, v6
	v_and_b32_e32 v6, 0x7f800000, v40
	v_cmp_ne_u32_e64 s[2:3], s19, v6
                                        ; implicit-def: $vgpr6
	s_and_saveexec_b64 s[14:15], s[2:3]
	s_xor_b64 s[2:3], exec, s[14:15]
; %bb.297:                              ;   in Loop: Header=BB348_164 Depth=1
	v_bfe_u32 v6, v40, 16, 1
	v_add3_u32 v6, v40, v6, s20
                                        ; implicit-def: $vgpr40
; %bb.298:                              ;   in Loop: Header=BB348_164 Depth=1
	s_andn2_saveexec_b64 s[14:15], s[2:3]
; %bb.299:                              ;   in Loop: Header=BB348_164 Depth=1
	v_or_b32_e32 v6, 0x10000, v40
	v_cmp_eq_u32_sdwa s[2:3], v40, v15 src0_sel:WORD_0 src1_sel:DWORD
	s_nop 1
	v_cndmask_b32_e64 v6, v6, v40, s[2:3]
; %bb.300:                              ;   in Loop: Header=BB348_164 Depth=1
	s_or_b64 exec, exec, s[14:15]
	v_lshlrev_b32_e32 v7, 16, v7
	v_mul_f32_e32 v40, v33, v7
	v_and_b32_e32 v7, 0x7f800000, v40
	v_cmp_ne_u32_e64 s[2:3], s19, v7
                                        ; implicit-def: $vgpr7
	s_and_saveexec_b64 s[14:15], s[2:3]
	s_xor_b64 s[2:3], exec, s[14:15]
; %bb.301:                              ;   in Loop: Header=BB348_164 Depth=1
	v_bfe_u32 v7, v40, 16, 1
	v_add3_u32 v7, v40, v7, s20
                                        ; implicit-def: $vgpr40
; %bb.302:                              ;   in Loop: Header=BB348_164 Depth=1
	s_andn2_saveexec_b64 s[14:15], s[2:3]
; %bb.303:                              ;   in Loop: Header=BB348_164 Depth=1
	v_or_b32_e32 v7, 0x10000, v40
	v_cmp_eq_u32_sdwa s[2:3], v40, v15 src0_sel:WORD_0 src1_sel:DWORD
	s_nop 1
	v_cndmask_b32_e64 v7, v7, v40, s[2:3]
; %bb.304:                              ;   in Loop: Header=BB348_164 Depth=1
	s_or_b64 exec, exec, s[14:15]
	v_lshlrev_b32_e32 v40, 16, v42
	v_mul_f32_e32 v41, v34, v40
	v_and_b32_e32 v40, 0x7f800000, v41
	v_cmp_ne_u32_e64 s[2:3], s19, v40
                                        ; implicit-def: $vgpr40
	s_and_saveexec_b64 s[14:15], s[2:3]
	s_xor_b64 s[2:3], exec, s[14:15]
; %bb.305:                              ;   in Loop: Header=BB348_164 Depth=1
	v_bfe_u32 v40, v41, 16, 1
	v_add3_u32 v40, v41, v40, s20
                                        ; implicit-def: $vgpr41
; %bb.306:                              ;   in Loop: Header=BB348_164 Depth=1
	s_andn2_saveexec_b64 s[14:15], s[2:3]
; %bb.307:                              ;   in Loop: Header=BB348_164 Depth=1
	v_or_b32_e32 v40, 0x10000, v41
	v_cmp_eq_u32_sdwa s[2:3], v41, v15 src0_sel:WORD_0 src1_sel:DWORD
	s_nop 1
	v_cndmask_b32_e64 v40, v40, v41, s[2:3]
; %bb.308:                              ;   in Loop: Header=BB348_164 Depth=1
	s_or_b64 exec, exec, s[14:15]
	v_lshlrev_b32_e32 v41, 16, v47
	v_mul_f32_e32 v42, v35, v41
	v_and_b32_e32 v41, 0x7f800000, v42
	v_cmp_ne_u32_e64 s[2:3], s19, v41
                                        ; implicit-def: $vgpr41
	s_and_saveexec_b64 s[14:15], s[2:3]
	s_xor_b64 s[2:3], exec, s[14:15]
; %bb.309:                              ;   in Loop: Header=BB348_164 Depth=1
	v_bfe_u32 v41, v42, 16, 1
	v_add3_u32 v41, v42, v41, s20
                                        ; implicit-def: $vgpr42
; %bb.310:                              ;   in Loop: Header=BB348_164 Depth=1
	s_andn2_saveexec_b64 s[14:15], s[2:3]
; %bb.311:                              ;   in Loop: Header=BB348_164 Depth=1
	v_or_b32_e32 v41, 0x10000, v42
	v_cmp_eq_u32_sdwa s[2:3], v42, v15 src0_sel:WORD_0 src1_sel:DWORD
	s_nop 1
	v_cndmask_b32_e64 v41, v41, v42, s[2:3]
; %bb.312:                              ;   in Loop: Header=BB348_164 Depth=1
	s_or_b64 exec, exec, s[14:15]
	v_lshlrev_b32_e32 v42, 16, v46
	v_mul_f32_e32 v46, v36, v42
	v_and_b32_e32 v42, 0x7f800000, v46
	v_cmp_ne_u32_e64 s[2:3], s19, v42
                                        ; implicit-def: $vgpr42
	s_and_saveexec_b64 s[14:15], s[2:3]
	s_xor_b64 s[2:3], exec, s[14:15]
; %bb.313:                              ;   in Loop: Header=BB348_164 Depth=1
	v_bfe_u32 v42, v46, 16, 1
	v_add3_u32 v42, v46, v42, s20
                                        ; implicit-def: $vgpr46
; %bb.314:                              ;   in Loop: Header=BB348_164 Depth=1
	s_andn2_saveexec_b64 s[14:15], s[2:3]
; %bb.315:                              ;   in Loop: Header=BB348_164 Depth=1
	v_or_b32_e32 v42, 0x10000, v46
	v_cmp_eq_u32_sdwa s[2:3], v46, v15 src0_sel:WORD_0 src1_sel:DWORD
	s_nop 1
	v_cndmask_b32_e64 v42, v42, v46, s[2:3]
; %bb.316:                              ;   in Loop: Header=BB348_164 Depth=1
	s_or_b64 exec, exec, s[14:15]
	v_lshlrev_b32_e32 v43, 16, v43
	v_mul_f32_e32 v46, v37, v43
	v_and_b32_e32 v43, 0x7f800000, v46
	v_cmp_ne_u32_e64 s[2:3], s19, v43
                                        ; implicit-def: $vgpr43
	s_and_saveexec_b64 s[14:15], s[2:3]
	s_xor_b64 s[2:3], exec, s[14:15]
; %bb.317:                              ;   in Loop: Header=BB348_164 Depth=1
	v_bfe_u32 v43, v46, 16, 1
	v_add3_u32 v43, v46, v43, s20
                                        ; implicit-def: $vgpr46
; %bb.318:                              ;   in Loop: Header=BB348_164 Depth=1
	s_andn2_saveexec_b64 s[14:15], s[2:3]
; %bb.319:                              ;   in Loop: Header=BB348_164 Depth=1
	v_or_b32_e32 v43, 0x10000, v46
	v_cmp_eq_u32_sdwa s[2:3], v46, v15 src0_sel:WORD_0 src1_sel:DWORD
	s_nop 1
	v_cndmask_b32_e64 v43, v43, v46, s[2:3]
; %bb.320:                              ;   in Loop: Header=BB348_164 Depth=1
	s_or_b64 exec, exec, s[14:15]
	v_lshlrev_b32_e32 v44, 16, v44
	v_mul_f32_e32 v46, v38, v44
	v_and_b32_e32 v44, 0x7f800000, v46
	v_cmp_ne_u32_e64 s[2:3], s19, v44
                                        ; implicit-def: $vgpr44
	s_and_saveexec_b64 s[14:15], s[2:3]
	s_xor_b64 s[2:3], exec, s[14:15]
; %bb.321:                              ;   in Loop: Header=BB348_164 Depth=1
	v_bfe_u32 v44, v46, 16, 1
	v_add3_u32 v44, v46, v44, s20
                                        ; implicit-def: $vgpr46
; %bb.322:                              ;   in Loop: Header=BB348_164 Depth=1
	s_andn2_saveexec_b64 s[14:15], s[2:3]
; %bb.323:                              ;   in Loop: Header=BB348_164 Depth=1
	v_or_b32_e32 v44, 0x10000, v46
	v_cmp_eq_u32_sdwa s[2:3], v46, v15 src0_sel:WORD_0 src1_sel:DWORD
	s_nop 1
	v_cndmask_b32_e64 v44, v44, v46, s[2:3]
; %bb.324:                              ;   in Loop: Header=BB348_164 Depth=1
	s_or_b64 exec, exec, s[14:15]
	v_lshlrev_b32_e32 v45, 16, v45
	v_mul_f32_e32 v46, v39, v45
	v_and_b32_e32 v45, 0x7f800000, v46
	v_cmp_ne_u32_e64 s[2:3], s19, v45
                                        ; implicit-def: $vgpr45
	s_and_saveexec_b64 s[14:15], s[2:3]
	s_xor_b64 s[2:3], exec, s[14:15]
; %bb.325:                              ;   in Loop: Header=BB348_164 Depth=1
	v_bfe_u32 v45, v46, 16, 1
	v_add3_u32 v45, v46, v45, s20
                                        ; implicit-def: $vgpr46
; %bb.326:                              ;   in Loop: Header=BB348_164 Depth=1
	s_andn2_saveexec_b64 s[14:15], s[2:3]
; %bb.327:                              ;   in Loop: Header=BB348_164 Depth=1
	v_or_b32_e32 v45, 0x10000, v46
	v_cmp_eq_u32_sdwa s[2:3], v46, v15 src0_sel:WORD_0 src1_sel:DWORD
	s_nop 1
	v_cndmask_b32_e64 v45, v45, v46, s[2:3]
; %bb.328:                              ;   in Loop: Header=BB348_164 Depth=1
	s_or_b64 exec, exec, s[14:15]
	global_load_dwordx2 v[4:5], v[4:5], off offset:1024
	s_waitcnt vmcnt(0)
	v_and_b32_e32 v46, 0xff, v4
	v_cvt_f32_fp8_sdwa v46, v46 src0_sel:BYTE_0
	s_nop 0
	v_mul_f32_e32 v47, s18, v46
	v_and_b32_e32 v46, 0x7f800000, v47
	v_cmp_ne_u32_e64 s[2:3], s19, v46
                                        ; implicit-def: $vgpr46
	s_and_saveexec_b64 s[14:15], s[2:3]
	s_xor_b64 s[2:3], exec, s[14:15]
; %bb.329:                              ;   in Loop: Header=BB348_164 Depth=1
	v_bfe_u32 v46, v47, 16, 1
	v_add3_u32 v46, v47, v46, s20
                                        ; implicit-def: $vgpr47
; %bb.330:                              ;   in Loop: Header=BB348_164 Depth=1
	s_andn2_saveexec_b64 s[14:15], s[2:3]
; %bb.331:                              ;   in Loop: Header=BB348_164 Depth=1
	v_or_b32_e32 v46, 0x10000, v47
	v_cmp_eq_u32_sdwa s[2:3], v47, v15 src0_sel:WORD_0 src1_sel:DWORD
	s_nop 1
	v_cndmask_b32_e64 v46, v46, v47, s[2:3]
; %bb.332:                              ;   in Loop: Header=BB348_164 Depth=1
	s_or_b64 exec, exec, s[14:15]
	v_bfe_u32 v47, v4, 8, 8
	v_cvt_f32_fp8_sdwa v47, v47 src0_sel:BYTE_0
	s_nop 0
	v_mul_f32_e32 v48, s18, v47
	v_and_b32_e32 v47, 0x7f800000, v48
	v_cmp_ne_u32_e64 s[2:3], s19, v47
                                        ; implicit-def: $vgpr47
	s_and_saveexec_b64 s[14:15], s[2:3]
	s_xor_b64 s[2:3], exec, s[14:15]
; %bb.333:                              ;   in Loop: Header=BB348_164 Depth=1
	v_bfe_u32 v47, v48, 16, 1
	v_add3_u32 v47, v48, v47, s20
                                        ; implicit-def: $vgpr48
; %bb.334:                              ;   in Loop: Header=BB348_164 Depth=1
	s_andn2_saveexec_b64 s[14:15], s[2:3]
; %bb.335:                              ;   in Loop: Header=BB348_164 Depth=1
	v_or_b32_e32 v47, 0x10000, v48
	v_cmp_eq_u32_sdwa s[2:3], v48, v15 src0_sel:WORD_0 src1_sel:DWORD
	s_nop 1
	v_cndmask_b32_e64 v47, v47, v48, s[2:3]
; %bb.336:                              ;   in Loop: Header=BB348_164 Depth=1
	s_or_b64 exec, exec, s[14:15]
	v_bfe_u32 v48, v4, 16, 8
	v_cvt_f32_fp8_sdwa v48, v48 src0_sel:BYTE_0
	s_nop 0
	v_mul_f32_e32 v49, s18, v48
	v_and_b32_e32 v48, 0x7f800000, v49
	v_cmp_ne_u32_e64 s[2:3], s19, v48
                                        ; implicit-def: $vgpr48
	s_and_saveexec_b64 s[14:15], s[2:3]
	s_xor_b64 s[2:3], exec, s[14:15]
; %bb.337:                              ;   in Loop: Header=BB348_164 Depth=1
	v_bfe_u32 v48, v49, 16, 1
	v_add3_u32 v48, v49, v48, s20
                                        ; implicit-def: $vgpr49
; %bb.338:                              ;   in Loop: Header=BB348_164 Depth=1
	s_andn2_saveexec_b64 s[14:15], s[2:3]
; %bb.339:                              ;   in Loop: Header=BB348_164 Depth=1
	v_or_b32_e32 v48, 0x10000, v49
	v_cmp_eq_u32_sdwa s[2:3], v49, v15 src0_sel:WORD_0 src1_sel:DWORD
	s_nop 1
	v_cndmask_b32_e64 v48, v48, v49, s[2:3]
; %bb.340:                              ;   in Loop: Header=BB348_164 Depth=1
	s_or_b64 exec, exec, s[14:15]
	v_lshrrev_b32_e32 v4, 24, v4
	v_cvt_f32_fp8_sdwa v4, v4 src0_sel:BYTE_0
	s_nop 0
	v_mul_f32_e32 v49, s18, v4
	v_and_b32_e32 v4, 0x7f800000, v49
	v_cmp_ne_u32_e64 s[2:3], s19, v4
                                        ; implicit-def: $vgpr4
	s_and_saveexec_b64 s[14:15], s[2:3]
	s_xor_b64 s[2:3], exec, s[14:15]
; %bb.341:                              ;   in Loop: Header=BB348_164 Depth=1
	v_bfe_u32 v4, v49, 16, 1
	v_add3_u32 v4, v49, v4, s20
                                        ; implicit-def: $vgpr49
; %bb.342:                              ;   in Loop: Header=BB348_164 Depth=1
	s_andn2_saveexec_b64 s[14:15], s[2:3]
; %bb.343:                              ;   in Loop: Header=BB348_164 Depth=1
	v_or_b32_e32 v4, 0x10000, v49
	v_cmp_eq_u32_sdwa s[2:3], v49, v15 src0_sel:WORD_0 src1_sel:DWORD
	s_nop 1
	v_cndmask_b32_e64 v4, v4, v49, s[2:3]
; %bb.344:                              ;   in Loop: Header=BB348_164 Depth=1
	s_or_b64 exec, exec, s[14:15]
	v_and_b32_e32 v49, 0xff, v5
	v_cvt_f32_fp8_sdwa v49, v49 src0_sel:BYTE_0
	s_nop 0
	v_mul_f32_e32 v49, s18, v49
	v_and_b32_e32 v50, 0x7f800000, v49
	v_cmp_ne_u32_e64 s[2:3], s19, v50
                                        ; implicit-def: $vgpr50
	s_and_saveexec_b64 s[14:15], s[2:3]
	s_xor_b64 s[2:3], exec, s[14:15]
; %bb.345:                              ;   in Loop: Header=BB348_164 Depth=1
	v_bfe_u32 v50, v49, 16, 1
	v_add3_u32 v50, v49, v50, s20
                                        ; implicit-def: $vgpr49
; %bb.346:                              ;   in Loop: Header=BB348_164 Depth=1
	s_andn2_saveexec_b64 s[14:15], s[2:3]
; %bb.347:                              ;   in Loop: Header=BB348_164 Depth=1
	v_or_b32_e32 v50, 0x10000, v49
	v_cmp_eq_u32_sdwa s[2:3], v49, v15 src0_sel:WORD_0 src1_sel:DWORD
	s_nop 1
	v_cndmask_b32_e64 v50, v50, v49, s[2:3]
; %bb.348:                              ;   in Loop: Header=BB348_164 Depth=1
	s_or_b64 exec, exec, s[14:15]
	v_bfe_u32 v49, v5, 8, 8
	v_cvt_f32_fp8_sdwa v49, v49 src0_sel:BYTE_0
	s_nop 0
	v_mul_f32_e32 v51, s18, v49
	v_and_b32_e32 v49, 0x7f800000, v51
	v_cmp_ne_u32_e64 s[2:3], s19, v49
                                        ; implicit-def: $vgpr49
	s_and_saveexec_b64 s[14:15], s[2:3]
	s_xor_b64 s[2:3], exec, s[14:15]
; %bb.349:                              ;   in Loop: Header=BB348_164 Depth=1
	v_bfe_u32 v49, v51, 16, 1
	v_add3_u32 v49, v51, v49, s20
                                        ; implicit-def: $vgpr51
; %bb.350:                              ;   in Loop: Header=BB348_164 Depth=1
	s_andn2_saveexec_b64 s[14:15], s[2:3]
; %bb.351:                              ;   in Loop: Header=BB348_164 Depth=1
	v_or_b32_e32 v49, 0x10000, v51
	v_cmp_eq_u32_sdwa s[2:3], v51, v15 src0_sel:WORD_0 src1_sel:DWORD
	s_nop 1
	v_cndmask_b32_e64 v49, v49, v51, s[2:3]
; %bb.352:                              ;   in Loop: Header=BB348_164 Depth=1
	s_or_b64 exec, exec, s[14:15]
	v_bfe_u32 v51, v5, 16, 8
	v_cvt_f32_fp8_sdwa v51, v51 src0_sel:BYTE_0
	s_nop 0
	v_mul_f32_e32 v52, s18, v51
	v_and_b32_e32 v51, 0x7f800000, v52
	v_cmp_ne_u32_e64 s[2:3], s19, v51
                                        ; implicit-def: $vgpr51
	s_and_saveexec_b64 s[14:15], s[2:3]
	s_xor_b64 s[2:3], exec, s[14:15]
; %bb.353:                              ;   in Loop: Header=BB348_164 Depth=1
	v_bfe_u32 v51, v52, 16, 1
	v_add3_u32 v51, v52, v51, s20
                                        ; implicit-def: $vgpr52
; %bb.354:                              ;   in Loop: Header=BB348_164 Depth=1
	s_andn2_saveexec_b64 s[14:15], s[2:3]
; %bb.355:                              ;   in Loop: Header=BB348_164 Depth=1
	v_or_b32_e32 v51, 0x10000, v52
	v_cmp_eq_u32_sdwa s[2:3], v52, v15 src0_sel:WORD_0 src1_sel:DWORD
	s_nop 1
	v_cndmask_b32_e64 v51, v51, v52, s[2:3]
; %bb.356:                              ;   in Loop: Header=BB348_164 Depth=1
	s_or_b64 exec, exec, s[14:15]
	v_lshrrev_b32_e32 v5, 24, v5
	v_cvt_f32_fp8_sdwa v5, v5 src0_sel:BYTE_0
                                        ; implicit-def: $vgpr54
	s_nop 0
	v_mul_f32_e32 v5, s18, v5
	v_and_b32_e32 v52, 0x7f800000, v5
	v_cmp_ne_u32_e64 s[2:3], s19, v52
	s_and_saveexec_b64 s[14:15], s[2:3]
	s_xor_b64 s[2:3], exec, s[14:15]
; %bb.357:                              ;   in Loop: Header=BB348_164 Depth=1
	v_bfe_u32 v52, v5, 16, 1
	v_add3_u32 v54, v5, v52, s20
                                        ; implicit-def: $vgpr5
; %bb.358:                              ;   in Loop: Header=BB348_164 Depth=1
	s_andn2_saveexec_b64 s[14:15], s[2:3]
; %bb.359:                              ;   in Loop: Header=BB348_164 Depth=1
	v_or_b32_e32 v52, 0x10000, v5
	v_cmp_eq_u32_sdwa s[2:3], v5, v15 src0_sel:WORD_0 src1_sel:DWORD
	s_nop 1
	v_cndmask_b32_e64 v54, v52, v5, s[2:3]
; %bb.360:                              ;   in Loop: Header=BB348_164 Depth=1
	s_or_b64 exec, exec, s[14:15]
	v_lshrrev_b32_e32 v49, 16, v49
	v_lshrrev_b32_e32 v52, 16, v50
	;; [unrolled: 1-line block ×8, first 2 shown]
	s_and_saveexec_b64 s[14:15], s[0:1]
	s_cbranch_execz .LBB348_362
; %bb.361:                              ;   in Loop: Header=BB348_164 Depth=1
	v_cmp_gt_i32_e64 s[2:3], s29, v31
	v_add_u32_e32 v46, -6, v24
	s_nop 0
	v_cndmask_b32_e64 v4, 0, v4, s[2:3]
	v_cmp_gt_i32_e64 s[2:3], s29, v46
	v_add_u32_e32 v46, -5, v24
	s_nop 0
	v_cndmask_b32_e64 v5, 0, v5, s[2:3]
	;; [unrolled: 4-line block ×6, first 2 shown]
	v_cmp_gt_i32_e64 s[2:3], s29, v46
	s_nop 1
	v_cndmask_b32_e64 v50, 0, v50, s[2:3]
	v_cmp_gt_i32_e64 s[2:3], s29, v24
	s_nop 1
	v_cndmask_b32_e64 v51, 0, v51, s[2:3]
.LBB348_362:                            ;   in Loop: Header=BB348_164 Depth=1
	s_or_b64 exec, exec, s[14:15]
	v_lshlrev_b32_e32 v4, 16, v4
	v_mul_f32_e32 v46, v32, v4
	v_and_b32_e32 v4, 0x7f800000, v46
	v_cmp_ne_u32_e64 s[2:3], s19, v4
                                        ; implicit-def: $vgpr4
	s_and_saveexec_b64 s[14:15], s[2:3]
	s_xor_b64 s[2:3], exec, s[14:15]
; %bb.363:                              ;   in Loop: Header=BB348_164 Depth=1
	v_bfe_u32 v4, v46, 16, 1
	v_add3_u32 v4, v46, v4, s20
                                        ; implicit-def: $vgpr46
; %bb.364:                              ;   in Loop: Header=BB348_164 Depth=1
	s_andn2_saveexec_b64 s[14:15], s[2:3]
; %bb.365:                              ;   in Loop: Header=BB348_164 Depth=1
	v_or_b32_e32 v4, 0x10000, v46
	v_cmp_eq_u32_sdwa s[2:3], v46, v15 src0_sel:WORD_0 src1_sel:DWORD
	s_nop 1
	v_cndmask_b32_e64 v4, v4, v46, s[2:3]
; %bb.366:                              ;   in Loop: Header=BB348_164 Depth=1
	s_or_b64 exec, exec, s[14:15]
	v_lshlrev_b32_e32 v5, 16, v5
	v_mul_f32_e32 v46, v33, v5
	v_and_b32_e32 v5, 0x7f800000, v46
	v_cmp_ne_u32_e64 s[2:3], s19, v5
                                        ; implicit-def: $vgpr5
	s_and_saveexec_b64 s[14:15], s[2:3]
	s_xor_b64 s[2:3], exec, s[14:15]
; %bb.367:                              ;   in Loop: Header=BB348_164 Depth=1
	v_bfe_u32 v5, v46, 16, 1
	v_add3_u32 v5, v46, v5, s20
                                        ; implicit-def: $vgpr46
; %bb.368:                              ;   in Loop: Header=BB348_164 Depth=1
	s_andn2_saveexec_b64 s[14:15], s[2:3]
; %bb.369:                              ;   in Loop: Header=BB348_164 Depth=1
	v_or_b32_e32 v5, 0x10000, v46
	v_cmp_eq_u32_sdwa s[2:3], v46, v15 src0_sel:WORD_0 src1_sel:DWORD
	s_nop 1
	v_cndmask_b32_e64 v5, v5, v46, s[2:3]
; %bb.370:                              ;   in Loop: Header=BB348_164 Depth=1
	s_or_b64 exec, exec, s[14:15]
	v_lshlrev_b32_e32 v46, 16, v48
	v_mul_f32_e32 v47, v34, v46
	v_and_b32_e32 v46, 0x7f800000, v47
	v_cmp_ne_u32_e64 s[2:3], s19, v46
                                        ; implicit-def: $vgpr46
	s_and_saveexec_b64 s[14:15], s[2:3]
	s_xor_b64 s[2:3], exec, s[14:15]
; %bb.371:                              ;   in Loop: Header=BB348_164 Depth=1
	v_bfe_u32 v46, v47, 16, 1
	v_add3_u32 v46, v47, v46, s20
                                        ; implicit-def: $vgpr47
; %bb.372:                              ;   in Loop: Header=BB348_164 Depth=1
	s_andn2_saveexec_b64 s[14:15], s[2:3]
; %bb.373:                              ;   in Loop: Header=BB348_164 Depth=1
	v_or_b32_e32 v46, 0x10000, v47
	v_cmp_eq_u32_sdwa s[2:3], v47, v15 src0_sel:WORD_0 src1_sel:DWORD
	s_nop 1
	v_cndmask_b32_e64 v46, v46, v47, s[2:3]
; %bb.374:                              ;   in Loop: Header=BB348_164 Depth=1
	s_or_b64 exec, exec, s[14:15]
	v_lshlrev_b32_e32 v47, 16, v53
	v_mul_f32_e32 v48, v35, v47
	v_and_b32_e32 v47, 0x7f800000, v48
	v_cmp_ne_u32_e64 s[2:3], s19, v47
                                        ; implicit-def: $vgpr47
	s_and_saveexec_b64 s[14:15], s[2:3]
	s_xor_b64 s[2:3], exec, s[14:15]
; %bb.375:                              ;   in Loop: Header=BB348_164 Depth=1
	v_bfe_u32 v47, v48, 16, 1
	v_add3_u32 v47, v48, v47, s20
                                        ; implicit-def: $vgpr48
; %bb.376:                              ;   in Loop: Header=BB348_164 Depth=1
	s_andn2_saveexec_b64 s[14:15], s[2:3]
; %bb.377:                              ;   in Loop: Header=BB348_164 Depth=1
	v_or_b32_e32 v47, 0x10000, v48
	v_cmp_eq_u32_sdwa s[2:3], v48, v15 src0_sel:WORD_0 src1_sel:DWORD
	s_nop 1
	v_cndmask_b32_e64 v47, v47, v48, s[2:3]
; %bb.378:                              ;   in Loop: Header=BB348_164 Depth=1
	s_or_b64 exec, exec, s[14:15]
	v_lshlrev_b32_e32 v48, 16, v52
	v_mul_f32_e32 v52, v36, v48
	v_and_b32_e32 v48, 0x7f800000, v52
	v_cmp_ne_u32_e64 s[2:3], s19, v48
                                        ; implicit-def: $vgpr48
	s_and_saveexec_b64 s[14:15], s[2:3]
	s_xor_b64 s[2:3], exec, s[14:15]
; %bb.379:                              ;   in Loop: Header=BB348_164 Depth=1
	v_bfe_u32 v48, v52, 16, 1
	v_add3_u32 v48, v52, v48, s20
                                        ; implicit-def: $vgpr52
; %bb.380:                              ;   in Loop: Header=BB348_164 Depth=1
	s_andn2_saveexec_b64 s[14:15], s[2:3]
; %bb.381:                              ;   in Loop: Header=BB348_164 Depth=1
	v_or_b32_e32 v48, 0x10000, v52
	v_cmp_eq_u32_sdwa s[2:3], v52, v15 src0_sel:WORD_0 src1_sel:DWORD
	s_nop 1
	v_cndmask_b32_e64 v48, v48, v52, s[2:3]
; %bb.382:                              ;   in Loop: Header=BB348_164 Depth=1
	s_or_b64 exec, exec, s[14:15]
	v_lshlrev_b32_e32 v49, 16, v49
	v_mul_f32_e32 v52, v37, v49
	v_and_b32_e32 v49, 0x7f800000, v52
	v_cmp_ne_u32_e64 s[2:3], s19, v49
                                        ; implicit-def: $vgpr49
	s_and_saveexec_b64 s[14:15], s[2:3]
	s_xor_b64 s[2:3], exec, s[14:15]
; %bb.383:                              ;   in Loop: Header=BB348_164 Depth=1
	v_bfe_u32 v49, v52, 16, 1
	v_add3_u32 v49, v52, v49, s20
                                        ; implicit-def: $vgpr52
; %bb.384:                              ;   in Loop: Header=BB348_164 Depth=1
	s_andn2_saveexec_b64 s[14:15], s[2:3]
; %bb.385:                              ;   in Loop: Header=BB348_164 Depth=1
	v_or_b32_e32 v49, 0x10000, v52
	v_cmp_eq_u32_sdwa s[2:3], v52, v15 src0_sel:WORD_0 src1_sel:DWORD
	s_nop 1
	v_cndmask_b32_e64 v49, v49, v52, s[2:3]
; %bb.386:                              ;   in Loop: Header=BB348_164 Depth=1
	s_or_b64 exec, exec, s[14:15]
	v_lshlrev_b32_e32 v50, 16, v50
	v_mul_f32_e32 v52, v38, v50
	v_and_b32_e32 v50, 0x7f800000, v52
	v_cmp_ne_u32_e64 s[2:3], s19, v50
                                        ; implicit-def: $vgpr50
	s_and_saveexec_b64 s[14:15], s[2:3]
	s_xor_b64 s[2:3], exec, s[14:15]
; %bb.387:                              ;   in Loop: Header=BB348_164 Depth=1
	v_bfe_u32 v50, v52, 16, 1
	v_add3_u32 v50, v52, v50, s20
                                        ; implicit-def: $vgpr52
; %bb.388:                              ;   in Loop: Header=BB348_164 Depth=1
	s_andn2_saveexec_b64 s[14:15], s[2:3]
; %bb.389:                              ;   in Loop: Header=BB348_164 Depth=1
	v_or_b32_e32 v50, 0x10000, v52
	v_cmp_eq_u32_sdwa s[2:3], v52, v15 src0_sel:WORD_0 src1_sel:DWORD
	s_nop 1
	v_cndmask_b32_e64 v50, v50, v52, s[2:3]
; %bb.390:                              ;   in Loop: Header=BB348_164 Depth=1
	s_or_b64 exec, exec, s[14:15]
	v_lshlrev_b32_e32 v51, 16, v51
	v_mul_f32_e32 v52, v39, v51
	v_and_b32_e32 v51, 0x7f800000, v52
	v_cmp_ne_u32_e64 s[2:3], s19, v51
                                        ; implicit-def: $vgpr51
	s_and_saveexec_b64 s[14:15], s[2:3]
	s_xor_b64 s[2:3], exec, s[14:15]
	s_cbranch_execnz .LBB348_393
; %bb.391:                              ;   in Loop: Header=BB348_164 Depth=1
	s_andn2_saveexec_b64 s[14:15], s[2:3]
	s_cbranch_execnz .LBB348_394
.LBB348_392:                            ;   in Loop: Header=BB348_164 Depth=1
	s_or_b64 exec, exec, s[14:15]
	s_and_saveexec_b64 s[14:15], vcc
	s_cbranch_execz .LBB348_163
	s_branch .LBB348_395
.LBB348_393:                            ;   in Loop: Header=BB348_164 Depth=1
	v_bfe_u32 v51, v52, 16, 1
	v_add3_u32 v51, v52, v51, s20
                                        ; implicit-def: $vgpr52
	s_andn2_saveexec_b64 s[14:15], s[2:3]
	s_cbranch_execz .LBB348_392
.LBB348_394:                            ;   in Loop: Header=BB348_164 Depth=1
	v_or_b32_e32 v51, 0x10000, v52
	v_cmp_eq_u32_sdwa s[2:3], v52, v15 src0_sel:WORD_0 src1_sel:DWORD
	s_nop 1
	v_cndmask_b32_e64 v51, v51, v52, s[2:3]
	s_or_b64 exec, exec, s[14:15]
	s_and_saveexec_b64 s[14:15], vcc
	s_cbranch_execz .LBB348_163
.LBB348_395:                            ;   in Loop: Header=BB348_164 Depth=1
	v_lshl_add_u64 v[2:3], v[2:3], 0, v[18:19]
	global_load_dwordx2 v[2:3], v[2:3], off
	s_waitcnt vmcnt(0)
	v_and_b32_e32 v52, 0xff, v2
	v_cvt_f32_fp8_sdwa v52, v52 src0_sel:BYTE_0
	s_nop 0
	v_mul_f32_e32 v53, s18, v52
	v_and_b32_e32 v52, 0x7f800000, v53
	v_cmp_ne_u32_e64 s[2:3], s19, v52
                                        ; implicit-def: $vgpr52
	s_and_saveexec_b64 s[16:17], s[2:3]
	s_xor_b64 s[2:3], exec, s[16:17]
; %bb.396:                              ;   in Loop: Header=BB348_164 Depth=1
	v_bfe_u32 v52, v53, 16, 1
	v_add3_u32 v52, v53, v52, s20
                                        ; implicit-def: $vgpr53
; %bb.397:                              ;   in Loop: Header=BB348_164 Depth=1
	s_andn2_saveexec_b64 s[16:17], s[2:3]
; %bb.398:                              ;   in Loop: Header=BB348_164 Depth=1
	v_or_b32_e32 v52, 0x10000, v53
	v_cmp_eq_u32_sdwa s[2:3], v53, v15 src0_sel:WORD_0 src1_sel:DWORD
	s_nop 1
	v_cndmask_b32_e64 v52, v52, v53, s[2:3]
; %bb.399:                              ;   in Loop: Header=BB348_164 Depth=1
	s_or_b64 exec, exec, s[16:17]
	v_bfe_u32 v53, v2, 8, 8
	v_cvt_f32_fp8_sdwa v53, v53 src0_sel:BYTE_0
	s_nop 0
	v_mul_f32_e32 v54, s18, v53
	v_and_b32_e32 v53, 0x7f800000, v54
	v_cmp_ne_u32_e64 s[2:3], s19, v53
                                        ; implicit-def: $vgpr53
	s_and_saveexec_b64 s[16:17], s[2:3]
	s_xor_b64 s[2:3], exec, s[16:17]
; %bb.400:                              ;   in Loop: Header=BB348_164 Depth=1
	v_bfe_u32 v53, v54, 16, 1
	v_add3_u32 v53, v54, v53, s20
                                        ; implicit-def: $vgpr54
; %bb.401:                              ;   in Loop: Header=BB348_164 Depth=1
	s_andn2_saveexec_b64 s[16:17], s[2:3]
; %bb.402:                              ;   in Loop: Header=BB348_164 Depth=1
	v_or_b32_e32 v53, 0x10000, v54
	v_cmp_eq_u32_sdwa s[2:3], v54, v15 src0_sel:WORD_0 src1_sel:DWORD
	s_nop 1
	v_cndmask_b32_e64 v53, v53, v54, s[2:3]
; %bb.403:                              ;   in Loop: Header=BB348_164 Depth=1
	s_or_b64 exec, exec, s[16:17]
	v_bfe_u32 v54, v2, 16, 8
	v_cvt_f32_fp8_sdwa v54, v54 src0_sel:BYTE_0
	s_nop 0
	v_mul_f32_e32 v54, s18, v54
	v_and_b32_e32 v55, 0x7f800000, v54
	v_cmp_ne_u32_e64 s[2:3], s19, v55
                                        ; implicit-def: $vgpr55
	s_and_saveexec_b64 s[16:17], s[2:3]
	s_xor_b64 s[2:3], exec, s[16:17]
; %bb.404:                              ;   in Loop: Header=BB348_164 Depth=1
	v_bfe_u32 v55, v54, 16, 1
	v_add3_u32 v55, v54, v55, s20
                                        ; implicit-def: $vgpr54
; %bb.405:                              ;   in Loop: Header=BB348_164 Depth=1
	s_andn2_saveexec_b64 s[16:17], s[2:3]
; %bb.406:                              ;   in Loop: Header=BB348_164 Depth=1
	v_or_b32_e32 v55, 0x10000, v54
	v_cmp_eq_u32_sdwa s[2:3], v54, v15 src0_sel:WORD_0 src1_sel:DWORD
	s_nop 1
	v_cndmask_b32_e64 v55, v55, v54, s[2:3]
; %bb.407:                              ;   in Loop: Header=BB348_164 Depth=1
	s_or_b64 exec, exec, s[16:17]
	v_lshrrev_b32_e32 v2, 24, v2
	v_cvt_f32_fp8_sdwa v2, v2 src0_sel:BYTE_0
	s_nop 0
	v_mul_f32_e32 v54, s18, v2
	v_and_b32_e32 v2, 0x7f800000, v54
	v_cmp_ne_u32_e64 s[2:3], s19, v2
                                        ; implicit-def: $vgpr2
	s_and_saveexec_b64 s[16:17], s[2:3]
	s_xor_b64 s[2:3], exec, s[16:17]
; %bb.408:                              ;   in Loop: Header=BB348_164 Depth=1
	v_bfe_u32 v2, v54, 16, 1
	v_add3_u32 v2, v54, v2, s20
                                        ; implicit-def: $vgpr54
; %bb.409:                              ;   in Loop: Header=BB348_164 Depth=1
	s_andn2_saveexec_b64 s[16:17], s[2:3]
; %bb.410:                              ;   in Loop: Header=BB348_164 Depth=1
	v_or_b32_e32 v2, 0x10000, v54
	v_cmp_eq_u32_sdwa s[2:3], v54, v15 src0_sel:WORD_0 src1_sel:DWORD
	s_nop 1
	v_cndmask_b32_e64 v2, v2, v54, s[2:3]
; %bb.411:                              ;   in Loop: Header=BB348_164 Depth=1
	s_or_b64 exec, exec, s[16:17]
	v_and_b32_e32 v54, 0xff, v3
	v_cvt_f32_fp8_sdwa v54, v54 src0_sel:BYTE_0
	s_nop 0
	v_mul_f32_e32 v54, s18, v54
	v_and_b32_e32 v56, 0x7f800000, v54
	v_cmp_ne_u32_e64 s[2:3], s19, v56
                                        ; implicit-def: $vgpr56
	s_and_saveexec_b64 s[16:17], s[2:3]
	s_xor_b64 s[2:3], exec, s[16:17]
; %bb.412:                              ;   in Loop: Header=BB348_164 Depth=1
	v_bfe_u32 v56, v54, 16, 1
	v_add3_u32 v56, v54, v56, s20
                                        ; implicit-def: $vgpr54
; %bb.413:                              ;   in Loop: Header=BB348_164 Depth=1
	s_andn2_saveexec_b64 s[16:17], s[2:3]
; %bb.414:                              ;   in Loop: Header=BB348_164 Depth=1
	v_or_b32_e32 v56, 0x10000, v54
	v_cmp_eq_u32_sdwa s[2:3], v54, v15 src0_sel:WORD_0 src1_sel:DWORD
	s_nop 1
	v_cndmask_b32_e64 v56, v56, v54, s[2:3]
; %bb.415:                              ;   in Loop: Header=BB348_164 Depth=1
	s_or_b64 exec, exec, s[16:17]
	v_bfe_u32 v54, v3, 8, 8
	v_cvt_f32_fp8_sdwa v54, v54 src0_sel:BYTE_0
	s_nop 0
	v_mul_f32_e32 v57, s18, v54
	v_and_b32_e32 v54, 0x7f800000, v57
	v_cmp_ne_u32_e64 s[2:3], s19, v54
                                        ; implicit-def: $vgpr54
	s_and_saveexec_b64 s[16:17], s[2:3]
	s_xor_b64 s[2:3], exec, s[16:17]
; %bb.416:                              ;   in Loop: Header=BB348_164 Depth=1
	v_bfe_u32 v54, v57, 16, 1
	v_add3_u32 v54, v57, v54, s20
                                        ; implicit-def: $vgpr57
; %bb.417:                              ;   in Loop: Header=BB348_164 Depth=1
	s_andn2_saveexec_b64 s[16:17], s[2:3]
; %bb.418:                              ;   in Loop: Header=BB348_164 Depth=1
	v_or_b32_e32 v54, 0x10000, v57
	v_cmp_eq_u32_sdwa s[2:3], v57, v15 src0_sel:WORD_0 src1_sel:DWORD
	s_nop 1
	v_cndmask_b32_e64 v54, v54, v57, s[2:3]
; %bb.419:                              ;   in Loop: Header=BB348_164 Depth=1
	s_or_b64 exec, exec, s[16:17]
	v_bfe_u32 v57, v3, 16, 8
	v_cvt_f32_fp8_sdwa v57, v57 src0_sel:BYTE_0
	s_nop 0
	v_mul_f32_e32 v57, s18, v57
	v_and_b32_e32 v58, 0x7f800000, v57
	v_cmp_ne_u32_e64 s[2:3], s19, v58
                                        ; implicit-def: $vgpr58
	s_and_saveexec_b64 s[16:17], s[2:3]
	s_xor_b64 s[2:3], exec, s[16:17]
; %bb.420:                              ;   in Loop: Header=BB348_164 Depth=1
	v_bfe_u32 v58, v57, 16, 1
	v_add3_u32 v58, v57, v58, s20
                                        ; implicit-def: $vgpr57
; %bb.421:                              ;   in Loop: Header=BB348_164 Depth=1
	s_andn2_saveexec_b64 s[16:17], s[2:3]
; %bb.422:                              ;   in Loop: Header=BB348_164 Depth=1
	v_or_b32_e32 v58, 0x10000, v57
	v_cmp_eq_u32_sdwa s[2:3], v57, v15 src0_sel:WORD_0 src1_sel:DWORD
	s_nop 1
	v_cndmask_b32_e64 v58, v58, v57, s[2:3]
; %bb.423:                              ;   in Loop: Header=BB348_164 Depth=1
	s_or_b64 exec, exec, s[16:17]
	v_lshrrev_b32_e32 v3, 24, v3
	v_cvt_f32_fp8_sdwa v3, v3 src0_sel:BYTE_0
                                        ; implicit-def: $vgpr59
	s_nop 0
	v_mul_f32_e32 v3, s18, v3
	v_and_b32_e32 v57, 0x7f800000, v3
	v_cmp_ne_u32_e64 s[2:3], s19, v57
	s_and_saveexec_b64 s[16:17], s[2:3]
	s_xor_b64 s[2:3], exec, s[16:17]
; %bb.424:                              ;   in Loop: Header=BB348_164 Depth=1
	v_bfe_u32 v57, v3, 16, 1
	v_add3_u32 v59, v3, v57, s20
                                        ; implicit-def: $vgpr3
; %bb.425:                              ;   in Loop: Header=BB348_164 Depth=1
	s_andn2_saveexec_b64 s[16:17], s[2:3]
; %bb.426:                              ;   in Loop: Header=BB348_164 Depth=1
	v_or_b32_e32 v57, 0x10000, v3
	v_cmp_eq_u32_sdwa s[2:3], v3, v15 src0_sel:WORD_0 src1_sel:DWORD
	s_nop 1
	v_cndmask_b32_e64 v59, v57, v3, s[2:3]
; %bb.427:                              ;   in Loop: Header=BB348_164 Depth=1
	s_or_b64 exec, exec, s[16:17]
	v_lshrrev_b32_e32 v54, 16, v54
	v_lshrrev_b32_e32 v56, 16, v56
	;; [unrolled: 1-line block ×8, first 2 shown]
	s_and_saveexec_b64 s[2:3], s[0:1]
	s_cbranch_execz .LBB348_429
; %bb.428:                              ;   in Loop: Header=BB348_164 Depth=1
	v_cmp_gt_i32_e64 s[0:1], s29, v31
	v_add_u32_e32 v31, -6, v24
	s_nop 0
	v_cndmask_b32_e64 v3, 0, v3, s[0:1]
	v_cmp_gt_i32_e64 s[0:1], s29, v31
	v_add_u32_e32 v31, -5, v24
	s_nop 0
	v_cndmask_b32_e64 v53, 0, v53, s[0:1]
	;; [unrolled: 4-line block ×6, first 2 shown]
	v_cmp_gt_i32_e64 s[0:1], s29, v31
	s_nop 1
	v_cndmask_b32_e64 v52, 0, v52, s[0:1]
	v_cmp_gt_i32_e64 s[0:1], s29, v24
	s_nop 1
	v_cndmask_b32_e64 v2, 0, v2, s[0:1]
.LBB348_429:                            ;   in Loop: Header=BB348_164 Depth=1
	s_or_b64 exec, exec, s[2:3]
	v_lshlrev_b32_e32 v3, 16, v3
	v_mul_f32_e32 v31, v32, v3
	v_and_b32_e32 v3, 0x7f800000, v31
	v_cmp_ne_u32_e64 s[0:1], s19, v3
                                        ; implicit-def: $vgpr3
	s_and_saveexec_b64 s[2:3], s[0:1]
	s_xor_b64 s[0:1], exec, s[2:3]
; %bb.430:                              ;   in Loop: Header=BB348_164 Depth=1
	v_bfe_u32 v3, v31, 16, 1
	v_add3_u32 v3, v31, v3, s20
                                        ; implicit-def: $vgpr31
; %bb.431:                              ;   in Loop: Header=BB348_164 Depth=1
	s_andn2_saveexec_b64 s[2:3], s[0:1]
; %bb.432:                              ;   in Loop: Header=BB348_164 Depth=1
	v_or_b32_e32 v3, 0x10000, v31
	v_cmp_eq_u32_sdwa s[0:1], v31, v15 src0_sel:WORD_0 src1_sel:DWORD
	s_nop 1
	v_cndmask_b32_e64 v3, v3, v31, s[0:1]
; %bb.433:                              ;   in Loop: Header=BB348_164 Depth=1
	s_or_b64 exec, exec, s[2:3]
	v_lshlrev_b32_e32 v31, 16, v53
	v_mul_f32_e32 v32, v33, v31
	v_and_b32_e32 v31, 0x7f800000, v32
	v_cmp_ne_u32_e64 s[0:1], s19, v31
                                        ; implicit-def: $vgpr31
	s_and_saveexec_b64 s[2:3], s[0:1]
	s_xor_b64 s[0:1], exec, s[2:3]
; %bb.434:                              ;   in Loop: Header=BB348_164 Depth=1
	v_bfe_u32 v31, v32, 16, 1
	v_add3_u32 v31, v32, v31, s20
                                        ; implicit-def: $vgpr32
; %bb.435:                              ;   in Loop: Header=BB348_164 Depth=1
	s_andn2_saveexec_b64 s[2:3], s[0:1]
; %bb.436:                              ;   in Loop: Header=BB348_164 Depth=1
	v_or_b32_e32 v31, 0x10000, v32
	v_cmp_eq_u32_sdwa s[0:1], v32, v15 src0_sel:WORD_0 src1_sel:DWORD
	s_nop 1
	v_cndmask_b32_e64 v31, v31, v32, s[0:1]
; %bb.437:                              ;   in Loop: Header=BB348_164 Depth=1
	s_or_b64 exec, exec, s[2:3]
	v_lshlrev_b32_e32 v32, 16, v55
	v_mul_f32_e32 v33, v34, v32
	v_and_b32_e32 v32, 0x7f800000, v33
	v_cmp_ne_u32_e64 s[0:1], s19, v32
                                        ; implicit-def: $vgpr32
	s_and_saveexec_b64 s[2:3], s[0:1]
	s_xor_b64 s[0:1], exec, s[2:3]
; %bb.438:                              ;   in Loop: Header=BB348_164 Depth=1
	v_bfe_u32 v32, v33, 16, 1
	v_add3_u32 v32, v33, v32, s20
                                        ; implicit-def: $vgpr33
; %bb.439:                              ;   in Loop: Header=BB348_164 Depth=1
	s_andn2_saveexec_b64 s[2:3], s[0:1]
; %bb.440:                              ;   in Loop: Header=BB348_164 Depth=1
	v_or_b32_e32 v32, 0x10000, v33
	v_cmp_eq_u32_sdwa s[0:1], v33, v15 src0_sel:WORD_0 src1_sel:DWORD
	s_nop 1
	v_cndmask_b32_e64 v32, v32, v33, s[0:1]
; %bb.441:                              ;   in Loop: Header=BB348_164 Depth=1
	s_or_b64 exec, exec, s[2:3]
	v_lshlrev_b32_e32 v33, 16, v57
	v_mul_f32_e32 v34, v35, v33
	v_and_b32_e32 v33, 0x7f800000, v34
	v_cmp_ne_u32_e64 s[0:1], s19, v33
                                        ; implicit-def: $vgpr33
	s_and_saveexec_b64 s[2:3], s[0:1]
	s_xor_b64 s[0:1], exec, s[2:3]
; %bb.442:                              ;   in Loop: Header=BB348_164 Depth=1
	v_bfe_u32 v33, v34, 16, 1
	v_add3_u32 v33, v34, v33, s20
                                        ; implicit-def: $vgpr34
; %bb.443:                              ;   in Loop: Header=BB348_164 Depth=1
	s_andn2_saveexec_b64 s[2:3], s[0:1]
; %bb.444:                              ;   in Loop: Header=BB348_164 Depth=1
	v_or_b32_e32 v33, 0x10000, v34
	v_cmp_eq_u32_sdwa s[0:1], v34, v15 src0_sel:WORD_0 src1_sel:DWORD
	s_nop 1
	v_cndmask_b32_e64 v33, v33, v34, s[0:1]
; %bb.445:                              ;   in Loop: Header=BB348_164 Depth=1
	s_or_b64 exec, exec, s[2:3]
	v_lshlrev_b32_e32 v34, 16, v56
	v_mul_f32_e32 v35, v36, v34
	v_and_b32_e32 v34, 0x7f800000, v35
	v_cmp_ne_u32_e64 s[0:1], s19, v34
                                        ; implicit-def: $vgpr34
	s_and_saveexec_b64 s[2:3], s[0:1]
	s_xor_b64 s[0:1], exec, s[2:3]
; %bb.446:                              ;   in Loop: Header=BB348_164 Depth=1
	v_bfe_u32 v34, v35, 16, 1
	v_add3_u32 v34, v35, v34, s20
                                        ; implicit-def: $vgpr35
; %bb.447:                              ;   in Loop: Header=BB348_164 Depth=1
	s_andn2_saveexec_b64 s[2:3], s[0:1]
; %bb.448:                              ;   in Loop: Header=BB348_164 Depth=1
	v_or_b32_e32 v34, 0x10000, v35
	v_cmp_eq_u32_sdwa s[0:1], v35, v15 src0_sel:WORD_0 src1_sel:DWORD
	s_nop 1
	v_cndmask_b32_e64 v34, v34, v35, s[0:1]
; %bb.449:                              ;   in Loop: Header=BB348_164 Depth=1
	s_or_b64 exec, exec, s[2:3]
	v_lshlrev_b32_e32 v35, 16, v54
	v_mul_f32_e32 v36, v37, v35
	v_and_b32_e32 v35, 0x7f800000, v36
	v_cmp_ne_u32_e64 s[0:1], s19, v35
                                        ; implicit-def: $vgpr35
	s_and_saveexec_b64 s[2:3], s[0:1]
	s_xor_b64 s[0:1], exec, s[2:3]
; %bb.450:                              ;   in Loop: Header=BB348_164 Depth=1
	v_bfe_u32 v35, v36, 16, 1
	v_add3_u32 v35, v36, v35, s20
                                        ; implicit-def: $vgpr36
; %bb.451:                              ;   in Loop: Header=BB348_164 Depth=1
	s_andn2_saveexec_b64 s[2:3], s[0:1]
; %bb.452:                              ;   in Loop: Header=BB348_164 Depth=1
	v_or_b32_e32 v35, 0x10000, v36
	v_cmp_eq_u32_sdwa s[0:1], v36, v15 src0_sel:WORD_0 src1_sel:DWORD
	s_nop 1
	v_cndmask_b32_e64 v35, v35, v36, s[0:1]
; %bb.453:                              ;   in Loop: Header=BB348_164 Depth=1
	s_or_b64 exec, exec, s[2:3]
	v_lshlrev_b32_e32 v36, 16, v52
	v_mul_f32_e32 v37, v38, v36
	v_and_b32_e32 v36, 0x7f800000, v37
	v_cmp_ne_u32_e64 s[0:1], s19, v36
                                        ; implicit-def: $vgpr36
	s_and_saveexec_b64 s[2:3], s[0:1]
	s_xor_b64 s[0:1], exec, s[2:3]
; %bb.454:                              ;   in Loop: Header=BB348_164 Depth=1
	v_bfe_u32 v36, v37, 16, 1
	v_add3_u32 v36, v37, v36, s20
                                        ; implicit-def: $vgpr37
; %bb.455:                              ;   in Loop: Header=BB348_164 Depth=1
	s_andn2_saveexec_b64 s[2:3], s[0:1]
; %bb.456:                              ;   in Loop: Header=BB348_164 Depth=1
	v_or_b32_e32 v36, 0x10000, v37
	v_cmp_eq_u32_sdwa s[0:1], v37, v15 src0_sel:WORD_0 src1_sel:DWORD
	s_nop 1
	v_cndmask_b32_e64 v36, v36, v37, s[0:1]
; %bb.457:                              ;   in Loop: Header=BB348_164 Depth=1
	s_or_b64 exec, exec, s[2:3]
	v_lshlrev_b32_e32 v2, 16, v2
	v_mul_f32_e32 v2, v39, v2
	v_and_b32_e32 v37, 0x7f800000, v2
	v_cmp_ne_u32_e64 s[0:1], s19, v37
                                        ; implicit-def: $vgpr37
	s_and_saveexec_b64 s[2:3], s[0:1]
	s_xor_b64 s[0:1], exec, s[2:3]
; %bb.458:                              ;   in Loop: Header=BB348_164 Depth=1
	v_bfe_u32 v37, v2, 16, 1
	v_add3_u32 v37, v2, v37, s20
                                        ; implicit-def: $vgpr2
; %bb.459:                              ;   in Loop: Header=BB348_164 Depth=1
	s_andn2_saveexec_b64 s[2:3], s[0:1]
	s_cbranch_execz .LBB348_162
; %bb.460:                              ;   in Loop: Header=BB348_164 Depth=1
	v_or_b32_e32 v37, 0x10000, v2
	v_cmp_eq_u32_sdwa s[0:1], v2, v15 src0_sel:WORD_0 src1_sel:DWORD
	s_nop 1
	v_cndmask_b32_e64 v37, v37, v2, s[0:1]
	s_branch .LBB348_162
.LBB348_461:
	s_or_b64 exec, exec, s[12:13]
.LBB348_462:
	s_or_b64 exec, exec, s[10:11]
	ds_bpermute_b32 v2, v1, v16
	ds_bpermute_b32 v3, v1, v17
	;; [unrolled: 1-line block ×4, first 2 shown]
	v_and_b32_e32 v1, 0x3c0, v0
	v_cmp_eq_u32_e32 vcc, 64, v1
	s_waitcnt lgkmcnt(2)
	v_pk_add_f32 v[4:5], v[16:17], v[2:3]
	s_waitcnt lgkmcnt(0)
	v_pk_add_f32 v[2:3], v[12:13], v[6:7]
	s_barrier
	s_and_saveexec_b64 s[2:3], vcc
	s_cbranch_execz .LBB348_467
; %bb.463:
	v_cmp_eq_u32_e32 vcc, 0, v22
	s_and_saveexec_b64 s[0:1], vcc
	s_cbranch_execz .LBB348_465
; %bb.464:
	v_mov_b32_e32 v1, 0x100
	v_lshl_add_u32 v1, v23, 2, v1
	ds_write2_b32 v1, v4, v5 offset1:32
	ds_write_b32 v1, v2 offset:256
.LBB348_465:
	s_or_b64 exec, exec, s[0:1]
	v_or_b32_e32 v1, 0x60, v23
	s_movk_i32 s0, 0x78
	v_cmp_gt_u32_e64 s[0:1], s0, v1
	s_and_b64 s[0:1], vcc, s[0:1]
	s_and_b64 exec, exec, s[0:1]
	s_cbranch_execz .LBB348_467
; %bb.466:
	v_mov_b32_e32 v1, 0x100
	v_lshl_add_u32 v1, v23, 2, v1
	ds_write_b32 v1, v3 offset:384
.LBB348_467:
	s_or_b64 exec, exec, s[2:3]
	v_cmp_gt_u32_e32 vcc, 64, v0
	v_lshrrev_b32_e32 v6, 1, v0
	s_waitcnt lgkmcnt(0)
	s_barrier
	s_and_saveexec_b64 s[8:9], vcc
	s_cbranch_execz .LBB348_475
; %bb.468:
	v_cmp_eq_u32_e64 s[0:1], 0, v22
	s_and_saveexec_b64 s[2:3], s[0:1]
	s_cbranch_execnz .LBB348_497
; %bb.469:
	s_or_b64 exec, exec, s[2:3]
	s_and_saveexec_b64 s[2:3], s[0:1]
	s_cbranch_execnz .LBB348_498
.LBB348_470:
	s_or_b64 exec, exec, s[2:3]
	s_and_saveexec_b64 s[2:3], s[0:1]
	s_cbranch_execz .LBB348_472
.LBB348_471:
	v_mov_b32_e32 v0, 0x100
	v_lshl_add_u32 v0, v6, 2, v0
	ds_read_b32 v0, v0 offset:256
	s_waitcnt lgkmcnt(0)
	v_add_f32_e32 v2, v2, v0
.LBB348_472:
	s_or_b64 exec, exec, s[2:3]
	v_or_b32_e32 v0, 0x60, v6
	s_movk_i32 s2, 0x78
	v_cmp_gt_u32_e64 s[2:3], s2, v0
	s_and_b64 s[2:3], s[0:1], s[2:3]
	s_and_saveexec_b64 s[0:1], s[2:3]
	s_cbranch_execz .LBB348_474
; %bb.473:
	v_mov_b32_e32 v0, 0x100
	v_lshl_add_u32 v0, v6, 2, v0
	ds_read_b32 v0, v0 offset:384
	s_waitcnt lgkmcnt(0)
	v_add_f32_e32 v3, v3, v0
.LBB348_474:
	s_or_b64 exec, exec, s[0:1]
.LBB348_475:
	s_or_b64 exec, exec, s[8:9]
	s_barrier
	s_and_saveexec_b64 s[0:1], vcc
	s_cbranch_execz .LBB348_496
; %bb.476:
	s_mul_i32 s0, s6, 0x78
	s_ashr_i32 s1, s0, 31
	s_lshl_b64 s[0:1], s[0:1], 1
	s_add_u32 s2, s26, s0
	s_mul_i32 s0, s25, s24
	s_addc_u32 s3, s27, s1
	s_ashr_i32 s1, s0, 31
	s_lshl_b64 s[0:1], s[0:1], 1
	s_add_u32 s2, s2, s0
	s_mul_i32 s0, s4, 0x78
	s_addc_u32 s3, s3, s1
	s_ashr_i32 s1, s0, 31
	s_lshl_b64 s[0:1], s[0:1], 1
	s_add_u32 s2, s2, s0
	s_addc_u32 s3, s3, s1
	v_cmp_eq_u32_e32 vcc, 0, v22
	s_and_saveexec_b64 s[4:5], vcc
	s_cbranch_execz .LBB348_490
; %bb.477:
	s_mov_b32 s0, 0x7f800000
	v_and_b32_e32 v0, 0x7f800000, v4
	v_cmp_ne_u32_e64 s[0:1], s0, v0
                                        ; implicit-def: $vgpr7
	s_and_saveexec_b64 s[6:7], s[0:1]
	s_xor_b64 s[0:1], exec, s[6:7]
; %bb.478:
	v_bfe_u32 v0, v4, 16, 1
	s_movk_i32 s6, 0x7fff
	v_add3_u32 v7, v4, v0, s6
; %bb.479:
	s_andn2_saveexec_b64 s[6:7], s[0:1]
; %bb.480:
	v_mov_b32_e32 v0, 0
	v_or_b32_e32 v1, 0x10000, v4
	v_cmp_eq_u32_sdwa s[0:1], v4, v0 src0_sel:WORD_0 src1_sel:DWORD
	s_nop 1
	v_cndmask_b32_e64 v7, v1, v4, s[0:1]
; %bb.481:
	s_or_b64 exec, exec, s[6:7]
	s_mov_b32 s0, 0x7f800000
	v_and_b32_e32 v4, 0x7f800000, v5
	v_lshlrev_b32_e32 v0, 1, v6
	v_mov_b32_e32 v1, 0
	v_cmp_ne_u32_e64 s[0:1], s0, v4
	global_store_short_d16_hi v0, v7, s[2:3]
                                        ; implicit-def: $vgpr4
	s_and_saveexec_b64 s[6:7], s[0:1]
	s_xor_b64 s[0:1], exec, s[6:7]
; %bb.482:
	v_bfe_u32 v4, v5, 16, 1
	s_movk_i32 s6, 0x7fff
	v_add3_u32 v4, v5, v4, s6
; %bb.483:
	s_or_saveexec_b64 s[6:7], s[0:1]
	v_lshl_add_u64 v[0:1], s[2:3], 0, v[0:1]
	s_xor_b64 exec, exec, s[6:7]
; %bb.484:
	v_mov_b32_e32 v4, 0
	v_or_b32_e32 v7, 0x10000, v5
	v_cmp_eq_u32_sdwa s[0:1], v5, v4 src0_sel:WORD_0 src1_sel:DWORD
	s_nop 1
	v_cndmask_b32_e64 v4, v7, v5, s[0:1]
; %bb.485:
	s_or_b64 exec, exec, s[6:7]
	global_store_short_d16_hi v[0:1], v4, off offset:64
	s_mov_b32 s0, 0x7f800000
	v_and_b32_e32 v4, 0x7f800000, v2
	v_cmp_ne_u32_e64 s[0:1], s0, v4
                                        ; implicit-def: $vgpr4
	s_and_saveexec_b64 s[6:7], s[0:1]
	s_xor_b64 s[0:1], exec, s[6:7]
; %bb.486:
	v_bfe_u32 v4, v2, 16, 1
	s_movk_i32 s6, 0x7fff
	v_add3_u32 v4, v2, v4, s6
; %bb.487:
	s_andn2_saveexec_b64 s[6:7], s[0:1]
; %bb.488:
	v_mov_b32_e32 v4, 0
	v_or_b32_e32 v5, 0x10000, v2
	v_cmp_eq_u32_sdwa s[0:1], v2, v4 src0_sel:WORD_0 src1_sel:DWORD
	s_nop 1
	v_cndmask_b32_e64 v4, v5, v2, s[0:1]
; %bb.489:
	s_or_b64 exec, exec, s[6:7]
	global_store_short_d16_hi v[0:1], v4, off offset:128
.LBB348_490:
	s_or_b64 exec, exec, s[4:5]
	v_or_b32_e32 v0, 0x60, v6
	s_movk_i32 s0, 0x78
	v_cmp_gt_u32_e64 s[0:1], s0, v0
	s_and_b64 s[0:1], vcc, s[0:1]
	s_and_b64 exec, exec, s[0:1]
	s_cbranch_execz .LBB348_496
; %bb.491:
	s_mov_b32 s0, 0x7f800000
	v_and_b32_e32 v0, 0x7f800000, v3
	v_cmp_ne_u32_e32 vcc, s0, v0
                                        ; implicit-def: $vgpr4
	s_and_saveexec_b64 s[0:1], vcc
	s_xor_b64 s[0:1], exec, s[0:1]
; %bb.492:
	v_bfe_u32 v0, v3, 16, 1
	s_movk_i32 s4, 0x7fff
	v_add3_u32 v4, v3, v0, s4
                                        ; implicit-def: $vgpr0_vgpr1_vgpr2_vgpr3
; %bb.493:
	s_andn2_saveexec_b64 s[0:1], s[0:1]
; %bb.494:
	v_mov_b32_e32 v0, 0
	v_or_b32_e32 v1, 0x10000, v3
	v_cmp_eq_u32_sdwa vcc, v3, v0 src0_sel:WORD_0 src1_sel:DWORD
	s_nop 1
	v_cndmask_b32_e32 v4, v1, v3, vcc
; %bb.495:
	s_or_b64 exec, exec, s[0:1]
	v_lshlrev_b32_e32 v0, 1, v6
	global_store_short_d16_hi v0, v4, s[2:3] offset:192
.LBB348_496:
	s_endpgm
.LBB348_497:
	v_mov_b32_e32 v0, 0x100
	v_lshl_add_u32 v0, v6, 2, v0
	ds_read_b32 v0, v0
	s_waitcnt lgkmcnt(0)
	v_add_f32_e32 v4, v4, v0
	s_or_b64 exec, exec, s[2:3]
	s_and_saveexec_b64 s[2:3], s[0:1]
	s_cbranch_execz .LBB348_470
.LBB348_498:
	v_mov_b32_e32 v0, 0x100
	v_lshl_add_u32 v0, v6, 2, v0
	ds_read_b32 v0, v0 offset:128
	s_waitcnt lgkmcnt(0)
	v_add_f32_e32 v5, v5, v0
	s_or_b64 exec, exec, s[2:3]
	s_and_saveexec_b64 s[2:3], s[0:1]
	s_cbranch_execnz .LBB348_471
	s_branch .LBB348_472
	.section	.rodata,"a",@progbits
	.p2align	6, 0x0
	.amdhsa_kernel _ZN4vllm25paged_attention_v2_kernelI14__hip_bfloat16hLi120ELi16ELi128ELNS_18Fp8KVCacheDataTypeE1ELb0ELi512EEEvPfS3_PT_PKS4_PKT0_SA_ifPKiSC_iPKfiiiSE_SE_iiiii
		.amdhsa_group_segment_fixed_size 256
		.amdhsa_private_segment_fixed_size 0
		.amdhsa_kernarg_size 400
		.amdhsa_user_sgpr_count 2
		.amdhsa_user_sgpr_dispatch_ptr 0
		.amdhsa_user_sgpr_queue_ptr 0
		.amdhsa_user_sgpr_kernarg_segment_ptr 1
		.amdhsa_user_sgpr_dispatch_id 0
		.amdhsa_user_sgpr_kernarg_preload_length 0
		.amdhsa_user_sgpr_kernarg_preload_offset 0
		.amdhsa_user_sgpr_private_segment_size 0
		.amdhsa_uses_dynamic_stack 0
		.amdhsa_enable_private_segment 0
		.amdhsa_system_sgpr_workgroup_id_x 1
		.amdhsa_system_sgpr_workgroup_id_y 1
		.amdhsa_system_sgpr_workgroup_id_z 1
		.amdhsa_system_sgpr_workgroup_info 0
		.amdhsa_system_vgpr_workitem_id 0
		.amdhsa_next_free_vgpr 79
		.amdhsa_next_free_sgpr 48
		.amdhsa_accum_offset 80
		.amdhsa_reserve_vcc 1
		.amdhsa_float_round_mode_32 0
		.amdhsa_float_round_mode_16_64 0
		.amdhsa_float_denorm_mode_32 3
		.amdhsa_float_denorm_mode_16_64 3
		.amdhsa_dx10_clamp 1
		.amdhsa_ieee_mode 1
		.amdhsa_fp16_overflow 0
		.amdhsa_tg_split 0
		.amdhsa_exception_fp_ieee_invalid_op 0
		.amdhsa_exception_fp_denorm_src 0
		.amdhsa_exception_fp_ieee_div_zero 0
		.amdhsa_exception_fp_ieee_overflow 0
		.amdhsa_exception_fp_ieee_underflow 0
		.amdhsa_exception_fp_ieee_inexact 0
		.amdhsa_exception_int_div_zero 0
	.end_amdhsa_kernel
	.section	.text._ZN4vllm25paged_attention_v2_kernelI14__hip_bfloat16hLi120ELi16ELi128ELNS_18Fp8KVCacheDataTypeE1ELb0ELi512EEEvPfS3_PT_PKS4_PKT0_SA_ifPKiSC_iPKfiiiSE_SE_iiiii,"axG",@progbits,_ZN4vllm25paged_attention_v2_kernelI14__hip_bfloat16hLi120ELi16ELi128ELNS_18Fp8KVCacheDataTypeE1ELb0ELi512EEEvPfS3_PT_PKS4_PKT0_SA_ifPKiSC_iPKfiiiSE_SE_iiiii,comdat
.Lfunc_end348:
	.size	_ZN4vllm25paged_attention_v2_kernelI14__hip_bfloat16hLi120ELi16ELi128ELNS_18Fp8KVCacheDataTypeE1ELb0ELi512EEEvPfS3_PT_PKS4_PKT0_SA_ifPKiSC_iPKfiiiSE_SE_iiiii, .Lfunc_end348-_ZN4vllm25paged_attention_v2_kernelI14__hip_bfloat16hLi120ELi16ELi128ELNS_18Fp8KVCacheDataTypeE1ELb0ELi512EEEvPfS3_PT_PKS4_PKT0_SA_ifPKiSC_iPKfiiiSE_SE_iiiii
                                        ; -- End function
	.section	.AMDGPU.csdata,"",@progbits
; Kernel info:
; codeLenInByte = 15544
; NumSgprs: 54
; NumVgprs: 79
; NumAgprs: 0
; TotalNumVgprs: 79
; ScratchSize: 0
; MemoryBound: 0
; FloatMode: 240
; IeeeMode: 1
; LDSByteSize: 256 bytes/workgroup (compile time only)
; SGPRBlocks: 6
; VGPRBlocks: 9
; NumSGPRsForWavesPerEU: 54
; NumVGPRsForWavesPerEU: 79
; AccumOffset: 80
; Occupancy: 6
; WaveLimiterHint : 1
; COMPUTE_PGM_RSRC2:SCRATCH_EN: 0
; COMPUTE_PGM_RSRC2:USER_SGPR: 2
; COMPUTE_PGM_RSRC2:TRAP_HANDLER: 0
; COMPUTE_PGM_RSRC2:TGID_X_EN: 1
; COMPUTE_PGM_RSRC2:TGID_Y_EN: 1
; COMPUTE_PGM_RSRC2:TGID_Z_EN: 1
; COMPUTE_PGM_RSRC2:TIDIG_COMP_CNT: 0
; COMPUTE_PGM_RSRC3_GFX90A:ACCUM_OFFSET: 19
; COMPUTE_PGM_RSRC3_GFX90A:TG_SPLIT: 0
	.section	.text._ZN4vllm25paged_attention_v2_kernelI14__hip_bfloat16hLi128ELi16ELi128ELNS_18Fp8KVCacheDataTypeE1ELb0ELi512EEEvPfS3_PT_PKS4_PKT0_SA_ifPKiSC_iPKfiiiSE_SE_iiiii,"axG",@progbits,_ZN4vllm25paged_attention_v2_kernelI14__hip_bfloat16hLi128ELi16ELi128ELNS_18Fp8KVCacheDataTypeE1ELb0ELi512EEEvPfS3_PT_PKS4_PKT0_SA_ifPKiSC_iPKfiiiSE_SE_iiiii,comdat
	.protected	_ZN4vllm25paged_attention_v2_kernelI14__hip_bfloat16hLi128ELi16ELi128ELNS_18Fp8KVCacheDataTypeE1ELb0ELi512EEEvPfS3_PT_PKS4_PKT0_SA_ifPKiSC_iPKfiiiSE_SE_iiiii ; -- Begin function _ZN4vllm25paged_attention_v2_kernelI14__hip_bfloat16hLi128ELi16ELi128ELNS_18Fp8KVCacheDataTypeE1ELb0ELi512EEEvPfS3_PT_PKS4_PKT0_SA_ifPKiSC_iPKfiiiSE_SE_iiiii
	.globl	_ZN4vllm25paged_attention_v2_kernelI14__hip_bfloat16hLi128ELi16ELi128ELNS_18Fp8KVCacheDataTypeE1ELb0ELi512EEEvPfS3_PT_PKS4_PKT0_SA_ifPKiSC_iPKfiiiSE_SE_iiiii
	.p2align	8
	.type	_ZN4vllm25paged_attention_v2_kernelI14__hip_bfloat16hLi128ELi16ELi128ELNS_18Fp8KVCacheDataTypeE1ELb0ELi512EEEvPfS3_PT_PKS4_PKT0_SA_ifPKiSC_iPKfiiiSE_SE_iiiii,@function
_ZN4vllm25paged_attention_v2_kernelI14__hip_bfloat16hLi128ELi16ELi128ELNS_18Fp8KVCacheDataTypeE1ELb0ELi512EEEvPfS3_PT_PKS4_PKT0_SA_ifPKiSC_iPKfiiiSE_SE_iiiii: ; @_ZN4vllm25paged_attention_v2_kernelI14__hip_bfloat16hLi128ELi16ELi128ELNS_18Fp8KVCacheDataTypeE1ELb0ELi512EEEvPfS3_PT_PKS4_PKT0_SA_ifPKiSC_iPKfiiiSE_SE_iiiii
; %bb.0:
	s_load_dwordx2 s[6:7], s[0:1], 0x40
	s_mov_b32 s24, s3
	s_ashr_i32 s25, s3, 31
	s_lshl_b64 s[8:9], s[24:25], 2
	s_waitcnt lgkmcnt(0)
	s_add_u32 s6, s6, s8
	s_addc_u32 s7, s7, s9
	s_load_dword s33, s[6:7], 0x0
	s_lshl_b32 s42, s4, 9
	s_waitcnt lgkmcnt(0)
	s_cmp_ge_i32 s42, s33
	s_cbranch_scc1 .LBB349_496
; %bb.1:
	s_load_dword s25, s[0:1], 0x90
	s_load_dwordx2 s[38:39], s[0:1], 0x30
	s_waitcnt lgkmcnt(0)
	s_abs_i32 s6, s25
	s_abs_i32 s3, s38
	v_cvt_f32_u32_e32 v1, s3
	s_sub_i32 s7, 0, s3
	s_xor_b32 s5, s25, s38
	s_ashr_i32 s5, s5, 31
	v_rcp_iflag_f32_e32 v1, v1
	s_nop 0
	v_mul_f32_e32 v1, 0x4f7ffffe, v1
	v_cvt_u32_f32_e32 v1, v1
	s_nop 0
	v_readfirstlane_b32 s8, v1
	s_mul_i32 s7, s7, s8
	s_mul_hi_u32 s7, s8, s7
	s_add_i32 s8, s8, s7
	s_mul_hi_u32 s7, s6, s8
	s_mul_i32 s8, s7, s3
	s_sub_i32 s6, s6, s8
	s_add_i32 s9, s7, 1
	s_sub_i32 s8, s6, s3
	s_cmp_ge_u32 s6, s3
	s_cselect_b32 s7, s9, s7
	s_cselect_b32 s6, s8, s6
	s_add_i32 s8, s7, 1
	s_cmp_ge_u32 s6, s3
	s_cselect_b32 s3, s8, s7
	s_xor_b32 s3, s3, s5
	s_sub_i32 s10, s3, s5
	s_abs_i32 s8, s10
	v_cvt_f32_u32_e32 v1, s8
	s_load_dwordx2 s[6:7], s[0:1], 0x50
	s_sub_i32 s3, 0, s8
	s_abs_i32 s9, s2
	v_rcp_iflag_f32_e32 v1, v1
	s_mov_b32 s5, 0
	v_mul_f32_e32 v1, 0x4f7ffffe, v1
	v_cvt_u32_f32_e32 v1, v1
	s_nop 0
	v_readfirstlane_b32 s11, v1
	s_mul_i32 s3, s3, s11
	s_mul_hi_u32 s3, s11, s3
	s_add_i32 s11, s11, s3
	s_waitcnt lgkmcnt(0)
	s_cmp_eq_u64 s[6:7], 0
	s_mul_hi_u32 s12, s9, s11
	s_cbranch_scc1 .LBB349_3
; %bb.2:
	s_ashr_i32 s3, s2, 31
	s_lshl_b64 s[14:15], s[2:3], 2
	s_add_u32 s6, s6, s14
	s_addc_u32 s7, s7, s15
	s_load_dword s5, s[6:7], 0x0
.LBB349_3:
	s_load_dwordx4 s[16:19], s[0:1], 0x58
	s_ashr_i32 s13, s2, 31
	s_ashr_i32 s14, s10, 31
	v_and_b32_e32 v6, 3, v0
	s_lshl_b32 s26, s2, 7
	v_cmp_gt_u32_e64 s[10:11], 64, v0
	s_and_saveexec_b64 s[6:7], s[10:11]
	s_cbranch_execz .LBB349_5
; %bb.4:
	s_load_dwordx2 s[20:21], s[0:1], 0x18
	s_waitcnt lgkmcnt(0)
	s_mul_i32 s22, s24, s16
	s_ashr_i32 s23, s22, 31
	s_lshl_b64 s[22:23], s[22:23], 1
	v_lshlrev_b32_e32 v1, 2, v0
	s_add_u32 s3, s20, s22
	s_addc_u32 s15, s21, s23
	s_ashr_i32 s27, s26, 31
	s_lshl_b64 s[20:21], s[26:27], 1
	s_add_u32 s20, s3, s20
	s_addc_u32 s21, s15, s21
	global_load_dword v1, v1, s[20:21]
	v_and_b32_e32 v2, 0x3fc, v0
	v_lshl_add_u32 v2, v6, 6, v2
	s_waitcnt vmcnt(0)
	ds_write_b32 v2, v1
.LBB349_5:
	s_or_b64 exec, exec, s[6:7]
	s_add_i32 s3, s33, 15
	s_ashr_i32 s6, s3, 31
	s_lshr_b32 s6, s6, 28
	s_add_i32 s3, s3, s6
	s_ashr_i32 s43, s3, 4
	s_lshl_b32 s3, s4, 5
	s_mul_i32 s7, s12, s8
	s_add_i32 s6, s3, 32
	s_sub_i32 s7, s9, s7
	s_min_i32 s27, s6, s43
	s_xor_b32 s6, s13, s14
	s_add_i32 s9, s12, 1
	s_sub_i32 s13, s7, s8
	s_cmp_ge_u32 s7, s8
	s_cselect_b32 s9, s9, s12
	s_cselect_b32 s7, s13, s7
	s_add_i32 s12, s9, 1
	s_cmp_ge_u32 s7, s8
	s_load_dwordx2 s[30:31], s[0:1], 0x38
	s_load_dword s8, s[0:1], 0x48
	v_lshrrev_b32_e32 v20, 6, v0
	s_cselect_b32 s7, s12, s9
	s_xor_b32 s7, s7, s6
	v_or_b32_e32 v10, s3, v20
	s_waitcnt lgkmcnt(0)
	s_mul_i32 s34, s24, s8
	s_sub_i32 s44, s7, s6
	s_ashr_i32 s35, s34, 31
	v_cmp_gt_i32_e64 s[6:7], s27, v10
	v_cmp_le_i32_e32 vcc, s27, v10
	v_mbcnt_lo_u32_b32 v7, -1, 0
	s_barrier
	s_waitcnt lgkmcnt(0)
                                        ; implicit-def: $sgpr19
                                        ; implicit-def: $vgpr12
                                        ; implicit-def: $vgpr13
	s_and_saveexec_b64 s[8:9], vcc
	s_xor_b64 s[8:9], exec, s[8:9]
; %bb.6:
	v_mbcnt_hi_u32_b32 v12, -1, v7
	v_and_b32_e32 v1, 64, v12
	v_add_u32_e32 v13, 64, v1
	s_mov_b32 s19, 0xff7fffff
                                        ; implicit-def: $vgpr6
                                        ; implicit-def: $vgpr7
; %bb.7:
	s_or_saveexec_b64 s[40:41], s[8:9]
	s_load_dwordx4 s[20:23], s[0:1], 0x0
	s_load_dwordx2 s[28:29], s[0:1], 0x10
	s_load_dword s16, s[0:1], 0x98
	s_load_dwordx2 s[36:37], s[0:1], 0x28
	s_load_dwordx4 s[12:15], s[0:1], 0x68
	v_mov_b32_e32 v46, s19
	s_mul_i32 s44, s44, s18
	v_ashrrev_i32_e32 v11, 31, v10
	s_xor_b64 exec, exec, s[40:41]
	s_cbranch_execz .LBB349_141
; %bb.8:
	s_load_dwordx2 s[0:1], s[0:1], 0x20
	v_mbcnt_hi_u32_b32 v12, -1, v7
	v_and_b32_e32 v7, 64, v12
	v_add_u32_e32 v13, 64, v7
	v_xor_b32_e32 v7, 2, v12
	v_cmp_lt_i32_e32 vcc, v7, v13
	s_ashr_i32 s8, s44, 31
	v_lshlrev_b32_e32 v1, 6, v6
	v_cndmask_b32_e32 v7, v12, v7, vcc
	v_bfe_u32 v8, v0, 2, 4
	s_waitcnt lgkmcnt(0)
	s_add_u32 s0, s0, s44
	ds_read_b128 v[22:25], v1
	ds_read_b128 v[26:29], v1 offset:16
	ds_read_b128 v[34:37], v1 offset:32
	;; [unrolled: 1-line block ×3, first 2 shown]
	v_lshlrev_b32_e32 v47, 2, v7
	v_xor_b32_e32 v7, 1, v12
	v_lshlrev_b32_e32 v2, 4, v8
	s_addc_u32 s1, s1, s8
	v_mov_b32_e32 v3, 0
	v_cmp_lt_i32_e32 vcc, v7, v13
	s_load_dword s45, s[12:13], 0x0
	v_lshl_add_u64 v[4:5], s[0:1], 0, v[2:3]
	v_lshlrev_b32_e32 v2, 1, v6
	v_cndmask_b32_e32 v7, v12, v7, vcc
	v_cmp_eq_u32_e32 vcc, 0, v6
	s_sub_i32 s46, 1, s33
	v_lshlrev_b32_e32 v6, 4, v20
	s_lshl_b64 s[0:1], s[34:35], 2
	v_add3_u32 v49, s42, v6, v8
	v_lshlrev_b32_e32 v6, 2, v8
	s_add_u32 s0, s30, s0
	v_lshl_or_b32 v6, v20, 6, v6
	s_addc_u32 s1, s31, s1
	s_mov_b32 s38, s17
	s_waitcnt lgkmcnt(0)
	v_lshlrev_b32_e32 v1, 16, v22
	v_and_b32_e32 v14, 0xffff0000, v22
	v_lshlrev_b32_e32 v15, 16, v23
	v_and_b32_e32 v16, 0xffff0000, v23
	;; [unrolled: 2-line block ×16, first 2 shown]
	v_lshlrev_b32_e32 v48, 2, v7
	v_cmp_neq_f32_e64 s[8:9], s5, 0
	v_add_u32_e32 v50, 0x110, v6
	v_lshl_add_u64 v[6:7], v[10:11], 2, s[0:1]
	s_mov_b64 s[12:13], 0
	v_mov_b32_e32 v46, 0xff7fffff
	s_mov_b32 s47, 0xffff
	s_mov_b32 s48, 0x7f800000
	s_movk_i32 s49, 0x7fff
	v_mov_b32_e32 v51, v10
	s_branch .LBB349_10
.LBB349_9:                              ;   in Loop: Header=BB349_10 Depth=1
	s_or_b64 exec, exec, s[18:19]
	v_add_u32_e32 v51, 2, v51
	v_cmp_le_i32_e64 s[0:1], s27, v51
	v_add_u32_e32 v49, 32, v49
	v_add_u32_e32 v50, 0x80, v50
	s_or_b64 s[12:13], s[0:1], s[12:13]
	v_lshl_add_u64 v[6:7], v[6:7], 0, 8
	s_andn2_b64 exec, exec, s[12:13]
	s_cbranch_execz .LBB349_140
.LBB349_10:                             ; =>This Inner Loop Header: Depth=1
	global_load_dword v8, v[6:7], off
	s_waitcnt vmcnt(0) lgkmcnt(0)
	v_mad_i64_i32 v[8:9], s[0:1], v8, s38, v[4:5]
	v_lshl_add_u64 v[8:9], v[8:9], 0, v[2:3]
	global_load_ushort v53, v[8:9], off
	s_waitcnt vmcnt(0)
	v_and_b32_sdwa v52, s47, v53 dst_sel:DWORD dst_unused:UNUSED_PAD src0_sel:DWORD src1_sel:BYTE_0
	v_cvt_f32_fp8_sdwa v52, v52 src0_sel:BYTE_0
	s_nop 0
	v_mul_f32_e32 v54, s45, v52
	v_and_b32_e32 v52, 0x7f800000, v54
	v_cmp_ne_u32_e64 s[0:1], s48, v52
                                        ; implicit-def: $vgpr52
	s_and_saveexec_b64 s[18:19], s[0:1]
	s_xor_b64 s[0:1], exec, s[18:19]
; %bb.11:                               ;   in Loop: Header=BB349_10 Depth=1
	v_bfe_u32 v52, v54, 16, 1
	v_add3_u32 v52, v54, v52, s49
                                        ; implicit-def: $vgpr54
; %bb.12:                               ;   in Loop: Header=BB349_10 Depth=1
	s_andn2_saveexec_b64 s[18:19], s[0:1]
; %bb.13:                               ;   in Loop: Header=BB349_10 Depth=1
	v_or_b32_e32 v52, 0x10000, v54
	v_cmp_eq_u32_sdwa s[0:1], v54, v3 src0_sel:WORD_0 src1_sel:DWORD
	s_nop 1
	v_cndmask_b32_e64 v52, v52, v54, s[0:1]
; %bb.14:                               ;   in Loop: Header=BB349_10 Depth=1
	s_or_b64 exec, exec, s[18:19]
	v_lshrrev_b16_e32 v53, 8, v53
	v_cvt_f32_fp8_sdwa v53, v53 src0_sel:BYTE_0
	s_nop 0
	v_mul_f32_e32 v54, s45, v53
	v_and_b32_e32 v53, 0x7f800000, v54
	v_cmp_ne_u32_e64 s[0:1], s48, v53
                                        ; implicit-def: $vgpr53
	s_and_saveexec_b64 s[18:19], s[0:1]
	s_xor_b64 s[0:1], exec, s[18:19]
; %bb.15:                               ;   in Loop: Header=BB349_10 Depth=1
	v_bfe_u32 v53, v54, 16, 1
	v_add3_u32 v53, v54, v53, s49
                                        ; implicit-def: $vgpr54
; %bb.16:                               ;   in Loop: Header=BB349_10 Depth=1
	s_andn2_saveexec_b64 s[18:19], s[0:1]
; %bb.17:                               ;   in Loop: Header=BB349_10 Depth=1
	v_or_b32_e32 v53, 0x10000, v54
	v_cmp_eq_u32_sdwa s[0:1], v54, v3 src0_sel:WORD_0 src1_sel:DWORD
	s_nop 1
	v_cndmask_b32_e64 v53, v53, v54, s[0:1]
; %bb.18:                               ;   in Loop: Header=BB349_10 Depth=1
	s_or_b64 exec, exec, s[18:19]
	global_load_ushort v55, v[8:9], off offset:8
	s_waitcnt vmcnt(0)
	v_and_b32_sdwa v54, s47, v55 dst_sel:DWORD dst_unused:UNUSED_PAD src0_sel:DWORD src1_sel:BYTE_0
	v_cvt_f32_fp8_sdwa v54, v54 src0_sel:BYTE_0
	s_nop 0
	v_mul_f32_e32 v56, s45, v54
	v_and_b32_e32 v54, 0x7f800000, v56
	v_cmp_ne_u32_e64 s[0:1], s48, v54
                                        ; implicit-def: $vgpr54
	s_and_saveexec_b64 s[18:19], s[0:1]
	s_xor_b64 s[0:1], exec, s[18:19]
; %bb.19:                               ;   in Loop: Header=BB349_10 Depth=1
	v_bfe_u32 v54, v56, 16, 1
	v_add3_u32 v54, v56, v54, s49
                                        ; implicit-def: $vgpr56
; %bb.20:                               ;   in Loop: Header=BB349_10 Depth=1
	s_andn2_saveexec_b64 s[18:19], s[0:1]
; %bb.21:                               ;   in Loop: Header=BB349_10 Depth=1
	v_or_b32_e32 v54, 0x10000, v56
	v_cmp_eq_u32_sdwa s[0:1], v56, v3 src0_sel:WORD_0 src1_sel:DWORD
	s_nop 1
	v_cndmask_b32_e64 v54, v54, v56, s[0:1]
; %bb.22:                               ;   in Loop: Header=BB349_10 Depth=1
	s_or_b64 exec, exec, s[18:19]
	v_lshrrev_b16_e32 v55, 8, v55
	v_cvt_f32_fp8_sdwa v55, v55 src0_sel:BYTE_0
	s_nop 0
	v_mul_f32_e32 v56, s45, v55
	v_and_b32_e32 v55, 0x7f800000, v56
	v_cmp_ne_u32_e64 s[0:1], s48, v55
                                        ; implicit-def: $vgpr55
	s_and_saveexec_b64 s[18:19], s[0:1]
	s_xor_b64 s[0:1], exec, s[18:19]
; %bb.23:                               ;   in Loop: Header=BB349_10 Depth=1
	v_bfe_u32 v55, v56, 16, 1
	v_add3_u32 v55, v56, v55, s49
                                        ; implicit-def: $vgpr56
; %bb.24:                               ;   in Loop: Header=BB349_10 Depth=1
	s_andn2_saveexec_b64 s[18:19], s[0:1]
; %bb.25:                               ;   in Loop: Header=BB349_10 Depth=1
	v_or_b32_e32 v55, 0x10000, v56
	v_cmp_eq_u32_sdwa s[0:1], v56, v3 src0_sel:WORD_0 src1_sel:DWORD
	s_nop 1
	v_cndmask_b32_e64 v55, v55, v56, s[0:1]
; %bb.26:                               ;   in Loop: Header=BB349_10 Depth=1
	s_or_b64 exec, exec, s[18:19]
	global_load_ushort v57, v[8:9], off offset:256
	s_waitcnt vmcnt(0)
	v_and_b32_sdwa v56, s47, v57 dst_sel:DWORD dst_unused:UNUSED_PAD src0_sel:DWORD src1_sel:BYTE_0
	v_cvt_f32_fp8_sdwa v56, v56 src0_sel:BYTE_0
	s_nop 0
	v_mul_f32_e32 v58, s45, v56
	v_and_b32_e32 v56, 0x7f800000, v58
	v_cmp_ne_u32_e64 s[0:1], s48, v56
                                        ; implicit-def: $vgpr56
	s_and_saveexec_b64 s[18:19], s[0:1]
	s_xor_b64 s[0:1], exec, s[18:19]
; %bb.27:                               ;   in Loop: Header=BB349_10 Depth=1
	v_bfe_u32 v56, v58, 16, 1
	v_add3_u32 v56, v58, v56, s49
                                        ; implicit-def: $vgpr58
; %bb.28:                               ;   in Loop: Header=BB349_10 Depth=1
	s_andn2_saveexec_b64 s[18:19], s[0:1]
; %bb.29:                               ;   in Loop: Header=BB349_10 Depth=1
	v_or_b32_e32 v56, 0x10000, v58
	v_cmp_eq_u32_sdwa s[0:1], v58, v3 src0_sel:WORD_0 src1_sel:DWORD
	s_nop 1
	v_cndmask_b32_e64 v56, v56, v58, s[0:1]
; %bb.30:                               ;   in Loop: Header=BB349_10 Depth=1
	s_or_b64 exec, exec, s[18:19]
	v_lshrrev_b16_e32 v57, 8, v57
	v_cvt_f32_fp8_sdwa v57, v57 src0_sel:BYTE_0
	s_nop 0
	v_mul_f32_e32 v58, s45, v57
	v_and_b32_e32 v57, 0x7f800000, v58
	v_cmp_ne_u32_e64 s[0:1], s48, v57
                                        ; implicit-def: $vgpr57
	s_and_saveexec_b64 s[18:19], s[0:1]
	s_xor_b64 s[0:1], exec, s[18:19]
; %bb.31:                               ;   in Loop: Header=BB349_10 Depth=1
	v_bfe_u32 v57, v58, 16, 1
	v_add3_u32 v57, v58, v57, s49
                                        ; implicit-def: $vgpr58
; %bb.32:                               ;   in Loop: Header=BB349_10 Depth=1
	s_andn2_saveexec_b64 s[18:19], s[0:1]
; %bb.33:                               ;   in Loop: Header=BB349_10 Depth=1
	v_or_b32_e32 v57, 0x10000, v58
	v_cmp_eq_u32_sdwa s[0:1], v58, v3 src0_sel:WORD_0 src1_sel:DWORD
	s_nop 1
	v_cndmask_b32_e64 v57, v57, v58, s[0:1]
; %bb.34:                               ;   in Loop: Header=BB349_10 Depth=1
	s_or_b64 exec, exec, s[18:19]
	global_load_ushort v59, v[8:9], off offset:264
	s_waitcnt vmcnt(0)
	v_and_b32_sdwa v58, s47, v59 dst_sel:DWORD dst_unused:UNUSED_PAD src0_sel:DWORD src1_sel:BYTE_0
	v_cvt_f32_fp8_sdwa v58, v58 src0_sel:BYTE_0
	s_nop 0
	v_mul_f32_e32 v60, s45, v58
	v_and_b32_e32 v58, 0x7f800000, v60
	v_cmp_ne_u32_e64 s[0:1], s48, v58
                                        ; implicit-def: $vgpr58
	s_and_saveexec_b64 s[18:19], s[0:1]
	s_xor_b64 s[0:1], exec, s[18:19]
; %bb.35:                               ;   in Loop: Header=BB349_10 Depth=1
	v_bfe_u32 v58, v60, 16, 1
	v_add3_u32 v58, v60, v58, s49
                                        ; implicit-def: $vgpr60
; %bb.36:                               ;   in Loop: Header=BB349_10 Depth=1
	s_andn2_saveexec_b64 s[18:19], s[0:1]
; %bb.37:                               ;   in Loop: Header=BB349_10 Depth=1
	v_or_b32_e32 v58, 0x10000, v60
	v_cmp_eq_u32_sdwa s[0:1], v60, v3 src0_sel:WORD_0 src1_sel:DWORD
	s_nop 1
	v_cndmask_b32_e64 v58, v58, v60, s[0:1]
; %bb.38:                               ;   in Loop: Header=BB349_10 Depth=1
	s_or_b64 exec, exec, s[18:19]
	v_lshrrev_b16_e32 v59, 8, v59
	v_cvt_f32_fp8_sdwa v59, v59 src0_sel:BYTE_0
	s_nop 0
	v_mul_f32_e32 v60, s45, v59
	v_and_b32_e32 v59, 0x7f800000, v60
	v_cmp_ne_u32_e64 s[0:1], s48, v59
                                        ; implicit-def: $vgpr59
	s_and_saveexec_b64 s[18:19], s[0:1]
	s_xor_b64 s[0:1], exec, s[18:19]
; %bb.39:                               ;   in Loop: Header=BB349_10 Depth=1
	v_bfe_u32 v59, v60, 16, 1
	v_add3_u32 v59, v60, v59, s49
                                        ; implicit-def: $vgpr60
; %bb.40:                               ;   in Loop: Header=BB349_10 Depth=1
	s_andn2_saveexec_b64 s[18:19], s[0:1]
; %bb.41:                               ;   in Loop: Header=BB349_10 Depth=1
	v_or_b32_e32 v59, 0x10000, v60
	v_cmp_eq_u32_sdwa s[0:1], v60, v3 src0_sel:WORD_0 src1_sel:DWORD
	s_nop 1
	v_cndmask_b32_e64 v59, v59, v60, s[0:1]
; %bb.42:                               ;   in Loop: Header=BB349_10 Depth=1
	s_or_b64 exec, exec, s[18:19]
	global_load_ushort v61, v[8:9], off offset:512
	s_waitcnt vmcnt(0)
	v_and_b32_sdwa v60, s47, v61 dst_sel:DWORD dst_unused:UNUSED_PAD src0_sel:DWORD src1_sel:BYTE_0
	v_cvt_f32_fp8_sdwa v60, v60 src0_sel:BYTE_0
	s_nop 0
	v_mul_f32_e32 v62, s45, v60
	v_and_b32_e32 v60, 0x7f800000, v62
	v_cmp_ne_u32_e64 s[0:1], s48, v60
                                        ; implicit-def: $vgpr60
	s_and_saveexec_b64 s[18:19], s[0:1]
	s_xor_b64 s[0:1], exec, s[18:19]
; %bb.43:                               ;   in Loop: Header=BB349_10 Depth=1
	v_bfe_u32 v60, v62, 16, 1
	v_add3_u32 v60, v62, v60, s49
                                        ; implicit-def: $vgpr62
; %bb.44:                               ;   in Loop: Header=BB349_10 Depth=1
	s_andn2_saveexec_b64 s[18:19], s[0:1]
; %bb.45:                               ;   in Loop: Header=BB349_10 Depth=1
	v_or_b32_e32 v60, 0x10000, v62
	v_cmp_eq_u32_sdwa s[0:1], v62, v3 src0_sel:WORD_0 src1_sel:DWORD
	s_nop 1
	v_cndmask_b32_e64 v60, v60, v62, s[0:1]
; %bb.46:                               ;   in Loop: Header=BB349_10 Depth=1
	s_or_b64 exec, exec, s[18:19]
	v_lshrrev_b16_e32 v61, 8, v61
	v_cvt_f32_fp8_sdwa v61, v61 src0_sel:BYTE_0
	s_nop 0
	v_mul_f32_e32 v62, s45, v61
	v_and_b32_e32 v61, 0x7f800000, v62
	v_cmp_ne_u32_e64 s[0:1], s48, v61
                                        ; implicit-def: $vgpr61
	s_and_saveexec_b64 s[18:19], s[0:1]
	s_xor_b64 s[0:1], exec, s[18:19]
; %bb.47:                               ;   in Loop: Header=BB349_10 Depth=1
	v_bfe_u32 v61, v62, 16, 1
	v_add3_u32 v61, v62, v61, s49
                                        ; implicit-def: $vgpr62
; %bb.48:                               ;   in Loop: Header=BB349_10 Depth=1
	s_andn2_saveexec_b64 s[18:19], s[0:1]
; %bb.49:                               ;   in Loop: Header=BB349_10 Depth=1
	v_or_b32_e32 v61, 0x10000, v62
	v_cmp_eq_u32_sdwa s[0:1], v62, v3 src0_sel:WORD_0 src1_sel:DWORD
	s_nop 1
	v_cndmask_b32_e64 v61, v61, v62, s[0:1]
; %bb.50:                               ;   in Loop: Header=BB349_10 Depth=1
	s_or_b64 exec, exec, s[18:19]
	global_load_ushort v63, v[8:9], off offset:520
	s_waitcnt vmcnt(0)
	v_and_b32_sdwa v62, s47, v63 dst_sel:DWORD dst_unused:UNUSED_PAD src0_sel:DWORD src1_sel:BYTE_0
	v_cvt_f32_fp8_sdwa v62, v62 src0_sel:BYTE_0
	s_nop 0
	v_mul_f32_e32 v64, s45, v62
	v_and_b32_e32 v62, 0x7f800000, v64
	v_cmp_ne_u32_e64 s[0:1], s48, v62
                                        ; implicit-def: $vgpr62
	s_and_saveexec_b64 s[18:19], s[0:1]
	s_xor_b64 s[0:1], exec, s[18:19]
; %bb.51:                               ;   in Loop: Header=BB349_10 Depth=1
	v_bfe_u32 v62, v64, 16, 1
	v_add3_u32 v62, v64, v62, s49
                                        ; implicit-def: $vgpr64
; %bb.52:                               ;   in Loop: Header=BB349_10 Depth=1
	s_andn2_saveexec_b64 s[18:19], s[0:1]
; %bb.53:                               ;   in Loop: Header=BB349_10 Depth=1
	v_or_b32_e32 v62, 0x10000, v64
	v_cmp_eq_u32_sdwa s[0:1], v64, v3 src0_sel:WORD_0 src1_sel:DWORD
	s_nop 1
	v_cndmask_b32_e64 v62, v62, v64, s[0:1]
; %bb.54:                               ;   in Loop: Header=BB349_10 Depth=1
	s_or_b64 exec, exec, s[18:19]
	v_lshrrev_b16_e32 v63, 8, v63
	v_cvt_f32_fp8_sdwa v63, v63 src0_sel:BYTE_0
	s_nop 0
	v_mul_f32_e32 v64, s45, v63
	v_and_b32_e32 v63, 0x7f800000, v64
	v_cmp_ne_u32_e64 s[0:1], s48, v63
                                        ; implicit-def: $vgpr63
	s_and_saveexec_b64 s[18:19], s[0:1]
	s_xor_b64 s[0:1], exec, s[18:19]
; %bb.55:                               ;   in Loop: Header=BB349_10 Depth=1
	v_bfe_u32 v63, v64, 16, 1
	v_add3_u32 v63, v64, v63, s49
                                        ; implicit-def: $vgpr64
; %bb.56:                               ;   in Loop: Header=BB349_10 Depth=1
	s_andn2_saveexec_b64 s[18:19], s[0:1]
; %bb.57:                               ;   in Loop: Header=BB349_10 Depth=1
	v_or_b32_e32 v63, 0x10000, v64
	v_cmp_eq_u32_sdwa s[0:1], v64, v3 src0_sel:WORD_0 src1_sel:DWORD
	s_nop 1
	v_cndmask_b32_e64 v63, v63, v64, s[0:1]
; %bb.58:                               ;   in Loop: Header=BB349_10 Depth=1
	s_or_b64 exec, exec, s[18:19]
	global_load_ushort v65, v[8:9], off offset:768
	s_waitcnt vmcnt(0)
	v_and_b32_sdwa v64, s47, v65 dst_sel:DWORD dst_unused:UNUSED_PAD src0_sel:DWORD src1_sel:BYTE_0
	v_cvt_f32_fp8_sdwa v64, v64 src0_sel:BYTE_0
	s_nop 0
	v_mul_f32_e32 v66, s45, v64
	v_and_b32_e32 v64, 0x7f800000, v66
	v_cmp_ne_u32_e64 s[0:1], s48, v64
                                        ; implicit-def: $vgpr64
	s_and_saveexec_b64 s[18:19], s[0:1]
	s_xor_b64 s[0:1], exec, s[18:19]
; %bb.59:                               ;   in Loop: Header=BB349_10 Depth=1
	v_bfe_u32 v64, v66, 16, 1
	v_add3_u32 v64, v66, v64, s49
                                        ; implicit-def: $vgpr66
; %bb.60:                               ;   in Loop: Header=BB349_10 Depth=1
	s_andn2_saveexec_b64 s[18:19], s[0:1]
; %bb.61:                               ;   in Loop: Header=BB349_10 Depth=1
	v_or_b32_e32 v64, 0x10000, v66
	v_cmp_eq_u32_sdwa s[0:1], v66, v3 src0_sel:WORD_0 src1_sel:DWORD
	s_nop 1
	v_cndmask_b32_e64 v64, v64, v66, s[0:1]
; %bb.62:                               ;   in Loop: Header=BB349_10 Depth=1
	s_or_b64 exec, exec, s[18:19]
	v_lshrrev_b16_e32 v65, 8, v65
	v_cvt_f32_fp8_sdwa v65, v65 src0_sel:BYTE_0
	s_nop 0
	v_mul_f32_e32 v66, s45, v65
	v_and_b32_e32 v65, 0x7f800000, v66
	v_cmp_ne_u32_e64 s[0:1], s48, v65
                                        ; implicit-def: $vgpr65
	s_and_saveexec_b64 s[18:19], s[0:1]
	s_xor_b64 s[0:1], exec, s[18:19]
; %bb.63:                               ;   in Loop: Header=BB349_10 Depth=1
	v_bfe_u32 v65, v66, 16, 1
	v_add3_u32 v65, v66, v65, s49
                                        ; implicit-def: $vgpr66
; %bb.64:                               ;   in Loop: Header=BB349_10 Depth=1
	s_andn2_saveexec_b64 s[18:19], s[0:1]
; %bb.65:                               ;   in Loop: Header=BB349_10 Depth=1
	v_or_b32_e32 v65, 0x10000, v66
	v_cmp_eq_u32_sdwa s[0:1], v66, v3 src0_sel:WORD_0 src1_sel:DWORD
	s_nop 1
	v_cndmask_b32_e64 v65, v65, v66, s[0:1]
; %bb.66:                               ;   in Loop: Header=BB349_10 Depth=1
	s_or_b64 exec, exec, s[18:19]
	global_load_ushort v67, v[8:9], off offset:776
	s_waitcnt vmcnt(0)
	v_and_b32_sdwa v66, s47, v67 dst_sel:DWORD dst_unused:UNUSED_PAD src0_sel:DWORD src1_sel:BYTE_0
	v_cvt_f32_fp8_sdwa v66, v66 src0_sel:BYTE_0
	s_nop 0
	v_mul_f32_e32 v68, s45, v66
	v_and_b32_e32 v66, 0x7f800000, v68
	v_cmp_ne_u32_e64 s[0:1], s48, v66
                                        ; implicit-def: $vgpr66
	s_and_saveexec_b64 s[18:19], s[0:1]
	s_xor_b64 s[0:1], exec, s[18:19]
; %bb.67:                               ;   in Loop: Header=BB349_10 Depth=1
	v_bfe_u32 v66, v68, 16, 1
	v_add3_u32 v66, v68, v66, s49
                                        ; implicit-def: $vgpr68
; %bb.68:                               ;   in Loop: Header=BB349_10 Depth=1
	s_andn2_saveexec_b64 s[18:19], s[0:1]
; %bb.69:                               ;   in Loop: Header=BB349_10 Depth=1
	v_or_b32_e32 v66, 0x10000, v68
	v_cmp_eq_u32_sdwa s[0:1], v68, v3 src0_sel:WORD_0 src1_sel:DWORD
	s_nop 1
	v_cndmask_b32_e64 v66, v66, v68, s[0:1]
; %bb.70:                               ;   in Loop: Header=BB349_10 Depth=1
	s_or_b64 exec, exec, s[18:19]
	v_lshrrev_b16_e32 v67, 8, v67
	v_cvt_f32_fp8_sdwa v67, v67 src0_sel:BYTE_0
	s_nop 0
	v_mul_f32_e32 v68, s45, v67
	v_and_b32_e32 v67, 0x7f800000, v68
	v_cmp_ne_u32_e64 s[0:1], s48, v67
                                        ; implicit-def: $vgpr67
	s_and_saveexec_b64 s[18:19], s[0:1]
	s_xor_b64 s[0:1], exec, s[18:19]
; %bb.71:                               ;   in Loop: Header=BB349_10 Depth=1
	v_bfe_u32 v67, v68, 16, 1
	v_add3_u32 v67, v68, v67, s49
                                        ; implicit-def: $vgpr68
; %bb.72:                               ;   in Loop: Header=BB349_10 Depth=1
	s_andn2_saveexec_b64 s[18:19], s[0:1]
; %bb.73:                               ;   in Loop: Header=BB349_10 Depth=1
	v_or_b32_e32 v67, 0x10000, v68
	v_cmp_eq_u32_sdwa s[0:1], v68, v3 src0_sel:WORD_0 src1_sel:DWORD
	s_nop 1
	v_cndmask_b32_e64 v67, v67, v68, s[0:1]
; %bb.74:                               ;   in Loop: Header=BB349_10 Depth=1
	s_or_b64 exec, exec, s[18:19]
	global_load_ushort v69, v[8:9], off offset:1024
	s_waitcnt vmcnt(0)
	v_and_b32_sdwa v68, s47, v69 dst_sel:DWORD dst_unused:UNUSED_PAD src0_sel:DWORD src1_sel:BYTE_0
	v_cvt_f32_fp8_sdwa v68, v68 src0_sel:BYTE_0
	s_nop 0
	v_mul_f32_e32 v70, s45, v68
	v_and_b32_e32 v68, 0x7f800000, v70
	v_cmp_ne_u32_e64 s[0:1], s48, v68
                                        ; implicit-def: $vgpr68
	s_and_saveexec_b64 s[18:19], s[0:1]
	s_xor_b64 s[0:1], exec, s[18:19]
; %bb.75:                               ;   in Loop: Header=BB349_10 Depth=1
	v_bfe_u32 v68, v70, 16, 1
	v_add3_u32 v68, v70, v68, s49
                                        ; implicit-def: $vgpr70
; %bb.76:                               ;   in Loop: Header=BB349_10 Depth=1
	s_andn2_saveexec_b64 s[18:19], s[0:1]
; %bb.77:                               ;   in Loop: Header=BB349_10 Depth=1
	v_or_b32_e32 v68, 0x10000, v70
	v_cmp_eq_u32_sdwa s[0:1], v70, v3 src0_sel:WORD_0 src1_sel:DWORD
	s_nop 1
	v_cndmask_b32_e64 v68, v68, v70, s[0:1]
; %bb.78:                               ;   in Loop: Header=BB349_10 Depth=1
	s_or_b64 exec, exec, s[18:19]
	v_lshrrev_b16_e32 v69, 8, v69
	v_cvt_f32_fp8_sdwa v69, v69 src0_sel:BYTE_0
	s_nop 0
	v_mul_f32_e32 v70, s45, v69
	v_and_b32_e32 v69, 0x7f800000, v70
	v_cmp_ne_u32_e64 s[0:1], s48, v69
                                        ; implicit-def: $vgpr69
	s_and_saveexec_b64 s[18:19], s[0:1]
	s_xor_b64 s[0:1], exec, s[18:19]
; %bb.79:                               ;   in Loop: Header=BB349_10 Depth=1
	v_bfe_u32 v69, v70, 16, 1
	v_add3_u32 v69, v70, v69, s49
                                        ; implicit-def: $vgpr70
; %bb.80:                               ;   in Loop: Header=BB349_10 Depth=1
	s_andn2_saveexec_b64 s[18:19], s[0:1]
; %bb.81:                               ;   in Loop: Header=BB349_10 Depth=1
	v_or_b32_e32 v69, 0x10000, v70
	v_cmp_eq_u32_sdwa s[0:1], v70, v3 src0_sel:WORD_0 src1_sel:DWORD
	s_nop 1
	v_cndmask_b32_e64 v69, v69, v70, s[0:1]
; %bb.82:                               ;   in Loop: Header=BB349_10 Depth=1
	s_or_b64 exec, exec, s[18:19]
	global_load_ushort v71, v[8:9], off offset:1032
	s_waitcnt vmcnt(0)
	v_and_b32_sdwa v70, s47, v71 dst_sel:DWORD dst_unused:UNUSED_PAD src0_sel:DWORD src1_sel:BYTE_0
	v_cvt_f32_fp8_sdwa v70, v70 src0_sel:BYTE_0
	s_nop 0
	v_mul_f32_e32 v72, s45, v70
	v_and_b32_e32 v70, 0x7f800000, v72
	v_cmp_ne_u32_e64 s[0:1], s48, v70
                                        ; implicit-def: $vgpr70
	s_and_saveexec_b64 s[18:19], s[0:1]
	s_xor_b64 s[0:1], exec, s[18:19]
; %bb.83:                               ;   in Loop: Header=BB349_10 Depth=1
	v_bfe_u32 v70, v72, 16, 1
	v_add3_u32 v70, v72, v70, s49
                                        ; implicit-def: $vgpr72
; %bb.84:                               ;   in Loop: Header=BB349_10 Depth=1
	s_andn2_saveexec_b64 s[18:19], s[0:1]
; %bb.85:                               ;   in Loop: Header=BB349_10 Depth=1
	v_or_b32_e32 v70, 0x10000, v72
	v_cmp_eq_u32_sdwa s[0:1], v72, v3 src0_sel:WORD_0 src1_sel:DWORD
	s_nop 1
	v_cndmask_b32_e64 v70, v70, v72, s[0:1]
; %bb.86:                               ;   in Loop: Header=BB349_10 Depth=1
	s_or_b64 exec, exec, s[18:19]
	v_lshrrev_b16_e32 v71, 8, v71
	v_cvt_f32_fp8_sdwa v71, v71 src0_sel:BYTE_0
	s_nop 0
	v_mul_f32_e32 v72, s45, v71
	v_and_b32_e32 v71, 0x7f800000, v72
	v_cmp_ne_u32_e64 s[0:1], s48, v71
                                        ; implicit-def: $vgpr71
	s_and_saveexec_b64 s[18:19], s[0:1]
	s_xor_b64 s[0:1], exec, s[18:19]
; %bb.87:                               ;   in Loop: Header=BB349_10 Depth=1
	v_bfe_u32 v71, v72, 16, 1
	v_add3_u32 v71, v72, v71, s49
                                        ; implicit-def: $vgpr72
; %bb.88:                               ;   in Loop: Header=BB349_10 Depth=1
	s_andn2_saveexec_b64 s[18:19], s[0:1]
; %bb.89:                               ;   in Loop: Header=BB349_10 Depth=1
	v_or_b32_e32 v71, 0x10000, v72
	v_cmp_eq_u32_sdwa s[0:1], v72, v3 src0_sel:WORD_0 src1_sel:DWORD
	s_nop 1
	v_cndmask_b32_e64 v71, v71, v72, s[0:1]
; %bb.90:                               ;   in Loop: Header=BB349_10 Depth=1
	s_or_b64 exec, exec, s[18:19]
	global_load_ushort v73, v[8:9], off offset:1280
	s_waitcnt vmcnt(0)
	v_and_b32_sdwa v72, s47, v73 dst_sel:DWORD dst_unused:UNUSED_PAD src0_sel:DWORD src1_sel:BYTE_0
	v_cvt_f32_fp8_sdwa v72, v72 src0_sel:BYTE_0
	s_nop 0
	v_mul_f32_e32 v74, s45, v72
	v_and_b32_e32 v72, 0x7f800000, v74
	v_cmp_ne_u32_e64 s[0:1], s48, v72
                                        ; implicit-def: $vgpr72
	s_and_saveexec_b64 s[18:19], s[0:1]
	s_xor_b64 s[0:1], exec, s[18:19]
; %bb.91:                               ;   in Loop: Header=BB349_10 Depth=1
	v_bfe_u32 v72, v74, 16, 1
	v_add3_u32 v72, v74, v72, s49
                                        ; implicit-def: $vgpr74
; %bb.92:                               ;   in Loop: Header=BB349_10 Depth=1
	s_andn2_saveexec_b64 s[18:19], s[0:1]
; %bb.93:                               ;   in Loop: Header=BB349_10 Depth=1
	v_or_b32_e32 v72, 0x10000, v74
	v_cmp_eq_u32_sdwa s[0:1], v74, v3 src0_sel:WORD_0 src1_sel:DWORD
	s_nop 1
	v_cndmask_b32_e64 v72, v72, v74, s[0:1]
; %bb.94:                               ;   in Loop: Header=BB349_10 Depth=1
	s_or_b64 exec, exec, s[18:19]
	v_lshrrev_b16_e32 v73, 8, v73
	v_cvt_f32_fp8_sdwa v73, v73 src0_sel:BYTE_0
	s_nop 0
	v_mul_f32_e32 v74, s45, v73
	v_and_b32_e32 v73, 0x7f800000, v74
	v_cmp_ne_u32_e64 s[0:1], s48, v73
                                        ; implicit-def: $vgpr73
	s_and_saveexec_b64 s[18:19], s[0:1]
	s_xor_b64 s[0:1], exec, s[18:19]
; %bb.95:                               ;   in Loop: Header=BB349_10 Depth=1
	v_bfe_u32 v73, v74, 16, 1
	v_add3_u32 v73, v74, v73, s49
                                        ; implicit-def: $vgpr74
; %bb.96:                               ;   in Loop: Header=BB349_10 Depth=1
	s_andn2_saveexec_b64 s[18:19], s[0:1]
; %bb.97:                               ;   in Loop: Header=BB349_10 Depth=1
	v_or_b32_e32 v73, 0x10000, v74
	v_cmp_eq_u32_sdwa s[0:1], v74, v3 src0_sel:WORD_0 src1_sel:DWORD
	s_nop 1
	v_cndmask_b32_e64 v73, v73, v74, s[0:1]
; %bb.98:                               ;   in Loop: Header=BB349_10 Depth=1
	s_or_b64 exec, exec, s[18:19]
	global_load_ushort v75, v[8:9], off offset:1288
	s_waitcnt vmcnt(0)
	v_and_b32_sdwa v74, s47, v75 dst_sel:DWORD dst_unused:UNUSED_PAD src0_sel:DWORD src1_sel:BYTE_0
	v_cvt_f32_fp8_sdwa v74, v74 src0_sel:BYTE_0
	s_nop 0
	v_mul_f32_e32 v76, s45, v74
	v_and_b32_e32 v74, 0x7f800000, v76
	v_cmp_ne_u32_e64 s[0:1], s48, v74
                                        ; implicit-def: $vgpr74
	s_and_saveexec_b64 s[18:19], s[0:1]
	s_xor_b64 s[0:1], exec, s[18:19]
; %bb.99:                               ;   in Loop: Header=BB349_10 Depth=1
	v_bfe_u32 v74, v76, 16, 1
	v_add3_u32 v74, v76, v74, s49
                                        ; implicit-def: $vgpr76
; %bb.100:                              ;   in Loop: Header=BB349_10 Depth=1
	s_andn2_saveexec_b64 s[18:19], s[0:1]
; %bb.101:                              ;   in Loop: Header=BB349_10 Depth=1
	v_or_b32_e32 v74, 0x10000, v76
	v_cmp_eq_u32_sdwa s[0:1], v76, v3 src0_sel:WORD_0 src1_sel:DWORD
	s_nop 1
	v_cndmask_b32_e64 v74, v74, v76, s[0:1]
; %bb.102:                              ;   in Loop: Header=BB349_10 Depth=1
	s_or_b64 exec, exec, s[18:19]
	v_lshrrev_b16_e32 v75, 8, v75
	v_cvt_f32_fp8_sdwa v75, v75 src0_sel:BYTE_0
	s_nop 0
	v_mul_f32_e32 v76, s45, v75
	v_and_b32_e32 v75, 0x7f800000, v76
	v_cmp_ne_u32_e64 s[0:1], s48, v75
                                        ; implicit-def: $vgpr75
	s_and_saveexec_b64 s[18:19], s[0:1]
	s_xor_b64 s[0:1], exec, s[18:19]
; %bb.103:                              ;   in Loop: Header=BB349_10 Depth=1
	v_bfe_u32 v75, v76, 16, 1
	v_add3_u32 v75, v76, v75, s49
                                        ; implicit-def: $vgpr76
; %bb.104:                              ;   in Loop: Header=BB349_10 Depth=1
	s_andn2_saveexec_b64 s[18:19], s[0:1]
; %bb.105:                              ;   in Loop: Header=BB349_10 Depth=1
	v_or_b32_e32 v75, 0x10000, v76
	v_cmp_eq_u32_sdwa s[0:1], v76, v3 src0_sel:WORD_0 src1_sel:DWORD
	s_nop 1
	v_cndmask_b32_e64 v75, v75, v76, s[0:1]
; %bb.106:                              ;   in Loop: Header=BB349_10 Depth=1
	s_or_b64 exec, exec, s[18:19]
	global_load_ushort v77, v[8:9], off offset:1536
	s_waitcnt vmcnt(0)
	v_and_b32_sdwa v76, s47, v77 dst_sel:DWORD dst_unused:UNUSED_PAD src0_sel:DWORD src1_sel:BYTE_0
	v_cvt_f32_fp8_sdwa v76, v76 src0_sel:BYTE_0
	s_nop 0
	v_mul_f32_e32 v78, s45, v76
	v_and_b32_e32 v76, 0x7f800000, v78
	v_cmp_ne_u32_e64 s[0:1], s48, v76
                                        ; implicit-def: $vgpr76
	s_and_saveexec_b64 s[18:19], s[0:1]
	s_xor_b64 s[0:1], exec, s[18:19]
; %bb.107:                              ;   in Loop: Header=BB349_10 Depth=1
	v_bfe_u32 v76, v78, 16, 1
	v_add3_u32 v76, v78, v76, s49
                                        ; implicit-def: $vgpr78
; %bb.108:                              ;   in Loop: Header=BB349_10 Depth=1
	s_andn2_saveexec_b64 s[18:19], s[0:1]
; %bb.109:                              ;   in Loop: Header=BB349_10 Depth=1
	v_or_b32_e32 v76, 0x10000, v78
	v_cmp_eq_u32_sdwa s[0:1], v78, v3 src0_sel:WORD_0 src1_sel:DWORD
	s_nop 1
	v_cndmask_b32_e64 v76, v76, v78, s[0:1]
; %bb.110:                              ;   in Loop: Header=BB349_10 Depth=1
	s_or_b64 exec, exec, s[18:19]
	v_lshrrev_b16_e32 v77, 8, v77
	v_cvt_f32_fp8_sdwa v77, v77 src0_sel:BYTE_0
	s_nop 0
	v_mul_f32_e32 v78, s45, v77
	v_and_b32_e32 v77, 0x7f800000, v78
	v_cmp_ne_u32_e64 s[0:1], s48, v77
                                        ; implicit-def: $vgpr77
	s_and_saveexec_b64 s[18:19], s[0:1]
	s_xor_b64 s[0:1], exec, s[18:19]
; %bb.111:                              ;   in Loop: Header=BB349_10 Depth=1
	v_bfe_u32 v77, v78, 16, 1
	v_add3_u32 v77, v78, v77, s49
                                        ; implicit-def: $vgpr78
; %bb.112:                              ;   in Loop: Header=BB349_10 Depth=1
	s_andn2_saveexec_b64 s[18:19], s[0:1]
; %bb.113:                              ;   in Loop: Header=BB349_10 Depth=1
	v_or_b32_e32 v77, 0x10000, v78
	v_cmp_eq_u32_sdwa s[0:1], v78, v3 src0_sel:WORD_0 src1_sel:DWORD
	s_nop 1
	v_cndmask_b32_e64 v77, v77, v78, s[0:1]
; %bb.114:                              ;   in Loop: Header=BB349_10 Depth=1
	s_or_b64 exec, exec, s[18:19]
	global_load_ushort v79, v[8:9], off offset:1544
	s_waitcnt vmcnt(0)
	v_and_b32_sdwa v78, s47, v79 dst_sel:DWORD dst_unused:UNUSED_PAD src0_sel:DWORD src1_sel:BYTE_0
	v_cvt_f32_fp8_sdwa v78, v78 src0_sel:BYTE_0
	s_nop 0
	v_mul_f32_e32 v80, s45, v78
	v_and_b32_e32 v78, 0x7f800000, v80
	v_cmp_ne_u32_e64 s[0:1], s48, v78
                                        ; implicit-def: $vgpr78
	s_and_saveexec_b64 s[18:19], s[0:1]
	s_xor_b64 s[0:1], exec, s[18:19]
; %bb.115:                              ;   in Loop: Header=BB349_10 Depth=1
	v_bfe_u32 v78, v80, 16, 1
	v_add3_u32 v78, v80, v78, s49
                                        ; implicit-def: $vgpr80
; %bb.116:                              ;   in Loop: Header=BB349_10 Depth=1
	s_andn2_saveexec_b64 s[18:19], s[0:1]
; %bb.117:                              ;   in Loop: Header=BB349_10 Depth=1
	v_or_b32_e32 v78, 0x10000, v80
	v_cmp_eq_u32_sdwa s[0:1], v80, v3 src0_sel:WORD_0 src1_sel:DWORD
	s_nop 1
	v_cndmask_b32_e64 v78, v78, v80, s[0:1]
; %bb.118:                              ;   in Loop: Header=BB349_10 Depth=1
	s_or_b64 exec, exec, s[18:19]
	v_lshrrev_b16_e32 v79, 8, v79
	v_cvt_f32_fp8_sdwa v79, v79 src0_sel:BYTE_0
	s_nop 0
	v_mul_f32_e32 v80, s45, v79
	v_and_b32_e32 v79, 0x7f800000, v80
	v_cmp_ne_u32_e64 s[0:1], s48, v79
                                        ; implicit-def: $vgpr79
	s_and_saveexec_b64 s[18:19], s[0:1]
	s_xor_b64 s[0:1], exec, s[18:19]
; %bb.119:                              ;   in Loop: Header=BB349_10 Depth=1
	v_bfe_u32 v79, v80, 16, 1
	v_add3_u32 v79, v80, v79, s49
                                        ; implicit-def: $vgpr80
; %bb.120:                              ;   in Loop: Header=BB349_10 Depth=1
	s_andn2_saveexec_b64 s[18:19], s[0:1]
; %bb.121:                              ;   in Loop: Header=BB349_10 Depth=1
	v_or_b32_e32 v79, 0x10000, v80
	v_cmp_eq_u32_sdwa s[0:1], v80, v3 src0_sel:WORD_0 src1_sel:DWORD
	s_nop 1
	v_cndmask_b32_e64 v79, v79, v80, s[0:1]
; %bb.122:                              ;   in Loop: Header=BB349_10 Depth=1
	s_or_b64 exec, exec, s[18:19]
	global_load_ushort v81, v[8:9], off offset:1792
	s_waitcnt vmcnt(0)
	v_and_b32_sdwa v80, s47, v81 dst_sel:DWORD dst_unused:UNUSED_PAD src0_sel:DWORD src1_sel:BYTE_0
	v_cvt_f32_fp8_sdwa v80, v80 src0_sel:BYTE_0
	s_nop 0
	v_mul_f32_e32 v82, s45, v80
	v_and_b32_e32 v80, 0x7f800000, v82
	v_cmp_ne_u32_e64 s[0:1], s48, v80
                                        ; implicit-def: $vgpr80
	s_and_saveexec_b64 s[18:19], s[0:1]
	s_xor_b64 s[0:1], exec, s[18:19]
; %bb.123:                              ;   in Loop: Header=BB349_10 Depth=1
	v_bfe_u32 v80, v82, 16, 1
	v_add3_u32 v80, v82, v80, s49
                                        ; implicit-def: $vgpr82
; %bb.124:                              ;   in Loop: Header=BB349_10 Depth=1
	s_andn2_saveexec_b64 s[18:19], s[0:1]
; %bb.125:                              ;   in Loop: Header=BB349_10 Depth=1
	v_or_b32_e32 v80, 0x10000, v82
	v_cmp_eq_u32_sdwa s[0:1], v82, v3 src0_sel:WORD_0 src1_sel:DWORD
	s_nop 1
	v_cndmask_b32_e64 v80, v80, v82, s[0:1]
; %bb.126:                              ;   in Loop: Header=BB349_10 Depth=1
	s_or_b64 exec, exec, s[18:19]
	v_lshrrev_b16_e32 v81, 8, v81
	v_cvt_f32_fp8_sdwa v81, v81 src0_sel:BYTE_0
	s_nop 0
	v_mul_f32_e32 v82, s45, v81
	v_and_b32_e32 v81, 0x7f800000, v82
	v_cmp_ne_u32_e64 s[0:1], s48, v81
                                        ; implicit-def: $vgpr81
	s_and_saveexec_b64 s[18:19], s[0:1]
	s_xor_b64 s[0:1], exec, s[18:19]
; %bb.127:                              ;   in Loop: Header=BB349_10 Depth=1
	v_bfe_u32 v81, v82, 16, 1
	v_add3_u32 v81, v82, v81, s49
                                        ; implicit-def: $vgpr82
; %bb.128:                              ;   in Loop: Header=BB349_10 Depth=1
	s_andn2_saveexec_b64 s[18:19], s[0:1]
; %bb.129:                              ;   in Loop: Header=BB349_10 Depth=1
	v_or_b32_e32 v81, 0x10000, v82
	v_cmp_eq_u32_sdwa s[0:1], v82, v3 src0_sel:WORD_0 src1_sel:DWORD
	s_nop 1
	v_cndmask_b32_e64 v81, v81, v82, s[0:1]
; %bb.130:                              ;   in Loop: Header=BB349_10 Depth=1
	s_or_b64 exec, exec, s[18:19]
	global_load_ushort v9, v[8:9], off offset:1800
	s_waitcnt vmcnt(0)
	v_and_b32_sdwa v8, s47, v9 dst_sel:DWORD dst_unused:UNUSED_PAD src0_sel:DWORD src1_sel:BYTE_0
	v_cvt_f32_fp8_sdwa v8, v8 src0_sel:BYTE_0
	s_nop 0
	v_mul_f32_e32 v82, s45, v8
	v_and_b32_e32 v8, 0x7f800000, v82
	v_cmp_ne_u32_e64 s[0:1], s48, v8
                                        ; implicit-def: $vgpr8
	s_and_saveexec_b64 s[18:19], s[0:1]
	s_xor_b64 s[0:1], exec, s[18:19]
; %bb.131:                              ;   in Loop: Header=BB349_10 Depth=1
	v_bfe_u32 v8, v82, 16, 1
	v_add3_u32 v8, v82, v8, s49
                                        ; implicit-def: $vgpr82
; %bb.132:                              ;   in Loop: Header=BB349_10 Depth=1
	s_andn2_saveexec_b64 s[18:19], s[0:1]
; %bb.133:                              ;   in Loop: Header=BB349_10 Depth=1
	v_or_b32_e32 v8, 0x10000, v82
	v_cmp_eq_u32_sdwa s[0:1], v82, v3 src0_sel:WORD_0 src1_sel:DWORD
	s_nop 1
	v_cndmask_b32_e64 v8, v8, v82, s[0:1]
; %bb.134:                              ;   in Loop: Header=BB349_10 Depth=1
	s_or_b64 exec, exec, s[18:19]
	v_lshrrev_b16_e32 v9, 8, v9
	v_cvt_f32_fp8_sdwa v9, v9 src0_sel:BYTE_0
	s_nop 0
	v_mul_f32_e32 v82, s45, v9
	v_and_b32_e32 v9, 0x7f800000, v82
	v_cmp_ne_u32_e64 s[0:1], s48, v9
                                        ; implicit-def: $vgpr9
	s_and_saveexec_b64 s[18:19], s[0:1]
	s_xor_b64 s[0:1], exec, s[18:19]
; %bb.135:                              ;   in Loop: Header=BB349_10 Depth=1
	v_bfe_u32 v9, v82, 16, 1
	v_add3_u32 v9, v82, v9, s49
                                        ; implicit-def: $vgpr82
; %bb.136:                              ;   in Loop: Header=BB349_10 Depth=1
	s_andn2_saveexec_b64 s[18:19], s[0:1]
; %bb.137:                              ;   in Loop: Header=BB349_10 Depth=1
	v_or_b32_e32 v9, 0x10000, v82
	v_cmp_eq_u32_sdwa s[0:1], v82, v3 src0_sel:WORD_0 src1_sel:DWORD
	s_nop 1
	v_cndmask_b32_e64 v9, v9, v82, s[0:1]
; %bb.138:                              ;   in Loop: Header=BB349_10 Depth=1
	s_or_b64 exec, exec, s[18:19]
	v_and_b32_e32 v54, 0xffff0000, v54
	v_and_b32_e32 v55, 0xffff0000, v55
	;; [unrolled: 1-line block ×3, first 2 shown]
	v_mul_f32_e32 v54, v15, v54
	v_and_b32_e32 v53, 0xffff0000, v53
	v_fmac_f32_e32 v54, v1, v52
	v_mul_f32_e32 v52, v16, v55
	v_and_b32_e32 v57, 0xffff0000, v57
	v_and_b32_e32 v56, 0xffff0000, v56
	v_fmac_f32_e32 v52, v14, v53
	v_and_b32_e32 v59, 0xffff0000, v59
	v_and_b32_e32 v58, 0xffff0000, v58
	v_fmac_f32_e32 v54, v17, v56
	v_fmac_f32_e32 v52, v18, v57
	v_and_b32_e32 v61, 0xffff0000, v61
	v_and_b32_e32 v60, 0xffff0000, v60
	v_fmac_f32_e32 v54, v19, v58
	;; [unrolled: 4-line block ×13, first 2 shown]
	v_fmac_f32_e32 v52, v43, v81
	v_fmac_f32_e32 v54, v44, v8
	;; [unrolled: 1-line block ×3, first 2 shown]
	v_add_f32_e32 v8, v54, v52
	ds_bpermute_b32 v9, v47, v8
	s_waitcnt lgkmcnt(0)
	v_add_f32_e32 v8, v8, v9
	ds_bpermute_b32 v9, v48, v8
	s_and_saveexec_b64 s[18:19], vcc
	s_cbranch_execz .LBB349_9
; %bb.139:                              ;   in Loop: Header=BB349_10 Depth=1
	v_add_u32_e32 v52, s46, v49
	v_cvt_f32_i32_e32 v52, v52
	s_waitcnt lgkmcnt(0)
	v_add_f32_e32 v8, v8, v9
	v_cmp_gt_i32_e64 s[0:1], s33, v49
	v_max_f32_e32 v9, v46, v46
	v_mul_f32_e32 v52, s5, v52
	v_cndmask_b32_e64 v52, 0, v52, s[8:9]
	v_fmac_f32_e32 v52, s39, v8
	v_cndmask_b32_e64 v8, 0, v52, s[0:1]
	ds_write_b32 v50, v8
	v_max_f32_e32 v8, v9, v52
	v_cndmask_b32_e64 v46, v46, v8, s[0:1]
	s_branch .LBB349_9
.LBB349_140:
	s_or_b64 exec, exec, s[12:13]
.LBB349_141:
	s_or_b64 exec, exec, s[40:41]
	v_xor_b32_e32 v1, 32, v12
	v_cmp_lt_i32_e32 vcc, v1, v13
	v_xor_b32_e32 v4, 16, v12
	v_max_f32_e32 v3, v46, v46
	v_cndmask_b32_e32 v1, v12, v1, vcc
	v_lshlrev_b32_e32 v2, 2, v1
	ds_bpermute_b32 v1, v2, v46
	v_cmp_lt_i32_e32 vcc, v4, v13
	v_xor_b32_e32 v5, 8, v12
	s_waitcnt lgkmcnt(0)
	v_max_f32_e32 v1, v1, v1
	v_max_f32_e32 v1, v3, v1
	v_cndmask_b32_e32 v3, v12, v4, vcc
	v_lshlrev_b32_e32 v3, 2, v3
	ds_bpermute_b32 v4, v3, v1
	v_cmp_lt_i32_e32 vcc, v5, v13
	s_waitcnt lgkmcnt(0)
	v_max_f32_e32 v4, v4, v4
	v_max_f32_e32 v1, v1, v4
	v_cndmask_b32_e32 v4, v12, v5, vcc
	v_lshlrev_b32_e32 v7, 2, v4
	ds_bpermute_b32 v4, v7, v1
	v_xor_b32_e32 v5, 4, v12
	v_cmp_lt_i32_e32 vcc, v5, v13
	s_waitcnt lgkmcnt(0)
	v_max_f32_e32 v4, v4, v4
	v_max_f32_e32 v4, v1, v4
	v_cndmask_b32_e32 v1, v12, v5, vcc
	v_lshlrev_b32_e32 v8, 2, v1
	ds_bpermute_b32 v6, v8, v4
	v_and_b32_e32 v1, 63, v0
	v_cmp_eq_u32_e32 vcc, 0, v1
	v_lshlrev_b32_e32 v5, 2, v20
	s_and_saveexec_b64 s[0:1], vcc
	s_cbranch_execz .LBB349_143
; %bb.142:
	s_waitcnt lgkmcnt(0)
	v_max_f32_e32 v6, v6, v6
	v_max_f32_e32 v4, v4, v4
	;; [unrolled: 1-line block ×3, first 2 shown]
	ds_write_b32 v5, v4 offset:256
.LBB349_143:
	s_or_b64 exec, exec, s[0:1]
	v_cmp_gt_u32_e64 s[0:1], 2, v1
	v_mov_b32_e32 v4, 0xff7fffff
	s_waitcnt lgkmcnt(0)
	v_lshlrev_b32_e32 v6, 2, v1
	s_barrier
	s_and_saveexec_b64 s[8:9], s[0:1]
	s_cbranch_execz .LBB349_145
; %bb.144:
	ds_read_b32 v4, v6 offset:256
.LBB349_145:
	s_or_b64 exec, exec, s[8:9]
	v_xor_b32_e32 v9, 1, v12
	v_cmp_lt_i32_e64 s[8:9], v9, v13
	s_sub_i32 s3, s27, s3
	s_lshl_b32 s3, s3, 4
	v_cndmask_b32_e64 v9, v12, v9, s[8:9]
	v_lshlrev_b32_e32 v22, 2, v9
	s_waitcnt lgkmcnt(0)
	ds_bpermute_b32 v9, v22, v4
	v_max_f32_e32 v4, v4, v4
	s_add_i32 s3, s3, s42
	s_min_i32 s5, s3, s33
	s_sub_i32 s3, s5, s42
	s_waitcnt lgkmcnt(0)
	v_max_f32_e32 v9, v9, v9
	v_max_f32_e32 v4, v4, v9
	v_lshlrev_b32_e32 v9, 2, v12
	v_and_b32_e32 v9, 0xffffff00, v9
	ds_bpermute_b32 v4, v9, v4
	v_cmp_gt_i32_e64 s[8:9], s3, v0
	v_mov_b32_e32 v14, 0
	s_and_saveexec_b64 s[18:19], s[8:9]
	s_cbranch_execz .LBB349_149
; %bb.146:
	v_mov_b32_e32 v14, 0x110
	v_lshl_add_u32 v15, v0, 2, v14
	s_mov_b64 s[38:39], 0
	v_mov_b32_e32 v14, 0
	v_mov_b32_e32 v16, v0
.LBB349_147:                            ; =>This Inner Loop Header: Depth=1
	ds_read_b32 v17, v15
	v_add_u32_e32 v16, 0x80, v16
	v_cmp_le_i32_e64 s[12:13], s3, v16
	s_or_b64 s[38:39], s[12:13], s[38:39]
	s_waitcnt lgkmcnt(0)
	v_sub_f32_e32 v17, v17, v4
	v_mul_f32_e32 v17, 0x3fb8aa3b, v17
	v_exp_f32_e32 v17, v17
	ds_write_b32 v15, v17
	v_add_f32_e32 v14, v14, v17
	v_add_u32_e32 v15, 0x200, v15
	s_andn2_b64 exec, exec, s[38:39]
	s_cbranch_execnz .LBB349_147
; %bb.148:
	s_or_b64 exec, exec, s[38:39]
.LBB349_149:
	s_or_b64 exec, exec, s[18:19]
	ds_bpermute_b32 v2, v2, v14
	s_waitcnt lgkmcnt(0)
	v_add_f32_e32 v2, v14, v2
	ds_bpermute_b32 v3, v3, v2
	s_waitcnt lgkmcnt(0)
	v_add_f32_e32 v2, v2, v3
	ds_bpermute_b32 v3, v7, v2
	v_xor_b32_e32 v7, 2, v12
	v_cmp_lt_i32_e64 s[12:13], v7, v13
	s_waitcnt lgkmcnt(0)
	v_add_f32_e32 v2, v2, v3
	ds_bpermute_b32 v3, v8, v2
	v_cndmask_b32_e64 v7, v12, v7, s[12:13]
	s_waitcnt lgkmcnt(0)
	v_add_f32_e32 v2, v2, v3
	v_lshlrev_b32_e32 v3, 2, v7
	ds_bpermute_b32 v3, v3, v2
	s_waitcnt lgkmcnt(0)
	v_add_f32_e32 v2, v2, v3
	ds_bpermute_b32 v3, v22, v2
	s_waitcnt lgkmcnt(0)
	v_add_f32_e32 v2, v2, v3
	s_and_saveexec_b64 s[12:13], vcc
	s_cbranch_execz .LBB349_151
; %bb.150:
	ds_write_b32 v5, v2 offset:264
.LBB349_151:
	s_or_b64 exec, exec, s[12:13]
	s_waitcnt lgkmcnt(0)
	s_barrier
	s_and_saveexec_b64 s[12:13], s[0:1]
	s_cbranch_execz .LBB349_153
; %bb.152:
	ds_read_b32 v2, v6 offset:264
.LBB349_153:
	s_or_b64 exec, exec, s[12:13]
	s_waitcnt lgkmcnt(0)
	ds_bpermute_b32 v3, v22, v2
	s_waitcnt lgkmcnt(0)
	v_add_f32_e32 v2, v2, v3
	ds_bpermute_b32 v5, v9, v2
	s_and_saveexec_b64 s[0:1], s[8:9]
	s_cbranch_execz .LBB349_166
; %bb.154:
	s_waitcnt lgkmcnt(0)
	v_add_f32_e32 v2, 0x358637bd, v5
	v_div_scale_f32 v3, s[8:9], v2, v2, 1.0
	v_rcp_f32_e32 v6, v3
	v_div_scale_f32 v7, vcc, 1.0, v2, 1.0
	s_mov_b64 s[12:13], -1
	v_fma_f32 v8, -v3, v6, 1.0
	v_fmac_f32_e32 v6, v8, v6
	v_mul_f32_e32 v8, v7, v6
	v_fma_f32 v9, -v3, v8, v7
	v_fmac_f32_e32 v8, v9, v6
	v_fma_f32 v3, -v3, v8, v7
	v_div_fmas_f32 v3, v3, v6, v8
	v_div_fixup_f32 v2, v3, v2, 1.0
	v_xad_u32 v3, v0, -1, s5
	v_subrev_u32_e32 v6, s42, v3
	s_movk_i32 s5, 0x7f
	v_cmp_lt_u32_e32 vcc, s5, v6
	v_mov_b32_e32 v3, v0
	s_and_saveexec_b64 s[8:9], vcc
	s_cbranch_execz .LBB349_163
; %bb.155:
	v_lshrrev_b32_e32 v6, 7, v6
	v_add_u32_e32 v8, -1, v6
	v_lshrrev_b32_e32 v7, 1, v8
	v_mov_b32_e32 v3, v2
	v_add_u32_e32 v7, 1, v7
	v_cmp_lt_u32_e32 vcc, 13, v8
	v_mov_b32_e32 v12, 0
	s_and_saveexec_b64 s[12:13], vcc
	s_cbranch_execz .LBB349_159
; %bb.156:
	v_mov_b32_e32 v9, 0x110
	v_and_b32_e32 v8, -8, v7
	v_lshl_add_u32 v9, v0, 2, v9
	s_mov_b32 s5, 0
	s_mov_b64 s[18:19], 0
.LBB349_157:                            ; =>This Inner Loop Header: Depth=1
	ds_read2st64_b32 v[12:13], v9 offset1:2
	ds_read2st64_b32 v[14:15], v9 offset0:4 offset1:6
	ds_read2st64_b32 v[16:17], v9 offset0:8 offset1:10
	;; [unrolled: 1-line block ×3, first 2 shown]
	v_add_u32_e32 v8, -8, v8
	s_waitcnt lgkmcnt(3)
	v_pk_mul_f32 v[12:13], v[2:3], v[12:13]
	s_waitcnt lgkmcnt(2)
	v_pk_mul_f32 v[14:15], v[2:3], v[14:15]
	ds_write2st64_b32 v9, v12, v13 offset1:2
	ds_write2st64_b32 v9, v14, v15 offset0:4 offset1:6
	ds_read2st64_b32 v[14:15], v9 offset0:16 offset1:18
	s_waitcnt lgkmcnt(4)
	v_pk_mul_f32 v[12:13], v[2:3], v[16:17]
	ds_write2st64_b32 v9, v12, v13 offset0:8 offset1:10
	s_waitcnt lgkmcnt(4)
	v_pk_mul_f32 v[12:13], v[2:3], v[18:19]
	ds_write2st64_b32 v9, v12, v13 offset0:12 offset1:14
	ds_read2st64_b32 v[12:13], v9 offset0:20 offset1:22
	s_waitcnt lgkmcnt(3)
	v_pk_mul_f32 v[14:15], v[2:3], v[14:15]
	ds_read2st64_b32 v[16:17], v9 offset0:24 offset1:26
	ds_write2st64_b32 v9, v14, v15 offset0:16 offset1:18
	ds_read2st64_b32 v[14:15], v9 offset0:28 offset1:30
	s_waitcnt lgkmcnt(3)
	v_pk_mul_f32 v[12:13], v[2:3], v[12:13]
	ds_write2st64_b32 v9, v12, v13 offset0:20 offset1:22
	s_waitcnt lgkmcnt(3)
	v_pk_mul_f32 v[12:13], v[2:3], v[16:17]
	ds_write2st64_b32 v9, v12, v13 offset0:24 offset1:26
	s_waitcnt lgkmcnt(2)
	v_pk_mul_f32 v[12:13], v[2:3], v[14:15]
	s_add_i32 s5, s5, 16
	v_cmp_eq_u32_e32 vcc, 0, v8
	ds_write2st64_b32 v9, v12, v13 offset0:28 offset1:30
	v_add_u32_e32 v9, 0x2000, v9
	s_or_b64 s[18:19], vcc, s[18:19]
	v_mov_b32_e32 v12, s5
	s_andn2_b64 exec, exec, s[18:19]
	s_cbranch_execnz .LBB349_157
; %bb.158:
	s_or_b64 exec, exec, s[18:19]
.LBB349_159:
	s_or_b64 exec, exec, s[12:13]
	v_and_b32_e32 v7, 7, v7
	v_cmp_ne_u32_e32 vcc, 0, v7
	s_and_saveexec_b64 s[12:13], vcc
	s_cbranch_execz .LBB349_162
; %bb.160:
	v_lshlrev_b32_e32 v8, 9, v12
	v_lshlrev_b32_e32 v9, 2, v0
	s_movk_i32 s5, 0x110
	v_add3_u32 v8, v8, v9, s5
	s_mov_b64 s[18:19], 0
.LBB349_161:                            ; =>This Inner Loop Header: Depth=1
	ds_read2st64_b32 v[12:13], v8 offset1:2
	v_add_u32_e32 v7, -1, v7
	v_cmp_eq_u32_e32 vcc, 0, v7
	s_or_b64 s[18:19], vcc, s[18:19]
	s_waitcnt lgkmcnt(0)
	v_pk_mul_f32 v[12:13], v[2:3], v[12:13]
	ds_write2st64_b32 v8, v12, v13 offset1:2
	v_add_u32_e32 v8, 0x400, v8
	s_andn2_b64 exec, exec, s[18:19]
	s_cbranch_execnz .LBB349_161
.LBB349_162:
	s_or_b64 exec, exec, s[12:13]
	v_add_u32_e32 v6, 1, v6
	v_and_b32_e32 v7, 0x3fffffe, v6
	v_cmp_ne_u32_e32 vcc, v6, v7
	v_lshl_add_u32 v3, v7, 7, v0
	s_orn2_b64 s[12:13], vcc, exec
.LBB349_163:
	s_or_b64 exec, exec, s[8:9]
	s_and_b64 exec, exec, s[12:13]
	s_cbranch_execz .LBB349_166
; %bb.164:
	v_mov_b32_e32 v6, 0x110
	v_lshl_add_u32 v6, v3, 2, v6
	s_mov_b64 s[8:9], 0
.LBB349_165:                            ; =>This Inner Loop Header: Depth=1
	ds_read_b32 v7, v6
	v_add_u32_e32 v3, 0x80, v3
	v_cmp_le_i32_e32 vcc, s3, v3
	s_or_b64 s[8:9], vcc, s[8:9]
	s_waitcnt lgkmcnt(0)
	v_mul_f32_e32 v7, v2, v7
	ds_write_b32 v6, v7
	v_add_u32_e32 v6, 0x200, v6
	s_andn2_b64 exec, exec, s[8:9]
	s_cbranch_execnz .LBB349_165
.LBB349_166:
	s_or_b64 exec, exec, s[0:1]
	v_cmp_eq_u32_e32 vcc, 0, v0
	s_waitcnt lgkmcnt(0)
	s_barrier
	s_and_saveexec_b64 s[0:1], vcc
	s_cbranch_execz .LBB349_168
; %bb.167:
	s_mul_i32 s3, s16, s24
	s_mul_i32 s8, s3, s25
	s_ashr_i32 s9, s8, 31
	s_lshl_b64 s[8:9], s[8:9], 2
	s_add_u32 s5, s22, s8
	s_mul_i32 s2, s16, s2
	s_addc_u32 s12, s23, s9
	s_ashr_i32 s3, s2, 31
	s_lshl_b64 s[2:3], s[2:3], 2
	s_add_u32 s18, s5, s2
	s_addc_u32 s19, s12, s3
	s_ashr_i32 s5, s4, 31
	s_lshl_b64 s[12:13], s[4:5], 2
	s_add_u32 s18, s18, s12
	s_addc_u32 s19, s19, s13
	s_add_u32 s5, s20, s8
	s_addc_u32 s8, s21, s9
	;; [unrolled: 2-line block ×3, first 2 shown]
	s_add_u32 s2, s2, s12
	v_mov_b32_e32 v2, 0
	s_addc_u32 s3, s3, s13
	global_store_dword v2, v4, s[18:19]
	global_store_dword v2, v5, s[2:3]
.LBB349_168:
	s_or_b64 exec, exec, s[0:1]
	v_mov_b32_e32 v13, 0
	v_and_b32_e32 v23, 1, v0
	v_mov_b32_e32 v12, 0
	v_mov_b32_e32 v15, 0
	;; [unrolled: 1-line block ×3, first 2 shown]
	s_and_saveexec_b64 s[2:3], s[6:7]
	s_cbranch_execz .LBB349_468
; %bb.169:
	s_ashr_i32 s1, s44, 31
	v_lshlrev_b32_e32 v2, 3, v0
	s_add_u32 s0, s36, s44
	s_addc_u32 s1, s37, s1
	s_load_dword s12, s[14:15], 0x0
	v_and_b32_e32 v16, 0x1f8, v2
	v_mov_b32_e32 v17, 0
	v_and_b32_e32 v3, 8, v2
	s_add_i32 s13, s43, -1
	v_lshl_add_u64 v[18:19], s[0:1], 0, v[16:17]
	v_lshl_add_u32 v2, v20, 4, s42
	s_lshl_b64 s[0:1], s[34:35], 2
	v_add3_u32 v16, v2, v3, 7
	v_lshlrev_b32_e32 v2, 5, v23
	s_add_u32 s0, s30, s0
	v_lshl_or_b32 v2, v20, 6, v2
	s_addc_u32 s1, s31, s1
	s_mov_b32 s5, s17
	v_add_u32_e32 v24, 0x110, v2
	v_lshl_add_u64 v[20:21], v[10:11], 2, s[0:1]
	s_mov_b64 s[6:7], 0
	s_mov_b32 s14, 0x7f800000
	s_movk_i32 s15, 0x7fff
	v_mov_b32_e32 v14, 0
	v_mov_b32_e32 v15, 0
	;; [unrolled: 1-line block ×4, first 2 shown]
	s_branch .LBB349_171
.LBB349_170:                            ;   in Loop: Header=BB349_171 Depth=1
	s_or_b64 exec, exec, s[0:1]
	v_and_b32_e32 v39, 0xffff0000, v9
	v_and_b32_e32 v38, 0xffff0000, v7
	;; [unrolled: 1-line block ×8, first 2 shown]
	v_pk_add_f32 v[6:7], v[6:7], v[38:39]
	v_pk_add_f32 v[8:9], v[36:37], v[34:35]
	v_add_f32_e32 v6, v6, v7
	v_add_f32_e32 v6, v6, v8
	v_add_f32_e32 v6, v6, v9
	v_and_b32_e32 v35, 0xffff0000, v46
	v_and_b32_e32 v34, 0xffff0000, v44
	v_and_b32_e32 v37, 0xffff0000, v45
	v_and_b32_e32 v36, 0xffff0000, v43
	v_add_f32_e32 v14, v14, v6
	v_and_b32_e32 v7, 0xffff0000, v50
	v_and_b32_e32 v6, 0xffff0000, v48
	v_and_b32_e32 v9, 0xffff0000, v49
	v_and_b32_e32 v8, 0xffff0000, v47
	v_pk_add_f32 v[34:35], v[36:37], v[34:35]
	v_pk_add_f32 v[6:7], v[8:9], v[6:7]
	v_add_f32_e32 v8, v34, v35
	v_add_f32_e32 v6, v8, v6
	v_add_f32_e32 v6, v6, v7
	v_and_b32_e32 v35, 0xffff0000, v52
	v_and_b32_e32 v34, 0xffff0000, v5
	v_and_b32_e32 v5, 0xffff0000, v51
	v_and_b32_e32 v4, 0xffff0000, v4
	v_add_f32_e32 v15, v15, v6
	v_and_b32_e32 v7, 0xffff0000, v56
	v_and_b32_e32 v6, 0xffff0000, v54
	v_and_b32_e32 v9, 0xffff0000, v55
	v_and_b32_e32 v8, 0xffff0000, v53
	v_pk_add_f32 v[4:5], v[4:5], v[34:35]
	v_pk_add_f32 v[6:7], v[8:9], v[6:7]
	v_add_f32_e32 v4, v4, v5
	v_add_f32_e32 v4, v4, v6
	v_add_f32_e32 v4, v4, v7
	v_and_b32_e32 v9, 0xffff0000, v28
	v_and_b32_e32 v8, 0xffff0000, v3
	v_and_b32_e32 v3, 0xffff0000, v27
	v_and_b32_e32 v2, 0xffff0000, v2
	v_add_f32_e32 v12, v12, v4
	v_and_b32_e32 v5, 0xffff0000, v32
	v_and_b32_e32 v4, 0xffff0000, v30
	v_and_b32_e32 v7, 0xffff0000, v31
	v_and_b32_e32 v6, 0xffff0000, v29
	v_pk_add_f32 v[2:3], v[2:3], v[8:9]
	v_pk_add_f32 v[4:5], v[6:7], v[4:5]
	v_add_f32_e32 v2, v2, v3
	v_add_f32_e32 v2, v2, v4
	v_add_u32_e32 v10, 2, v10
	v_add_f32_e32 v2, v2, v5
	v_cmp_le_i32_e32 vcc, s27, v10
	v_add_f32_e32 v13, v13, v2
	v_add_u32_e32 v16, 32, v16
	v_add_u32_e32 v24, 0x80, v24
	s_or_b64 s[6:7], vcc, s[6:7]
	v_lshl_add_u64 v[20:21], v[20:21], 0, 8
	s_andn2_b64 exec, exec, s[6:7]
	s_cbranch_execz .LBB349_467
.LBB349_171:                            ; =>This Inner Loop Header: Depth=1
	global_load_dword v27, v[20:21], off
	ds_read2_b64 v[6:9], v24 offset1:1
	ds_read2_b64 v[2:5], v24 offset0:2 offset1:3
                                        ; implicit-def: $vgpr35
	s_waitcnt lgkmcnt(0)
	v_and_b32_e32 v11, 0x7f800000, v6
	v_cmp_ne_u32_e32 vcc, s14, v11
	s_and_saveexec_b64 s[0:1], vcc
	s_xor_b64 s[0:1], exec, s[0:1]
; %bb.172:                              ;   in Loop: Header=BB349_171 Depth=1
	v_bfe_u32 v11, v6, 16, 1
	v_add3_u32 v35, v6, v11, s15
; %bb.173:                              ;   in Loop: Header=BB349_171 Depth=1
	s_andn2_saveexec_b64 s[0:1], s[0:1]
; %bb.174:                              ;   in Loop: Header=BB349_171 Depth=1
	v_or_b32_e32 v11, 0x10000, v6
	v_cmp_eq_u32_sdwa vcc, v6, v17 src0_sel:WORD_0 src1_sel:DWORD
	s_nop 1
	v_cndmask_b32_e32 v35, v11, v6, vcc
; %bb.175:                              ;   in Loop: Header=BB349_171 Depth=1
	s_or_b64 exec, exec, s[0:1]
	v_and_b32_e32 v6, 0x7f800000, v7
	v_cmp_ne_u32_e32 vcc, s14, v6
                                        ; implicit-def: $vgpr36
	s_and_saveexec_b64 s[0:1], vcc
	s_xor_b64 s[0:1], exec, s[0:1]
; %bb.176:                              ;   in Loop: Header=BB349_171 Depth=1
	v_bfe_u32 v6, v7, 16, 1
	v_add3_u32 v36, v7, v6, s15
; %bb.177:                              ;   in Loop: Header=BB349_171 Depth=1
	s_andn2_saveexec_b64 s[0:1], s[0:1]
; %bb.178:                              ;   in Loop: Header=BB349_171 Depth=1
	v_or_b32_e32 v6, 0x10000, v7
	v_cmp_eq_u32_sdwa vcc, v7, v17 src0_sel:WORD_0 src1_sel:DWORD
	s_nop 1
	v_cndmask_b32_e32 v36, v6, v7, vcc
; %bb.179:                              ;   in Loop: Header=BB349_171 Depth=1
	s_or_b64 exec, exec, s[0:1]
	v_and_b32_e32 v6, 0x7f800000, v8
	v_cmp_ne_u32_e32 vcc, s14, v6
                                        ; implicit-def: $vgpr37
	s_and_saveexec_b64 s[0:1], vcc
	s_xor_b64 s[0:1], exec, s[0:1]
; %bb.180:                              ;   in Loop: Header=BB349_171 Depth=1
	v_bfe_u32 v6, v8, 16, 1
	v_add3_u32 v37, v8, v6, s15
; %bb.181:                              ;   in Loop: Header=BB349_171 Depth=1
	s_andn2_saveexec_b64 s[0:1], s[0:1]
; %bb.182:                              ;   in Loop: Header=BB349_171 Depth=1
	v_or_b32_e32 v6, 0x10000, v8
	v_cmp_eq_u32_sdwa vcc, v8, v17 src0_sel:WORD_0 src1_sel:DWORD
	s_nop 1
	v_cndmask_b32_e32 v37, v6, v8, vcc
; %bb.183:                              ;   in Loop: Header=BB349_171 Depth=1
	s_or_b64 exec, exec, s[0:1]
	v_and_b32_e32 v6, 0x7f800000, v9
	v_cmp_ne_u32_e32 vcc, s14, v6
                                        ; implicit-def: $vgpr38
	s_and_saveexec_b64 s[0:1], vcc
	s_xor_b64 s[0:1], exec, s[0:1]
; %bb.184:                              ;   in Loop: Header=BB349_171 Depth=1
	v_bfe_u32 v6, v9, 16, 1
	v_add3_u32 v38, v9, v6, s15
                                        ; implicit-def: $vgpr6_vgpr7_vgpr8_vgpr9
; %bb.185:                              ;   in Loop: Header=BB349_171 Depth=1
	s_andn2_saveexec_b64 s[0:1], s[0:1]
; %bb.186:                              ;   in Loop: Header=BB349_171 Depth=1
	v_or_b32_e32 v6, 0x10000, v9
	v_cmp_eq_u32_sdwa vcc, v9, v17 src0_sel:WORD_0 src1_sel:DWORD
	s_nop 1
	v_cndmask_b32_e32 v38, v6, v9, vcc
; %bb.187:                              ;   in Loop: Header=BB349_171 Depth=1
	s_or_b64 exec, exec, s[0:1]
	v_and_b32_e32 v6, 0x7f800000, v2
	v_cmp_ne_u32_e32 vcc, s14, v6
                                        ; implicit-def: $vgpr11
	s_and_saveexec_b64 s[0:1], vcc
	s_xor_b64 s[0:1], exec, s[0:1]
; %bb.188:                              ;   in Loop: Header=BB349_171 Depth=1
	v_bfe_u32 v6, v2, 16, 1
	v_add3_u32 v11, v2, v6, s15
; %bb.189:                              ;   in Loop: Header=BB349_171 Depth=1
	s_andn2_saveexec_b64 s[0:1], s[0:1]
; %bb.190:                              ;   in Loop: Header=BB349_171 Depth=1
	v_or_b32_e32 v6, 0x10000, v2
	v_cmp_eq_u32_sdwa vcc, v2, v17 src0_sel:WORD_0 src1_sel:DWORD
	s_nop 1
	v_cndmask_b32_e32 v11, v6, v2, vcc
; %bb.191:                              ;   in Loop: Header=BB349_171 Depth=1
	s_or_b64 exec, exec, s[0:1]
	v_and_b32_e32 v2, 0x7f800000, v3
	v_cmp_ne_u32_e32 vcc, s14, v2
                                        ; implicit-def: $vgpr25
	s_and_saveexec_b64 s[0:1], vcc
	s_xor_b64 s[0:1], exec, s[0:1]
; %bb.192:                              ;   in Loop: Header=BB349_171 Depth=1
	v_bfe_u32 v2, v3, 16, 1
	v_add3_u32 v25, v3, v2, s15
; %bb.193:                              ;   in Loop: Header=BB349_171 Depth=1
	s_andn2_saveexec_b64 s[0:1], s[0:1]
; %bb.194:                              ;   in Loop: Header=BB349_171 Depth=1
	v_or_b32_e32 v2, 0x10000, v3
	v_cmp_eq_u32_sdwa vcc, v3, v17 src0_sel:WORD_0 src1_sel:DWORD
	s_nop 1
	v_cndmask_b32_e32 v25, v2, v3, vcc
; %bb.195:                              ;   in Loop: Header=BB349_171 Depth=1
	s_or_b64 exec, exec, s[0:1]
	v_and_b32_e32 v2, 0x7f800000, v4
	v_cmp_ne_u32_e32 vcc, s14, v2
                                        ; implicit-def: $vgpr26
	s_and_saveexec_b64 s[0:1], vcc
	s_xor_b64 s[0:1], exec, s[0:1]
; %bb.196:                              ;   in Loop: Header=BB349_171 Depth=1
	v_bfe_u32 v2, v4, 16, 1
	v_add3_u32 v26, v4, v2, s15
; %bb.197:                              ;   in Loop: Header=BB349_171 Depth=1
	s_andn2_saveexec_b64 s[0:1], s[0:1]
; %bb.198:                              ;   in Loop: Header=BB349_171 Depth=1
	v_or_b32_e32 v2, 0x10000, v4
	v_cmp_eq_u32_sdwa vcc, v4, v17 src0_sel:WORD_0 src1_sel:DWORD
	s_nop 1
	v_cndmask_b32_e32 v26, v2, v4, vcc
; %bb.199:                              ;   in Loop: Header=BB349_171 Depth=1
	s_or_b64 exec, exec, s[0:1]
	v_and_b32_e32 v2, 0x7f800000, v5
	v_cmp_ne_u32_e32 vcc, s14, v2
                                        ; implicit-def: $vgpr34
	s_and_saveexec_b64 s[0:1], vcc
	s_xor_b64 s[0:1], exec, s[0:1]
; %bb.200:                              ;   in Loop: Header=BB349_171 Depth=1
	v_bfe_u32 v2, v5, 16, 1
	v_add3_u32 v34, v5, v2, s15
                                        ; implicit-def: $vgpr2_vgpr3_vgpr4_vgpr5
; %bb.201:                              ;   in Loop: Header=BB349_171 Depth=1
	s_andn2_saveexec_b64 s[0:1], s[0:1]
; %bb.202:                              ;   in Loop: Header=BB349_171 Depth=1
	v_or_b32_e32 v2, 0x10000, v5
	v_cmp_eq_u32_sdwa vcc, v5, v17 src0_sel:WORD_0 src1_sel:DWORD
	s_nop 1
	v_cndmask_b32_e32 v34, v2, v5, vcc
; %bb.203:                              ;   in Loop: Header=BB349_171 Depth=1
	s_or_b64 exec, exec, s[0:1]
	s_waitcnt vmcnt(0)
	v_mad_i64_i32 v[2:3], s[0:1], v27, s5, v[18:19]
	global_load_dwordx2 v[4:5], v[2:3], off
	s_waitcnt vmcnt(0)
	v_and_b32_e32 v6, 0xff, v4
	v_cvt_f32_fp8_sdwa v6, v6 src0_sel:BYTE_0
	s_nop 0
	v_mul_f32_e32 v7, s12, v6
	v_and_b32_e32 v6, 0x7f800000, v7
	v_cmp_ne_u32_e32 vcc, s14, v6
                                        ; implicit-def: $vgpr6
	s_and_saveexec_b64 s[0:1], vcc
	s_xor_b64 s[0:1], exec, s[0:1]
; %bb.204:                              ;   in Loop: Header=BB349_171 Depth=1
	v_bfe_u32 v6, v7, 16, 1
	v_add3_u32 v6, v7, v6, s15
                                        ; implicit-def: $vgpr7
; %bb.205:                              ;   in Loop: Header=BB349_171 Depth=1
	s_andn2_saveexec_b64 s[0:1], s[0:1]
; %bb.206:                              ;   in Loop: Header=BB349_171 Depth=1
	v_or_b32_e32 v6, 0x10000, v7
	v_cmp_eq_u32_sdwa vcc, v7, v17 src0_sel:WORD_0 src1_sel:DWORD
	s_nop 1
	v_cndmask_b32_e32 v6, v6, v7, vcc
; %bb.207:                              ;   in Loop: Header=BB349_171 Depth=1
	s_or_b64 exec, exec, s[0:1]
	v_bfe_u32 v7, v4, 8, 8
	v_cvt_f32_fp8_sdwa v7, v7 src0_sel:BYTE_0
	s_nop 0
	v_mul_f32_e32 v8, s12, v7
	v_and_b32_e32 v7, 0x7f800000, v8
	v_cmp_ne_u32_e32 vcc, s14, v7
                                        ; implicit-def: $vgpr7
	s_and_saveexec_b64 s[0:1], vcc
	s_xor_b64 s[0:1], exec, s[0:1]
; %bb.208:                              ;   in Loop: Header=BB349_171 Depth=1
	v_bfe_u32 v7, v8, 16, 1
	v_add3_u32 v7, v8, v7, s15
                                        ; implicit-def: $vgpr8
; %bb.209:                              ;   in Loop: Header=BB349_171 Depth=1
	s_andn2_saveexec_b64 s[0:1], s[0:1]
; %bb.210:                              ;   in Loop: Header=BB349_171 Depth=1
	v_or_b32_e32 v7, 0x10000, v8
	v_cmp_eq_u32_sdwa vcc, v8, v17 src0_sel:WORD_0 src1_sel:DWORD
	s_nop 1
	v_cndmask_b32_e32 v7, v7, v8, vcc
; %bb.211:                              ;   in Loop: Header=BB349_171 Depth=1
	s_or_b64 exec, exec, s[0:1]
	v_bfe_u32 v8, v4, 16, 8
	v_cvt_f32_fp8_sdwa v8, v8 src0_sel:BYTE_0
	s_nop 0
	v_mul_f32_e32 v9, s12, v8
	v_and_b32_e32 v8, 0x7f800000, v9
	v_cmp_ne_u32_e32 vcc, s14, v8
                                        ; implicit-def: $vgpr8
	s_and_saveexec_b64 s[0:1], vcc
	s_xor_b64 s[0:1], exec, s[0:1]
; %bb.212:                              ;   in Loop: Header=BB349_171 Depth=1
	v_bfe_u32 v8, v9, 16, 1
	v_add3_u32 v8, v9, v8, s15
                                        ; implicit-def: $vgpr9
; %bb.213:                              ;   in Loop: Header=BB349_171 Depth=1
	s_andn2_saveexec_b64 s[0:1], s[0:1]
; %bb.214:                              ;   in Loop: Header=BB349_171 Depth=1
	v_or_b32_e32 v8, 0x10000, v9
	v_cmp_eq_u32_sdwa vcc, v9, v17 src0_sel:WORD_0 src1_sel:DWORD
	s_nop 1
	v_cndmask_b32_e32 v8, v8, v9, vcc
; %bb.215:                              ;   in Loop: Header=BB349_171 Depth=1
	s_or_b64 exec, exec, s[0:1]
	v_lshrrev_b32_e32 v4, 24, v4
	v_cvt_f32_fp8_sdwa v4, v4 src0_sel:BYTE_0
	s_nop 0
	v_mul_f32_e32 v9, s12, v4
	v_and_b32_e32 v4, 0x7f800000, v9
	v_cmp_ne_u32_e32 vcc, s14, v4
                                        ; implicit-def: $vgpr4
	s_and_saveexec_b64 s[0:1], vcc
	s_xor_b64 s[0:1], exec, s[0:1]
; %bb.216:                              ;   in Loop: Header=BB349_171 Depth=1
	v_bfe_u32 v4, v9, 16, 1
	v_add3_u32 v4, v9, v4, s15
                                        ; implicit-def: $vgpr9
; %bb.217:                              ;   in Loop: Header=BB349_171 Depth=1
	s_andn2_saveexec_b64 s[0:1], s[0:1]
; %bb.218:                              ;   in Loop: Header=BB349_171 Depth=1
	v_or_b32_e32 v4, 0x10000, v9
	v_cmp_eq_u32_sdwa vcc, v9, v17 src0_sel:WORD_0 src1_sel:DWORD
	s_nop 1
	v_cndmask_b32_e32 v4, v4, v9, vcc
; %bb.219:                              ;   in Loop: Header=BB349_171 Depth=1
	s_or_b64 exec, exec, s[0:1]
	v_and_b32_e32 v9, 0xff, v5
	v_cvt_f32_fp8_sdwa v9, v9 src0_sel:BYTE_0
	s_nop 0
	v_mul_f32_e32 v27, s12, v9
	v_and_b32_e32 v9, 0x7f800000, v27
	v_cmp_ne_u32_e32 vcc, s14, v9
                                        ; implicit-def: $vgpr9
	s_and_saveexec_b64 s[0:1], vcc
	s_xor_b64 s[0:1], exec, s[0:1]
; %bb.220:                              ;   in Loop: Header=BB349_171 Depth=1
	v_bfe_u32 v9, v27, 16, 1
	v_add3_u32 v9, v27, v9, s15
                                        ; implicit-def: $vgpr27
; %bb.221:                              ;   in Loop: Header=BB349_171 Depth=1
	s_andn2_saveexec_b64 s[0:1], s[0:1]
; %bb.222:                              ;   in Loop: Header=BB349_171 Depth=1
	v_or_b32_e32 v9, 0x10000, v27
	v_cmp_eq_u32_sdwa vcc, v27, v17 src0_sel:WORD_0 src1_sel:DWORD
	s_nop 1
	v_cndmask_b32_e32 v9, v9, v27, vcc
; %bb.223:                              ;   in Loop: Header=BB349_171 Depth=1
	s_or_b64 exec, exec, s[0:1]
	v_bfe_u32 v27, v5, 8, 8
	v_cvt_f32_fp8_sdwa v27, v27 src0_sel:BYTE_0
	s_nop 0
	v_mul_f32_e32 v27, s12, v27
	v_and_b32_e32 v28, 0x7f800000, v27
	v_cmp_ne_u32_e32 vcc, s14, v28
                                        ; implicit-def: $vgpr28
	s_and_saveexec_b64 s[0:1], vcc
	s_xor_b64 s[0:1], exec, s[0:1]
; %bb.224:                              ;   in Loop: Header=BB349_171 Depth=1
	v_bfe_u32 v28, v27, 16, 1
	v_add3_u32 v28, v27, v28, s15
                                        ; implicit-def: $vgpr27
; %bb.225:                              ;   in Loop: Header=BB349_171 Depth=1
	s_andn2_saveexec_b64 s[0:1], s[0:1]
; %bb.226:                              ;   in Loop: Header=BB349_171 Depth=1
	v_or_b32_e32 v28, 0x10000, v27
	v_cmp_eq_u32_sdwa vcc, v27, v17 src0_sel:WORD_0 src1_sel:DWORD
	s_nop 1
	v_cndmask_b32_e32 v28, v28, v27, vcc
; %bb.227:                              ;   in Loop: Header=BB349_171 Depth=1
	s_or_b64 exec, exec, s[0:1]
	v_bfe_u32 v27, v5, 16, 8
	v_cvt_f32_fp8_sdwa v27, v27 src0_sel:BYTE_0
	s_nop 0
	v_mul_f32_e32 v27, s12, v27
	v_and_b32_e32 v29, 0x7f800000, v27
	v_cmp_ne_u32_e32 vcc, s14, v29
                                        ; implicit-def: $vgpr29
	s_and_saveexec_b64 s[0:1], vcc
	s_xor_b64 s[0:1], exec, s[0:1]
; %bb.228:                              ;   in Loop: Header=BB349_171 Depth=1
	v_bfe_u32 v29, v27, 16, 1
	v_add3_u32 v29, v27, v29, s15
                                        ; implicit-def: $vgpr27
; %bb.229:                              ;   in Loop: Header=BB349_171 Depth=1
	s_andn2_saveexec_b64 s[0:1], s[0:1]
; %bb.230:                              ;   in Loop: Header=BB349_171 Depth=1
	v_or_b32_e32 v29, 0x10000, v27
	v_cmp_eq_u32_sdwa vcc, v27, v17 src0_sel:WORD_0 src1_sel:DWORD
	s_nop 1
	v_cndmask_b32_e32 v29, v29, v27, vcc
; %bb.231:                              ;   in Loop: Header=BB349_171 Depth=1
	s_or_b64 exec, exec, s[0:1]
	v_lshrrev_b32_e32 v5, 24, v5
	v_cvt_f32_fp8_sdwa v5, v5 src0_sel:BYTE_0
                                        ; implicit-def: $vgpr30
	s_nop 0
	v_mul_f32_e32 v5, s12, v5
	v_and_b32_e32 v27, 0x7f800000, v5
	v_cmp_ne_u32_e32 vcc, s14, v27
	s_and_saveexec_b64 s[0:1], vcc
	s_xor_b64 s[0:1], exec, s[0:1]
; %bb.232:                              ;   in Loop: Header=BB349_171 Depth=1
	v_bfe_u32 v27, v5, 16, 1
	v_add3_u32 v30, v5, v27, s15
                                        ; implicit-def: $vgpr5
; %bb.233:                              ;   in Loop: Header=BB349_171 Depth=1
	s_andn2_saveexec_b64 s[0:1], s[0:1]
; %bb.234:                              ;   in Loop: Header=BB349_171 Depth=1
	v_or_b32_e32 v27, 0x10000, v5
	v_cmp_eq_u32_sdwa vcc, v5, v17 src0_sel:WORD_0 src1_sel:DWORD
	s_nop 1
	v_cndmask_b32_e32 v30, v27, v5, vcc
; %bb.235:                              ;   in Loop: Header=BB349_171 Depth=1
	s_or_b64 exec, exec, s[0:1]
	v_cmp_eq_u32_e32 vcc, s13, v10
	v_add_u32_e32 v27, -7, v16
	v_lshrrev_b32_e32 v41, 16, v28
	v_lshrrev_b32_e32 v40, 16, v9
	;; [unrolled: 1-line block ×8, first 2 shown]
	v_add_u32_e32 v33, -6, v16
	v_add_u32_e32 v32, -5, v16
	;; [unrolled: 1-line block ×6, first 2 shown]
	s_and_saveexec_b64 s[8:9], vcc
	s_cbranch_execz .LBB349_237
; %bb.236:                              ;   in Loop: Header=BB349_171 Depth=1
	v_cmp_gt_i32_e64 s[0:1], s33, v27
	s_nop 1
	v_cndmask_b32_e64 v6, 0, v6, s[0:1]
	v_cmp_gt_i32_e64 s[0:1], s33, v33
	s_nop 1
	v_cndmask_b32_e64 v7, 0, v7, s[0:1]
	;; [unrolled: 3-line block ×8, first 2 shown]
.LBB349_237:                            ;   in Loop: Header=BB349_171 Depth=1
	s_or_b64 exec, exec, s[8:9]
	v_and_b32_e32 v35, 0xffff0000, v35
	v_lshlrev_b32_e32 v6, 16, v6
	v_mul_f32_e32 v39, v35, v6
	v_and_b32_e32 v6, 0x7f800000, v39
	v_cmp_ne_u32_e64 s[0:1], s14, v6
                                        ; implicit-def: $vgpr6
	s_and_saveexec_b64 s[8:9], s[0:1]
	s_xor_b64 s[0:1], exec, s[8:9]
; %bb.238:                              ;   in Loop: Header=BB349_171 Depth=1
	v_bfe_u32 v6, v39, 16, 1
	v_add3_u32 v6, v39, v6, s15
                                        ; implicit-def: $vgpr39
; %bb.239:                              ;   in Loop: Header=BB349_171 Depth=1
	s_andn2_saveexec_b64 s[8:9], s[0:1]
; %bb.240:                              ;   in Loop: Header=BB349_171 Depth=1
	v_or_b32_e32 v6, 0x10000, v39
	v_cmp_eq_u32_sdwa s[0:1], v39, v17 src0_sel:WORD_0 src1_sel:DWORD
	s_nop 1
	v_cndmask_b32_e64 v6, v6, v39, s[0:1]
; %bb.241:                              ;   in Loop: Header=BB349_171 Depth=1
	s_or_b64 exec, exec, s[8:9]
	v_and_b32_e32 v36, 0xffff0000, v36
	v_lshlrev_b32_e32 v7, 16, v7
	v_mul_f32_e32 v39, v36, v7
	v_and_b32_e32 v7, 0x7f800000, v39
	v_cmp_ne_u32_e64 s[0:1], s14, v7
                                        ; implicit-def: $vgpr7
	s_and_saveexec_b64 s[8:9], s[0:1]
	s_xor_b64 s[0:1], exec, s[8:9]
; %bb.242:                              ;   in Loop: Header=BB349_171 Depth=1
	v_bfe_u32 v7, v39, 16, 1
	v_add3_u32 v7, v39, v7, s15
                                        ; implicit-def: $vgpr39
; %bb.243:                              ;   in Loop: Header=BB349_171 Depth=1
	s_andn2_saveexec_b64 s[8:9], s[0:1]
; %bb.244:                              ;   in Loop: Header=BB349_171 Depth=1
	v_or_b32_e32 v7, 0x10000, v39
	v_cmp_eq_u32_sdwa s[0:1], v39, v17 src0_sel:WORD_0 src1_sel:DWORD
	s_nop 1
	v_cndmask_b32_e64 v7, v7, v39, s[0:1]
; %bb.245:                              ;   in Loop: Header=BB349_171 Depth=1
	s_or_b64 exec, exec, s[8:9]
	v_and_b32_e32 v37, 0xffff0000, v37
	v_lshlrev_b32_e32 v8, 16, v8
	v_mul_f32_e32 v39, v37, v8
	v_and_b32_e32 v8, 0x7f800000, v39
	v_cmp_ne_u32_e64 s[0:1], s14, v8
                                        ; implicit-def: $vgpr8
	s_and_saveexec_b64 s[8:9], s[0:1]
	s_xor_b64 s[0:1], exec, s[8:9]
; %bb.246:                              ;   in Loop: Header=BB349_171 Depth=1
	v_bfe_u32 v8, v39, 16, 1
	v_add3_u32 v8, v39, v8, s15
                                        ; implicit-def: $vgpr39
; %bb.247:                              ;   in Loop: Header=BB349_171 Depth=1
	s_andn2_saveexec_b64 s[8:9], s[0:1]
; %bb.248:                              ;   in Loop: Header=BB349_171 Depth=1
	v_or_b32_e32 v8, 0x10000, v39
	v_cmp_eq_u32_sdwa s[0:1], v39, v17 src0_sel:WORD_0 src1_sel:DWORD
	s_nop 1
	v_cndmask_b32_e64 v8, v8, v39, s[0:1]
; %bb.249:                              ;   in Loop: Header=BB349_171 Depth=1
	s_or_b64 exec, exec, s[8:9]
	v_and_b32_e32 v38, 0xffff0000, v38
	v_lshlrev_b32_e32 v9, 16, v9
	v_mul_f32_e32 v39, v38, v9
	v_and_b32_e32 v9, 0x7f800000, v39
	v_cmp_ne_u32_e64 s[0:1], s14, v9
                                        ; implicit-def: $vgpr9
	s_and_saveexec_b64 s[8:9], s[0:1]
	s_xor_b64 s[0:1], exec, s[8:9]
; %bb.250:                              ;   in Loop: Header=BB349_171 Depth=1
	v_bfe_u32 v9, v39, 16, 1
	v_add3_u32 v9, v39, v9, s15
                                        ; implicit-def: $vgpr39
; %bb.251:                              ;   in Loop: Header=BB349_171 Depth=1
	s_andn2_saveexec_b64 s[8:9], s[0:1]
; %bb.252:                              ;   in Loop: Header=BB349_171 Depth=1
	v_or_b32_e32 v9, 0x10000, v39
	v_cmp_eq_u32_sdwa s[0:1], v39, v17 src0_sel:WORD_0 src1_sel:DWORD
	s_nop 1
	v_cndmask_b32_e64 v9, v9, v39, s[0:1]
; %bb.253:                              ;   in Loop: Header=BB349_171 Depth=1
	s_or_b64 exec, exec, s[8:9]
	v_and_b32_e32 v39, 0xffff0000, v11
	v_lshlrev_b32_e32 v11, 16, v40
	v_mul_f32_e32 v40, v39, v11
	v_and_b32_e32 v11, 0x7f800000, v40
	v_cmp_ne_u32_e64 s[0:1], s14, v11
                                        ; implicit-def: $vgpr11
	s_and_saveexec_b64 s[8:9], s[0:1]
	s_xor_b64 s[0:1], exec, s[8:9]
; %bb.254:                              ;   in Loop: Header=BB349_171 Depth=1
	v_bfe_u32 v11, v40, 16, 1
	v_add3_u32 v11, v40, v11, s15
                                        ; implicit-def: $vgpr40
; %bb.255:                              ;   in Loop: Header=BB349_171 Depth=1
	s_andn2_saveexec_b64 s[8:9], s[0:1]
; %bb.256:                              ;   in Loop: Header=BB349_171 Depth=1
	v_or_b32_e32 v11, 0x10000, v40
	v_cmp_eq_u32_sdwa s[0:1], v40, v17 src0_sel:WORD_0 src1_sel:DWORD
	s_nop 1
	v_cndmask_b32_e64 v11, v11, v40, s[0:1]
; %bb.257:                              ;   in Loop: Header=BB349_171 Depth=1
	s_or_b64 exec, exec, s[8:9]
	v_and_b32_e32 v40, 0xffff0000, v25
	v_lshlrev_b32_e32 v25, 16, v41
	v_mul_f32_e32 v41, v40, v25
	v_and_b32_e32 v25, 0x7f800000, v41
	v_cmp_ne_u32_e64 s[0:1], s14, v25
                                        ; implicit-def: $vgpr25
	s_and_saveexec_b64 s[8:9], s[0:1]
	s_xor_b64 s[0:1], exec, s[8:9]
; %bb.258:                              ;   in Loop: Header=BB349_171 Depth=1
	v_bfe_u32 v25, v41, 16, 1
	v_add3_u32 v25, v41, v25, s15
                                        ; implicit-def: $vgpr41
; %bb.259:                              ;   in Loop: Header=BB349_171 Depth=1
	s_andn2_saveexec_b64 s[8:9], s[0:1]
; %bb.260:                              ;   in Loop: Header=BB349_171 Depth=1
	v_or_b32_e32 v25, 0x10000, v41
	v_cmp_eq_u32_sdwa s[0:1], v41, v17 src0_sel:WORD_0 src1_sel:DWORD
	s_nop 1
	v_cndmask_b32_e64 v25, v25, v41, s[0:1]
; %bb.261:                              ;   in Loop: Header=BB349_171 Depth=1
	s_or_b64 exec, exec, s[8:9]
	v_and_b32_e32 v41, 0xffff0000, v26
	v_lshlrev_b32_e32 v5, 16, v5
	v_mul_f32_e32 v5, v41, v5
	v_and_b32_e32 v26, 0x7f800000, v5
	v_cmp_ne_u32_e64 s[0:1], s14, v26
                                        ; implicit-def: $vgpr26
	s_and_saveexec_b64 s[8:9], s[0:1]
	s_xor_b64 s[0:1], exec, s[8:9]
; %bb.262:                              ;   in Loop: Header=BB349_171 Depth=1
	v_bfe_u32 v26, v5, 16, 1
	v_add3_u32 v26, v5, v26, s15
                                        ; implicit-def: $vgpr5
; %bb.263:                              ;   in Loop: Header=BB349_171 Depth=1
	s_andn2_saveexec_b64 s[8:9], s[0:1]
; %bb.264:                              ;   in Loop: Header=BB349_171 Depth=1
	v_or_b32_e32 v26, 0x10000, v5
	v_cmp_eq_u32_sdwa s[0:1], v5, v17 src0_sel:WORD_0 src1_sel:DWORD
	s_nop 1
	v_cndmask_b32_e64 v26, v26, v5, s[0:1]
; %bb.265:                              ;   in Loop: Header=BB349_171 Depth=1
	s_or_b64 exec, exec, s[8:9]
	v_and_b32_e32 v42, 0xffff0000, v34
	v_lshlrev_b32_e32 v4, 16, v4
	v_mul_f32_e32 v4, v42, v4
	v_and_b32_e32 v5, 0x7f800000, v4
	v_cmp_ne_u32_e64 s[0:1], s14, v5
                                        ; implicit-def: $vgpr34
	s_and_saveexec_b64 s[8:9], s[0:1]
	s_xor_b64 s[0:1], exec, s[8:9]
; %bb.266:                              ;   in Loop: Header=BB349_171 Depth=1
	v_bfe_u32 v5, v4, 16, 1
	v_add3_u32 v34, v4, v5, s15
                                        ; implicit-def: $vgpr4
; %bb.267:                              ;   in Loop: Header=BB349_171 Depth=1
	s_andn2_saveexec_b64 s[8:9], s[0:1]
; %bb.268:                              ;   in Loop: Header=BB349_171 Depth=1
	v_or_b32_e32 v5, 0x10000, v4
	v_cmp_eq_u32_sdwa s[0:1], v4, v17 src0_sel:WORD_0 src1_sel:DWORD
	s_nop 1
	v_cndmask_b32_e64 v34, v5, v4, s[0:1]
; %bb.269:                              ;   in Loop: Header=BB349_171 Depth=1
	s_or_b64 exec, exec, s[8:9]
	global_load_dwordx2 v[4:5], v[2:3], off offset:512
	s_waitcnt vmcnt(0)
	v_and_b32_e32 v43, 0xff, v4
	v_cvt_f32_fp8_sdwa v43, v43 src0_sel:BYTE_0
	s_nop 0
	v_mul_f32_e32 v44, s12, v43
	v_and_b32_e32 v43, 0x7f800000, v44
	v_cmp_ne_u32_e64 s[0:1], s14, v43
                                        ; implicit-def: $vgpr43
	s_and_saveexec_b64 s[8:9], s[0:1]
	s_xor_b64 s[0:1], exec, s[8:9]
; %bb.270:                              ;   in Loop: Header=BB349_171 Depth=1
	v_bfe_u32 v43, v44, 16, 1
	v_add3_u32 v43, v44, v43, s15
                                        ; implicit-def: $vgpr44
; %bb.271:                              ;   in Loop: Header=BB349_171 Depth=1
	s_andn2_saveexec_b64 s[8:9], s[0:1]
; %bb.272:                              ;   in Loop: Header=BB349_171 Depth=1
	v_or_b32_e32 v43, 0x10000, v44
	v_cmp_eq_u32_sdwa s[0:1], v44, v17 src0_sel:WORD_0 src1_sel:DWORD
	s_nop 1
	v_cndmask_b32_e64 v43, v43, v44, s[0:1]
; %bb.273:                              ;   in Loop: Header=BB349_171 Depth=1
	s_or_b64 exec, exec, s[8:9]
	v_bfe_u32 v44, v4, 8, 8
	v_cvt_f32_fp8_sdwa v44, v44 src0_sel:BYTE_0
	s_nop 0
	v_mul_f32_e32 v45, s12, v44
	v_and_b32_e32 v44, 0x7f800000, v45
	v_cmp_ne_u32_e64 s[0:1], s14, v44
                                        ; implicit-def: $vgpr44
	s_and_saveexec_b64 s[8:9], s[0:1]
	s_xor_b64 s[0:1], exec, s[8:9]
; %bb.274:                              ;   in Loop: Header=BB349_171 Depth=1
	v_bfe_u32 v44, v45, 16, 1
	v_add3_u32 v44, v45, v44, s15
                                        ; implicit-def: $vgpr45
; %bb.275:                              ;   in Loop: Header=BB349_171 Depth=1
	s_andn2_saveexec_b64 s[8:9], s[0:1]
; %bb.276:                              ;   in Loop: Header=BB349_171 Depth=1
	v_or_b32_e32 v44, 0x10000, v45
	v_cmp_eq_u32_sdwa s[0:1], v45, v17 src0_sel:WORD_0 src1_sel:DWORD
	s_nop 1
	v_cndmask_b32_e64 v44, v44, v45, s[0:1]
; %bb.277:                              ;   in Loop: Header=BB349_171 Depth=1
	s_or_b64 exec, exec, s[8:9]
	v_bfe_u32 v45, v4, 16, 8
	v_cvt_f32_fp8_sdwa v45, v45 src0_sel:BYTE_0
	s_nop 0
	v_mul_f32_e32 v46, s12, v45
	v_and_b32_e32 v45, 0x7f800000, v46
	v_cmp_ne_u32_e64 s[0:1], s14, v45
                                        ; implicit-def: $vgpr45
	s_and_saveexec_b64 s[8:9], s[0:1]
	s_xor_b64 s[0:1], exec, s[8:9]
; %bb.278:                              ;   in Loop: Header=BB349_171 Depth=1
	v_bfe_u32 v45, v46, 16, 1
	v_add3_u32 v45, v46, v45, s15
                                        ; implicit-def: $vgpr46
; %bb.279:                              ;   in Loop: Header=BB349_171 Depth=1
	s_andn2_saveexec_b64 s[8:9], s[0:1]
; %bb.280:                              ;   in Loop: Header=BB349_171 Depth=1
	v_or_b32_e32 v45, 0x10000, v46
	v_cmp_eq_u32_sdwa s[0:1], v46, v17 src0_sel:WORD_0 src1_sel:DWORD
	s_nop 1
	v_cndmask_b32_e64 v45, v45, v46, s[0:1]
; %bb.281:                              ;   in Loop: Header=BB349_171 Depth=1
	s_or_b64 exec, exec, s[8:9]
	v_lshrrev_b32_e32 v4, 24, v4
	v_cvt_f32_fp8_sdwa v4, v4 src0_sel:BYTE_0
	s_nop 0
	v_mul_f32_e32 v46, s12, v4
	v_and_b32_e32 v4, 0x7f800000, v46
	v_cmp_ne_u32_e64 s[0:1], s14, v4
                                        ; implicit-def: $vgpr4
	s_and_saveexec_b64 s[8:9], s[0:1]
	s_xor_b64 s[0:1], exec, s[8:9]
; %bb.282:                              ;   in Loop: Header=BB349_171 Depth=1
	v_bfe_u32 v4, v46, 16, 1
	v_add3_u32 v4, v46, v4, s15
                                        ; implicit-def: $vgpr46
; %bb.283:                              ;   in Loop: Header=BB349_171 Depth=1
	s_andn2_saveexec_b64 s[8:9], s[0:1]
; %bb.284:                              ;   in Loop: Header=BB349_171 Depth=1
	v_or_b32_e32 v4, 0x10000, v46
	v_cmp_eq_u32_sdwa s[0:1], v46, v17 src0_sel:WORD_0 src1_sel:DWORD
	s_nop 1
	v_cndmask_b32_e64 v4, v4, v46, s[0:1]
; %bb.285:                              ;   in Loop: Header=BB349_171 Depth=1
	s_or_b64 exec, exec, s[8:9]
	v_and_b32_e32 v46, 0xff, v5
	v_cvt_f32_fp8_sdwa v46, v46 src0_sel:BYTE_0
	s_nop 0
	v_mul_f32_e32 v47, s12, v46
	v_and_b32_e32 v46, 0x7f800000, v47
	v_cmp_ne_u32_e64 s[0:1], s14, v46
                                        ; implicit-def: $vgpr46
	s_and_saveexec_b64 s[8:9], s[0:1]
	s_xor_b64 s[0:1], exec, s[8:9]
; %bb.286:                              ;   in Loop: Header=BB349_171 Depth=1
	v_bfe_u32 v46, v47, 16, 1
	v_add3_u32 v46, v47, v46, s15
                                        ; implicit-def: $vgpr47
; %bb.287:                              ;   in Loop: Header=BB349_171 Depth=1
	s_andn2_saveexec_b64 s[8:9], s[0:1]
; %bb.288:                              ;   in Loop: Header=BB349_171 Depth=1
	v_or_b32_e32 v46, 0x10000, v47
	v_cmp_eq_u32_sdwa s[0:1], v47, v17 src0_sel:WORD_0 src1_sel:DWORD
	s_nop 1
	v_cndmask_b32_e64 v46, v46, v47, s[0:1]
; %bb.289:                              ;   in Loop: Header=BB349_171 Depth=1
	s_or_b64 exec, exec, s[8:9]
	v_bfe_u32 v47, v5, 8, 8
	v_cvt_f32_fp8_sdwa v47, v47 src0_sel:BYTE_0
	s_nop 0
	v_mul_f32_e32 v48, s12, v47
	v_and_b32_e32 v47, 0x7f800000, v48
	v_cmp_ne_u32_e64 s[0:1], s14, v47
                                        ; implicit-def: $vgpr47
	s_and_saveexec_b64 s[8:9], s[0:1]
	s_xor_b64 s[0:1], exec, s[8:9]
; %bb.290:                              ;   in Loop: Header=BB349_171 Depth=1
	v_bfe_u32 v47, v48, 16, 1
	v_add3_u32 v47, v48, v47, s15
                                        ; implicit-def: $vgpr48
; %bb.291:                              ;   in Loop: Header=BB349_171 Depth=1
	s_andn2_saveexec_b64 s[8:9], s[0:1]
; %bb.292:                              ;   in Loop: Header=BB349_171 Depth=1
	v_or_b32_e32 v47, 0x10000, v48
	v_cmp_eq_u32_sdwa s[0:1], v48, v17 src0_sel:WORD_0 src1_sel:DWORD
	s_nop 1
	v_cndmask_b32_e64 v47, v47, v48, s[0:1]
; %bb.293:                              ;   in Loop: Header=BB349_171 Depth=1
	s_or_b64 exec, exec, s[8:9]
	v_bfe_u32 v48, v5, 16, 8
	v_cvt_f32_fp8_sdwa v48, v48 src0_sel:BYTE_0
	s_nop 0
	v_mul_f32_e32 v48, s12, v48
	v_and_b32_e32 v49, 0x7f800000, v48
	v_cmp_ne_u32_e64 s[0:1], s14, v49
                                        ; implicit-def: $vgpr49
	s_and_saveexec_b64 s[8:9], s[0:1]
	s_xor_b64 s[0:1], exec, s[8:9]
; %bb.294:                              ;   in Loop: Header=BB349_171 Depth=1
	v_bfe_u32 v49, v48, 16, 1
	v_add3_u32 v49, v48, v49, s15
                                        ; implicit-def: $vgpr48
; %bb.295:                              ;   in Loop: Header=BB349_171 Depth=1
	s_andn2_saveexec_b64 s[8:9], s[0:1]
; %bb.296:                              ;   in Loop: Header=BB349_171 Depth=1
	v_or_b32_e32 v49, 0x10000, v48
	v_cmp_eq_u32_sdwa s[0:1], v48, v17 src0_sel:WORD_0 src1_sel:DWORD
	s_nop 1
	v_cndmask_b32_e64 v49, v49, v48, s[0:1]
; %bb.297:                              ;   in Loop: Header=BB349_171 Depth=1
	s_or_b64 exec, exec, s[8:9]
	v_lshrrev_b32_e32 v5, 24, v5
	v_cvt_f32_fp8_sdwa v5, v5 src0_sel:BYTE_0
                                        ; implicit-def: $vgpr50
	s_nop 0
	v_mul_f32_e32 v5, s12, v5
	v_and_b32_e32 v48, 0x7f800000, v5
	v_cmp_ne_u32_e64 s[0:1], s14, v48
	s_and_saveexec_b64 s[8:9], s[0:1]
	s_xor_b64 s[0:1], exec, s[8:9]
; %bb.298:                              ;   in Loop: Header=BB349_171 Depth=1
	v_bfe_u32 v48, v5, 16, 1
	v_add3_u32 v50, v5, v48, s15
                                        ; implicit-def: $vgpr5
; %bb.299:                              ;   in Loop: Header=BB349_171 Depth=1
	s_andn2_saveexec_b64 s[8:9], s[0:1]
; %bb.300:                              ;   in Loop: Header=BB349_171 Depth=1
	v_or_b32_e32 v48, 0x10000, v5
	v_cmp_eq_u32_sdwa s[0:1], v5, v17 src0_sel:WORD_0 src1_sel:DWORD
	s_nop 1
	v_cndmask_b32_e64 v50, v48, v5, s[0:1]
; %bb.301:                              ;   in Loop: Header=BB349_171 Depth=1
	s_or_b64 exec, exec, s[8:9]
	v_lshrrev_b32_e32 v48, 16, v47
	v_lshrrev_b32_e32 v47, 16, v46
	;; [unrolled: 1-line block ×8, first 2 shown]
	s_and_saveexec_b64 s[8:9], vcc
	s_cbranch_execz .LBB349_303
; %bb.302:                              ;   in Loop: Header=BB349_171 Depth=1
	v_cmp_gt_i32_e64 s[0:1], s33, v27
	s_nop 1
	v_cndmask_b32_e64 v43, 0, v43, s[0:1]
	v_cmp_gt_i32_e64 s[0:1], s33, v33
	s_nop 1
	v_cndmask_b32_e64 v44, 0, v44, s[0:1]
	v_cmp_gt_i32_e64 s[0:1], s33, v32
	s_nop 1
	v_cndmask_b32_e64 v45, 0, v45, s[0:1]
	v_cmp_gt_i32_e64 s[0:1], s33, v31
	s_nop 1
	v_cndmask_b32_e64 v46, 0, v46, s[0:1]
	v_cmp_gt_i32_e64 s[0:1], s33, v30
	s_nop 1
	v_cndmask_b32_e64 v47, 0, v47, s[0:1]
	v_cmp_gt_i32_e64 s[0:1], s33, v29
	s_nop 1
	v_cndmask_b32_e64 v48, 0, v48, s[0:1]
	v_cmp_gt_i32_e64 s[0:1], s33, v28
	s_nop 1
	v_cndmask_b32_e64 v5, 0, v5, s[0:1]
	v_cmp_gt_i32_e64 s[0:1], s33, v16
	s_nop 1
	v_cndmask_b32_e64 v4, 0, v4, s[0:1]
.LBB349_303:                            ;   in Loop: Header=BB349_171 Depth=1
	s_or_b64 exec, exec, s[8:9]
	v_lshlrev_b32_e32 v43, 16, v43
	v_mul_f32_e32 v49, v35, v43
	v_and_b32_e32 v43, 0x7f800000, v49
	v_cmp_ne_u32_e64 s[0:1], s14, v43
                                        ; implicit-def: $vgpr43
	s_and_saveexec_b64 s[8:9], s[0:1]
	s_xor_b64 s[0:1], exec, s[8:9]
; %bb.304:                              ;   in Loop: Header=BB349_171 Depth=1
	v_bfe_u32 v43, v49, 16, 1
	v_add3_u32 v43, v49, v43, s15
                                        ; implicit-def: $vgpr49
; %bb.305:                              ;   in Loop: Header=BB349_171 Depth=1
	s_andn2_saveexec_b64 s[8:9], s[0:1]
; %bb.306:                              ;   in Loop: Header=BB349_171 Depth=1
	v_or_b32_e32 v43, 0x10000, v49
	v_cmp_eq_u32_sdwa s[0:1], v49, v17 src0_sel:WORD_0 src1_sel:DWORD
	s_nop 1
	v_cndmask_b32_e64 v43, v43, v49, s[0:1]
; %bb.307:                              ;   in Loop: Header=BB349_171 Depth=1
	s_or_b64 exec, exec, s[8:9]
	v_lshlrev_b32_e32 v44, 16, v44
	v_mul_f32_e32 v49, v36, v44
	v_and_b32_e32 v44, 0x7f800000, v49
	v_cmp_ne_u32_e64 s[0:1], s14, v44
                                        ; implicit-def: $vgpr44
	s_and_saveexec_b64 s[8:9], s[0:1]
	s_xor_b64 s[0:1], exec, s[8:9]
; %bb.308:                              ;   in Loop: Header=BB349_171 Depth=1
	v_bfe_u32 v44, v49, 16, 1
	v_add3_u32 v44, v49, v44, s15
                                        ; implicit-def: $vgpr49
; %bb.309:                              ;   in Loop: Header=BB349_171 Depth=1
	s_andn2_saveexec_b64 s[8:9], s[0:1]
; %bb.310:                              ;   in Loop: Header=BB349_171 Depth=1
	v_or_b32_e32 v44, 0x10000, v49
	v_cmp_eq_u32_sdwa s[0:1], v49, v17 src0_sel:WORD_0 src1_sel:DWORD
	s_nop 1
	v_cndmask_b32_e64 v44, v44, v49, s[0:1]
; %bb.311:                              ;   in Loop: Header=BB349_171 Depth=1
	s_or_b64 exec, exec, s[8:9]
	v_lshlrev_b32_e32 v45, 16, v45
	v_mul_f32_e32 v49, v37, v45
	v_and_b32_e32 v45, 0x7f800000, v49
	v_cmp_ne_u32_e64 s[0:1], s14, v45
                                        ; implicit-def: $vgpr45
	s_and_saveexec_b64 s[8:9], s[0:1]
	s_xor_b64 s[0:1], exec, s[8:9]
; %bb.312:                              ;   in Loop: Header=BB349_171 Depth=1
	v_bfe_u32 v45, v49, 16, 1
	v_add3_u32 v45, v49, v45, s15
                                        ; implicit-def: $vgpr49
; %bb.313:                              ;   in Loop: Header=BB349_171 Depth=1
	s_andn2_saveexec_b64 s[8:9], s[0:1]
; %bb.314:                              ;   in Loop: Header=BB349_171 Depth=1
	v_or_b32_e32 v45, 0x10000, v49
	v_cmp_eq_u32_sdwa s[0:1], v49, v17 src0_sel:WORD_0 src1_sel:DWORD
	s_nop 1
	v_cndmask_b32_e64 v45, v45, v49, s[0:1]
; %bb.315:                              ;   in Loop: Header=BB349_171 Depth=1
	s_or_b64 exec, exec, s[8:9]
	v_lshlrev_b32_e32 v46, 16, v46
	v_mul_f32_e32 v49, v38, v46
	v_and_b32_e32 v46, 0x7f800000, v49
	v_cmp_ne_u32_e64 s[0:1], s14, v46
                                        ; implicit-def: $vgpr46
	s_and_saveexec_b64 s[8:9], s[0:1]
	s_xor_b64 s[0:1], exec, s[8:9]
; %bb.316:                              ;   in Loop: Header=BB349_171 Depth=1
	v_bfe_u32 v46, v49, 16, 1
	v_add3_u32 v46, v49, v46, s15
                                        ; implicit-def: $vgpr49
; %bb.317:                              ;   in Loop: Header=BB349_171 Depth=1
	s_andn2_saveexec_b64 s[8:9], s[0:1]
; %bb.318:                              ;   in Loop: Header=BB349_171 Depth=1
	v_or_b32_e32 v46, 0x10000, v49
	v_cmp_eq_u32_sdwa s[0:1], v49, v17 src0_sel:WORD_0 src1_sel:DWORD
	s_nop 1
	v_cndmask_b32_e64 v46, v46, v49, s[0:1]
; %bb.319:                              ;   in Loop: Header=BB349_171 Depth=1
	s_or_b64 exec, exec, s[8:9]
	v_lshlrev_b32_e32 v47, 16, v47
	v_mul_f32_e32 v49, v39, v47
	v_and_b32_e32 v47, 0x7f800000, v49
	v_cmp_ne_u32_e64 s[0:1], s14, v47
                                        ; implicit-def: $vgpr47
	s_and_saveexec_b64 s[8:9], s[0:1]
	s_xor_b64 s[0:1], exec, s[8:9]
; %bb.320:                              ;   in Loop: Header=BB349_171 Depth=1
	v_bfe_u32 v47, v49, 16, 1
	v_add3_u32 v47, v49, v47, s15
                                        ; implicit-def: $vgpr49
; %bb.321:                              ;   in Loop: Header=BB349_171 Depth=1
	s_andn2_saveexec_b64 s[8:9], s[0:1]
; %bb.322:                              ;   in Loop: Header=BB349_171 Depth=1
	v_or_b32_e32 v47, 0x10000, v49
	v_cmp_eq_u32_sdwa s[0:1], v49, v17 src0_sel:WORD_0 src1_sel:DWORD
	s_nop 1
	v_cndmask_b32_e64 v47, v47, v49, s[0:1]
; %bb.323:                              ;   in Loop: Header=BB349_171 Depth=1
	s_or_b64 exec, exec, s[8:9]
	v_lshlrev_b32_e32 v48, 16, v48
	v_mul_f32_e32 v49, v40, v48
	v_and_b32_e32 v48, 0x7f800000, v49
	v_cmp_ne_u32_e64 s[0:1], s14, v48
                                        ; implicit-def: $vgpr48
	s_and_saveexec_b64 s[8:9], s[0:1]
	s_xor_b64 s[0:1], exec, s[8:9]
; %bb.324:                              ;   in Loop: Header=BB349_171 Depth=1
	v_bfe_u32 v48, v49, 16, 1
	v_add3_u32 v48, v49, v48, s15
                                        ; implicit-def: $vgpr49
; %bb.325:                              ;   in Loop: Header=BB349_171 Depth=1
	s_andn2_saveexec_b64 s[8:9], s[0:1]
; %bb.326:                              ;   in Loop: Header=BB349_171 Depth=1
	v_or_b32_e32 v48, 0x10000, v49
	v_cmp_eq_u32_sdwa s[0:1], v49, v17 src0_sel:WORD_0 src1_sel:DWORD
	s_nop 1
	v_cndmask_b32_e64 v48, v48, v49, s[0:1]
; %bb.327:                              ;   in Loop: Header=BB349_171 Depth=1
	s_or_b64 exec, exec, s[8:9]
	v_lshlrev_b32_e32 v5, 16, v5
	v_mul_f32_e32 v5, v41, v5
	v_and_b32_e32 v49, 0x7f800000, v5
	v_cmp_ne_u32_e64 s[0:1], s14, v49
                                        ; implicit-def: $vgpr49
	s_and_saveexec_b64 s[8:9], s[0:1]
	s_xor_b64 s[0:1], exec, s[8:9]
; %bb.328:                              ;   in Loop: Header=BB349_171 Depth=1
	v_bfe_u32 v49, v5, 16, 1
	v_add3_u32 v49, v5, v49, s15
                                        ; implicit-def: $vgpr5
; %bb.329:                              ;   in Loop: Header=BB349_171 Depth=1
	s_andn2_saveexec_b64 s[8:9], s[0:1]
; %bb.330:                              ;   in Loop: Header=BB349_171 Depth=1
	v_or_b32_e32 v49, 0x10000, v5
	v_cmp_eq_u32_sdwa s[0:1], v5, v17 src0_sel:WORD_0 src1_sel:DWORD
	s_nop 1
	v_cndmask_b32_e64 v49, v49, v5, s[0:1]
; %bb.331:                              ;   in Loop: Header=BB349_171 Depth=1
	s_or_b64 exec, exec, s[8:9]
	v_lshlrev_b32_e32 v4, 16, v4
	v_mul_f32_e32 v4, v42, v4
	v_and_b32_e32 v5, 0x7f800000, v4
	v_cmp_ne_u32_e64 s[0:1], s14, v5
                                        ; implicit-def: $vgpr50
	s_and_saveexec_b64 s[8:9], s[0:1]
	s_xor_b64 s[0:1], exec, s[8:9]
; %bb.332:                              ;   in Loop: Header=BB349_171 Depth=1
	v_bfe_u32 v5, v4, 16, 1
	v_add3_u32 v50, v4, v5, s15
                                        ; implicit-def: $vgpr4
; %bb.333:                              ;   in Loop: Header=BB349_171 Depth=1
	s_andn2_saveexec_b64 s[8:9], s[0:1]
; %bb.334:                              ;   in Loop: Header=BB349_171 Depth=1
	v_or_b32_e32 v5, 0x10000, v4
	v_cmp_eq_u32_sdwa s[0:1], v4, v17 src0_sel:WORD_0 src1_sel:DWORD
	s_nop 1
	v_cndmask_b32_e64 v50, v5, v4, s[0:1]
; %bb.335:                              ;   in Loop: Header=BB349_171 Depth=1
	s_or_b64 exec, exec, s[8:9]
	global_load_dwordx2 v[4:5], v[2:3], off offset:1024
	s_waitcnt vmcnt(0)
	v_and_b32_e32 v51, 0xff, v4
	v_cvt_f32_fp8_sdwa v51, v51 src0_sel:BYTE_0
	s_nop 0
	v_mul_f32_e32 v52, s12, v51
	v_and_b32_e32 v51, 0x7f800000, v52
	v_cmp_ne_u32_e64 s[0:1], s14, v51
                                        ; implicit-def: $vgpr51
	s_and_saveexec_b64 s[8:9], s[0:1]
	s_xor_b64 s[0:1], exec, s[8:9]
; %bb.336:                              ;   in Loop: Header=BB349_171 Depth=1
	v_bfe_u32 v51, v52, 16, 1
	v_add3_u32 v51, v52, v51, s15
                                        ; implicit-def: $vgpr52
; %bb.337:                              ;   in Loop: Header=BB349_171 Depth=1
	s_andn2_saveexec_b64 s[8:9], s[0:1]
; %bb.338:                              ;   in Loop: Header=BB349_171 Depth=1
	v_or_b32_e32 v51, 0x10000, v52
	v_cmp_eq_u32_sdwa s[0:1], v52, v17 src0_sel:WORD_0 src1_sel:DWORD
	s_nop 1
	v_cndmask_b32_e64 v51, v51, v52, s[0:1]
; %bb.339:                              ;   in Loop: Header=BB349_171 Depth=1
	s_or_b64 exec, exec, s[8:9]
	v_bfe_u32 v52, v4, 8, 8
	v_cvt_f32_fp8_sdwa v52, v52 src0_sel:BYTE_0
	s_nop 0
	v_mul_f32_e32 v53, s12, v52
	v_and_b32_e32 v52, 0x7f800000, v53
	v_cmp_ne_u32_e64 s[0:1], s14, v52
                                        ; implicit-def: $vgpr52
	s_and_saveexec_b64 s[8:9], s[0:1]
	s_xor_b64 s[0:1], exec, s[8:9]
; %bb.340:                              ;   in Loop: Header=BB349_171 Depth=1
	v_bfe_u32 v52, v53, 16, 1
	v_add3_u32 v52, v53, v52, s15
                                        ; implicit-def: $vgpr53
; %bb.341:                              ;   in Loop: Header=BB349_171 Depth=1
	s_andn2_saveexec_b64 s[8:9], s[0:1]
; %bb.342:                              ;   in Loop: Header=BB349_171 Depth=1
	v_or_b32_e32 v52, 0x10000, v53
	v_cmp_eq_u32_sdwa s[0:1], v53, v17 src0_sel:WORD_0 src1_sel:DWORD
	s_nop 1
	v_cndmask_b32_e64 v52, v52, v53, s[0:1]
; %bb.343:                              ;   in Loop: Header=BB349_171 Depth=1
	s_or_b64 exec, exec, s[8:9]
	v_bfe_u32 v53, v4, 16, 8
	v_cvt_f32_fp8_sdwa v53, v53 src0_sel:BYTE_0
	s_nop 0
	v_mul_f32_e32 v54, s12, v53
	v_and_b32_e32 v53, 0x7f800000, v54
	v_cmp_ne_u32_e64 s[0:1], s14, v53
                                        ; implicit-def: $vgpr53
	s_and_saveexec_b64 s[8:9], s[0:1]
	s_xor_b64 s[0:1], exec, s[8:9]
; %bb.344:                              ;   in Loop: Header=BB349_171 Depth=1
	v_bfe_u32 v53, v54, 16, 1
	v_add3_u32 v53, v54, v53, s15
                                        ; implicit-def: $vgpr54
; %bb.345:                              ;   in Loop: Header=BB349_171 Depth=1
	s_andn2_saveexec_b64 s[8:9], s[0:1]
; %bb.346:                              ;   in Loop: Header=BB349_171 Depth=1
	v_or_b32_e32 v53, 0x10000, v54
	v_cmp_eq_u32_sdwa s[0:1], v54, v17 src0_sel:WORD_0 src1_sel:DWORD
	s_nop 1
	v_cndmask_b32_e64 v53, v53, v54, s[0:1]
; %bb.347:                              ;   in Loop: Header=BB349_171 Depth=1
	s_or_b64 exec, exec, s[8:9]
	v_lshrrev_b32_e32 v4, 24, v4
	v_cvt_f32_fp8_sdwa v4, v4 src0_sel:BYTE_0
	s_nop 0
	v_mul_f32_e32 v54, s12, v4
	v_and_b32_e32 v4, 0x7f800000, v54
	v_cmp_ne_u32_e64 s[0:1], s14, v4
                                        ; implicit-def: $vgpr4
	s_and_saveexec_b64 s[8:9], s[0:1]
	s_xor_b64 s[0:1], exec, s[8:9]
; %bb.348:                              ;   in Loop: Header=BB349_171 Depth=1
	v_bfe_u32 v4, v54, 16, 1
	v_add3_u32 v4, v54, v4, s15
                                        ; implicit-def: $vgpr54
; %bb.349:                              ;   in Loop: Header=BB349_171 Depth=1
	s_andn2_saveexec_b64 s[8:9], s[0:1]
; %bb.350:                              ;   in Loop: Header=BB349_171 Depth=1
	v_or_b32_e32 v4, 0x10000, v54
	v_cmp_eq_u32_sdwa s[0:1], v54, v17 src0_sel:WORD_0 src1_sel:DWORD
	s_nop 1
	v_cndmask_b32_e64 v4, v4, v54, s[0:1]
; %bb.351:                              ;   in Loop: Header=BB349_171 Depth=1
	s_or_b64 exec, exec, s[8:9]
	v_and_b32_e32 v54, 0xff, v5
	v_cvt_f32_fp8_sdwa v54, v54 src0_sel:BYTE_0
	s_nop 0
	v_mul_f32_e32 v54, s12, v54
	v_and_b32_e32 v55, 0x7f800000, v54
	v_cmp_ne_u32_e64 s[0:1], s14, v55
                                        ; implicit-def: $vgpr55
	s_and_saveexec_b64 s[8:9], s[0:1]
	s_xor_b64 s[0:1], exec, s[8:9]
; %bb.352:                              ;   in Loop: Header=BB349_171 Depth=1
	v_bfe_u32 v55, v54, 16, 1
	v_add3_u32 v55, v54, v55, s15
                                        ; implicit-def: $vgpr54
; %bb.353:                              ;   in Loop: Header=BB349_171 Depth=1
	s_andn2_saveexec_b64 s[8:9], s[0:1]
; %bb.354:                              ;   in Loop: Header=BB349_171 Depth=1
	v_or_b32_e32 v55, 0x10000, v54
	v_cmp_eq_u32_sdwa s[0:1], v54, v17 src0_sel:WORD_0 src1_sel:DWORD
	s_nop 1
	v_cndmask_b32_e64 v55, v55, v54, s[0:1]
; %bb.355:                              ;   in Loop: Header=BB349_171 Depth=1
	s_or_b64 exec, exec, s[8:9]
	v_bfe_u32 v54, v5, 8, 8
	v_cvt_f32_fp8_sdwa v54, v54 src0_sel:BYTE_0
	s_nop 0
	v_mul_f32_e32 v56, s12, v54
	v_and_b32_e32 v54, 0x7f800000, v56
	v_cmp_ne_u32_e64 s[0:1], s14, v54
                                        ; implicit-def: $vgpr54
	s_and_saveexec_b64 s[8:9], s[0:1]
	s_xor_b64 s[0:1], exec, s[8:9]
; %bb.356:                              ;   in Loop: Header=BB349_171 Depth=1
	v_bfe_u32 v54, v56, 16, 1
	v_add3_u32 v54, v56, v54, s15
                                        ; implicit-def: $vgpr56
; %bb.357:                              ;   in Loop: Header=BB349_171 Depth=1
	s_andn2_saveexec_b64 s[8:9], s[0:1]
; %bb.358:                              ;   in Loop: Header=BB349_171 Depth=1
	v_or_b32_e32 v54, 0x10000, v56
	v_cmp_eq_u32_sdwa s[0:1], v56, v17 src0_sel:WORD_0 src1_sel:DWORD
	s_nop 1
	v_cndmask_b32_e64 v54, v54, v56, s[0:1]
; %bb.359:                              ;   in Loop: Header=BB349_171 Depth=1
	s_or_b64 exec, exec, s[8:9]
	v_bfe_u32 v56, v5, 16, 8
	v_cvt_f32_fp8_sdwa v56, v56 src0_sel:BYTE_0
	s_nop 0
	v_mul_f32_e32 v57, s12, v56
	v_and_b32_e32 v56, 0x7f800000, v57
	v_cmp_ne_u32_e64 s[0:1], s14, v56
                                        ; implicit-def: $vgpr56
	s_and_saveexec_b64 s[8:9], s[0:1]
	s_xor_b64 s[0:1], exec, s[8:9]
; %bb.360:                              ;   in Loop: Header=BB349_171 Depth=1
	v_bfe_u32 v56, v57, 16, 1
	v_add3_u32 v56, v57, v56, s15
                                        ; implicit-def: $vgpr57
; %bb.361:                              ;   in Loop: Header=BB349_171 Depth=1
	s_andn2_saveexec_b64 s[8:9], s[0:1]
; %bb.362:                              ;   in Loop: Header=BB349_171 Depth=1
	v_or_b32_e32 v56, 0x10000, v57
	v_cmp_eq_u32_sdwa s[0:1], v57, v17 src0_sel:WORD_0 src1_sel:DWORD
	s_nop 1
	v_cndmask_b32_e64 v56, v56, v57, s[0:1]
; %bb.363:                              ;   in Loop: Header=BB349_171 Depth=1
	s_or_b64 exec, exec, s[8:9]
	v_lshrrev_b32_e32 v5, 24, v5
	v_cvt_f32_fp8_sdwa v5, v5 src0_sel:BYTE_0
                                        ; implicit-def: $vgpr59
	s_nop 0
	v_mul_f32_e32 v5, s12, v5
	v_and_b32_e32 v57, 0x7f800000, v5
	v_cmp_ne_u32_e64 s[0:1], s14, v57
	s_and_saveexec_b64 s[8:9], s[0:1]
	s_xor_b64 s[0:1], exec, s[8:9]
; %bb.364:                              ;   in Loop: Header=BB349_171 Depth=1
	v_bfe_u32 v57, v5, 16, 1
	v_add3_u32 v59, v5, v57, s15
                                        ; implicit-def: $vgpr5
; %bb.365:                              ;   in Loop: Header=BB349_171 Depth=1
	s_andn2_saveexec_b64 s[8:9], s[0:1]
; %bb.366:                              ;   in Loop: Header=BB349_171 Depth=1
	v_or_b32_e32 v57, 0x10000, v5
	v_cmp_eq_u32_sdwa s[0:1], v5, v17 src0_sel:WORD_0 src1_sel:DWORD
	s_nop 1
	v_cndmask_b32_e64 v59, v57, v5, s[0:1]
; %bb.367:                              ;   in Loop: Header=BB349_171 Depth=1
	s_or_b64 exec, exec, s[8:9]
	v_lshrrev_b32_e32 v54, 16, v54
	v_lshrrev_b32_e32 v57, 16, v55
	;; [unrolled: 1-line block ×8, first 2 shown]
	s_and_saveexec_b64 s[8:9], vcc
	s_cbranch_execz .LBB349_369
; %bb.368:                              ;   in Loop: Header=BB349_171 Depth=1
	v_cmp_gt_i32_e64 s[0:1], s33, v27
	s_nop 1
	v_cndmask_b32_e64 v4, 0, v4, s[0:1]
	v_cmp_gt_i32_e64 s[0:1], s33, v33
	s_nop 1
	v_cndmask_b32_e64 v5, 0, v5, s[0:1]
	;; [unrolled: 3-line block ×8, first 2 shown]
.LBB349_369:                            ;   in Loop: Header=BB349_171 Depth=1
	s_or_b64 exec, exec, s[8:9]
	v_lshlrev_b32_e32 v4, 16, v4
	v_mul_f32_e32 v51, v35, v4
	v_and_b32_e32 v4, 0x7f800000, v51
	v_cmp_ne_u32_e64 s[0:1], s14, v4
                                        ; implicit-def: $vgpr4
	s_and_saveexec_b64 s[8:9], s[0:1]
	s_xor_b64 s[0:1], exec, s[8:9]
; %bb.370:                              ;   in Loop: Header=BB349_171 Depth=1
	v_bfe_u32 v4, v51, 16, 1
	v_add3_u32 v4, v51, v4, s15
                                        ; implicit-def: $vgpr51
; %bb.371:                              ;   in Loop: Header=BB349_171 Depth=1
	s_andn2_saveexec_b64 s[8:9], s[0:1]
; %bb.372:                              ;   in Loop: Header=BB349_171 Depth=1
	v_or_b32_e32 v4, 0x10000, v51
	v_cmp_eq_u32_sdwa s[0:1], v51, v17 src0_sel:WORD_0 src1_sel:DWORD
	s_nop 1
	v_cndmask_b32_e64 v4, v4, v51, s[0:1]
; %bb.373:                              ;   in Loop: Header=BB349_171 Depth=1
	s_or_b64 exec, exec, s[8:9]
	v_lshlrev_b32_e32 v5, 16, v5
	v_mul_f32_e32 v51, v36, v5
	v_and_b32_e32 v5, 0x7f800000, v51
	v_cmp_ne_u32_e64 s[0:1], s14, v5
                                        ; implicit-def: $vgpr5
	s_and_saveexec_b64 s[8:9], s[0:1]
	s_xor_b64 s[0:1], exec, s[8:9]
; %bb.374:                              ;   in Loop: Header=BB349_171 Depth=1
	v_bfe_u32 v5, v51, 16, 1
	v_add3_u32 v5, v51, v5, s15
                                        ; implicit-def: $vgpr51
; %bb.375:                              ;   in Loop: Header=BB349_171 Depth=1
	s_andn2_saveexec_b64 s[8:9], s[0:1]
; %bb.376:                              ;   in Loop: Header=BB349_171 Depth=1
	v_or_b32_e32 v5, 0x10000, v51
	v_cmp_eq_u32_sdwa s[0:1], v51, v17 src0_sel:WORD_0 src1_sel:DWORD
	s_nop 1
	v_cndmask_b32_e64 v5, v5, v51, s[0:1]
; %bb.377:                              ;   in Loop: Header=BB349_171 Depth=1
	s_or_b64 exec, exec, s[8:9]
	v_lshlrev_b32_e32 v51, 16, v53
	v_mul_f32_e32 v52, v37, v51
	v_and_b32_e32 v51, 0x7f800000, v52
	v_cmp_ne_u32_e64 s[0:1], s14, v51
                                        ; implicit-def: $vgpr51
	s_and_saveexec_b64 s[8:9], s[0:1]
	s_xor_b64 s[0:1], exec, s[8:9]
; %bb.378:                              ;   in Loop: Header=BB349_171 Depth=1
	v_bfe_u32 v51, v52, 16, 1
	v_add3_u32 v51, v52, v51, s15
                                        ; implicit-def: $vgpr52
; %bb.379:                              ;   in Loop: Header=BB349_171 Depth=1
	s_andn2_saveexec_b64 s[8:9], s[0:1]
; %bb.380:                              ;   in Loop: Header=BB349_171 Depth=1
	v_or_b32_e32 v51, 0x10000, v52
	v_cmp_eq_u32_sdwa s[0:1], v52, v17 src0_sel:WORD_0 src1_sel:DWORD
	s_nop 1
	v_cndmask_b32_e64 v51, v51, v52, s[0:1]
; %bb.381:                              ;   in Loop: Header=BB349_171 Depth=1
	s_or_b64 exec, exec, s[8:9]
	v_lshlrev_b32_e32 v52, 16, v58
	v_mul_f32_e32 v53, v38, v52
	v_and_b32_e32 v52, 0x7f800000, v53
	v_cmp_ne_u32_e64 s[0:1], s14, v52
                                        ; implicit-def: $vgpr52
	s_and_saveexec_b64 s[8:9], s[0:1]
	s_xor_b64 s[0:1], exec, s[8:9]
; %bb.382:                              ;   in Loop: Header=BB349_171 Depth=1
	v_bfe_u32 v52, v53, 16, 1
	v_add3_u32 v52, v53, v52, s15
                                        ; implicit-def: $vgpr53
; %bb.383:                              ;   in Loop: Header=BB349_171 Depth=1
	s_andn2_saveexec_b64 s[8:9], s[0:1]
; %bb.384:                              ;   in Loop: Header=BB349_171 Depth=1
	v_or_b32_e32 v52, 0x10000, v53
	v_cmp_eq_u32_sdwa s[0:1], v53, v17 src0_sel:WORD_0 src1_sel:DWORD
	s_nop 1
	v_cndmask_b32_e64 v52, v52, v53, s[0:1]
; %bb.385:                              ;   in Loop: Header=BB349_171 Depth=1
	s_or_b64 exec, exec, s[8:9]
	v_lshlrev_b32_e32 v53, 16, v57
	v_mul_f32_e32 v57, v39, v53
	v_and_b32_e32 v53, 0x7f800000, v57
	v_cmp_ne_u32_e64 s[0:1], s14, v53
                                        ; implicit-def: $vgpr53
	s_and_saveexec_b64 s[8:9], s[0:1]
	s_xor_b64 s[0:1], exec, s[8:9]
; %bb.386:                              ;   in Loop: Header=BB349_171 Depth=1
	v_bfe_u32 v53, v57, 16, 1
	v_add3_u32 v53, v57, v53, s15
                                        ; implicit-def: $vgpr57
; %bb.387:                              ;   in Loop: Header=BB349_171 Depth=1
	s_andn2_saveexec_b64 s[8:9], s[0:1]
; %bb.388:                              ;   in Loop: Header=BB349_171 Depth=1
	v_or_b32_e32 v53, 0x10000, v57
	v_cmp_eq_u32_sdwa s[0:1], v57, v17 src0_sel:WORD_0 src1_sel:DWORD
	s_nop 1
	v_cndmask_b32_e64 v53, v53, v57, s[0:1]
; %bb.389:                              ;   in Loop: Header=BB349_171 Depth=1
	s_or_b64 exec, exec, s[8:9]
	v_lshlrev_b32_e32 v54, 16, v54
	v_mul_f32_e32 v57, v40, v54
	v_and_b32_e32 v54, 0x7f800000, v57
	v_cmp_ne_u32_e64 s[0:1], s14, v54
                                        ; implicit-def: $vgpr54
	s_and_saveexec_b64 s[8:9], s[0:1]
	s_xor_b64 s[0:1], exec, s[8:9]
; %bb.390:                              ;   in Loop: Header=BB349_171 Depth=1
	v_bfe_u32 v54, v57, 16, 1
	v_add3_u32 v54, v57, v54, s15
                                        ; implicit-def: $vgpr57
; %bb.391:                              ;   in Loop: Header=BB349_171 Depth=1
	s_andn2_saveexec_b64 s[8:9], s[0:1]
; %bb.392:                              ;   in Loop: Header=BB349_171 Depth=1
	v_or_b32_e32 v54, 0x10000, v57
	v_cmp_eq_u32_sdwa s[0:1], v57, v17 src0_sel:WORD_0 src1_sel:DWORD
	s_nop 1
	v_cndmask_b32_e64 v54, v54, v57, s[0:1]
; %bb.393:                              ;   in Loop: Header=BB349_171 Depth=1
	s_or_b64 exec, exec, s[8:9]
	v_lshlrev_b32_e32 v55, 16, v55
	v_mul_f32_e32 v57, v41, v55
	v_and_b32_e32 v55, 0x7f800000, v57
	v_cmp_ne_u32_e64 s[0:1], s14, v55
                                        ; implicit-def: $vgpr55
	s_and_saveexec_b64 s[8:9], s[0:1]
	s_xor_b64 s[0:1], exec, s[8:9]
; %bb.394:                              ;   in Loop: Header=BB349_171 Depth=1
	v_bfe_u32 v55, v57, 16, 1
	v_add3_u32 v55, v57, v55, s15
                                        ; implicit-def: $vgpr57
; %bb.395:                              ;   in Loop: Header=BB349_171 Depth=1
	s_andn2_saveexec_b64 s[8:9], s[0:1]
; %bb.396:                              ;   in Loop: Header=BB349_171 Depth=1
	v_or_b32_e32 v55, 0x10000, v57
	v_cmp_eq_u32_sdwa s[0:1], v57, v17 src0_sel:WORD_0 src1_sel:DWORD
	s_nop 1
	v_cndmask_b32_e64 v55, v55, v57, s[0:1]
; %bb.397:                              ;   in Loop: Header=BB349_171 Depth=1
	s_or_b64 exec, exec, s[8:9]
	v_lshlrev_b32_e32 v56, 16, v56
	v_mul_f32_e32 v57, v42, v56
	v_and_b32_e32 v56, 0x7f800000, v57
	v_cmp_ne_u32_e64 s[0:1], s14, v56
                                        ; implicit-def: $vgpr56
	s_and_saveexec_b64 s[8:9], s[0:1]
	s_xor_b64 s[0:1], exec, s[8:9]
; %bb.398:                              ;   in Loop: Header=BB349_171 Depth=1
	v_bfe_u32 v56, v57, 16, 1
	v_add3_u32 v56, v57, v56, s15
                                        ; implicit-def: $vgpr57
; %bb.399:                              ;   in Loop: Header=BB349_171 Depth=1
	s_andn2_saveexec_b64 s[8:9], s[0:1]
; %bb.400:                              ;   in Loop: Header=BB349_171 Depth=1
	v_or_b32_e32 v56, 0x10000, v57
	v_cmp_eq_u32_sdwa s[0:1], v57, v17 src0_sel:WORD_0 src1_sel:DWORD
	s_nop 1
	v_cndmask_b32_e64 v56, v56, v57, s[0:1]
; %bb.401:                              ;   in Loop: Header=BB349_171 Depth=1
	s_or_b64 exec, exec, s[8:9]
	global_load_dwordx2 v[2:3], v[2:3], off offset:1536
	s_waitcnt vmcnt(0)
	v_and_b32_e32 v57, 0xff, v2
	v_cvt_f32_fp8_sdwa v57, v57 src0_sel:BYTE_0
	s_nop 0
	v_mul_f32_e32 v58, s12, v57
	v_and_b32_e32 v57, 0x7f800000, v58
	v_cmp_ne_u32_e64 s[0:1], s14, v57
                                        ; implicit-def: $vgpr57
	s_and_saveexec_b64 s[8:9], s[0:1]
	s_xor_b64 s[0:1], exec, s[8:9]
; %bb.402:                              ;   in Loop: Header=BB349_171 Depth=1
	v_bfe_u32 v57, v58, 16, 1
	v_add3_u32 v57, v58, v57, s15
                                        ; implicit-def: $vgpr58
; %bb.403:                              ;   in Loop: Header=BB349_171 Depth=1
	s_andn2_saveexec_b64 s[8:9], s[0:1]
; %bb.404:                              ;   in Loop: Header=BB349_171 Depth=1
	v_or_b32_e32 v57, 0x10000, v58
	v_cmp_eq_u32_sdwa s[0:1], v58, v17 src0_sel:WORD_0 src1_sel:DWORD
	s_nop 1
	v_cndmask_b32_e64 v57, v57, v58, s[0:1]
; %bb.405:                              ;   in Loop: Header=BB349_171 Depth=1
	s_or_b64 exec, exec, s[8:9]
	v_bfe_u32 v58, v2, 8, 8
	v_cvt_f32_fp8_sdwa v58, v58 src0_sel:BYTE_0
	s_nop 0
	v_mul_f32_e32 v59, s12, v58
	v_and_b32_e32 v58, 0x7f800000, v59
	v_cmp_ne_u32_e64 s[0:1], s14, v58
                                        ; implicit-def: $vgpr58
	s_and_saveexec_b64 s[8:9], s[0:1]
	s_xor_b64 s[0:1], exec, s[8:9]
; %bb.406:                              ;   in Loop: Header=BB349_171 Depth=1
	v_bfe_u32 v58, v59, 16, 1
	v_add3_u32 v58, v59, v58, s15
                                        ; implicit-def: $vgpr59
; %bb.407:                              ;   in Loop: Header=BB349_171 Depth=1
	s_andn2_saveexec_b64 s[8:9], s[0:1]
; %bb.408:                              ;   in Loop: Header=BB349_171 Depth=1
	v_or_b32_e32 v58, 0x10000, v59
	v_cmp_eq_u32_sdwa s[0:1], v59, v17 src0_sel:WORD_0 src1_sel:DWORD
	s_nop 1
	v_cndmask_b32_e64 v58, v58, v59, s[0:1]
; %bb.409:                              ;   in Loop: Header=BB349_171 Depth=1
	s_or_b64 exec, exec, s[8:9]
	v_bfe_u32 v59, v2, 16, 8
	v_cvt_f32_fp8_sdwa v59, v59 src0_sel:BYTE_0
	s_nop 0
	v_mul_f32_e32 v59, s12, v59
	v_and_b32_e32 v60, 0x7f800000, v59
	v_cmp_ne_u32_e64 s[0:1], s14, v60
                                        ; implicit-def: $vgpr60
	s_and_saveexec_b64 s[8:9], s[0:1]
	s_xor_b64 s[0:1], exec, s[8:9]
; %bb.410:                              ;   in Loop: Header=BB349_171 Depth=1
	v_bfe_u32 v60, v59, 16, 1
	v_add3_u32 v60, v59, v60, s15
                                        ; implicit-def: $vgpr59
; %bb.411:                              ;   in Loop: Header=BB349_171 Depth=1
	s_andn2_saveexec_b64 s[8:9], s[0:1]
; %bb.412:                              ;   in Loop: Header=BB349_171 Depth=1
	v_or_b32_e32 v60, 0x10000, v59
	v_cmp_eq_u32_sdwa s[0:1], v59, v17 src0_sel:WORD_0 src1_sel:DWORD
	s_nop 1
	v_cndmask_b32_e64 v60, v60, v59, s[0:1]
; %bb.413:                              ;   in Loop: Header=BB349_171 Depth=1
	s_or_b64 exec, exec, s[8:9]
	v_lshrrev_b32_e32 v2, 24, v2
	v_cvt_f32_fp8_sdwa v2, v2 src0_sel:BYTE_0
	s_nop 0
	v_mul_f32_e32 v59, s12, v2
	v_and_b32_e32 v2, 0x7f800000, v59
	v_cmp_ne_u32_e64 s[0:1], s14, v2
                                        ; implicit-def: $vgpr2
	s_and_saveexec_b64 s[8:9], s[0:1]
	s_xor_b64 s[0:1], exec, s[8:9]
; %bb.414:                              ;   in Loop: Header=BB349_171 Depth=1
	v_bfe_u32 v2, v59, 16, 1
	v_add3_u32 v2, v59, v2, s15
                                        ; implicit-def: $vgpr59
; %bb.415:                              ;   in Loop: Header=BB349_171 Depth=1
	s_andn2_saveexec_b64 s[8:9], s[0:1]
; %bb.416:                              ;   in Loop: Header=BB349_171 Depth=1
	v_or_b32_e32 v2, 0x10000, v59
	v_cmp_eq_u32_sdwa s[0:1], v59, v17 src0_sel:WORD_0 src1_sel:DWORD
	s_nop 1
	v_cndmask_b32_e64 v2, v2, v59, s[0:1]
; %bb.417:                              ;   in Loop: Header=BB349_171 Depth=1
	s_or_b64 exec, exec, s[8:9]
	v_and_b32_e32 v59, 0xff, v3
	v_cvt_f32_fp8_sdwa v59, v59 src0_sel:BYTE_0
	s_nop 0
	v_mul_f32_e32 v59, s12, v59
	v_and_b32_e32 v61, 0x7f800000, v59
	v_cmp_ne_u32_e64 s[0:1], s14, v61
                                        ; implicit-def: $vgpr61
	s_and_saveexec_b64 s[8:9], s[0:1]
	s_xor_b64 s[0:1], exec, s[8:9]
; %bb.418:                              ;   in Loop: Header=BB349_171 Depth=1
	v_bfe_u32 v61, v59, 16, 1
	v_add3_u32 v61, v59, v61, s15
                                        ; implicit-def: $vgpr59
; %bb.419:                              ;   in Loop: Header=BB349_171 Depth=1
	s_andn2_saveexec_b64 s[8:9], s[0:1]
; %bb.420:                              ;   in Loop: Header=BB349_171 Depth=1
	v_or_b32_e32 v61, 0x10000, v59
	v_cmp_eq_u32_sdwa s[0:1], v59, v17 src0_sel:WORD_0 src1_sel:DWORD
	s_nop 1
	v_cndmask_b32_e64 v61, v61, v59, s[0:1]
; %bb.421:                              ;   in Loop: Header=BB349_171 Depth=1
	s_or_b64 exec, exec, s[8:9]
	v_bfe_u32 v59, v3, 8, 8
	v_cvt_f32_fp8_sdwa v59, v59 src0_sel:BYTE_0
	s_nop 0
	v_mul_f32_e32 v62, s12, v59
	v_and_b32_e32 v59, 0x7f800000, v62
	v_cmp_ne_u32_e64 s[0:1], s14, v59
                                        ; implicit-def: $vgpr59
	s_and_saveexec_b64 s[8:9], s[0:1]
	s_xor_b64 s[0:1], exec, s[8:9]
; %bb.422:                              ;   in Loop: Header=BB349_171 Depth=1
	v_bfe_u32 v59, v62, 16, 1
	v_add3_u32 v59, v62, v59, s15
                                        ; implicit-def: $vgpr62
; %bb.423:                              ;   in Loop: Header=BB349_171 Depth=1
	s_andn2_saveexec_b64 s[8:9], s[0:1]
; %bb.424:                              ;   in Loop: Header=BB349_171 Depth=1
	v_or_b32_e32 v59, 0x10000, v62
	v_cmp_eq_u32_sdwa s[0:1], v62, v17 src0_sel:WORD_0 src1_sel:DWORD
	s_nop 1
	v_cndmask_b32_e64 v59, v59, v62, s[0:1]
; %bb.425:                              ;   in Loop: Header=BB349_171 Depth=1
	s_or_b64 exec, exec, s[8:9]
	v_bfe_u32 v62, v3, 16, 8
	v_cvt_f32_fp8_sdwa v62, v62 src0_sel:BYTE_0
	s_nop 0
	v_mul_f32_e32 v62, s12, v62
	v_and_b32_e32 v63, 0x7f800000, v62
	v_cmp_ne_u32_e64 s[0:1], s14, v63
                                        ; implicit-def: $vgpr63
	s_and_saveexec_b64 s[8:9], s[0:1]
	s_xor_b64 s[0:1], exec, s[8:9]
; %bb.426:                              ;   in Loop: Header=BB349_171 Depth=1
	v_bfe_u32 v63, v62, 16, 1
	v_add3_u32 v63, v62, v63, s15
                                        ; implicit-def: $vgpr62
; %bb.427:                              ;   in Loop: Header=BB349_171 Depth=1
	s_andn2_saveexec_b64 s[8:9], s[0:1]
; %bb.428:                              ;   in Loop: Header=BB349_171 Depth=1
	v_or_b32_e32 v63, 0x10000, v62
	v_cmp_eq_u32_sdwa s[0:1], v62, v17 src0_sel:WORD_0 src1_sel:DWORD
	s_nop 1
	v_cndmask_b32_e64 v63, v63, v62, s[0:1]
; %bb.429:                              ;   in Loop: Header=BB349_171 Depth=1
	s_or_b64 exec, exec, s[8:9]
	v_lshrrev_b32_e32 v3, 24, v3
	v_cvt_f32_fp8_sdwa v3, v3 src0_sel:BYTE_0
                                        ; implicit-def: $vgpr64
	s_nop 0
	v_mul_f32_e32 v3, s12, v3
	v_and_b32_e32 v62, 0x7f800000, v3
	v_cmp_ne_u32_e64 s[0:1], s14, v62
	s_and_saveexec_b64 s[8:9], s[0:1]
	s_xor_b64 s[0:1], exec, s[8:9]
; %bb.430:                              ;   in Loop: Header=BB349_171 Depth=1
	v_bfe_u32 v62, v3, 16, 1
	v_add3_u32 v64, v3, v62, s15
                                        ; implicit-def: $vgpr3
; %bb.431:                              ;   in Loop: Header=BB349_171 Depth=1
	s_andn2_saveexec_b64 s[8:9], s[0:1]
; %bb.432:                              ;   in Loop: Header=BB349_171 Depth=1
	v_or_b32_e32 v62, 0x10000, v3
	v_cmp_eq_u32_sdwa s[0:1], v3, v17 src0_sel:WORD_0 src1_sel:DWORD
	s_nop 1
	v_cndmask_b32_e64 v64, v62, v3, s[0:1]
; %bb.433:                              ;   in Loop: Header=BB349_171 Depth=1
	s_or_b64 exec, exec, s[8:9]
	v_lshrrev_b32_e32 v59, 16, v59
	v_lshrrev_b32_e32 v61, 16, v61
	;; [unrolled: 1-line block ×8, first 2 shown]
	s_and_saveexec_b64 s[0:1], vcc
	s_cbranch_execz .LBB349_435
; %bb.434:                              ;   in Loop: Header=BB349_171 Depth=1
	v_cmp_gt_i32_e32 vcc, s33, v27
	s_nop 1
	v_cndmask_b32_e32 v2, 0, v2, vcc
	v_cmp_gt_i32_e32 vcc, s33, v33
	s_nop 1
	v_cndmask_b32_e32 v3, 0, v3, vcc
	;; [unrolled: 3-line block ×8, first 2 shown]
.LBB349_435:                            ;   in Loop: Header=BB349_171 Depth=1
	s_or_b64 exec, exec, s[0:1]
	v_lshlrev_b32_e32 v2, 16, v2
	v_mul_f32_e32 v27, v35, v2
	v_and_b32_e32 v2, 0x7f800000, v27
	v_cmp_ne_u32_e32 vcc, s14, v2
                                        ; implicit-def: $vgpr2
	s_and_saveexec_b64 s[0:1], vcc
	s_xor_b64 s[0:1], exec, s[0:1]
; %bb.436:                              ;   in Loop: Header=BB349_171 Depth=1
	v_bfe_u32 v2, v27, 16, 1
	v_add3_u32 v2, v27, v2, s15
                                        ; implicit-def: $vgpr27
; %bb.437:                              ;   in Loop: Header=BB349_171 Depth=1
	s_andn2_saveexec_b64 s[0:1], s[0:1]
; %bb.438:                              ;   in Loop: Header=BB349_171 Depth=1
	v_or_b32_e32 v2, 0x10000, v27
	v_cmp_eq_u32_sdwa vcc, v27, v17 src0_sel:WORD_0 src1_sel:DWORD
	s_nop 1
	v_cndmask_b32_e32 v2, v2, v27, vcc
; %bb.439:                              ;   in Loop: Header=BB349_171 Depth=1
	s_or_b64 exec, exec, s[0:1]
	v_lshlrev_b32_e32 v3, 16, v3
	v_mul_f32_e32 v27, v36, v3
	v_and_b32_e32 v3, 0x7f800000, v27
	v_cmp_ne_u32_e32 vcc, s14, v3
                                        ; implicit-def: $vgpr3
	s_and_saveexec_b64 s[0:1], vcc
	s_xor_b64 s[0:1], exec, s[0:1]
; %bb.440:                              ;   in Loop: Header=BB349_171 Depth=1
	v_bfe_u32 v3, v27, 16, 1
	v_add3_u32 v3, v27, v3, s15
                                        ; implicit-def: $vgpr27
; %bb.441:                              ;   in Loop: Header=BB349_171 Depth=1
	s_andn2_saveexec_b64 s[0:1], s[0:1]
; %bb.442:                              ;   in Loop: Header=BB349_171 Depth=1
	v_or_b32_e32 v3, 0x10000, v27
	v_cmp_eq_u32_sdwa vcc, v27, v17 src0_sel:WORD_0 src1_sel:DWORD
	s_nop 1
	v_cndmask_b32_e32 v3, v3, v27, vcc
; %bb.443:                              ;   in Loop: Header=BB349_171 Depth=1
	s_or_b64 exec, exec, s[0:1]
	v_lshlrev_b32_e32 v27, 16, v60
	v_mul_f32_e32 v28, v37, v27
	v_and_b32_e32 v27, 0x7f800000, v28
	v_cmp_ne_u32_e32 vcc, s14, v27
                                        ; implicit-def: $vgpr27
	s_and_saveexec_b64 s[0:1], vcc
	s_xor_b64 s[0:1], exec, s[0:1]
; %bb.444:                              ;   in Loop: Header=BB349_171 Depth=1
	v_bfe_u32 v27, v28, 16, 1
	v_add3_u32 v27, v28, v27, s15
                                        ; implicit-def: $vgpr28
; %bb.445:                              ;   in Loop: Header=BB349_171 Depth=1
	s_andn2_saveexec_b64 s[0:1], s[0:1]
; %bb.446:                              ;   in Loop: Header=BB349_171 Depth=1
	v_or_b32_e32 v27, 0x10000, v28
	v_cmp_eq_u32_sdwa vcc, v28, v17 src0_sel:WORD_0 src1_sel:DWORD
	s_nop 1
	v_cndmask_b32_e32 v27, v27, v28, vcc
; %bb.447:                              ;   in Loop: Header=BB349_171 Depth=1
	s_or_b64 exec, exec, s[0:1]
	v_lshlrev_b32_e32 v28, 16, v62
	v_mul_f32_e32 v29, v38, v28
	v_and_b32_e32 v28, 0x7f800000, v29
	v_cmp_ne_u32_e32 vcc, s14, v28
                                        ; implicit-def: $vgpr28
	s_and_saveexec_b64 s[0:1], vcc
	s_xor_b64 s[0:1], exec, s[0:1]
; %bb.448:                              ;   in Loop: Header=BB349_171 Depth=1
	v_bfe_u32 v28, v29, 16, 1
	v_add3_u32 v28, v29, v28, s15
                                        ; implicit-def: $vgpr29
; %bb.449:                              ;   in Loop: Header=BB349_171 Depth=1
	s_andn2_saveexec_b64 s[0:1], s[0:1]
; %bb.450:                              ;   in Loop: Header=BB349_171 Depth=1
	v_or_b32_e32 v28, 0x10000, v29
	v_cmp_eq_u32_sdwa vcc, v29, v17 src0_sel:WORD_0 src1_sel:DWORD
	s_nop 1
	v_cndmask_b32_e32 v28, v28, v29, vcc
; %bb.451:                              ;   in Loop: Header=BB349_171 Depth=1
	s_or_b64 exec, exec, s[0:1]
	v_lshlrev_b32_e32 v29, 16, v61
	v_mul_f32_e32 v30, v39, v29
	v_and_b32_e32 v29, 0x7f800000, v30
	v_cmp_ne_u32_e32 vcc, s14, v29
                                        ; implicit-def: $vgpr29
	s_and_saveexec_b64 s[0:1], vcc
	s_xor_b64 s[0:1], exec, s[0:1]
; %bb.452:                              ;   in Loop: Header=BB349_171 Depth=1
	v_bfe_u32 v29, v30, 16, 1
	v_add3_u32 v29, v30, v29, s15
                                        ; implicit-def: $vgpr30
; %bb.453:                              ;   in Loop: Header=BB349_171 Depth=1
	s_andn2_saveexec_b64 s[0:1], s[0:1]
; %bb.454:                              ;   in Loop: Header=BB349_171 Depth=1
	v_or_b32_e32 v29, 0x10000, v30
	v_cmp_eq_u32_sdwa vcc, v30, v17 src0_sel:WORD_0 src1_sel:DWORD
	s_nop 1
	v_cndmask_b32_e32 v29, v29, v30, vcc
; %bb.455:                              ;   in Loop: Header=BB349_171 Depth=1
	s_or_b64 exec, exec, s[0:1]
	v_lshlrev_b32_e32 v30, 16, v59
	v_mul_f32_e32 v31, v40, v30
	v_and_b32_e32 v30, 0x7f800000, v31
	v_cmp_ne_u32_e32 vcc, s14, v30
                                        ; implicit-def: $vgpr30
	s_and_saveexec_b64 s[0:1], vcc
	s_xor_b64 s[0:1], exec, s[0:1]
; %bb.456:                              ;   in Loop: Header=BB349_171 Depth=1
	v_bfe_u32 v30, v31, 16, 1
	v_add3_u32 v30, v31, v30, s15
                                        ; implicit-def: $vgpr31
; %bb.457:                              ;   in Loop: Header=BB349_171 Depth=1
	s_andn2_saveexec_b64 s[0:1], s[0:1]
; %bb.458:                              ;   in Loop: Header=BB349_171 Depth=1
	v_or_b32_e32 v30, 0x10000, v31
	v_cmp_eq_u32_sdwa vcc, v31, v17 src0_sel:WORD_0 src1_sel:DWORD
	s_nop 1
	v_cndmask_b32_e32 v30, v30, v31, vcc
; %bb.459:                              ;   in Loop: Header=BB349_171 Depth=1
	s_or_b64 exec, exec, s[0:1]
	v_lshlrev_b32_e32 v31, 16, v58
	v_mul_f32_e32 v32, v41, v31
	v_and_b32_e32 v31, 0x7f800000, v32
	v_cmp_ne_u32_e32 vcc, s14, v31
                                        ; implicit-def: $vgpr31
	s_and_saveexec_b64 s[0:1], vcc
	s_xor_b64 s[0:1], exec, s[0:1]
; %bb.460:                              ;   in Loop: Header=BB349_171 Depth=1
	v_bfe_u32 v31, v32, 16, 1
	v_add3_u32 v31, v32, v31, s15
                                        ; implicit-def: $vgpr32
; %bb.461:                              ;   in Loop: Header=BB349_171 Depth=1
	s_andn2_saveexec_b64 s[0:1], s[0:1]
; %bb.462:                              ;   in Loop: Header=BB349_171 Depth=1
	v_or_b32_e32 v31, 0x10000, v32
	v_cmp_eq_u32_sdwa vcc, v32, v17 src0_sel:WORD_0 src1_sel:DWORD
	s_nop 1
	v_cndmask_b32_e32 v31, v31, v32, vcc
; %bb.463:                              ;   in Loop: Header=BB349_171 Depth=1
	s_or_b64 exec, exec, s[0:1]
	v_lshlrev_b32_e32 v32, 16, v57
	v_mul_f32_e32 v33, v42, v32
	v_and_b32_e32 v32, 0x7f800000, v33
	v_cmp_ne_u32_e32 vcc, s14, v32
                                        ; implicit-def: $vgpr32
	s_and_saveexec_b64 s[0:1], vcc
	s_xor_b64 s[0:1], exec, s[0:1]
; %bb.464:                              ;   in Loop: Header=BB349_171 Depth=1
	v_bfe_u32 v32, v33, 16, 1
	v_add3_u32 v32, v33, v32, s15
                                        ; implicit-def: $vgpr33
; %bb.465:                              ;   in Loop: Header=BB349_171 Depth=1
	s_andn2_saveexec_b64 s[0:1], s[0:1]
	s_cbranch_execz .LBB349_170
; %bb.466:                              ;   in Loop: Header=BB349_171 Depth=1
	v_or_b32_e32 v32, 0x10000, v33
	v_cmp_eq_u32_sdwa vcc, v33, v17 src0_sel:WORD_0 src1_sel:DWORD
	s_nop 1
	v_cndmask_b32_e32 v32, v32, v33, vcc
	s_branch .LBB349_170
.LBB349_467:
	s_or_b64 exec, exec, s[6:7]
.LBB349_468:
	s_or_b64 exec, exec, s[2:3]
	ds_bpermute_b32 v2, v22, v14
	ds_bpermute_b32 v3, v22, v15
	;; [unrolled: 1-line block ×4, first 2 shown]
	s_waitcnt lgkmcnt(0)
	s_barrier
	v_pk_add_f32 v[4:5], v[14:15], v[2:3]
	v_pk_add_f32 v[2:3], v[12:13], v[6:7]
	v_and_b32_e32 v6, 0x3c1, v0
	v_cmp_eq_u32_e32 vcc, 64, v6
	s_and_saveexec_b64 s[0:1], vcc
	s_cbranch_execz .LBB349_470
; %bb.469:
	v_mov_b32_e32 v6, 0x110
	v_lshl_add_u32 v1, v1, 1, v6
	ds_write2_b32 v1, v4, v5 offset1:32
	ds_write2_b32 v1, v2, v3 offset0:64 offset1:96
.LBB349_470:
	s_or_b64 exec, exec, s[0:1]
	s_waitcnt lgkmcnt(0)
	s_barrier
	s_and_saveexec_b64 s[0:1], s[10:11]
	s_cbranch_execz .LBB349_477
; %bb.471:
	v_cmp_eq_u32_e32 vcc, 0, v23
	v_lshrrev_b32_e32 v1, 1, v0
	s_and_saveexec_b64 s[2:3], vcc
	s_cbranch_execnz .LBB349_497
; %bb.472:
	s_or_b64 exec, exec, s[2:3]
	s_and_saveexec_b64 s[2:3], vcc
	s_cbranch_execnz .LBB349_498
.LBB349_473:
	s_or_b64 exec, exec, s[2:3]
	s_and_saveexec_b64 s[2:3], vcc
	s_cbranch_execnz .LBB349_499
.LBB349_474:
	s_or_b64 exec, exec, s[2:3]
	s_and_saveexec_b64 s[2:3], vcc
	s_cbranch_execz .LBB349_476
.LBB349_475:
	v_mov_b32_e32 v6, 0x110
	v_lshl_add_u32 v1, v1, 2, v6
	ds_read_b32 v1, v1 offset:384
	s_waitcnt lgkmcnt(0)
	v_add_f32_e32 v3, v3, v1
.LBB349_476:
	s_or_b64 exec, exec, s[2:3]
.LBB349_477:
	s_or_b64 exec, exec, s[0:1]
	s_barrier
	s_and_saveexec_b64 s[0:1], s[10:11]
	s_cbranch_execz .LBB349_496
; %bb.478:
	v_cmp_eq_u32_e32 vcc, 0, v23
	s_and_b64 exec, exec, vcc
	s_cbranch_execz .LBB349_496
; %bb.479:
	s_mov_b32 s0, 0x7f800000
	v_and_b32_e32 v1, 0x7f800000, v4
	v_cmp_ne_u32_e32 vcc, s0, v1
                                        ; implicit-def: $vgpr6
	s_and_saveexec_b64 s[0:1], vcc
	s_xor_b64 s[0:1], exec, s[0:1]
; %bb.480:
	v_bfe_u32 v1, v4, 16, 1
	s_movk_i32 s2, 0x7fff
	v_add3_u32 v6, v4, v1, s2
; %bb.481:
	s_andn2_saveexec_b64 s[0:1], s[0:1]
; %bb.482:
	v_mov_b32_e32 v1, 0
	v_or_b32_e32 v6, 0x10000, v4
	v_cmp_eq_u32_sdwa vcc, v4, v1 src0_sel:WORD_0 src1_sel:DWORD
	s_nop 1
	v_cndmask_b32_e32 v6, v6, v4, vcc
; %bb.483:
	s_or_b64 exec, exec, s[0:1]
	s_mul_i32 s0, s16, s24
	s_mul_i32 s0, s0, s25
	s_lshl_b32 s0, s0, 7
	s_ashr_i32 s1, s0, 31
	s_lshl_b64 s[0:1], s[0:1], 1
	s_add_u32 s2, s28, s0
	s_mul_i32 s0, s16, s26
	s_addc_u32 s3, s29, s1
	s_ashr_i32 s1, s0, 31
	s_lshl_b64 s[0:1], s[0:1], 1
	s_add_u32 s2, s2, s0
	s_addc_u32 s3, s3, s1
	s_lshl_b32 s0, s4, 7
	s_ashr_i32 s1, s0, 31
	s_lshl_b64 s[0:1], s[0:1], 1
	s_add_u32 s0, s2, s0
	s_mov_b32 s2, 0x7f800000
	v_and_b32_e32 v4, 0x7f800000, v5
	s_addc_u32 s1, s3, s1
	v_and_b32_e32 v0, 0x3fe, v0
	v_mov_b32_e32 v1, 0
	v_cmp_ne_u32_e32 vcc, s2, v4
	global_store_short_d16_hi v0, v6, s[0:1]
                                        ; implicit-def: $vgpr4
	s_and_saveexec_b64 s[2:3], vcc
	s_xor_b64 s[2:3], exec, s[2:3]
; %bb.484:
	v_bfe_u32 v4, v5, 16, 1
	s_movk_i32 s4, 0x7fff
	v_add3_u32 v4, v5, v4, s4
; %bb.485:
	s_or_saveexec_b64 s[2:3], s[2:3]
	v_lshl_add_u64 v[6:7], s[0:1], 0, v[0:1]
	s_xor_b64 exec, exec, s[2:3]
; %bb.486:
	v_mov_b32_e32 v0, 0
	v_or_b32_e32 v1, 0x10000, v5
	v_cmp_eq_u32_sdwa vcc, v5, v0 src0_sel:WORD_0 src1_sel:DWORD
	s_nop 1
	v_cndmask_b32_e32 v4, v1, v5, vcc
; %bb.487:
	s_or_b64 exec, exec, s[2:3]
	s_mov_b32 s0, 0x7f800000
	v_and_b32_e32 v0, 0x7f800000, v2
	v_cmp_ne_u32_e32 vcc, s0, v0
	global_store_short_d16_hi v[6:7], v4, off offset:64
                                        ; implicit-def: $vgpr0
	s_and_saveexec_b64 s[0:1], vcc
	s_xor_b64 s[0:1], exec, s[0:1]
; %bb.488:
	v_bfe_u32 v0, v2, 16, 1
	s_movk_i32 s2, 0x7fff
	v_add3_u32 v0, v2, v0, s2
; %bb.489:
	s_andn2_saveexec_b64 s[0:1], s[0:1]
; %bb.490:
	v_mov_b32_e32 v0, 0
	v_or_b32_e32 v1, 0x10000, v2
	v_cmp_eq_u32_sdwa vcc, v2, v0 src0_sel:WORD_0 src1_sel:DWORD
	s_nop 1
	v_cndmask_b32_e32 v0, v1, v2, vcc
; %bb.491:
	s_or_b64 exec, exec, s[0:1]
	global_store_short_d16_hi v[6:7], v0, off offset:128
	s_mov_b32 s0, 0x7f800000
	v_and_b32_e32 v0, 0x7f800000, v3
	v_cmp_ne_u32_e32 vcc, s0, v0
                                        ; implicit-def: $vgpr4
	s_and_saveexec_b64 s[0:1], vcc
	s_xor_b64 s[0:1], exec, s[0:1]
; %bb.492:
	v_bfe_u32 v0, v3, 16, 1
	s_movk_i32 s2, 0x7fff
	v_add3_u32 v4, v3, v0, s2
                                        ; implicit-def: $vgpr0_vgpr1_vgpr2_vgpr3
; %bb.493:
	s_andn2_saveexec_b64 s[0:1], s[0:1]
; %bb.494:
	v_mov_b32_e32 v0, 0
	v_or_b32_e32 v1, 0x10000, v3
	v_cmp_eq_u32_sdwa vcc, v3, v0 src0_sel:WORD_0 src1_sel:DWORD
	s_nop 1
	v_cndmask_b32_e32 v4, v1, v3, vcc
; %bb.495:
	s_or_b64 exec, exec, s[0:1]
	global_store_short_d16_hi v[6:7], v4, off offset:192
.LBB349_496:
	s_endpgm
.LBB349_497:
	v_mov_b32_e32 v6, 0x110
	v_lshl_add_u32 v6, v1, 2, v6
	ds_read_b32 v6, v6
	s_waitcnt lgkmcnt(0)
	v_add_f32_e32 v4, v4, v6
	s_or_b64 exec, exec, s[2:3]
	s_and_saveexec_b64 s[2:3], vcc
	s_cbranch_execz .LBB349_473
.LBB349_498:
	v_mov_b32_e32 v6, 0x110
	v_lshl_add_u32 v6, v1, 2, v6
	ds_read_b32 v6, v6 offset:128
	s_waitcnt lgkmcnt(0)
	v_add_f32_e32 v5, v5, v6
	s_or_b64 exec, exec, s[2:3]
	s_and_saveexec_b64 s[2:3], vcc
	s_cbranch_execz .LBB349_474
.LBB349_499:
	v_mov_b32_e32 v6, 0x110
	v_lshl_add_u32 v6, v1, 2, v6
	ds_read_b32 v6, v6 offset:256
	s_waitcnt lgkmcnt(0)
	v_add_f32_e32 v2, v2, v6
	s_or_b64 exec, exec, s[2:3]
	s_and_saveexec_b64 s[2:3], vcc
	s_cbranch_execnz .LBB349_475
	s_branch .LBB349_476
	.section	.rodata,"a",@progbits
	.p2align	6, 0x0
	.amdhsa_kernel _ZN4vllm25paged_attention_v2_kernelI14__hip_bfloat16hLi128ELi16ELi128ELNS_18Fp8KVCacheDataTypeE1ELb0ELi512EEEvPfS3_PT_PKS4_PKT0_SA_ifPKiSC_iPKfiiiSE_SE_iiiii
		.amdhsa_group_segment_fixed_size 272
		.amdhsa_private_segment_fixed_size 0
		.amdhsa_kernarg_size 400
		.amdhsa_user_sgpr_count 2
		.amdhsa_user_sgpr_dispatch_ptr 0
		.amdhsa_user_sgpr_queue_ptr 0
		.amdhsa_user_sgpr_kernarg_segment_ptr 1
		.amdhsa_user_sgpr_dispatch_id 0
		.amdhsa_user_sgpr_kernarg_preload_length 0
		.amdhsa_user_sgpr_kernarg_preload_offset 0
		.amdhsa_user_sgpr_private_segment_size 0
		.amdhsa_uses_dynamic_stack 0
		.amdhsa_enable_private_segment 0
		.amdhsa_system_sgpr_workgroup_id_x 1
		.amdhsa_system_sgpr_workgroup_id_y 1
		.amdhsa_system_sgpr_workgroup_id_z 1
		.amdhsa_system_sgpr_workgroup_info 0
		.amdhsa_system_vgpr_workitem_id 0
		.amdhsa_next_free_vgpr 83
		.amdhsa_next_free_sgpr 50
		.amdhsa_accum_offset 84
		.amdhsa_reserve_vcc 1
		.amdhsa_float_round_mode_32 0
		.amdhsa_float_round_mode_16_64 0
		.amdhsa_float_denorm_mode_32 3
		.amdhsa_float_denorm_mode_16_64 3
		.amdhsa_dx10_clamp 1
		.amdhsa_ieee_mode 1
		.amdhsa_fp16_overflow 0
		.amdhsa_tg_split 0
		.amdhsa_exception_fp_ieee_invalid_op 0
		.amdhsa_exception_fp_denorm_src 0
		.amdhsa_exception_fp_ieee_div_zero 0
		.amdhsa_exception_fp_ieee_overflow 0
		.amdhsa_exception_fp_ieee_underflow 0
		.amdhsa_exception_fp_ieee_inexact 0
		.amdhsa_exception_int_div_zero 0
	.end_amdhsa_kernel
	.section	.text._ZN4vllm25paged_attention_v2_kernelI14__hip_bfloat16hLi128ELi16ELi128ELNS_18Fp8KVCacheDataTypeE1ELb0ELi512EEEvPfS3_PT_PKS4_PKT0_SA_ifPKiSC_iPKfiiiSE_SE_iiiii,"axG",@progbits,_ZN4vllm25paged_attention_v2_kernelI14__hip_bfloat16hLi128ELi16ELi128ELNS_18Fp8KVCacheDataTypeE1ELb0ELi512EEEvPfS3_PT_PKS4_PKT0_SA_ifPKiSC_iPKfiiiSE_SE_iiiii,comdat
.Lfunc_end349:
	.size	_ZN4vllm25paged_attention_v2_kernelI14__hip_bfloat16hLi128ELi16ELi128ELNS_18Fp8KVCacheDataTypeE1ELb0ELi512EEEvPfS3_PT_PKS4_PKT0_SA_ifPKiSC_iPKfiiiSE_SE_iiiii, .Lfunc_end349-_ZN4vllm25paged_attention_v2_kernelI14__hip_bfloat16hLi128ELi16ELi128ELNS_18Fp8KVCacheDataTypeE1ELb0ELi512EEEvPfS3_PT_PKS4_PKT0_SA_ifPKiSC_iPKfiiiSE_SE_iiiii
                                        ; -- End function
	.section	.AMDGPU.csdata,"",@progbits
; Kernel info:
; codeLenInByte = 15160
; NumSgprs: 56
; NumVgprs: 83
; NumAgprs: 0
; TotalNumVgprs: 83
; ScratchSize: 0
; MemoryBound: 0
; FloatMode: 240
; IeeeMode: 1
; LDSByteSize: 272 bytes/workgroup (compile time only)
; SGPRBlocks: 6
; VGPRBlocks: 10
; NumSGPRsForWavesPerEU: 56
; NumVGPRsForWavesPerEU: 83
; AccumOffset: 84
; Occupancy: 5
; WaveLimiterHint : 1
; COMPUTE_PGM_RSRC2:SCRATCH_EN: 0
; COMPUTE_PGM_RSRC2:USER_SGPR: 2
; COMPUTE_PGM_RSRC2:TRAP_HANDLER: 0
; COMPUTE_PGM_RSRC2:TGID_X_EN: 1
; COMPUTE_PGM_RSRC2:TGID_Y_EN: 1
; COMPUTE_PGM_RSRC2:TGID_Z_EN: 1
; COMPUTE_PGM_RSRC2:TIDIG_COMP_CNT: 0
; COMPUTE_PGM_RSRC3_GFX90A:ACCUM_OFFSET: 20
; COMPUTE_PGM_RSRC3_GFX90A:TG_SPLIT: 0
	.section	.text._ZN4vllm25paged_attention_v2_kernelI14__hip_bfloat16hLi192ELi16ELi128ELNS_18Fp8KVCacheDataTypeE1ELb0ELi512EEEvPfS3_PT_PKS4_PKT0_SA_ifPKiSC_iPKfiiiSE_SE_iiiii,"axG",@progbits,_ZN4vllm25paged_attention_v2_kernelI14__hip_bfloat16hLi192ELi16ELi128ELNS_18Fp8KVCacheDataTypeE1ELb0ELi512EEEvPfS3_PT_PKS4_PKT0_SA_ifPKiSC_iPKfiiiSE_SE_iiiii,comdat
	.protected	_ZN4vllm25paged_attention_v2_kernelI14__hip_bfloat16hLi192ELi16ELi128ELNS_18Fp8KVCacheDataTypeE1ELb0ELi512EEEvPfS3_PT_PKS4_PKT0_SA_ifPKiSC_iPKfiiiSE_SE_iiiii ; -- Begin function _ZN4vllm25paged_attention_v2_kernelI14__hip_bfloat16hLi192ELi16ELi128ELNS_18Fp8KVCacheDataTypeE1ELb0ELi512EEEvPfS3_PT_PKS4_PKT0_SA_ifPKiSC_iPKfiiiSE_SE_iiiii
	.globl	_ZN4vllm25paged_attention_v2_kernelI14__hip_bfloat16hLi192ELi16ELi128ELNS_18Fp8KVCacheDataTypeE1ELb0ELi512EEEvPfS3_PT_PKS4_PKT0_SA_ifPKiSC_iPKfiiiSE_SE_iiiii
	.p2align	8
	.type	_ZN4vllm25paged_attention_v2_kernelI14__hip_bfloat16hLi192ELi16ELi128ELNS_18Fp8KVCacheDataTypeE1ELb0ELi512EEEvPfS3_PT_PKS4_PKT0_SA_ifPKiSC_iPKfiiiSE_SE_iiiii,@function
_ZN4vllm25paged_attention_v2_kernelI14__hip_bfloat16hLi192ELi16ELi128ELNS_18Fp8KVCacheDataTypeE1ELb0ELi512EEEvPfS3_PT_PKS4_PKT0_SA_ifPKiSC_iPKfiiiSE_SE_iiiii: ; @_ZN4vllm25paged_attention_v2_kernelI14__hip_bfloat16hLi192ELi16ELi128ELNS_18Fp8KVCacheDataTypeE1ELb0ELi512EEEvPfS3_PT_PKS4_PKT0_SA_ifPKiSC_iPKfiiiSE_SE_iiiii
; %bb.0:
	s_load_dwordx2 s[6:7], s[0:1], 0x40
	s_mov_b32 s24, s3
	s_ashr_i32 s25, s3, 31
	s_lshl_b64 s[8:9], s[24:25], 2
	s_waitcnt lgkmcnt(0)
	s_add_u32 s6, s6, s8
	s_addc_u32 s7, s7, s9
	s_load_dword s33, s[6:7], 0x0
	s_lshl_b32 s40, s4, 9
	s_waitcnt lgkmcnt(0)
	s_cmp_ge_i32 s40, s33
	s_cbranch_scc1 .LBB350_702
; %bb.1:
	s_load_dword s25, s[0:1], 0x90
	s_load_dwordx2 s[10:11], s[0:1], 0x30
	s_waitcnt lgkmcnt(0)
	s_abs_i32 s6, s25
	s_abs_i32 s3, s10
	v_cvt_f32_u32_e32 v1, s3
	s_sub_i32 s7, 0, s3
	s_xor_b32 s5, s25, s10
	s_ashr_i32 s5, s5, 31
	v_rcp_iflag_f32_e32 v1, v1
	s_nop 0
	v_mul_f32_e32 v1, 0x4f7ffffe, v1
	v_cvt_u32_f32_e32 v1, v1
	s_nop 0
	v_readfirstlane_b32 s8, v1
	s_mul_i32 s7, s7, s8
	s_mul_hi_u32 s7, s8, s7
	s_add_i32 s8, s8, s7
	s_mul_hi_u32 s7, s6, s8
	s_mul_i32 s8, s7, s3
	s_sub_i32 s6, s6, s8
	s_add_i32 s9, s7, 1
	s_sub_i32 s8, s6, s3
	s_cmp_ge_u32 s6, s3
	s_cselect_b32 s7, s9, s7
	s_cselect_b32 s6, s8, s6
	s_add_i32 s8, s7, 1
	s_cmp_ge_u32 s6, s3
	s_cselect_b32 s3, s8, s7
	s_xor_b32 s3, s3, s5
	s_sub_i32 s12, s3, s5
	s_abs_i32 s8, s12
	v_cvt_f32_u32_e32 v1, s8
	s_load_dwordx2 s[6:7], s[0:1], 0x50
	s_sub_i32 s3, 0, s8
	s_abs_i32 s9, s2
	v_rcp_iflag_f32_e32 v1, v1
	s_mov_b32 s5, 0
	v_mul_f32_e32 v1, 0x4f7ffffe, v1
	v_cvt_u32_f32_e32 v1, v1
	s_nop 0
	v_readfirstlane_b32 s10, v1
	s_mul_i32 s3, s3, s10
	s_mul_hi_u32 s3, s10, s3
	s_add_i32 s10, s10, s3
	s_waitcnt lgkmcnt(0)
	s_cmp_eq_u64 s[6:7], 0
	s_mul_hi_u32 s10, s9, s10
	s_cbranch_scc1 .LBB350_3
; %bb.2:
	s_ashr_i32 s3, s2, 31
	s_lshl_b64 s[14:15], s[2:3], 2
	s_add_u32 s6, s6, s14
	s_addc_u32 s7, s7, s15
	s_load_dword s5, s[6:7], 0x0
.LBB350_3:
	s_ashr_i32 s17, s12, 31
	s_load_dwordx4 s[12:15], s[0:1], 0x58
	s_movk_i32 s3, 0x60
	s_ashr_i32 s16, s2, 31
	v_and_b32_e32 v6, 3, v0
	s_mul_i32 s26, s2, 0xc0
	v_cmp_gt_u32_e32 vcc, s3, v0
	s_and_saveexec_b64 s[6:7], vcc
	s_cbranch_execz .LBB350_5
; %bb.4:
	s_load_dwordx2 s[18:19], s[0:1], 0x18
	s_waitcnt lgkmcnt(0)
	s_mul_i32 s20, s24, s12
	s_ashr_i32 s21, s20, 31
	s_lshl_b64 s[20:21], s[20:21], 1
	v_lshlrev_b32_e32 v1, 2, v0
	s_add_u32 s12, s18, s20
	s_addc_u32 s15, s19, s21
	s_ashr_i32 s27, s26, 31
	s_lshl_b64 s[18:19], s[26:27], 1
	s_add_u32 s18, s12, s18
	s_addc_u32 s19, s15, s19
	global_load_dword v1, v1, s[18:19]
	v_and_b32_e32 v2, 0x3fc, v0
	v_mad_u32_u24 v2, v6, s3, v2
	s_waitcnt vmcnt(0)
	ds_write_b32 v2, v1
.LBB350_5:
	s_or_b64 exec, exec, s[6:7]
	s_add_i32 s3, s33, 15
	s_ashr_i32 s6, s3, 31
	s_lshr_b32 s6, s6, 28
	s_add_i32 s3, s3, s6
	s_ashr_i32 s41, s3, 4
	s_lshl_b32 s3, s4, 5
	s_mul_i32 s7, s10, s8
	s_add_i32 s6, s3, 32
	s_sub_i32 s7, s9, s7
	s_min_i32 s27, s6, s41
	s_xor_b32 s6, s16, s17
	s_add_i32 s9, s10, 1
	s_waitcnt lgkmcnt(0)
	s_sub_i32 s12, s7, s8
	s_cmp_ge_u32 s7, s8
	s_cselect_b32 s9, s9, s10
	s_cselect_b32 s7, s12, s7
	s_add_i32 s10, s9, 1
	s_cmp_ge_u32 s7, s8
	s_load_dwordx2 s[30:31], s[0:1], 0x38
	s_load_dword s8, s[0:1], 0x48
	v_lshrrev_b32_e32 v22, 6, v0
	s_cselect_b32 s7, s10, s9
	s_xor_b32 s7, s7, s6
	v_or_b32_e32 v10, s3, v22
	s_waitcnt lgkmcnt(0)
	s_mul_i32 s34, s24, s8
	s_sub_i32 s42, s7, s6
	s_ashr_i32 s35, s34, 31
	v_cmp_gt_i32_e64 s[8:9], s27, v10
	v_cmp_le_i32_e32 vcc, s27, v10
	v_mbcnt_lo_u32_b32 v7, -1, 0
	s_barrier
	s_waitcnt lgkmcnt(0)
                                        ; implicit-def: $sgpr10
                                        ; implicit-def: $vgpr12
                                        ; implicit-def: $vgpr13
	s_and_saveexec_b64 s[6:7], vcc
	s_xor_b64 s[6:7], exec, s[6:7]
; %bb.6:
	v_mbcnt_hi_u32_b32 v12, -1, v7
	v_and_b32_e32 v1, 64, v12
	v_add_u32_e32 v13, 64, v1
	s_mov_b32 s10, 0xff7fffff
                                        ; implicit-def: $vgpr6
                                        ; implicit-def: $vgpr7
; %bb.7:
	s_or_saveexec_b64 s[38:39], s[6:7]
	s_load_dwordx4 s[20:23], s[0:1], 0x0
	s_load_dwordx2 s[28:29], s[0:1], 0x10
	s_load_dword s12, s[0:1], 0x98
	s_load_dwordx2 s[36:37], s[0:1], 0x28
	s_load_dwordx4 s[16:19], s[0:1], 0x68
	v_mov_b32_e32 v62, s10
	s_mul_i32 s42, s42, s14
	v_ashrrev_i32_e32 v11, 31, v10
	s_xor_b64 exec, exec, s[38:39]
	s_cbranch_execz .LBB350_205
; %bb.8:
	s_load_dwordx2 s[0:1], s[0:1], 0x20
	s_ashr_i32 s6, s42, 31
	v_bfe_u32 v8, v0, 2, 4
	v_mbcnt_hi_u32_b32 v12, -1, v7
	v_lshlrev_b32_e32 v2, 4, v8
	s_waitcnt lgkmcnt(0)
	s_add_u32 s0, s0, s42
	s_addc_u32 s1, s1, s6
	v_mul_u32_u24_e32 v4, 0x60, v6
	v_mov_b32_e32 v3, 0
	v_and_b32_e32 v7, 64, v12
	ds_read_b128 v[18:21], v4
	ds_read_b128 v[26:29], v4 offset:16
	ds_read_b128 v[34:37], v4 offset:32
	;; [unrolled: 1-line block ×5, first 2 shown]
	v_lshl_add_u64 v[4:5], s[0:1], 0, v[2:3]
	v_lshlrev_b32_e32 v2, 1, v6
	v_add_u32_e32 v13, 64, v7
	v_cmp_eq_u32_e32 vcc, 0, v6
	v_xor_b32_e32 v6, 2, v12
	v_cmp_lt_i32_e64 s[0:1], v6, v13
	s_load_dword s43, s[16:17], 0x0
	s_sub_i32 s44, 1, s33
	v_cndmask_b32_e64 v6, v12, v6, s[0:1]
	v_lshlrev_b32_e32 v63, 2, v6
	v_xor_b32_e32 v6, 1, v12
	v_cmp_lt_i32_e64 s[0:1], v6, v13
	s_mov_b32 s10, s13
	s_waitcnt lgkmcnt(0)
	v_lshlrev_b32_e32 v1, 16, v18
	v_cndmask_b32_e64 v6, v12, v6, s[0:1]
	v_lshlrev_b32_e32 v64, 2, v6
	v_lshlrev_b32_e32 v6, 4, v22
	s_lshl_b64 s[0:1], s[34:35], 2
	v_add3_u32 v65, s40, v6, v8
	v_lshlrev_b32_e32 v6, 2, v8
	s_add_u32 s0, s30, s0
	v_lshl_or_b32 v6, v22, 6, v6
	s_addc_u32 s1, s31, s1
	v_and_b32_e32 v14, 0xffff0000, v18
	v_lshlrev_b32_e32 v15, 16, v19
	v_and_b32_e32 v16, 0xffff0000, v19
	v_lshlrev_b32_e32 v17, 16, v20
	;; [unrolled: 2-line block ×23, first 2 shown]
	v_and_b32_e32 v61, 0xffff0000, v61
	v_cmp_neq_f32_e64 s[6:7], s5, 0
	v_add_u32_e32 v66, 0x190, v6
	s_mov_b64 s[14:15], 0
	s_mov_b32 s45, 0xffff
	s_mov_b32 s46, 0x7f800000
	s_movk_i32 s47, 0x7fff
	v_mov_b32_e32 v62, 0xff7fffff
	v_mov_b32_e32 v67, v10
	v_lshl_add_u64 v[6:7], v[10:11], 2, s[0:1]
	s_branch .LBB350_10
.LBB350_9:                              ;   in Loop: Header=BB350_10 Depth=1
	s_or_b64 exec, exec, s[16:17]
	v_add_u32_e32 v67, 2, v67
	v_cmp_le_i32_e64 s[0:1], s27, v67
	v_add_u32_e32 v65, 32, v65
	v_add_u32_e32 v66, 0x80, v66
	s_or_b64 s[14:15], s[0:1], s[14:15]
	v_lshl_add_u64 v[6:7], v[6:7], 0, 8
	s_andn2_b64 exec, exec, s[14:15]
	s_cbranch_execz .LBB350_204
.LBB350_10:                             ; =>This Inner Loop Header: Depth=1
	global_load_dword v8, v[6:7], off
	s_waitcnt vmcnt(0) lgkmcnt(0)
	v_mad_i64_i32 v[8:9], s[0:1], v8, s10, v[4:5]
	v_lshl_add_u64 v[8:9], v[8:9], 0, v[2:3]
	global_load_ushort v69, v[8:9], off
	s_waitcnt vmcnt(0)
	v_and_b32_sdwa v68, s45, v69 dst_sel:DWORD dst_unused:UNUSED_PAD src0_sel:DWORD src1_sel:BYTE_0
	v_cvt_f32_fp8_sdwa v68, v68 src0_sel:BYTE_0
	s_nop 0
	v_mul_f32_e32 v70, s43, v68
	v_and_b32_e32 v68, 0x7f800000, v70
	v_cmp_ne_u32_e64 s[0:1], s46, v68
                                        ; implicit-def: $vgpr68
	s_and_saveexec_b64 s[16:17], s[0:1]
	s_xor_b64 s[0:1], exec, s[16:17]
; %bb.11:                               ;   in Loop: Header=BB350_10 Depth=1
	v_bfe_u32 v68, v70, 16, 1
	v_add3_u32 v68, v70, v68, s47
                                        ; implicit-def: $vgpr70
; %bb.12:                               ;   in Loop: Header=BB350_10 Depth=1
	s_andn2_saveexec_b64 s[16:17], s[0:1]
; %bb.13:                               ;   in Loop: Header=BB350_10 Depth=1
	v_or_b32_e32 v68, 0x10000, v70
	v_cmp_eq_u32_sdwa s[0:1], v70, v3 src0_sel:WORD_0 src1_sel:DWORD
	s_nop 1
	v_cndmask_b32_e64 v68, v68, v70, s[0:1]
; %bb.14:                               ;   in Loop: Header=BB350_10 Depth=1
	s_or_b64 exec, exec, s[16:17]
	v_lshrrev_b16_e32 v69, 8, v69
	v_cvt_f32_fp8_sdwa v69, v69 src0_sel:BYTE_0
	s_nop 0
	v_mul_f32_e32 v70, s43, v69
	v_and_b32_e32 v69, 0x7f800000, v70
	v_cmp_ne_u32_e64 s[0:1], s46, v69
                                        ; implicit-def: $vgpr69
	s_and_saveexec_b64 s[16:17], s[0:1]
	s_xor_b64 s[0:1], exec, s[16:17]
; %bb.15:                               ;   in Loop: Header=BB350_10 Depth=1
	v_bfe_u32 v69, v70, 16, 1
	v_add3_u32 v69, v70, v69, s47
                                        ; implicit-def: $vgpr70
; %bb.16:                               ;   in Loop: Header=BB350_10 Depth=1
	s_andn2_saveexec_b64 s[16:17], s[0:1]
; %bb.17:                               ;   in Loop: Header=BB350_10 Depth=1
	v_or_b32_e32 v69, 0x10000, v70
	v_cmp_eq_u32_sdwa s[0:1], v70, v3 src0_sel:WORD_0 src1_sel:DWORD
	s_nop 1
	v_cndmask_b32_e64 v69, v69, v70, s[0:1]
; %bb.18:                               ;   in Loop: Header=BB350_10 Depth=1
	s_or_b64 exec, exec, s[16:17]
	global_load_ushort v71, v[8:9], off offset:8
	s_waitcnt vmcnt(0)
	v_and_b32_sdwa v70, s45, v71 dst_sel:DWORD dst_unused:UNUSED_PAD src0_sel:DWORD src1_sel:BYTE_0
	v_cvt_f32_fp8_sdwa v70, v70 src0_sel:BYTE_0
	s_nop 0
	v_mul_f32_e32 v72, s43, v70
	v_and_b32_e32 v70, 0x7f800000, v72
	v_cmp_ne_u32_e64 s[0:1], s46, v70
                                        ; implicit-def: $vgpr70
	s_and_saveexec_b64 s[16:17], s[0:1]
	s_xor_b64 s[0:1], exec, s[16:17]
; %bb.19:                               ;   in Loop: Header=BB350_10 Depth=1
	v_bfe_u32 v70, v72, 16, 1
	v_add3_u32 v70, v72, v70, s47
                                        ; implicit-def: $vgpr72
; %bb.20:                               ;   in Loop: Header=BB350_10 Depth=1
	s_andn2_saveexec_b64 s[16:17], s[0:1]
; %bb.21:                               ;   in Loop: Header=BB350_10 Depth=1
	v_or_b32_e32 v70, 0x10000, v72
	v_cmp_eq_u32_sdwa s[0:1], v72, v3 src0_sel:WORD_0 src1_sel:DWORD
	s_nop 1
	v_cndmask_b32_e64 v70, v70, v72, s[0:1]
; %bb.22:                               ;   in Loop: Header=BB350_10 Depth=1
	s_or_b64 exec, exec, s[16:17]
	v_lshrrev_b16_e32 v71, 8, v71
	v_cvt_f32_fp8_sdwa v71, v71 src0_sel:BYTE_0
	s_nop 0
	v_mul_f32_e32 v72, s43, v71
	v_and_b32_e32 v71, 0x7f800000, v72
	v_cmp_ne_u32_e64 s[0:1], s46, v71
                                        ; implicit-def: $vgpr71
	s_and_saveexec_b64 s[16:17], s[0:1]
	s_xor_b64 s[0:1], exec, s[16:17]
; %bb.23:                               ;   in Loop: Header=BB350_10 Depth=1
	v_bfe_u32 v71, v72, 16, 1
	v_add3_u32 v71, v72, v71, s47
                                        ; implicit-def: $vgpr72
; %bb.24:                               ;   in Loop: Header=BB350_10 Depth=1
	s_andn2_saveexec_b64 s[16:17], s[0:1]
; %bb.25:                               ;   in Loop: Header=BB350_10 Depth=1
	v_or_b32_e32 v71, 0x10000, v72
	v_cmp_eq_u32_sdwa s[0:1], v72, v3 src0_sel:WORD_0 src1_sel:DWORD
	s_nop 1
	v_cndmask_b32_e64 v71, v71, v72, s[0:1]
; %bb.26:                               ;   in Loop: Header=BB350_10 Depth=1
	s_or_b64 exec, exec, s[16:17]
	global_load_ushort v73, v[8:9], off offset:256
	s_waitcnt vmcnt(0)
	v_and_b32_sdwa v72, s45, v73 dst_sel:DWORD dst_unused:UNUSED_PAD src0_sel:DWORD src1_sel:BYTE_0
	v_cvt_f32_fp8_sdwa v72, v72 src0_sel:BYTE_0
	s_nop 0
	v_mul_f32_e32 v74, s43, v72
	v_and_b32_e32 v72, 0x7f800000, v74
	v_cmp_ne_u32_e64 s[0:1], s46, v72
                                        ; implicit-def: $vgpr72
	s_and_saveexec_b64 s[16:17], s[0:1]
	s_xor_b64 s[0:1], exec, s[16:17]
; %bb.27:                               ;   in Loop: Header=BB350_10 Depth=1
	v_bfe_u32 v72, v74, 16, 1
	v_add3_u32 v72, v74, v72, s47
                                        ; implicit-def: $vgpr74
; %bb.28:                               ;   in Loop: Header=BB350_10 Depth=1
	s_andn2_saveexec_b64 s[16:17], s[0:1]
; %bb.29:                               ;   in Loop: Header=BB350_10 Depth=1
	v_or_b32_e32 v72, 0x10000, v74
	v_cmp_eq_u32_sdwa s[0:1], v74, v3 src0_sel:WORD_0 src1_sel:DWORD
	s_nop 1
	v_cndmask_b32_e64 v72, v72, v74, s[0:1]
; %bb.30:                               ;   in Loop: Header=BB350_10 Depth=1
	s_or_b64 exec, exec, s[16:17]
	v_lshrrev_b16_e32 v73, 8, v73
	v_cvt_f32_fp8_sdwa v73, v73 src0_sel:BYTE_0
	s_nop 0
	v_mul_f32_e32 v74, s43, v73
	v_and_b32_e32 v73, 0x7f800000, v74
	v_cmp_ne_u32_e64 s[0:1], s46, v73
                                        ; implicit-def: $vgpr73
	s_and_saveexec_b64 s[16:17], s[0:1]
	s_xor_b64 s[0:1], exec, s[16:17]
; %bb.31:                               ;   in Loop: Header=BB350_10 Depth=1
	v_bfe_u32 v73, v74, 16, 1
	v_add3_u32 v73, v74, v73, s47
                                        ; implicit-def: $vgpr74
; %bb.32:                               ;   in Loop: Header=BB350_10 Depth=1
	s_andn2_saveexec_b64 s[16:17], s[0:1]
; %bb.33:                               ;   in Loop: Header=BB350_10 Depth=1
	v_or_b32_e32 v73, 0x10000, v74
	v_cmp_eq_u32_sdwa s[0:1], v74, v3 src0_sel:WORD_0 src1_sel:DWORD
	s_nop 1
	v_cndmask_b32_e64 v73, v73, v74, s[0:1]
; %bb.34:                               ;   in Loop: Header=BB350_10 Depth=1
	s_or_b64 exec, exec, s[16:17]
	global_load_ushort v75, v[8:9], off offset:264
	s_waitcnt vmcnt(0)
	v_and_b32_sdwa v74, s45, v75 dst_sel:DWORD dst_unused:UNUSED_PAD src0_sel:DWORD src1_sel:BYTE_0
	v_cvt_f32_fp8_sdwa v74, v74 src0_sel:BYTE_0
	s_nop 0
	v_mul_f32_e32 v76, s43, v74
	v_and_b32_e32 v74, 0x7f800000, v76
	v_cmp_ne_u32_e64 s[0:1], s46, v74
                                        ; implicit-def: $vgpr74
	s_and_saveexec_b64 s[16:17], s[0:1]
	s_xor_b64 s[0:1], exec, s[16:17]
; %bb.35:                               ;   in Loop: Header=BB350_10 Depth=1
	v_bfe_u32 v74, v76, 16, 1
	v_add3_u32 v74, v76, v74, s47
                                        ; implicit-def: $vgpr76
; %bb.36:                               ;   in Loop: Header=BB350_10 Depth=1
	s_andn2_saveexec_b64 s[16:17], s[0:1]
; %bb.37:                               ;   in Loop: Header=BB350_10 Depth=1
	v_or_b32_e32 v74, 0x10000, v76
	v_cmp_eq_u32_sdwa s[0:1], v76, v3 src0_sel:WORD_0 src1_sel:DWORD
	s_nop 1
	v_cndmask_b32_e64 v74, v74, v76, s[0:1]
; %bb.38:                               ;   in Loop: Header=BB350_10 Depth=1
	s_or_b64 exec, exec, s[16:17]
	v_lshrrev_b16_e32 v75, 8, v75
	v_cvt_f32_fp8_sdwa v75, v75 src0_sel:BYTE_0
	s_nop 0
	v_mul_f32_e32 v76, s43, v75
	v_and_b32_e32 v75, 0x7f800000, v76
	v_cmp_ne_u32_e64 s[0:1], s46, v75
                                        ; implicit-def: $vgpr75
	s_and_saveexec_b64 s[16:17], s[0:1]
	s_xor_b64 s[0:1], exec, s[16:17]
; %bb.39:                               ;   in Loop: Header=BB350_10 Depth=1
	v_bfe_u32 v75, v76, 16, 1
	v_add3_u32 v75, v76, v75, s47
                                        ; implicit-def: $vgpr76
; %bb.40:                               ;   in Loop: Header=BB350_10 Depth=1
	s_andn2_saveexec_b64 s[16:17], s[0:1]
; %bb.41:                               ;   in Loop: Header=BB350_10 Depth=1
	v_or_b32_e32 v75, 0x10000, v76
	v_cmp_eq_u32_sdwa s[0:1], v76, v3 src0_sel:WORD_0 src1_sel:DWORD
	s_nop 1
	v_cndmask_b32_e64 v75, v75, v76, s[0:1]
; %bb.42:                               ;   in Loop: Header=BB350_10 Depth=1
	s_or_b64 exec, exec, s[16:17]
	global_load_ushort v77, v[8:9], off offset:512
	s_waitcnt vmcnt(0)
	v_and_b32_sdwa v76, s45, v77 dst_sel:DWORD dst_unused:UNUSED_PAD src0_sel:DWORD src1_sel:BYTE_0
	v_cvt_f32_fp8_sdwa v76, v76 src0_sel:BYTE_0
	s_nop 0
	v_mul_f32_e32 v78, s43, v76
	v_and_b32_e32 v76, 0x7f800000, v78
	v_cmp_ne_u32_e64 s[0:1], s46, v76
                                        ; implicit-def: $vgpr76
	s_and_saveexec_b64 s[16:17], s[0:1]
	s_xor_b64 s[0:1], exec, s[16:17]
; %bb.43:                               ;   in Loop: Header=BB350_10 Depth=1
	v_bfe_u32 v76, v78, 16, 1
	v_add3_u32 v76, v78, v76, s47
                                        ; implicit-def: $vgpr78
; %bb.44:                               ;   in Loop: Header=BB350_10 Depth=1
	s_andn2_saveexec_b64 s[16:17], s[0:1]
; %bb.45:                               ;   in Loop: Header=BB350_10 Depth=1
	v_or_b32_e32 v76, 0x10000, v78
	v_cmp_eq_u32_sdwa s[0:1], v78, v3 src0_sel:WORD_0 src1_sel:DWORD
	s_nop 1
	v_cndmask_b32_e64 v76, v76, v78, s[0:1]
; %bb.46:                               ;   in Loop: Header=BB350_10 Depth=1
	s_or_b64 exec, exec, s[16:17]
	v_lshrrev_b16_e32 v77, 8, v77
	v_cvt_f32_fp8_sdwa v77, v77 src0_sel:BYTE_0
	s_nop 0
	v_mul_f32_e32 v78, s43, v77
	v_and_b32_e32 v77, 0x7f800000, v78
	v_cmp_ne_u32_e64 s[0:1], s46, v77
                                        ; implicit-def: $vgpr77
	s_and_saveexec_b64 s[16:17], s[0:1]
	s_xor_b64 s[0:1], exec, s[16:17]
; %bb.47:                               ;   in Loop: Header=BB350_10 Depth=1
	v_bfe_u32 v77, v78, 16, 1
	v_add3_u32 v77, v78, v77, s47
                                        ; implicit-def: $vgpr78
; %bb.48:                               ;   in Loop: Header=BB350_10 Depth=1
	s_andn2_saveexec_b64 s[16:17], s[0:1]
; %bb.49:                               ;   in Loop: Header=BB350_10 Depth=1
	v_or_b32_e32 v77, 0x10000, v78
	v_cmp_eq_u32_sdwa s[0:1], v78, v3 src0_sel:WORD_0 src1_sel:DWORD
	s_nop 1
	v_cndmask_b32_e64 v77, v77, v78, s[0:1]
; %bb.50:                               ;   in Loop: Header=BB350_10 Depth=1
	s_or_b64 exec, exec, s[16:17]
	global_load_ushort v79, v[8:9], off offset:520
	s_waitcnt vmcnt(0)
	v_and_b32_sdwa v78, s45, v79 dst_sel:DWORD dst_unused:UNUSED_PAD src0_sel:DWORD src1_sel:BYTE_0
	v_cvt_f32_fp8_sdwa v78, v78 src0_sel:BYTE_0
	s_nop 0
	v_mul_f32_e32 v80, s43, v78
	v_and_b32_e32 v78, 0x7f800000, v80
	v_cmp_ne_u32_e64 s[0:1], s46, v78
                                        ; implicit-def: $vgpr78
	s_and_saveexec_b64 s[16:17], s[0:1]
	s_xor_b64 s[0:1], exec, s[16:17]
; %bb.51:                               ;   in Loop: Header=BB350_10 Depth=1
	v_bfe_u32 v78, v80, 16, 1
	v_add3_u32 v78, v80, v78, s47
                                        ; implicit-def: $vgpr80
; %bb.52:                               ;   in Loop: Header=BB350_10 Depth=1
	s_andn2_saveexec_b64 s[16:17], s[0:1]
; %bb.53:                               ;   in Loop: Header=BB350_10 Depth=1
	v_or_b32_e32 v78, 0x10000, v80
	v_cmp_eq_u32_sdwa s[0:1], v80, v3 src0_sel:WORD_0 src1_sel:DWORD
	s_nop 1
	v_cndmask_b32_e64 v78, v78, v80, s[0:1]
; %bb.54:                               ;   in Loop: Header=BB350_10 Depth=1
	s_or_b64 exec, exec, s[16:17]
	v_lshrrev_b16_e32 v79, 8, v79
	v_cvt_f32_fp8_sdwa v79, v79 src0_sel:BYTE_0
	s_nop 0
	v_mul_f32_e32 v80, s43, v79
	v_and_b32_e32 v79, 0x7f800000, v80
	v_cmp_ne_u32_e64 s[0:1], s46, v79
                                        ; implicit-def: $vgpr79
	s_and_saveexec_b64 s[16:17], s[0:1]
	s_xor_b64 s[0:1], exec, s[16:17]
; %bb.55:                               ;   in Loop: Header=BB350_10 Depth=1
	v_bfe_u32 v79, v80, 16, 1
	v_add3_u32 v79, v80, v79, s47
                                        ; implicit-def: $vgpr80
; %bb.56:                               ;   in Loop: Header=BB350_10 Depth=1
	s_andn2_saveexec_b64 s[16:17], s[0:1]
; %bb.57:                               ;   in Loop: Header=BB350_10 Depth=1
	v_or_b32_e32 v79, 0x10000, v80
	v_cmp_eq_u32_sdwa s[0:1], v80, v3 src0_sel:WORD_0 src1_sel:DWORD
	s_nop 1
	v_cndmask_b32_e64 v79, v79, v80, s[0:1]
; %bb.58:                               ;   in Loop: Header=BB350_10 Depth=1
	s_or_b64 exec, exec, s[16:17]
	global_load_ushort v81, v[8:9], off offset:768
	s_waitcnt vmcnt(0)
	v_and_b32_sdwa v80, s45, v81 dst_sel:DWORD dst_unused:UNUSED_PAD src0_sel:DWORD src1_sel:BYTE_0
	v_cvt_f32_fp8_sdwa v80, v80 src0_sel:BYTE_0
	s_nop 0
	v_mul_f32_e32 v82, s43, v80
	v_and_b32_e32 v80, 0x7f800000, v82
	v_cmp_ne_u32_e64 s[0:1], s46, v80
                                        ; implicit-def: $vgpr80
	s_and_saveexec_b64 s[16:17], s[0:1]
	s_xor_b64 s[0:1], exec, s[16:17]
; %bb.59:                               ;   in Loop: Header=BB350_10 Depth=1
	v_bfe_u32 v80, v82, 16, 1
	v_add3_u32 v80, v82, v80, s47
                                        ; implicit-def: $vgpr82
; %bb.60:                               ;   in Loop: Header=BB350_10 Depth=1
	s_andn2_saveexec_b64 s[16:17], s[0:1]
; %bb.61:                               ;   in Loop: Header=BB350_10 Depth=1
	v_or_b32_e32 v80, 0x10000, v82
	v_cmp_eq_u32_sdwa s[0:1], v82, v3 src0_sel:WORD_0 src1_sel:DWORD
	s_nop 1
	v_cndmask_b32_e64 v80, v80, v82, s[0:1]
; %bb.62:                               ;   in Loop: Header=BB350_10 Depth=1
	s_or_b64 exec, exec, s[16:17]
	v_lshrrev_b16_e32 v81, 8, v81
	v_cvt_f32_fp8_sdwa v81, v81 src0_sel:BYTE_0
	s_nop 0
	v_mul_f32_e32 v82, s43, v81
	v_and_b32_e32 v81, 0x7f800000, v82
	v_cmp_ne_u32_e64 s[0:1], s46, v81
                                        ; implicit-def: $vgpr81
	s_and_saveexec_b64 s[16:17], s[0:1]
	s_xor_b64 s[0:1], exec, s[16:17]
; %bb.63:                               ;   in Loop: Header=BB350_10 Depth=1
	v_bfe_u32 v81, v82, 16, 1
	v_add3_u32 v81, v82, v81, s47
                                        ; implicit-def: $vgpr82
; %bb.64:                               ;   in Loop: Header=BB350_10 Depth=1
	s_andn2_saveexec_b64 s[16:17], s[0:1]
; %bb.65:                               ;   in Loop: Header=BB350_10 Depth=1
	v_or_b32_e32 v81, 0x10000, v82
	v_cmp_eq_u32_sdwa s[0:1], v82, v3 src0_sel:WORD_0 src1_sel:DWORD
	s_nop 1
	v_cndmask_b32_e64 v81, v81, v82, s[0:1]
; %bb.66:                               ;   in Loop: Header=BB350_10 Depth=1
	s_or_b64 exec, exec, s[16:17]
	global_load_ushort v83, v[8:9], off offset:776
	s_waitcnt vmcnt(0)
	v_and_b32_sdwa v82, s45, v83 dst_sel:DWORD dst_unused:UNUSED_PAD src0_sel:DWORD src1_sel:BYTE_0
	v_cvt_f32_fp8_sdwa v82, v82 src0_sel:BYTE_0
	s_nop 0
	v_mul_f32_e32 v84, s43, v82
	v_and_b32_e32 v82, 0x7f800000, v84
	v_cmp_ne_u32_e64 s[0:1], s46, v82
                                        ; implicit-def: $vgpr82
	s_and_saveexec_b64 s[16:17], s[0:1]
	s_xor_b64 s[0:1], exec, s[16:17]
; %bb.67:                               ;   in Loop: Header=BB350_10 Depth=1
	v_bfe_u32 v82, v84, 16, 1
	v_add3_u32 v82, v84, v82, s47
                                        ; implicit-def: $vgpr84
; %bb.68:                               ;   in Loop: Header=BB350_10 Depth=1
	s_andn2_saveexec_b64 s[16:17], s[0:1]
; %bb.69:                               ;   in Loop: Header=BB350_10 Depth=1
	v_or_b32_e32 v82, 0x10000, v84
	v_cmp_eq_u32_sdwa s[0:1], v84, v3 src0_sel:WORD_0 src1_sel:DWORD
	s_nop 1
	v_cndmask_b32_e64 v82, v82, v84, s[0:1]
; %bb.70:                               ;   in Loop: Header=BB350_10 Depth=1
	s_or_b64 exec, exec, s[16:17]
	v_lshrrev_b16_e32 v83, 8, v83
	v_cvt_f32_fp8_sdwa v83, v83 src0_sel:BYTE_0
	s_nop 0
	v_mul_f32_e32 v84, s43, v83
	v_and_b32_e32 v83, 0x7f800000, v84
	v_cmp_ne_u32_e64 s[0:1], s46, v83
                                        ; implicit-def: $vgpr83
	s_and_saveexec_b64 s[16:17], s[0:1]
	s_xor_b64 s[0:1], exec, s[16:17]
; %bb.71:                               ;   in Loop: Header=BB350_10 Depth=1
	v_bfe_u32 v83, v84, 16, 1
	v_add3_u32 v83, v84, v83, s47
                                        ; implicit-def: $vgpr84
; %bb.72:                               ;   in Loop: Header=BB350_10 Depth=1
	s_andn2_saveexec_b64 s[16:17], s[0:1]
; %bb.73:                               ;   in Loop: Header=BB350_10 Depth=1
	v_or_b32_e32 v83, 0x10000, v84
	v_cmp_eq_u32_sdwa s[0:1], v84, v3 src0_sel:WORD_0 src1_sel:DWORD
	s_nop 1
	v_cndmask_b32_e64 v83, v83, v84, s[0:1]
; %bb.74:                               ;   in Loop: Header=BB350_10 Depth=1
	s_or_b64 exec, exec, s[16:17]
	global_load_ushort v85, v[8:9], off offset:1024
	s_waitcnt vmcnt(0)
	v_and_b32_sdwa v84, s45, v85 dst_sel:DWORD dst_unused:UNUSED_PAD src0_sel:DWORD src1_sel:BYTE_0
	v_cvt_f32_fp8_sdwa v84, v84 src0_sel:BYTE_0
	s_nop 0
	v_mul_f32_e32 v86, s43, v84
	v_and_b32_e32 v84, 0x7f800000, v86
	v_cmp_ne_u32_e64 s[0:1], s46, v84
                                        ; implicit-def: $vgpr84
	s_and_saveexec_b64 s[16:17], s[0:1]
	s_xor_b64 s[0:1], exec, s[16:17]
; %bb.75:                               ;   in Loop: Header=BB350_10 Depth=1
	v_bfe_u32 v84, v86, 16, 1
	v_add3_u32 v84, v86, v84, s47
                                        ; implicit-def: $vgpr86
; %bb.76:                               ;   in Loop: Header=BB350_10 Depth=1
	s_andn2_saveexec_b64 s[16:17], s[0:1]
; %bb.77:                               ;   in Loop: Header=BB350_10 Depth=1
	v_or_b32_e32 v84, 0x10000, v86
	v_cmp_eq_u32_sdwa s[0:1], v86, v3 src0_sel:WORD_0 src1_sel:DWORD
	s_nop 1
	v_cndmask_b32_e64 v84, v84, v86, s[0:1]
; %bb.78:                               ;   in Loop: Header=BB350_10 Depth=1
	s_or_b64 exec, exec, s[16:17]
	v_lshrrev_b16_e32 v85, 8, v85
	v_cvt_f32_fp8_sdwa v85, v85 src0_sel:BYTE_0
	s_nop 0
	v_mul_f32_e32 v86, s43, v85
	v_and_b32_e32 v85, 0x7f800000, v86
	v_cmp_ne_u32_e64 s[0:1], s46, v85
                                        ; implicit-def: $vgpr85
	s_and_saveexec_b64 s[16:17], s[0:1]
	s_xor_b64 s[0:1], exec, s[16:17]
; %bb.79:                               ;   in Loop: Header=BB350_10 Depth=1
	v_bfe_u32 v85, v86, 16, 1
	v_add3_u32 v85, v86, v85, s47
                                        ; implicit-def: $vgpr86
; %bb.80:                               ;   in Loop: Header=BB350_10 Depth=1
	s_andn2_saveexec_b64 s[16:17], s[0:1]
; %bb.81:                               ;   in Loop: Header=BB350_10 Depth=1
	v_or_b32_e32 v85, 0x10000, v86
	v_cmp_eq_u32_sdwa s[0:1], v86, v3 src0_sel:WORD_0 src1_sel:DWORD
	s_nop 1
	v_cndmask_b32_e64 v85, v85, v86, s[0:1]
; %bb.82:                               ;   in Loop: Header=BB350_10 Depth=1
	s_or_b64 exec, exec, s[16:17]
	global_load_ushort v87, v[8:9], off offset:1032
	s_waitcnt vmcnt(0)
	v_and_b32_sdwa v86, s45, v87 dst_sel:DWORD dst_unused:UNUSED_PAD src0_sel:DWORD src1_sel:BYTE_0
	v_cvt_f32_fp8_sdwa v86, v86 src0_sel:BYTE_0
	s_nop 0
	v_mul_f32_e32 v88, s43, v86
	v_and_b32_e32 v86, 0x7f800000, v88
	v_cmp_ne_u32_e64 s[0:1], s46, v86
                                        ; implicit-def: $vgpr86
	s_and_saveexec_b64 s[16:17], s[0:1]
	s_xor_b64 s[0:1], exec, s[16:17]
; %bb.83:                               ;   in Loop: Header=BB350_10 Depth=1
	v_bfe_u32 v86, v88, 16, 1
	v_add3_u32 v86, v88, v86, s47
                                        ; implicit-def: $vgpr88
; %bb.84:                               ;   in Loop: Header=BB350_10 Depth=1
	s_andn2_saveexec_b64 s[16:17], s[0:1]
; %bb.85:                               ;   in Loop: Header=BB350_10 Depth=1
	v_or_b32_e32 v86, 0x10000, v88
	v_cmp_eq_u32_sdwa s[0:1], v88, v3 src0_sel:WORD_0 src1_sel:DWORD
	s_nop 1
	v_cndmask_b32_e64 v86, v86, v88, s[0:1]
; %bb.86:                               ;   in Loop: Header=BB350_10 Depth=1
	s_or_b64 exec, exec, s[16:17]
	v_lshrrev_b16_e32 v87, 8, v87
	v_cvt_f32_fp8_sdwa v87, v87 src0_sel:BYTE_0
	s_nop 0
	v_mul_f32_e32 v88, s43, v87
	v_and_b32_e32 v87, 0x7f800000, v88
	v_cmp_ne_u32_e64 s[0:1], s46, v87
                                        ; implicit-def: $vgpr87
	s_and_saveexec_b64 s[16:17], s[0:1]
	s_xor_b64 s[0:1], exec, s[16:17]
; %bb.87:                               ;   in Loop: Header=BB350_10 Depth=1
	v_bfe_u32 v87, v88, 16, 1
	v_add3_u32 v87, v88, v87, s47
                                        ; implicit-def: $vgpr88
; %bb.88:                               ;   in Loop: Header=BB350_10 Depth=1
	s_andn2_saveexec_b64 s[16:17], s[0:1]
; %bb.89:                               ;   in Loop: Header=BB350_10 Depth=1
	v_or_b32_e32 v87, 0x10000, v88
	v_cmp_eq_u32_sdwa s[0:1], v88, v3 src0_sel:WORD_0 src1_sel:DWORD
	s_nop 1
	v_cndmask_b32_e64 v87, v87, v88, s[0:1]
; %bb.90:                               ;   in Loop: Header=BB350_10 Depth=1
	s_or_b64 exec, exec, s[16:17]
	global_load_ushort v89, v[8:9], off offset:1280
	s_waitcnt vmcnt(0)
	v_and_b32_sdwa v88, s45, v89 dst_sel:DWORD dst_unused:UNUSED_PAD src0_sel:DWORD src1_sel:BYTE_0
	v_cvt_f32_fp8_sdwa v88, v88 src0_sel:BYTE_0
	s_nop 0
	v_mul_f32_e32 v90, s43, v88
	v_and_b32_e32 v88, 0x7f800000, v90
	v_cmp_ne_u32_e64 s[0:1], s46, v88
                                        ; implicit-def: $vgpr88
	s_and_saveexec_b64 s[16:17], s[0:1]
	s_xor_b64 s[0:1], exec, s[16:17]
; %bb.91:                               ;   in Loop: Header=BB350_10 Depth=1
	v_bfe_u32 v88, v90, 16, 1
	v_add3_u32 v88, v90, v88, s47
                                        ; implicit-def: $vgpr90
; %bb.92:                               ;   in Loop: Header=BB350_10 Depth=1
	s_andn2_saveexec_b64 s[16:17], s[0:1]
; %bb.93:                               ;   in Loop: Header=BB350_10 Depth=1
	v_or_b32_e32 v88, 0x10000, v90
	v_cmp_eq_u32_sdwa s[0:1], v90, v3 src0_sel:WORD_0 src1_sel:DWORD
	s_nop 1
	v_cndmask_b32_e64 v88, v88, v90, s[0:1]
; %bb.94:                               ;   in Loop: Header=BB350_10 Depth=1
	s_or_b64 exec, exec, s[16:17]
	v_lshrrev_b16_e32 v89, 8, v89
	v_cvt_f32_fp8_sdwa v89, v89 src0_sel:BYTE_0
	s_nop 0
	v_mul_f32_e32 v90, s43, v89
	v_and_b32_e32 v89, 0x7f800000, v90
	v_cmp_ne_u32_e64 s[0:1], s46, v89
                                        ; implicit-def: $vgpr89
	s_and_saveexec_b64 s[16:17], s[0:1]
	s_xor_b64 s[0:1], exec, s[16:17]
; %bb.95:                               ;   in Loop: Header=BB350_10 Depth=1
	v_bfe_u32 v89, v90, 16, 1
	v_add3_u32 v89, v90, v89, s47
                                        ; implicit-def: $vgpr90
; %bb.96:                               ;   in Loop: Header=BB350_10 Depth=1
	s_andn2_saveexec_b64 s[16:17], s[0:1]
; %bb.97:                               ;   in Loop: Header=BB350_10 Depth=1
	v_or_b32_e32 v89, 0x10000, v90
	v_cmp_eq_u32_sdwa s[0:1], v90, v3 src0_sel:WORD_0 src1_sel:DWORD
	s_nop 1
	v_cndmask_b32_e64 v89, v89, v90, s[0:1]
; %bb.98:                               ;   in Loop: Header=BB350_10 Depth=1
	s_or_b64 exec, exec, s[16:17]
	global_load_ushort v91, v[8:9], off offset:1288
	s_waitcnt vmcnt(0)
	v_and_b32_sdwa v90, s45, v91 dst_sel:DWORD dst_unused:UNUSED_PAD src0_sel:DWORD src1_sel:BYTE_0
	v_cvt_f32_fp8_sdwa v90, v90 src0_sel:BYTE_0
	s_nop 0
	v_mul_f32_e32 v92, s43, v90
	v_and_b32_e32 v90, 0x7f800000, v92
	v_cmp_ne_u32_e64 s[0:1], s46, v90
                                        ; implicit-def: $vgpr90
	s_and_saveexec_b64 s[16:17], s[0:1]
	s_xor_b64 s[0:1], exec, s[16:17]
; %bb.99:                               ;   in Loop: Header=BB350_10 Depth=1
	v_bfe_u32 v90, v92, 16, 1
	v_add3_u32 v90, v92, v90, s47
                                        ; implicit-def: $vgpr92
; %bb.100:                              ;   in Loop: Header=BB350_10 Depth=1
	s_andn2_saveexec_b64 s[16:17], s[0:1]
; %bb.101:                              ;   in Loop: Header=BB350_10 Depth=1
	v_or_b32_e32 v90, 0x10000, v92
	v_cmp_eq_u32_sdwa s[0:1], v92, v3 src0_sel:WORD_0 src1_sel:DWORD
	s_nop 1
	v_cndmask_b32_e64 v90, v90, v92, s[0:1]
; %bb.102:                              ;   in Loop: Header=BB350_10 Depth=1
	s_or_b64 exec, exec, s[16:17]
	v_lshrrev_b16_e32 v91, 8, v91
	v_cvt_f32_fp8_sdwa v91, v91 src0_sel:BYTE_0
	s_nop 0
	v_mul_f32_e32 v92, s43, v91
	v_and_b32_e32 v91, 0x7f800000, v92
	v_cmp_ne_u32_e64 s[0:1], s46, v91
                                        ; implicit-def: $vgpr91
	s_and_saveexec_b64 s[16:17], s[0:1]
	s_xor_b64 s[0:1], exec, s[16:17]
; %bb.103:                              ;   in Loop: Header=BB350_10 Depth=1
	v_bfe_u32 v91, v92, 16, 1
	v_add3_u32 v91, v92, v91, s47
                                        ; implicit-def: $vgpr92
; %bb.104:                              ;   in Loop: Header=BB350_10 Depth=1
	s_andn2_saveexec_b64 s[16:17], s[0:1]
; %bb.105:                              ;   in Loop: Header=BB350_10 Depth=1
	v_or_b32_e32 v91, 0x10000, v92
	v_cmp_eq_u32_sdwa s[0:1], v92, v3 src0_sel:WORD_0 src1_sel:DWORD
	s_nop 1
	v_cndmask_b32_e64 v91, v91, v92, s[0:1]
; %bb.106:                              ;   in Loop: Header=BB350_10 Depth=1
	s_or_b64 exec, exec, s[16:17]
	global_load_ushort v93, v[8:9], off offset:1536
	s_waitcnt vmcnt(0)
	v_and_b32_sdwa v92, s45, v93 dst_sel:DWORD dst_unused:UNUSED_PAD src0_sel:DWORD src1_sel:BYTE_0
	v_cvt_f32_fp8_sdwa v92, v92 src0_sel:BYTE_0
	s_nop 0
	v_mul_f32_e32 v94, s43, v92
	v_and_b32_e32 v92, 0x7f800000, v94
	v_cmp_ne_u32_e64 s[0:1], s46, v92
                                        ; implicit-def: $vgpr92
	s_and_saveexec_b64 s[16:17], s[0:1]
	s_xor_b64 s[0:1], exec, s[16:17]
; %bb.107:                              ;   in Loop: Header=BB350_10 Depth=1
	v_bfe_u32 v92, v94, 16, 1
	v_add3_u32 v92, v94, v92, s47
                                        ; implicit-def: $vgpr94
; %bb.108:                              ;   in Loop: Header=BB350_10 Depth=1
	s_andn2_saveexec_b64 s[16:17], s[0:1]
; %bb.109:                              ;   in Loop: Header=BB350_10 Depth=1
	v_or_b32_e32 v92, 0x10000, v94
	v_cmp_eq_u32_sdwa s[0:1], v94, v3 src0_sel:WORD_0 src1_sel:DWORD
	s_nop 1
	v_cndmask_b32_e64 v92, v92, v94, s[0:1]
; %bb.110:                              ;   in Loop: Header=BB350_10 Depth=1
	s_or_b64 exec, exec, s[16:17]
	v_lshrrev_b16_e32 v93, 8, v93
	v_cvt_f32_fp8_sdwa v93, v93 src0_sel:BYTE_0
	s_nop 0
	v_mul_f32_e32 v94, s43, v93
	v_and_b32_e32 v93, 0x7f800000, v94
	v_cmp_ne_u32_e64 s[0:1], s46, v93
                                        ; implicit-def: $vgpr93
	s_and_saveexec_b64 s[16:17], s[0:1]
	s_xor_b64 s[0:1], exec, s[16:17]
; %bb.111:                              ;   in Loop: Header=BB350_10 Depth=1
	v_bfe_u32 v93, v94, 16, 1
	v_add3_u32 v93, v94, v93, s47
                                        ; implicit-def: $vgpr94
; %bb.112:                              ;   in Loop: Header=BB350_10 Depth=1
	s_andn2_saveexec_b64 s[16:17], s[0:1]
; %bb.113:                              ;   in Loop: Header=BB350_10 Depth=1
	v_or_b32_e32 v93, 0x10000, v94
	v_cmp_eq_u32_sdwa s[0:1], v94, v3 src0_sel:WORD_0 src1_sel:DWORD
	s_nop 1
	v_cndmask_b32_e64 v93, v93, v94, s[0:1]
; %bb.114:                              ;   in Loop: Header=BB350_10 Depth=1
	s_or_b64 exec, exec, s[16:17]
	global_load_ushort v95, v[8:9], off offset:1544
	s_waitcnt vmcnt(0)
	v_and_b32_sdwa v94, s45, v95 dst_sel:DWORD dst_unused:UNUSED_PAD src0_sel:DWORD src1_sel:BYTE_0
	v_cvt_f32_fp8_sdwa v94, v94 src0_sel:BYTE_0
	s_nop 0
	v_mul_f32_e32 v96, s43, v94
	v_and_b32_e32 v94, 0x7f800000, v96
	v_cmp_ne_u32_e64 s[0:1], s46, v94
                                        ; implicit-def: $vgpr94
	s_and_saveexec_b64 s[16:17], s[0:1]
	s_xor_b64 s[0:1], exec, s[16:17]
; %bb.115:                              ;   in Loop: Header=BB350_10 Depth=1
	v_bfe_u32 v94, v96, 16, 1
	v_add3_u32 v94, v96, v94, s47
                                        ; implicit-def: $vgpr96
; %bb.116:                              ;   in Loop: Header=BB350_10 Depth=1
	s_andn2_saveexec_b64 s[16:17], s[0:1]
; %bb.117:                              ;   in Loop: Header=BB350_10 Depth=1
	v_or_b32_e32 v94, 0x10000, v96
	v_cmp_eq_u32_sdwa s[0:1], v96, v3 src0_sel:WORD_0 src1_sel:DWORD
	s_nop 1
	v_cndmask_b32_e64 v94, v94, v96, s[0:1]
; %bb.118:                              ;   in Loop: Header=BB350_10 Depth=1
	s_or_b64 exec, exec, s[16:17]
	v_lshrrev_b16_e32 v95, 8, v95
	v_cvt_f32_fp8_sdwa v95, v95 src0_sel:BYTE_0
	s_nop 0
	v_mul_f32_e32 v96, s43, v95
	v_and_b32_e32 v95, 0x7f800000, v96
	v_cmp_ne_u32_e64 s[0:1], s46, v95
                                        ; implicit-def: $vgpr95
	s_and_saveexec_b64 s[16:17], s[0:1]
	s_xor_b64 s[0:1], exec, s[16:17]
; %bb.119:                              ;   in Loop: Header=BB350_10 Depth=1
	v_bfe_u32 v95, v96, 16, 1
	v_add3_u32 v95, v96, v95, s47
                                        ; implicit-def: $vgpr96
; %bb.120:                              ;   in Loop: Header=BB350_10 Depth=1
	s_andn2_saveexec_b64 s[16:17], s[0:1]
; %bb.121:                              ;   in Loop: Header=BB350_10 Depth=1
	v_or_b32_e32 v95, 0x10000, v96
	v_cmp_eq_u32_sdwa s[0:1], v96, v3 src0_sel:WORD_0 src1_sel:DWORD
	s_nop 1
	v_cndmask_b32_e64 v95, v95, v96, s[0:1]
; %bb.122:                              ;   in Loop: Header=BB350_10 Depth=1
	s_or_b64 exec, exec, s[16:17]
	global_load_ushort v97, v[8:9], off offset:1792
	s_waitcnt vmcnt(0)
	v_and_b32_sdwa v96, s45, v97 dst_sel:DWORD dst_unused:UNUSED_PAD src0_sel:DWORD src1_sel:BYTE_0
	v_cvt_f32_fp8_sdwa v96, v96 src0_sel:BYTE_0
	s_nop 0
	v_mul_f32_e32 v98, s43, v96
	v_and_b32_e32 v96, 0x7f800000, v98
	v_cmp_ne_u32_e64 s[0:1], s46, v96
                                        ; implicit-def: $vgpr96
	s_and_saveexec_b64 s[16:17], s[0:1]
	s_xor_b64 s[0:1], exec, s[16:17]
; %bb.123:                              ;   in Loop: Header=BB350_10 Depth=1
	v_bfe_u32 v96, v98, 16, 1
	v_add3_u32 v96, v98, v96, s47
                                        ; implicit-def: $vgpr98
; %bb.124:                              ;   in Loop: Header=BB350_10 Depth=1
	s_andn2_saveexec_b64 s[16:17], s[0:1]
; %bb.125:                              ;   in Loop: Header=BB350_10 Depth=1
	v_or_b32_e32 v96, 0x10000, v98
	v_cmp_eq_u32_sdwa s[0:1], v98, v3 src0_sel:WORD_0 src1_sel:DWORD
	s_nop 1
	v_cndmask_b32_e64 v96, v96, v98, s[0:1]
; %bb.126:                              ;   in Loop: Header=BB350_10 Depth=1
	s_or_b64 exec, exec, s[16:17]
	v_lshrrev_b16_e32 v97, 8, v97
	v_cvt_f32_fp8_sdwa v97, v97 src0_sel:BYTE_0
	s_nop 0
	v_mul_f32_e32 v98, s43, v97
	v_and_b32_e32 v97, 0x7f800000, v98
	v_cmp_ne_u32_e64 s[0:1], s46, v97
                                        ; implicit-def: $vgpr97
	s_and_saveexec_b64 s[16:17], s[0:1]
	s_xor_b64 s[0:1], exec, s[16:17]
; %bb.127:                              ;   in Loop: Header=BB350_10 Depth=1
	v_bfe_u32 v97, v98, 16, 1
	v_add3_u32 v97, v98, v97, s47
                                        ; implicit-def: $vgpr98
; %bb.128:                              ;   in Loop: Header=BB350_10 Depth=1
	s_andn2_saveexec_b64 s[16:17], s[0:1]
; %bb.129:                              ;   in Loop: Header=BB350_10 Depth=1
	v_or_b32_e32 v97, 0x10000, v98
	v_cmp_eq_u32_sdwa s[0:1], v98, v3 src0_sel:WORD_0 src1_sel:DWORD
	s_nop 1
	v_cndmask_b32_e64 v97, v97, v98, s[0:1]
; %bb.130:                              ;   in Loop: Header=BB350_10 Depth=1
	s_or_b64 exec, exec, s[16:17]
	global_load_ushort v99, v[8:9], off offset:1800
	s_waitcnt vmcnt(0)
	v_and_b32_sdwa v98, s45, v99 dst_sel:DWORD dst_unused:UNUSED_PAD src0_sel:DWORD src1_sel:BYTE_0
	v_cvt_f32_fp8_sdwa v98, v98 src0_sel:BYTE_0
	s_nop 0
	v_mul_f32_e32 v100, s43, v98
	v_and_b32_e32 v98, 0x7f800000, v100
	v_cmp_ne_u32_e64 s[0:1], s46, v98
                                        ; implicit-def: $vgpr98
	s_and_saveexec_b64 s[16:17], s[0:1]
	s_xor_b64 s[0:1], exec, s[16:17]
; %bb.131:                              ;   in Loop: Header=BB350_10 Depth=1
	v_bfe_u32 v98, v100, 16, 1
	v_add3_u32 v98, v100, v98, s47
                                        ; implicit-def: $vgpr100
; %bb.132:                              ;   in Loop: Header=BB350_10 Depth=1
	s_andn2_saveexec_b64 s[16:17], s[0:1]
; %bb.133:                              ;   in Loop: Header=BB350_10 Depth=1
	v_or_b32_e32 v98, 0x10000, v100
	v_cmp_eq_u32_sdwa s[0:1], v100, v3 src0_sel:WORD_0 src1_sel:DWORD
	s_nop 1
	v_cndmask_b32_e64 v98, v98, v100, s[0:1]
; %bb.134:                              ;   in Loop: Header=BB350_10 Depth=1
	s_or_b64 exec, exec, s[16:17]
	v_lshrrev_b16_e32 v99, 8, v99
	v_cvt_f32_fp8_sdwa v99, v99 src0_sel:BYTE_0
	s_nop 0
	v_mul_f32_e32 v100, s43, v99
	v_and_b32_e32 v99, 0x7f800000, v100
	v_cmp_ne_u32_e64 s[0:1], s46, v99
                                        ; implicit-def: $vgpr99
	s_and_saveexec_b64 s[16:17], s[0:1]
	s_xor_b64 s[0:1], exec, s[16:17]
; %bb.135:                              ;   in Loop: Header=BB350_10 Depth=1
	v_bfe_u32 v99, v100, 16, 1
	v_add3_u32 v99, v100, v99, s47
                                        ; implicit-def: $vgpr100
; %bb.136:                              ;   in Loop: Header=BB350_10 Depth=1
	s_andn2_saveexec_b64 s[16:17], s[0:1]
; %bb.137:                              ;   in Loop: Header=BB350_10 Depth=1
	v_or_b32_e32 v99, 0x10000, v100
	v_cmp_eq_u32_sdwa s[0:1], v100, v3 src0_sel:WORD_0 src1_sel:DWORD
	s_nop 1
	v_cndmask_b32_e64 v99, v99, v100, s[0:1]
; %bb.138:                              ;   in Loop: Header=BB350_10 Depth=1
	s_or_b64 exec, exec, s[16:17]
	global_load_ushort v101, v[8:9], off offset:2048
	s_waitcnt vmcnt(0)
	v_and_b32_sdwa v100, s45, v101 dst_sel:DWORD dst_unused:UNUSED_PAD src0_sel:DWORD src1_sel:BYTE_0
	v_cvt_f32_fp8_sdwa v100, v100 src0_sel:BYTE_0
	s_nop 0
	v_mul_f32_e32 v102, s43, v100
	v_and_b32_e32 v100, 0x7f800000, v102
	v_cmp_ne_u32_e64 s[0:1], s46, v100
                                        ; implicit-def: $vgpr100
	s_and_saveexec_b64 s[16:17], s[0:1]
	s_xor_b64 s[0:1], exec, s[16:17]
; %bb.139:                              ;   in Loop: Header=BB350_10 Depth=1
	v_bfe_u32 v100, v102, 16, 1
	v_add3_u32 v100, v102, v100, s47
                                        ; implicit-def: $vgpr102
; %bb.140:                              ;   in Loop: Header=BB350_10 Depth=1
	s_andn2_saveexec_b64 s[16:17], s[0:1]
; %bb.141:                              ;   in Loop: Header=BB350_10 Depth=1
	v_or_b32_e32 v100, 0x10000, v102
	v_cmp_eq_u32_sdwa s[0:1], v102, v3 src0_sel:WORD_0 src1_sel:DWORD
	s_nop 1
	v_cndmask_b32_e64 v100, v100, v102, s[0:1]
; %bb.142:                              ;   in Loop: Header=BB350_10 Depth=1
	s_or_b64 exec, exec, s[16:17]
	v_lshrrev_b16_e32 v101, 8, v101
	v_cvt_f32_fp8_sdwa v101, v101 src0_sel:BYTE_0
	s_nop 0
	v_mul_f32_e32 v102, s43, v101
	v_and_b32_e32 v101, 0x7f800000, v102
	v_cmp_ne_u32_e64 s[0:1], s46, v101
                                        ; implicit-def: $vgpr101
	s_and_saveexec_b64 s[16:17], s[0:1]
	s_xor_b64 s[0:1], exec, s[16:17]
; %bb.143:                              ;   in Loop: Header=BB350_10 Depth=1
	v_bfe_u32 v101, v102, 16, 1
	v_add3_u32 v101, v102, v101, s47
                                        ; implicit-def: $vgpr102
; %bb.144:                              ;   in Loop: Header=BB350_10 Depth=1
	s_andn2_saveexec_b64 s[16:17], s[0:1]
; %bb.145:                              ;   in Loop: Header=BB350_10 Depth=1
	v_or_b32_e32 v101, 0x10000, v102
	v_cmp_eq_u32_sdwa s[0:1], v102, v3 src0_sel:WORD_0 src1_sel:DWORD
	s_nop 1
	v_cndmask_b32_e64 v101, v101, v102, s[0:1]
; %bb.146:                              ;   in Loop: Header=BB350_10 Depth=1
	s_or_b64 exec, exec, s[16:17]
	global_load_ushort v103, v[8:9], off offset:2056
	s_waitcnt vmcnt(0)
	v_and_b32_sdwa v102, s45, v103 dst_sel:DWORD dst_unused:UNUSED_PAD src0_sel:DWORD src1_sel:BYTE_0
	v_cvt_f32_fp8_sdwa v102, v102 src0_sel:BYTE_0
	s_nop 0
	v_mul_f32_e32 v104, s43, v102
	v_and_b32_e32 v102, 0x7f800000, v104
	v_cmp_ne_u32_e64 s[0:1], s46, v102
                                        ; implicit-def: $vgpr102
	s_and_saveexec_b64 s[16:17], s[0:1]
	s_xor_b64 s[0:1], exec, s[16:17]
; %bb.147:                              ;   in Loop: Header=BB350_10 Depth=1
	v_bfe_u32 v102, v104, 16, 1
	v_add3_u32 v102, v104, v102, s47
                                        ; implicit-def: $vgpr104
; %bb.148:                              ;   in Loop: Header=BB350_10 Depth=1
	s_andn2_saveexec_b64 s[16:17], s[0:1]
; %bb.149:                              ;   in Loop: Header=BB350_10 Depth=1
	v_or_b32_e32 v102, 0x10000, v104
	v_cmp_eq_u32_sdwa s[0:1], v104, v3 src0_sel:WORD_0 src1_sel:DWORD
	s_nop 1
	v_cndmask_b32_e64 v102, v102, v104, s[0:1]
; %bb.150:                              ;   in Loop: Header=BB350_10 Depth=1
	s_or_b64 exec, exec, s[16:17]
	v_lshrrev_b16_e32 v103, 8, v103
	v_cvt_f32_fp8_sdwa v103, v103 src0_sel:BYTE_0
	s_nop 0
	v_mul_f32_e32 v104, s43, v103
	v_and_b32_e32 v103, 0x7f800000, v104
	v_cmp_ne_u32_e64 s[0:1], s46, v103
                                        ; implicit-def: $vgpr103
	s_and_saveexec_b64 s[16:17], s[0:1]
	s_xor_b64 s[0:1], exec, s[16:17]
; %bb.151:                              ;   in Loop: Header=BB350_10 Depth=1
	v_bfe_u32 v103, v104, 16, 1
	v_add3_u32 v103, v104, v103, s47
                                        ; implicit-def: $vgpr104
; %bb.152:                              ;   in Loop: Header=BB350_10 Depth=1
	s_andn2_saveexec_b64 s[16:17], s[0:1]
; %bb.153:                              ;   in Loop: Header=BB350_10 Depth=1
	v_or_b32_e32 v103, 0x10000, v104
	v_cmp_eq_u32_sdwa s[0:1], v104, v3 src0_sel:WORD_0 src1_sel:DWORD
	s_nop 1
	v_cndmask_b32_e64 v103, v103, v104, s[0:1]
; %bb.154:                              ;   in Loop: Header=BB350_10 Depth=1
	s_or_b64 exec, exec, s[16:17]
	global_load_ushort v105, v[8:9], off offset:2304
	s_waitcnt vmcnt(0)
	v_and_b32_sdwa v104, s45, v105 dst_sel:DWORD dst_unused:UNUSED_PAD src0_sel:DWORD src1_sel:BYTE_0
	v_cvt_f32_fp8_sdwa v104, v104 src0_sel:BYTE_0
	s_nop 0
	v_mul_f32_e32 v106, s43, v104
	v_and_b32_e32 v104, 0x7f800000, v106
	v_cmp_ne_u32_e64 s[0:1], s46, v104
                                        ; implicit-def: $vgpr104
	s_and_saveexec_b64 s[16:17], s[0:1]
	s_xor_b64 s[0:1], exec, s[16:17]
; %bb.155:                              ;   in Loop: Header=BB350_10 Depth=1
	v_bfe_u32 v104, v106, 16, 1
	v_add3_u32 v104, v106, v104, s47
                                        ; implicit-def: $vgpr106
; %bb.156:                              ;   in Loop: Header=BB350_10 Depth=1
	s_andn2_saveexec_b64 s[16:17], s[0:1]
; %bb.157:                              ;   in Loop: Header=BB350_10 Depth=1
	v_or_b32_e32 v104, 0x10000, v106
	v_cmp_eq_u32_sdwa s[0:1], v106, v3 src0_sel:WORD_0 src1_sel:DWORD
	s_nop 1
	v_cndmask_b32_e64 v104, v104, v106, s[0:1]
; %bb.158:                              ;   in Loop: Header=BB350_10 Depth=1
	s_or_b64 exec, exec, s[16:17]
	v_lshrrev_b16_e32 v105, 8, v105
	v_cvt_f32_fp8_sdwa v105, v105 src0_sel:BYTE_0
	s_nop 0
	v_mul_f32_e32 v106, s43, v105
	v_and_b32_e32 v105, 0x7f800000, v106
	v_cmp_ne_u32_e64 s[0:1], s46, v105
                                        ; implicit-def: $vgpr105
	s_and_saveexec_b64 s[16:17], s[0:1]
	s_xor_b64 s[0:1], exec, s[16:17]
; %bb.159:                              ;   in Loop: Header=BB350_10 Depth=1
	v_bfe_u32 v105, v106, 16, 1
	v_add3_u32 v105, v106, v105, s47
                                        ; implicit-def: $vgpr106
; %bb.160:                              ;   in Loop: Header=BB350_10 Depth=1
	s_andn2_saveexec_b64 s[16:17], s[0:1]
; %bb.161:                              ;   in Loop: Header=BB350_10 Depth=1
	v_or_b32_e32 v105, 0x10000, v106
	v_cmp_eq_u32_sdwa s[0:1], v106, v3 src0_sel:WORD_0 src1_sel:DWORD
	s_nop 1
	v_cndmask_b32_e64 v105, v105, v106, s[0:1]
; %bb.162:                              ;   in Loop: Header=BB350_10 Depth=1
	s_or_b64 exec, exec, s[16:17]
	global_load_ushort v107, v[8:9], off offset:2312
	s_waitcnt vmcnt(0)
	v_and_b32_sdwa v106, s45, v107 dst_sel:DWORD dst_unused:UNUSED_PAD src0_sel:DWORD src1_sel:BYTE_0
	v_cvt_f32_fp8_sdwa v106, v106 src0_sel:BYTE_0
	s_nop 0
	v_mul_f32_e32 v108, s43, v106
	v_and_b32_e32 v106, 0x7f800000, v108
	v_cmp_ne_u32_e64 s[0:1], s46, v106
                                        ; implicit-def: $vgpr106
	s_and_saveexec_b64 s[16:17], s[0:1]
	s_xor_b64 s[0:1], exec, s[16:17]
; %bb.163:                              ;   in Loop: Header=BB350_10 Depth=1
	v_bfe_u32 v106, v108, 16, 1
	v_add3_u32 v106, v108, v106, s47
                                        ; implicit-def: $vgpr108
; %bb.164:                              ;   in Loop: Header=BB350_10 Depth=1
	s_andn2_saveexec_b64 s[16:17], s[0:1]
; %bb.165:                              ;   in Loop: Header=BB350_10 Depth=1
	v_or_b32_e32 v106, 0x10000, v108
	v_cmp_eq_u32_sdwa s[0:1], v108, v3 src0_sel:WORD_0 src1_sel:DWORD
	s_nop 1
	v_cndmask_b32_e64 v106, v106, v108, s[0:1]
; %bb.166:                              ;   in Loop: Header=BB350_10 Depth=1
	s_or_b64 exec, exec, s[16:17]
	v_lshrrev_b16_e32 v107, 8, v107
	v_cvt_f32_fp8_sdwa v107, v107 src0_sel:BYTE_0
	s_nop 0
	v_mul_f32_e32 v108, s43, v107
	v_and_b32_e32 v107, 0x7f800000, v108
	v_cmp_ne_u32_e64 s[0:1], s46, v107
                                        ; implicit-def: $vgpr107
	s_and_saveexec_b64 s[16:17], s[0:1]
	s_xor_b64 s[0:1], exec, s[16:17]
; %bb.167:                              ;   in Loop: Header=BB350_10 Depth=1
	v_bfe_u32 v107, v108, 16, 1
	v_add3_u32 v107, v108, v107, s47
                                        ; implicit-def: $vgpr108
; %bb.168:                              ;   in Loop: Header=BB350_10 Depth=1
	s_andn2_saveexec_b64 s[16:17], s[0:1]
; %bb.169:                              ;   in Loop: Header=BB350_10 Depth=1
	v_or_b32_e32 v107, 0x10000, v108
	v_cmp_eq_u32_sdwa s[0:1], v108, v3 src0_sel:WORD_0 src1_sel:DWORD
	s_nop 1
	v_cndmask_b32_e64 v107, v107, v108, s[0:1]
; %bb.170:                              ;   in Loop: Header=BB350_10 Depth=1
	s_or_b64 exec, exec, s[16:17]
	global_load_ushort v109, v[8:9], off offset:2560
	s_waitcnt vmcnt(0)
	v_and_b32_sdwa v108, s45, v109 dst_sel:DWORD dst_unused:UNUSED_PAD src0_sel:DWORD src1_sel:BYTE_0
	v_cvt_f32_fp8_sdwa v108, v108 src0_sel:BYTE_0
	s_nop 0
	v_mul_f32_e32 v110, s43, v108
	v_and_b32_e32 v108, 0x7f800000, v110
	v_cmp_ne_u32_e64 s[0:1], s46, v108
                                        ; implicit-def: $vgpr108
	s_and_saveexec_b64 s[16:17], s[0:1]
	s_xor_b64 s[0:1], exec, s[16:17]
; %bb.171:                              ;   in Loop: Header=BB350_10 Depth=1
	v_bfe_u32 v108, v110, 16, 1
	v_add3_u32 v108, v110, v108, s47
                                        ; implicit-def: $vgpr110
; %bb.172:                              ;   in Loop: Header=BB350_10 Depth=1
	s_andn2_saveexec_b64 s[16:17], s[0:1]
; %bb.173:                              ;   in Loop: Header=BB350_10 Depth=1
	v_or_b32_e32 v108, 0x10000, v110
	v_cmp_eq_u32_sdwa s[0:1], v110, v3 src0_sel:WORD_0 src1_sel:DWORD
	s_nop 1
	v_cndmask_b32_e64 v108, v108, v110, s[0:1]
; %bb.174:                              ;   in Loop: Header=BB350_10 Depth=1
	s_or_b64 exec, exec, s[16:17]
	v_lshrrev_b16_e32 v109, 8, v109
	v_cvt_f32_fp8_sdwa v109, v109 src0_sel:BYTE_0
	s_nop 0
	v_mul_f32_e32 v110, s43, v109
	v_and_b32_e32 v109, 0x7f800000, v110
	v_cmp_ne_u32_e64 s[0:1], s46, v109
                                        ; implicit-def: $vgpr109
	s_and_saveexec_b64 s[16:17], s[0:1]
	s_xor_b64 s[0:1], exec, s[16:17]
; %bb.175:                              ;   in Loop: Header=BB350_10 Depth=1
	v_bfe_u32 v109, v110, 16, 1
	v_add3_u32 v109, v110, v109, s47
                                        ; implicit-def: $vgpr110
; %bb.176:                              ;   in Loop: Header=BB350_10 Depth=1
	s_andn2_saveexec_b64 s[16:17], s[0:1]
; %bb.177:                              ;   in Loop: Header=BB350_10 Depth=1
	v_or_b32_e32 v109, 0x10000, v110
	v_cmp_eq_u32_sdwa s[0:1], v110, v3 src0_sel:WORD_0 src1_sel:DWORD
	s_nop 1
	v_cndmask_b32_e64 v109, v109, v110, s[0:1]
; %bb.178:                              ;   in Loop: Header=BB350_10 Depth=1
	s_or_b64 exec, exec, s[16:17]
	global_load_ushort v111, v[8:9], off offset:2568
	s_waitcnt vmcnt(0)
	v_and_b32_sdwa v110, s45, v111 dst_sel:DWORD dst_unused:UNUSED_PAD src0_sel:DWORD src1_sel:BYTE_0
	v_cvt_f32_fp8_sdwa v110, v110 src0_sel:BYTE_0
	s_nop 0
	v_mul_f32_e32 v112, s43, v110
	v_and_b32_e32 v110, 0x7f800000, v112
	v_cmp_ne_u32_e64 s[0:1], s46, v110
                                        ; implicit-def: $vgpr110
	s_and_saveexec_b64 s[16:17], s[0:1]
	s_xor_b64 s[0:1], exec, s[16:17]
; %bb.179:                              ;   in Loop: Header=BB350_10 Depth=1
	v_bfe_u32 v110, v112, 16, 1
	v_add3_u32 v110, v112, v110, s47
                                        ; implicit-def: $vgpr112
; %bb.180:                              ;   in Loop: Header=BB350_10 Depth=1
	s_andn2_saveexec_b64 s[16:17], s[0:1]
; %bb.181:                              ;   in Loop: Header=BB350_10 Depth=1
	v_or_b32_e32 v110, 0x10000, v112
	v_cmp_eq_u32_sdwa s[0:1], v112, v3 src0_sel:WORD_0 src1_sel:DWORD
	s_nop 1
	v_cndmask_b32_e64 v110, v110, v112, s[0:1]
; %bb.182:                              ;   in Loop: Header=BB350_10 Depth=1
	s_or_b64 exec, exec, s[16:17]
	v_lshrrev_b16_e32 v111, 8, v111
	v_cvt_f32_fp8_sdwa v111, v111 src0_sel:BYTE_0
	s_nop 0
	v_mul_f32_e32 v112, s43, v111
	v_and_b32_e32 v111, 0x7f800000, v112
	v_cmp_ne_u32_e64 s[0:1], s46, v111
                                        ; implicit-def: $vgpr111
	s_and_saveexec_b64 s[16:17], s[0:1]
	s_xor_b64 s[0:1], exec, s[16:17]
; %bb.183:                              ;   in Loop: Header=BB350_10 Depth=1
	v_bfe_u32 v111, v112, 16, 1
	v_add3_u32 v111, v112, v111, s47
                                        ; implicit-def: $vgpr112
; %bb.184:                              ;   in Loop: Header=BB350_10 Depth=1
	s_andn2_saveexec_b64 s[16:17], s[0:1]
; %bb.185:                              ;   in Loop: Header=BB350_10 Depth=1
	v_or_b32_e32 v111, 0x10000, v112
	v_cmp_eq_u32_sdwa s[0:1], v112, v3 src0_sel:WORD_0 src1_sel:DWORD
	s_nop 1
	v_cndmask_b32_e64 v111, v111, v112, s[0:1]
; %bb.186:                              ;   in Loop: Header=BB350_10 Depth=1
	s_or_b64 exec, exec, s[16:17]
	global_load_ushort v113, v[8:9], off offset:2816
	s_waitcnt vmcnt(0)
	v_and_b32_sdwa v112, s45, v113 dst_sel:DWORD dst_unused:UNUSED_PAD src0_sel:DWORD src1_sel:BYTE_0
	v_cvt_f32_fp8_sdwa v112, v112 src0_sel:BYTE_0
	s_nop 0
	v_mul_f32_e32 v114, s43, v112
	v_and_b32_e32 v112, 0x7f800000, v114
	v_cmp_ne_u32_e64 s[0:1], s46, v112
                                        ; implicit-def: $vgpr112
	s_and_saveexec_b64 s[16:17], s[0:1]
	s_xor_b64 s[0:1], exec, s[16:17]
; %bb.187:                              ;   in Loop: Header=BB350_10 Depth=1
	v_bfe_u32 v112, v114, 16, 1
	v_add3_u32 v112, v114, v112, s47
                                        ; implicit-def: $vgpr114
; %bb.188:                              ;   in Loop: Header=BB350_10 Depth=1
	s_andn2_saveexec_b64 s[16:17], s[0:1]
; %bb.189:                              ;   in Loop: Header=BB350_10 Depth=1
	v_or_b32_e32 v112, 0x10000, v114
	v_cmp_eq_u32_sdwa s[0:1], v114, v3 src0_sel:WORD_0 src1_sel:DWORD
	s_nop 1
	v_cndmask_b32_e64 v112, v112, v114, s[0:1]
; %bb.190:                              ;   in Loop: Header=BB350_10 Depth=1
	s_or_b64 exec, exec, s[16:17]
	v_lshrrev_b16_e32 v113, 8, v113
	v_cvt_f32_fp8_sdwa v113, v113 src0_sel:BYTE_0
	s_nop 0
	v_mul_f32_e32 v114, s43, v113
	v_and_b32_e32 v113, 0x7f800000, v114
	v_cmp_ne_u32_e64 s[0:1], s46, v113
                                        ; implicit-def: $vgpr113
	s_and_saveexec_b64 s[16:17], s[0:1]
	s_xor_b64 s[0:1], exec, s[16:17]
; %bb.191:                              ;   in Loop: Header=BB350_10 Depth=1
	v_bfe_u32 v113, v114, 16, 1
	v_add3_u32 v113, v114, v113, s47
                                        ; implicit-def: $vgpr114
; %bb.192:                              ;   in Loop: Header=BB350_10 Depth=1
	s_andn2_saveexec_b64 s[16:17], s[0:1]
; %bb.193:                              ;   in Loop: Header=BB350_10 Depth=1
	v_or_b32_e32 v113, 0x10000, v114
	v_cmp_eq_u32_sdwa s[0:1], v114, v3 src0_sel:WORD_0 src1_sel:DWORD
	s_nop 1
	v_cndmask_b32_e64 v113, v113, v114, s[0:1]
; %bb.194:                              ;   in Loop: Header=BB350_10 Depth=1
	s_or_b64 exec, exec, s[16:17]
	global_load_ushort v8, v[8:9], off offset:2824
	s_waitcnt vmcnt(0)
	v_and_b32_sdwa v9, s45, v8 dst_sel:DWORD dst_unused:UNUSED_PAD src0_sel:DWORD src1_sel:BYTE_0
	v_cvt_f32_fp8_sdwa v9, v9 src0_sel:BYTE_0
	s_nop 0
	v_mul_f32_e32 v114, s43, v9
	v_and_b32_e32 v9, 0x7f800000, v114
	v_cmp_ne_u32_e64 s[0:1], s46, v9
                                        ; implicit-def: $vgpr9
	s_and_saveexec_b64 s[16:17], s[0:1]
	s_xor_b64 s[0:1], exec, s[16:17]
; %bb.195:                              ;   in Loop: Header=BB350_10 Depth=1
	v_bfe_u32 v9, v114, 16, 1
	v_add3_u32 v9, v114, v9, s47
                                        ; implicit-def: $vgpr114
; %bb.196:                              ;   in Loop: Header=BB350_10 Depth=1
	s_andn2_saveexec_b64 s[16:17], s[0:1]
; %bb.197:                              ;   in Loop: Header=BB350_10 Depth=1
	v_or_b32_e32 v9, 0x10000, v114
	v_cmp_eq_u32_sdwa s[0:1], v114, v3 src0_sel:WORD_0 src1_sel:DWORD
	s_nop 1
	v_cndmask_b32_e64 v9, v9, v114, s[0:1]
; %bb.198:                              ;   in Loop: Header=BB350_10 Depth=1
	s_or_b64 exec, exec, s[16:17]
	v_lshrrev_b16_e32 v8, 8, v8
	v_cvt_f32_fp8_sdwa v8, v8 src0_sel:BYTE_0
	s_nop 0
	v_mul_f32_e32 v114, s43, v8
	v_and_b32_e32 v8, 0x7f800000, v114
	v_cmp_ne_u32_e64 s[0:1], s46, v8
                                        ; implicit-def: $vgpr8
	s_and_saveexec_b64 s[16:17], s[0:1]
	s_xor_b64 s[0:1], exec, s[16:17]
; %bb.199:                              ;   in Loop: Header=BB350_10 Depth=1
	v_bfe_u32 v8, v114, 16, 1
	v_add3_u32 v8, v114, v8, s47
                                        ; implicit-def: $vgpr114
; %bb.200:                              ;   in Loop: Header=BB350_10 Depth=1
	s_andn2_saveexec_b64 s[16:17], s[0:1]
; %bb.201:                              ;   in Loop: Header=BB350_10 Depth=1
	v_or_b32_e32 v8, 0x10000, v114
	v_cmp_eq_u32_sdwa s[0:1], v114, v3 src0_sel:WORD_0 src1_sel:DWORD
	s_nop 1
	v_cndmask_b32_e64 v8, v8, v114, s[0:1]
; %bb.202:                              ;   in Loop: Header=BB350_10 Depth=1
	s_or_b64 exec, exec, s[16:17]
	v_and_b32_e32 v70, 0xffff0000, v70
	v_and_b32_e32 v71, 0xffff0000, v71
	;; [unrolled: 1-line block ×3, first 2 shown]
	v_mul_f32_e32 v70, v15, v70
	v_and_b32_e32 v69, 0xffff0000, v69
	v_fmac_f32_e32 v70, v1, v68
	v_mul_f32_e32 v68, v16, v71
	v_and_b32_e32 v73, 0xffff0000, v73
	v_and_b32_e32 v72, 0xffff0000, v72
	v_fmac_f32_e32 v68, v14, v69
	v_and_b32_e32 v75, 0xffff0000, v75
	v_and_b32_e32 v74, 0xffff0000, v74
	v_fmac_f32_e32 v70, v17, v72
	v_fmac_f32_e32 v68, v18, v73
	v_and_b32_e32 v77, 0xffff0000, v77
	v_and_b32_e32 v76, 0xffff0000, v76
	v_fmac_f32_e32 v70, v19, v74
	;; [unrolled: 4-line block ×21, first 2 shown]
	v_fmac_f32_e32 v68, v59, v113
	v_fmac_f32_e32 v70, v60, v9
	;; [unrolled: 1-line block ×3, first 2 shown]
	v_add_f32_e32 v8, v70, v68
	ds_bpermute_b32 v9, v63, v8
	s_waitcnt lgkmcnt(0)
	v_add_f32_e32 v8, v8, v9
	ds_bpermute_b32 v9, v64, v8
	s_and_saveexec_b64 s[16:17], vcc
	s_cbranch_execz .LBB350_9
; %bb.203:                              ;   in Loop: Header=BB350_10 Depth=1
	v_add_u32_e32 v68, s44, v65
	v_cvt_f32_i32_e32 v68, v68
	s_waitcnt lgkmcnt(0)
	v_add_f32_e32 v8, v8, v9
	v_cmp_gt_i32_e64 s[0:1], s33, v65
	v_max_f32_e32 v9, v62, v62
	v_mul_f32_e32 v68, s5, v68
	v_cndmask_b32_e64 v68, 0, v68, s[6:7]
	v_fmac_f32_e32 v68, s11, v8
	v_cndmask_b32_e64 v8, 0, v68, s[0:1]
	ds_write_b32 v66, v8
	v_max_f32_e32 v8, v9, v68
	v_cndmask_b32_e64 v62, v62, v8, s[0:1]
	s_branch .LBB350_9
.LBB350_204:
	s_or_b64 exec, exec, s[14:15]
.LBB350_205:
	s_or_b64 exec, exec, s[38:39]
	v_xor_b32_e32 v1, 32, v12
	v_cmp_lt_i32_e32 vcc, v1, v13
	v_xor_b32_e32 v4, 16, v12
	v_max_f32_e32 v3, v62, v62
	v_cndmask_b32_e32 v1, v12, v1, vcc
	v_lshlrev_b32_e32 v2, 2, v1
	ds_bpermute_b32 v1, v2, v62
	v_cmp_lt_i32_e32 vcc, v4, v13
	v_xor_b32_e32 v5, 8, v12
	s_waitcnt lgkmcnt(0)
	v_max_f32_e32 v1, v1, v1
	v_max_f32_e32 v1, v3, v1
	v_cndmask_b32_e32 v3, v12, v4, vcc
	v_lshlrev_b32_e32 v3, 2, v3
	ds_bpermute_b32 v4, v3, v1
	v_cmp_lt_i32_e32 vcc, v5, v13
	s_waitcnt lgkmcnt(0)
	v_max_f32_e32 v4, v4, v4
	v_max_f32_e32 v1, v1, v4
	v_cndmask_b32_e32 v4, v12, v5, vcc
	v_lshlrev_b32_e32 v7, 2, v4
	ds_bpermute_b32 v4, v7, v1
	v_xor_b32_e32 v5, 4, v12
	v_cmp_lt_i32_e32 vcc, v5, v13
	s_waitcnt lgkmcnt(0)
	v_max_f32_e32 v4, v4, v4
	v_max_f32_e32 v4, v1, v4
	v_cndmask_b32_e32 v1, v12, v5, vcc
	v_lshlrev_b32_e32 v8, 2, v1
	ds_bpermute_b32 v6, v8, v4
	v_and_b32_e32 v1, 63, v0
	v_cmp_eq_u32_e32 vcc, 0, v1
	v_lshlrev_b32_e32 v5, 2, v22
	s_and_saveexec_b64 s[0:1], vcc
	s_cbranch_execz .LBB350_207
; %bb.206:
	s_waitcnt lgkmcnt(0)
	v_max_f32_e32 v6, v6, v6
	v_max_f32_e32 v4, v4, v4
	;; [unrolled: 1-line block ×3, first 2 shown]
	ds_write_b32 v5, v4 offset:384
.LBB350_207:
	s_or_b64 exec, exec, s[0:1]
	v_cmp_gt_u32_e64 s[0:1], 2, v1
	v_mov_b32_e32 v4, 0xff7fffff
	s_waitcnt lgkmcnt(0)
	v_lshlrev_b32_e32 v6, 2, v1
	s_barrier
	s_and_saveexec_b64 s[6:7], s[0:1]
	s_cbranch_execz .LBB350_209
; %bb.208:
	ds_read_b32 v4, v6 offset:384
.LBB350_209:
	s_or_b64 exec, exec, s[6:7]
	v_xor_b32_e32 v9, 1, v12
	v_cmp_lt_i32_e64 s[6:7], v9, v13
	s_sub_i32 s3, s27, s3
	s_lshl_b32 s3, s3, 4
	v_cndmask_b32_e64 v9, v12, v9, s[6:7]
	v_lshlrev_b32_e32 v24, 2, v9
	s_waitcnt lgkmcnt(0)
	ds_bpermute_b32 v9, v24, v4
	v_max_f32_e32 v4, v4, v4
	s_add_i32 s3, s3, s40
	s_min_i32 s5, s3, s33
	s_sub_i32 s3, s5, s40
	s_waitcnt lgkmcnt(0)
	v_max_f32_e32 v9, v9, v9
	v_max_f32_e32 v4, v4, v9
	v_lshlrev_b32_e32 v9, 2, v12
	v_and_b32_e32 v9, 0xffffff00, v9
	ds_bpermute_b32 v4, v9, v4
	v_cmp_gt_i32_e64 s[6:7], s3, v0
	v_mov_b32_e32 v14, 0
	s_and_saveexec_b64 s[14:15], s[6:7]
	s_cbranch_execz .LBB350_213
; %bb.210:
	v_mov_b32_e32 v14, 0x190
	v_lshl_add_u32 v15, v0, 2, v14
	s_mov_b64 s[16:17], 0
	v_mov_b32_e32 v14, 0
	v_mov_b32_e32 v16, v0
.LBB350_211:                            ; =>This Inner Loop Header: Depth=1
	ds_read_b32 v17, v15
	v_add_u32_e32 v16, 0x80, v16
	v_cmp_le_i32_e64 s[10:11], s3, v16
	s_or_b64 s[16:17], s[10:11], s[16:17]
	s_waitcnt lgkmcnt(0)
	v_sub_f32_e32 v17, v17, v4
	v_mul_f32_e32 v17, 0x3fb8aa3b, v17
	v_exp_f32_e32 v17, v17
	ds_write_b32 v15, v17
	v_add_f32_e32 v14, v14, v17
	v_add_u32_e32 v15, 0x200, v15
	s_andn2_b64 exec, exec, s[16:17]
	s_cbranch_execnz .LBB350_211
; %bb.212:
	s_or_b64 exec, exec, s[16:17]
.LBB350_213:
	s_or_b64 exec, exec, s[14:15]
	ds_bpermute_b32 v2, v2, v14
	s_waitcnt lgkmcnt(0)
	v_add_f32_e32 v2, v14, v2
	ds_bpermute_b32 v3, v3, v2
	s_waitcnt lgkmcnt(0)
	v_add_f32_e32 v2, v2, v3
	ds_bpermute_b32 v3, v7, v2
	v_xor_b32_e32 v7, 2, v12
	v_cmp_lt_i32_e64 s[10:11], v7, v13
	s_waitcnt lgkmcnt(0)
	v_add_f32_e32 v2, v2, v3
	ds_bpermute_b32 v3, v8, v2
	v_cndmask_b32_e64 v7, v12, v7, s[10:11]
	s_waitcnt lgkmcnt(0)
	v_add_f32_e32 v2, v2, v3
	v_lshlrev_b32_e32 v3, 2, v7
	ds_bpermute_b32 v3, v3, v2
	s_waitcnt lgkmcnt(0)
	v_add_f32_e32 v2, v2, v3
	ds_bpermute_b32 v3, v24, v2
	s_waitcnt lgkmcnt(0)
	v_add_f32_e32 v2, v2, v3
	s_and_saveexec_b64 s[10:11], vcc
	s_cbranch_execz .LBB350_215
; %bb.214:
	ds_write_b32 v5, v2 offset:392
.LBB350_215:
	s_or_b64 exec, exec, s[10:11]
	s_waitcnt lgkmcnt(0)
	s_barrier
	s_and_saveexec_b64 s[10:11], s[0:1]
	s_cbranch_execz .LBB350_217
; %bb.216:
	ds_read_b32 v2, v6 offset:392
.LBB350_217:
	s_or_b64 exec, exec, s[10:11]
	s_waitcnt lgkmcnt(0)
	ds_bpermute_b32 v3, v24, v2
	s_waitcnt lgkmcnt(0)
	v_add_f32_e32 v2, v2, v3
	ds_bpermute_b32 v5, v9, v2
	s_and_saveexec_b64 s[0:1], s[6:7]
	s_cbranch_execz .LBB350_230
; %bb.218:
	s_waitcnt lgkmcnt(0)
	v_add_f32_e32 v2, 0x358637bd, v5
	v_div_scale_f32 v3, s[6:7], v2, v2, 1.0
	v_rcp_f32_e32 v6, v3
	v_div_scale_f32 v7, vcc, 1.0, v2, 1.0
	s_mov_b64 s[10:11], -1
	v_fma_f32 v8, -v3, v6, 1.0
	v_fmac_f32_e32 v6, v8, v6
	v_mul_f32_e32 v8, v7, v6
	v_fma_f32 v9, -v3, v8, v7
	v_fmac_f32_e32 v8, v9, v6
	v_fma_f32 v3, -v3, v8, v7
	v_div_fmas_f32 v3, v3, v6, v8
	v_div_fixup_f32 v2, v3, v2, 1.0
	v_xad_u32 v3, v0, -1, s5
	v_subrev_u32_e32 v6, s40, v3
	s_movk_i32 s5, 0x7f
	v_cmp_lt_u32_e32 vcc, s5, v6
	v_mov_b32_e32 v3, v0
	s_and_saveexec_b64 s[6:7], vcc
	s_cbranch_execz .LBB350_227
; %bb.219:
	v_lshrrev_b32_e32 v6, 7, v6
	v_add_u32_e32 v8, -1, v6
	v_lshrrev_b32_e32 v7, 1, v8
	v_mov_b32_e32 v3, v2
	v_add_u32_e32 v7, 1, v7
	v_cmp_lt_u32_e32 vcc, 13, v8
	v_mov_b32_e32 v12, 0
	s_and_saveexec_b64 s[10:11], vcc
	s_cbranch_execz .LBB350_223
; %bb.220:
	v_mov_b32_e32 v9, 0x190
	v_and_b32_e32 v8, -8, v7
	v_lshl_add_u32 v9, v0, 2, v9
	s_mov_b32 s5, 0
	s_mov_b64 s[14:15], 0
.LBB350_221:                            ; =>This Inner Loop Header: Depth=1
	ds_read2st64_b32 v[12:13], v9 offset1:2
	ds_read2st64_b32 v[14:15], v9 offset0:4 offset1:6
	ds_read2st64_b32 v[16:17], v9 offset0:8 offset1:10
	;; [unrolled: 1-line block ×3, first 2 shown]
	v_add_u32_e32 v8, -8, v8
	s_waitcnt lgkmcnt(3)
	v_pk_mul_f32 v[12:13], v[2:3], v[12:13]
	s_waitcnt lgkmcnt(2)
	v_pk_mul_f32 v[14:15], v[2:3], v[14:15]
	ds_write2st64_b32 v9, v12, v13 offset1:2
	ds_write2st64_b32 v9, v14, v15 offset0:4 offset1:6
	ds_read2st64_b32 v[14:15], v9 offset0:16 offset1:18
	s_waitcnt lgkmcnt(4)
	v_pk_mul_f32 v[12:13], v[2:3], v[16:17]
	ds_write2st64_b32 v9, v12, v13 offset0:8 offset1:10
	s_waitcnt lgkmcnt(4)
	v_pk_mul_f32 v[12:13], v[2:3], v[18:19]
	ds_write2st64_b32 v9, v12, v13 offset0:12 offset1:14
	ds_read2st64_b32 v[12:13], v9 offset0:20 offset1:22
	s_waitcnt lgkmcnt(3)
	v_pk_mul_f32 v[14:15], v[2:3], v[14:15]
	ds_read2st64_b32 v[16:17], v9 offset0:24 offset1:26
	ds_write2st64_b32 v9, v14, v15 offset0:16 offset1:18
	ds_read2st64_b32 v[14:15], v9 offset0:28 offset1:30
	s_waitcnt lgkmcnt(3)
	v_pk_mul_f32 v[12:13], v[2:3], v[12:13]
	ds_write2st64_b32 v9, v12, v13 offset0:20 offset1:22
	s_waitcnt lgkmcnt(3)
	v_pk_mul_f32 v[12:13], v[2:3], v[16:17]
	ds_write2st64_b32 v9, v12, v13 offset0:24 offset1:26
	s_waitcnt lgkmcnt(2)
	v_pk_mul_f32 v[12:13], v[2:3], v[14:15]
	s_add_i32 s5, s5, 16
	v_cmp_eq_u32_e32 vcc, 0, v8
	ds_write2st64_b32 v9, v12, v13 offset0:28 offset1:30
	v_add_u32_e32 v9, 0x2000, v9
	s_or_b64 s[14:15], vcc, s[14:15]
	v_mov_b32_e32 v12, s5
	s_andn2_b64 exec, exec, s[14:15]
	s_cbranch_execnz .LBB350_221
; %bb.222:
	s_or_b64 exec, exec, s[14:15]
.LBB350_223:
	s_or_b64 exec, exec, s[10:11]
	v_and_b32_e32 v7, 7, v7
	v_cmp_ne_u32_e32 vcc, 0, v7
	s_and_saveexec_b64 s[10:11], vcc
	s_cbranch_execz .LBB350_226
; %bb.224:
	v_lshlrev_b32_e32 v8, 9, v12
	v_lshlrev_b32_e32 v9, 2, v0
	s_movk_i32 s5, 0x190
	v_add3_u32 v8, v8, v9, s5
	s_mov_b64 s[14:15], 0
.LBB350_225:                            ; =>This Inner Loop Header: Depth=1
	ds_read2st64_b32 v[12:13], v8 offset1:2
	v_add_u32_e32 v7, -1, v7
	v_cmp_eq_u32_e32 vcc, 0, v7
	s_or_b64 s[14:15], vcc, s[14:15]
	s_waitcnt lgkmcnt(0)
	v_pk_mul_f32 v[12:13], v[2:3], v[12:13]
	ds_write2st64_b32 v8, v12, v13 offset1:2
	v_add_u32_e32 v8, 0x400, v8
	s_andn2_b64 exec, exec, s[14:15]
	s_cbranch_execnz .LBB350_225
.LBB350_226:
	s_or_b64 exec, exec, s[10:11]
	v_add_u32_e32 v6, 1, v6
	v_and_b32_e32 v7, 0x3fffffe, v6
	v_cmp_ne_u32_e32 vcc, v6, v7
	v_lshl_add_u32 v3, v7, 7, v0
	s_orn2_b64 s[10:11], vcc, exec
.LBB350_227:
	s_or_b64 exec, exec, s[6:7]
	s_and_b64 exec, exec, s[10:11]
	s_cbranch_execz .LBB350_230
; %bb.228:
	v_mov_b32_e32 v6, 0x190
	v_lshl_add_u32 v6, v3, 2, v6
	s_mov_b64 s[6:7], 0
.LBB350_229:                            ; =>This Inner Loop Header: Depth=1
	ds_read_b32 v7, v6
	v_add_u32_e32 v3, 0x80, v3
	v_cmp_le_i32_e32 vcc, s3, v3
	s_or_b64 s[6:7], vcc, s[6:7]
	s_waitcnt lgkmcnt(0)
	v_mul_f32_e32 v7, v2, v7
	ds_write_b32 v6, v7
	v_add_u32_e32 v6, 0x200, v6
	s_andn2_b64 exec, exec, s[6:7]
	s_cbranch_execnz .LBB350_229
.LBB350_230:
	s_or_b64 exec, exec, s[0:1]
	v_cmp_eq_u32_e32 vcc, 0, v0
	s_waitcnt lgkmcnt(0)
	s_barrier
	s_and_saveexec_b64 s[0:1], vcc
	s_cbranch_execz .LBB350_232
; %bb.231:
	s_mul_i32 s3, s12, s24
	s_mul_i32 s6, s3, s25
	s_ashr_i32 s7, s6, 31
	s_lshl_b64 s[6:7], s[6:7], 2
	s_add_u32 s5, s22, s6
	s_mul_i32 s2, s12, s2
	s_addc_u32 s10, s23, s7
	s_ashr_i32 s3, s2, 31
	s_lshl_b64 s[2:3], s[2:3], 2
	s_add_u32 s14, s5, s2
	s_addc_u32 s15, s10, s3
	s_ashr_i32 s5, s4, 31
	s_lshl_b64 s[10:11], s[4:5], 2
	s_add_u32 s14, s14, s10
	s_addc_u32 s15, s15, s11
	s_add_u32 s5, s20, s6
	s_addc_u32 s6, s21, s7
	;; [unrolled: 2-line block ×3, first 2 shown]
	s_add_u32 s2, s2, s10
	v_mov_b32_e32 v2, 0
	s_addc_u32 s3, s3, s11
	global_store_dword v2, v4, s[14:15]
	global_store_dword v2, v5, s[2:3]
.LBB350_232:
	s_or_b64 exec, exec, s[0:1]
	v_mov_b32_e32 v13, 0
	v_and_b32_e32 v25, 1, v0
	v_mov_b32_e32 v12, 0
	v_mov_b32_e32 v15, 0
	;; [unrolled: 1-line block ×5, first 2 shown]
	s_and_saveexec_b64 s[2:3], s[8:9]
	s_cbranch_execz .LBB350_664
; %bb.233:
	s_ashr_i32 s1, s42, 31
	v_lshlrev_b32_e32 v2, 3, v0
	s_add_u32 s0, s36, s42
	s_addc_u32 s1, s37, s1
	s_load_dword s10, s[18:19], 0x0
	v_and_b32_e32 v18, 0x1f8, v2
	v_mov_b32_e32 v19, 0
	v_and_b32_e32 v3, 8, v2
	s_add_i32 s11, s41, -1
	v_lshl_add_u64 v[20:21], s[0:1], 0, v[18:19]
	v_lshl_add_u32 v2, v22, 4, s40
	s_lshl_b64 s[0:1], s[34:35], 2
	v_add3_u32 v18, v2, v3, 7
	v_lshlrev_b32_e32 v2, 5, v25
	s_add_u32 s0, s30, s0
	v_lshl_or_b32 v2, v22, 6, v2
	s_addc_u32 s1, s31, s1
	s_mov_b32 s5, s13
	v_add_u32_e32 v26, 0x190, v2
	v_lshl_add_u64 v[22:23], v[10:11], 2, s[0:1]
	s_mov_b64 s[6:7], 0
	s_mov_b32 s13, 0x7f800000
	s_movk_i32 s14, 0x7fff
	v_mov_b32_e32 v16, 0
	v_mov_b32_e32 v17, 0
	v_mov_b32_e32 v14, 0
	v_mov_b32_e32 v15, 0
	v_mov_b32_e32 v12, 0
	v_mov_b32_e32 v13, 0
	s_branch .LBB350_235
.LBB350_234:                            ;   in Loop: Header=BB350_235 Depth=1
	s_or_b64 exec, exec, s[0:1]
	v_and_b32_e32 v41, 0xffff0000, v9
	v_and_b32_e32 v40, 0xffff0000, v7
	;; [unrolled: 1-line block ×8, first 2 shown]
	v_pk_add_f32 v[6:7], v[6:7], v[40:41]
	v_pk_add_f32 v[8:9], v[38:39], v[36:37]
	v_add_f32_e32 v6, v6, v7
	v_add_f32_e32 v6, v6, v8
	v_add_f32_e32 v6, v6, v9
	v_and_b32_e32 v37, 0xffff0000, v48
	v_and_b32_e32 v36, 0xffff0000, v46
	v_and_b32_e32 v39, 0xffff0000, v47
	v_and_b32_e32 v38, 0xffff0000, v45
	v_add_f32_e32 v16, v16, v6
	v_and_b32_e32 v7, 0xffff0000, v52
	v_and_b32_e32 v6, 0xffff0000, v50
	v_and_b32_e32 v9, 0xffff0000, v51
	v_and_b32_e32 v8, 0xffff0000, v49
	v_pk_add_f32 v[36:37], v[38:39], v[36:37]
	v_pk_add_f32 v[6:7], v[8:9], v[6:7]
	v_add_f32_e32 v8, v36, v37
	v_add_f32_e32 v6, v8, v6
	v_add_f32_e32 v6, v6, v7
	v_and_b32_e32 v37, 0xffff0000, v56
	v_and_b32_e32 v36, 0xffff0000, v54
	v_and_b32_e32 v39, 0xffff0000, v55
	v_and_b32_e32 v38, 0xffff0000, v53
	v_add_f32_e32 v17, v17, v6
	v_and_b32_e32 v7, 0xffff0000, v60
	v_and_b32_e32 v6, 0xffff0000, v58
	v_and_b32_e32 v9, 0xffff0000, v59
	v_and_b32_e32 v8, 0xffff0000, v57
	;; [unrolled: 14-line block ×5, first 2 shown]
	v_pk_add_f32 v[2:3], v[2:3], v[8:9]
	v_pk_add_f32 v[4:5], v[6:7], v[4:5]
	v_add_f32_e32 v2, v2, v3
	v_add_f32_e32 v2, v2, v4
	v_add_u32_e32 v10, 2, v10
	v_add_f32_e32 v2, v2, v5
	v_cmp_le_i32_e32 vcc, s27, v10
	v_add_f32_e32 v13, v13, v2
	v_add_u32_e32 v18, 32, v18
	v_add_u32_e32 v26, 0x80, v26
	s_or_b64 s[6:7], vcc, s[6:7]
	v_lshl_add_u64 v[22:23], v[22:23], 0, 8
	s_andn2_b64 exec, exec, s[6:7]
	s_cbranch_execz .LBB350_663
.LBB350_235:                            ; =>This Inner Loop Header: Depth=1
	global_load_dword v29, v[22:23], off
	ds_read2_b64 v[6:9], v26 offset1:1
	ds_read2_b64 v[2:5], v26 offset0:2 offset1:3
                                        ; implicit-def: $vgpr37
	s_waitcnt lgkmcnt(0)
	v_and_b32_e32 v11, 0x7f800000, v6
	v_cmp_ne_u32_e32 vcc, s13, v11
	s_and_saveexec_b64 s[0:1], vcc
	s_xor_b64 s[0:1], exec, s[0:1]
; %bb.236:                              ;   in Loop: Header=BB350_235 Depth=1
	v_bfe_u32 v11, v6, 16, 1
	v_add3_u32 v37, v6, v11, s14
; %bb.237:                              ;   in Loop: Header=BB350_235 Depth=1
	s_andn2_saveexec_b64 s[0:1], s[0:1]
; %bb.238:                              ;   in Loop: Header=BB350_235 Depth=1
	v_or_b32_e32 v11, 0x10000, v6
	v_cmp_eq_u32_sdwa vcc, v6, v19 src0_sel:WORD_0 src1_sel:DWORD
	s_nop 1
	v_cndmask_b32_e32 v37, v11, v6, vcc
; %bb.239:                              ;   in Loop: Header=BB350_235 Depth=1
	s_or_b64 exec, exec, s[0:1]
	v_and_b32_e32 v6, 0x7f800000, v7
	v_cmp_ne_u32_e32 vcc, s13, v6
                                        ; implicit-def: $vgpr38
	s_and_saveexec_b64 s[0:1], vcc
	s_xor_b64 s[0:1], exec, s[0:1]
; %bb.240:                              ;   in Loop: Header=BB350_235 Depth=1
	v_bfe_u32 v6, v7, 16, 1
	v_add3_u32 v38, v7, v6, s14
; %bb.241:                              ;   in Loop: Header=BB350_235 Depth=1
	s_andn2_saveexec_b64 s[0:1], s[0:1]
; %bb.242:                              ;   in Loop: Header=BB350_235 Depth=1
	v_or_b32_e32 v6, 0x10000, v7
	v_cmp_eq_u32_sdwa vcc, v7, v19 src0_sel:WORD_0 src1_sel:DWORD
	s_nop 1
	v_cndmask_b32_e32 v38, v6, v7, vcc
; %bb.243:                              ;   in Loop: Header=BB350_235 Depth=1
	s_or_b64 exec, exec, s[0:1]
	v_and_b32_e32 v6, 0x7f800000, v8
	v_cmp_ne_u32_e32 vcc, s13, v6
                                        ; implicit-def: $vgpr39
	s_and_saveexec_b64 s[0:1], vcc
	s_xor_b64 s[0:1], exec, s[0:1]
; %bb.244:                              ;   in Loop: Header=BB350_235 Depth=1
	v_bfe_u32 v6, v8, 16, 1
	v_add3_u32 v39, v8, v6, s14
; %bb.245:                              ;   in Loop: Header=BB350_235 Depth=1
	s_andn2_saveexec_b64 s[0:1], s[0:1]
; %bb.246:                              ;   in Loop: Header=BB350_235 Depth=1
	v_or_b32_e32 v6, 0x10000, v8
	v_cmp_eq_u32_sdwa vcc, v8, v19 src0_sel:WORD_0 src1_sel:DWORD
	s_nop 1
	v_cndmask_b32_e32 v39, v6, v8, vcc
; %bb.247:                              ;   in Loop: Header=BB350_235 Depth=1
	s_or_b64 exec, exec, s[0:1]
	v_and_b32_e32 v6, 0x7f800000, v9
	v_cmp_ne_u32_e32 vcc, s13, v6
                                        ; implicit-def: $vgpr40
	s_and_saveexec_b64 s[0:1], vcc
	s_xor_b64 s[0:1], exec, s[0:1]
; %bb.248:                              ;   in Loop: Header=BB350_235 Depth=1
	v_bfe_u32 v6, v9, 16, 1
	v_add3_u32 v40, v9, v6, s14
                                        ; implicit-def: $vgpr6_vgpr7_vgpr8_vgpr9
; %bb.249:                              ;   in Loop: Header=BB350_235 Depth=1
	s_andn2_saveexec_b64 s[0:1], s[0:1]
; %bb.250:                              ;   in Loop: Header=BB350_235 Depth=1
	v_or_b32_e32 v6, 0x10000, v9
	v_cmp_eq_u32_sdwa vcc, v9, v19 src0_sel:WORD_0 src1_sel:DWORD
	s_nop 1
	v_cndmask_b32_e32 v40, v6, v9, vcc
; %bb.251:                              ;   in Loop: Header=BB350_235 Depth=1
	s_or_b64 exec, exec, s[0:1]
	v_and_b32_e32 v6, 0x7f800000, v2
	v_cmp_ne_u32_e32 vcc, s13, v6
                                        ; implicit-def: $vgpr11
	s_and_saveexec_b64 s[0:1], vcc
	s_xor_b64 s[0:1], exec, s[0:1]
; %bb.252:                              ;   in Loop: Header=BB350_235 Depth=1
	v_bfe_u32 v6, v2, 16, 1
	v_add3_u32 v11, v2, v6, s14
; %bb.253:                              ;   in Loop: Header=BB350_235 Depth=1
	s_andn2_saveexec_b64 s[0:1], s[0:1]
; %bb.254:                              ;   in Loop: Header=BB350_235 Depth=1
	v_or_b32_e32 v6, 0x10000, v2
	v_cmp_eq_u32_sdwa vcc, v2, v19 src0_sel:WORD_0 src1_sel:DWORD
	s_nop 1
	v_cndmask_b32_e32 v11, v6, v2, vcc
; %bb.255:                              ;   in Loop: Header=BB350_235 Depth=1
	s_or_b64 exec, exec, s[0:1]
	v_and_b32_e32 v2, 0x7f800000, v3
	v_cmp_ne_u32_e32 vcc, s13, v2
                                        ; implicit-def: $vgpr27
	s_and_saveexec_b64 s[0:1], vcc
	s_xor_b64 s[0:1], exec, s[0:1]
; %bb.256:                              ;   in Loop: Header=BB350_235 Depth=1
	v_bfe_u32 v2, v3, 16, 1
	v_add3_u32 v27, v3, v2, s14
; %bb.257:                              ;   in Loop: Header=BB350_235 Depth=1
	s_andn2_saveexec_b64 s[0:1], s[0:1]
; %bb.258:                              ;   in Loop: Header=BB350_235 Depth=1
	v_or_b32_e32 v2, 0x10000, v3
	v_cmp_eq_u32_sdwa vcc, v3, v19 src0_sel:WORD_0 src1_sel:DWORD
	s_nop 1
	v_cndmask_b32_e32 v27, v2, v3, vcc
; %bb.259:                              ;   in Loop: Header=BB350_235 Depth=1
	s_or_b64 exec, exec, s[0:1]
	v_and_b32_e32 v2, 0x7f800000, v4
	v_cmp_ne_u32_e32 vcc, s13, v2
                                        ; implicit-def: $vgpr28
	s_and_saveexec_b64 s[0:1], vcc
	s_xor_b64 s[0:1], exec, s[0:1]
; %bb.260:                              ;   in Loop: Header=BB350_235 Depth=1
	v_bfe_u32 v2, v4, 16, 1
	v_add3_u32 v28, v4, v2, s14
; %bb.261:                              ;   in Loop: Header=BB350_235 Depth=1
	s_andn2_saveexec_b64 s[0:1], s[0:1]
; %bb.262:                              ;   in Loop: Header=BB350_235 Depth=1
	v_or_b32_e32 v2, 0x10000, v4
	v_cmp_eq_u32_sdwa vcc, v4, v19 src0_sel:WORD_0 src1_sel:DWORD
	s_nop 1
	v_cndmask_b32_e32 v28, v2, v4, vcc
; %bb.263:                              ;   in Loop: Header=BB350_235 Depth=1
	s_or_b64 exec, exec, s[0:1]
	v_and_b32_e32 v2, 0x7f800000, v5
	v_cmp_ne_u32_e32 vcc, s13, v2
                                        ; implicit-def: $vgpr36
	s_and_saveexec_b64 s[0:1], vcc
	s_xor_b64 s[0:1], exec, s[0:1]
; %bb.264:                              ;   in Loop: Header=BB350_235 Depth=1
	v_bfe_u32 v2, v5, 16, 1
	v_add3_u32 v36, v5, v2, s14
                                        ; implicit-def: $vgpr2_vgpr3_vgpr4_vgpr5
; %bb.265:                              ;   in Loop: Header=BB350_235 Depth=1
	s_andn2_saveexec_b64 s[0:1], s[0:1]
; %bb.266:                              ;   in Loop: Header=BB350_235 Depth=1
	v_or_b32_e32 v2, 0x10000, v5
	v_cmp_eq_u32_sdwa vcc, v5, v19 src0_sel:WORD_0 src1_sel:DWORD
	s_nop 1
	v_cndmask_b32_e32 v36, v2, v5, vcc
; %bb.267:                              ;   in Loop: Header=BB350_235 Depth=1
	s_or_b64 exec, exec, s[0:1]
	s_waitcnt vmcnt(0)
	v_mad_i64_i32 v[2:3], s[0:1], v29, s5, v[20:21]
	global_load_dwordx2 v[4:5], v[2:3], off
	s_waitcnt vmcnt(0)
	v_and_b32_e32 v6, 0xff, v4
	v_cvt_f32_fp8_sdwa v6, v6 src0_sel:BYTE_0
	s_nop 0
	v_mul_f32_e32 v7, s10, v6
	v_and_b32_e32 v6, 0x7f800000, v7
	v_cmp_ne_u32_e32 vcc, s13, v6
                                        ; implicit-def: $vgpr6
	s_and_saveexec_b64 s[0:1], vcc
	s_xor_b64 s[0:1], exec, s[0:1]
; %bb.268:                              ;   in Loop: Header=BB350_235 Depth=1
	v_bfe_u32 v6, v7, 16, 1
	v_add3_u32 v6, v7, v6, s14
                                        ; implicit-def: $vgpr7
; %bb.269:                              ;   in Loop: Header=BB350_235 Depth=1
	s_andn2_saveexec_b64 s[0:1], s[0:1]
; %bb.270:                              ;   in Loop: Header=BB350_235 Depth=1
	v_or_b32_e32 v6, 0x10000, v7
	v_cmp_eq_u32_sdwa vcc, v7, v19 src0_sel:WORD_0 src1_sel:DWORD
	s_nop 1
	v_cndmask_b32_e32 v6, v6, v7, vcc
; %bb.271:                              ;   in Loop: Header=BB350_235 Depth=1
	s_or_b64 exec, exec, s[0:1]
	v_bfe_u32 v7, v4, 8, 8
	v_cvt_f32_fp8_sdwa v7, v7 src0_sel:BYTE_0
	s_nop 0
	v_mul_f32_e32 v8, s10, v7
	v_and_b32_e32 v7, 0x7f800000, v8
	v_cmp_ne_u32_e32 vcc, s13, v7
                                        ; implicit-def: $vgpr7
	s_and_saveexec_b64 s[0:1], vcc
	s_xor_b64 s[0:1], exec, s[0:1]
; %bb.272:                              ;   in Loop: Header=BB350_235 Depth=1
	v_bfe_u32 v7, v8, 16, 1
	v_add3_u32 v7, v8, v7, s14
                                        ; implicit-def: $vgpr8
; %bb.273:                              ;   in Loop: Header=BB350_235 Depth=1
	s_andn2_saveexec_b64 s[0:1], s[0:1]
; %bb.274:                              ;   in Loop: Header=BB350_235 Depth=1
	v_or_b32_e32 v7, 0x10000, v8
	v_cmp_eq_u32_sdwa vcc, v8, v19 src0_sel:WORD_0 src1_sel:DWORD
	s_nop 1
	v_cndmask_b32_e32 v7, v7, v8, vcc
; %bb.275:                              ;   in Loop: Header=BB350_235 Depth=1
	s_or_b64 exec, exec, s[0:1]
	v_bfe_u32 v8, v4, 16, 8
	v_cvt_f32_fp8_sdwa v8, v8 src0_sel:BYTE_0
	s_nop 0
	v_mul_f32_e32 v9, s10, v8
	v_and_b32_e32 v8, 0x7f800000, v9
	v_cmp_ne_u32_e32 vcc, s13, v8
                                        ; implicit-def: $vgpr8
	s_and_saveexec_b64 s[0:1], vcc
	s_xor_b64 s[0:1], exec, s[0:1]
; %bb.276:                              ;   in Loop: Header=BB350_235 Depth=1
	v_bfe_u32 v8, v9, 16, 1
	v_add3_u32 v8, v9, v8, s14
                                        ; implicit-def: $vgpr9
; %bb.277:                              ;   in Loop: Header=BB350_235 Depth=1
	s_andn2_saveexec_b64 s[0:1], s[0:1]
; %bb.278:                              ;   in Loop: Header=BB350_235 Depth=1
	v_or_b32_e32 v8, 0x10000, v9
	v_cmp_eq_u32_sdwa vcc, v9, v19 src0_sel:WORD_0 src1_sel:DWORD
	s_nop 1
	v_cndmask_b32_e32 v8, v8, v9, vcc
; %bb.279:                              ;   in Loop: Header=BB350_235 Depth=1
	s_or_b64 exec, exec, s[0:1]
	v_lshrrev_b32_e32 v4, 24, v4
	v_cvt_f32_fp8_sdwa v4, v4 src0_sel:BYTE_0
	s_nop 0
	v_mul_f32_e32 v9, s10, v4
	v_and_b32_e32 v4, 0x7f800000, v9
	v_cmp_ne_u32_e32 vcc, s13, v4
                                        ; implicit-def: $vgpr4
	s_and_saveexec_b64 s[0:1], vcc
	s_xor_b64 s[0:1], exec, s[0:1]
; %bb.280:                              ;   in Loop: Header=BB350_235 Depth=1
	v_bfe_u32 v4, v9, 16, 1
	v_add3_u32 v4, v9, v4, s14
                                        ; implicit-def: $vgpr9
; %bb.281:                              ;   in Loop: Header=BB350_235 Depth=1
	s_andn2_saveexec_b64 s[0:1], s[0:1]
; %bb.282:                              ;   in Loop: Header=BB350_235 Depth=1
	v_or_b32_e32 v4, 0x10000, v9
	v_cmp_eq_u32_sdwa vcc, v9, v19 src0_sel:WORD_0 src1_sel:DWORD
	s_nop 1
	v_cndmask_b32_e32 v4, v4, v9, vcc
; %bb.283:                              ;   in Loop: Header=BB350_235 Depth=1
	s_or_b64 exec, exec, s[0:1]
	v_and_b32_e32 v9, 0xff, v5
	v_cvt_f32_fp8_sdwa v9, v9 src0_sel:BYTE_0
	s_nop 0
	v_mul_f32_e32 v29, s10, v9
	v_and_b32_e32 v9, 0x7f800000, v29
	v_cmp_ne_u32_e32 vcc, s13, v9
                                        ; implicit-def: $vgpr9
	s_and_saveexec_b64 s[0:1], vcc
	s_xor_b64 s[0:1], exec, s[0:1]
; %bb.284:                              ;   in Loop: Header=BB350_235 Depth=1
	v_bfe_u32 v9, v29, 16, 1
	v_add3_u32 v9, v29, v9, s14
                                        ; implicit-def: $vgpr29
; %bb.285:                              ;   in Loop: Header=BB350_235 Depth=1
	s_andn2_saveexec_b64 s[0:1], s[0:1]
; %bb.286:                              ;   in Loop: Header=BB350_235 Depth=1
	v_or_b32_e32 v9, 0x10000, v29
	v_cmp_eq_u32_sdwa vcc, v29, v19 src0_sel:WORD_0 src1_sel:DWORD
	s_nop 1
	v_cndmask_b32_e32 v9, v9, v29, vcc
; %bb.287:                              ;   in Loop: Header=BB350_235 Depth=1
	s_or_b64 exec, exec, s[0:1]
	v_bfe_u32 v29, v5, 8, 8
	v_cvt_f32_fp8_sdwa v29, v29 src0_sel:BYTE_0
	s_nop 0
	v_mul_f32_e32 v29, s10, v29
	v_and_b32_e32 v30, 0x7f800000, v29
	v_cmp_ne_u32_e32 vcc, s13, v30
                                        ; implicit-def: $vgpr30
	s_and_saveexec_b64 s[0:1], vcc
	s_xor_b64 s[0:1], exec, s[0:1]
; %bb.288:                              ;   in Loop: Header=BB350_235 Depth=1
	v_bfe_u32 v30, v29, 16, 1
	v_add3_u32 v30, v29, v30, s14
                                        ; implicit-def: $vgpr29
; %bb.289:                              ;   in Loop: Header=BB350_235 Depth=1
	s_andn2_saveexec_b64 s[0:1], s[0:1]
; %bb.290:                              ;   in Loop: Header=BB350_235 Depth=1
	v_or_b32_e32 v30, 0x10000, v29
	v_cmp_eq_u32_sdwa vcc, v29, v19 src0_sel:WORD_0 src1_sel:DWORD
	s_nop 1
	v_cndmask_b32_e32 v30, v30, v29, vcc
; %bb.291:                              ;   in Loop: Header=BB350_235 Depth=1
	s_or_b64 exec, exec, s[0:1]
	v_bfe_u32 v29, v5, 16, 8
	v_cvt_f32_fp8_sdwa v29, v29 src0_sel:BYTE_0
	s_nop 0
	v_mul_f32_e32 v29, s10, v29
	v_and_b32_e32 v31, 0x7f800000, v29
	v_cmp_ne_u32_e32 vcc, s13, v31
                                        ; implicit-def: $vgpr31
	s_and_saveexec_b64 s[0:1], vcc
	s_xor_b64 s[0:1], exec, s[0:1]
; %bb.292:                              ;   in Loop: Header=BB350_235 Depth=1
	v_bfe_u32 v31, v29, 16, 1
	v_add3_u32 v31, v29, v31, s14
                                        ; implicit-def: $vgpr29
; %bb.293:                              ;   in Loop: Header=BB350_235 Depth=1
	s_andn2_saveexec_b64 s[0:1], s[0:1]
; %bb.294:                              ;   in Loop: Header=BB350_235 Depth=1
	v_or_b32_e32 v31, 0x10000, v29
	v_cmp_eq_u32_sdwa vcc, v29, v19 src0_sel:WORD_0 src1_sel:DWORD
	s_nop 1
	v_cndmask_b32_e32 v31, v31, v29, vcc
; %bb.295:                              ;   in Loop: Header=BB350_235 Depth=1
	s_or_b64 exec, exec, s[0:1]
	v_lshrrev_b32_e32 v5, 24, v5
	v_cvt_f32_fp8_sdwa v5, v5 src0_sel:BYTE_0
                                        ; implicit-def: $vgpr32
	s_nop 0
	v_mul_f32_e32 v5, s10, v5
	v_and_b32_e32 v29, 0x7f800000, v5
	v_cmp_ne_u32_e32 vcc, s13, v29
	s_and_saveexec_b64 s[0:1], vcc
	s_xor_b64 s[0:1], exec, s[0:1]
; %bb.296:                              ;   in Loop: Header=BB350_235 Depth=1
	v_bfe_u32 v29, v5, 16, 1
	v_add3_u32 v32, v5, v29, s14
                                        ; implicit-def: $vgpr5
; %bb.297:                              ;   in Loop: Header=BB350_235 Depth=1
	s_andn2_saveexec_b64 s[0:1], s[0:1]
; %bb.298:                              ;   in Loop: Header=BB350_235 Depth=1
	v_or_b32_e32 v29, 0x10000, v5
	v_cmp_eq_u32_sdwa vcc, v5, v19 src0_sel:WORD_0 src1_sel:DWORD
	s_nop 1
	v_cndmask_b32_e32 v32, v29, v5, vcc
; %bb.299:                              ;   in Loop: Header=BB350_235 Depth=1
	s_or_b64 exec, exec, s[0:1]
	v_cmp_eq_u32_e32 vcc, s11, v10
	v_add_u32_e32 v29, -7, v18
	v_lshrrev_b32_e32 v43, 16, v30
	v_lshrrev_b32_e32 v42, 16, v9
	;; [unrolled: 1-line block ×8, first 2 shown]
	v_add_u32_e32 v35, -6, v18
	v_add_u32_e32 v34, -5, v18
	;; [unrolled: 1-line block ×6, first 2 shown]
	s_and_saveexec_b64 s[8:9], vcc
	s_cbranch_execz .LBB350_301
; %bb.300:                              ;   in Loop: Header=BB350_235 Depth=1
	v_cmp_gt_i32_e64 s[0:1], s33, v29
	s_nop 1
	v_cndmask_b32_e64 v6, 0, v6, s[0:1]
	v_cmp_gt_i32_e64 s[0:1], s33, v35
	s_nop 1
	v_cndmask_b32_e64 v7, 0, v7, s[0:1]
	;; [unrolled: 3-line block ×8, first 2 shown]
.LBB350_301:                            ;   in Loop: Header=BB350_235 Depth=1
	s_or_b64 exec, exec, s[8:9]
	v_and_b32_e32 v37, 0xffff0000, v37
	v_lshlrev_b32_e32 v6, 16, v6
	v_mul_f32_e32 v41, v37, v6
	v_and_b32_e32 v6, 0x7f800000, v41
	v_cmp_ne_u32_e64 s[0:1], s13, v6
                                        ; implicit-def: $vgpr6
	s_and_saveexec_b64 s[8:9], s[0:1]
	s_xor_b64 s[0:1], exec, s[8:9]
; %bb.302:                              ;   in Loop: Header=BB350_235 Depth=1
	v_bfe_u32 v6, v41, 16, 1
	v_add3_u32 v6, v41, v6, s14
                                        ; implicit-def: $vgpr41
; %bb.303:                              ;   in Loop: Header=BB350_235 Depth=1
	s_andn2_saveexec_b64 s[8:9], s[0:1]
; %bb.304:                              ;   in Loop: Header=BB350_235 Depth=1
	v_or_b32_e32 v6, 0x10000, v41
	v_cmp_eq_u32_sdwa s[0:1], v41, v19 src0_sel:WORD_0 src1_sel:DWORD
	s_nop 1
	v_cndmask_b32_e64 v6, v6, v41, s[0:1]
; %bb.305:                              ;   in Loop: Header=BB350_235 Depth=1
	s_or_b64 exec, exec, s[8:9]
	v_and_b32_e32 v38, 0xffff0000, v38
	v_lshlrev_b32_e32 v7, 16, v7
	v_mul_f32_e32 v41, v38, v7
	v_and_b32_e32 v7, 0x7f800000, v41
	v_cmp_ne_u32_e64 s[0:1], s13, v7
                                        ; implicit-def: $vgpr7
	s_and_saveexec_b64 s[8:9], s[0:1]
	s_xor_b64 s[0:1], exec, s[8:9]
; %bb.306:                              ;   in Loop: Header=BB350_235 Depth=1
	v_bfe_u32 v7, v41, 16, 1
	v_add3_u32 v7, v41, v7, s14
                                        ; implicit-def: $vgpr41
; %bb.307:                              ;   in Loop: Header=BB350_235 Depth=1
	s_andn2_saveexec_b64 s[8:9], s[0:1]
; %bb.308:                              ;   in Loop: Header=BB350_235 Depth=1
	v_or_b32_e32 v7, 0x10000, v41
	v_cmp_eq_u32_sdwa s[0:1], v41, v19 src0_sel:WORD_0 src1_sel:DWORD
	s_nop 1
	v_cndmask_b32_e64 v7, v7, v41, s[0:1]
; %bb.309:                              ;   in Loop: Header=BB350_235 Depth=1
	s_or_b64 exec, exec, s[8:9]
	v_and_b32_e32 v39, 0xffff0000, v39
	v_lshlrev_b32_e32 v8, 16, v8
	v_mul_f32_e32 v41, v39, v8
	v_and_b32_e32 v8, 0x7f800000, v41
	v_cmp_ne_u32_e64 s[0:1], s13, v8
                                        ; implicit-def: $vgpr8
	s_and_saveexec_b64 s[8:9], s[0:1]
	s_xor_b64 s[0:1], exec, s[8:9]
; %bb.310:                              ;   in Loop: Header=BB350_235 Depth=1
	v_bfe_u32 v8, v41, 16, 1
	v_add3_u32 v8, v41, v8, s14
                                        ; implicit-def: $vgpr41
; %bb.311:                              ;   in Loop: Header=BB350_235 Depth=1
	s_andn2_saveexec_b64 s[8:9], s[0:1]
; %bb.312:                              ;   in Loop: Header=BB350_235 Depth=1
	v_or_b32_e32 v8, 0x10000, v41
	v_cmp_eq_u32_sdwa s[0:1], v41, v19 src0_sel:WORD_0 src1_sel:DWORD
	s_nop 1
	v_cndmask_b32_e64 v8, v8, v41, s[0:1]
; %bb.313:                              ;   in Loop: Header=BB350_235 Depth=1
	s_or_b64 exec, exec, s[8:9]
	v_and_b32_e32 v40, 0xffff0000, v40
	v_lshlrev_b32_e32 v9, 16, v9
	v_mul_f32_e32 v41, v40, v9
	v_and_b32_e32 v9, 0x7f800000, v41
	v_cmp_ne_u32_e64 s[0:1], s13, v9
                                        ; implicit-def: $vgpr9
	s_and_saveexec_b64 s[8:9], s[0:1]
	s_xor_b64 s[0:1], exec, s[8:9]
; %bb.314:                              ;   in Loop: Header=BB350_235 Depth=1
	v_bfe_u32 v9, v41, 16, 1
	v_add3_u32 v9, v41, v9, s14
                                        ; implicit-def: $vgpr41
; %bb.315:                              ;   in Loop: Header=BB350_235 Depth=1
	s_andn2_saveexec_b64 s[8:9], s[0:1]
; %bb.316:                              ;   in Loop: Header=BB350_235 Depth=1
	v_or_b32_e32 v9, 0x10000, v41
	v_cmp_eq_u32_sdwa s[0:1], v41, v19 src0_sel:WORD_0 src1_sel:DWORD
	s_nop 1
	v_cndmask_b32_e64 v9, v9, v41, s[0:1]
; %bb.317:                              ;   in Loop: Header=BB350_235 Depth=1
	s_or_b64 exec, exec, s[8:9]
	v_and_b32_e32 v41, 0xffff0000, v11
	v_lshlrev_b32_e32 v11, 16, v42
	v_mul_f32_e32 v42, v41, v11
	v_and_b32_e32 v11, 0x7f800000, v42
	v_cmp_ne_u32_e64 s[0:1], s13, v11
                                        ; implicit-def: $vgpr11
	s_and_saveexec_b64 s[8:9], s[0:1]
	s_xor_b64 s[0:1], exec, s[8:9]
; %bb.318:                              ;   in Loop: Header=BB350_235 Depth=1
	v_bfe_u32 v11, v42, 16, 1
	v_add3_u32 v11, v42, v11, s14
                                        ; implicit-def: $vgpr42
; %bb.319:                              ;   in Loop: Header=BB350_235 Depth=1
	s_andn2_saveexec_b64 s[8:9], s[0:1]
; %bb.320:                              ;   in Loop: Header=BB350_235 Depth=1
	v_or_b32_e32 v11, 0x10000, v42
	v_cmp_eq_u32_sdwa s[0:1], v42, v19 src0_sel:WORD_0 src1_sel:DWORD
	s_nop 1
	v_cndmask_b32_e64 v11, v11, v42, s[0:1]
; %bb.321:                              ;   in Loop: Header=BB350_235 Depth=1
	s_or_b64 exec, exec, s[8:9]
	v_and_b32_e32 v42, 0xffff0000, v27
	v_lshlrev_b32_e32 v27, 16, v43
	v_mul_f32_e32 v43, v42, v27
	v_and_b32_e32 v27, 0x7f800000, v43
	v_cmp_ne_u32_e64 s[0:1], s13, v27
                                        ; implicit-def: $vgpr27
	s_and_saveexec_b64 s[8:9], s[0:1]
	s_xor_b64 s[0:1], exec, s[8:9]
; %bb.322:                              ;   in Loop: Header=BB350_235 Depth=1
	v_bfe_u32 v27, v43, 16, 1
	v_add3_u32 v27, v43, v27, s14
                                        ; implicit-def: $vgpr43
; %bb.323:                              ;   in Loop: Header=BB350_235 Depth=1
	s_andn2_saveexec_b64 s[8:9], s[0:1]
; %bb.324:                              ;   in Loop: Header=BB350_235 Depth=1
	v_or_b32_e32 v27, 0x10000, v43
	v_cmp_eq_u32_sdwa s[0:1], v43, v19 src0_sel:WORD_0 src1_sel:DWORD
	s_nop 1
	v_cndmask_b32_e64 v27, v27, v43, s[0:1]
; %bb.325:                              ;   in Loop: Header=BB350_235 Depth=1
	s_or_b64 exec, exec, s[8:9]
	v_and_b32_e32 v43, 0xffff0000, v28
	v_lshlrev_b32_e32 v5, 16, v5
	v_mul_f32_e32 v5, v43, v5
	v_and_b32_e32 v28, 0x7f800000, v5
	v_cmp_ne_u32_e64 s[0:1], s13, v28
                                        ; implicit-def: $vgpr28
	s_and_saveexec_b64 s[8:9], s[0:1]
	s_xor_b64 s[0:1], exec, s[8:9]
; %bb.326:                              ;   in Loop: Header=BB350_235 Depth=1
	v_bfe_u32 v28, v5, 16, 1
	v_add3_u32 v28, v5, v28, s14
                                        ; implicit-def: $vgpr5
; %bb.327:                              ;   in Loop: Header=BB350_235 Depth=1
	s_andn2_saveexec_b64 s[8:9], s[0:1]
; %bb.328:                              ;   in Loop: Header=BB350_235 Depth=1
	v_or_b32_e32 v28, 0x10000, v5
	v_cmp_eq_u32_sdwa s[0:1], v5, v19 src0_sel:WORD_0 src1_sel:DWORD
	s_nop 1
	v_cndmask_b32_e64 v28, v28, v5, s[0:1]
; %bb.329:                              ;   in Loop: Header=BB350_235 Depth=1
	s_or_b64 exec, exec, s[8:9]
	v_and_b32_e32 v44, 0xffff0000, v36
	v_lshlrev_b32_e32 v4, 16, v4
	v_mul_f32_e32 v4, v44, v4
	v_and_b32_e32 v5, 0x7f800000, v4
	v_cmp_ne_u32_e64 s[0:1], s13, v5
                                        ; implicit-def: $vgpr36
	s_and_saveexec_b64 s[8:9], s[0:1]
	s_xor_b64 s[0:1], exec, s[8:9]
; %bb.330:                              ;   in Loop: Header=BB350_235 Depth=1
	v_bfe_u32 v5, v4, 16, 1
	v_add3_u32 v36, v4, v5, s14
                                        ; implicit-def: $vgpr4
; %bb.331:                              ;   in Loop: Header=BB350_235 Depth=1
	s_andn2_saveexec_b64 s[8:9], s[0:1]
; %bb.332:                              ;   in Loop: Header=BB350_235 Depth=1
	v_or_b32_e32 v5, 0x10000, v4
	v_cmp_eq_u32_sdwa s[0:1], v4, v19 src0_sel:WORD_0 src1_sel:DWORD
	s_nop 1
	v_cndmask_b32_e64 v36, v5, v4, s[0:1]
; %bb.333:                              ;   in Loop: Header=BB350_235 Depth=1
	s_or_b64 exec, exec, s[8:9]
	global_load_dwordx2 v[4:5], v[2:3], off offset:512
	s_waitcnt vmcnt(0)
	v_and_b32_e32 v45, 0xff, v4
	v_cvt_f32_fp8_sdwa v45, v45 src0_sel:BYTE_0
	s_nop 0
	v_mul_f32_e32 v46, s10, v45
	v_and_b32_e32 v45, 0x7f800000, v46
	v_cmp_ne_u32_e64 s[0:1], s13, v45
                                        ; implicit-def: $vgpr45
	s_and_saveexec_b64 s[8:9], s[0:1]
	s_xor_b64 s[0:1], exec, s[8:9]
; %bb.334:                              ;   in Loop: Header=BB350_235 Depth=1
	v_bfe_u32 v45, v46, 16, 1
	v_add3_u32 v45, v46, v45, s14
                                        ; implicit-def: $vgpr46
; %bb.335:                              ;   in Loop: Header=BB350_235 Depth=1
	s_andn2_saveexec_b64 s[8:9], s[0:1]
; %bb.336:                              ;   in Loop: Header=BB350_235 Depth=1
	v_or_b32_e32 v45, 0x10000, v46
	v_cmp_eq_u32_sdwa s[0:1], v46, v19 src0_sel:WORD_0 src1_sel:DWORD
	s_nop 1
	v_cndmask_b32_e64 v45, v45, v46, s[0:1]
; %bb.337:                              ;   in Loop: Header=BB350_235 Depth=1
	s_or_b64 exec, exec, s[8:9]
	v_bfe_u32 v46, v4, 8, 8
	v_cvt_f32_fp8_sdwa v46, v46 src0_sel:BYTE_0
	s_nop 0
	v_mul_f32_e32 v47, s10, v46
	v_and_b32_e32 v46, 0x7f800000, v47
	v_cmp_ne_u32_e64 s[0:1], s13, v46
                                        ; implicit-def: $vgpr46
	s_and_saveexec_b64 s[8:9], s[0:1]
	s_xor_b64 s[0:1], exec, s[8:9]
; %bb.338:                              ;   in Loop: Header=BB350_235 Depth=1
	v_bfe_u32 v46, v47, 16, 1
	v_add3_u32 v46, v47, v46, s14
                                        ; implicit-def: $vgpr47
; %bb.339:                              ;   in Loop: Header=BB350_235 Depth=1
	s_andn2_saveexec_b64 s[8:9], s[0:1]
; %bb.340:                              ;   in Loop: Header=BB350_235 Depth=1
	v_or_b32_e32 v46, 0x10000, v47
	v_cmp_eq_u32_sdwa s[0:1], v47, v19 src0_sel:WORD_0 src1_sel:DWORD
	s_nop 1
	v_cndmask_b32_e64 v46, v46, v47, s[0:1]
; %bb.341:                              ;   in Loop: Header=BB350_235 Depth=1
	s_or_b64 exec, exec, s[8:9]
	v_bfe_u32 v47, v4, 16, 8
	v_cvt_f32_fp8_sdwa v47, v47 src0_sel:BYTE_0
	s_nop 0
	v_mul_f32_e32 v48, s10, v47
	v_and_b32_e32 v47, 0x7f800000, v48
	v_cmp_ne_u32_e64 s[0:1], s13, v47
                                        ; implicit-def: $vgpr47
	s_and_saveexec_b64 s[8:9], s[0:1]
	s_xor_b64 s[0:1], exec, s[8:9]
; %bb.342:                              ;   in Loop: Header=BB350_235 Depth=1
	v_bfe_u32 v47, v48, 16, 1
	v_add3_u32 v47, v48, v47, s14
                                        ; implicit-def: $vgpr48
; %bb.343:                              ;   in Loop: Header=BB350_235 Depth=1
	s_andn2_saveexec_b64 s[8:9], s[0:1]
; %bb.344:                              ;   in Loop: Header=BB350_235 Depth=1
	v_or_b32_e32 v47, 0x10000, v48
	v_cmp_eq_u32_sdwa s[0:1], v48, v19 src0_sel:WORD_0 src1_sel:DWORD
	s_nop 1
	v_cndmask_b32_e64 v47, v47, v48, s[0:1]
; %bb.345:                              ;   in Loop: Header=BB350_235 Depth=1
	s_or_b64 exec, exec, s[8:9]
	v_lshrrev_b32_e32 v4, 24, v4
	v_cvt_f32_fp8_sdwa v4, v4 src0_sel:BYTE_0
	s_nop 0
	v_mul_f32_e32 v48, s10, v4
	v_and_b32_e32 v4, 0x7f800000, v48
	v_cmp_ne_u32_e64 s[0:1], s13, v4
                                        ; implicit-def: $vgpr4
	s_and_saveexec_b64 s[8:9], s[0:1]
	s_xor_b64 s[0:1], exec, s[8:9]
; %bb.346:                              ;   in Loop: Header=BB350_235 Depth=1
	v_bfe_u32 v4, v48, 16, 1
	v_add3_u32 v4, v48, v4, s14
                                        ; implicit-def: $vgpr48
; %bb.347:                              ;   in Loop: Header=BB350_235 Depth=1
	s_andn2_saveexec_b64 s[8:9], s[0:1]
; %bb.348:                              ;   in Loop: Header=BB350_235 Depth=1
	v_or_b32_e32 v4, 0x10000, v48
	v_cmp_eq_u32_sdwa s[0:1], v48, v19 src0_sel:WORD_0 src1_sel:DWORD
	s_nop 1
	v_cndmask_b32_e64 v4, v4, v48, s[0:1]
; %bb.349:                              ;   in Loop: Header=BB350_235 Depth=1
	s_or_b64 exec, exec, s[8:9]
	v_and_b32_e32 v48, 0xff, v5
	v_cvt_f32_fp8_sdwa v48, v48 src0_sel:BYTE_0
	s_nop 0
	v_mul_f32_e32 v49, s10, v48
	v_and_b32_e32 v48, 0x7f800000, v49
	v_cmp_ne_u32_e64 s[0:1], s13, v48
                                        ; implicit-def: $vgpr48
	s_and_saveexec_b64 s[8:9], s[0:1]
	s_xor_b64 s[0:1], exec, s[8:9]
; %bb.350:                              ;   in Loop: Header=BB350_235 Depth=1
	v_bfe_u32 v48, v49, 16, 1
	v_add3_u32 v48, v49, v48, s14
                                        ; implicit-def: $vgpr49
; %bb.351:                              ;   in Loop: Header=BB350_235 Depth=1
	s_andn2_saveexec_b64 s[8:9], s[0:1]
; %bb.352:                              ;   in Loop: Header=BB350_235 Depth=1
	v_or_b32_e32 v48, 0x10000, v49
	v_cmp_eq_u32_sdwa s[0:1], v49, v19 src0_sel:WORD_0 src1_sel:DWORD
	s_nop 1
	v_cndmask_b32_e64 v48, v48, v49, s[0:1]
; %bb.353:                              ;   in Loop: Header=BB350_235 Depth=1
	s_or_b64 exec, exec, s[8:9]
	v_bfe_u32 v49, v5, 8, 8
	v_cvt_f32_fp8_sdwa v49, v49 src0_sel:BYTE_0
	s_nop 0
	v_mul_f32_e32 v50, s10, v49
	v_and_b32_e32 v49, 0x7f800000, v50
	v_cmp_ne_u32_e64 s[0:1], s13, v49
                                        ; implicit-def: $vgpr49
	s_and_saveexec_b64 s[8:9], s[0:1]
	s_xor_b64 s[0:1], exec, s[8:9]
; %bb.354:                              ;   in Loop: Header=BB350_235 Depth=1
	v_bfe_u32 v49, v50, 16, 1
	v_add3_u32 v49, v50, v49, s14
                                        ; implicit-def: $vgpr50
; %bb.355:                              ;   in Loop: Header=BB350_235 Depth=1
	s_andn2_saveexec_b64 s[8:9], s[0:1]
; %bb.356:                              ;   in Loop: Header=BB350_235 Depth=1
	v_or_b32_e32 v49, 0x10000, v50
	v_cmp_eq_u32_sdwa s[0:1], v50, v19 src0_sel:WORD_0 src1_sel:DWORD
	s_nop 1
	v_cndmask_b32_e64 v49, v49, v50, s[0:1]
; %bb.357:                              ;   in Loop: Header=BB350_235 Depth=1
	s_or_b64 exec, exec, s[8:9]
	v_bfe_u32 v50, v5, 16, 8
	v_cvt_f32_fp8_sdwa v50, v50 src0_sel:BYTE_0
	s_nop 0
	v_mul_f32_e32 v50, s10, v50
	v_and_b32_e32 v51, 0x7f800000, v50
	v_cmp_ne_u32_e64 s[0:1], s13, v51
                                        ; implicit-def: $vgpr51
	s_and_saveexec_b64 s[8:9], s[0:1]
	s_xor_b64 s[0:1], exec, s[8:9]
; %bb.358:                              ;   in Loop: Header=BB350_235 Depth=1
	v_bfe_u32 v51, v50, 16, 1
	v_add3_u32 v51, v50, v51, s14
                                        ; implicit-def: $vgpr50
; %bb.359:                              ;   in Loop: Header=BB350_235 Depth=1
	s_andn2_saveexec_b64 s[8:9], s[0:1]
; %bb.360:                              ;   in Loop: Header=BB350_235 Depth=1
	v_or_b32_e32 v51, 0x10000, v50
	v_cmp_eq_u32_sdwa s[0:1], v50, v19 src0_sel:WORD_0 src1_sel:DWORD
	s_nop 1
	v_cndmask_b32_e64 v51, v51, v50, s[0:1]
; %bb.361:                              ;   in Loop: Header=BB350_235 Depth=1
	s_or_b64 exec, exec, s[8:9]
	v_lshrrev_b32_e32 v5, 24, v5
	v_cvt_f32_fp8_sdwa v5, v5 src0_sel:BYTE_0
                                        ; implicit-def: $vgpr52
	s_nop 0
	v_mul_f32_e32 v5, s10, v5
	v_and_b32_e32 v50, 0x7f800000, v5
	v_cmp_ne_u32_e64 s[0:1], s13, v50
	s_and_saveexec_b64 s[8:9], s[0:1]
	s_xor_b64 s[0:1], exec, s[8:9]
; %bb.362:                              ;   in Loop: Header=BB350_235 Depth=1
	v_bfe_u32 v50, v5, 16, 1
	v_add3_u32 v52, v5, v50, s14
                                        ; implicit-def: $vgpr5
; %bb.363:                              ;   in Loop: Header=BB350_235 Depth=1
	s_andn2_saveexec_b64 s[8:9], s[0:1]
; %bb.364:                              ;   in Loop: Header=BB350_235 Depth=1
	v_or_b32_e32 v50, 0x10000, v5
	v_cmp_eq_u32_sdwa s[0:1], v5, v19 src0_sel:WORD_0 src1_sel:DWORD
	s_nop 1
	v_cndmask_b32_e64 v52, v50, v5, s[0:1]
; %bb.365:                              ;   in Loop: Header=BB350_235 Depth=1
	s_or_b64 exec, exec, s[8:9]
	v_lshrrev_b32_e32 v50, 16, v49
	v_lshrrev_b32_e32 v49, 16, v48
	;; [unrolled: 1-line block ×8, first 2 shown]
	s_and_saveexec_b64 s[8:9], vcc
	s_cbranch_execz .LBB350_367
; %bb.366:                              ;   in Loop: Header=BB350_235 Depth=1
	v_cmp_gt_i32_e64 s[0:1], s33, v29
	s_nop 1
	v_cndmask_b32_e64 v45, 0, v45, s[0:1]
	v_cmp_gt_i32_e64 s[0:1], s33, v35
	s_nop 1
	v_cndmask_b32_e64 v46, 0, v46, s[0:1]
	;; [unrolled: 3-line block ×8, first 2 shown]
.LBB350_367:                            ;   in Loop: Header=BB350_235 Depth=1
	s_or_b64 exec, exec, s[8:9]
	v_lshlrev_b32_e32 v45, 16, v45
	v_mul_f32_e32 v51, v37, v45
	v_and_b32_e32 v45, 0x7f800000, v51
	v_cmp_ne_u32_e64 s[0:1], s13, v45
                                        ; implicit-def: $vgpr45
	s_and_saveexec_b64 s[8:9], s[0:1]
	s_xor_b64 s[0:1], exec, s[8:9]
; %bb.368:                              ;   in Loop: Header=BB350_235 Depth=1
	v_bfe_u32 v45, v51, 16, 1
	v_add3_u32 v45, v51, v45, s14
                                        ; implicit-def: $vgpr51
; %bb.369:                              ;   in Loop: Header=BB350_235 Depth=1
	s_andn2_saveexec_b64 s[8:9], s[0:1]
; %bb.370:                              ;   in Loop: Header=BB350_235 Depth=1
	v_or_b32_e32 v45, 0x10000, v51
	v_cmp_eq_u32_sdwa s[0:1], v51, v19 src0_sel:WORD_0 src1_sel:DWORD
	s_nop 1
	v_cndmask_b32_e64 v45, v45, v51, s[0:1]
; %bb.371:                              ;   in Loop: Header=BB350_235 Depth=1
	s_or_b64 exec, exec, s[8:9]
	v_lshlrev_b32_e32 v46, 16, v46
	v_mul_f32_e32 v51, v38, v46
	v_and_b32_e32 v46, 0x7f800000, v51
	v_cmp_ne_u32_e64 s[0:1], s13, v46
                                        ; implicit-def: $vgpr46
	s_and_saveexec_b64 s[8:9], s[0:1]
	s_xor_b64 s[0:1], exec, s[8:9]
; %bb.372:                              ;   in Loop: Header=BB350_235 Depth=1
	v_bfe_u32 v46, v51, 16, 1
	v_add3_u32 v46, v51, v46, s14
                                        ; implicit-def: $vgpr51
; %bb.373:                              ;   in Loop: Header=BB350_235 Depth=1
	s_andn2_saveexec_b64 s[8:9], s[0:1]
; %bb.374:                              ;   in Loop: Header=BB350_235 Depth=1
	v_or_b32_e32 v46, 0x10000, v51
	v_cmp_eq_u32_sdwa s[0:1], v51, v19 src0_sel:WORD_0 src1_sel:DWORD
	s_nop 1
	v_cndmask_b32_e64 v46, v46, v51, s[0:1]
; %bb.375:                              ;   in Loop: Header=BB350_235 Depth=1
	s_or_b64 exec, exec, s[8:9]
	v_lshlrev_b32_e32 v47, 16, v47
	v_mul_f32_e32 v51, v39, v47
	v_and_b32_e32 v47, 0x7f800000, v51
	v_cmp_ne_u32_e64 s[0:1], s13, v47
                                        ; implicit-def: $vgpr47
	s_and_saveexec_b64 s[8:9], s[0:1]
	s_xor_b64 s[0:1], exec, s[8:9]
; %bb.376:                              ;   in Loop: Header=BB350_235 Depth=1
	v_bfe_u32 v47, v51, 16, 1
	v_add3_u32 v47, v51, v47, s14
                                        ; implicit-def: $vgpr51
; %bb.377:                              ;   in Loop: Header=BB350_235 Depth=1
	s_andn2_saveexec_b64 s[8:9], s[0:1]
; %bb.378:                              ;   in Loop: Header=BB350_235 Depth=1
	v_or_b32_e32 v47, 0x10000, v51
	v_cmp_eq_u32_sdwa s[0:1], v51, v19 src0_sel:WORD_0 src1_sel:DWORD
	s_nop 1
	v_cndmask_b32_e64 v47, v47, v51, s[0:1]
; %bb.379:                              ;   in Loop: Header=BB350_235 Depth=1
	s_or_b64 exec, exec, s[8:9]
	v_lshlrev_b32_e32 v48, 16, v48
	v_mul_f32_e32 v51, v40, v48
	v_and_b32_e32 v48, 0x7f800000, v51
	v_cmp_ne_u32_e64 s[0:1], s13, v48
                                        ; implicit-def: $vgpr48
	s_and_saveexec_b64 s[8:9], s[0:1]
	s_xor_b64 s[0:1], exec, s[8:9]
; %bb.380:                              ;   in Loop: Header=BB350_235 Depth=1
	v_bfe_u32 v48, v51, 16, 1
	v_add3_u32 v48, v51, v48, s14
                                        ; implicit-def: $vgpr51
; %bb.381:                              ;   in Loop: Header=BB350_235 Depth=1
	s_andn2_saveexec_b64 s[8:9], s[0:1]
; %bb.382:                              ;   in Loop: Header=BB350_235 Depth=1
	v_or_b32_e32 v48, 0x10000, v51
	v_cmp_eq_u32_sdwa s[0:1], v51, v19 src0_sel:WORD_0 src1_sel:DWORD
	s_nop 1
	v_cndmask_b32_e64 v48, v48, v51, s[0:1]
; %bb.383:                              ;   in Loop: Header=BB350_235 Depth=1
	s_or_b64 exec, exec, s[8:9]
	v_lshlrev_b32_e32 v49, 16, v49
	v_mul_f32_e32 v51, v41, v49
	v_and_b32_e32 v49, 0x7f800000, v51
	v_cmp_ne_u32_e64 s[0:1], s13, v49
                                        ; implicit-def: $vgpr49
	s_and_saveexec_b64 s[8:9], s[0:1]
	s_xor_b64 s[0:1], exec, s[8:9]
; %bb.384:                              ;   in Loop: Header=BB350_235 Depth=1
	v_bfe_u32 v49, v51, 16, 1
	v_add3_u32 v49, v51, v49, s14
                                        ; implicit-def: $vgpr51
; %bb.385:                              ;   in Loop: Header=BB350_235 Depth=1
	s_andn2_saveexec_b64 s[8:9], s[0:1]
; %bb.386:                              ;   in Loop: Header=BB350_235 Depth=1
	v_or_b32_e32 v49, 0x10000, v51
	v_cmp_eq_u32_sdwa s[0:1], v51, v19 src0_sel:WORD_0 src1_sel:DWORD
	s_nop 1
	v_cndmask_b32_e64 v49, v49, v51, s[0:1]
; %bb.387:                              ;   in Loop: Header=BB350_235 Depth=1
	s_or_b64 exec, exec, s[8:9]
	v_lshlrev_b32_e32 v50, 16, v50
	v_mul_f32_e32 v51, v42, v50
	v_and_b32_e32 v50, 0x7f800000, v51
	v_cmp_ne_u32_e64 s[0:1], s13, v50
                                        ; implicit-def: $vgpr50
	s_and_saveexec_b64 s[8:9], s[0:1]
	s_xor_b64 s[0:1], exec, s[8:9]
; %bb.388:                              ;   in Loop: Header=BB350_235 Depth=1
	v_bfe_u32 v50, v51, 16, 1
	v_add3_u32 v50, v51, v50, s14
                                        ; implicit-def: $vgpr51
; %bb.389:                              ;   in Loop: Header=BB350_235 Depth=1
	s_andn2_saveexec_b64 s[8:9], s[0:1]
; %bb.390:                              ;   in Loop: Header=BB350_235 Depth=1
	v_or_b32_e32 v50, 0x10000, v51
	v_cmp_eq_u32_sdwa s[0:1], v51, v19 src0_sel:WORD_0 src1_sel:DWORD
	s_nop 1
	v_cndmask_b32_e64 v50, v50, v51, s[0:1]
; %bb.391:                              ;   in Loop: Header=BB350_235 Depth=1
	s_or_b64 exec, exec, s[8:9]
	v_lshlrev_b32_e32 v5, 16, v5
	v_mul_f32_e32 v5, v43, v5
	v_and_b32_e32 v51, 0x7f800000, v5
	v_cmp_ne_u32_e64 s[0:1], s13, v51
                                        ; implicit-def: $vgpr51
	s_and_saveexec_b64 s[8:9], s[0:1]
	s_xor_b64 s[0:1], exec, s[8:9]
; %bb.392:                              ;   in Loop: Header=BB350_235 Depth=1
	v_bfe_u32 v51, v5, 16, 1
	v_add3_u32 v51, v5, v51, s14
                                        ; implicit-def: $vgpr5
; %bb.393:                              ;   in Loop: Header=BB350_235 Depth=1
	s_andn2_saveexec_b64 s[8:9], s[0:1]
; %bb.394:                              ;   in Loop: Header=BB350_235 Depth=1
	v_or_b32_e32 v51, 0x10000, v5
	v_cmp_eq_u32_sdwa s[0:1], v5, v19 src0_sel:WORD_0 src1_sel:DWORD
	s_nop 1
	v_cndmask_b32_e64 v51, v51, v5, s[0:1]
; %bb.395:                              ;   in Loop: Header=BB350_235 Depth=1
	s_or_b64 exec, exec, s[8:9]
	v_lshlrev_b32_e32 v4, 16, v4
	v_mul_f32_e32 v4, v44, v4
	v_and_b32_e32 v5, 0x7f800000, v4
	v_cmp_ne_u32_e64 s[0:1], s13, v5
                                        ; implicit-def: $vgpr52
	s_and_saveexec_b64 s[8:9], s[0:1]
	s_xor_b64 s[0:1], exec, s[8:9]
; %bb.396:                              ;   in Loop: Header=BB350_235 Depth=1
	v_bfe_u32 v5, v4, 16, 1
	v_add3_u32 v52, v4, v5, s14
                                        ; implicit-def: $vgpr4
; %bb.397:                              ;   in Loop: Header=BB350_235 Depth=1
	s_andn2_saveexec_b64 s[8:9], s[0:1]
; %bb.398:                              ;   in Loop: Header=BB350_235 Depth=1
	v_or_b32_e32 v5, 0x10000, v4
	v_cmp_eq_u32_sdwa s[0:1], v4, v19 src0_sel:WORD_0 src1_sel:DWORD
	s_nop 1
	v_cndmask_b32_e64 v52, v5, v4, s[0:1]
; %bb.399:                              ;   in Loop: Header=BB350_235 Depth=1
	s_or_b64 exec, exec, s[8:9]
	global_load_dwordx2 v[4:5], v[2:3], off offset:1024
	s_waitcnt vmcnt(0)
	v_and_b32_e32 v53, 0xff, v4
	v_cvt_f32_fp8_sdwa v53, v53 src0_sel:BYTE_0
	s_nop 0
	v_mul_f32_e32 v54, s10, v53
	v_and_b32_e32 v53, 0x7f800000, v54
	v_cmp_ne_u32_e64 s[0:1], s13, v53
                                        ; implicit-def: $vgpr53
	s_and_saveexec_b64 s[8:9], s[0:1]
	s_xor_b64 s[0:1], exec, s[8:9]
; %bb.400:                              ;   in Loop: Header=BB350_235 Depth=1
	v_bfe_u32 v53, v54, 16, 1
	v_add3_u32 v53, v54, v53, s14
                                        ; implicit-def: $vgpr54
; %bb.401:                              ;   in Loop: Header=BB350_235 Depth=1
	s_andn2_saveexec_b64 s[8:9], s[0:1]
; %bb.402:                              ;   in Loop: Header=BB350_235 Depth=1
	v_or_b32_e32 v53, 0x10000, v54
	v_cmp_eq_u32_sdwa s[0:1], v54, v19 src0_sel:WORD_0 src1_sel:DWORD
	s_nop 1
	v_cndmask_b32_e64 v53, v53, v54, s[0:1]
; %bb.403:                              ;   in Loop: Header=BB350_235 Depth=1
	s_or_b64 exec, exec, s[8:9]
	v_bfe_u32 v54, v4, 8, 8
	v_cvt_f32_fp8_sdwa v54, v54 src0_sel:BYTE_0
	s_nop 0
	v_mul_f32_e32 v55, s10, v54
	v_and_b32_e32 v54, 0x7f800000, v55
	v_cmp_ne_u32_e64 s[0:1], s13, v54
                                        ; implicit-def: $vgpr54
	s_and_saveexec_b64 s[8:9], s[0:1]
	s_xor_b64 s[0:1], exec, s[8:9]
; %bb.404:                              ;   in Loop: Header=BB350_235 Depth=1
	v_bfe_u32 v54, v55, 16, 1
	v_add3_u32 v54, v55, v54, s14
                                        ; implicit-def: $vgpr55
; %bb.405:                              ;   in Loop: Header=BB350_235 Depth=1
	s_andn2_saveexec_b64 s[8:9], s[0:1]
; %bb.406:                              ;   in Loop: Header=BB350_235 Depth=1
	v_or_b32_e32 v54, 0x10000, v55
	v_cmp_eq_u32_sdwa s[0:1], v55, v19 src0_sel:WORD_0 src1_sel:DWORD
	s_nop 1
	v_cndmask_b32_e64 v54, v54, v55, s[0:1]
; %bb.407:                              ;   in Loop: Header=BB350_235 Depth=1
	s_or_b64 exec, exec, s[8:9]
	v_bfe_u32 v55, v4, 16, 8
	v_cvt_f32_fp8_sdwa v55, v55 src0_sel:BYTE_0
	s_nop 0
	v_mul_f32_e32 v56, s10, v55
	v_and_b32_e32 v55, 0x7f800000, v56
	v_cmp_ne_u32_e64 s[0:1], s13, v55
                                        ; implicit-def: $vgpr55
	s_and_saveexec_b64 s[8:9], s[0:1]
	s_xor_b64 s[0:1], exec, s[8:9]
; %bb.408:                              ;   in Loop: Header=BB350_235 Depth=1
	v_bfe_u32 v55, v56, 16, 1
	v_add3_u32 v55, v56, v55, s14
                                        ; implicit-def: $vgpr56
; %bb.409:                              ;   in Loop: Header=BB350_235 Depth=1
	s_andn2_saveexec_b64 s[8:9], s[0:1]
; %bb.410:                              ;   in Loop: Header=BB350_235 Depth=1
	v_or_b32_e32 v55, 0x10000, v56
	v_cmp_eq_u32_sdwa s[0:1], v56, v19 src0_sel:WORD_0 src1_sel:DWORD
	s_nop 1
	v_cndmask_b32_e64 v55, v55, v56, s[0:1]
; %bb.411:                              ;   in Loop: Header=BB350_235 Depth=1
	s_or_b64 exec, exec, s[8:9]
	v_lshrrev_b32_e32 v4, 24, v4
	v_cvt_f32_fp8_sdwa v4, v4 src0_sel:BYTE_0
	s_nop 0
	v_mul_f32_e32 v56, s10, v4
	v_and_b32_e32 v4, 0x7f800000, v56
	v_cmp_ne_u32_e64 s[0:1], s13, v4
                                        ; implicit-def: $vgpr4
	s_and_saveexec_b64 s[8:9], s[0:1]
	s_xor_b64 s[0:1], exec, s[8:9]
; %bb.412:                              ;   in Loop: Header=BB350_235 Depth=1
	v_bfe_u32 v4, v56, 16, 1
	v_add3_u32 v4, v56, v4, s14
                                        ; implicit-def: $vgpr56
; %bb.413:                              ;   in Loop: Header=BB350_235 Depth=1
	s_andn2_saveexec_b64 s[8:9], s[0:1]
; %bb.414:                              ;   in Loop: Header=BB350_235 Depth=1
	v_or_b32_e32 v4, 0x10000, v56
	v_cmp_eq_u32_sdwa s[0:1], v56, v19 src0_sel:WORD_0 src1_sel:DWORD
	s_nop 1
	v_cndmask_b32_e64 v4, v4, v56, s[0:1]
; %bb.415:                              ;   in Loop: Header=BB350_235 Depth=1
	s_or_b64 exec, exec, s[8:9]
	v_and_b32_e32 v56, 0xff, v5
	v_cvt_f32_fp8_sdwa v56, v56 src0_sel:BYTE_0
	s_nop 0
	v_mul_f32_e32 v57, s10, v56
	v_and_b32_e32 v56, 0x7f800000, v57
	v_cmp_ne_u32_e64 s[0:1], s13, v56
                                        ; implicit-def: $vgpr56
	s_and_saveexec_b64 s[8:9], s[0:1]
	s_xor_b64 s[0:1], exec, s[8:9]
; %bb.416:                              ;   in Loop: Header=BB350_235 Depth=1
	v_bfe_u32 v56, v57, 16, 1
	v_add3_u32 v56, v57, v56, s14
                                        ; implicit-def: $vgpr57
; %bb.417:                              ;   in Loop: Header=BB350_235 Depth=1
	s_andn2_saveexec_b64 s[8:9], s[0:1]
; %bb.418:                              ;   in Loop: Header=BB350_235 Depth=1
	v_or_b32_e32 v56, 0x10000, v57
	v_cmp_eq_u32_sdwa s[0:1], v57, v19 src0_sel:WORD_0 src1_sel:DWORD
	s_nop 1
	v_cndmask_b32_e64 v56, v56, v57, s[0:1]
; %bb.419:                              ;   in Loop: Header=BB350_235 Depth=1
	s_or_b64 exec, exec, s[8:9]
	v_bfe_u32 v57, v5, 8, 8
	v_cvt_f32_fp8_sdwa v57, v57 src0_sel:BYTE_0
	s_nop 0
	v_mul_f32_e32 v58, s10, v57
	v_and_b32_e32 v57, 0x7f800000, v58
	v_cmp_ne_u32_e64 s[0:1], s13, v57
                                        ; implicit-def: $vgpr57
	s_and_saveexec_b64 s[8:9], s[0:1]
	s_xor_b64 s[0:1], exec, s[8:9]
; %bb.420:                              ;   in Loop: Header=BB350_235 Depth=1
	v_bfe_u32 v57, v58, 16, 1
	v_add3_u32 v57, v58, v57, s14
                                        ; implicit-def: $vgpr58
; %bb.421:                              ;   in Loop: Header=BB350_235 Depth=1
	s_andn2_saveexec_b64 s[8:9], s[0:1]
; %bb.422:                              ;   in Loop: Header=BB350_235 Depth=1
	v_or_b32_e32 v57, 0x10000, v58
	v_cmp_eq_u32_sdwa s[0:1], v58, v19 src0_sel:WORD_0 src1_sel:DWORD
	s_nop 1
	v_cndmask_b32_e64 v57, v57, v58, s[0:1]
; %bb.423:                              ;   in Loop: Header=BB350_235 Depth=1
	s_or_b64 exec, exec, s[8:9]
	v_bfe_u32 v58, v5, 16, 8
	v_cvt_f32_fp8_sdwa v58, v58 src0_sel:BYTE_0
	s_nop 0
	v_mul_f32_e32 v58, s10, v58
	v_and_b32_e32 v59, 0x7f800000, v58
	v_cmp_ne_u32_e64 s[0:1], s13, v59
                                        ; implicit-def: $vgpr59
	s_and_saveexec_b64 s[8:9], s[0:1]
	s_xor_b64 s[0:1], exec, s[8:9]
; %bb.424:                              ;   in Loop: Header=BB350_235 Depth=1
	v_bfe_u32 v59, v58, 16, 1
	v_add3_u32 v59, v58, v59, s14
                                        ; implicit-def: $vgpr58
; %bb.425:                              ;   in Loop: Header=BB350_235 Depth=1
	s_andn2_saveexec_b64 s[8:9], s[0:1]
; %bb.426:                              ;   in Loop: Header=BB350_235 Depth=1
	v_or_b32_e32 v59, 0x10000, v58
	v_cmp_eq_u32_sdwa s[0:1], v58, v19 src0_sel:WORD_0 src1_sel:DWORD
	s_nop 1
	v_cndmask_b32_e64 v59, v59, v58, s[0:1]
; %bb.427:                              ;   in Loop: Header=BB350_235 Depth=1
	s_or_b64 exec, exec, s[8:9]
	v_lshrrev_b32_e32 v5, 24, v5
	v_cvt_f32_fp8_sdwa v5, v5 src0_sel:BYTE_0
                                        ; implicit-def: $vgpr60
	s_nop 0
	v_mul_f32_e32 v5, s10, v5
	v_and_b32_e32 v58, 0x7f800000, v5
	v_cmp_ne_u32_e64 s[0:1], s13, v58
	s_and_saveexec_b64 s[8:9], s[0:1]
	s_xor_b64 s[0:1], exec, s[8:9]
; %bb.428:                              ;   in Loop: Header=BB350_235 Depth=1
	v_bfe_u32 v58, v5, 16, 1
	v_add3_u32 v60, v5, v58, s14
                                        ; implicit-def: $vgpr5
; %bb.429:                              ;   in Loop: Header=BB350_235 Depth=1
	s_andn2_saveexec_b64 s[8:9], s[0:1]
; %bb.430:                              ;   in Loop: Header=BB350_235 Depth=1
	v_or_b32_e32 v58, 0x10000, v5
	v_cmp_eq_u32_sdwa s[0:1], v5, v19 src0_sel:WORD_0 src1_sel:DWORD
	s_nop 1
	v_cndmask_b32_e64 v60, v58, v5, s[0:1]
; %bb.431:                              ;   in Loop: Header=BB350_235 Depth=1
	s_or_b64 exec, exec, s[8:9]
	v_lshrrev_b32_e32 v58, 16, v57
	v_lshrrev_b32_e32 v57, 16, v56
	;; [unrolled: 1-line block ×8, first 2 shown]
	s_and_saveexec_b64 s[8:9], vcc
	s_cbranch_execz .LBB350_433
; %bb.432:                              ;   in Loop: Header=BB350_235 Depth=1
	v_cmp_gt_i32_e64 s[0:1], s33, v29
	s_nop 1
	v_cndmask_b32_e64 v53, 0, v53, s[0:1]
	v_cmp_gt_i32_e64 s[0:1], s33, v35
	s_nop 1
	v_cndmask_b32_e64 v54, 0, v54, s[0:1]
	;; [unrolled: 3-line block ×8, first 2 shown]
.LBB350_433:                            ;   in Loop: Header=BB350_235 Depth=1
	s_or_b64 exec, exec, s[8:9]
	v_lshlrev_b32_e32 v53, 16, v53
	v_mul_f32_e32 v59, v37, v53
	v_and_b32_e32 v53, 0x7f800000, v59
	v_cmp_ne_u32_e64 s[0:1], s13, v53
                                        ; implicit-def: $vgpr53
	s_and_saveexec_b64 s[8:9], s[0:1]
	s_xor_b64 s[0:1], exec, s[8:9]
; %bb.434:                              ;   in Loop: Header=BB350_235 Depth=1
	v_bfe_u32 v53, v59, 16, 1
	v_add3_u32 v53, v59, v53, s14
                                        ; implicit-def: $vgpr59
; %bb.435:                              ;   in Loop: Header=BB350_235 Depth=1
	s_andn2_saveexec_b64 s[8:9], s[0:1]
; %bb.436:                              ;   in Loop: Header=BB350_235 Depth=1
	v_or_b32_e32 v53, 0x10000, v59
	v_cmp_eq_u32_sdwa s[0:1], v59, v19 src0_sel:WORD_0 src1_sel:DWORD
	s_nop 1
	v_cndmask_b32_e64 v53, v53, v59, s[0:1]
; %bb.437:                              ;   in Loop: Header=BB350_235 Depth=1
	s_or_b64 exec, exec, s[8:9]
	v_lshlrev_b32_e32 v54, 16, v54
	v_mul_f32_e32 v59, v38, v54
	v_and_b32_e32 v54, 0x7f800000, v59
	v_cmp_ne_u32_e64 s[0:1], s13, v54
                                        ; implicit-def: $vgpr54
	s_and_saveexec_b64 s[8:9], s[0:1]
	s_xor_b64 s[0:1], exec, s[8:9]
; %bb.438:                              ;   in Loop: Header=BB350_235 Depth=1
	v_bfe_u32 v54, v59, 16, 1
	v_add3_u32 v54, v59, v54, s14
                                        ; implicit-def: $vgpr59
; %bb.439:                              ;   in Loop: Header=BB350_235 Depth=1
	s_andn2_saveexec_b64 s[8:9], s[0:1]
; %bb.440:                              ;   in Loop: Header=BB350_235 Depth=1
	v_or_b32_e32 v54, 0x10000, v59
	v_cmp_eq_u32_sdwa s[0:1], v59, v19 src0_sel:WORD_0 src1_sel:DWORD
	s_nop 1
	v_cndmask_b32_e64 v54, v54, v59, s[0:1]
; %bb.441:                              ;   in Loop: Header=BB350_235 Depth=1
	s_or_b64 exec, exec, s[8:9]
	v_lshlrev_b32_e32 v55, 16, v55
	v_mul_f32_e32 v59, v39, v55
	v_and_b32_e32 v55, 0x7f800000, v59
	v_cmp_ne_u32_e64 s[0:1], s13, v55
                                        ; implicit-def: $vgpr55
	s_and_saveexec_b64 s[8:9], s[0:1]
	s_xor_b64 s[0:1], exec, s[8:9]
; %bb.442:                              ;   in Loop: Header=BB350_235 Depth=1
	v_bfe_u32 v55, v59, 16, 1
	v_add3_u32 v55, v59, v55, s14
                                        ; implicit-def: $vgpr59
; %bb.443:                              ;   in Loop: Header=BB350_235 Depth=1
	s_andn2_saveexec_b64 s[8:9], s[0:1]
; %bb.444:                              ;   in Loop: Header=BB350_235 Depth=1
	v_or_b32_e32 v55, 0x10000, v59
	v_cmp_eq_u32_sdwa s[0:1], v59, v19 src0_sel:WORD_0 src1_sel:DWORD
	s_nop 1
	v_cndmask_b32_e64 v55, v55, v59, s[0:1]
; %bb.445:                              ;   in Loop: Header=BB350_235 Depth=1
	s_or_b64 exec, exec, s[8:9]
	v_lshlrev_b32_e32 v56, 16, v56
	v_mul_f32_e32 v59, v40, v56
	v_and_b32_e32 v56, 0x7f800000, v59
	v_cmp_ne_u32_e64 s[0:1], s13, v56
                                        ; implicit-def: $vgpr56
	s_and_saveexec_b64 s[8:9], s[0:1]
	s_xor_b64 s[0:1], exec, s[8:9]
; %bb.446:                              ;   in Loop: Header=BB350_235 Depth=1
	v_bfe_u32 v56, v59, 16, 1
	v_add3_u32 v56, v59, v56, s14
                                        ; implicit-def: $vgpr59
; %bb.447:                              ;   in Loop: Header=BB350_235 Depth=1
	s_andn2_saveexec_b64 s[8:9], s[0:1]
; %bb.448:                              ;   in Loop: Header=BB350_235 Depth=1
	v_or_b32_e32 v56, 0x10000, v59
	v_cmp_eq_u32_sdwa s[0:1], v59, v19 src0_sel:WORD_0 src1_sel:DWORD
	s_nop 1
	v_cndmask_b32_e64 v56, v56, v59, s[0:1]
; %bb.449:                              ;   in Loop: Header=BB350_235 Depth=1
	s_or_b64 exec, exec, s[8:9]
	v_lshlrev_b32_e32 v57, 16, v57
	v_mul_f32_e32 v59, v41, v57
	v_and_b32_e32 v57, 0x7f800000, v59
	v_cmp_ne_u32_e64 s[0:1], s13, v57
                                        ; implicit-def: $vgpr57
	s_and_saveexec_b64 s[8:9], s[0:1]
	s_xor_b64 s[0:1], exec, s[8:9]
; %bb.450:                              ;   in Loop: Header=BB350_235 Depth=1
	v_bfe_u32 v57, v59, 16, 1
	v_add3_u32 v57, v59, v57, s14
                                        ; implicit-def: $vgpr59
; %bb.451:                              ;   in Loop: Header=BB350_235 Depth=1
	s_andn2_saveexec_b64 s[8:9], s[0:1]
; %bb.452:                              ;   in Loop: Header=BB350_235 Depth=1
	v_or_b32_e32 v57, 0x10000, v59
	v_cmp_eq_u32_sdwa s[0:1], v59, v19 src0_sel:WORD_0 src1_sel:DWORD
	s_nop 1
	v_cndmask_b32_e64 v57, v57, v59, s[0:1]
; %bb.453:                              ;   in Loop: Header=BB350_235 Depth=1
	s_or_b64 exec, exec, s[8:9]
	v_lshlrev_b32_e32 v58, 16, v58
	v_mul_f32_e32 v59, v42, v58
	v_and_b32_e32 v58, 0x7f800000, v59
	v_cmp_ne_u32_e64 s[0:1], s13, v58
                                        ; implicit-def: $vgpr58
	s_and_saveexec_b64 s[8:9], s[0:1]
	s_xor_b64 s[0:1], exec, s[8:9]
; %bb.454:                              ;   in Loop: Header=BB350_235 Depth=1
	v_bfe_u32 v58, v59, 16, 1
	v_add3_u32 v58, v59, v58, s14
                                        ; implicit-def: $vgpr59
; %bb.455:                              ;   in Loop: Header=BB350_235 Depth=1
	s_andn2_saveexec_b64 s[8:9], s[0:1]
; %bb.456:                              ;   in Loop: Header=BB350_235 Depth=1
	v_or_b32_e32 v58, 0x10000, v59
	v_cmp_eq_u32_sdwa s[0:1], v59, v19 src0_sel:WORD_0 src1_sel:DWORD
	s_nop 1
	v_cndmask_b32_e64 v58, v58, v59, s[0:1]
; %bb.457:                              ;   in Loop: Header=BB350_235 Depth=1
	s_or_b64 exec, exec, s[8:9]
	v_lshlrev_b32_e32 v5, 16, v5
	v_mul_f32_e32 v5, v43, v5
	v_and_b32_e32 v59, 0x7f800000, v5
	v_cmp_ne_u32_e64 s[0:1], s13, v59
                                        ; implicit-def: $vgpr59
	s_and_saveexec_b64 s[8:9], s[0:1]
	s_xor_b64 s[0:1], exec, s[8:9]
; %bb.458:                              ;   in Loop: Header=BB350_235 Depth=1
	v_bfe_u32 v59, v5, 16, 1
	v_add3_u32 v59, v5, v59, s14
                                        ; implicit-def: $vgpr5
; %bb.459:                              ;   in Loop: Header=BB350_235 Depth=1
	s_andn2_saveexec_b64 s[8:9], s[0:1]
; %bb.460:                              ;   in Loop: Header=BB350_235 Depth=1
	v_or_b32_e32 v59, 0x10000, v5
	v_cmp_eq_u32_sdwa s[0:1], v5, v19 src0_sel:WORD_0 src1_sel:DWORD
	s_nop 1
	v_cndmask_b32_e64 v59, v59, v5, s[0:1]
; %bb.461:                              ;   in Loop: Header=BB350_235 Depth=1
	s_or_b64 exec, exec, s[8:9]
	v_lshlrev_b32_e32 v4, 16, v4
	v_mul_f32_e32 v4, v44, v4
	v_and_b32_e32 v5, 0x7f800000, v4
	v_cmp_ne_u32_e64 s[0:1], s13, v5
                                        ; implicit-def: $vgpr60
	s_and_saveexec_b64 s[8:9], s[0:1]
	s_xor_b64 s[0:1], exec, s[8:9]
; %bb.462:                              ;   in Loop: Header=BB350_235 Depth=1
	v_bfe_u32 v5, v4, 16, 1
	v_add3_u32 v60, v4, v5, s14
                                        ; implicit-def: $vgpr4
; %bb.463:                              ;   in Loop: Header=BB350_235 Depth=1
	s_andn2_saveexec_b64 s[8:9], s[0:1]
; %bb.464:                              ;   in Loop: Header=BB350_235 Depth=1
	v_or_b32_e32 v5, 0x10000, v4
	v_cmp_eq_u32_sdwa s[0:1], v4, v19 src0_sel:WORD_0 src1_sel:DWORD
	s_nop 1
	v_cndmask_b32_e64 v60, v5, v4, s[0:1]
; %bb.465:                              ;   in Loop: Header=BB350_235 Depth=1
	s_or_b64 exec, exec, s[8:9]
	global_load_dwordx2 v[4:5], v[2:3], off offset:1536
	s_waitcnt vmcnt(0)
	v_and_b32_e32 v61, 0xff, v4
	v_cvt_f32_fp8_sdwa v61, v61 src0_sel:BYTE_0
	s_nop 0
	v_mul_f32_e32 v62, s10, v61
	v_and_b32_e32 v61, 0x7f800000, v62
	v_cmp_ne_u32_e64 s[0:1], s13, v61
                                        ; implicit-def: $vgpr61
	s_and_saveexec_b64 s[8:9], s[0:1]
	s_xor_b64 s[0:1], exec, s[8:9]
; %bb.466:                              ;   in Loop: Header=BB350_235 Depth=1
	v_bfe_u32 v61, v62, 16, 1
	v_add3_u32 v61, v62, v61, s14
                                        ; implicit-def: $vgpr62
; %bb.467:                              ;   in Loop: Header=BB350_235 Depth=1
	s_andn2_saveexec_b64 s[8:9], s[0:1]
; %bb.468:                              ;   in Loop: Header=BB350_235 Depth=1
	v_or_b32_e32 v61, 0x10000, v62
	v_cmp_eq_u32_sdwa s[0:1], v62, v19 src0_sel:WORD_0 src1_sel:DWORD
	s_nop 1
	v_cndmask_b32_e64 v61, v61, v62, s[0:1]
; %bb.469:                              ;   in Loop: Header=BB350_235 Depth=1
	s_or_b64 exec, exec, s[8:9]
	v_bfe_u32 v62, v4, 8, 8
	v_cvt_f32_fp8_sdwa v62, v62 src0_sel:BYTE_0
	s_nop 0
	v_mul_f32_e32 v63, s10, v62
	v_and_b32_e32 v62, 0x7f800000, v63
	v_cmp_ne_u32_e64 s[0:1], s13, v62
                                        ; implicit-def: $vgpr62
	s_and_saveexec_b64 s[8:9], s[0:1]
	s_xor_b64 s[0:1], exec, s[8:9]
; %bb.470:                              ;   in Loop: Header=BB350_235 Depth=1
	v_bfe_u32 v62, v63, 16, 1
	v_add3_u32 v62, v63, v62, s14
                                        ; implicit-def: $vgpr63
; %bb.471:                              ;   in Loop: Header=BB350_235 Depth=1
	s_andn2_saveexec_b64 s[8:9], s[0:1]
; %bb.472:                              ;   in Loop: Header=BB350_235 Depth=1
	v_or_b32_e32 v62, 0x10000, v63
	v_cmp_eq_u32_sdwa s[0:1], v63, v19 src0_sel:WORD_0 src1_sel:DWORD
	s_nop 1
	v_cndmask_b32_e64 v62, v62, v63, s[0:1]
; %bb.473:                              ;   in Loop: Header=BB350_235 Depth=1
	s_or_b64 exec, exec, s[8:9]
	v_bfe_u32 v63, v4, 16, 8
	v_cvt_f32_fp8_sdwa v63, v63 src0_sel:BYTE_0
	s_nop 0
	v_mul_f32_e32 v64, s10, v63
	v_and_b32_e32 v63, 0x7f800000, v64
	v_cmp_ne_u32_e64 s[0:1], s13, v63
                                        ; implicit-def: $vgpr63
	s_and_saveexec_b64 s[8:9], s[0:1]
	s_xor_b64 s[0:1], exec, s[8:9]
; %bb.474:                              ;   in Loop: Header=BB350_235 Depth=1
	v_bfe_u32 v63, v64, 16, 1
	v_add3_u32 v63, v64, v63, s14
                                        ; implicit-def: $vgpr64
; %bb.475:                              ;   in Loop: Header=BB350_235 Depth=1
	s_andn2_saveexec_b64 s[8:9], s[0:1]
; %bb.476:                              ;   in Loop: Header=BB350_235 Depth=1
	v_or_b32_e32 v63, 0x10000, v64
	v_cmp_eq_u32_sdwa s[0:1], v64, v19 src0_sel:WORD_0 src1_sel:DWORD
	s_nop 1
	v_cndmask_b32_e64 v63, v63, v64, s[0:1]
; %bb.477:                              ;   in Loop: Header=BB350_235 Depth=1
	s_or_b64 exec, exec, s[8:9]
	v_lshrrev_b32_e32 v4, 24, v4
	v_cvt_f32_fp8_sdwa v4, v4 src0_sel:BYTE_0
	s_nop 0
	v_mul_f32_e32 v64, s10, v4
	v_and_b32_e32 v4, 0x7f800000, v64
	v_cmp_ne_u32_e64 s[0:1], s13, v4
                                        ; implicit-def: $vgpr4
	s_and_saveexec_b64 s[8:9], s[0:1]
	s_xor_b64 s[0:1], exec, s[8:9]
; %bb.478:                              ;   in Loop: Header=BB350_235 Depth=1
	v_bfe_u32 v4, v64, 16, 1
	v_add3_u32 v4, v64, v4, s14
                                        ; implicit-def: $vgpr64
; %bb.479:                              ;   in Loop: Header=BB350_235 Depth=1
	s_andn2_saveexec_b64 s[8:9], s[0:1]
; %bb.480:                              ;   in Loop: Header=BB350_235 Depth=1
	v_or_b32_e32 v4, 0x10000, v64
	v_cmp_eq_u32_sdwa s[0:1], v64, v19 src0_sel:WORD_0 src1_sel:DWORD
	s_nop 1
	v_cndmask_b32_e64 v4, v4, v64, s[0:1]
; %bb.481:                              ;   in Loop: Header=BB350_235 Depth=1
	s_or_b64 exec, exec, s[8:9]
	v_and_b32_e32 v64, 0xff, v5
	v_cvt_f32_fp8_sdwa v64, v64 src0_sel:BYTE_0
	s_nop 0
	v_mul_f32_e32 v65, s10, v64
	v_and_b32_e32 v64, 0x7f800000, v65
	v_cmp_ne_u32_e64 s[0:1], s13, v64
                                        ; implicit-def: $vgpr64
	s_and_saveexec_b64 s[8:9], s[0:1]
	s_xor_b64 s[0:1], exec, s[8:9]
; %bb.482:                              ;   in Loop: Header=BB350_235 Depth=1
	v_bfe_u32 v64, v65, 16, 1
	v_add3_u32 v64, v65, v64, s14
                                        ; implicit-def: $vgpr65
; %bb.483:                              ;   in Loop: Header=BB350_235 Depth=1
	s_andn2_saveexec_b64 s[8:9], s[0:1]
; %bb.484:                              ;   in Loop: Header=BB350_235 Depth=1
	v_or_b32_e32 v64, 0x10000, v65
	v_cmp_eq_u32_sdwa s[0:1], v65, v19 src0_sel:WORD_0 src1_sel:DWORD
	s_nop 1
	v_cndmask_b32_e64 v64, v64, v65, s[0:1]
; %bb.485:                              ;   in Loop: Header=BB350_235 Depth=1
	s_or_b64 exec, exec, s[8:9]
	v_bfe_u32 v65, v5, 8, 8
	v_cvt_f32_fp8_sdwa v65, v65 src0_sel:BYTE_0
	s_nop 0
	v_mul_f32_e32 v66, s10, v65
	v_and_b32_e32 v65, 0x7f800000, v66
	v_cmp_ne_u32_e64 s[0:1], s13, v65
                                        ; implicit-def: $vgpr65
	s_and_saveexec_b64 s[8:9], s[0:1]
	s_xor_b64 s[0:1], exec, s[8:9]
; %bb.486:                              ;   in Loop: Header=BB350_235 Depth=1
	v_bfe_u32 v65, v66, 16, 1
	v_add3_u32 v65, v66, v65, s14
                                        ; implicit-def: $vgpr66
; %bb.487:                              ;   in Loop: Header=BB350_235 Depth=1
	s_andn2_saveexec_b64 s[8:9], s[0:1]
; %bb.488:                              ;   in Loop: Header=BB350_235 Depth=1
	v_or_b32_e32 v65, 0x10000, v66
	v_cmp_eq_u32_sdwa s[0:1], v66, v19 src0_sel:WORD_0 src1_sel:DWORD
	s_nop 1
	v_cndmask_b32_e64 v65, v65, v66, s[0:1]
; %bb.489:                              ;   in Loop: Header=BB350_235 Depth=1
	s_or_b64 exec, exec, s[8:9]
	v_bfe_u32 v66, v5, 16, 8
	v_cvt_f32_fp8_sdwa v66, v66 src0_sel:BYTE_0
	s_nop 0
	v_mul_f32_e32 v66, s10, v66
	v_and_b32_e32 v67, 0x7f800000, v66
	v_cmp_ne_u32_e64 s[0:1], s13, v67
                                        ; implicit-def: $vgpr67
	s_and_saveexec_b64 s[8:9], s[0:1]
	s_xor_b64 s[0:1], exec, s[8:9]
; %bb.490:                              ;   in Loop: Header=BB350_235 Depth=1
	v_bfe_u32 v67, v66, 16, 1
	v_add3_u32 v67, v66, v67, s14
                                        ; implicit-def: $vgpr66
; %bb.491:                              ;   in Loop: Header=BB350_235 Depth=1
	s_andn2_saveexec_b64 s[8:9], s[0:1]
; %bb.492:                              ;   in Loop: Header=BB350_235 Depth=1
	v_or_b32_e32 v67, 0x10000, v66
	v_cmp_eq_u32_sdwa s[0:1], v66, v19 src0_sel:WORD_0 src1_sel:DWORD
	s_nop 1
	v_cndmask_b32_e64 v67, v67, v66, s[0:1]
; %bb.493:                              ;   in Loop: Header=BB350_235 Depth=1
	s_or_b64 exec, exec, s[8:9]
	v_lshrrev_b32_e32 v5, 24, v5
	v_cvt_f32_fp8_sdwa v5, v5 src0_sel:BYTE_0
                                        ; implicit-def: $vgpr68
	s_nop 0
	v_mul_f32_e32 v5, s10, v5
	v_and_b32_e32 v66, 0x7f800000, v5
	v_cmp_ne_u32_e64 s[0:1], s13, v66
	s_and_saveexec_b64 s[8:9], s[0:1]
	s_xor_b64 s[0:1], exec, s[8:9]
; %bb.494:                              ;   in Loop: Header=BB350_235 Depth=1
	v_bfe_u32 v66, v5, 16, 1
	v_add3_u32 v68, v5, v66, s14
                                        ; implicit-def: $vgpr5
; %bb.495:                              ;   in Loop: Header=BB350_235 Depth=1
	s_andn2_saveexec_b64 s[8:9], s[0:1]
; %bb.496:                              ;   in Loop: Header=BB350_235 Depth=1
	v_or_b32_e32 v66, 0x10000, v5
	v_cmp_eq_u32_sdwa s[0:1], v5, v19 src0_sel:WORD_0 src1_sel:DWORD
	s_nop 1
	v_cndmask_b32_e64 v68, v66, v5, s[0:1]
; %bb.497:                              ;   in Loop: Header=BB350_235 Depth=1
	s_or_b64 exec, exec, s[8:9]
	v_lshrrev_b32_e32 v66, 16, v65
	v_lshrrev_b32_e32 v65, 16, v64
	;; [unrolled: 1-line block ×8, first 2 shown]
	s_and_saveexec_b64 s[8:9], vcc
	s_cbranch_execz .LBB350_499
; %bb.498:                              ;   in Loop: Header=BB350_235 Depth=1
	v_cmp_gt_i32_e64 s[0:1], s33, v29
	s_nop 1
	v_cndmask_b32_e64 v61, 0, v61, s[0:1]
	v_cmp_gt_i32_e64 s[0:1], s33, v35
	s_nop 1
	v_cndmask_b32_e64 v62, 0, v62, s[0:1]
	;; [unrolled: 3-line block ×8, first 2 shown]
.LBB350_499:                            ;   in Loop: Header=BB350_235 Depth=1
	s_or_b64 exec, exec, s[8:9]
	v_lshlrev_b32_e32 v61, 16, v61
	v_mul_f32_e32 v67, v37, v61
	v_and_b32_e32 v61, 0x7f800000, v67
	v_cmp_ne_u32_e64 s[0:1], s13, v61
                                        ; implicit-def: $vgpr61
	s_and_saveexec_b64 s[8:9], s[0:1]
	s_xor_b64 s[0:1], exec, s[8:9]
; %bb.500:                              ;   in Loop: Header=BB350_235 Depth=1
	v_bfe_u32 v61, v67, 16, 1
	v_add3_u32 v61, v67, v61, s14
                                        ; implicit-def: $vgpr67
; %bb.501:                              ;   in Loop: Header=BB350_235 Depth=1
	s_andn2_saveexec_b64 s[8:9], s[0:1]
; %bb.502:                              ;   in Loop: Header=BB350_235 Depth=1
	v_or_b32_e32 v61, 0x10000, v67
	v_cmp_eq_u32_sdwa s[0:1], v67, v19 src0_sel:WORD_0 src1_sel:DWORD
	s_nop 1
	v_cndmask_b32_e64 v61, v61, v67, s[0:1]
; %bb.503:                              ;   in Loop: Header=BB350_235 Depth=1
	s_or_b64 exec, exec, s[8:9]
	v_lshlrev_b32_e32 v62, 16, v62
	v_mul_f32_e32 v67, v38, v62
	v_and_b32_e32 v62, 0x7f800000, v67
	v_cmp_ne_u32_e64 s[0:1], s13, v62
                                        ; implicit-def: $vgpr62
	s_and_saveexec_b64 s[8:9], s[0:1]
	s_xor_b64 s[0:1], exec, s[8:9]
; %bb.504:                              ;   in Loop: Header=BB350_235 Depth=1
	v_bfe_u32 v62, v67, 16, 1
	v_add3_u32 v62, v67, v62, s14
                                        ; implicit-def: $vgpr67
; %bb.505:                              ;   in Loop: Header=BB350_235 Depth=1
	s_andn2_saveexec_b64 s[8:9], s[0:1]
; %bb.506:                              ;   in Loop: Header=BB350_235 Depth=1
	v_or_b32_e32 v62, 0x10000, v67
	v_cmp_eq_u32_sdwa s[0:1], v67, v19 src0_sel:WORD_0 src1_sel:DWORD
	s_nop 1
	v_cndmask_b32_e64 v62, v62, v67, s[0:1]
; %bb.507:                              ;   in Loop: Header=BB350_235 Depth=1
	s_or_b64 exec, exec, s[8:9]
	v_lshlrev_b32_e32 v63, 16, v63
	v_mul_f32_e32 v67, v39, v63
	v_and_b32_e32 v63, 0x7f800000, v67
	v_cmp_ne_u32_e64 s[0:1], s13, v63
                                        ; implicit-def: $vgpr63
	s_and_saveexec_b64 s[8:9], s[0:1]
	s_xor_b64 s[0:1], exec, s[8:9]
; %bb.508:                              ;   in Loop: Header=BB350_235 Depth=1
	v_bfe_u32 v63, v67, 16, 1
	v_add3_u32 v63, v67, v63, s14
                                        ; implicit-def: $vgpr67
; %bb.509:                              ;   in Loop: Header=BB350_235 Depth=1
	s_andn2_saveexec_b64 s[8:9], s[0:1]
; %bb.510:                              ;   in Loop: Header=BB350_235 Depth=1
	v_or_b32_e32 v63, 0x10000, v67
	v_cmp_eq_u32_sdwa s[0:1], v67, v19 src0_sel:WORD_0 src1_sel:DWORD
	s_nop 1
	v_cndmask_b32_e64 v63, v63, v67, s[0:1]
; %bb.511:                              ;   in Loop: Header=BB350_235 Depth=1
	s_or_b64 exec, exec, s[8:9]
	v_lshlrev_b32_e32 v64, 16, v64
	v_mul_f32_e32 v67, v40, v64
	v_and_b32_e32 v64, 0x7f800000, v67
	v_cmp_ne_u32_e64 s[0:1], s13, v64
                                        ; implicit-def: $vgpr64
	s_and_saveexec_b64 s[8:9], s[0:1]
	s_xor_b64 s[0:1], exec, s[8:9]
; %bb.512:                              ;   in Loop: Header=BB350_235 Depth=1
	v_bfe_u32 v64, v67, 16, 1
	v_add3_u32 v64, v67, v64, s14
                                        ; implicit-def: $vgpr67
; %bb.513:                              ;   in Loop: Header=BB350_235 Depth=1
	s_andn2_saveexec_b64 s[8:9], s[0:1]
; %bb.514:                              ;   in Loop: Header=BB350_235 Depth=1
	v_or_b32_e32 v64, 0x10000, v67
	v_cmp_eq_u32_sdwa s[0:1], v67, v19 src0_sel:WORD_0 src1_sel:DWORD
	s_nop 1
	v_cndmask_b32_e64 v64, v64, v67, s[0:1]
; %bb.515:                              ;   in Loop: Header=BB350_235 Depth=1
	s_or_b64 exec, exec, s[8:9]
	v_lshlrev_b32_e32 v65, 16, v65
	v_mul_f32_e32 v67, v41, v65
	v_and_b32_e32 v65, 0x7f800000, v67
	v_cmp_ne_u32_e64 s[0:1], s13, v65
                                        ; implicit-def: $vgpr65
	s_and_saveexec_b64 s[8:9], s[0:1]
	s_xor_b64 s[0:1], exec, s[8:9]
; %bb.516:                              ;   in Loop: Header=BB350_235 Depth=1
	v_bfe_u32 v65, v67, 16, 1
	v_add3_u32 v65, v67, v65, s14
                                        ; implicit-def: $vgpr67
; %bb.517:                              ;   in Loop: Header=BB350_235 Depth=1
	s_andn2_saveexec_b64 s[8:9], s[0:1]
; %bb.518:                              ;   in Loop: Header=BB350_235 Depth=1
	v_or_b32_e32 v65, 0x10000, v67
	v_cmp_eq_u32_sdwa s[0:1], v67, v19 src0_sel:WORD_0 src1_sel:DWORD
	s_nop 1
	v_cndmask_b32_e64 v65, v65, v67, s[0:1]
; %bb.519:                              ;   in Loop: Header=BB350_235 Depth=1
	s_or_b64 exec, exec, s[8:9]
	v_lshlrev_b32_e32 v66, 16, v66
	v_mul_f32_e32 v67, v42, v66
	v_and_b32_e32 v66, 0x7f800000, v67
	v_cmp_ne_u32_e64 s[0:1], s13, v66
                                        ; implicit-def: $vgpr66
	s_and_saveexec_b64 s[8:9], s[0:1]
	s_xor_b64 s[0:1], exec, s[8:9]
; %bb.520:                              ;   in Loop: Header=BB350_235 Depth=1
	v_bfe_u32 v66, v67, 16, 1
	v_add3_u32 v66, v67, v66, s14
                                        ; implicit-def: $vgpr67
; %bb.521:                              ;   in Loop: Header=BB350_235 Depth=1
	s_andn2_saveexec_b64 s[8:9], s[0:1]
; %bb.522:                              ;   in Loop: Header=BB350_235 Depth=1
	v_or_b32_e32 v66, 0x10000, v67
	v_cmp_eq_u32_sdwa s[0:1], v67, v19 src0_sel:WORD_0 src1_sel:DWORD
	s_nop 1
	v_cndmask_b32_e64 v66, v66, v67, s[0:1]
; %bb.523:                              ;   in Loop: Header=BB350_235 Depth=1
	s_or_b64 exec, exec, s[8:9]
	v_lshlrev_b32_e32 v5, 16, v5
	v_mul_f32_e32 v5, v43, v5
	v_and_b32_e32 v67, 0x7f800000, v5
	v_cmp_ne_u32_e64 s[0:1], s13, v67
                                        ; implicit-def: $vgpr67
	s_and_saveexec_b64 s[8:9], s[0:1]
	s_xor_b64 s[0:1], exec, s[8:9]
; %bb.524:                              ;   in Loop: Header=BB350_235 Depth=1
	v_bfe_u32 v67, v5, 16, 1
	v_add3_u32 v67, v5, v67, s14
                                        ; implicit-def: $vgpr5
; %bb.525:                              ;   in Loop: Header=BB350_235 Depth=1
	s_andn2_saveexec_b64 s[8:9], s[0:1]
; %bb.526:                              ;   in Loop: Header=BB350_235 Depth=1
	v_or_b32_e32 v67, 0x10000, v5
	v_cmp_eq_u32_sdwa s[0:1], v5, v19 src0_sel:WORD_0 src1_sel:DWORD
	s_nop 1
	v_cndmask_b32_e64 v67, v67, v5, s[0:1]
; %bb.527:                              ;   in Loop: Header=BB350_235 Depth=1
	s_or_b64 exec, exec, s[8:9]
	v_lshlrev_b32_e32 v4, 16, v4
	v_mul_f32_e32 v4, v44, v4
	v_and_b32_e32 v5, 0x7f800000, v4
	v_cmp_ne_u32_e64 s[0:1], s13, v5
                                        ; implicit-def: $vgpr68
	s_and_saveexec_b64 s[8:9], s[0:1]
	s_xor_b64 s[0:1], exec, s[8:9]
; %bb.528:                              ;   in Loop: Header=BB350_235 Depth=1
	v_bfe_u32 v5, v4, 16, 1
	v_add3_u32 v68, v4, v5, s14
                                        ; implicit-def: $vgpr4
; %bb.529:                              ;   in Loop: Header=BB350_235 Depth=1
	s_andn2_saveexec_b64 s[8:9], s[0:1]
; %bb.530:                              ;   in Loop: Header=BB350_235 Depth=1
	v_or_b32_e32 v5, 0x10000, v4
	v_cmp_eq_u32_sdwa s[0:1], v4, v19 src0_sel:WORD_0 src1_sel:DWORD
	s_nop 1
	v_cndmask_b32_e64 v68, v5, v4, s[0:1]
; %bb.531:                              ;   in Loop: Header=BB350_235 Depth=1
	s_or_b64 exec, exec, s[8:9]
	global_load_dwordx2 v[4:5], v[2:3], off offset:2048
	s_waitcnt vmcnt(0)
	v_and_b32_e32 v69, 0xff, v4
	v_cvt_f32_fp8_sdwa v69, v69 src0_sel:BYTE_0
	s_nop 0
	v_mul_f32_e32 v70, s10, v69
	v_and_b32_e32 v69, 0x7f800000, v70
	v_cmp_ne_u32_e64 s[0:1], s13, v69
                                        ; implicit-def: $vgpr69
	s_and_saveexec_b64 s[8:9], s[0:1]
	s_xor_b64 s[0:1], exec, s[8:9]
; %bb.532:                              ;   in Loop: Header=BB350_235 Depth=1
	v_bfe_u32 v69, v70, 16, 1
	v_add3_u32 v69, v70, v69, s14
                                        ; implicit-def: $vgpr70
; %bb.533:                              ;   in Loop: Header=BB350_235 Depth=1
	s_andn2_saveexec_b64 s[8:9], s[0:1]
; %bb.534:                              ;   in Loop: Header=BB350_235 Depth=1
	v_or_b32_e32 v69, 0x10000, v70
	v_cmp_eq_u32_sdwa s[0:1], v70, v19 src0_sel:WORD_0 src1_sel:DWORD
	s_nop 1
	v_cndmask_b32_e64 v69, v69, v70, s[0:1]
; %bb.535:                              ;   in Loop: Header=BB350_235 Depth=1
	s_or_b64 exec, exec, s[8:9]
	v_bfe_u32 v70, v4, 8, 8
	v_cvt_f32_fp8_sdwa v70, v70 src0_sel:BYTE_0
	s_nop 0
	v_mul_f32_e32 v71, s10, v70
	v_and_b32_e32 v70, 0x7f800000, v71
	v_cmp_ne_u32_e64 s[0:1], s13, v70
                                        ; implicit-def: $vgpr70
	s_and_saveexec_b64 s[8:9], s[0:1]
	s_xor_b64 s[0:1], exec, s[8:9]
; %bb.536:                              ;   in Loop: Header=BB350_235 Depth=1
	v_bfe_u32 v70, v71, 16, 1
	v_add3_u32 v70, v71, v70, s14
                                        ; implicit-def: $vgpr71
; %bb.537:                              ;   in Loop: Header=BB350_235 Depth=1
	s_andn2_saveexec_b64 s[8:9], s[0:1]
; %bb.538:                              ;   in Loop: Header=BB350_235 Depth=1
	v_or_b32_e32 v70, 0x10000, v71
	v_cmp_eq_u32_sdwa s[0:1], v71, v19 src0_sel:WORD_0 src1_sel:DWORD
	s_nop 1
	v_cndmask_b32_e64 v70, v70, v71, s[0:1]
; %bb.539:                              ;   in Loop: Header=BB350_235 Depth=1
	s_or_b64 exec, exec, s[8:9]
	v_bfe_u32 v71, v4, 16, 8
	v_cvt_f32_fp8_sdwa v71, v71 src0_sel:BYTE_0
	s_nop 0
	v_mul_f32_e32 v72, s10, v71
	v_and_b32_e32 v71, 0x7f800000, v72
	v_cmp_ne_u32_e64 s[0:1], s13, v71
                                        ; implicit-def: $vgpr71
	s_and_saveexec_b64 s[8:9], s[0:1]
	s_xor_b64 s[0:1], exec, s[8:9]
; %bb.540:                              ;   in Loop: Header=BB350_235 Depth=1
	v_bfe_u32 v71, v72, 16, 1
	v_add3_u32 v71, v72, v71, s14
                                        ; implicit-def: $vgpr72
; %bb.541:                              ;   in Loop: Header=BB350_235 Depth=1
	s_andn2_saveexec_b64 s[8:9], s[0:1]
; %bb.542:                              ;   in Loop: Header=BB350_235 Depth=1
	v_or_b32_e32 v71, 0x10000, v72
	v_cmp_eq_u32_sdwa s[0:1], v72, v19 src0_sel:WORD_0 src1_sel:DWORD
	s_nop 1
	v_cndmask_b32_e64 v71, v71, v72, s[0:1]
; %bb.543:                              ;   in Loop: Header=BB350_235 Depth=1
	s_or_b64 exec, exec, s[8:9]
	v_lshrrev_b32_e32 v4, 24, v4
	v_cvt_f32_fp8_sdwa v4, v4 src0_sel:BYTE_0
	s_nop 0
	v_mul_f32_e32 v72, s10, v4
	v_and_b32_e32 v4, 0x7f800000, v72
	v_cmp_ne_u32_e64 s[0:1], s13, v4
                                        ; implicit-def: $vgpr4
	s_and_saveexec_b64 s[8:9], s[0:1]
	s_xor_b64 s[0:1], exec, s[8:9]
; %bb.544:                              ;   in Loop: Header=BB350_235 Depth=1
	v_bfe_u32 v4, v72, 16, 1
	v_add3_u32 v4, v72, v4, s14
                                        ; implicit-def: $vgpr72
; %bb.545:                              ;   in Loop: Header=BB350_235 Depth=1
	s_andn2_saveexec_b64 s[8:9], s[0:1]
; %bb.546:                              ;   in Loop: Header=BB350_235 Depth=1
	v_or_b32_e32 v4, 0x10000, v72
	v_cmp_eq_u32_sdwa s[0:1], v72, v19 src0_sel:WORD_0 src1_sel:DWORD
	s_nop 1
	v_cndmask_b32_e64 v4, v4, v72, s[0:1]
; %bb.547:                              ;   in Loop: Header=BB350_235 Depth=1
	s_or_b64 exec, exec, s[8:9]
	v_and_b32_e32 v72, 0xff, v5
	v_cvt_f32_fp8_sdwa v72, v72 src0_sel:BYTE_0
	s_nop 0
	v_mul_f32_e32 v72, s10, v72
	v_and_b32_e32 v73, 0x7f800000, v72
	v_cmp_ne_u32_e64 s[0:1], s13, v73
                                        ; implicit-def: $vgpr73
	s_and_saveexec_b64 s[8:9], s[0:1]
	s_xor_b64 s[0:1], exec, s[8:9]
; %bb.548:                              ;   in Loop: Header=BB350_235 Depth=1
	v_bfe_u32 v73, v72, 16, 1
	v_add3_u32 v73, v72, v73, s14
                                        ; implicit-def: $vgpr72
; %bb.549:                              ;   in Loop: Header=BB350_235 Depth=1
	s_andn2_saveexec_b64 s[8:9], s[0:1]
; %bb.550:                              ;   in Loop: Header=BB350_235 Depth=1
	v_or_b32_e32 v73, 0x10000, v72
	v_cmp_eq_u32_sdwa s[0:1], v72, v19 src0_sel:WORD_0 src1_sel:DWORD
	s_nop 1
	v_cndmask_b32_e64 v73, v73, v72, s[0:1]
; %bb.551:                              ;   in Loop: Header=BB350_235 Depth=1
	s_or_b64 exec, exec, s[8:9]
	v_bfe_u32 v72, v5, 8, 8
	v_cvt_f32_fp8_sdwa v72, v72 src0_sel:BYTE_0
	s_nop 0
	v_mul_f32_e32 v74, s10, v72
	v_and_b32_e32 v72, 0x7f800000, v74
	v_cmp_ne_u32_e64 s[0:1], s13, v72
                                        ; implicit-def: $vgpr72
	s_and_saveexec_b64 s[8:9], s[0:1]
	s_xor_b64 s[0:1], exec, s[8:9]
; %bb.552:                              ;   in Loop: Header=BB350_235 Depth=1
	v_bfe_u32 v72, v74, 16, 1
	v_add3_u32 v72, v74, v72, s14
                                        ; implicit-def: $vgpr74
; %bb.553:                              ;   in Loop: Header=BB350_235 Depth=1
	s_andn2_saveexec_b64 s[8:9], s[0:1]
; %bb.554:                              ;   in Loop: Header=BB350_235 Depth=1
	v_or_b32_e32 v72, 0x10000, v74
	v_cmp_eq_u32_sdwa s[0:1], v74, v19 src0_sel:WORD_0 src1_sel:DWORD
	s_nop 1
	v_cndmask_b32_e64 v72, v72, v74, s[0:1]
; %bb.555:                              ;   in Loop: Header=BB350_235 Depth=1
	s_or_b64 exec, exec, s[8:9]
	v_bfe_u32 v74, v5, 16, 8
	v_cvt_f32_fp8_sdwa v74, v74 src0_sel:BYTE_0
	s_nop 0
	v_mul_f32_e32 v75, s10, v74
	v_and_b32_e32 v74, 0x7f800000, v75
	v_cmp_ne_u32_e64 s[0:1], s13, v74
                                        ; implicit-def: $vgpr74
	s_and_saveexec_b64 s[8:9], s[0:1]
	s_xor_b64 s[0:1], exec, s[8:9]
; %bb.556:                              ;   in Loop: Header=BB350_235 Depth=1
	v_bfe_u32 v74, v75, 16, 1
	v_add3_u32 v74, v75, v74, s14
                                        ; implicit-def: $vgpr75
; %bb.557:                              ;   in Loop: Header=BB350_235 Depth=1
	s_andn2_saveexec_b64 s[8:9], s[0:1]
; %bb.558:                              ;   in Loop: Header=BB350_235 Depth=1
	v_or_b32_e32 v74, 0x10000, v75
	v_cmp_eq_u32_sdwa s[0:1], v75, v19 src0_sel:WORD_0 src1_sel:DWORD
	s_nop 1
	v_cndmask_b32_e64 v74, v74, v75, s[0:1]
; %bb.559:                              ;   in Loop: Header=BB350_235 Depth=1
	s_or_b64 exec, exec, s[8:9]
	v_lshrrev_b32_e32 v5, 24, v5
	v_cvt_f32_fp8_sdwa v5, v5 src0_sel:BYTE_0
                                        ; implicit-def: $vgpr77
	s_nop 0
	v_mul_f32_e32 v5, s10, v5
	v_and_b32_e32 v75, 0x7f800000, v5
	v_cmp_ne_u32_e64 s[0:1], s13, v75
	s_and_saveexec_b64 s[8:9], s[0:1]
	s_xor_b64 s[0:1], exec, s[8:9]
; %bb.560:                              ;   in Loop: Header=BB350_235 Depth=1
	v_bfe_u32 v75, v5, 16, 1
	v_add3_u32 v77, v5, v75, s14
                                        ; implicit-def: $vgpr5
; %bb.561:                              ;   in Loop: Header=BB350_235 Depth=1
	s_andn2_saveexec_b64 s[8:9], s[0:1]
; %bb.562:                              ;   in Loop: Header=BB350_235 Depth=1
	v_or_b32_e32 v75, 0x10000, v5
	v_cmp_eq_u32_sdwa s[0:1], v5, v19 src0_sel:WORD_0 src1_sel:DWORD
	s_nop 1
	v_cndmask_b32_e64 v77, v75, v5, s[0:1]
; %bb.563:                              ;   in Loop: Header=BB350_235 Depth=1
	s_or_b64 exec, exec, s[8:9]
	v_lshrrev_b32_e32 v72, 16, v72
	v_lshrrev_b32_e32 v75, 16, v73
	v_lshrrev_b32_e32 v76, 16, v4
	v_lshrrev_b32_e32 v71, 16, v71
	v_lshrrev_b32_e32 v5, 16, v70
	v_lshrrev_b32_e32 v4, 16, v69
	v_lshrrev_b32_e32 v73, 16, v74
	v_lshrrev_b32_e32 v74, 16, v77
	s_and_saveexec_b64 s[8:9], vcc
	s_cbranch_execz .LBB350_565
; %bb.564:                              ;   in Loop: Header=BB350_235 Depth=1
	v_cmp_gt_i32_e64 s[0:1], s33, v29
	s_nop 1
	v_cndmask_b32_e64 v4, 0, v4, s[0:1]
	v_cmp_gt_i32_e64 s[0:1], s33, v35
	s_nop 1
	v_cndmask_b32_e64 v5, 0, v5, s[0:1]
	;; [unrolled: 3-line block ×8, first 2 shown]
.LBB350_565:                            ;   in Loop: Header=BB350_235 Depth=1
	s_or_b64 exec, exec, s[8:9]
	v_lshlrev_b32_e32 v4, 16, v4
	v_mul_f32_e32 v69, v37, v4
	v_and_b32_e32 v4, 0x7f800000, v69
	v_cmp_ne_u32_e64 s[0:1], s13, v4
                                        ; implicit-def: $vgpr4
	s_and_saveexec_b64 s[8:9], s[0:1]
	s_xor_b64 s[0:1], exec, s[8:9]
; %bb.566:                              ;   in Loop: Header=BB350_235 Depth=1
	v_bfe_u32 v4, v69, 16, 1
	v_add3_u32 v4, v69, v4, s14
                                        ; implicit-def: $vgpr69
; %bb.567:                              ;   in Loop: Header=BB350_235 Depth=1
	s_andn2_saveexec_b64 s[8:9], s[0:1]
; %bb.568:                              ;   in Loop: Header=BB350_235 Depth=1
	v_or_b32_e32 v4, 0x10000, v69
	v_cmp_eq_u32_sdwa s[0:1], v69, v19 src0_sel:WORD_0 src1_sel:DWORD
	s_nop 1
	v_cndmask_b32_e64 v4, v4, v69, s[0:1]
; %bb.569:                              ;   in Loop: Header=BB350_235 Depth=1
	s_or_b64 exec, exec, s[8:9]
	v_lshlrev_b32_e32 v5, 16, v5
	v_mul_f32_e32 v69, v38, v5
	v_and_b32_e32 v5, 0x7f800000, v69
	v_cmp_ne_u32_e64 s[0:1], s13, v5
                                        ; implicit-def: $vgpr5
	s_and_saveexec_b64 s[8:9], s[0:1]
	s_xor_b64 s[0:1], exec, s[8:9]
; %bb.570:                              ;   in Loop: Header=BB350_235 Depth=1
	v_bfe_u32 v5, v69, 16, 1
	v_add3_u32 v5, v69, v5, s14
                                        ; implicit-def: $vgpr69
; %bb.571:                              ;   in Loop: Header=BB350_235 Depth=1
	s_andn2_saveexec_b64 s[8:9], s[0:1]
; %bb.572:                              ;   in Loop: Header=BB350_235 Depth=1
	v_or_b32_e32 v5, 0x10000, v69
	v_cmp_eq_u32_sdwa s[0:1], v69, v19 src0_sel:WORD_0 src1_sel:DWORD
	s_nop 1
	v_cndmask_b32_e64 v5, v5, v69, s[0:1]
; %bb.573:                              ;   in Loop: Header=BB350_235 Depth=1
	s_or_b64 exec, exec, s[8:9]
	v_lshlrev_b32_e32 v69, 16, v71
	v_mul_f32_e32 v70, v39, v69
	v_and_b32_e32 v69, 0x7f800000, v70
	v_cmp_ne_u32_e64 s[0:1], s13, v69
                                        ; implicit-def: $vgpr69
	s_and_saveexec_b64 s[8:9], s[0:1]
	s_xor_b64 s[0:1], exec, s[8:9]
; %bb.574:                              ;   in Loop: Header=BB350_235 Depth=1
	v_bfe_u32 v69, v70, 16, 1
	v_add3_u32 v69, v70, v69, s14
                                        ; implicit-def: $vgpr70
; %bb.575:                              ;   in Loop: Header=BB350_235 Depth=1
	s_andn2_saveexec_b64 s[8:9], s[0:1]
; %bb.576:                              ;   in Loop: Header=BB350_235 Depth=1
	v_or_b32_e32 v69, 0x10000, v70
	v_cmp_eq_u32_sdwa s[0:1], v70, v19 src0_sel:WORD_0 src1_sel:DWORD
	s_nop 1
	v_cndmask_b32_e64 v69, v69, v70, s[0:1]
; %bb.577:                              ;   in Loop: Header=BB350_235 Depth=1
	s_or_b64 exec, exec, s[8:9]
	v_lshlrev_b32_e32 v70, 16, v76
	v_mul_f32_e32 v71, v40, v70
	v_and_b32_e32 v70, 0x7f800000, v71
	v_cmp_ne_u32_e64 s[0:1], s13, v70
                                        ; implicit-def: $vgpr70
	s_and_saveexec_b64 s[8:9], s[0:1]
	s_xor_b64 s[0:1], exec, s[8:9]
; %bb.578:                              ;   in Loop: Header=BB350_235 Depth=1
	v_bfe_u32 v70, v71, 16, 1
	v_add3_u32 v70, v71, v70, s14
                                        ; implicit-def: $vgpr71
; %bb.579:                              ;   in Loop: Header=BB350_235 Depth=1
	s_andn2_saveexec_b64 s[8:9], s[0:1]
; %bb.580:                              ;   in Loop: Header=BB350_235 Depth=1
	v_or_b32_e32 v70, 0x10000, v71
	v_cmp_eq_u32_sdwa s[0:1], v71, v19 src0_sel:WORD_0 src1_sel:DWORD
	s_nop 1
	v_cndmask_b32_e64 v70, v70, v71, s[0:1]
; %bb.581:                              ;   in Loop: Header=BB350_235 Depth=1
	s_or_b64 exec, exec, s[8:9]
	v_lshlrev_b32_e32 v71, 16, v75
	v_mul_f32_e32 v75, v41, v71
	v_and_b32_e32 v71, 0x7f800000, v75
	v_cmp_ne_u32_e64 s[0:1], s13, v71
                                        ; implicit-def: $vgpr71
	s_and_saveexec_b64 s[8:9], s[0:1]
	s_xor_b64 s[0:1], exec, s[8:9]
; %bb.582:                              ;   in Loop: Header=BB350_235 Depth=1
	v_bfe_u32 v71, v75, 16, 1
	v_add3_u32 v71, v75, v71, s14
                                        ; implicit-def: $vgpr75
; %bb.583:                              ;   in Loop: Header=BB350_235 Depth=1
	s_andn2_saveexec_b64 s[8:9], s[0:1]
; %bb.584:                              ;   in Loop: Header=BB350_235 Depth=1
	v_or_b32_e32 v71, 0x10000, v75
	v_cmp_eq_u32_sdwa s[0:1], v75, v19 src0_sel:WORD_0 src1_sel:DWORD
	s_nop 1
	v_cndmask_b32_e64 v71, v71, v75, s[0:1]
; %bb.585:                              ;   in Loop: Header=BB350_235 Depth=1
	s_or_b64 exec, exec, s[8:9]
	v_lshlrev_b32_e32 v72, 16, v72
	v_mul_f32_e32 v75, v42, v72
	v_and_b32_e32 v72, 0x7f800000, v75
	v_cmp_ne_u32_e64 s[0:1], s13, v72
                                        ; implicit-def: $vgpr72
	s_and_saveexec_b64 s[8:9], s[0:1]
	s_xor_b64 s[0:1], exec, s[8:9]
; %bb.586:                              ;   in Loop: Header=BB350_235 Depth=1
	v_bfe_u32 v72, v75, 16, 1
	v_add3_u32 v72, v75, v72, s14
                                        ; implicit-def: $vgpr75
; %bb.587:                              ;   in Loop: Header=BB350_235 Depth=1
	s_andn2_saveexec_b64 s[8:9], s[0:1]
; %bb.588:                              ;   in Loop: Header=BB350_235 Depth=1
	v_or_b32_e32 v72, 0x10000, v75
	v_cmp_eq_u32_sdwa s[0:1], v75, v19 src0_sel:WORD_0 src1_sel:DWORD
	s_nop 1
	v_cndmask_b32_e64 v72, v72, v75, s[0:1]
; %bb.589:                              ;   in Loop: Header=BB350_235 Depth=1
	s_or_b64 exec, exec, s[8:9]
	v_lshlrev_b32_e32 v73, 16, v73
	v_mul_f32_e32 v75, v43, v73
	v_and_b32_e32 v73, 0x7f800000, v75
	v_cmp_ne_u32_e64 s[0:1], s13, v73
                                        ; implicit-def: $vgpr73
	s_and_saveexec_b64 s[8:9], s[0:1]
	s_xor_b64 s[0:1], exec, s[8:9]
; %bb.590:                              ;   in Loop: Header=BB350_235 Depth=1
	v_bfe_u32 v73, v75, 16, 1
	v_add3_u32 v73, v75, v73, s14
                                        ; implicit-def: $vgpr75
; %bb.591:                              ;   in Loop: Header=BB350_235 Depth=1
	s_andn2_saveexec_b64 s[8:9], s[0:1]
; %bb.592:                              ;   in Loop: Header=BB350_235 Depth=1
	v_or_b32_e32 v73, 0x10000, v75
	v_cmp_eq_u32_sdwa s[0:1], v75, v19 src0_sel:WORD_0 src1_sel:DWORD
	s_nop 1
	v_cndmask_b32_e64 v73, v73, v75, s[0:1]
; %bb.593:                              ;   in Loop: Header=BB350_235 Depth=1
	s_or_b64 exec, exec, s[8:9]
	v_lshlrev_b32_e32 v74, 16, v74
	v_mul_f32_e32 v75, v44, v74
	v_and_b32_e32 v74, 0x7f800000, v75
	v_cmp_ne_u32_e64 s[0:1], s13, v74
                                        ; implicit-def: $vgpr74
	s_and_saveexec_b64 s[8:9], s[0:1]
	s_xor_b64 s[0:1], exec, s[8:9]
; %bb.594:                              ;   in Loop: Header=BB350_235 Depth=1
	v_bfe_u32 v74, v75, 16, 1
	v_add3_u32 v74, v75, v74, s14
                                        ; implicit-def: $vgpr75
; %bb.595:                              ;   in Loop: Header=BB350_235 Depth=1
	s_andn2_saveexec_b64 s[8:9], s[0:1]
; %bb.596:                              ;   in Loop: Header=BB350_235 Depth=1
	v_or_b32_e32 v74, 0x10000, v75
	v_cmp_eq_u32_sdwa s[0:1], v75, v19 src0_sel:WORD_0 src1_sel:DWORD
	s_nop 1
	v_cndmask_b32_e64 v74, v74, v75, s[0:1]
; %bb.597:                              ;   in Loop: Header=BB350_235 Depth=1
	s_or_b64 exec, exec, s[8:9]
	global_load_dwordx2 v[2:3], v[2:3], off offset:2560
	s_waitcnt vmcnt(0)
	v_and_b32_e32 v75, 0xff, v2
	v_cvt_f32_fp8_sdwa v75, v75 src0_sel:BYTE_0
	s_nop 0
	v_mul_f32_e32 v76, s10, v75
	v_and_b32_e32 v75, 0x7f800000, v76
	v_cmp_ne_u32_e64 s[0:1], s13, v75
                                        ; implicit-def: $vgpr75
	s_and_saveexec_b64 s[8:9], s[0:1]
	s_xor_b64 s[0:1], exec, s[8:9]
; %bb.598:                              ;   in Loop: Header=BB350_235 Depth=1
	v_bfe_u32 v75, v76, 16, 1
	v_add3_u32 v75, v76, v75, s14
                                        ; implicit-def: $vgpr76
; %bb.599:                              ;   in Loop: Header=BB350_235 Depth=1
	s_andn2_saveexec_b64 s[8:9], s[0:1]
; %bb.600:                              ;   in Loop: Header=BB350_235 Depth=1
	v_or_b32_e32 v75, 0x10000, v76
	v_cmp_eq_u32_sdwa s[0:1], v76, v19 src0_sel:WORD_0 src1_sel:DWORD
	s_nop 1
	v_cndmask_b32_e64 v75, v75, v76, s[0:1]
; %bb.601:                              ;   in Loop: Header=BB350_235 Depth=1
	s_or_b64 exec, exec, s[8:9]
	v_bfe_u32 v76, v2, 8, 8
	v_cvt_f32_fp8_sdwa v76, v76 src0_sel:BYTE_0
	s_nop 0
	v_mul_f32_e32 v77, s10, v76
	v_and_b32_e32 v76, 0x7f800000, v77
	v_cmp_ne_u32_e64 s[0:1], s13, v76
                                        ; implicit-def: $vgpr76
	s_and_saveexec_b64 s[8:9], s[0:1]
	s_xor_b64 s[0:1], exec, s[8:9]
; %bb.602:                              ;   in Loop: Header=BB350_235 Depth=1
	v_bfe_u32 v76, v77, 16, 1
	v_add3_u32 v76, v77, v76, s14
                                        ; implicit-def: $vgpr77
; %bb.603:                              ;   in Loop: Header=BB350_235 Depth=1
	s_andn2_saveexec_b64 s[8:9], s[0:1]
; %bb.604:                              ;   in Loop: Header=BB350_235 Depth=1
	v_or_b32_e32 v76, 0x10000, v77
	v_cmp_eq_u32_sdwa s[0:1], v77, v19 src0_sel:WORD_0 src1_sel:DWORD
	s_nop 1
	v_cndmask_b32_e64 v76, v76, v77, s[0:1]
; %bb.605:                              ;   in Loop: Header=BB350_235 Depth=1
	s_or_b64 exec, exec, s[8:9]
	v_bfe_u32 v77, v2, 16, 8
	v_cvt_f32_fp8_sdwa v77, v77 src0_sel:BYTE_0
	s_nop 0
	v_mul_f32_e32 v77, s10, v77
	v_and_b32_e32 v78, 0x7f800000, v77
	v_cmp_ne_u32_e64 s[0:1], s13, v78
                                        ; implicit-def: $vgpr78
	s_and_saveexec_b64 s[8:9], s[0:1]
	s_xor_b64 s[0:1], exec, s[8:9]
; %bb.606:                              ;   in Loop: Header=BB350_235 Depth=1
	v_bfe_u32 v78, v77, 16, 1
	v_add3_u32 v78, v77, v78, s14
                                        ; implicit-def: $vgpr77
; %bb.607:                              ;   in Loop: Header=BB350_235 Depth=1
	s_andn2_saveexec_b64 s[8:9], s[0:1]
; %bb.608:                              ;   in Loop: Header=BB350_235 Depth=1
	v_or_b32_e32 v78, 0x10000, v77
	v_cmp_eq_u32_sdwa s[0:1], v77, v19 src0_sel:WORD_0 src1_sel:DWORD
	s_nop 1
	v_cndmask_b32_e64 v78, v78, v77, s[0:1]
; %bb.609:                              ;   in Loop: Header=BB350_235 Depth=1
	s_or_b64 exec, exec, s[8:9]
	v_lshrrev_b32_e32 v2, 24, v2
	v_cvt_f32_fp8_sdwa v2, v2 src0_sel:BYTE_0
	s_nop 0
	v_mul_f32_e32 v77, s10, v2
	v_and_b32_e32 v2, 0x7f800000, v77
	v_cmp_ne_u32_e64 s[0:1], s13, v2
                                        ; implicit-def: $vgpr2
	s_and_saveexec_b64 s[8:9], s[0:1]
	s_xor_b64 s[0:1], exec, s[8:9]
; %bb.610:                              ;   in Loop: Header=BB350_235 Depth=1
	v_bfe_u32 v2, v77, 16, 1
	v_add3_u32 v2, v77, v2, s14
                                        ; implicit-def: $vgpr77
; %bb.611:                              ;   in Loop: Header=BB350_235 Depth=1
	s_andn2_saveexec_b64 s[8:9], s[0:1]
; %bb.612:                              ;   in Loop: Header=BB350_235 Depth=1
	v_or_b32_e32 v2, 0x10000, v77
	v_cmp_eq_u32_sdwa s[0:1], v77, v19 src0_sel:WORD_0 src1_sel:DWORD
	s_nop 1
	v_cndmask_b32_e64 v2, v2, v77, s[0:1]
; %bb.613:                              ;   in Loop: Header=BB350_235 Depth=1
	s_or_b64 exec, exec, s[8:9]
	v_and_b32_e32 v77, 0xff, v3
	v_cvt_f32_fp8_sdwa v77, v77 src0_sel:BYTE_0
	s_nop 0
	v_mul_f32_e32 v77, s10, v77
	v_and_b32_e32 v79, 0x7f800000, v77
	v_cmp_ne_u32_e64 s[0:1], s13, v79
                                        ; implicit-def: $vgpr79
	s_and_saveexec_b64 s[8:9], s[0:1]
	s_xor_b64 s[0:1], exec, s[8:9]
; %bb.614:                              ;   in Loop: Header=BB350_235 Depth=1
	v_bfe_u32 v79, v77, 16, 1
	v_add3_u32 v79, v77, v79, s14
                                        ; implicit-def: $vgpr77
; %bb.615:                              ;   in Loop: Header=BB350_235 Depth=1
	s_andn2_saveexec_b64 s[8:9], s[0:1]
; %bb.616:                              ;   in Loop: Header=BB350_235 Depth=1
	v_or_b32_e32 v79, 0x10000, v77
	v_cmp_eq_u32_sdwa s[0:1], v77, v19 src0_sel:WORD_0 src1_sel:DWORD
	s_nop 1
	v_cndmask_b32_e64 v79, v79, v77, s[0:1]
; %bb.617:                              ;   in Loop: Header=BB350_235 Depth=1
	s_or_b64 exec, exec, s[8:9]
	v_bfe_u32 v77, v3, 8, 8
	v_cvt_f32_fp8_sdwa v77, v77 src0_sel:BYTE_0
	s_nop 0
	v_mul_f32_e32 v80, s10, v77
	v_and_b32_e32 v77, 0x7f800000, v80
	v_cmp_ne_u32_e64 s[0:1], s13, v77
                                        ; implicit-def: $vgpr77
	s_and_saveexec_b64 s[8:9], s[0:1]
	s_xor_b64 s[0:1], exec, s[8:9]
; %bb.618:                              ;   in Loop: Header=BB350_235 Depth=1
	v_bfe_u32 v77, v80, 16, 1
	v_add3_u32 v77, v80, v77, s14
                                        ; implicit-def: $vgpr80
; %bb.619:                              ;   in Loop: Header=BB350_235 Depth=1
	s_andn2_saveexec_b64 s[8:9], s[0:1]
; %bb.620:                              ;   in Loop: Header=BB350_235 Depth=1
	v_or_b32_e32 v77, 0x10000, v80
	v_cmp_eq_u32_sdwa s[0:1], v80, v19 src0_sel:WORD_0 src1_sel:DWORD
	s_nop 1
	v_cndmask_b32_e64 v77, v77, v80, s[0:1]
; %bb.621:                              ;   in Loop: Header=BB350_235 Depth=1
	s_or_b64 exec, exec, s[8:9]
	v_bfe_u32 v80, v3, 16, 8
	v_cvt_f32_fp8_sdwa v80, v80 src0_sel:BYTE_0
	s_nop 0
	v_mul_f32_e32 v80, s10, v80
	v_and_b32_e32 v81, 0x7f800000, v80
	v_cmp_ne_u32_e64 s[0:1], s13, v81
                                        ; implicit-def: $vgpr81
	s_and_saveexec_b64 s[8:9], s[0:1]
	s_xor_b64 s[0:1], exec, s[8:9]
; %bb.622:                              ;   in Loop: Header=BB350_235 Depth=1
	v_bfe_u32 v81, v80, 16, 1
	v_add3_u32 v81, v80, v81, s14
                                        ; implicit-def: $vgpr80
; %bb.623:                              ;   in Loop: Header=BB350_235 Depth=1
	s_andn2_saveexec_b64 s[8:9], s[0:1]
; %bb.624:                              ;   in Loop: Header=BB350_235 Depth=1
	v_or_b32_e32 v81, 0x10000, v80
	v_cmp_eq_u32_sdwa s[0:1], v80, v19 src0_sel:WORD_0 src1_sel:DWORD
	s_nop 1
	v_cndmask_b32_e64 v81, v81, v80, s[0:1]
; %bb.625:                              ;   in Loop: Header=BB350_235 Depth=1
	s_or_b64 exec, exec, s[8:9]
	v_lshrrev_b32_e32 v3, 24, v3
	v_cvt_f32_fp8_sdwa v3, v3 src0_sel:BYTE_0
                                        ; implicit-def: $vgpr82
	s_nop 0
	v_mul_f32_e32 v3, s10, v3
	v_and_b32_e32 v80, 0x7f800000, v3
	v_cmp_ne_u32_e64 s[0:1], s13, v80
	s_and_saveexec_b64 s[8:9], s[0:1]
	s_xor_b64 s[0:1], exec, s[8:9]
; %bb.626:                              ;   in Loop: Header=BB350_235 Depth=1
	v_bfe_u32 v80, v3, 16, 1
	v_add3_u32 v82, v3, v80, s14
                                        ; implicit-def: $vgpr3
; %bb.627:                              ;   in Loop: Header=BB350_235 Depth=1
	s_andn2_saveexec_b64 s[8:9], s[0:1]
; %bb.628:                              ;   in Loop: Header=BB350_235 Depth=1
	v_or_b32_e32 v80, 0x10000, v3
	v_cmp_eq_u32_sdwa s[0:1], v3, v19 src0_sel:WORD_0 src1_sel:DWORD
	s_nop 1
	v_cndmask_b32_e64 v82, v80, v3, s[0:1]
; %bb.629:                              ;   in Loop: Header=BB350_235 Depth=1
	s_or_b64 exec, exec, s[8:9]
	v_lshrrev_b32_e32 v77, 16, v77
	v_lshrrev_b32_e32 v79, 16, v79
	v_lshrrev_b32_e32 v80, 16, v2
	v_lshrrev_b32_e32 v78, 16, v78
	v_lshrrev_b32_e32 v3, 16, v76
	v_lshrrev_b32_e32 v2, 16, v75
	v_lshrrev_b32_e32 v76, 16, v81
	v_lshrrev_b32_e32 v75, 16, v82
	s_and_saveexec_b64 s[0:1], vcc
	s_cbranch_execz .LBB350_631
; %bb.630:                              ;   in Loop: Header=BB350_235 Depth=1
	v_cmp_gt_i32_e32 vcc, s33, v29
	s_nop 1
	v_cndmask_b32_e32 v2, 0, v2, vcc
	v_cmp_gt_i32_e32 vcc, s33, v35
	s_nop 1
	v_cndmask_b32_e32 v3, 0, v3, vcc
	;; [unrolled: 3-line block ×8, first 2 shown]
.LBB350_631:                            ;   in Loop: Header=BB350_235 Depth=1
	s_or_b64 exec, exec, s[0:1]
	v_lshlrev_b32_e32 v2, 16, v2
	v_mul_f32_e32 v29, v37, v2
	v_and_b32_e32 v2, 0x7f800000, v29
	v_cmp_ne_u32_e32 vcc, s13, v2
                                        ; implicit-def: $vgpr2
	s_and_saveexec_b64 s[0:1], vcc
	s_xor_b64 s[0:1], exec, s[0:1]
; %bb.632:                              ;   in Loop: Header=BB350_235 Depth=1
	v_bfe_u32 v2, v29, 16, 1
	v_add3_u32 v2, v29, v2, s14
                                        ; implicit-def: $vgpr29
; %bb.633:                              ;   in Loop: Header=BB350_235 Depth=1
	s_andn2_saveexec_b64 s[0:1], s[0:1]
; %bb.634:                              ;   in Loop: Header=BB350_235 Depth=1
	v_or_b32_e32 v2, 0x10000, v29
	v_cmp_eq_u32_sdwa vcc, v29, v19 src0_sel:WORD_0 src1_sel:DWORD
	s_nop 1
	v_cndmask_b32_e32 v2, v2, v29, vcc
; %bb.635:                              ;   in Loop: Header=BB350_235 Depth=1
	s_or_b64 exec, exec, s[0:1]
	v_lshlrev_b32_e32 v3, 16, v3
	v_mul_f32_e32 v29, v38, v3
	v_and_b32_e32 v3, 0x7f800000, v29
	v_cmp_ne_u32_e32 vcc, s13, v3
                                        ; implicit-def: $vgpr3
	s_and_saveexec_b64 s[0:1], vcc
	s_xor_b64 s[0:1], exec, s[0:1]
; %bb.636:                              ;   in Loop: Header=BB350_235 Depth=1
	v_bfe_u32 v3, v29, 16, 1
	v_add3_u32 v3, v29, v3, s14
                                        ; implicit-def: $vgpr29
; %bb.637:                              ;   in Loop: Header=BB350_235 Depth=1
	s_andn2_saveexec_b64 s[0:1], s[0:1]
; %bb.638:                              ;   in Loop: Header=BB350_235 Depth=1
	v_or_b32_e32 v3, 0x10000, v29
	v_cmp_eq_u32_sdwa vcc, v29, v19 src0_sel:WORD_0 src1_sel:DWORD
	s_nop 1
	v_cndmask_b32_e32 v3, v3, v29, vcc
; %bb.639:                              ;   in Loop: Header=BB350_235 Depth=1
	s_or_b64 exec, exec, s[0:1]
	v_lshlrev_b32_e32 v29, 16, v78
	v_mul_f32_e32 v30, v39, v29
	v_and_b32_e32 v29, 0x7f800000, v30
	v_cmp_ne_u32_e32 vcc, s13, v29
                                        ; implicit-def: $vgpr29
	s_and_saveexec_b64 s[0:1], vcc
	s_xor_b64 s[0:1], exec, s[0:1]
; %bb.640:                              ;   in Loop: Header=BB350_235 Depth=1
	v_bfe_u32 v29, v30, 16, 1
	v_add3_u32 v29, v30, v29, s14
                                        ; implicit-def: $vgpr30
; %bb.641:                              ;   in Loop: Header=BB350_235 Depth=1
	s_andn2_saveexec_b64 s[0:1], s[0:1]
; %bb.642:                              ;   in Loop: Header=BB350_235 Depth=1
	v_or_b32_e32 v29, 0x10000, v30
	v_cmp_eq_u32_sdwa vcc, v30, v19 src0_sel:WORD_0 src1_sel:DWORD
	s_nop 1
	v_cndmask_b32_e32 v29, v29, v30, vcc
; %bb.643:                              ;   in Loop: Header=BB350_235 Depth=1
	s_or_b64 exec, exec, s[0:1]
	v_lshlrev_b32_e32 v30, 16, v80
	v_mul_f32_e32 v31, v40, v30
	v_and_b32_e32 v30, 0x7f800000, v31
	v_cmp_ne_u32_e32 vcc, s13, v30
                                        ; implicit-def: $vgpr30
	s_and_saveexec_b64 s[0:1], vcc
	s_xor_b64 s[0:1], exec, s[0:1]
; %bb.644:                              ;   in Loop: Header=BB350_235 Depth=1
	v_bfe_u32 v30, v31, 16, 1
	v_add3_u32 v30, v31, v30, s14
                                        ; implicit-def: $vgpr31
; %bb.645:                              ;   in Loop: Header=BB350_235 Depth=1
	s_andn2_saveexec_b64 s[0:1], s[0:1]
; %bb.646:                              ;   in Loop: Header=BB350_235 Depth=1
	v_or_b32_e32 v30, 0x10000, v31
	v_cmp_eq_u32_sdwa vcc, v31, v19 src0_sel:WORD_0 src1_sel:DWORD
	s_nop 1
	v_cndmask_b32_e32 v30, v30, v31, vcc
; %bb.647:                              ;   in Loop: Header=BB350_235 Depth=1
	s_or_b64 exec, exec, s[0:1]
	v_lshlrev_b32_e32 v31, 16, v79
	v_mul_f32_e32 v32, v41, v31
	v_and_b32_e32 v31, 0x7f800000, v32
	v_cmp_ne_u32_e32 vcc, s13, v31
                                        ; implicit-def: $vgpr31
	s_and_saveexec_b64 s[0:1], vcc
	s_xor_b64 s[0:1], exec, s[0:1]
; %bb.648:                              ;   in Loop: Header=BB350_235 Depth=1
	v_bfe_u32 v31, v32, 16, 1
	v_add3_u32 v31, v32, v31, s14
                                        ; implicit-def: $vgpr32
; %bb.649:                              ;   in Loop: Header=BB350_235 Depth=1
	s_andn2_saveexec_b64 s[0:1], s[0:1]
; %bb.650:                              ;   in Loop: Header=BB350_235 Depth=1
	v_or_b32_e32 v31, 0x10000, v32
	v_cmp_eq_u32_sdwa vcc, v32, v19 src0_sel:WORD_0 src1_sel:DWORD
	s_nop 1
	v_cndmask_b32_e32 v31, v31, v32, vcc
; %bb.651:                              ;   in Loop: Header=BB350_235 Depth=1
	s_or_b64 exec, exec, s[0:1]
	v_lshlrev_b32_e32 v32, 16, v77
	v_mul_f32_e32 v33, v42, v32
	v_and_b32_e32 v32, 0x7f800000, v33
	v_cmp_ne_u32_e32 vcc, s13, v32
                                        ; implicit-def: $vgpr32
	s_and_saveexec_b64 s[0:1], vcc
	s_xor_b64 s[0:1], exec, s[0:1]
; %bb.652:                              ;   in Loop: Header=BB350_235 Depth=1
	v_bfe_u32 v32, v33, 16, 1
	v_add3_u32 v32, v33, v32, s14
                                        ; implicit-def: $vgpr33
; %bb.653:                              ;   in Loop: Header=BB350_235 Depth=1
	s_andn2_saveexec_b64 s[0:1], s[0:1]
; %bb.654:                              ;   in Loop: Header=BB350_235 Depth=1
	v_or_b32_e32 v32, 0x10000, v33
	v_cmp_eq_u32_sdwa vcc, v33, v19 src0_sel:WORD_0 src1_sel:DWORD
	s_nop 1
	v_cndmask_b32_e32 v32, v32, v33, vcc
; %bb.655:                              ;   in Loop: Header=BB350_235 Depth=1
	s_or_b64 exec, exec, s[0:1]
	v_lshlrev_b32_e32 v33, 16, v76
	v_mul_f32_e32 v34, v43, v33
	v_and_b32_e32 v33, 0x7f800000, v34
	v_cmp_ne_u32_e32 vcc, s13, v33
                                        ; implicit-def: $vgpr33
	s_and_saveexec_b64 s[0:1], vcc
	s_xor_b64 s[0:1], exec, s[0:1]
; %bb.656:                              ;   in Loop: Header=BB350_235 Depth=1
	v_bfe_u32 v33, v34, 16, 1
	v_add3_u32 v33, v34, v33, s14
                                        ; implicit-def: $vgpr34
; %bb.657:                              ;   in Loop: Header=BB350_235 Depth=1
	s_andn2_saveexec_b64 s[0:1], s[0:1]
; %bb.658:                              ;   in Loop: Header=BB350_235 Depth=1
	v_or_b32_e32 v33, 0x10000, v34
	v_cmp_eq_u32_sdwa vcc, v34, v19 src0_sel:WORD_0 src1_sel:DWORD
	s_nop 1
	v_cndmask_b32_e32 v33, v33, v34, vcc
; %bb.659:                              ;   in Loop: Header=BB350_235 Depth=1
	s_or_b64 exec, exec, s[0:1]
	v_lshlrev_b32_e32 v34, 16, v75
	v_mul_f32_e32 v35, v44, v34
	v_and_b32_e32 v34, 0x7f800000, v35
	v_cmp_ne_u32_e32 vcc, s13, v34
                                        ; implicit-def: $vgpr34
	s_and_saveexec_b64 s[0:1], vcc
	s_xor_b64 s[0:1], exec, s[0:1]
; %bb.660:                              ;   in Loop: Header=BB350_235 Depth=1
	v_bfe_u32 v34, v35, 16, 1
	v_add3_u32 v34, v35, v34, s14
                                        ; implicit-def: $vgpr35
; %bb.661:                              ;   in Loop: Header=BB350_235 Depth=1
	s_andn2_saveexec_b64 s[0:1], s[0:1]
	s_cbranch_execz .LBB350_234
; %bb.662:                              ;   in Loop: Header=BB350_235 Depth=1
	v_or_b32_e32 v34, 0x10000, v35
	v_cmp_eq_u32_sdwa vcc, v35, v19 src0_sel:WORD_0 src1_sel:DWORD
	s_nop 1
	v_cndmask_b32_e32 v34, v34, v35, vcc
	s_branch .LBB350_234
.LBB350_663:
	s_or_b64 exec, exec, s[6:7]
.LBB350_664:
	s_or_b64 exec, exec, s[2:3]
	ds_bpermute_b32 v2, v24, v16
	ds_bpermute_b32 v3, v24, v17
	;; [unrolled: 1-line block ×6, first 2 shown]
	s_waitcnt lgkmcnt(4)
	v_pk_add_f32 v[6:7], v[16:17], v[2:3]
	s_waitcnt lgkmcnt(0)
	v_pk_add_f32 v[2:3], v[14:15], v[4:5]
	s_barrier
	v_pk_add_f32 v[4:5], v[12:13], v[8:9]
	v_and_b32_e32 v8, 0x3c1, v0
	v_cmp_eq_u32_e32 vcc, 64, v8
	s_and_saveexec_b64 s[0:1], vcc
	s_cbranch_execz .LBB350_666
; %bb.665:
	v_mov_b32_e32 v8, 0x190
	v_lshl_add_u32 v1, v1, 1, v8
	ds_write2_b32 v1, v6, v7 offset1:32
	ds_write2_b32 v1, v2, v3 offset0:64 offset1:96
	ds_write2_b32 v1, v4, v5 offset0:128 offset1:160
.LBB350_666:
	s_or_b64 exec, exec, s[0:1]
	v_cmp_gt_u32_e32 vcc, 64, v0
	s_waitcnt lgkmcnt(0)
	s_barrier
	s_and_saveexec_b64 s[2:3], vcc
	s_cbranch_execz .LBB350_675
; %bb.667:
	v_cmp_eq_u32_e64 s[0:1], 0, v25
	v_lshrrev_b32_e32 v1, 1, v0
	s_and_saveexec_b64 s[6:7], s[0:1]
	s_cbranch_execnz .LBB350_703
; %bb.668:
	s_or_b64 exec, exec, s[6:7]
	s_and_saveexec_b64 s[6:7], s[0:1]
	s_cbranch_execnz .LBB350_704
.LBB350_669:
	s_or_b64 exec, exec, s[6:7]
	s_and_saveexec_b64 s[6:7], s[0:1]
	s_cbranch_execnz .LBB350_705
.LBB350_670:
	s_or_b64 exec, exec, s[6:7]
	s_and_saveexec_b64 s[6:7], s[0:1]
	s_cbranch_execnz .LBB350_706
.LBB350_671:
	s_or_b64 exec, exec, s[6:7]
	s_and_saveexec_b64 s[6:7], s[0:1]
	s_cbranch_execnz .LBB350_707
.LBB350_672:
	s_or_b64 exec, exec, s[6:7]
	s_and_saveexec_b64 s[6:7], s[0:1]
	s_cbranch_execz .LBB350_674
.LBB350_673:
	v_mov_b32_e32 v8, 0x190
	v_lshl_add_u32 v1, v1, 2, v8
	ds_read_b32 v1, v1 offset:640
	s_waitcnt lgkmcnt(0)
	v_add_f32_e32 v5, v5, v1
.LBB350_674:
	s_or_b64 exec, exec, s[6:7]
.LBB350_675:
	s_or_b64 exec, exec, s[2:3]
	s_barrier
	s_and_saveexec_b64 s[0:1], vcc
	s_cbranch_execz .LBB350_702
; %bb.676:
	v_cmp_eq_u32_e32 vcc, 0, v25
	s_and_b64 exec, exec, vcc
	s_cbranch_execz .LBB350_702
; %bb.677:
	s_mov_b32 s0, 0x7f800000
	v_and_b32_e32 v1, 0x7f800000, v6
	v_cmp_ne_u32_e32 vcc, s0, v1
                                        ; implicit-def: $vgpr8
	s_and_saveexec_b64 s[0:1], vcc
	s_xor_b64 s[0:1], exec, s[0:1]
; %bb.678:
	v_bfe_u32 v1, v6, 16, 1
	s_movk_i32 s2, 0x7fff
	v_add3_u32 v8, v6, v1, s2
; %bb.679:
	s_andn2_saveexec_b64 s[0:1], s[0:1]
; %bb.680:
	v_mov_b32_e32 v1, 0
	v_or_b32_e32 v8, 0x10000, v6
	v_cmp_eq_u32_sdwa vcc, v6, v1 src0_sel:WORD_0 src1_sel:DWORD
	s_nop 1
	v_cndmask_b32_e32 v8, v8, v6, vcc
; %bb.681:
	s_or_b64 exec, exec, s[0:1]
	s_mul_i32 s0, s12, s24
	s_mul_i32 s0, s0, s25
	s_mulk_i32 s0, 0xc0
	s_ashr_i32 s1, s0, 31
	s_lshl_b64 s[0:1], s[0:1], 1
	s_add_u32 s2, s28, s0
	s_mul_i32 s0, s12, s26
	s_addc_u32 s3, s29, s1
	s_ashr_i32 s1, s0, 31
	s_lshl_b64 s[0:1], s[0:1], 1
	s_add_u32 s2, s2, s0
	s_mul_i32 s0, s4, 0xc0
	s_addc_u32 s3, s3, s1
	s_ashr_i32 s1, s0, 31
	s_lshl_b64 s[0:1], s[0:1], 1
	s_add_u32 s0, s2, s0
	s_mov_b32 s2, 0x7f800000
	v_and_b32_e32 v6, 0x7f800000, v7
	s_addc_u32 s1, s3, s1
	v_and_b32_e32 v0, 0x3fe, v0
	v_mov_b32_e32 v1, 0
	v_cmp_ne_u32_e32 vcc, s2, v6
	global_store_short_d16_hi v0, v8, s[0:1]
                                        ; implicit-def: $vgpr6
	s_and_saveexec_b64 s[2:3], vcc
	s_xor_b64 s[2:3], exec, s[2:3]
; %bb.682:
	v_bfe_u32 v6, v7, 16, 1
	s_movk_i32 s4, 0x7fff
	v_add3_u32 v6, v7, v6, s4
; %bb.683:
	s_or_saveexec_b64 s[2:3], s[2:3]
	v_lshl_add_u64 v[8:9], s[0:1], 0, v[0:1]
	s_xor_b64 exec, exec, s[2:3]
; %bb.684:
	v_mov_b32_e32 v0, 0
	v_or_b32_e32 v1, 0x10000, v7
	v_cmp_eq_u32_sdwa vcc, v7, v0 src0_sel:WORD_0 src1_sel:DWORD
	s_nop 1
	v_cndmask_b32_e32 v6, v1, v7, vcc
; %bb.685:
	s_or_b64 exec, exec, s[2:3]
	s_mov_b32 s0, 0x7f800000
	v_and_b32_e32 v0, 0x7f800000, v2
	v_cmp_ne_u32_e32 vcc, s0, v0
	global_store_short_d16_hi v[8:9], v6, off offset:64
                                        ; implicit-def: $vgpr0
	s_and_saveexec_b64 s[0:1], vcc
	s_xor_b64 s[0:1], exec, s[0:1]
; %bb.686:
	v_bfe_u32 v0, v2, 16, 1
	s_movk_i32 s2, 0x7fff
	v_add3_u32 v0, v2, v0, s2
; %bb.687:
	s_andn2_saveexec_b64 s[0:1], s[0:1]
; %bb.688:
	v_mov_b32_e32 v0, 0
	v_or_b32_e32 v1, 0x10000, v2
	v_cmp_eq_u32_sdwa vcc, v2, v0 src0_sel:WORD_0 src1_sel:DWORD
	s_nop 1
	v_cndmask_b32_e32 v0, v1, v2, vcc
; %bb.689:
	s_or_b64 exec, exec, s[0:1]
	global_store_short_d16_hi v[8:9], v0, off offset:128
	s_mov_b32 s0, 0x7f800000
	v_and_b32_e32 v0, 0x7f800000, v3
	v_cmp_ne_u32_e32 vcc, s0, v0
                                        ; implicit-def: $vgpr0
	s_and_saveexec_b64 s[0:1], vcc
	s_xor_b64 s[0:1], exec, s[0:1]
; %bb.690:
	v_bfe_u32 v0, v3, 16, 1
	s_movk_i32 s2, 0x7fff
	v_add3_u32 v0, v3, v0, s2
; %bb.691:
	s_andn2_saveexec_b64 s[0:1], s[0:1]
; %bb.692:
	v_mov_b32_e32 v0, 0
	v_or_b32_e32 v1, 0x10000, v3
	v_cmp_eq_u32_sdwa vcc, v3, v0 src0_sel:WORD_0 src1_sel:DWORD
	s_nop 1
	v_cndmask_b32_e32 v0, v1, v3, vcc
; %bb.693:
	s_or_b64 exec, exec, s[0:1]
	global_store_short_d16_hi v[8:9], v0, off offset:192
	s_mov_b32 s0, 0x7f800000
	v_and_b32_e32 v0, 0x7f800000, v4
	v_cmp_ne_u32_e32 vcc, s0, v0
	;; [unrolled: 21-line block ×3, first 2 shown]
                                        ; implicit-def: $vgpr6
	s_and_saveexec_b64 s[0:1], vcc
	s_xor_b64 s[0:1], exec, s[0:1]
; %bb.698:
	v_bfe_u32 v0, v5, 16, 1
	s_movk_i32 s2, 0x7fff
	v_add3_u32 v6, v5, v0, s2
                                        ; implicit-def: $vgpr0_vgpr1_vgpr2_vgpr3_vgpr4_vgpr5
; %bb.699:
	s_andn2_saveexec_b64 s[0:1], s[0:1]
; %bb.700:
	v_mov_b32_e32 v0, 0
	v_or_b32_e32 v1, 0x10000, v5
	v_cmp_eq_u32_sdwa vcc, v5, v0 src0_sel:WORD_0 src1_sel:DWORD
	s_nop 1
	v_cndmask_b32_e32 v6, v1, v5, vcc
; %bb.701:
	s_or_b64 exec, exec, s[0:1]
	global_store_short_d16_hi v[8:9], v6, off offset:320
.LBB350_702:
	s_endpgm
.LBB350_703:
	v_mov_b32_e32 v8, 0x190
	v_lshl_add_u32 v8, v1, 2, v8
	ds_read_b32 v8, v8
	s_waitcnt lgkmcnt(0)
	v_add_f32_e32 v6, v6, v8
	s_or_b64 exec, exec, s[6:7]
	s_and_saveexec_b64 s[6:7], s[0:1]
	s_cbranch_execz .LBB350_669
.LBB350_704:
	v_mov_b32_e32 v8, 0x190
	v_lshl_add_u32 v8, v1, 2, v8
	ds_read_b32 v8, v8 offset:128
	s_waitcnt lgkmcnt(0)
	v_add_f32_e32 v7, v7, v8
	s_or_b64 exec, exec, s[6:7]
	s_and_saveexec_b64 s[6:7], s[0:1]
	s_cbranch_execz .LBB350_670
.LBB350_705:
	v_mov_b32_e32 v8, 0x190
	v_lshl_add_u32 v8, v1, 2, v8
	ds_read_b32 v8, v8 offset:256
	s_waitcnt lgkmcnt(0)
	v_add_f32_e32 v2, v2, v8
	s_or_b64 exec, exec, s[6:7]
	s_and_saveexec_b64 s[6:7], s[0:1]
	s_cbranch_execz .LBB350_671
.LBB350_706:
	v_mov_b32_e32 v8, 0x190
	v_lshl_add_u32 v8, v1, 2, v8
	ds_read_b32 v8, v8 offset:384
	s_waitcnt lgkmcnt(0)
	v_add_f32_e32 v3, v3, v8
	s_or_b64 exec, exec, s[6:7]
	s_and_saveexec_b64 s[6:7], s[0:1]
	s_cbranch_execz .LBB350_672
.LBB350_707:
	v_mov_b32_e32 v8, 0x190
	v_lshl_add_u32 v8, v1, 2, v8
	ds_read_b32 v8, v8 offset:512
	s_waitcnt lgkmcnt(0)
	v_add_f32_e32 v4, v4, v8
	s_or_b64 exec, exec, s[6:7]
	s_and_saveexec_b64 s[6:7], s[0:1]
	s_cbranch_execnz .LBB350_673
	s_branch .LBB350_674
	.section	.rodata,"a",@progbits
	.p2align	6, 0x0
	.amdhsa_kernel _ZN4vllm25paged_attention_v2_kernelI14__hip_bfloat16hLi192ELi16ELi128ELNS_18Fp8KVCacheDataTypeE1ELb0ELi512EEEvPfS3_PT_PKS4_PKT0_SA_ifPKiSC_iPKfiiiSE_SE_iiiii
		.amdhsa_group_segment_fixed_size 400
		.amdhsa_private_segment_fixed_size 0
		.amdhsa_kernarg_size 400
		.amdhsa_user_sgpr_count 2
		.amdhsa_user_sgpr_dispatch_ptr 0
		.amdhsa_user_sgpr_queue_ptr 0
		.amdhsa_user_sgpr_kernarg_segment_ptr 1
		.amdhsa_user_sgpr_dispatch_id 0
		.amdhsa_user_sgpr_kernarg_preload_length 0
		.amdhsa_user_sgpr_kernarg_preload_offset 0
		.amdhsa_user_sgpr_private_segment_size 0
		.amdhsa_uses_dynamic_stack 0
		.amdhsa_enable_private_segment 0
		.amdhsa_system_sgpr_workgroup_id_x 1
		.amdhsa_system_sgpr_workgroup_id_y 1
		.amdhsa_system_sgpr_workgroup_id_z 1
		.amdhsa_system_sgpr_workgroup_info 0
		.amdhsa_system_vgpr_workitem_id 0
		.amdhsa_next_free_vgpr 115
		.amdhsa_next_free_sgpr 48
		.amdhsa_accum_offset 116
		.amdhsa_reserve_vcc 1
		.amdhsa_float_round_mode_32 0
		.amdhsa_float_round_mode_16_64 0
		.amdhsa_float_denorm_mode_32 3
		.amdhsa_float_denorm_mode_16_64 3
		.amdhsa_dx10_clamp 1
		.amdhsa_ieee_mode 1
		.amdhsa_fp16_overflow 0
		.amdhsa_tg_split 0
		.amdhsa_exception_fp_ieee_invalid_op 0
		.amdhsa_exception_fp_denorm_src 0
		.amdhsa_exception_fp_ieee_div_zero 0
		.amdhsa_exception_fp_ieee_overflow 0
		.amdhsa_exception_fp_ieee_underflow 0
		.amdhsa_exception_fp_ieee_inexact 0
		.amdhsa_exception_int_div_zero 0
	.end_amdhsa_kernel
	.section	.text._ZN4vllm25paged_attention_v2_kernelI14__hip_bfloat16hLi192ELi16ELi128ELNS_18Fp8KVCacheDataTypeE1ELb0ELi512EEEvPfS3_PT_PKS4_PKT0_SA_ifPKiSC_iPKfiiiSE_SE_iiiii,"axG",@progbits,_ZN4vllm25paged_attention_v2_kernelI14__hip_bfloat16hLi192ELi16ELi128ELNS_18Fp8KVCacheDataTypeE1ELb0ELi512EEEvPfS3_PT_PKS4_PKT0_SA_ifPKiSC_iPKfiiiSE_SE_iiiii,comdat
.Lfunc_end350:
	.size	_ZN4vllm25paged_attention_v2_kernelI14__hip_bfloat16hLi192ELi16ELi128ELNS_18Fp8KVCacheDataTypeE1ELb0ELi512EEEvPfS3_PT_PKS4_PKT0_SA_ifPKiSC_iPKfiiiSE_SE_iiiii, .Lfunc_end350-_ZN4vllm25paged_attention_v2_kernelI14__hip_bfloat16hLi192ELi16ELi128ELNS_18Fp8KVCacheDataTypeE1ELb0ELi512EEEvPfS3_PT_PKS4_PKT0_SA_ifPKiSC_iPKfiiiSE_SE_iiiii
                                        ; -- End function
	.section	.AMDGPU.csdata,"",@progbits
; Kernel info:
; codeLenInByte = 21068
; NumSgprs: 54
; NumVgprs: 115
; NumAgprs: 0
; TotalNumVgprs: 115
; ScratchSize: 0
; MemoryBound: 0
; FloatMode: 240
; IeeeMode: 1
; LDSByteSize: 400 bytes/workgroup (compile time only)
; SGPRBlocks: 6
; VGPRBlocks: 14
; NumSGPRsForWavesPerEU: 54
; NumVGPRsForWavesPerEU: 115
; AccumOffset: 116
; Occupancy: 4
; WaveLimiterHint : 1
; COMPUTE_PGM_RSRC2:SCRATCH_EN: 0
; COMPUTE_PGM_RSRC2:USER_SGPR: 2
; COMPUTE_PGM_RSRC2:TRAP_HANDLER: 0
; COMPUTE_PGM_RSRC2:TGID_X_EN: 1
; COMPUTE_PGM_RSRC2:TGID_Y_EN: 1
; COMPUTE_PGM_RSRC2:TGID_Z_EN: 1
; COMPUTE_PGM_RSRC2:TIDIG_COMP_CNT: 0
; COMPUTE_PGM_RSRC3_GFX90A:ACCUM_OFFSET: 28
; COMPUTE_PGM_RSRC3_GFX90A:TG_SPLIT: 0
	.text
	.p2align	2                               ; -- Begin function _ZN4vllm22paged_attention_kernelI14__hip_bfloat16hLi256ELi16ELi128ELNS_18Fp8KVCacheDataTypeE1ELb0ELi512EEEvPfS3_PT_PKS4_PKT0_SA_ifPKiSC_iPKfiiiSE_SE_iiiii
	.type	_ZN4vllm22paged_attention_kernelI14__hip_bfloat16hLi256ELi16ELi128ELNS_18Fp8KVCacheDataTypeE1ELb0ELi512EEEvPfS3_PT_PKS4_PKT0_SA_ifPKiSC_iPKfiiiSE_SE_iiiii,@function
_ZN4vllm22paged_attention_kernelI14__hip_bfloat16hLi256ELi16ELi128ELNS_18Fp8KVCacheDataTypeE1ELb0ELi512EEEvPfS3_PT_PKS4_PKT0_SA_ifPKiSC_iPKfiiiSE_SE_iiiii: ; @_ZN4vllm22paged_attention_kernelI14__hip_bfloat16hLi256ELi16ELi128ELNS_18Fp8KVCacheDataTypeE1ELb0ELi512EEEvPfS3_PT_PKS4_PKT0_SA_ifPKiSC_iPKfiiiSE_SE_iiiii
; %bb.0:
	s_waitcnt vmcnt(0) expcnt(0) lgkmcnt(0)
	s_or_saveexec_b64 s[0:1], -1
	scratch_store_dword off, v63, s32 offset:368 ; 4-byte Folded Spill
	s_mov_b64 exec, s[0:1]
	scratch_store_dword off, v40, s32 offset:184 ; 4-byte Folded Spill
	scratch_store_dword off, v41, s32 offset:180 ; 4-byte Folded Spill
	;; [unrolled: 1-line block ×46, first 2 shown]
	scratch_store_dword off, a63, s32       ; 4-byte Folded Spill
	v_writelane_b32 v63, s30, 0
	s_nop 1
	v_writelane_b32 v63, s31, 1
	s_mov_b32 s16, s13
	v_accvgpr_write_b32 a24, v24
	s_ashr_i32 s17, s13, 31
	v_accvgpr_write_b32 a25, v25
	v_mov_b32_e32 v25, v1
	v_mov_b32_e32 v24, v0
	v_lshl_add_u64 v[0:1], s[16:17], 2, v[16:17]
	flat_load_dword v33, v[0:1]
	s_lshl_b32 s26, s14, 9
	v_accvgpr_write_b32 a4, v22
	v_mov_b32_e32 v29, v20
	v_mov_b32_e32 v28, v19
	v_accvgpr_write_b32 a19, v13
	v_mov_b32_e32 v37, v11
	v_mov_b32_e32 v36, v10
	;; [unrolled: 1-line block ×4, first 2 shown]
	scratch_store_dwordx2 off, v[4:5], s32 offset:288 ; 8-byte Folded Spill
	s_waitcnt vmcnt(0) lgkmcnt(0)
	v_cmp_lt_i32_e32 vcc, s26, v33
	s_and_saveexec_b64 s[10:11], vcc
	s_cbranch_execz .LBB351_908
; %bb.1:
	v_sub_u32_e32 v0, 0, v12
	v_max_i32_e32 v0, v12, v0
	v_cvt_f32_u32_e32 v1, v0
	s_load_dword s0, s[8:9], 0x10
	s_load_dword s2, s[8:9], 0x0
	v_sub_u32_e32 v3, 0, v0
	s_mov_b32 s18, s15
	v_rcp_iflag_f32_e32 v1, v1
	s_waitcnt lgkmcnt(0)
	s_lshr_b32 s0, s0, 16
	s_cmp_lg_u32 s0, 0
	s_cselect_b64 s[0:1], -1, 0
	v_mul_f32_e32 v1, 0x4f7ffffe, v1
	v_cvt_u32_f32_e32 v1, v1
	s_cmp_lg_u64 s[0:1], 0
	s_addc_u32 s17, s2, 0
	s_abs_i32 s0, s17
	v_mul_lo_u32 v3, v3, v1
	v_mul_hi_u32 v3, v1, v3
	v_add_u32_e32 v1, v1, v3
	v_mul_hi_u32 v1, s0, v1
	v_mul_lo_u32 v3, v1, v0
	v_sub_u32_e32 v3, s0, v3
	v_add_u32_e32 v4, 1, v1
	v_cmp_ge_u32_e32 vcc, v3, v0
	v_xor_b32_e32 v2, s17, v12
	v_ashrrev_i32_e32 v2, 31, v2
	v_cndmask_b32_e32 v1, v1, v4, vcc
	v_sub_u32_e32 v4, v3, v0
	v_cndmask_b32_e32 v3, v3, v4, vcc
	v_add_u32_e32 v4, 1, v1
	v_cmp_ge_u32_e32 vcc, v3, v0
	s_abs_i32 s2, s12
	s_nop 0
	v_cndmask_b32_e32 v0, v1, v4, vcc
	v_xor_b32_e32 v0, v0, v2
	v_sub_u32_e32 v0, v0, v2
	v_sub_u32_e32 v1, 0, v0
	v_max_i32_e32 v1, v0, v1
	v_cvt_f32_u32_e32 v2, v1
	v_sub_u32_e32 v3, 0, v1
	v_cmp_ne_u64_e32 vcc, 0, v[28:29]
	v_rcp_iflag_f32_e32 v2, v2
	s_nop 0
	v_mul_f32_e32 v2, 0x4f7ffffe, v2
	v_cvt_u32_f32_e32 v2, v2
	v_mul_lo_u32 v3, v3, v2
	v_mul_hi_u32 v3, v2, v3
	v_add_u32_e32 v2, v2, v3
	v_mad_u64_u32 v[16:17], s[0:1], s2, v2, 0
	v_mov_b32_e32 v2, 0
	scratch_store_dword off, v2, s32 offset:280 ; 4-byte Folded Spill
	s_and_saveexec_b64 s[0:1], vcc
	s_cbranch_execz .LBB351_3
; %bb.2:
	s_ashr_i32 s13, s12, 31
	v_lshl_add_u64 v[2:3], s[12:13], 2, v[28:29]
	flat_load_dword v2, v[2:3]
	s_waitcnt vmcnt(0) lgkmcnt(0)
	scratch_store_dword off, v2, s32 offset:280 ; 4-byte Folded Spill
.LBB351_3:
	s_or_b64 exec, exec, s[0:1]
	v_and_b32_e32 v19, 0x3ff, v31
	s_movk_i32 s0, 0x80
	s_ashr_i32 s3, s12, 31
	v_ashrrev_i32_e32 v2, 31, v0
	v_and_b32_e32 v0, 3, v19
	s_lshl_b32 s20, s12, 8
	v_cmp_gt_u32_e32 vcc, s0, v19
	s_and_saveexec_b64 s[0:1], vcc
	s_cbranch_execz .LBB351_5
; %bb.4:
	v_mul_lo_u32 v4, s16, v21
	v_ashrrev_i32_e32 v5, 31, v4
	v_lshl_add_u64 v[4:5], v[4:5], 1, v[6:7]
	s_ashr_i32 s21, s20, 31
	v_lshl_add_u64 v[4:5], s[20:21], 1, v[4:5]
	v_lshlrev_b32_e32 v6, 2, v19
	v_mov_b32_e32 v7, 0
	v_lshl_add_u64 v[4:5], v[4:5], 0, v[6:7]
	flat_load_dword v3, v[4:5]
	v_and_b32_e32 v4, 0x3fc, v19
	v_lshl_add_u32 v4, v0, 7, v4
	s_waitcnt vmcnt(0) lgkmcnt(0)
	ds_write_b32 v4, v3
.LBB351_5:
	s_or_b64 exec, exec, s[0:1]
	v_add_u32_e32 v3, 15, v33
	v_ashrrev_i32_e32 v4, 31, v3
	v_lshrrev_b32_e32 v4, 28, v4
	v_add_u32_e32 v3, v3, v4
	v_ashrrev_i32_e32 v29, 4, v3
	v_mul_lo_u32 v3, v17, v1
	v_sub_u32_e32 v3, s2, v3
	v_add_u32_e32 v4, 1, v17
	v_cmp_ge_u32_e32 vcc, v3, v1
	v_sub_u32_e32 v5, v3, v1
	s_lshl_b32 s15, s14, 5
	v_cndmask_b32_e32 v4, v17, v4, vcc
	v_cndmask_b32_e32 v3, v3, v5, vcc
	v_add_u32_e32 v5, 1, v4
	v_cmp_ge_u32_e32 vcc, v3, v1
	s_add_i32 s0, s15, 32
	v_lshrrev_b32_e32 v28, 6, v19
	v_xor_b32_e32 v2, s3, v2
	v_cndmask_b32_e32 v1, v4, v5, vcc
	v_min_i32_e32 v6, s0, v29
	v_xor_b32_e32 v1, v1, v2
	v_mul_lo_u32 v30, s16, v18
	v_or_b32_e32 v10, s15, v28
	v_sub_u32_e32 v2, v1, v2
	v_ashrrev_i32_e32 v31, 31, v30
	v_cmp_lt_i32_e64 s[0:1], v10, v6
	v_mov_b32_e32 v4, v10
	v_cmp_ge_i32_e32 vcc, v10, v6
	v_mbcnt_lo_u32_b32 v1, -1, 0
	s_waitcnt lgkmcnt(0)
	s_barrier
	scratch_store_dword off, v6, s32 offset:188 ; 4-byte Folded Spill
                                        ; implicit-def: $sgpr4
                                        ; implicit-def: $vgpr16
                                        ; implicit-def: $vgpr17
	s_and_saveexec_b64 s[2:3], vcc
	s_xor_b64 s[2:3], exec, s[2:3]
; %bb.6:
	v_mbcnt_hi_u32_b32 v16, -1, v1
	v_and_b32_e32 v0, 64, v16
	v_add_u32_e32 v17, 64, v0
	s_mov_b32 s4, 0xff7fffff
                                        ; implicit-def: $vgpr0
                                        ; kill: killed $vgpr0
                                        ; implicit-def: $agpr19
                                        ; implicit-def: $agpr24
                                        ; implicit-def: $vgpr8
                                        ; implicit-def: $vgpr0
                                        ; implicit-def: $vgpr1
; %bb.7:
	s_or_saveexec_b64 s[6:7], s[2:3]
	s_load_dword s21, s[8:9], 0x14
	s_load_dword s13, s[8:9], 0x8
	v_ashrrev_i32_e32 v5, 31, v4
	v_mul_lo_u32 v38, v2, v23
	v_accvgpr_write_b32 a7, v5
	v_mov_b32_e32 v13, s4
	v_accvgpr_write_b32 a6, v4
	v_ashrrev_i32_e32 v39, 31, v38
	scratch_store_dword off, v19, s32 offset:284 ; 4-byte Folded Spill
	s_xor_b64 exec, exec, s[6:7]
	s_cbranch_execz .LBB351_269
; %bb.8:
	scratch_store_dword off, v29, s32 offset:296 ; 4-byte Folded Spill
	scratch_store_dwordx2 off, v[34:35], s32 offset:328 ; 8-byte Folded Spill
	scratch_store_dwordx2 off, v[24:25], s32 offset:336 ; 8-byte Folded Spill
	scratch_store_dwordx2 off, v[36:37], s32 offset:344 ; 8-byte Folded Spill
	scratch_store_dwordx2 off, v[26:27], s32 offset:352 ; 8-byte Folded Spill
	v_lshlrev_b32_e32 v6, 7, v0
	ds_read_b128 v[2:5], v6
	ds_read_b128 v[34:37], v6 offset:16
	ds_read_b128 v[22:25], v6 offset:32
	v_mov_b32_e32 v7, v19
	ds_read_b128 v[18:21], v6 offset:48
	s_waitcnt lgkmcnt(0)
	v_lshlrev_b32_e32 v10, 16, v2
	v_and_b32_e32 v2, 0xffff0000, v2
	scratch_store_dword off, v2, s32 offset:196 ; 4-byte Folded Spill
	v_lshlrev_b32_e32 v2, 16, v3
	scratch_store_dword off, v2, s32 offset:200 ; 4-byte Folded Spill
	v_and_b32_e32 v2, 0xffff0000, v3
	scratch_store_dword off, v2, s32 offset:204 ; 4-byte Folded Spill
	v_lshlrev_b32_e32 v2, 16, v4
	scratch_store_dword off, v2, s32 offset:208 ; 4-byte Folded Spill
	;; [unrolled: 4-line block ×10, first 2 shown]
	v_and_b32_e32 v2, 0xffff0000, v24
	scratch_store_dword off, v2, s32 offset:276 ; 4-byte Folded Spill
	v_lshlrev_b32_e32 v2, 16, v25
	v_accvgpr_write_b32 a50, v2
	v_and_b32_e32 v2, 0xffff0000, v25
	v_accvgpr_write_b32 a51, v2
	v_lshlrev_b32_e32 v2, 16, v18
	v_accvgpr_write_b32 a52, v2
	v_and_b32_e32 v2, 0xffff0000, v18
	v_accvgpr_write_b32 a53, v2
	;; [unrolled: 4-line block ×3, first 2 shown]
	v_lshlrev_b32_e32 v2, 16, v20
	v_accvgpr_write_b32 a56, v2
	ds_read_b128 v[2:5], v6 offset:64
	ds_read_b128 v[16:19], v6 offset:80
	scratch_store_dword off, v10, s32 offset:192 ; 4-byte Folded Spill
	v_and_b32_e32 v10, 0xffff0000, v20
	v_accvgpr_write_b32 a57, v10
	v_lshlrev_b32_e32 v10, 16, v21
	v_accvgpr_write_b32 a58, v10
	v_and_b32_e32 v10, 0xffff0000, v21
	v_accvgpr_write_b32 a59, v10
	s_waitcnt lgkmcnt(1)
	v_lshlrev_b32_e32 v10, 16, v2
	v_and_b32_e32 v2, 0xffff0000, v2
	v_accvgpr_write_b32 a61, v2
	v_lshlrev_b32_e32 v2, 16, v3
	v_accvgpr_write_b32 a62, v2
	v_and_b32_e32 v2, 0xffff0000, v3
	v_accvgpr_write_b32 a63, v2
	v_lshlrev_b32_e32 v2, 16, v4
	v_accvgpr_write_b32 a2, v2
	;; [unrolled: 4-line block ×3, first 2 shown]
	v_and_b32_e32 v2, 0xffff0000, v5
	v_accvgpr_write_b32 a23, v2
	s_waitcnt lgkmcnt(0)
	v_lshlrev_b32_e32 v2, 16, v16
	v_accvgpr_write_b32 a27, v2
	v_and_b32_e32 v2, 0xffff0000, v16
	v_accvgpr_write_b32 a26, v2
	v_lshlrev_b32_e32 v2, 16, v17
	v_accvgpr_write_b32 a20, v2
	v_and_b32_e32 v2, 0xffff0000, v17
	v_accvgpr_write_b32 a21, v2
	;; [unrolled: 4-line block ×4, first 2 shown]
	ds_read_b128 v[2:5], v6 offset:96
	ds_read_b128 v[16:19], v6 offset:112
	v_mbcnt_hi_u32_b32 v1, -1, v1
	v_cmp_eq_u32_e32 vcc, 0, v0
	scratch_store_dword off, v1, s32 offset:312 ; 4-byte Folded Spill
	s_waitcnt lgkmcnt(1)
	v_lshlrev_b32_e32 v6, 16, v2
	v_and_b32_e32 v2, 0xffff0000, v2
	v_accvgpr_write_b32 a14, v2
	v_lshlrev_b32_e32 v2, 16, v3
	v_accvgpr_write_b32 a15, v2
	v_and_b32_e32 v2, 0xffff0000, v3
	v_accvgpr_write_b32 a12, v2
	v_lshlrev_b32_e32 v2, 16, v4
	v_accvgpr_write_b32 a13, v2
	;; [unrolled: 4-line block ×3, first 2 shown]
	v_and_b32_e32 v2, 0xffff0000, v5
	v_accvgpr_write_b32 a8, v2
	s_waitcnt lgkmcnt(0)
	v_lshlrev_b32_e32 v2, 16, v16
	v_accvgpr_write_b32 a9, v2
	v_and_b32_e32 v2, 0xffff0000, v16
	v_accvgpr_write_b32 a3, v2
	v_lshlrev_b32_e32 v2, 16, v17
	v_accvgpr_write_b32 a28, v2
	v_and_b32_e32 v2, 0xffff0000, v17
	v_accvgpr_write_b32 a29, v2
	;; [unrolled: 4-line block ×3, first 2 shown]
	v_lshlrev_b32_e32 v2, 16, v19
	v_accvgpr_write_b32 a32, v2
	v_and_b32_e32 v2, 0xffff0000, v19
	v_bfe_u32 v4, v7, 2, 4
	v_accvgpr_write_b32 a33, v2
	v_lshl_add_u64 v[2:3], v[8:9], 0, v[38:39]
	v_lshlrev_b32_e32 v8, 4, v4
	v_mov_b32_e32 v9, 0
	v_lshl_add_u64 v[2:3], v[2:3], 0, v[8:9]
	v_accvgpr_write_b32 a35, v3
	v_lshlrev_b32_e32 v8, 1, v0
	v_and_b32_e32 v0, 64, v1
	v_accvgpr_write_b32 a34, v2
	v_add_u32_e32 v2, 64, v0
	v_xor_b32_e32 v0, 2, v1
	v_cmp_lt_i32_e64 s[2:3], v0, v2
	scratch_store_dword off, v2, s32 offset:308 ; 4-byte Folded Spill
	s_ashr_i32 s19, s18, 31
	v_cndmask_b32_e64 v0, v1, v0, s[2:3]
	v_lshlrev_b32_e32 v0, 2, v0
	v_accvgpr_write_b32 a36, v0
	v_xor_b32_e32 v0, 1, v1
	v_cmp_lt_i32_e64 s[2:3], v0, v2
	v_accvgpr_read_b32 v2, a6
	v_accvgpr_read_b32 v3, a7
	v_cndmask_b32_e64 v0, v1, v0, s[2:3]
	v_lshlrev_b32_e32 v0, 2, v0
	v_accvgpr_write_b32 a37, v0
	scratch_load_dword v0, off, s32 offset:280 ; 4-byte Folded Reload
	s_lshl_b64 s[4:5], s[18:19], 2
	s_getpc_b64 s[8:9]
	s_add_u32 s8, s8, llvm.amdgcn.dynlds.offset.table@rel32@lo+4
	s_addc_u32 s9, s9, llvm.amdgcn.dynlds.offset.table@rel32@hi+12
	s_add_u32 s8, s4, s8
	v_accvgpr_write_b32 a60, v10
	v_accvgpr_write_b32 a17, v6
	s_addc_u32 s9, s5, s9
	s_mov_b64 s[22:23], 0
	s_mov_b32 s19, 0xffff
	s_mov_b32 s27, 0x7f800000
	s_movk_i32 s28, 0x7fff
	v_mov_b32_e32 v13, 0xff7fffff
	v_mov_b32_e32 v56, v2
	scratch_store_dwordx2 off, v[38:39], s32 offset:300 ; 8-byte Folded Spill
	scratch_store_dwordx2 off, v[30:31], s32 offset:316 ; 8-byte Folded Spill
	;; [unrolled: 1-line block ×3, first 2 shown]
	scratch_store_dword off, v28, s32 offset:324 ; 4-byte Folded Spill
	s_waitcnt vmcnt(4)
	v_cmp_neq_f32_e64 s[2:3], 0, v0
	v_lshlrev_b64 v[0:1], 2, v[2:3]
	v_lshl_add_u64 v[0:1], v[30:31], 2, v[0:1]
	v_lshl_add_u64 v[20:21], v[14:15], 0, v[0:1]
	v_lshlrev_b32_e32 v0, 4, v28
	v_add3_u32 v46, s26, v0, v4
	v_lshlrev_b32_e32 v0, 2, v4
	v_lshl_or_b32 v47, v28, 6, v0
	s_branch .LBB351_10
.LBB351_9:                              ;   in Loop: Header=BB351_10 Depth=1
	s_or_b64 exec, exec, s[24:25]
	scratch_load_dword v0, off, s32 offset:188 ; 4-byte Folded Reload
	v_add_u32_e32 v56, 2, v56
	v_lshl_add_u64 v[20:21], v[20:21], 0, 8
	v_add_u32_e32 v46, 32, v46
	v_add_u32_e32 v47, 0x80, v47
	s_waitcnt vmcnt(0)
	v_cmp_ge_i32_e64 s[4:5], v56, v0
	s_or_b64 s[22:23], s[4:5], s[22:23]
	s_andn2_b64 exec, exec, s[22:23]
	s_cbranch_execz .LBB351_268
.LBB351_10:                             ; =>This Inner Loop Header: Depth=1
	flat_load_dword v0, v[20:21]
	v_accvgpr_read_b32 v4, a34
	v_accvgpr_read_b32 v2, a4
	;; [unrolled: 1-line block ×3, first 2 shown]
                                        ; implicit-def: $vgpr12
	s_waitcnt vmcnt(0) lgkmcnt(0)
	v_mad_i64_i32 v[0:1], s[4:5], v0, v2, v[4:5]
	v_lshl_add_u64 v[30:31], v[0:1], 0, v[8:9]
	flat_load_ushort v0, v[30:31]
	v_accvgpr_read_b32 v2, a24
	v_accvgpr_read_b32 v3, a25
	flat_load_dword v60, v[2:3]
	s_waitcnt vmcnt(0) lgkmcnt(0)
	v_and_b32_sdwa v1, s19, v0 dst_sel:DWORD dst_unused:UNUSED_PAD src0_sel:DWORD src1_sel:BYTE_0
	v_cvt_f32_fp8_sdwa v1, v1 src0_sel:BYTE_0
	s_nop 0
	v_mul_f32_e32 v1, v60, v1
	v_and_b32_e32 v2, 0x7f800000, v1
	v_cmp_ne_u32_e64 s[4:5], s27, v2
	s_and_saveexec_b64 s[24:25], s[4:5]
	s_xor_b64 s[4:5], exec, s[24:25]
; %bb.11:                               ;   in Loop: Header=BB351_10 Depth=1
	v_bfe_u32 v2, v1, 16, 1
	v_add3_u32 v12, v1, v2, s28
                                        ; implicit-def: $vgpr1
; %bb.12:                               ;   in Loop: Header=BB351_10 Depth=1
	s_andn2_saveexec_b64 s[24:25], s[4:5]
; %bb.13:                               ;   in Loop: Header=BB351_10 Depth=1
	v_or_b32_e32 v2, 0x10000, v1
	v_cmp_eq_u32_sdwa s[4:5], v1, v9 src0_sel:WORD_0 src1_sel:DWORD
	s_nop 1
	v_cndmask_b32_e64 v12, v2, v1, s[4:5]
; %bb.14:                               ;   in Loop: Header=BB351_10 Depth=1
	s_or_b64 exec, exec, s[24:25]
	v_lshrrev_b16_e32 v0, 8, v0
	v_cvt_f32_fp8_sdwa v0, v0 src0_sel:BYTE_0
                                        ; implicit-def: $agpr38
	s_nop 0
	v_mul_f32_e32 v0, v60, v0
	v_and_b32_e32 v1, 0x7f800000, v0
	v_cmp_ne_u32_e64 s[4:5], s27, v1
	s_and_saveexec_b64 s[24:25], s[4:5]
	s_xor_b64 s[4:5], exec, s[24:25]
; %bb.15:                               ;   in Loop: Header=BB351_10 Depth=1
	v_bfe_u32 v1, v0, 16, 1
	v_add3_u32 v0, v0, v1, s28
	v_accvgpr_write_b32 a38, v0
                                        ; implicit-def: $vgpr0
; %bb.16:                               ;   in Loop: Header=BB351_10 Depth=1
	s_andn2_saveexec_b64 s[24:25], s[4:5]
; %bb.17:                               ;   in Loop: Header=BB351_10 Depth=1
	v_or_b32_e32 v1, 0x10000, v0
	v_cmp_eq_u32_sdwa s[4:5], v0, v9 src0_sel:WORD_0 src1_sel:DWORD
	s_nop 1
	v_cndmask_b32_e64 v0, v1, v0, s[4:5]
	v_accvgpr_write_b32 a38, v0
; %bb.18:                               ;   in Loop: Header=BB351_10 Depth=1
	s_or_b64 exec, exec, s[24:25]
	flat_load_ushort v0, v[30:31] offset:8
                                        ; implicit-def: $vgpr27
	s_waitcnt vmcnt(0) lgkmcnt(0)
	v_and_b32_sdwa v1, s19, v0 dst_sel:DWORD dst_unused:UNUSED_PAD src0_sel:DWORD src1_sel:BYTE_0
	v_cvt_f32_fp8_sdwa v1, v1 src0_sel:BYTE_0
	s_nop 0
	v_mul_f32_e32 v1, v60, v1
	v_and_b32_e32 v2, 0x7f800000, v1
	v_cmp_ne_u32_e64 s[4:5], s27, v2
	s_and_saveexec_b64 s[24:25], s[4:5]
	s_xor_b64 s[4:5], exec, s[24:25]
; %bb.19:                               ;   in Loop: Header=BB351_10 Depth=1
	v_bfe_u32 v2, v1, 16, 1
	v_add3_u32 v27, v1, v2, s28
                                        ; implicit-def: $vgpr1
; %bb.20:                               ;   in Loop: Header=BB351_10 Depth=1
	s_andn2_saveexec_b64 s[24:25], s[4:5]
; %bb.21:                               ;   in Loop: Header=BB351_10 Depth=1
	v_or_b32_e32 v2, 0x10000, v1
	v_cmp_eq_u32_sdwa s[4:5], v1, v9 src0_sel:WORD_0 src1_sel:DWORD
	s_nop 1
	v_cndmask_b32_e64 v27, v2, v1, s[4:5]
; %bb.22:                               ;   in Loop: Header=BB351_10 Depth=1
	s_or_b64 exec, exec, s[24:25]
	v_lshrrev_b16_e32 v0, 8, v0
	v_cvt_f32_fp8_sdwa v0, v0 src0_sel:BYTE_0
                                        ; implicit-def: $agpr39
	s_nop 0
	v_mul_f32_e32 v0, v60, v0
	v_and_b32_e32 v1, 0x7f800000, v0
	v_cmp_ne_u32_e64 s[4:5], s27, v1
	s_and_saveexec_b64 s[24:25], s[4:5]
	s_xor_b64 s[4:5], exec, s[24:25]
; %bb.23:                               ;   in Loop: Header=BB351_10 Depth=1
	v_bfe_u32 v1, v0, 16, 1
	v_add3_u32 v0, v0, v1, s28
	v_accvgpr_write_b32 a39, v0
                                        ; implicit-def: $vgpr0
; %bb.24:                               ;   in Loop: Header=BB351_10 Depth=1
	s_andn2_saveexec_b64 s[24:25], s[4:5]
; %bb.25:                               ;   in Loop: Header=BB351_10 Depth=1
	v_or_b32_e32 v1, 0x10000, v0
	v_cmp_eq_u32_sdwa s[4:5], v0, v9 src0_sel:WORD_0 src1_sel:DWORD
	s_nop 1
	v_cndmask_b32_e64 v0, v1, v0, s[4:5]
	v_accvgpr_write_b32 a39, v0
; %bb.26:                               ;   in Loop: Header=BB351_10 Depth=1
	s_or_b64 exec, exec, s[24:25]
	flat_load_ushort v0, v[30:31] offset:256
                                        ; implicit-def: $agpr40
	s_waitcnt vmcnt(0) lgkmcnt(0)
	v_and_b32_sdwa v1, s19, v0 dst_sel:DWORD dst_unused:UNUSED_PAD src0_sel:DWORD src1_sel:BYTE_0
	v_cvt_f32_fp8_sdwa v1, v1 src0_sel:BYTE_0
	s_nop 0
	v_mul_f32_e32 v1, v60, v1
	v_and_b32_e32 v2, 0x7f800000, v1
	v_cmp_ne_u32_e64 s[4:5], s27, v2
	s_and_saveexec_b64 s[24:25], s[4:5]
	s_xor_b64 s[4:5], exec, s[24:25]
; %bb.27:                               ;   in Loop: Header=BB351_10 Depth=1
	v_bfe_u32 v2, v1, 16, 1
	v_add3_u32 v1, v1, v2, s28
	v_accvgpr_write_b32 a40, v1
                                        ; implicit-def: $vgpr1
; %bb.28:                               ;   in Loop: Header=BB351_10 Depth=1
	s_andn2_saveexec_b64 s[24:25], s[4:5]
; %bb.29:                               ;   in Loop: Header=BB351_10 Depth=1
	v_or_b32_e32 v2, 0x10000, v1
	v_cmp_eq_u32_sdwa s[4:5], v1, v9 src0_sel:WORD_0 src1_sel:DWORD
	s_nop 1
	v_cndmask_b32_e64 v1, v2, v1, s[4:5]
	v_accvgpr_write_b32 a40, v1
; %bb.30:                               ;   in Loop: Header=BB351_10 Depth=1
	s_or_b64 exec, exec, s[24:25]
	v_lshrrev_b16_e32 v0, 8, v0
	v_cvt_f32_fp8_sdwa v0, v0 src0_sel:BYTE_0
                                        ; implicit-def: $agpr41
	s_nop 0
	v_mul_f32_e32 v0, v60, v0
	v_and_b32_e32 v1, 0x7f800000, v0
	v_cmp_ne_u32_e64 s[4:5], s27, v1
	s_and_saveexec_b64 s[24:25], s[4:5]
	s_xor_b64 s[4:5], exec, s[24:25]
; %bb.31:                               ;   in Loop: Header=BB351_10 Depth=1
	v_bfe_u32 v1, v0, 16, 1
	v_add3_u32 v0, v0, v1, s28
	v_accvgpr_write_b32 a41, v0
                                        ; implicit-def: $vgpr0
; %bb.32:                               ;   in Loop: Header=BB351_10 Depth=1
	s_andn2_saveexec_b64 s[24:25], s[4:5]
; %bb.33:                               ;   in Loop: Header=BB351_10 Depth=1
	v_or_b32_e32 v1, 0x10000, v0
	v_cmp_eq_u32_sdwa s[4:5], v0, v9 src0_sel:WORD_0 src1_sel:DWORD
	s_nop 1
	v_cndmask_b32_e64 v0, v1, v0, s[4:5]
	v_accvgpr_write_b32 a41, v0
; %bb.34:                               ;   in Loop: Header=BB351_10 Depth=1
	s_or_b64 exec, exec, s[24:25]
	flat_load_ushort v0, v[30:31] offset:264
                                        ; implicit-def: $agpr42
	s_waitcnt vmcnt(0) lgkmcnt(0)
	v_and_b32_sdwa v1, s19, v0 dst_sel:DWORD dst_unused:UNUSED_PAD src0_sel:DWORD src1_sel:BYTE_0
	v_cvt_f32_fp8_sdwa v1, v1 src0_sel:BYTE_0
	s_nop 0
	v_mul_f32_e32 v1, v60, v1
	v_and_b32_e32 v2, 0x7f800000, v1
	v_cmp_ne_u32_e64 s[4:5], s27, v2
	s_and_saveexec_b64 s[24:25], s[4:5]
	s_xor_b64 s[4:5], exec, s[24:25]
; %bb.35:                               ;   in Loop: Header=BB351_10 Depth=1
	v_bfe_u32 v2, v1, 16, 1
	v_add3_u32 v1, v1, v2, s28
	v_accvgpr_write_b32 a42, v1
                                        ; implicit-def: $vgpr1
; %bb.36:                               ;   in Loop: Header=BB351_10 Depth=1
	s_andn2_saveexec_b64 s[24:25], s[4:5]
; %bb.37:                               ;   in Loop: Header=BB351_10 Depth=1
	v_or_b32_e32 v2, 0x10000, v1
	v_cmp_eq_u32_sdwa s[4:5], v1, v9 src0_sel:WORD_0 src1_sel:DWORD
	s_nop 1
	v_cndmask_b32_e64 v1, v2, v1, s[4:5]
	v_accvgpr_write_b32 a42, v1
; %bb.38:                               ;   in Loop: Header=BB351_10 Depth=1
	s_or_b64 exec, exec, s[24:25]
	v_lshrrev_b16_e32 v0, 8, v0
	v_cvt_f32_fp8_sdwa v0, v0 src0_sel:BYTE_0
                                        ; implicit-def: $agpr43
	s_nop 0
	v_mul_f32_e32 v0, v60, v0
	v_and_b32_e32 v1, 0x7f800000, v0
	v_cmp_ne_u32_e64 s[4:5], s27, v1
	s_and_saveexec_b64 s[24:25], s[4:5]
	s_xor_b64 s[4:5], exec, s[24:25]
; %bb.39:                               ;   in Loop: Header=BB351_10 Depth=1
	v_bfe_u32 v1, v0, 16, 1
	v_add3_u32 v0, v0, v1, s28
	v_accvgpr_write_b32 a43, v0
                                        ; implicit-def: $vgpr0
; %bb.40:                               ;   in Loop: Header=BB351_10 Depth=1
	s_andn2_saveexec_b64 s[24:25], s[4:5]
; %bb.41:                               ;   in Loop: Header=BB351_10 Depth=1
	v_or_b32_e32 v1, 0x10000, v0
	v_cmp_eq_u32_sdwa s[4:5], v0, v9 src0_sel:WORD_0 src1_sel:DWORD
	s_nop 1
	v_cndmask_b32_e64 v0, v1, v0, s[4:5]
	v_accvgpr_write_b32 a43, v0
; %bb.42:                               ;   in Loop: Header=BB351_10 Depth=1
	s_or_b64 exec, exec, s[24:25]
	flat_load_ushort v0, v[30:31] offset:512
                                        ; implicit-def: $agpr44
	s_waitcnt vmcnt(0) lgkmcnt(0)
	v_and_b32_sdwa v1, s19, v0 dst_sel:DWORD dst_unused:UNUSED_PAD src0_sel:DWORD src1_sel:BYTE_0
	v_cvt_f32_fp8_sdwa v1, v1 src0_sel:BYTE_0
	s_nop 0
	v_mul_f32_e32 v1, v60, v1
	v_and_b32_e32 v2, 0x7f800000, v1
	v_cmp_ne_u32_e64 s[4:5], s27, v2
	s_and_saveexec_b64 s[24:25], s[4:5]
	s_xor_b64 s[4:5], exec, s[24:25]
; %bb.43:                               ;   in Loop: Header=BB351_10 Depth=1
	v_bfe_u32 v2, v1, 16, 1
	v_add3_u32 v1, v1, v2, s28
	v_accvgpr_write_b32 a44, v1
                                        ; implicit-def: $vgpr1
; %bb.44:                               ;   in Loop: Header=BB351_10 Depth=1
	s_andn2_saveexec_b64 s[24:25], s[4:5]
; %bb.45:                               ;   in Loop: Header=BB351_10 Depth=1
	v_or_b32_e32 v2, 0x10000, v1
	v_cmp_eq_u32_sdwa s[4:5], v1, v9 src0_sel:WORD_0 src1_sel:DWORD
	s_nop 1
	v_cndmask_b32_e64 v1, v2, v1, s[4:5]
	v_accvgpr_write_b32 a44, v1
; %bb.46:                               ;   in Loop: Header=BB351_10 Depth=1
	s_or_b64 exec, exec, s[24:25]
	v_lshrrev_b16_e32 v0, 8, v0
	v_cvt_f32_fp8_sdwa v0, v0 src0_sel:BYTE_0
                                        ; implicit-def: $agpr45
	s_nop 0
	v_mul_f32_e32 v0, v60, v0
	v_and_b32_e32 v1, 0x7f800000, v0
	v_cmp_ne_u32_e64 s[4:5], s27, v1
	s_and_saveexec_b64 s[24:25], s[4:5]
	s_xor_b64 s[4:5], exec, s[24:25]
; %bb.47:                               ;   in Loop: Header=BB351_10 Depth=1
	v_bfe_u32 v1, v0, 16, 1
	v_add3_u32 v0, v0, v1, s28
	v_accvgpr_write_b32 a45, v0
                                        ; implicit-def: $vgpr0
; %bb.48:                               ;   in Loop: Header=BB351_10 Depth=1
	s_andn2_saveexec_b64 s[24:25], s[4:5]
; %bb.49:                               ;   in Loop: Header=BB351_10 Depth=1
	v_or_b32_e32 v1, 0x10000, v0
	v_cmp_eq_u32_sdwa s[4:5], v0, v9 src0_sel:WORD_0 src1_sel:DWORD
	s_nop 1
	v_cndmask_b32_e64 v0, v1, v0, s[4:5]
	v_accvgpr_write_b32 a45, v0
; %bb.50:                               ;   in Loop: Header=BB351_10 Depth=1
	s_or_b64 exec, exec, s[24:25]
	flat_load_ushort v0, v[30:31] offset:520
                                        ; implicit-def: $agpr46
	s_waitcnt vmcnt(0) lgkmcnt(0)
	v_and_b32_sdwa v1, s19, v0 dst_sel:DWORD dst_unused:UNUSED_PAD src0_sel:DWORD src1_sel:BYTE_0
	v_cvt_f32_fp8_sdwa v1, v1 src0_sel:BYTE_0
	s_nop 0
	v_mul_f32_e32 v1, v60, v1
	v_and_b32_e32 v2, 0x7f800000, v1
	v_cmp_ne_u32_e64 s[4:5], s27, v2
	s_and_saveexec_b64 s[24:25], s[4:5]
	s_xor_b64 s[4:5], exec, s[24:25]
; %bb.51:                               ;   in Loop: Header=BB351_10 Depth=1
	v_bfe_u32 v2, v1, 16, 1
	v_add3_u32 v1, v1, v2, s28
	v_accvgpr_write_b32 a46, v1
                                        ; implicit-def: $vgpr1
; %bb.52:                               ;   in Loop: Header=BB351_10 Depth=1
	s_andn2_saveexec_b64 s[24:25], s[4:5]
; %bb.53:                               ;   in Loop: Header=BB351_10 Depth=1
	v_or_b32_e32 v2, 0x10000, v1
	v_cmp_eq_u32_sdwa s[4:5], v1, v9 src0_sel:WORD_0 src1_sel:DWORD
	s_nop 1
	v_cndmask_b32_e64 v1, v2, v1, s[4:5]
	v_accvgpr_write_b32 a46, v1
; %bb.54:                               ;   in Loop: Header=BB351_10 Depth=1
	s_or_b64 exec, exec, s[24:25]
	v_lshrrev_b16_e32 v0, 8, v0
	v_cvt_f32_fp8_sdwa v0, v0 src0_sel:BYTE_0
                                        ; implicit-def: $agpr47
	s_nop 0
	v_mul_f32_e32 v0, v60, v0
	v_and_b32_e32 v1, 0x7f800000, v0
	v_cmp_ne_u32_e64 s[4:5], s27, v1
	s_and_saveexec_b64 s[24:25], s[4:5]
	s_xor_b64 s[4:5], exec, s[24:25]
; %bb.55:                               ;   in Loop: Header=BB351_10 Depth=1
	v_bfe_u32 v1, v0, 16, 1
	v_add3_u32 v0, v0, v1, s28
	v_accvgpr_write_b32 a47, v0
                                        ; implicit-def: $vgpr0
; %bb.56:                               ;   in Loop: Header=BB351_10 Depth=1
	s_andn2_saveexec_b64 s[24:25], s[4:5]
; %bb.57:                               ;   in Loop: Header=BB351_10 Depth=1
	v_or_b32_e32 v1, 0x10000, v0
	v_cmp_eq_u32_sdwa s[4:5], v0, v9 src0_sel:WORD_0 src1_sel:DWORD
	s_nop 1
	v_cndmask_b32_e64 v0, v1, v0, s[4:5]
	v_accvgpr_write_b32 a47, v0
; %bb.58:                               ;   in Loop: Header=BB351_10 Depth=1
	s_or_b64 exec, exec, s[24:25]
	flat_load_ushort v0, v[30:31] offset:768
                                        ; implicit-def: $agpr48
	s_waitcnt vmcnt(0) lgkmcnt(0)
	v_and_b32_sdwa v1, s19, v0 dst_sel:DWORD dst_unused:UNUSED_PAD src0_sel:DWORD src1_sel:BYTE_0
	v_cvt_f32_fp8_sdwa v1, v1 src0_sel:BYTE_0
	s_nop 0
	v_mul_f32_e32 v1, v60, v1
	v_and_b32_e32 v2, 0x7f800000, v1
	v_cmp_ne_u32_e64 s[4:5], s27, v2
	s_and_saveexec_b64 s[24:25], s[4:5]
	s_xor_b64 s[4:5], exec, s[24:25]
; %bb.59:                               ;   in Loop: Header=BB351_10 Depth=1
	v_bfe_u32 v2, v1, 16, 1
	v_add3_u32 v1, v1, v2, s28
	v_accvgpr_write_b32 a48, v1
                                        ; implicit-def: $vgpr1
; %bb.60:                               ;   in Loop: Header=BB351_10 Depth=1
	s_andn2_saveexec_b64 s[24:25], s[4:5]
; %bb.61:                               ;   in Loop: Header=BB351_10 Depth=1
	v_or_b32_e32 v2, 0x10000, v1
	v_cmp_eq_u32_sdwa s[4:5], v1, v9 src0_sel:WORD_0 src1_sel:DWORD
	s_nop 1
	v_cndmask_b32_e64 v1, v2, v1, s[4:5]
	v_accvgpr_write_b32 a48, v1
; %bb.62:                               ;   in Loop: Header=BB351_10 Depth=1
	s_or_b64 exec, exec, s[24:25]
	v_lshrrev_b16_e32 v0, 8, v0
	v_cvt_f32_fp8_sdwa v0, v0 src0_sel:BYTE_0
                                        ; implicit-def: $agpr49
	s_nop 0
	v_mul_f32_e32 v0, v60, v0
	v_and_b32_e32 v1, 0x7f800000, v0
	v_cmp_ne_u32_e64 s[4:5], s27, v1
	s_and_saveexec_b64 s[24:25], s[4:5]
	s_xor_b64 s[4:5], exec, s[24:25]
; %bb.63:                               ;   in Loop: Header=BB351_10 Depth=1
	v_bfe_u32 v1, v0, 16, 1
	v_add3_u32 v0, v0, v1, s28
	v_accvgpr_write_b32 a49, v0
                                        ; implicit-def: $vgpr0
; %bb.64:                               ;   in Loop: Header=BB351_10 Depth=1
	s_andn2_saveexec_b64 s[24:25], s[4:5]
; %bb.65:                               ;   in Loop: Header=BB351_10 Depth=1
	v_or_b32_e32 v1, 0x10000, v0
	v_cmp_eq_u32_sdwa s[4:5], v0, v9 src0_sel:WORD_0 src1_sel:DWORD
	s_nop 1
	v_cndmask_b32_e64 v0, v1, v0, s[4:5]
	v_accvgpr_write_b32 a49, v0
; %bb.66:                               ;   in Loop: Header=BB351_10 Depth=1
	s_or_b64 exec, exec, s[24:25]
	flat_load_ushort v0, v[30:31] offset:776
                                        ; implicit-def: $vgpr11
	s_waitcnt vmcnt(0) lgkmcnt(0)
	v_and_b32_sdwa v1, s19, v0 dst_sel:DWORD dst_unused:UNUSED_PAD src0_sel:DWORD src1_sel:BYTE_0
	v_cvt_f32_fp8_sdwa v1, v1 src0_sel:BYTE_0
	s_nop 0
	v_mul_f32_e32 v1, v60, v1
	v_and_b32_e32 v2, 0x7f800000, v1
	v_cmp_ne_u32_e64 s[4:5], s27, v2
	s_and_saveexec_b64 s[24:25], s[4:5]
	s_xor_b64 s[4:5], exec, s[24:25]
; %bb.67:                               ;   in Loop: Header=BB351_10 Depth=1
	v_bfe_u32 v2, v1, 16, 1
	v_add3_u32 v11, v1, v2, s28
                                        ; implicit-def: $vgpr1
; %bb.68:                               ;   in Loop: Header=BB351_10 Depth=1
	s_andn2_saveexec_b64 s[24:25], s[4:5]
; %bb.69:                               ;   in Loop: Header=BB351_10 Depth=1
	v_or_b32_e32 v2, 0x10000, v1
	v_cmp_eq_u32_sdwa s[4:5], v1, v9 src0_sel:WORD_0 src1_sel:DWORD
	s_nop 1
	v_cndmask_b32_e64 v11, v2, v1, s[4:5]
; %bb.70:                               ;   in Loop: Header=BB351_10 Depth=1
	s_or_b64 exec, exec, s[24:25]
	v_lshrrev_b16_e32 v0, 8, v0
	v_cvt_f32_fp8_sdwa v0, v0 src0_sel:BYTE_0
                                        ; implicit-def: $vgpr10
	s_nop 0
	v_mul_f32_e32 v0, v60, v0
	v_and_b32_e32 v1, 0x7f800000, v0
	v_cmp_ne_u32_e64 s[4:5], s27, v1
	s_and_saveexec_b64 s[24:25], s[4:5]
	s_xor_b64 s[4:5], exec, s[24:25]
; %bb.71:                               ;   in Loop: Header=BB351_10 Depth=1
	v_bfe_u32 v1, v0, 16, 1
	v_add3_u32 v10, v0, v1, s28
                                        ; implicit-def: $vgpr0
; %bb.72:                               ;   in Loop: Header=BB351_10 Depth=1
	s_andn2_saveexec_b64 s[24:25], s[4:5]
; %bb.73:                               ;   in Loop: Header=BB351_10 Depth=1
	v_or_b32_e32 v1, 0x10000, v0
	v_cmp_eq_u32_sdwa s[4:5], v0, v9 src0_sel:WORD_0 src1_sel:DWORD
	s_nop 1
	v_cndmask_b32_e64 v10, v1, v0, s[4:5]
; %bb.74:                               ;   in Loop: Header=BB351_10 Depth=1
	s_or_b64 exec, exec, s[24:25]
	flat_load_ushort v0, v[30:31] offset:1024
	s_waitcnt vmcnt(0) lgkmcnt(0)
	v_and_b32_sdwa v1, s19, v0 dst_sel:DWORD dst_unused:UNUSED_PAD src0_sel:DWORD src1_sel:BYTE_0
	v_cvt_f32_fp8_sdwa v1, v1 src0_sel:BYTE_0
	s_nop 0
	v_mul_f32_e32 v2, v60, v1
	v_and_b32_e32 v1, 0x7f800000, v2
	v_cmp_ne_u32_e64 s[4:5], s27, v1
                                        ; implicit-def: $vgpr1
	s_and_saveexec_b64 s[24:25], s[4:5]
	s_xor_b64 s[4:5], exec, s[24:25]
; %bb.75:                               ;   in Loop: Header=BB351_10 Depth=1
	v_bfe_u32 v1, v2, 16, 1
	v_add3_u32 v1, v2, v1, s28
                                        ; implicit-def: $vgpr2
; %bb.76:                               ;   in Loop: Header=BB351_10 Depth=1
	s_andn2_saveexec_b64 s[24:25], s[4:5]
; %bb.77:                               ;   in Loop: Header=BB351_10 Depth=1
	v_or_b32_e32 v1, 0x10000, v2
	v_cmp_eq_u32_sdwa s[4:5], v2, v9 src0_sel:WORD_0 src1_sel:DWORD
	s_nop 1
	v_cndmask_b32_e64 v1, v1, v2, s[4:5]
; %bb.78:                               ;   in Loop: Header=BB351_10 Depth=1
	s_or_b64 exec, exec, s[24:25]
	v_lshrrev_b16_e32 v0, 8, v0
	v_cvt_f32_fp8_sdwa v0, v0 src0_sel:BYTE_0
	s_nop 0
	v_mul_f32_e32 v2, v60, v0
	v_and_b32_e32 v0, 0x7f800000, v2
	v_cmp_ne_u32_e64 s[4:5], s27, v0
                                        ; implicit-def: $vgpr0
	s_and_saveexec_b64 s[24:25], s[4:5]
	s_xor_b64 s[4:5], exec, s[24:25]
; %bb.79:                               ;   in Loop: Header=BB351_10 Depth=1
	v_bfe_u32 v0, v2, 16, 1
	v_add3_u32 v0, v2, v0, s28
                                        ; implicit-def: $vgpr2
; %bb.80:                               ;   in Loop: Header=BB351_10 Depth=1
	s_andn2_saveexec_b64 s[24:25], s[4:5]
; %bb.81:                               ;   in Loop: Header=BB351_10 Depth=1
	v_or_b32_e32 v0, 0x10000, v2
	v_cmp_eq_u32_sdwa s[4:5], v2, v9 src0_sel:WORD_0 src1_sel:DWORD
	s_nop 1
	v_cndmask_b32_e64 v0, v0, v2, s[4:5]
; %bb.82:                               ;   in Loop: Header=BB351_10 Depth=1
	s_or_b64 exec, exec, s[24:25]
	flat_load_ushort v2, v[30:31] offset:1032
	s_waitcnt vmcnt(0) lgkmcnt(0)
	v_and_b32_sdwa v3, s19, v2 dst_sel:DWORD dst_unused:UNUSED_PAD src0_sel:DWORD src1_sel:BYTE_0
	v_cvt_f32_fp8_sdwa v3, v3 src0_sel:BYTE_0
	s_nop 0
	v_mul_f32_e32 v4, v60, v3
	v_and_b32_e32 v3, 0x7f800000, v4
	v_cmp_ne_u32_e64 s[4:5], s27, v3
                                        ; implicit-def: $vgpr3
	s_and_saveexec_b64 s[24:25], s[4:5]
	s_xor_b64 s[4:5], exec, s[24:25]
; %bb.83:                               ;   in Loop: Header=BB351_10 Depth=1
	v_bfe_u32 v3, v4, 16, 1
	v_add3_u32 v3, v4, v3, s28
                                        ; implicit-def: $vgpr4
; %bb.84:                               ;   in Loop: Header=BB351_10 Depth=1
	s_andn2_saveexec_b64 s[24:25], s[4:5]
; %bb.85:                               ;   in Loop: Header=BB351_10 Depth=1
	v_or_b32_e32 v3, 0x10000, v4
	v_cmp_eq_u32_sdwa s[4:5], v4, v9 src0_sel:WORD_0 src1_sel:DWORD
	s_nop 1
	v_cndmask_b32_e64 v3, v3, v4, s[4:5]
; %bb.86:                               ;   in Loop: Header=BB351_10 Depth=1
	s_or_b64 exec, exec, s[24:25]
	v_lshrrev_b16_e32 v2, 8, v2
	v_cvt_f32_fp8_sdwa v2, v2 src0_sel:BYTE_0
	s_nop 0
	v_mul_f32_e32 v4, v60, v2
	v_and_b32_e32 v2, 0x7f800000, v4
	v_cmp_ne_u32_e64 s[4:5], s27, v2
                                        ; implicit-def: $vgpr2
	s_and_saveexec_b64 s[24:25], s[4:5]
	s_xor_b64 s[4:5], exec, s[24:25]
; %bb.87:                               ;   in Loop: Header=BB351_10 Depth=1
	v_bfe_u32 v2, v4, 16, 1
	v_add3_u32 v2, v4, v2, s28
                                        ; implicit-def: $vgpr4
; %bb.88:                               ;   in Loop: Header=BB351_10 Depth=1
	s_andn2_saveexec_b64 s[24:25], s[4:5]
; %bb.89:                               ;   in Loop: Header=BB351_10 Depth=1
	v_or_b32_e32 v2, 0x10000, v4
	v_cmp_eq_u32_sdwa s[4:5], v4, v9 src0_sel:WORD_0 src1_sel:DWORD
	s_nop 1
	v_cndmask_b32_e64 v2, v2, v4, s[4:5]
; %bb.90:                               ;   in Loop: Header=BB351_10 Depth=1
	s_or_b64 exec, exec, s[24:25]
	flat_load_ushort v4, v[30:31] offset:1280
                                        ; implicit-def: $vgpr15
	s_waitcnt vmcnt(0) lgkmcnt(0)
	v_and_b32_sdwa v5, s19, v4 dst_sel:DWORD dst_unused:UNUSED_PAD src0_sel:DWORD src1_sel:BYTE_0
	v_cvt_f32_fp8_sdwa v5, v5 src0_sel:BYTE_0
	s_nop 0
	v_mul_f32_e32 v5, v60, v5
	v_and_b32_e32 v6, 0x7f800000, v5
	v_cmp_ne_u32_e64 s[4:5], s27, v6
	s_and_saveexec_b64 s[24:25], s[4:5]
	s_xor_b64 s[4:5], exec, s[24:25]
; %bb.91:                               ;   in Loop: Header=BB351_10 Depth=1
	v_bfe_u32 v6, v5, 16, 1
	v_add3_u32 v15, v5, v6, s28
                                        ; implicit-def: $vgpr5
; %bb.92:                               ;   in Loop: Header=BB351_10 Depth=1
	s_andn2_saveexec_b64 s[24:25], s[4:5]
; %bb.93:                               ;   in Loop: Header=BB351_10 Depth=1
	v_or_b32_e32 v6, 0x10000, v5
	v_cmp_eq_u32_sdwa s[4:5], v5, v9 src0_sel:WORD_0 src1_sel:DWORD
	s_nop 1
	v_cndmask_b32_e64 v15, v6, v5, s[4:5]
; %bb.94:                               ;   in Loop: Header=BB351_10 Depth=1
	s_or_b64 exec, exec, s[24:25]
	v_lshrrev_b16_e32 v4, 8, v4
	v_cvt_f32_fp8_sdwa v4, v4 src0_sel:BYTE_0
                                        ; implicit-def: $vgpr22
	s_nop 0
	v_mul_f32_e32 v4, v60, v4
	v_and_b32_e32 v5, 0x7f800000, v4
	v_cmp_ne_u32_e64 s[4:5], s27, v5
	s_and_saveexec_b64 s[24:25], s[4:5]
	s_xor_b64 s[4:5], exec, s[24:25]
; %bb.95:                               ;   in Loop: Header=BB351_10 Depth=1
	v_bfe_u32 v5, v4, 16, 1
	v_add3_u32 v22, v4, v5, s28
                                        ; implicit-def: $vgpr4
; %bb.96:                               ;   in Loop: Header=BB351_10 Depth=1
	s_andn2_saveexec_b64 s[24:25], s[4:5]
; %bb.97:                               ;   in Loop: Header=BB351_10 Depth=1
	v_or_b32_e32 v5, 0x10000, v4
	v_cmp_eq_u32_sdwa s[4:5], v4, v9 src0_sel:WORD_0 src1_sel:DWORD
	s_nop 1
	v_cndmask_b32_e64 v22, v5, v4, s[4:5]
; %bb.98:                               ;   in Loop: Header=BB351_10 Depth=1
	s_or_b64 exec, exec, s[24:25]
	flat_load_ushort v4, v[30:31] offset:1288
                                        ; implicit-def: $vgpr14
	s_waitcnt vmcnt(0) lgkmcnt(0)
	v_and_b32_sdwa v5, s19, v4 dst_sel:DWORD dst_unused:UNUSED_PAD src0_sel:DWORD src1_sel:BYTE_0
	v_cvt_f32_fp8_sdwa v5, v5 src0_sel:BYTE_0
	s_nop 0
	v_mul_f32_e32 v5, v60, v5
	v_and_b32_e32 v6, 0x7f800000, v5
	v_cmp_ne_u32_e64 s[4:5], s27, v6
	s_and_saveexec_b64 s[24:25], s[4:5]
	s_xor_b64 s[4:5], exec, s[24:25]
; %bb.99:                               ;   in Loop: Header=BB351_10 Depth=1
	v_bfe_u32 v6, v5, 16, 1
	v_add3_u32 v14, v5, v6, s28
                                        ; implicit-def: $vgpr5
; %bb.100:                              ;   in Loop: Header=BB351_10 Depth=1
	s_andn2_saveexec_b64 s[24:25], s[4:5]
; %bb.101:                              ;   in Loop: Header=BB351_10 Depth=1
	v_or_b32_e32 v6, 0x10000, v5
	v_cmp_eq_u32_sdwa s[4:5], v5, v9 src0_sel:WORD_0 src1_sel:DWORD
	s_nop 1
	v_cndmask_b32_e64 v14, v6, v5, s[4:5]
; %bb.102:                              ;   in Loop: Header=BB351_10 Depth=1
	s_or_b64 exec, exec, s[24:25]
	v_lshrrev_b16_e32 v4, 8, v4
	v_cvt_f32_fp8_sdwa v4, v4 src0_sel:BYTE_0
                                        ; implicit-def: $vgpr23
	s_nop 0
	v_mul_f32_e32 v4, v60, v4
	v_and_b32_e32 v5, 0x7f800000, v4
	v_cmp_ne_u32_e64 s[4:5], s27, v5
	s_and_saveexec_b64 s[24:25], s[4:5]
	s_xor_b64 s[4:5], exec, s[24:25]
; %bb.103:                              ;   in Loop: Header=BB351_10 Depth=1
	v_bfe_u32 v5, v4, 16, 1
	v_add3_u32 v23, v4, v5, s28
                                        ; implicit-def: $vgpr4
; %bb.104:                              ;   in Loop: Header=BB351_10 Depth=1
	s_andn2_saveexec_b64 s[24:25], s[4:5]
; %bb.105:                              ;   in Loop: Header=BB351_10 Depth=1
	v_or_b32_e32 v5, 0x10000, v4
	v_cmp_eq_u32_sdwa s[4:5], v4, v9 src0_sel:WORD_0 src1_sel:DWORD
	s_nop 1
	v_cndmask_b32_e64 v23, v5, v4, s[4:5]
; %bb.106:                              ;   in Loop: Header=BB351_10 Depth=1
	s_or_b64 exec, exec, s[24:25]
	flat_load_ushort v4, v[30:31] offset:1536
                                        ; implicit-def: $vgpr32
	s_waitcnt vmcnt(0) lgkmcnt(0)
	v_and_b32_sdwa v5, s19, v4 dst_sel:DWORD dst_unused:UNUSED_PAD src0_sel:DWORD src1_sel:BYTE_0
	v_cvt_f32_fp8_sdwa v5, v5 src0_sel:BYTE_0
	s_nop 0
	v_mul_f32_e32 v5, v60, v5
	v_and_b32_e32 v6, 0x7f800000, v5
	v_cmp_ne_u32_e64 s[4:5], s27, v6
	s_and_saveexec_b64 s[24:25], s[4:5]
	s_xor_b64 s[4:5], exec, s[24:25]
; %bb.107:                              ;   in Loop: Header=BB351_10 Depth=1
	v_bfe_u32 v6, v5, 16, 1
	v_add3_u32 v32, v5, v6, s28
                                        ; implicit-def: $vgpr5
; %bb.108:                              ;   in Loop: Header=BB351_10 Depth=1
	s_andn2_saveexec_b64 s[24:25], s[4:5]
; %bb.109:                              ;   in Loop: Header=BB351_10 Depth=1
	v_or_b32_e32 v6, 0x10000, v5
	v_cmp_eq_u32_sdwa s[4:5], v5, v9 src0_sel:WORD_0 src1_sel:DWORD
	s_nop 1
	v_cndmask_b32_e64 v32, v6, v5, s[4:5]
; %bb.110:                              ;   in Loop: Header=BB351_10 Depth=1
	s_or_b64 exec, exec, s[24:25]
	v_lshrrev_b16_e32 v4, 8, v4
	v_cvt_f32_fp8_sdwa v4, v4 src0_sel:BYTE_0
                                        ; implicit-def: $vgpr34
	s_nop 0
	v_mul_f32_e32 v4, v60, v4
	v_and_b32_e32 v5, 0x7f800000, v4
	v_cmp_ne_u32_e64 s[4:5], s27, v5
	s_and_saveexec_b64 s[24:25], s[4:5]
	s_xor_b64 s[4:5], exec, s[24:25]
; %bb.111:                              ;   in Loop: Header=BB351_10 Depth=1
	v_bfe_u32 v5, v4, 16, 1
	v_add3_u32 v34, v4, v5, s28
                                        ; implicit-def: $vgpr4
; %bb.112:                              ;   in Loop: Header=BB351_10 Depth=1
	s_andn2_saveexec_b64 s[24:25], s[4:5]
; %bb.113:                              ;   in Loop: Header=BB351_10 Depth=1
	v_or_b32_e32 v5, 0x10000, v4
	v_cmp_eq_u32_sdwa s[4:5], v4, v9 src0_sel:WORD_0 src1_sel:DWORD
	s_nop 1
	v_cndmask_b32_e64 v34, v5, v4, s[4:5]
; %bb.114:                              ;   in Loop: Header=BB351_10 Depth=1
	s_or_b64 exec, exec, s[24:25]
	flat_load_ushort v4, v[30:31] offset:1544
                                        ; implicit-def: $vgpr35
	s_waitcnt vmcnt(0) lgkmcnt(0)
	v_and_b32_sdwa v5, s19, v4 dst_sel:DWORD dst_unused:UNUSED_PAD src0_sel:DWORD src1_sel:BYTE_0
	v_cvt_f32_fp8_sdwa v5, v5 src0_sel:BYTE_0
	s_nop 0
	v_mul_f32_e32 v5, v60, v5
	v_and_b32_e32 v6, 0x7f800000, v5
	v_cmp_ne_u32_e64 s[4:5], s27, v6
	s_and_saveexec_b64 s[24:25], s[4:5]
	s_xor_b64 s[4:5], exec, s[24:25]
; %bb.115:                              ;   in Loop: Header=BB351_10 Depth=1
	v_bfe_u32 v6, v5, 16, 1
	v_add3_u32 v35, v5, v6, s28
                                        ; implicit-def: $vgpr5
; %bb.116:                              ;   in Loop: Header=BB351_10 Depth=1
	s_andn2_saveexec_b64 s[24:25], s[4:5]
; %bb.117:                              ;   in Loop: Header=BB351_10 Depth=1
	v_or_b32_e32 v6, 0x10000, v5
	v_cmp_eq_u32_sdwa s[4:5], v5, v9 src0_sel:WORD_0 src1_sel:DWORD
	s_nop 1
	v_cndmask_b32_e64 v35, v6, v5, s[4:5]
; %bb.118:                              ;   in Loop: Header=BB351_10 Depth=1
	s_or_b64 exec, exec, s[24:25]
	v_lshrrev_b16_e32 v4, 8, v4
	v_cvt_f32_fp8_sdwa v4, v4 src0_sel:BYTE_0
                                        ; implicit-def: $vgpr38
	s_nop 0
	v_mul_f32_e32 v4, v60, v4
	v_and_b32_e32 v5, 0x7f800000, v4
	v_cmp_ne_u32_e64 s[4:5], s27, v5
	s_and_saveexec_b64 s[24:25], s[4:5]
	s_xor_b64 s[4:5], exec, s[24:25]
; %bb.119:                              ;   in Loop: Header=BB351_10 Depth=1
	v_bfe_u32 v5, v4, 16, 1
	v_add3_u32 v38, v4, v5, s28
                                        ; implicit-def: $vgpr4
; %bb.120:                              ;   in Loop: Header=BB351_10 Depth=1
	s_andn2_saveexec_b64 s[24:25], s[4:5]
; %bb.121:                              ;   in Loop: Header=BB351_10 Depth=1
	v_or_b32_e32 v5, 0x10000, v4
	v_cmp_eq_u32_sdwa s[4:5], v4, v9 src0_sel:WORD_0 src1_sel:DWORD
	s_nop 1
	v_cndmask_b32_e64 v38, v5, v4, s[4:5]
; %bb.122:                              ;   in Loop: Header=BB351_10 Depth=1
	s_or_b64 exec, exec, s[24:25]
	flat_load_ushort v4, v[30:31] offset:1792
                                        ; implicit-def: $vgpr39
	s_waitcnt vmcnt(0) lgkmcnt(0)
	v_and_b32_sdwa v5, s19, v4 dst_sel:DWORD dst_unused:UNUSED_PAD src0_sel:DWORD src1_sel:BYTE_0
	v_cvt_f32_fp8_sdwa v5, v5 src0_sel:BYTE_0
	s_nop 0
	v_mul_f32_e32 v5, v60, v5
	v_and_b32_e32 v6, 0x7f800000, v5
	v_cmp_ne_u32_e64 s[4:5], s27, v6
	s_and_saveexec_b64 s[24:25], s[4:5]
	s_xor_b64 s[4:5], exec, s[24:25]
; %bb.123:                              ;   in Loop: Header=BB351_10 Depth=1
	v_bfe_u32 v6, v5, 16, 1
	v_add3_u32 v39, v5, v6, s28
                                        ; implicit-def: $vgpr5
; %bb.124:                              ;   in Loop: Header=BB351_10 Depth=1
	s_andn2_saveexec_b64 s[24:25], s[4:5]
; %bb.125:                              ;   in Loop: Header=BB351_10 Depth=1
	v_or_b32_e32 v6, 0x10000, v5
	v_cmp_eq_u32_sdwa s[4:5], v5, v9 src0_sel:WORD_0 src1_sel:DWORD
	s_nop 1
	v_cndmask_b32_e64 v39, v6, v5, s[4:5]
; %bb.126:                              ;   in Loop: Header=BB351_10 Depth=1
	s_or_b64 exec, exec, s[24:25]
	v_lshrrev_b16_e32 v4, 8, v4
	v_cvt_f32_fp8_sdwa v4, v4 src0_sel:BYTE_0
                                        ; implicit-def: $vgpr48
	s_nop 0
	v_mul_f32_e32 v4, v60, v4
	v_and_b32_e32 v5, 0x7f800000, v4
	v_cmp_ne_u32_e64 s[4:5], s27, v5
	s_and_saveexec_b64 s[24:25], s[4:5]
	s_xor_b64 s[4:5], exec, s[24:25]
; %bb.127:                              ;   in Loop: Header=BB351_10 Depth=1
	v_bfe_u32 v5, v4, 16, 1
	v_add3_u32 v48, v4, v5, s28
                                        ; implicit-def: $vgpr4
; %bb.128:                              ;   in Loop: Header=BB351_10 Depth=1
	s_andn2_saveexec_b64 s[24:25], s[4:5]
; %bb.129:                              ;   in Loop: Header=BB351_10 Depth=1
	v_or_b32_e32 v5, 0x10000, v4
	v_cmp_eq_u32_sdwa s[4:5], v4, v9 src0_sel:WORD_0 src1_sel:DWORD
	s_nop 1
	v_cndmask_b32_e64 v48, v5, v4, s[4:5]
; %bb.130:                              ;   in Loop: Header=BB351_10 Depth=1
	s_or_b64 exec, exec, s[24:25]
	flat_load_ushort v4, v[30:31] offset:1800
                                        ; implicit-def: $vgpr49
	s_waitcnt vmcnt(0) lgkmcnt(0)
	v_and_b32_sdwa v5, s19, v4 dst_sel:DWORD dst_unused:UNUSED_PAD src0_sel:DWORD src1_sel:BYTE_0
	v_cvt_f32_fp8_sdwa v5, v5 src0_sel:BYTE_0
	s_nop 0
	v_mul_f32_e32 v5, v60, v5
	v_and_b32_e32 v6, 0x7f800000, v5
	v_cmp_ne_u32_e64 s[4:5], s27, v6
	s_and_saveexec_b64 s[24:25], s[4:5]
	s_xor_b64 s[4:5], exec, s[24:25]
; %bb.131:                              ;   in Loop: Header=BB351_10 Depth=1
	v_bfe_u32 v6, v5, 16, 1
	v_add3_u32 v49, v5, v6, s28
                                        ; implicit-def: $vgpr5
; %bb.132:                              ;   in Loop: Header=BB351_10 Depth=1
	s_andn2_saveexec_b64 s[24:25], s[4:5]
; %bb.133:                              ;   in Loop: Header=BB351_10 Depth=1
	v_or_b32_e32 v6, 0x10000, v5
	v_cmp_eq_u32_sdwa s[4:5], v5, v9 src0_sel:WORD_0 src1_sel:DWORD
	s_nop 1
	v_cndmask_b32_e64 v49, v6, v5, s[4:5]
; %bb.134:                              ;   in Loop: Header=BB351_10 Depth=1
	s_or_b64 exec, exec, s[24:25]
	v_lshrrev_b16_e32 v4, 8, v4
	v_cvt_f32_fp8_sdwa v4, v4 src0_sel:BYTE_0
                                        ; implicit-def: $vgpr50
	s_nop 0
	v_mul_f32_e32 v4, v60, v4
	v_and_b32_e32 v5, 0x7f800000, v4
	v_cmp_ne_u32_e64 s[4:5], s27, v5
	s_and_saveexec_b64 s[24:25], s[4:5]
	s_xor_b64 s[4:5], exec, s[24:25]
; %bb.135:                              ;   in Loop: Header=BB351_10 Depth=1
	v_bfe_u32 v5, v4, 16, 1
	v_add3_u32 v50, v4, v5, s28
                                        ; implicit-def: $vgpr4
; %bb.136:                              ;   in Loop: Header=BB351_10 Depth=1
	s_andn2_saveexec_b64 s[24:25], s[4:5]
; %bb.137:                              ;   in Loop: Header=BB351_10 Depth=1
	v_or_b32_e32 v5, 0x10000, v4
	v_cmp_eq_u32_sdwa s[4:5], v4, v9 src0_sel:WORD_0 src1_sel:DWORD
	s_nop 1
	v_cndmask_b32_e64 v50, v5, v4, s[4:5]
; %bb.138:                              ;   in Loop: Header=BB351_10 Depth=1
	s_or_b64 exec, exec, s[24:25]
	flat_load_ushort v4, v[30:31] offset:2048
                                        ; implicit-def: $vgpr51
	s_waitcnt vmcnt(0) lgkmcnt(0)
	v_and_b32_sdwa v5, s19, v4 dst_sel:DWORD dst_unused:UNUSED_PAD src0_sel:DWORD src1_sel:BYTE_0
	v_cvt_f32_fp8_sdwa v5, v5 src0_sel:BYTE_0
	s_nop 0
	v_mul_f32_e32 v5, v60, v5
	v_and_b32_e32 v6, 0x7f800000, v5
	v_cmp_ne_u32_e64 s[4:5], s27, v6
	s_and_saveexec_b64 s[24:25], s[4:5]
	s_xor_b64 s[4:5], exec, s[24:25]
; %bb.139:                              ;   in Loop: Header=BB351_10 Depth=1
	v_bfe_u32 v6, v5, 16, 1
	v_add3_u32 v51, v5, v6, s28
                                        ; implicit-def: $vgpr5
; %bb.140:                              ;   in Loop: Header=BB351_10 Depth=1
	s_andn2_saveexec_b64 s[24:25], s[4:5]
; %bb.141:                              ;   in Loop: Header=BB351_10 Depth=1
	v_or_b32_e32 v6, 0x10000, v5
	v_cmp_eq_u32_sdwa s[4:5], v5, v9 src0_sel:WORD_0 src1_sel:DWORD
	s_nop 1
	v_cndmask_b32_e64 v51, v6, v5, s[4:5]
; %bb.142:                              ;   in Loop: Header=BB351_10 Depth=1
	s_or_b64 exec, exec, s[24:25]
	v_lshrrev_b16_e32 v4, 8, v4
	v_cvt_f32_fp8_sdwa v4, v4 src0_sel:BYTE_0
                                        ; implicit-def: $vgpr52
	s_nop 0
	v_mul_f32_e32 v4, v60, v4
	v_and_b32_e32 v5, 0x7f800000, v4
	v_cmp_ne_u32_e64 s[4:5], s27, v5
	s_and_saveexec_b64 s[24:25], s[4:5]
	s_xor_b64 s[4:5], exec, s[24:25]
; %bb.143:                              ;   in Loop: Header=BB351_10 Depth=1
	v_bfe_u32 v5, v4, 16, 1
	v_add3_u32 v52, v4, v5, s28
                                        ; implicit-def: $vgpr4
; %bb.144:                              ;   in Loop: Header=BB351_10 Depth=1
	s_andn2_saveexec_b64 s[24:25], s[4:5]
; %bb.145:                              ;   in Loop: Header=BB351_10 Depth=1
	v_or_b32_e32 v5, 0x10000, v4
	v_cmp_eq_u32_sdwa s[4:5], v4, v9 src0_sel:WORD_0 src1_sel:DWORD
	s_nop 1
	v_cndmask_b32_e64 v52, v5, v4, s[4:5]
; %bb.146:                              ;   in Loop: Header=BB351_10 Depth=1
	s_or_b64 exec, exec, s[24:25]
	flat_load_ushort v4, v[30:31] offset:2056
                                        ; implicit-def: $vgpr53
	s_waitcnt vmcnt(0) lgkmcnt(0)
	v_and_b32_sdwa v5, s19, v4 dst_sel:DWORD dst_unused:UNUSED_PAD src0_sel:DWORD src1_sel:BYTE_0
	v_cvt_f32_fp8_sdwa v5, v5 src0_sel:BYTE_0
	s_nop 0
	v_mul_f32_e32 v5, v60, v5
	v_and_b32_e32 v6, 0x7f800000, v5
	v_cmp_ne_u32_e64 s[4:5], s27, v6
	s_and_saveexec_b64 s[24:25], s[4:5]
	s_xor_b64 s[4:5], exec, s[24:25]
; %bb.147:                              ;   in Loop: Header=BB351_10 Depth=1
	v_bfe_u32 v6, v5, 16, 1
	v_add3_u32 v53, v5, v6, s28
                                        ; implicit-def: $vgpr5
; %bb.148:                              ;   in Loop: Header=BB351_10 Depth=1
	s_andn2_saveexec_b64 s[24:25], s[4:5]
; %bb.149:                              ;   in Loop: Header=BB351_10 Depth=1
	v_or_b32_e32 v6, 0x10000, v5
	v_cmp_eq_u32_sdwa s[4:5], v5, v9 src0_sel:WORD_0 src1_sel:DWORD
	s_nop 1
	v_cndmask_b32_e64 v53, v6, v5, s[4:5]
; %bb.150:                              ;   in Loop: Header=BB351_10 Depth=1
	s_or_b64 exec, exec, s[24:25]
	v_lshrrev_b16_e32 v4, 8, v4
	v_cvt_f32_fp8_sdwa v4, v4 src0_sel:BYTE_0
                                        ; implicit-def: $vgpr54
	s_nop 0
	v_mul_f32_e32 v4, v60, v4
	v_and_b32_e32 v5, 0x7f800000, v4
	v_cmp_ne_u32_e64 s[4:5], s27, v5
	s_and_saveexec_b64 s[24:25], s[4:5]
	s_xor_b64 s[4:5], exec, s[24:25]
; %bb.151:                              ;   in Loop: Header=BB351_10 Depth=1
	v_bfe_u32 v5, v4, 16, 1
	v_add3_u32 v54, v4, v5, s28
                                        ; implicit-def: $vgpr4
; %bb.152:                              ;   in Loop: Header=BB351_10 Depth=1
	s_andn2_saveexec_b64 s[24:25], s[4:5]
; %bb.153:                              ;   in Loop: Header=BB351_10 Depth=1
	v_or_b32_e32 v5, 0x10000, v4
	v_cmp_eq_u32_sdwa s[4:5], v4, v9 src0_sel:WORD_0 src1_sel:DWORD
	s_nop 1
	v_cndmask_b32_e64 v54, v5, v4, s[4:5]
; %bb.154:                              ;   in Loop: Header=BB351_10 Depth=1
	s_or_b64 exec, exec, s[24:25]
	flat_load_ushort v4, v[30:31] offset:2304
                                        ; implicit-def: $vgpr55
	s_waitcnt vmcnt(0) lgkmcnt(0)
	v_and_b32_sdwa v5, s19, v4 dst_sel:DWORD dst_unused:UNUSED_PAD src0_sel:DWORD src1_sel:BYTE_0
	v_cvt_f32_fp8_sdwa v5, v5 src0_sel:BYTE_0
	s_nop 0
	v_mul_f32_e32 v5, v60, v5
	v_and_b32_e32 v6, 0x7f800000, v5
	v_cmp_ne_u32_e64 s[4:5], s27, v6
	s_and_saveexec_b64 s[24:25], s[4:5]
	s_xor_b64 s[4:5], exec, s[24:25]
; %bb.155:                              ;   in Loop: Header=BB351_10 Depth=1
	v_bfe_u32 v6, v5, 16, 1
	v_add3_u32 v55, v5, v6, s28
                                        ; implicit-def: $vgpr5
; %bb.156:                              ;   in Loop: Header=BB351_10 Depth=1
	s_andn2_saveexec_b64 s[24:25], s[4:5]
; %bb.157:                              ;   in Loop: Header=BB351_10 Depth=1
	v_or_b32_e32 v6, 0x10000, v5
	v_cmp_eq_u32_sdwa s[4:5], v5, v9 src0_sel:WORD_0 src1_sel:DWORD
	s_nop 1
	v_cndmask_b32_e64 v55, v6, v5, s[4:5]
; %bb.158:                              ;   in Loop: Header=BB351_10 Depth=1
	s_or_b64 exec, exec, s[24:25]
	v_lshrrev_b16_e32 v4, 8, v4
	v_cvt_f32_fp8_sdwa v4, v4 src0_sel:BYTE_0
                                        ; implicit-def: $vgpr40
	s_nop 0
	v_mul_f32_e32 v4, v60, v4
	v_and_b32_e32 v5, 0x7f800000, v4
	v_cmp_ne_u32_e64 s[4:5], s27, v5
	s_and_saveexec_b64 s[24:25], s[4:5]
	s_xor_b64 s[4:5], exec, s[24:25]
; %bb.159:                              ;   in Loop: Header=BB351_10 Depth=1
	v_bfe_u32 v5, v4, 16, 1
	v_add3_u32 v40, v4, v5, s28
                                        ; implicit-def: $vgpr4
; %bb.160:                              ;   in Loop: Header=BB351_10 Depth=1
	s_andn2_saveexec_b64 s[24:25], s[4:5]
; %bb.161:                              ;   in Loop: Header=BB351_10 Depth=1
	v_or_b32_e32 v5, 0x10000, v4
	v_cmp_eq_u32_sdwa s[4:5], v4, v9 src0_sel:WORD_0 src1_sel:DWORD
	s_nop 1
	v_cndmask_b32_e64 v40, v5, v4, s[4:5]
; %bb.162:                              ;   in Loop: Header=BB351_10 Depth=1
	s_or_b64 exec, exec, s[24:25]
	flat_load_ushort v4, v[30:31] offset:2312
                                        ; implicit-def: $vgpr41
	s_waitcnt vmcnt(0) lgkmcnt(0)
	v_and_b32_sdwa v5, s19, v4 dst_sel:DWORD dst_unused:UNUSED_PAD src0_sel:DWORD src1_sel:BYTE_0
	v_cvt_f32_fp8_sdwa v5, v5 src0_sel:BYTE_0
	s_nop 0
	v_mul_f32_e32 v5, v60, v5
	v_and_b32_e32 v6, 0x7f800000, v5
	v_cmp_ne_u32_e64 s[4:5], s27, v6
	s_and_saveexec_b64 s[24:25], s[4:5]
	s_xor_b64 s[4:5], exec, s[24:25]
; %bb.163:                              ;   in Loop: Header=BB351_10 Depth=1
	v_bfe_u32 v6, v5, 16, 1
	v_add3_u32 v41, v5, v6, s28
                                        ; implicit-def: $vgpr5
; %bb.164:                              ;   in Loop: Header=BB351_10 Depth=1
	s_andn2_saveexec_b64 s[24:25], s[4:5]
; %bb.165:                              ;   in Loop: Header=BB351_10 Depth=1
	v_or_b32_e32 v6, 0x10000, v5
	v_cmp_eq_u32_sdwa s[4:5], v5, v9 src0_sel:WORD_0 src1_sel:DWORD
	s_nop 1
	v_cndmask_b32_e64 v41, v6, v5, s[4:5]
; %bb.166:                              ;   in Loop: Header=BB351_10 Depth=1
	s_or_b64 exec, exec, s[24:25]
	v_lshrrev_b16_e32 v4, 8, v4
	v_cvt_f32_fp8_sdwa v4, v4 src0_sel:BYTE_0
                                        ; implicit-def: $vgpr42
	s_nop 0
	v_mul_f32_e32 v4, v60, v4
	v_and_b32_e32 v5, 0x7f800000, v4
	v_cmp_ne_u32_e64 s[4:5], s27, v5
	s_and_saveexec_b64 s[24:25], s[4:5]
	s_xor_b64 s[4:5], exec, s[24:25]
; %bb.167:                              ;   in Loop: Header=BB351_10 Depth=1
	v_bfe_u32 v5, v4, 16, 1
	v_add3_u32 v42, v4, v5, s28
                                        ; implicit-def: $vgpr4
; %bb.168:                              ;   in Loop: Header=BB351_10 Depth=1
	s_andn2_saveexec_b64 s[24:25], s[4:5]
; %bb.169:                              ;   in Loop: Header=BB351_10 Depth=1
	v_or_b32_e32 v5, 0x10000, v4
	v_cmp_eq_u32_sdwa s[4:5], v4, v9 src0_sel:WORD_0 src1_sel:DWORD
	s_nop 1
	v_cndmask_b32_e64 v42, v5, v4, s[4:5]
; %bb.170:                              ;   in Loop: Header=BB351_10 Depth=1
	s_or_b64 exec, exec, s[24:25]
	flat_load_ushort v4, v[30:31] offset:2560
                                        ; implicit-def: $vgpr44
	s_waitcnt vmcnt(0) lgkmcnt(0)
	v_and_b32_sdwa v5, s19, v4 dst_sel:DWORD dst_unused:UNUSED_PAD src0_sel:DWORD src1_sel:BYTE_0
	v_cvt_f32_fp8_sdwa v5, v5 src0_sel:BYTE_0
	s_nop 0
	v_mul_f32_e32 v5, v60, v5
	v_and_b32_e32 v6, 0x7f800000, v5
	v_cmp_ne_u32_e64 s[4:5], s27, v6
	s_and_saveexec_b64 s[24:25], s[4:5]
	s_xor_b64 s[4:5], exec, s[24:25]
; %bb.171:                              ;   in Loop: Header=BB351_10 Depth=1
	v_bfe_u32 v6, v5, 16, 1
	v_add3_u32 v44, v5, v6, s28
                                        ; implicit-def: $vgpr5
; %bb.172:                              ;   in Loop: Header=BB351_10 Depth=1
	s_andn2_saveexec_b64 s[24:25], s[4:5]
; %bb.173:                              ;   in Loop: Header=BB351_10 Depth=1
	v_or_b32_e32 v6, 0x10000, v5
	v_cmp_eq_u32_sdwa s[4:5], v5, v9 src0_sel:WORD_0 src1_sel:DWORD
	s_nop 1
	v_cndmask_b32_e64 v44, v6, v5, s[4:5]
; %bb.174:                              ;   in Loop: Header=BB351_10 Depth=1
	s_or_b64 exec, exec, s[24:25]
	v_lshrrev_b16_e32 v4, 8, v4
	v_cvt_f32_fp8_sdwa v4, v4 src0_sel:BYTE_0
                                        ; implicit-def: $vgpr45
	s_nop 0
	v_mul_f32_e32 v4, v60, v4
	v_and_b32_e32 v5, 0x7f800000, v4
	v_cmp_ne_u32_e64 s[4:5], s27, v5
	s_and_saveexec_b64 s[24:25], s[4:5]
	s_xor_b64 s[4:5], exec, s[24:25]
; %bb.175:                              ;   in Loop: Header=BB351_10 Depth=1
	v_bfe_u32 v5, v4, 16, 1
	v_add3_u32 v45, v4, v5, s28
                                        ; implicit-def: $vgpr4
; %bb.176:                              ;   in Loop: Header=BB351_10 Depth=1
	s_andn2_saveexec_b64 s[24:25], s[4:5]
; %bb.177:                              ;   in Loop: Header=BB351_10 Depth=1
	v_or_b32_e32 v5, 0x10000, v4
	v_cmp_eq_u32_sdwa s[4:5], v4, v9 src0_sel:WORD_0 src1_sel:DWORD
	s_nop 1
	v_cndmask_b32_e64 v45, v5, v4, s[4:5]
; %bb.178:                              ;   in Loop: Header=BB351_10 Depth=1
	s_or_b64 exec, exec, s[24:25]
	flat_load_ushort v5, v[30:31] offset:2568
	s_waitcnt vmcnt(0) lgkmcnt(0)
	v_and_b32_sdwa v4, s19, v5 dst_sel:DWORD dst_unused:UNUSED_PAD src0_sel:DWORD src1_sel:BYTE_0
	v_cvt_f32_fp8_sdwa v4, v4 src0_sel:BYTE_0
	s_nop 0
	v_mul_f32_e32 v6, v60, v4
	v_and_b32_e32 v4, 0x7f800000, v6
	v_cmp_ne_u32_e64 s[4:5], s27, v4
                                        ; implicit-def: $vgpr4
	s_and_saveexec_b64 s[24:25], s[4:5]
	s_xor_b64 s[4:5], exec, s[24:25]
; %bb.179:                              ;   in Loop: Header=BB351_10 Depth=1
	v_bfe_u32 v4, v6, 16, 1
	v_add3_u32 v4, v6, v4, s28
                                        ; implicit-def: $vgpr6
; %bb.180:                              ;   in Loop: Header=BB351_10 Depth=1
	s_andn2_saveexec_b64 s[24:25], s[4:5]
; %bb.181:                              ;   in Loop: Header=BB351_10 Depth=1
	v_or_b32_e32 v4, 0x10000, v6
	v_cmp_eq_u32_sdwa s[4:5], v6, v9 src0_sel:WORD_0 src1_sel:DWORD
	s_nop 1
	v_cndmask_b32_e64 v4, v4, v6, s[4:5]
; %bb.182:                              ;   in Loop: Header=BB351_10 Depth=1
	s_or_b64 exec, exec, s[24:25]
	v_lshrrev_b16_e32 v5, 8, v5
	v_cvt_f32_fp8_sdwa v5, v5 src0_sel:BYTE_0
                                        ; implicit-def: $vgpr26
	s_nop 0
	v_mul_f32_e32 v5, v60, v5
	v_and_b32_e32 v6, 0x7f800000, v5
	v_cmp_ne_u32_e64 s[4:5], s27, v6
	s_and_saveexec_b64 s[24:25], s[4:5]
	s_xor_b64 s[4:5], exec, s[24:25]
; %bb.183:                              ;   in Loop: Header=BB351_10 Depth=1
	v_bfe_u32 v6, v5, 16, 1
	v_add3_u32 v26, v5, v6, s28
                                        ; implicit-def: $vgpr5
; %bb.184:                              ;   in Loop: Header=BB351_10 Depth=1
	s_andn2_saveexec_b64 s[24:25], s[4:5]
; %bb.185:                              ;   in Loop: Header=BB351_10 Depth=1
	v_or_b32_e32 v6, 0x10000, v5
	v_cmp_eq_u32_sdwa s[4:5], v5, v9 src0_sel:WORD_0 src1_sel:DWORD
	s_nop 1
	v_cndmask_b32_e64 v26, v6, v5, s[4:5]
; %bb.186:                              ;   in Loop: Header=BB351_10 Depth=1
	s_or_b64 exec, exec, s[24:25]
	flat_load_ushort v6, v[30:31] offset:2816
	s_waitcnt vmcnt(0) lgkmcnt(0)
	v_and_b32_sdwa v5, s19, v6 dst_sel:DWORD dst_unused:UNUSED_PAD src0_sel:DWORD src1_sel:BYTE_0
	v_cvt_f32_fp8_sdwa v5, v5 src0_sel:BYTE_0
	s_nop 0
	v_mul_f32_e32 v7, v60, v5
	v_and_b32_e32 v5, 0x7f800000, v7
	v_cmp_ne_u32_e64 s[4:5], s27, v5
                                        ; implicit-def: $vgpr5
	s_and_saveexec_b64 s[24:25], s[4:5]
	s_xor_b64 s[4:5], exec, s[24:25]
; %bb.187:                              ;   in Loop: Header=BB351_10 Depth=1
	v_bfe_u32 v5, v7, 16, 1
	v_add3_u32 v5, v7, v5, s28
                                        ; implicit-def: $vgpr7
; %bb.188:                              ;   in Loop: Header=BB351_10 Depth=1
	s_andn2_saveexec_b64 s[24:25], s[4:5]
; %bb.189:                              ;   in Loop: Header=BB351_10 Depth=1
	v_or_b32_e32 v5, 0x10000, v7
	v_cmp_eq_u32_sdwa s[4:5], v7, v9 src0_sel:WORD_0 src1_sel:DWORD
	s_nop 1
	v_cndmask_b32_e64 v5, v5, v7, s[4:5]
; %bb.190:                              ;   in Loop: Header=BB351_10 Depth=1
	s_or_b64 exec, exec, s[24:25]
	v_lshrrev_b16_e32 v6, 8, v6
	v_cvt_f32_fp8_sdwa v6, v6 src0_sel:BYTE_0
                                        ; implicit-def: $vgpr18
	s_nop 0
	v_mul_f32_e32 v6, v60, v6
	v_and_b32_e32 v7, 0x7f800000, v6
	v_cmp_ne_u32_e64 s[4:5], s27, v7
	s_and_saveexec_b64 s[24:25], s[4:5]
	s_xor_b64 s[4:5], exec, s[24:25]
; %bb.191:                              ;   in Loop: Header=BB351_10 Depth=1
	v_bfe_u32 v7, v6, 16, 1
	v_add3_u32 v18, v6, v7, s28
                                        ; implicit-def: $vgpr6
; %bb.192:                              ;   in Loop: Header=BB351_10 Depth=1
	s_andn2_saveexec_b64 s[24:25], s[4:5]
; %bb.193:                              ;   in Loop: Header=BB351_10 Depth=1
	v_or_b32_e32 v7, 0x10000, v6
	v_cmp_eq_u32_sdwa s[4:5], v6, v9 src0_sel:WORD_0 src1_sel:DWORD
	s_nop 1
	v_cndmask_b32_e64 v18, v7, v6, s[4:5]
; %bb.194:                              ;   in Loop: Header=BB351_10 Depth=1
	s_or_b64 exec, exec, s[24:25]
	flat_load_ushort v6, v[30:31] offset:2824
                                        ; implicit-def: $vgpr19
	s_waitcnt vmcnt(0) lgkmcnt(0)
	v_and_b32_sdwa v7, s19, v6 dst_sel:DWORD dst_unused:UNUSED_PAD src0_sel:DWORD src1_sel:BYTE_0
	v_cvt_f32_fp8_sdwa v7, v7 src0_sel:BYTE_0
	s_nop 0
	v_mul_f32_e32 v7, v60, v7
	v_and_b32_e32 v16, 0x7f800000, v7
	v_cmp_ne_u32_e64 s[4:5], s27, v16
	s_and_saveexec_b64 s[24:25], s[4:5]
	s_xor_b64 s[4:5], exec, s[24:25]
; %bb.195:                              ;   in Loop: Header=BB351_10 Depth=1
	v_bfe_u32 v16, v7, 16, 1
	v_add3_u32 v19, v7, v16, s28
                                        ; implicit-def: $vgpr7
; %bb.196:                              ;   in Loop: Header=BB351_10 Depth=1
	s_andn2_saveexec_b64 s[24:25], s[4:5]
; %bb.197:                              ;   in Loop: Header=BB351_10 Depth=1
	v_or_b32_e32 v16, 0x10000, v7
	v_cmp_eq_u32_sdwa s[4:5], v7, v9 src0_sel:WORD_0 src1_sel:DWORD
	s_nop 1
	v_cndmask_b32_e64 v19, v16, v7, s[4:5]
; %bb.198:                              ;   in Loop: Header=BB351_10 Depth=1
	s_or_b64 exec, exec, s[24:25]
	v_lshrrev_b16_e32 v6, 8, v6
	v_cvt_f32_fp8_sdwa v6, v6 src0_sel:BYTE_0
                                        ; implicit-def: $vgpr43
	s_nop 0
	v_mul_f32_e32 v6, v60, v6
	v_and_b32_e32 v7, 0x7f800000, v6
	v_cmp_ne_u32_e64 s[4:5], s27, v7
	s_and_saveexec_b64 s[24:25], s[4:5]
	s_xor_b64 s[4:5], exec, s[24:25]
; %bb.199:                              ;   in Loop: Header=BB351_10 Depth=1
	v_bfe_u32 v7, v6, 16, 1
	v_add3_u32 v43, v6, v7, s28
                                        ; implicit-def: $vgpr6
; %bb.200:                              ;   in Loop: Header=BB351_10 Depth=1
	s_andn2_saveexec_b64 s[24:25], s[4:5]
; %bb.201:                              ;   in Loop: Header=BB351_10 Depth=1
	v_or_b32_e32 v7, 0x10000, v6
	v_cmp_eq_u32_sdwa s[4:5], v6, v9 src0_sel:WORD_0 src1_sel:DWORD
	s_nop 1
	v_cndmask_b32_e64 v43, v7, v6, s[4:5]
; %bb.202:                              ;   in Loop: Header=BB351_10 Depth=1
	s_or_b64 exec, exec, s[24:25]
	flat_load_ushort v6, v[30:31] offset:3072
                                        ; implicit-def: $vgpr25
	s_waitcnt vmcnt(0) lgkmcnt(0)
	v_and_b32_sdwa v7, s19, v6 dst_sel:DWORD dst_unused:UNUSED_PAD src0_sel:DWORD src1_sel:BYTE_0
	v_cvt_f32_fp8_sdwa v7, v7 src0_sel:BYTE_0
	s_nop 0
	v_mul_f32_e32 v7, v60, v7
	v_and_b32_e32 v16, 0x7f800000, v7
	v_cmp_ne_u32_e64 s[4:5], s27, v16
	s_and_saveexec_b64 s[24:25], s[4:5]
	s_xor_b64 s[4:5], exec, s[24:25]
; %bb.203:                              ;   in Loop: Header=BB351_10 Depth=1
	v_bfe_u32 v16, v7, 16, 1
	v_add3_u32 v25, v7, v16, s28
                                        ; implicit-def: $vgpr7
; %bb.204:                              ;   in Loop: Header=BB351_10 Depth=1
	s_andn2_saveexec_b64 s[24:25], s[4:5]
; %bb.205:                              ;   in Loop: Header=BB351_10 Depth=1
	v_or_b32_e32 v16, 0x10000, v7
	v_cmp_eq_u32_sdwa s[4:5], v7, v9 src0_sel:WORD_0 src1_sel:DWORD
	s_nop 1
	v_cndmask_b32_e64 v25, v16, v7, s[4:5]
; %bb.206:                              ;   in Loop: Header=BB351_10 Depth=1
	s_or_b64 exec, exec, s[24:25]
	v_lshrrev_b16_e32 v6, 8, v6
	v_cvt_f32_fp8_sdwa v6, v6 src0_sel:BYTE_0
                                        ; implicit-def: $vgpr24
	s_nop 0
	v_mul_f32_e32 v6, v60, v6
	v_and_b32_e32 v7, 0x7f800000, v6
	v_cmp_ne_u32_e64 s[4:5], s27, v7
	s_and_saveexec_b64 s[24:25], s[4:5]
	s_xor_b64 s[4:5], exec, s[24:25]
; %bb.207:                              ;   in Loop: Header=BB351_10 Depth=1
	v_bfe_u32 v7, v6, 16, 1
	v_add3_u32 v24, v6, v7, s28
                                        ; implicit-def: $vgpr6
; %bb.208:                              ;   in Loop: Header=BB351_10 Depth=1
	s_andn2_saveexec_b64 s[24:25], s[4:5]
; %bb.209:                              ;   in Loop: Header=BB351_10 Depth=1
	v_or_b32_e32 v7, 0x10000, v6
	v_cmp_eq_u32_sdwa s[4:5], v6, v9 src0_sel:WORD_0 src1_sel:DWORD
	s_nop 1
	v_cndmask_b32_e64 v24, v7, v6, s[4:5]
; %bb.210:                              ;   in Loop: Header=BB351_10 Depth=1
	s_or_b64 exec, exec, s[24:25]
	flat_load_ushort v6, v[30:31] offset:3080
                                        ; implicit-def: $vgpr57
	s_waitcnt vmcnt(0) lgkmcnt(0)
	v_and_b32_sdwa v7, s19, v6 dst_sel:DWORD dst_unused:UNUSED_PAD src0_sel:DWORD src1_sel:BYTE_0
	v_cvt_f32_fp8_sdwa v7, v7 src0_sel:BYTE_0
	s_nop 0
	v_mul_f32_e32 v7, v60, v7
	v_and_b32_e32 v16, 0x7f800000, v7
	v_cmp_ne_u32_e64 s[4:5], s27, v16
	s_and_saveexec_b64 s[24:25], s[4:5]
	s_xor_b64 s[4:5], exec, s[24:25]
; %bb.211:                              ;   in Loop: Header=BB351_10 Depth=1
	v_bfe_u32 v16, v7, 16, 1
	v_add3_u32 v57, v7, v16, s28
                                        ; implicit-def: $vgpr7
; %bb.212:                              ;   in Loop: Header=BB351_10 Depth=1
	s_andn2_saveexec_b64 s[24:25], s[4:5]
; %bb.213:                              ;   in Loop: Header=BB351_10 Depth=1
	v_or_b32_e32 v16, 0x10000, v7
	v_cmp_eq_u32_sdwa s[4:5], v7, v9 src0_sel:WORD_0 src1_sel:DWORD
	s_nop 1
	v_cndmask_b32_e64 v57, v16, v7, s[4:5]
; %bb.214:                              ;   in Loop: Header=BB351_10 Depth=1
	s_or_b64 exec, exec, s[24:25]
	v_lshrrev_b16_e32 v6, 8, v6
	v_cvt_f32_fp8_sdwa v6, v6 src0_sel:BYTE_0
                                        ; implicit-def: $vgpr58
	s_nop 0
	v_mul_f32_e32 v6, v60, v6
	v_and_b32_e32 v7, 0x7f800000, v6
	v_cmp_ne_u32_e64 s[4:5], s27, v7
	s_and_saveexec_b64 s[24:25], s[4:5]
	s_xor_b64 s[4:5], exec, s[24:25]
; %bb.215:                              ;   in Loop: Header=BB351_10 Depth=1
	v_bfe_u32 v7, v6, 16, 1
	v_add3_u32 v58, v6, v7, s28
                                        ; implicit-def: $vgpr6
; %bb.216:                              ;   in Loop: Header=BB351_10 Depth=1
	s_andn2_saveexec_b64 s[24:25], s[4:5]
; %bb.217:                              ;   in Loop: Header=BB351_10 Depth=1
	v_or_b32_e32 v7, 0x10000, v6
	v_cmp_eq_u32_sdwa s[4:5], v6, v9 src0_sel:WORD_0 src1_sel:DWORD
	s_nop 1
	v_cndmask_b32_e64 v58, v7, v6, s[4:5]
; %bb.218:                              ;   in Loop: Header=BB351_10 Depth=1
	s_or_b64 exec, exec, s[24:25]
	flat_load_ushort v6, v[30:31] offset:3328
                                        ; implicit-def: $vgpr59
	s_waitcnt vmcnt(0) lgkmcnt(0)
	v_and_b32_sdwa v7, s19, v6 dst_sel:DWORD dst_unused:UNUSED_PAD src0_sel:DWORD src1_sel:BYTE_0
	v_cvt_f32_fp8_sdwa v7, v7 src0_sel:BYTE_0
	s_nop 0
	v_mul_f32_e32 v7, v60, v7
	v_and_b32_e32 v16, 0x7f800000, v7
	v_cmp_ne_u32_e64 s[4:5], s27, v16
	s_and_saveexec_b64 s[24:25], s[4:5]
	s_xor_b64 s[4:5], exec, s[24:25]
; %bb.219:                              ;   in Loop: Header=BB351_10 Depth=1
	v_bfe_u32 v16, v7, 16, 1
	v_add3_u32 v59, v7, v16, s28
                                        ; implicit-def: $vgpr7
; %bb.220:                              ;   in Loop: Header=BB351_10 Depth=1
	s_andn2_saveexec_b64 s[24:25], s[4:5]
; %bb.221:                              ;   in Loop: Header=BB351_10 Depth=1
	v_or_b32_e32 v16, 0x10000, v7
	v_cmp_eq_u32_sdwa s[4:5], v7, v9 src0_sel:WORD_0 src1_sel:DWORD
	s_nop 1
	v_cndmask_b32_e64 v59, v16, v7, s[4:5]
; %bb.222:                              ;   in Loop: Header=BB351_10 Depth=1
	s_or_b64 exec, exec, s[24:25]
	v_lshrrev_b16_e32 v6, 8, v6
	v_cvt_f32_fp8_sdwa v6, v6 src0_sel:BYTE_0
                                        ; implicit-def: $vgpr61
	s_nop 0
	v_mul_f32_e32 v6, v60, v6
	v_and_b32_e32 v7, 0x7f800000, v6
	v_cmp_ne_u32_e64 s[4:5], s27, v7
	s_and_saveexec_b64 s[24:25], s[4:5]
	s_xor_b64 s[4:5], exec, s[24:25]
; %bb.223:                              ;   in Loop: Header=BB351_10 Depth=1
	v_bfe_u32 v7, v6, 16, 1
	v_add3_u32 v61, v6, v7, s28
                                        ; implicit-def: $vgpr6
; %bb.224:                              ;   in Loop: Header=BB351_10 Depth=1
	s_andn2_saveexec_b64 s[24:25], s[4:5]
; %bb.225:                              ;   in Loop: Header=BB351_10 Depth=1
	v_or_b32_e32 v7, 0x10000, v6
	v_cmp_eq_u32_sdwa s[4:5], v6, v9 src0_sel:WORD_0 src1_sel:DWORD
	s_nop 1
	v_cndmask_b32_e64 v61, v7, v6, s[4:5]
; %bb.226:                              ;   in Loop: Header=BB351_10 Depth=1
	s_or_b64 exec, exec, s[24:25]
	flat_load_ushort v6, v[30:31] offset:3336
                                        ; implicit-def: $vgpr62
	s_waitcnt vmcnt(0) lgkmcnt(0)
	v_and_b32_sdwa v7, s19, v6 dst_sel:DWORD dst_unused:UNUSED_PAD src0_sel:DWORD src1_sel:BYTE_0
	v_cvt_f32_fp8_sdwa v7, v7 src0_sel:BYTE_0
	s_nop 0
	v_mul_f32_e32 v7, v60, v7
	v_and_b32_e32 v16, 0x7f800000, v7
	v_cmp_ne_u32_e64 s[4:5], s27, v16
	s_and_saveexec_b64 s[24:25], s[4:5]
	s_xor_b64 s[4:5], exec, s[24:25]
; %bb.227:                              ;   in Loop: Header=BB351_10 Depth=1
	v_bfe_u32 v16, v7, 16, 1
	v_add3_u32 v62, v7, v16, s28
                                        ; implicit-def: $vgpr7
; %bb.228:                              ;   in Loop: Header=BB351_10 Depth=1
	s_andn2_saveexec_b64 s[24:25], s[4:5]
; %bb.229:                              ;   in Loop: Header=BB351_10 Depth=1
	v_or_b32_e32 v16, 0x10000, v7
	v_cmp_eq_u32_sdwa s[4:5], v7, v9 src0_sel:WORD_0 src1_sel:DWORD
	s_nop 1
	v_cndmask_b32_e64 v62, v16, v7, s[4:5]
; %bb.230:                              ;   in Loop: Header=BB351_10 Depth=1
	s_or_b64 exec, exec, s[24:25]
	v_lshrrev_b16_e32 v6, 8, v6
	v_cvt_f32_fp8_sdwa v6, v6 src0_sel:BYTE_0
                                        ; implicit-def: $vgpr37
	s_nop 0
	v_mul_f32_e32 v6, v60, v6
	v_and_b32_e32 v7, 0x7f800000, v6
	v_cmp_ne_u32_e64 s[4:5], s27, v7
	s_and_saveexec_b64 s[24:25], s[4:5]
	s_xor_b64 s[4:5], exec, s[24:25]
; %bb.231:                              ;   in Loop: Header=BB351_10 Depth=1
	v_bfe_u32 v7, v6, 16, 1
	v_add3_u32 v37, v6, v7, s28
                                        ; implicit-def: $vgpr6
; %bb.232:                              ;   in Loop: Header=BB351_10 Depth=1
	s_andn2_saveexec_b64 s[24:25], s[4:5]
; %bb.233:                              ;   in Loop: Header=BB351_10 Depth=1
	v_or_b32_e32 v7, 0x10000, v6
	v_cmp_eq_u32_sdwa s[4:5], v6, v9 src0_sel:WORD_0 src1_sel:DWORD
	s_nop 1
	v_cndmask_b32_e64 v37, v7, v6, s[4:5]
; %bb.234:                              ;   in Loop: Header=BB351_10 Depth=1
	s_or_b64 exec, exec, s[24:25]
	flat_load_ushort v7, v[30:31] offset:3584
	s_waitcnt vmcnt(0) lgkmcnt(0)
	v_and_b32_sdwa v6, s19, v7 dst_sel:DWORD dst_unused:UNUSED_PAD src0_sel:DWORD src1_sel:BYTE_0
	v_cvt_f32_fp8_sdwa v6, v6 src0_sel:BYTE_0
	s_nop 0
	v_mul_f32_e32 v16, v60, v6
	v_and_b32_e32 v6, 0x7f800000, v16
	v_cmp_ne_u32_e64 s[4:5], s27, v6
                                        ; implicit-def: $vgpr6
	s_and_saveexec_b64 s[24:25], s[4:5]
	s_xor_b64 s[4:5], exec, s[24:25]
; %bb.235:                              ;   in Loop: Header=BB351_10 Depth=1
	v_bfe_u32 v6, v16, 16, 1
	v_add3_u32 v6, v16, v6, s28
                                        ; implicit-def: $vgpr16
; %bb.236:                              ;   in Loop: Header=BB351_10 Depth=1
	s_andn2_saveexec_b64 s[24:25], s[4:5]
; %bb.237:                              ;   in Loop: Header=BB351_10 Depth=1
	v_or_b32_e32 v6, 0x10000, v16
	v_cmp_eq_u32_sdwa s[4:5], v16, v9 src0_sel:WORD_0 src1_sel:DWORD
	s_nop 1
	v_cndmask_b32_e64 v6, v6, v16, s[4:5]
; %bb.238:                              ;   in Loop: Header=BB351_10 Depth=1
	s_or_b64 exec, exec, s[24:25]
	v_lshrrev_b16_e32 v7, 8, v7
	v_cvt_f32_fp8_sdwa v7, v7 src0_sel:BYTE_0
	s_nop 0
	v_mul_f32_e32 v16, v60, v7
	v_and_b32_e32 v7, 0x7f800000, v16
	v_cmp_ne_u32_e64 s[4:5], s27, v7
                                        ; implicit-def: $vgpr7
	s_and_saveexec_b64 s[24:25], s[4:5]
	s_xor_b64 s[4:5], exec, s[24:25]
; %bb.239:                              ;   in Loop: Header=BB351_10 Depth=1
	v_bfe_u32 v7, v16, 16, 1
	v_add3_u32 v7, v16, v7, s28
                                        ; implicit-def: $vgpr16
; %bb.240:                              ;   in Loop: Header=BB351_10 Depth=1
	s_andn2_saveexec_b64 s[24:25], s[4:5]
; %bb.241:                              ;   in Loop: Header=BB351_10 Depth=1
	v_or_b32_e32 v7, 0x10000, v16
	v_cmp_eq_u32_sdwa s[4:5], v16, v9 src0_sel:WORD_0 src1_sel:DWORD
	s_nop 1
	v_cndmask_b32_e64 v7, v7, v16, s[4:5]
; %bb.242:                              ;   in Loop: Header=BB351_10 Depth=1
	s_or_b64 exec, exec, s[24:25]
	flat_load_ushort v17, v[30:31] offset:3592
	s_waitcnt vmcnt(0) lgkmcnt(0)
	v_and_b32_sdwa v16, s19, v17 dst_sel:DWORD dst_unused:UNUSED_PAD src0_sel:DWORD src1_sel:BYTE_0
	v_cvt_f32_fp8_sdwa v16, v16 src0_sel:BYTE_0
	s_nop 0
	v_mul_f32_e32 v28, v60, v16
	v_and_b32_e32 v16, 0x7f800000, v28
	v_cmp_ne_u32_e64 s[4:5], s27, v16
                                        ; implicit-def: $vgpr16
	s_and_saveexec_b64 s[24:25], s[4:5]
	s_xor_b64 s[4:5], exec, s[24:25]
; %bb.243:                              ;   in Loop: Header=BB351_10 Depth=1
	v_bfe_u32 v16, v28, 16, 1
	v_add3_u32 v16, v28, v16, s28
                                        ; implicit-def: $vgpr28
; %bb.244:                              ;   in Loop: Header=BB351_10 Depth=1
	s_andn2_saveexec_b64 s[24:25], s[4:5]
; %bb.245:                              ;   in Loop: Header=BB351_10 Depth=1
	v_or_b32_e32 v16, 0x10000, v28
	v_cmp_eq_u32_sdwa s[4:5], v28, v9 src0_sel:WORD_0 src1_sel:DWORD
	s_nop 1
	v_cndmask_b32_e64 v16, v16, v28, s[4:5]
; %bb.246:                              ;   in Loop: Header=BB351_10 Depth=1
	s_or_b64 exec, exec, s[24:25]
	v_lshrrev_b16_e32 v17, 8, v17
	v_cvt_f32_fp8_sdwa v17, v17 src0_sel:BYTE_0
	s_nop 0
	v_mul_f32_e32 v28, v60, v17
	v_and_b32_e32 v17, 0x7f800000, v28
	v_cmp_ne_u32_e64 s[4:5], s27, v17
                                        ; implicit-def: $vgpr17
	s_and_saveexec_b64 s[24:25], s[4:5]
	s_xor_b64 s[4:5], exec, s[24:25]
; %bb.247:                              ;   in Loop: Header=BB351_10 Depth=1
	v_bfe_u32 v17, v28, 16, 1
	v_add3_u32 v17, v28, v17, s28
                                        ; implicit-def: $vgpr28
; %bb.248:                              ;   in Loop: Header=BB351_10 Depth=1
	s_andn2_saveexec_b64 s[24:25], s[4:5]
; %bb.249:                              ;   in Loop: Header=BB351_10 Depth=1
	v_or_b32_e32 v17, 0x10000, v28
	v_cmp_eq_u32_sdwa s[4:5], v28, v9 src0_sel:WORD_0 src1_sel:DWORD
	s_nop 1
	v_cndmask_b32_e64 v17, v17, v28, s[4:5]
; %bb.250:                              ;   in Loop: Header=BB351_10 Depth=1
	s_or_b64 exec, exec, s[24:25]
	flat_load_ushort v28, v[30:31] offset:3840
	s_waitcnt vmcnt(0) lgkmcnt(0)
	v_and_b32_sdwa v29, s19, v28 dst_sel:DWORD dst_unused:UNUSED_PAD src0_sel:DWORD src1_sel:BYTE_0
	v_cvt_f32_fp8_sdwa v29, v29 src0_sel:BYTE_0
	s_nop 0
	v_mul_f32_e32 v29, v60, v29
	v_and_b32_e32 v36, 0x7f800000, v29
	v_cmp_ne_u32_e64 s[4:5], s27, v36
                                        ; implicit-def: $vgpr36
	s_and_saveexec_b64 s[24:25], s[4:5]
	s_xor_b64 s[4:5], exec, s[24:25]
; %bb.251:                              ;   in Loop: Header=BB351_10 Depth=1
	v_bfe_u32 v36, v29, 16, 1
	v_add3_u32 v36, v29, v36, s28
                                        ; implicit-def: $vgpr29
; %bb.252:                              ;   in Loop: Header=BB351_10 Depth=1
	s_andn2_saveexec_b64 s[24:25], s[4:5]
; %bb.253:                              ;   in Loop: Header=BB351_10 Depth=1
	v_or_b32_e32 v36, 0x10000, v29
	v_cmp_eq_u32_sdwa s[4:5], v29, v9 src0_sel:WORD_0 src1_sel:DWORD
	s_nop 1
	v_cndmask_b32_e64 v36, v36, v29, s[4:5]
; %bb.254:                              ;   in Loop: Header=BB351_10 Depth=1
	s_or_b64 exec, exec, s[24:25]
	v_lshrrev_b16_e32 v28, 8, v28
	v_cvt_f32_fp8_sdwa v28, v28 src0_sel:BYTE_0
	s_nop 0
	v_mul_f32_e32 v29, v60, v28
	v_and_b32_e32 v28, 0x7f800000, v29
	v_cmp_ne_u32_e64 s[4:5], s27, v28
                                        ; implicit-def: $vgpr28
	s_and_saveexec_b64 s[24:25], s[4:5]
	s_xor_b64 s[4:5], exec, s[24:25]
; %bb.255:                              ;   in Loop: Header=BB351_10 Depth=1
	v_bfe_u32 v28, v29, 16, 1
	v_add3_u32 v28, v29, v28, s28
                                        ; implicit-def: $vgpr29
; %bb.256:                              ;   in Loop: Header=BB351_10 Depth=1
	s_andn2_saveexec_b64 s[24:25], s[4:5]
; %bb.257:                              ;   in Loop: Header=BB351_10 Depth=1
	v_or_b32_e32 v28, 0x10000, v29
	v_cmp_eq_u32_sdwa s[4:5], v29, v9 src0_sel:WORD_0 src1_sel:DWORD
	s_nop 1
	v_cndmask_b32_e64 v28, v28, v29, s[4:5]
; %bb.258:                              ;   in Loop: Header=BB351_10 Depth=1
	s_or_b64 exec, exec, s[24:25]
	flat_load_ushort v29, v[30:31] offset:3848
	s_waitcnt vmcnt(0) lgkmcnt(0)
	v_and_b32_sdwa v30, s19, v29 dst_sel:DWORD dst_unused:UNUSED_PAD src0_sel:DWORD src1_sel:BYTE_0
	v_cvt_f32_fp8_sdwa v30, v30 src0_sel:BYTE_0
	s_nop 0
	v_mul_f32_e32 v31, v60, v30
	v_and_b32_e32 v30, 0x7f800000, v31
	v_cmp_ne_u32_e64 s[4:5], s27, v30
                                        ; implicit-def: $vgpr30
	s_and_saveexec_b64 s[24:25], s[4:5]
	s_xor_b64 s[4:5], exec, s[24:25]
; %bb.259:                              ;   in Loop: Header=BB351_10 Depth=1
	v_bfe_u32 v30, v31, 16, 1
	v_add3_u32 v30, v31, v30, s28
                                        ; implicit-def: $vgpr31
; %bb.260:                              ;   in Loop: Header=BB351_10 Depth=1
	s_andn2_saveexec_b64 s[24:25], s[4:5]
; %bb.261:                              ;   in Loop: Header=BB351_10 Depth=1
	v_or_b32_e32 v30, 0x10000, v31
	v_cmp_eq_u32_sdwa s[4:5], v31, v9 src0_sel:WORD_0 src1_sel:DWORD
	s_nop 1
	v_cndmask_b32_e64 v30, v30, v31, s[4:5]
; %bb.262:                              ;   in Loop: Header=BB351_10 Depth=1
	s_or_b64 exec, exec, s[24:25]
	v_lshrrev_b16_e32 v29, 8, v29
	v_cvt_f32_fp8_sdwa v29, v29 src0_sel:BYTE_0
	s_nop 0
	v_mul_f32_e32 v29, v60, v29
	v_and_b32_e32 v31, 0x7f800000, v29
	v_cmp_ne_u32_e64 s[4:5], s27, v31
                                        ; implicit-def: $vgpr31
	s_and_saveexec_b64 s[24:25], s[4:5]
	s_xor_b64 s[4:5], exec, s[24:25]
; %bb.263:                              ;   in Loop: Header=BB351_10 Depth=1
	v_bfe_u32 v31, v29, 16, 1
	v_add3_u32 v31, v29, v31, s28
                                        ; implicit-def: $vgpr29
; %bb.264:                              ;   in Loop: Header=BB351_10 Depth=1
	s_andn2_saveexec_b64 s[24:25], s[4:5]
; %bb.265:                              ;   in Loop: Header=BB351_10 Depth=1
	v_or_b32_e32 v31, 0x10000, v29
	v_cmp_eq_u32_sdwa s[4:5], v29, v9 src0_sel:WORD_0 src1_sel:DWORD
	s_nop 1
	v_cndmask_b32_e64 v31, v31, v29, s[4:5]
; %bb.266:                              ;   in Loop: Header=BB351_10 Depth=1
	s_or_b64 exec, exec, s[24:25]
	v_and_b32_e32 v29, 0xffff0000, v27
	scratch_load_dword v27, off, s32 offset:200 ; 4-byte Folded Reload
	v_and_b32_e32 v12, 0xffff0000, v12
	v_and_b32_e32 v11, 0xffff0000, v11
	;; [unrolled: 1-line block ×5, first 2 shown]
	s_waitcnt vmcnt(0)
	v_mul_f32_e32 v60, v27, v29
	scratch_load_dword v27, off, s32 offset:192 ; 4-byte Folded Reload
	scratch_load_dword v29, off, s32 offset:204 ; 4-byte Folded Reload
	s_waitcnt vmcnt(1)
	v_fmac_f32_e32 v60, v27, v12
	v_accvgpr_read_b32 v12, a39
	v_and_b32_e32 v12, 0xffff0000, v12
	s_waitcnt vmcnt(0)
	v_mul_f32_e32 v29, v29, v12
	scratch_load_dword v12, off, s32 offset:196 ; 4-byte Folded Reload
	v_accvgpr_read_b32 v27, a38
	v_and_b32_e32 v27, 0xffff0000, v27
	s_waitcnt vmcnt(0)
	v_fmac_f32_e32 v29, v12, v27
	scratch_load_dword v27, off, s32 offset:208 ; 4-byte Folded Reload
	v_accvgpr_read_b32 v12, a40
	v_and_b32_e32 v12, 0xffff0000, v12
	s_waitcnt vmcnt(0)
	v_fmac_f32_e32 v60, v27, v12
	;; [unrolled: 5-line block ×11, first 2 shown]
	scratch_load_dword v12, off, s32 offset:248 ; 4-byte Folded Reload
	s_waitcnt vmcnt(0)
	v_fmac_f32_e32 v60, v12, v11
	scratch_load_dword v11, off, s32 offset:252 ; 4-byte Folded Reload
	s_waitcnt vmcnt(0)
	v_fmac_f32_e32 v29, v11, v10
	;; [unrolled: 3-line block ×4, first 2 shown]
	scratch_load_dword v1, off, s32 offset:264 ; 4-byte Folded Reload
	v_and_b32_e32 v0, 0xffff0000, v3
	s_waitcnt vmcnt(0)
	v_fmac_f32_e32 v60, v1, v0
	scratch_load_dword v1, off, s32 offset:268 ; 4-byte Folded Reload
	v_and_b32_e32 v0, 0xffff0000, v2
	s_waitcnt vmcnt(0)
	v_fmac_f32_e32 v29, v1, v0
	;; [unrolled: 4-line block ×4, first 2 shown]
	v_and_b32_e32 v0, 0xffff0000, v14
	v_accvgpr_read_b32 v1, a50
	v_fmac_f32_e32 v60, v1, v0
	v_and_b32_e32 v0, 0xffff0000, v23
	v_accvgpr_read_b32 v1, a51
	v_fmac_f32_e32 v29, v1, v0
	;; [unrolled: 3-line block ×42, first 2 shown]
	v_add_f32_e32 v0, v60, v29
	v_accvgpr_read_b32 v1, a36
	ds_bpermute_b32 v1, v1, v0
	s_waitcnt lgkmcnt(0)
	v_add_f32_e32 v0, v0, v1
	v_accvgpr_read_b32 v1, a37
	ds_bpermute_b32 v1, v1, v0
	s_and_saveexec_b64 s[24:25], vcc
	s_cbranch_execz .LBB351_9
; %bb.267:                              ;   in Loop: Header=BB351_10 Depth=1
	s_waitcnt lgkmcnt(0)
	v_add_f32_e32 v0, v0, v1
	scratch_load_dword v1, off, s32 offset:280 ; 4-byte Folded Reload
	v_sub_u32_e32 v2, 1, v33
	v_add_u32_e32 v2, v2, v46
	v_cvt_f32_i32_e32 v2, v2
	s_load_dword s4, s[8:9], 0x0
	v_accvgpr_read_b32 v3, a19
	s_waitcnt vmcnt(0)
	v_mul_f32_e32 v1, v1, v2
	v_cndmask_b32_e64 v1, 0, v1, s[2:3]
	s_waitcnt lgkmcnt(0)
	v_add_u32_e32 v2, s4, v47
	v_fmac_f32_e32 v1, v0, v3
	v_cmp_lt_i32_e64 s[4:5], v46, v33
	s_nop 1
	v_cndmask_b32_e64 v0, 0, v1, s[4:5]
	ds_write_b32 v2, v0
	v_max_f32_e32 v0, v13, v13
	v_max_f32_e32 v0, v0, v1
	v_cndmask_b32_e64 v13, v13, v0, s[4:5]
	s_branch .LBB351_9
.LBB351_268:
	s_or_b64 exec, exec, s[22:23]
	scratch_load_dword v19, off, s32 offset:284 ; 4-byte Folded Reload
	scratch_load_dwordx2 v[14:15], off, s32 offset:360 ; 8-byte Folded Reload
	scratch_load_dwordx2 v[26:27], off, s32 offset:352 ; 8-byte Folded Reload
	;; [unrolled: 1-line block ×5, first 2 shown]
	scratch_load_dword v28, off, s32 offset:324 ; 4-byte Folded Reload
	scratch_load_dword v29, off, s32 offset:296 ; 4-byte Folded Reload
	scratch_load_dwordx2 v[30:31], off, s32 offset:316 ; 8-byte Folded Reload
	scratch_load_dwordx2 v[38:39], off, s32 offset:300 ; 8-byte Folded Reload
	scratch_load_dword v16, off, s32 offset:312 ; 4-byte Folded Reload
	scratch_load_dword v17, off, s32 offset:308 ; 4-byte Folded Reload
.LBB351_269:
	s_or_b64 exec, exec, s[6:7]
	s_waitcnt vmcnt(1)
	v_xor_b32_e32 v0, 32, v16
	s_waitcnt vmcnt(0)
	v_cmp_lt_i32_e32 vcc, v0, v17
	v_xor_b32_e32 v3, 16, v16
	s_waitcnt lgkmcnt(0)
	v_max_f32_e32 v1, v13, v13
	v_cndmask_b32_e32 v0, v16, v0, vcc
	v_lshlrev_b32_e32 v2, 2, v0
	ds_bpermute_b32 v0, v2, v13
	v_cmp_lt_i32_e32 vcc, v3, v17
	v_xor_b32_e32 v4, 8, v16
	v_and_b32_e32 v22, 63, v19
	s_lshr_b32 s21, s21, 16
	s_waitcnt lgkmcnt(0)
	v_max_f32_e32 v0, v0, v0
	v_max_f32_e32 v0, v1, v0
	v_cndmask_b32_e32 v1, v16, v3, vcc
	v_lshlrev_b32_e32 v3, 2, v1
	ds_bpermute_b32 v1, v3, v0
	v_cmp_lt_i32_e32 vcc, v4, v17
	s_waitcnt lgkmcnt(0)
	v_max_f32_e32 v1, v1, v1
	v_max_f32_e32 v0, v0, v1
	v_cndmask_b32_e32 v1, v16, v4, vcc
	v_lshlrev_b32_e32 v6, 2, v1
	ds_bpermute_b32 v1, v6, v0
	v_xor_b32_e32 v4, 4, v16
	v_cmp_lt_i32_e32 vcc, v4, v17
	s_waitcnt lgkmcnt(0)
	v_max_f32_e32 v1, v1, v1
	v_max_f32_e32 v0, v0, v1
	v_cndmask_b32_e32 v1, v16, v4, vcc
	v_lshlrev_b32_e32 v8, 2, v1
	ds_bpermute_b32 v1, v8, v0
	v_cmp_eq_u32_e32 vcc, 0, v22
	v_lshlrev_b32_e32 v4, 2, v28
	s_and_saveexec_b64 s[2:3], vcc
	s_cbranch_execz .LBB351_271
; %bb.270:
	s_waitcnt lgkmcnt(0)
	v_max_f32_e32 v1, v1, v1
	v_max_f32_e32 v0, v0, v0
	;; [unrolled: 1-line block ×3, first 2 shown]
	ds_write_b32 v4, v0 offset:512
.LBB351_271:
	s_or_b64 exec, exec, s[2:3]
	v_cmp_gt_u32_e64 s[2:3], 2, v22
	v_mov_b32_e32 v0, 0xff7fffff
	v_lshlrev_b32_e32 v5, 2, v22
	s_waitcnt lgkmcnt(0)
	s_barrier
	s_and_saveexec_b64 s[4:5], s[2:3]
	s_cbranch_execz .LBB351_273
; %bb.272:
	ds_read_b32 v0, v5 offset:512
.LBB351_273:
	s_or_b64 exec, exec, s[4:5]
	scratch_load_dword v7, off, s32 offset:188 ; 4-byte Folded Reload
	v_xor_b32_e32 v1, 1, v16
	v_cmp_lt_i32_e64 s[4:5], v1, v17
	v_mov_b32_e32 v10, 0
	s_waitcnt vmcnt(0)
	v_subrev_u32_e32 v7, s15, v7
	v_cndmask_b32_e64 v1, v16, v1, s[4:5]
	v_lshlrev_b32_e32 v23, 2, v1
	s_waitcnt lgkmcnt(0)
	ds_bpermute_b32 v1, v23, v0
	v_max_f32_e32 v0, v0, v0
	v_lshl_add_u32 v7, v7, 4, s26
	v_min_i32_e32 v7, v7, v33
	s_waitcnt lgkmcnt(0)
	v_max_f32_e32 v1, v1, v1
	v_max_f32_e32 v0, v0, v1
	v_lshlrev_b32_e32 v1, 2, v16
	v_and_b32_e32 v9, 0xffffff00, v1
	ds_bpermute_b32 v0, v9, v0
	v_subrev_u32_e32 v1, s26, v7
	v_cmp_lt_i32_e64 s[4:5], v19, v1
	s_and_saveexec_b64 s[8:9], s[4:5]
	s_cbranch_execz .LBB351_277
; %bb.274:
	s_ashr_i32 s19, s18, 31
	s_lshl_b64 s[6:7], s[18:19], 2
	s_getpc_b64 s[22:23]
	s_add_u32 s22, s22, llvm.amdgcn.dynlds.offset.table@rel32@lo+4
	s_addc_u32 s23, s23, llvm.amdgcn.dynlds.offset.table@rel32@hi+12
	s_add_u32 s6, s6, s22
	s_addc_u32 s7, s7, s23
	s_load_dword s6, s[6:7], 0x0
	s_mov_b64 s[22:23], 0
	v_mov_b32_e32 v10, 0
	v_mov_b32_e32 v12, v19
	s_waitcnt lgkmcnt(0)
	v_lshl_add_u32 v11, v19, 2, s6
.LBB351_275:                            ; =>This Inner Loop Header: Depth=1
	ds_read_b32 v13, v11
	v_add_u32_e32 v12, 0x80, v12
	v_cmp_ge_i32_e64 s[6:7], v12, v1
	s_or_b64 s[22:23], s[6:7], s[22:23]
	s_waitcnt lgkmcnt(0)
	v_sub_f32_e32 v13, v13, v0
	v_mul_f32_e32 v13, 0x3fb8aa3b, v13
	v_exp_f32_e32 v13, v13
	ds_write_b32 v11, v13
	v_add_f32_e32 v10, v10, v13
	v_add_u32_e32 v11, 0x200, v11
	s_andn2_b64 exec, exec, s[22:23]
	s_cbranch_execnz .LBB351_275
; %bb.276:
	s_or_b64 exec, exec, s[22:23]
.LBB351_277:
	s_or_b64 exec, exec, s[8:9]
	ds_bpermute_b32 v2, v2, v10
	s_waitcnt lgkmcnt(0)
	v_add_f32_e32 v2, v10, v2
	ds_bpermute_b32 v3, v3, v2
	s_waitcnt lgkmcnt(0)
	v_add_f32_e32 v2, v2, v3
	ds_bpermute_b32 v3, v6, v2
	v_xor_b32_e32 v6, 2, v16
	v_cmp_lt_i32_e64 s[6:7], v6, v17
	s_waitcnt lgkmcnt(0)
	v_add_f32_e32 v2, v2, v3
	ds_bpermute_b32 v3, v8, v2
	v_cndmask_b32_e64 v6, v16, v6, s[6:7]
	s_waitcnt lgkmcnt(0)
	v_add_f32_e32 v2, v2, v3
	v_lshlrev_b32_e32 v3, 2, v6
	ds_bpermute_b32 v3, v3, v2
	s_waitcnt lgkmcnt(0)
	v_add_f32_e32 v2, v2, v3
	ds_bpermute_b32 v3, v23, v2
	s_waitcnt lgkmcnt(0)
	v_add_f32_e32 v2, v2, v3
	s_and_saveexec_b64 s[6:7], vcc
	s_cbranch_execz .LBB351_279
; %bb.278:
	ds_write_b32 v4, v2 offset:520
.LBB351_279:
	s_or_b64 exec, exec, s[6:7]
	s_waitcnt lgkmcnt(0)
	s_barrier
	s_and_saveexec_b64 s[6:7], s[2:3]
	s_cbranch_execz .LBB351_281
; %bb.280:
	ds_read_b32 v2, v5 offset:520
.LBB351_281:
	s_or_b64 exec, exec, s[6:7]
	s_waitcnt lgkmcnt(0)
	ds_bpermute_b32 v3, v23, v2
	s_waitcnt lgkmcnt(0)
	v_add_f32_e32 v2, v2, v3
	ds_bpermute_b32 v2, v9, v2
	s_and_saveexec_b64 s[2:3], s[4:5]
	s_cbranch_execz .LBB351_294
; %bb.282:
	s_waitcnt lgkmcnt(0)
	v_add_f32_e32 v3, 0x358637bd, v2
	v_div_scale_f32 v4, s[4:5], v3, v3, 1.0
	v_rcp_f32_e32 v5, v4
	v_div_scale_f32 v6, vcc, 1.0, v3, 1.0
	s_movk_i32 s4, 0x7f
	v_fma_f32 v8, -v4, v5, 1.0
	v_fmac_f32_e32 v5, v8, v5
	v_mul_f32_e32 v8, v6, v5
	v_fma_f32 v9, -v4, v8, v6
	v_fmac_f32_e32 v8, v9, v5
	v_fma_f32 v4, -v4, v8, v6
	v_div_fmas_f32 v4, v4, v5, v8
	v_div_fixup_f32 v8, v4, v3, 1.0
	v_xad_u32 v3, v19, -1, v7
	v_subrev_u32_e32 v4, s26, v3
	v_cmp_lt_u32_e32 vcc, s4, v4
	s_mov_b64 s[6:7], -1
	v_mov_b32_e32 v3, v19
	s_and_saveexec_b64 s[4:5], vcc
	s_cbranch_execz .LBB351_291
; %bb.283:
	v_lshrrev_b32_e32 v3, 7, v4
	v_add_u32_e32 v5, -1, v3
	v_lshrrev_b32_e32 v4, 1, v5
	v_mov_b32_e32 v9, v8
	v_add_u32_e32 v4, 1, v4
	v_cmp_lt_u32_e32 vcc, 13, v5
	v_mov_b32_e32 v7, 0
	s_and_saveexec_b64 s[6:7], vcc
	s_cbranch_execz .LBB351_287
; %bb.284:
	s_ashr_i32 s19, s18, 31
	s_lshl_b64 s[8:9], s[18:19], 2
	s_getpc_b64 s[22:23]
	s_add_u32 s22, s22, llvm.amdgcn.dynlds.offset.table@rel32@lo+4
	s_addc_u32 s23, s23, llvm.amdgcn.dynlds.offset.table@rel32@hi+12
	s_add_u32 s8, s8, s22
	s_addc_u32 s9, s9, s23
	s_load_dword s8, s[8:9], 0x0
	v_and_b32_e32 v5, -8, v4
	s_mov_b32 s15, 0
	s_waitcnt lgkmcnt(0)
	v_lshl_add_u32 v6, v19, 2, s8
	s_mov_b64 s[8:9], 0
.LBB351_285:                            ; =>This Inner Loop Header: Depth=1
	ds_read2st64_b32 v[10:11], v6 offset1:2
	ds_read2st64_b32 v[12:13], v6 offset0:4 offset1:6
	ds_read2st64_b32 v[20:21], v6 offset0:8 offset1:10
	;; [unrolled: 1-line block ×3, first 2 shown]
	v_add_u32_e32 v5, -8, v5
	s_waitcnt lgkmcnt(3)
	v_pk_mul_f32 v[10:11], v[8:9], v[10:11]
	s_waitcnt lgkmcnt(2)
	v_pk_mul_f32 v[12:13], v[8:9], v[12:13]
	ds_write2st64_b32 v6, v10, v11 offset1:2
	ds_write2st64_b32 v6, v12, v13 offset0:4 offset1:6
	ds_read2st64_b32 v[12:13], v6 offset0:16 offset1:18
	s_waitcnt lgkmcnt(4)
	v_pk_mul_f32 v[10:11], v[8:9], v[20:21]
	ds_write2st64_b32 v6, v10, v11 offset0:8 offset1:10
	s_waitcnt lgkmcnt(4)
	v_pk_mul_f32 v[10:11], v[8:9], v[16:17]
	ds_write2st64_b32 v6, v10, v11 offset0:12 offset1:14
	ds_read2st64_b32 v[10:11], v6 offset0:20 offset1:22
	s_waitcnt lgkmcnt(3)
	v_pk_mul_f32 v[12:13], v[8:9], v[12:13]
	ds_read2st64_b32 v[16:17], v6 offset0:24 offset1:26
	ds_write2st64_b32 v6, v12, v13 offset0:16 offset1:18
	ds_read2st64_b32 v[12:13], v6 offset0:28 offset1:30
	s_waitcnt lgkmcnt(3)
	v_pk_mul_f32 v[10:11], v[8:9], v[10:11]
	ds_write2st64_b32 v6, v10, v11 offset0:20 offset1:22
	s_waitcnt lgkmcnt(3)
	v_pk_mul_f32 v[10:11], v[8:9], v[16:17]
	ds_write2st64_b32 v6, v10, v11 offset0:24 offset1:26
	s_waitcnt lgkmcnt(2)
	v_pk_mul_f32 v[10:11], v[8:9], v[12:13]
	s_add_i32 s15, s15, 16
	v_cmp_eq_u32_e32 vcc, 0, v5
	ds_write2st64_b32 v6, v10, v11 offset0:28 offset1:30
	v_add_u32_e32 v6, 0x2000, v6
	s_or_b64 s[8:9], vcc, s[8:9]
	v_mov_b32_e32 v7, s15
	s_andn2_b64 exec, exec, s[8:9]
	s_cbranch_execnz .LBB351_285
; %bb.286:
	s_or_b64 exec, exec, s[8:9]
.LBB351_287:
	s_or_b64 exec, exec, s[6:7]
	v_and_b32_e32 v4, 7, v4
	v_cmp_ne_u32_e32 vcc, 0, v4
	s_and_saveexec_b64 s[6:7], vcc
	s_cbranch_execz .LBB351_290
; %bb.288:
	s_ashr_i32 s19, s18, 31
	s_lshl_b64 s[8:9], s[18:19], 2
	s_getpc_b64 s[22:23]
	s_add_u32 s22, s22, llvm.amdgcn.dynlds.offset.table@rel32@lo+4
	s_addc_u32 s23, s23, llvm.amdgcn.dynlds.offset.table@rel32@hi+12
	s_add_u32 s8, s8, s22
	s_addc_u32 s9, s9, s23
	s_load_dword s8, s[8:9], 0x0
	v_lshlrev_b32_e32 v5, 9, v7
	v_lshlrev_b32_e32 v6, 2, v19
	s_waitcnt lgkmcnt(0)
	v_add3_u32 v5, v5, v6, s8
	s_mov_b64 s[8:9], 0
.LBB351_289:                            ; =>This Inner Loop Header: Depth=1
	ds_read2st64_b32 v[6:7], v5 offset1:2
	v_add_u32_e32 v4, -1, v4
	v_cmp_eq_u32_e32 vcc, 0, v4
	s_or_b64 s[8:9], vcc, s[8:9]
	s_waitcnt lgkmcnt(0)
	v_pk_mul_f32 v[6:7], v[8:9], v[6:7]
	ds_write2st64_b32 v5, v6, v7 offset1:2
	v_add_u32_e32 v5, 0x400, v5
	s_andn2_b64 exec, exec, s[8:9]
	s_cbranch_execnz .LBB351_289
.LBB351_290:
	s_or_b64 exec, exec, s[6:7]
	v_add_u32_e32 v4, 1, v3
	v_and_b32_e32 v5, 0x3fffffe, v4
	v_cmp_ne_u32_e32 vcc, v4, v5
	v_lshl_add_u32 v3, v5, 7, v19
	s_orn2_b64 s[6:7], vcc, exec
.LBB351_291:
	s_or_b64 exec, exec, s[4:5]
	s_and_b64 exec, exec, s[6:7]
	s_cbranch_execz .LBB351_294
; %bb.292:
	s_ashr_i32 s19, s18, 31
	s_lshl_b64 s[4:5], s[18:19], 2
	s_getpc_b64 s[6:7]
	s_add_u32 s6, s6, llvm.amdgcn.dynlds.offset.table@rel32@lo+4
	s_addc_u32 s7, s7, llvm.amdgcn.dynlds.offset.table@rel32@hi+12
	s_add_u32 s4, s4, s6
	s_addc_u32 s5, s5, s7
	s_load_dword s4, s[4:5], 0x0
	s_waitcnt lgkmcnt(0)
	v_lshl_add_u32 v4, v3, 2, s4
	s_mov_b64 s[4:5], 0
.LBB351_293:                            ; =>This Inner Loop Header: Depth=1
	ds_read_b32 v5, v4
	v_add_u32_e32 v3, 0x80, v3
	v_cmp_ge_i32_e32 vcc, v3, v1
	s_or_b64 s[4:5], vcc, s[4:5]
	s_waitcnt lgkmcnt(0)
	v_mul_f32_e32 v5, v8, v5
	ds_write_b32 v4, v5
	v_add_u32_e32 v4, 0x200, v4
	s_andn2_b64 exec, exec, s[4:5]
	s_cbranch_execnz .LBB351_293
.LBB351_294:
	s_or_b64 exec, exec, s[2:3]
	v_cmp_ne_u16_e64 s[2:3], s21, 0
	s_cmp_lg_u64 s[2:3], 0
	s_addc_u32 s8, s13, 0
	v_cmp_eq_u32_e32 vcc, 0, v19
	s_waitcnt lgkmcnt(0)
	s_barrier
	s_and_saveexec_b64 s[2:3], vcc
	s_cbranch_execz .LBB351_296
; %bb.295:
	s_mul_i32 s4, s8, s16
	s_mul_i32 s4, s4, s17
	;; [unrolled: 1-line block ×3, first 2 shown]
	s_ashr_i32 s5, s4, 31
	s_ashr_i32 s7, s6, 31
	;; [unrolled: 1-line block ×3, first 2 shown]
	s_lshl_b64 s[4:5], s[4:5], 2
	s_lshl_b64 s[6:7], s[6:7], 2
	;; [unrolled: 1-line block ×3, first 2 shown]
	s_add_u32 s6, s12, s6
	s_addc_u32 s7, s13, s7
	s_add_u32 s4, s6, s4
	s_addc_u32 s5, s7, s5
	v_lshl_add_u64 v[4:5], s[4:5], 0, v[34:35]
	flat_store_dword v[4:5], v0
	v_lshl_add_u64 v[0:1], s[4:5], 0, v[24:25]
	flat_store_dword v[0:1], v2
.LBB351_296:
	s_or_b64 exec, exec, s[2:3]
	v_mov_b32_e32 v13, 0
	v_and_b32_e32 v16, 1, v19
	v_mov_b32_e32 v12, 0
	v_mov_b32_e32 v19, 0
	;; [unrolled: 1-line block ×7, first 2 shown]
	s_and_saveexec_b64 s[2:3], s[0:1]
	s_cbranch_execz .LBB351_860
; %bb.297:
	flat_load_dword v35, v[26:27]
	scratch_load_dword v0, off, s32 offset:284 ; 4-byte Folded Reload
	s_ashr_i32 s19, s18, 31
	v_mov_b32_e32 v11, 0
	s_lshl_b64 s[0:1], s[18:19], 2
	s_getpc_b64 s[4:5]
	s_add_u32 s4, s4, llvm.amdgcn.dynlds.offset.table@rel32@lo+4
	s_addc_u32 s5, s5, llvm.amdgcn.dynlds.offset.table@rel32@hi+12
	s_add_u32 s0, s0, s4
	s_addc_u32 s1, s1, s5
	s_load_dword s0, s[0:1], 0x0
	v_add_u32_e32 v4, -1, v29
	v_accvgpr_write_b32 a8, v23
	v_accvgpr_write_b32 a5, v22
	;; [unrolled: 1-line block ×3, first 2 shown]
	s_mov_b64 s[4:5], 0
	s_mov_b32 s9, 0x7f800000
	s_movk_i32 s12, 0x7fff
	v_mov_b32_e32 v24, 0
	v_mov_b32_e32 v25, 0
	;; [unrolled: 1-line block ×8, first 2 shown]
	s_waitcnt vmcnt(0)
	v_lshlrev_b32_e32 v2, 3, v0
	v_lshl_add_u64 v[0:1], v[36:37], 0, v[38:39]
	v_and_b32_e32 v10, 0x1f8, v2
	v_lshl_add_u64 v[0:1], v[0:1], 0, v[10:11]
	v_accvgpr_write_b32 a11, v1
	v_accvgpr_write_b32 a10, v0
	v_accvgpr_read_b32 v0, a6
	v_accvgpr_read_b32 v1, a7
	v_lshlrev_b64 v[0:1], 2, v[0:1]
	v_lshl_add_u64 v[0:1], v[30:31], 2, v[0:1]
	v_and_b32_e32 v3, 8, v2
	v_lshl_add_u64 v[14:15], v[14:15], 0, v[0:1]
	v_lshl_add_u32 v0, v28, 4, s26
	v_add3_u32 v10, v0, v3, 7
	v_lshlrev_b32_e32 v0, 5, v16
	v_lshl_or_b32 v0, v28, 6, v0
	v_accvgpr_write_b32 a7, v16
	s_waitcnt lgkmcnt(0)
	v_add_u32_e32 v17, s0, v0
	s_branch .LBB351_299
.LBB351_298:                            ;   in Loop: Header=BB351_299 Depth=1
	s_or_b64 exec, exec, s[0:1]
	v_accvgpr_read_b32 v26, a15
	v_accvgpr_read_b32 v28, a14
	v_and_b32_e32 v27, 0xffff0000, v26
	v_accvgpr_read_b32 v26, a13
	v_and_b32_e32 v43, 0xffff0000, v28
	v_accvgpr_read_b32 v28, a12
	v_and_b32_e32 v26, 0xffff0000, v26
	v_and_b32_e32 v42, 0xffff0000, v28
	v_accvgpr_read_b32 v28, a19
	v_pk_add_f32 v[26:27], v[42:43], v[26:27]
	v_and_b32_e32 v43, 0xffff0000, v28
	v_accvgpr_read_b32 v28, a17
	v_and_b32_e32 v42, 0xffff0000, v28
	v_accvgpr_read_b32 v28, a18
	v_and_b32_e32 v45, 0xffff0000, v28
	v_accvgpr_read_b32 v28, a16
	v_and_b32_e32 v44, 0xffff0000, v28
	v_pk_add_f32 v[42:43], v[44:45], v[42:43]
	v_add_f32_e32 v26, v26, v27
	v_add_f32_e32 v26, v26, v42
	v_add_f32_e32 v28, v26, v43
	v_accvgpr_read_b32 v26, a30
	v_accvgpr_read_b32 v30, a29
	v_and_b32_e32 v27, 0xffff0000, v26
	v_accvgpr_read_b32 v26, a28
	v_and_b32_e32 v43, 0xffff0000, v30
	v_accvgpr_read_b32 v30, a27
	v_and_b32_e32 v26, 0xffff0000, v26
	v_and_b32_e32 v42, 0xffff0000, v30
	v_accvgpr_read_b32 v30, a34
	v_pk_add_f32 v[26:27], v[42:43], v[26:27]
	v_and_b32_e32 v43, 0xffff0000, v30
	v_accvgpr_read_b32 v30, a32
	v_and_b32_e32 v42, 0xffff0000, v30
	v_accvgpr_read_b32 v30, a33
	v_and_b32_e32 v45, 0xffff0000, v30
	v_accvgpr_read_b32 v30, a31
	v_and_b32_e32 v44, 0xffff0000, v30
	v_pk_add_f32 v[42:43], v[44:45], v[42:43]
	v_add_f32_e32 v26, v26, v27
	v_add_f32_e32 v26, v26, v42
	v_add_f32_e32 v30, v26, v43
	;; [unrolled: 21-line block ×3, first 2 shown]
	v_and_b32_e32 v27, 0xffff0000, v9
	v_and_b32_e32 v9, 0xffff0000, v8
	;; [unrolled: 1-line block ×3, first 2 shown]
	v_accvgpr_read_b32 v22, a45
	v_add_f32_e32 v20, v20, v26
	v_and_b32_e32 v26, 0xffff0000, v7
	v_and_b32_e32 v7, 0xffff0000, v6
	v_accvgpr_read_b32 v6, a44
	v_and_b32_e32 v43, 0xffff0000, v22
	v_accvgpr_read_b32 v22, a43
	v_and_b32_e32 v6, 0xffff0000, v6
	v_and_b32_e32 v42, 0xffff0000, v22
	v_pk_add_f32 v[6:7], v[42:43], v[6:7]
	v_pk_add_f32 v[8:9], v[8:9], v[26:27]
	v_add_f32_e32 v6, v6, v7
	v_add_f32_e32 v6, v6, v8
	;; [unrolled: 1-line block ×3, first 2 shown]
	v_and_b32_e32 v27, 0xffff0000, v38
	v_and_b32_e32 v26, 0xffff0000, v36
	;; [unrolled: 1-line block ×4, first 2 shown]
	v_add_f32_e32 v21, v21, v6
	v_and_b32_e32 v7, 0xffff0000, v57
	v_and_b32_e32 v6, 0xffff0000, v47
	;; [unrolled: 1-line block ×4, first 2 shown]
	v_pk_add_f32 v[26:27], v[36:37], v[26:27]
	v_pk_add_f32 v[6:7], v[8:9], v[6:7]
	v_add_f32_e32 v8, v26, v27
	v_add_f32_e32 v6, v8, v6
	;; [unrolled: 1-line block ×4, first 2 shown]
	v_and_b32_e32 v27, 0xffff0000, v61
	v_and_b32_e32 v26, 0xffff0000, v59
	;; [unrolled: 1-line block ×4, first 2 shown]
	v_add_f32_e32 v18, v18, v6
	v_and_b32_e32 v7, 0xffff0000, v50
	v_and_b32_e32 v6, 0xffff0000, v48
	;; [unrolled: 1-line block ×4, first 2 shown]
	v_pk_add_f32 v[26:27], v[28:29], v[26:27]
	v_pk_add_f32 v[6:7], v[8:9], v[6:7]
	v_add_f32_e32 v8, v26, v27
	v_add_f32_e32 v6, v8, v6
	;; [unrolled: 1-line block ×3, first 2 shown]
	v_and_b32_e32 v7, 0xffff0000, v23
	v_and_b32_e32 v23, 0xffff0000, v52
	;; [unrolled: 1-line block ×5, first 2 shown]
	v_add_f32_e32 v19, v19, v6
	v_and_b32_e32 v6, 0xffff0000, v62
	v_and_b32_e32 v9, 0xffff0000, v31
	;; [unrolled: 1-line block ×3, first 2 shown]
	v_pk_add_f32 v[2:3], v[2:3], v[22:23]
	v_pk_add_f32 v[6:7], v[8:9], v[6:7]
	v_add_f32_e32 v2, v2, v3
	v_add_f32_e32 v2, v2, v6
	;; [unrolled: 1-line block ×3, first 2 shown]
	v_and_b32_e32 v7, 0xffff0000, v54
	v_and_b32_e32 v6, 0xffff0000, v1
	;; [unrolled: 1-line block ×4, first 2 shown]
	v_add_f32_e32 v12, v12, v2
	v_and_b32_e32 v3, 0xffff0000, v5
	v_and_b32_e32 v2, 0xffff0000, v40
	;; [unrolled: 1-line block ×4, first 2 shown]
	v_pk_add_f32 v[0:1], v[0:1], v[6:7]
	v_pk_add_f32 v[2:3], v[4:5], v[2:3]
	v_add_f32_e32 v0, v0, v1
	v_add_f32_e32 v0, v0, v2
	;; [unrolled: 1-line block ×4, first 2 shown]
	scratch_load_dword v0, off, s32 offset:188 ; 4-byte Folded Reload
	v_accvgpr_read_b32 v2, a6
	v_add_u32_e32 v2, 2, v2
	v_add_f32_e32 v25, v25, v30
	v_lshl_add_u64 v[14:15], v[14:15], 0, 8
	v_add_u32_e32 v10, 32, v10
	v_accvgpr_write_b32 a6, v2
	v_add_u32_e32 v17, 0x80, v17
	s_waitcnt vmcnt(0)
	v_cmp_ge_i32_e32 vcc, v2, v0
	s_or_b64 s[4:5], vcc, s[4:5]
	s_andn2_b64 exec, exec, s[4:5]
	s_cbranch_execz .LBB351_859
.LBB351_299:                            ; =>This Inner Loop Header: Depth=1
	flat_load_dword v16, v[14:15]
	ds_read2_b64 v[6:9], v17 offset1:1
	ds_read2_b64 v[0:3], v17 offset0:2 offset1:3
                                        ; implicit-def: $vgpr27
	s_waitcnt lgkmcnt(0)
	v_and_b32_e32 v4, 0x7f800000, v6
	v_cmp_ne_u32_e32 vcc, s9, v4
	s_and_saveexec_b64 s[0:1], vcc
	s_xor_b64 s[0:1], exec, s[0:1]
; %bb.300:                              ;   in Loop: Header=BB351_299 Depth=1
	v_bfe_u32 v4, v6, 16, 1
	v_add3_u32 v27, v6, v4, s12
; %bb.301:                              ;   in Loop: Header=BB351_299 Depth=1
	s_andn2_saveexec_b64 s[0:1], s[0:1]
; %bb.302:                              ;   in Loop: Header=BB351_299 Depth=1
	v_or_b32_e32 v4, 0x10000, v6
	v_cmp_eq_u32_sdwa vcc, v6, v11 src0_sel:WORD_0 src1_sel:DWORD
	s_nop 1
	v_cndmask_b32_e32 v27, v4, v6, vcc
; %bb.303:                              ;   in Loop: Header=BB351_299 Depth=1
	s_or_b64 exec, exec, s[0:1]
	v_and_b32_e32 v4, 0x7f800000, v7
	v_cmp_ne_u32_e32 vcc, s9, v4
                                        ; implicit-def: $vgpr26
	s_and_saveexec_b64 s[0:1], vcc
	s_xor_b64 s[0:1], exec, s[0:1]
; %bb.304:                              ;   in Loop: Header=BB351_299 Depth=1
	v_bfe_u32 v4, v7, 16, 1
	v_add3_u32 v26, v7, v4, s12
; %bb.305:                              ;   in Loop: Header=BB351_299 Depth=1
	s_andn2_saveexec_b64 s[0:1], s[0:1]
; %bb.306:                              ;   in Loop: Header=BB351_299 Depth=1
	v_or_b32_e32 v4, 0x10000, v7
	v_cmp_eq_u32_sdwa vcc, v7, v11 src0_sel:WORD_0 src1_sel:DWORD
	s_nop 1
	v_cndmask_b32_e32 v26, v4, v7, vcc
; %bb.307:                              ;   in Loop: Header=BB351_299 Depth=1
	s_or_b64 exec, exec, s[0:1]
	v_and_b32_e32 v4, 0x7f800000, v8
	v_cmp_ne_u32_e32 vcc, s9, v4
                                        ; implicit-def: $vgpr23
	s_and_saveexec_b64 s[0:1], vcc
	s_xor_b64 s[0:1], exec, s[0:1]
; %bb.308:                              ;   in Loop: Header=BB351_299 Depth=1
	v_bfe_u32 v4, v8, 16, 1
	v_add3_u32 v23, v8, v4, s12
; %bb.309:                              ;   in Loop: Header=BB351_299 Depth=1
	s_andn2_saveexec_b64 s[0:1], s[0:1]
; %bb.310:                              ;   in Loop: Header=BB351_299 Depth=1
	v_or_b32_e32 v4, 0x10000, v8
	v_cmp_eq_u32_sdwa vcc, v8, v11 src0_sel:WORD_0 src1_sel:DWORD
	s_nop 1
	v_cndmask_b32_e32 v23, v4, v8, vcc
; %bb.311:                              ;   in Loop: Header=BB351_299 Depth=1
	s_or_b64 exec, exec, s[0:1]
	v_and_b32_e32 v4, 0x7f800000, v9
	v_cmp_ne_u32_e32 vcc, s9, v4
                                        ; implicit-def: $vgpr22
	s_and_saveexec_b64 s[0:1], vcc
	s_xor_b64 s[0:1], exec, s[0:1]
; %bb.312:                              ;   in Loop: Header=BB351_299 Depth=1
	v_bfe_u32 v4, v9, 16, 1
	v_add3_u32 v22, v9, v4, s12
                                        ; implicit-def: $vgpr6_vgpr7_vgpr8_vgpr9
; %bb.313:                              ;   in Loop: Header=BB351_299 Depth=1
	s_andn2_saveexec_b64 s[0:1], s[0:1]
; %bb.314:                              ;   in Loop: Header=BB351_299 Depth=1
	v_or_b32_e32 v4, 0x10000, v9
	v_cmp_eq_u32_sdwa vcc, v9, v11 src0_sel:WORD_0 src1_sel:DWORD
	s_nop 1
	v_cndmask_b32_e32 v22, v4, v9, vcc
; %bb.315:                              ;   in Loop: Header=BB351_299 Depth=1
	s_or_b64 exec, exec, s[0:1]
	v_and_b32_e32 v4, 0x7f800000, v0
	v_cmp_ne_u32_e32 vcc, s9, v4
                                        ; implicit-def: $vgpr7
	s_and_saveexec_b64 s[0:1], vcc
	s_xor_b64 s[0:1], exec, s[0:1]
; %bb.316:                              ;   in Loop: Header=BB351_299 Depth=1
	v_bfe_u32 v4, v0, 16, 1
	v_add3_u32 v7, v0, v4, s12
; %bb.317:                              ;   in Loop: Header=BB351_299 Depth=1
	s_andn2_saveexec_b64 s[0:1], s[0:1]
; %bb.318:                              ;   in Loop: Header=BB351_299 Depth=1
	v_or_b32_e32 v4, 0x10000, v0
	v_cmp_eq_u32_sdwa vcc, v0, v11 src0_sel:WORD_0 src1_sel:DWORD
	s_nop 1
	v_cndmask_b32_e32 v7, v4, v0, vcc
; %bb.319:                              ;   in Loop: Header=BB351_299 Depth=1
	s_or_b64 exec, exec, s[0:1]
	v_and_b32_e32 v0, 0x7f800000, v1
	v_cmp_ne_u32_e32 vcc, s9, v0
                                        ; implicit-def: $vgpr6
	s_and_saveexec_b64 s[0:1], vcc
	s_xor_b64 s[0:1], exec, s[0:1]
; %bb.320:                              ;   in Loop: Header=BB351_299 Depth=1
	v_bfe_u32 v0, v1, 16, 1
	v_add3_u32 v6, v1, v0, s12
; %bb.321:                              ;   in Loop: Header=BB351_299 Depth=1
	s_andn2_saveexec_b64 s[0:1], s[0:1]
; %bb.322:                              ;   in Loop: Header=BB351_299 Depth=1
	v_or_b32_e32 v0, 0x10000, v1
	v_cmp_eq_u32_sdwa vcc, v1, v11 src0_sel:WORD_0 src1_sel:DWORD
	s_nop 1
	v_cndmask_b32_e32 v6, v0, v1, vcc
; %bb.323:                              ;   in Loop: Header=BB351_299 Depth=1
	s_or_b64 exec, exec, s[0:1]
	v_and_b32_e32 v0, 0x7f800000, v2
	v_cmp_ne_u32_e32 vcc, s9, v0
                                        ; implicit-def: $vgpr5
	s_and_saveexec_b64 s[0:1], vcc
	s_xor_b64 s[0:1], exec, s[0:1]
; %bb.324:                              ;   in Loop: Header=BB351_299 Depth=1
	v_bfe_u32 v0, v2, 16, 1
	v_add3_u32 v5, v2, v0, s12
; %bb.325:                              ;   in Loop: Header=BB351_299 Depth=1
	s_andn2_saveexec_b64 s[0:1], s[0:1]
; %bb.326:                              ;   in Loop: Header=BB351_299 Depth=1
	v_or_b32_e32 v0, 0x10000, v2
	v_cmp_eq_u32_sdwa vcc, v2, v11 src0_sel:WORD_0 src1_sel:DWORD
	s_nop 1
	v_cndmask_b32_e32 v5, v0, v2, vcc
; %bb.327:                              ;   in Loop: Header=BB351_299 Depth=1
	s_or_b64 exec, exec, s[0:1]
	v_and_b32_e32 v0, 0x7f800000, v3
	v_cmp_ne_u32_e32 vcc, s9, v0
                                        ; implicit-def: $vgpr4
	s_and_saveexec_b64 s[0:1], vcc
	s_xor_b64 s[0:1], exec, s[0:1]
; %bb.328:                              ;   in Loop: Header=BB351_299 Depth=1
	v_bfe_u32 v0, v3, 16, 1
	v_add3_u32 v4, v3, v0, s12
                                        ; implicit-def: $vgpr0_vgpr1_vgpr2_vgpr3
; %bb.329:                              ;   in Loop: Header=BB351_299 Depth=1
	s_andn2_saveexec_b64 s[0:1], s[0:1]
; %bb.330:                              ;   in Loop: Header=BB351_299 Depth=1
	v_or_b32_e32 v0, 0x10000, v3
	v_cmp_eq_u32_sdwa vcc, v3, v11 src0_sel:WORD_0 src1_sel:DWORD
	s_nop 1
	v_cndmask_b32_e32 v4, v0, v3, vcc
; %bb.331:                              ;   in Loop: Header=BB351_299 Depth=1
	s_or_b64 exec, exec, s[0:1]
	v_accvgpr_read_b32 v2, a10
	v_accvgpr_read_b32 v0, a4
	;; [unrolled: 1-line block ×3, first 2 shown]
	s_waitcnt vmcnt(0)
	v_mad_i64_i32 v[0:1], s[0:1], v16, v0, v[2:3]
	flat_load_dwordx2 v[2:3], v[0:1]
	s_waitcnt vmcnt(0) lgkmcnt(0)
	v_and_b32_e32 v8, 0xff, v2
	v_cvt_f32_fp8_sdwa v8, v8 src0_sel:BYTE_0
	s_nop 0
	v_mul_f32_e32 v9, v35, v8
	v_and_b32_e32 v8, 0x7f800000, v9
	v_cmp_ne_u32_e32 vcc, s9, v8
                                        ; implicit-def: $vgpr8
	s_and_saveexec_b64 s[0:1], vcc
	s_xor_b64 s[0:1], exec, s[0:1]
; %bb.332:                              ;   in Loop: Header=BB351_299 Depth=1
	v_bfe_u32 v8, v9, 16, 1
	v_add3_u32 v8, v9, v8, s12
                                        ; implicit-def: $vgpr9
; %bb.333:                              ;   in Loop: Header=BB351_299 Depth=1
	s_andn2_saveexec_b64 s[0:1], s[0:1]
; %bb.334:                              ;   in Loop: Header=BB351_299 Depth=1
	v_or_b32_e32 v8, 0x10000, v9
	v_cmp_eq_u32_sdwa vcc, v9, v11 src0_sel:WORD_0 src1_sel:DWORD
	s_nop 1
	v_cndmask_b32_e32 v8, v8, v9, vcc
; %bb.335:                              ;   in Loop: Header=BB351_299 Depth=1
	s_or_b64 exec, exec, s[0:1]
	v_bfe_u32 v9, v2, 8, 8
	v_cvt_f32_fp8_sdwa v9, v9 src0_sel:BYTE_0
	s_nop 0
	v_mul_f32_e32 v16, v35, v9
	v_and_b32_e32 v9, 0x7f800000, v16
	v_cmp_ne_u32_e32 vcc, s9, v9
                                        ; implicit-def: $vgpr9
	s_and_saveexec_b64 s[0:1], vcc
	s_xor_b64 s[0:1], exec, s[0:1]
; %bb.336:                              ;   in Loop: Header=BB351_299 Depth=1
	v_bfe_u32 v9, v16, 16, 1
	v_add3_u32 v9, v16, v9, s12
                                        ; implicit-def: $vgpr16
; %bb.337:                              ;   in Loop: Header=BB351_299 Depth=1
	s_andn2_saveexec_b64 s[0:1], s[0:1]
; %bb.338:                              ;   in Loop: Header=BB351_299 Depth=1
	v_or_b32_e32 v9, 0x10000, v16
	v_cmp_eq_u32_sdwa vcc, v16, v11 src0_sel:WORD_0 src1_sel:DWORD
	s_nop 1
	v_cndmask_b32_e32 v9, v9, v16, vcc
; %bb.339:                              ;   in Loop: Header=BB351_299 Depth=1
	s_or_b64 exec, exec, s[0:1]
	v_bfe_u32 v16, v2, 16, 8
	v_cvt_f32_fp8_sdwa v16, v16 src0_sel:BYTE_0
	s_nop 0
	v_mul_f32_e32 v16, v35, v16
	v_and_b32_e32 v28, 0x7f800000, v16
	v_cmp_ne_u32_e32 vcc, s9, v28
                                        ; implicit-def: $vgpr28
	s_and_saveexec_b64 s[0:1], vcc
	s_xor_b64 s[0:1], exec, s[0:1]
; %bb.340:                              ;   in Loop: Header=BB351_299 Depth=1
	v_bfe_u32 v28, v16, 16, 1
	v_add3_u32 v28, v16, v28, s12
                                        ; implicit-def: $vgpr16
; %bb.341:                              ;   in Loop: Header=BB351_299 Depth=1
	s_andn2_saveexec_b64 s[0:1], s[0:1]
; %bb.342:                              ;   in Loop: Header=BB351_299 Depth=1
	v_or_b32_e32 v28, 0x10000, v16
	v_cmp_eq_u32_sdwa vcc, v16, v11 src0_sel:WORD_0 src1_sel:DWORD
	s_nop 1
	v_cndmask_b32_e32 v28, v28, v16, vcc
; %bb.343:                              ;   in Loop: Header=BB351_299 Depth=1
	s_or_b64 exec, exec, s[0:1]
	v_lshrrev_b32_e32 v2, 24, v2
	v_cvt_f32_fp8_sdwa v2, v2 src0_sel:BYTE_0
	s_nop 0
	v_mul_f32_e32 v16, v35, v2
	v_and_b32_e32 v2, 0x7f800000, v16
	v_cmp_ne_u32_e32 vcc, s9, v2
                                        ; implicit-def: $vgpr2
	s_and_saveexec_b64 s[0:1], vcc
	s_xor_b64 s[0:1], exec, s[0:1]
; %bb.344:                              ;   in Loop: Header=BB351_299 Depth=1
	v_bfe_u32 v2, v16, 16, 1
	v_add3_u32 v2, v16, v2, s12
                                        ; implicit-def: $vgpr16
; %bb.345:                              ;   in Loop: Header=BB351_299 Depth=1
	s_andn2_saveexec_b64 s[0:1], s[0:1]
; %bb.346:                              ;   in Loop: Header=BB351_299 Depth=1
	v_or_b32_e32 v2, 0x10000, v16
	v_cmp_eq_u32_sdwa vcc, v16, v11 src0_sel:WORD_0 src1_sel:DWORD
	s_nop 1
	v_cndmask_b32_e32 v2, v2, v16, vcc
; %bb.347:                              ;   in Loop: Header=BB351_299 Depth=1
	s_or_b64 exec, exec, s[0:1]
	v_and_b32_e32 v16, 0xff, v3
	v_cvt_f32_fp8_sdwa v16, v16 src0_sel:BYTE_0
	s_nop 0
	v_mul_f32_e32 v16, v35, v16
	v_and_b32_e32 v29, 0x7f800000, v16
	v_cmp_ne_u32_e32 vcc, s9, v29
                                        ; implicit-def: $vgpr29
	s_and_saveexec_b64 s[0:1], vcc
	s_xor_b64 s[0:1], exec, s[0:1]
; %bb.348:                              ;   in Loop: Header=BB351_299 Depth=1
	v_bfe_u32 v29, v16, 16, 1
	v_add3_u32 v29, v16, v29, s12
                                        ; implicit-def: $vgpr16
; %bb.349:                              ;   in Loop: Header=BB351_299 Depth=1
	s_andn2_saveexec_b64 s[0:1], s[0:1]
; %bb.350:                              ;   in Loop: Header=BB351_299 Depth=1
	v_or_b32_e32 v29, 0x10000, v16
	v_cmp_eq_u32_sdwa vcc, v16, v11 src0_sel:WORD_0 src1_sel:DWORD
	s_nop 1
	v_cndmask_b32_e32 v29, v29, v16, vcc
; %bb.351:                              ;   in Loop: Header=BB351_299 Depth=1
	s_or_b64 exec, exec, s[0:1]
	v_bfe_u32 v16, v3, 8, 8
	v_cvt_f32_fp8_sdwa v16, v16 src0_sel:BYTE_0
	s_nop 0
	v_mul_f32_e32 v30, v35, v16
	v_and_b32_e32 v16, 0x7f800000, v30
	v_cmp_ne_u32_e32 vcc, s9, v16
                                        ; implicit-def: $vgpr16
	s_and_saveexec_b64 s[0:1], vcc
	s_xor_b64 s[0:1], exec, s[0:1]
; %bb.352:                              ;   in Loop: Header=BB351_299 Depth=1
	v_bfe_u32 v16, v30, 16, 1
	v_add3_u32 v16, v30, v16, s12
                                        ; implicit-def: $vgpr30
; %bb.353:                              ;   in Loop: Header=BB351_299 Depth=1
	s_andn2_saveexec_b64 s[0:1], s[0:1]
; %bb.354:                              ;   in Loop: Header=BB351_299 Depth=1
	v_or_b32_e32 v16, 0x10000, v30
	v_cmp_eq_u32_sdwa vcc, v30, v11 src0_sel:WORD_0 src1_sel:DWORD
	s_nop 1
	v_cndmask_b32_e32 v16, v16, v30, vcc
; %bb.355:                              ;   in Loop: Header=BB351_299 Depth=1
	s_or_b64 exec, exec, s[0:1]
	v_bfe_u32 v30, v3, 16, 8
	v_cvt_f32_fp8_sdwa v30, v30 src0_sel:BYTE_0
	s_nop 0
	v_mul_f32_e32 v30, v35, v30
	v_and_b32_e32 v31, 0x7f800000, v30
	v_cmp_ne_u32_e32 vcc, s9, v31
                                        ; implicit-def: $vgpr31
	s_and_saveexec_b64 s[0:1], vcc
	s_xor_b64 s[0:1], exec, s[0:1]
; %bb.356:                              ;   in Loop: Header=BB351_299 Depth=1
	v_bfe_u32 v31, v30, 16, 1
	v_add3_u32 v31, v30, v31, s12
                                        ; implicit-def: $vgpr30
; %bb.357:                              ;   in Loop: Header=BB351_299 Depth=1
	s_andn2_saveexec_b64 s[0:1], s[0:1]
; %bb.358:                              ;   in Loop: Header=BB351_299 Depth=1
	v_or_b32_e32 v31, 0x10000, v30
	v_cmp_eq_u32_sdwa vcc, v30, v11 src0_sel:WORD_0 src1_sel:DWORD
	s_nop 1
	v_cndmask_b32_e32 v31, v31, v30, vcc
; %bb.359:                              ;   in Loop: Header=BB351_299 Depth=1
	s_or_b64 exec, exec, s[0:1]
	v_lshrrev_b32_e32 v3, 24, v3
	v_cvt_f32_fp8_sdwa v3, v3 src0_sel:BYTE_0
                                        ; implicit-def: $vgpr32
	s_nop 0
	v_mul_f32_e32 v3, v35, v3
	v_and_b32_e32 v30, 0x7f800000, v3
	v_cmp_ne_u32_e32 vcc, s9, v30
	s_and_saveexec_b64 s[0:1], vcc
	s_xor_b64 s[0:1], exec, s[0:1]
; %bb.360:                              ;   in Loop: Header=BB351_299 Depth=1
	v_bfe_u32 v30, v3, 16, 1
	v_add3_u32 v32, v3, v30, s12
                                        ; implicit-def: $vgpr3
; %bb.361:                              ;   in Loop: Header=BB351_299 Depth=1
	s_andn2_saveexec_b64 s[0:1], s[0:1]
; %bb.362:                              ;   in Loop: Header=BB351_299 Depth=1
	v_or_b32_e32 v30, 0x10000, v3
	v_cmp_eq_u32_sdwa vcc, v3, v11 src0_sel:WORD_0 src1_sel:DWORD
	s_nop 1
	v_cndmask_b32_e32 v32, v30, v3, vcc
; %bb.363:                              ;   in Loop: Header=BB351_299 Depth=1
	s_or_b64 exec, exec, s[0:1]
	v_accvgpr_read_b32 v30, a6
	v_accvgpr_read_b32 v3, a9
	v_cmp_eq_u32_e32 vcc, v3, v30
	v_add_u32_e32 v3, -7, v10
	v_accvgpr_write_b32 a20, v3
	v_lshrrev_b32_e32 v3, 16, v31
	v_add_u32_e32 v31, -6, v10
	v_accvgpr_write_b32 a26, v31
	v_add_u32_e32 v31, -5, v10
	v_accvgpr_write_b32 a25, v31
	;; [unrolled: 2-line block ×5, first 2 shown]
	v_add_u32_e32 v31, -1, v10
	v_lshrrev_b32_e32 v16, 16, v16
	v_lshrrev_b32_e32 v29, 16, v29
	;; [unrolled: 1-line block ×7, first 2 shown]
	v_accvgpr_write_b32 a21, v31
	s_and_saveexec_b64 s[6:7], vcc
	s_cbranch_execz .LBB351_365
; %bb.364:                              ;   in Loop: Header=BB351_299 Depth=1
	v_accvgpr_read_b32 v31, a20
	v_cmp_lt_i32_e64 s[0:1], v31, v33
	v_accvgpr_read_b32 v31, a26
	s_nop 0
	v_cndmask_b32_e64 v8, 0, v8, s[0:1]
	v_cmp_lt_i32_e64 s[0:1], v31, v33
	v_accvgpr_read_b32 v31, a25
	s_nop 0
	v_cndmask_b32_e64 v9, 0, v9, s[0:1]
	;; [unrolled: 4-line block ×6, first 2 shown]
	v_cmp_lt_i32_e64 s[0:1], v31, v33
	s_nop 1
	v_cndmask_b32_e64 v3, 0, v3, s[0:1]
	v_cmp_lt_i32_e64 s[0:1], v10, v33
	s_nop 1
	v_cndmask_b32_e64 v2, 0, v2, s[0:1]
.LBB351_365:                            ;   in Loop: Header=BB351_299 Depth=1
	s_or_b64 exec, exec, s[6:7]
	v_and_b32_e32 v54, 0xffff0000, v27
	v_lshlrev_b32_e32 v8, 16, v8
	v_mul_f32_e32 v8, v54, v8
	v_and_b32_e32 v27, 0x7f800000, v8
	v_cmp_ne_u32_e64 s[0:1], s9, v27
                                        ; implicit-def: $agpr12
	s_and_saveexec_b64 s[6:7], s[0:1]
	s_xor_b64 s[0:1], exec, s[6:7]
; %bb.366:                              ;   in Loop: Header=BB351_299 Depth=1
	v_bfe_u32 v27, v8, 16, 1
	v_add3_u32 v8, v8, v27, s12
	v_accvgpr_write_b32 a12, v8
                                        ; implicit-def: $vgpr8
; %bb.367:                              ;   in Loop: Header=BB351_299 Depth=1
	s_andn2_saveexec_b64 s[6:7], s[0:1]
; %bb.368:                              ;   in Loop: Header=BB351_299 Depth=1
	v_or_b32_e32 v27, 0x10000, v8
	v_cmp_eq_u32_sdwa s[0:1], v8, v11 src0_sel:WORD_0 src1_sel:DWORD
	s_nop 1
	v_cndmask_b32_e64 v8, v27, v8, s[0:1]
	v_accvgpr_write_b32 a12, v8
; %bb.369:                              ;   in Loop: Header=BB351_299 Depth=1
	s_or_b64 exec, exec, s[6:7]
	v_and_b32_e32 v55, 0xffff0000, v26
	v_lshlrev_b32_e32 v8, 16, v9
	v_mul_f32_e32 v8, v55, v8
	v_and_b32_e32 v9, 0x7f800000, v8
	v_cmp_ne_u32_e64 s[0:1], s9, v9
                                        ; implicit-def: $agpr13
	s_and_saveexec_b64 s[6:7], s[0:1]
	s_xor_b64 s[0:1], exec, s[6:7]
; %bb.370:                              ;   in Loop: Header=BB351_299 Depth=1
	v_bfe_u32 v9, v8, 16, 1
	v_add3_u32 v8, v8, v9, s12
	v_accvgpr_write_b32 a13, v8
                                        ; implicit-def: $vgpr8
; %bb.371:                              ;   in Loop: Header=BB351_299 Depth=1
	s_andn2_saveexec_b64 s[6:7], s[0:1]
; %bb.372:                              ;   in Loop: Header=BB351_299 Depth=1
	v_or_b32_e32 v9, 0x10000, v8
	v_cmp_eq_u32_sdwa s[0:1], v8, v11 src0_sel:WORD_0 src1_sel:DWORD
	s_nop 1
	v_cndmask_b32_e64 v8, v9, v8, s[0:1]
	v_accvgpr_write_b32 a13, v8
; %bb.373:                              ;   in Loop: Header=BB351_299 Depth=1
	s_or_b64 exec, exec, s[6:7]
	v_and_b32_e32 v40, 0xffff0000, v23
	v_lshlrev_b32_e32 v8, 16, v28
	v_mul_f32_e32 v8, v40, v8
	v_and_b32_e32 v9, 0x7f800000, v8
	v_cmp_ne_u32_e64 s[0:1], s9, v9
                                        ; implicit-def: $agpr14
	s_and_saveexec_b64 s[6:7], s[0:1]
	s_xor_b64 s[0:1], exec, s[6:7]
; %bb.374:                              ;   in Loop: Header=BB351_299 Depth=1
	v_bfe_u32 v9, v8, 16, 1
	v_add3_u32 v8, v8, v9, s12
	v_accvgpr_write_b32 a14, v8
                                        ; implicit-def: $vgpr8
; %bb.375:                              ;   in Loop: Header=BB351_299 Depth=1
	s_andn2_saveexec_b64 s[6:7], s[0:1]
; %bb.376:                              ;   in Loop: Header=BB351_299 Depth=1
	v_or_b32_e32 v9, 0x10000, v8
	v_cmp_eq_u32_sdwa s[0:1], v8, v11 src0_sel:WORD_0 src1_sel:DWORD
	s_nop 1
	v_cndmask_b32_e64 v8, v9, v8, s[0:1]
	v_accvgpr_write_b32 a14, v8
; %bb.377:                              ;   in Loop: Header=BB351_299 Depth=1
	s_or_b64 exec, exec, s[6:7]
	v_and_b32_e32 v41, 0xffff0000, v22
	v_lshlrev_b32_e32 v8, 16, v30
	v_mul_f32_e32 v8, v41, v8
	v_and_b32_e32 v9, 0x7f800000, v8
	v_cmp_ne_u32_e64 s[0:1], s9, v9
                                        ; implicit-def: $agpr15
	s_and_saveexec_b64 s[6:7], s[0:1]
	s_xor_b64 s[0:1], exec, s[6:7]
; %bb.378:                              ;   in Loop: Header=BB351_299 Depth=1
	v_bfe_u32 v9, v8, 16, 1
	v_add3_u32 v8, v8, v9, s12
	v_accvgpr_write_b32 a15, v8
                                        ; implicit-def: $vgpr8
; %bb.379:                              ;   in Loop: Header=BB351_299 Depth=1
	s_andn2_saveexec_b64 s[6:7], s[0:1]
; %bb.380:                              ;   in Loop: Header=BB351_299 Depth=1
	v_or_b32_e32 v9, 0x10000, v8
	v_cmp_eq_u32_sdwa s[0:1], v8, v11 src0_sel:WORD_0 src1_sel:DWORD
	s_nop 1
	v_cndmask_b32_e64 v8, v9, v8, s[0:1]
	v_accvgpr_write_b32 a15, v8
; %bb.381:                              ;   in Loop: Header=BB351_299 Depth=1
	s_or_b64 exec, exec, s[6:7]
	v_and_b32_e32 v42, 0xffff0000, v7
	v_lshlrev_b32_e32 v7, 16, v29
	v_mul_f32_e32 v7, v42, v7
	v_and_b32_e32 v8, 0x7f800000, v7
	v_cmp_ne_u32_e64 s[0:1], s9, v8
                                        ; implicit-def: $agpr16
	s_and_saveexec_b64 s[6:7], s[0:1]
	s_xor_b64 s[0:1], exec, s[6:7]
; %bb.382:                              ;   in Loop: Header=BB351_299 Depth=1
	v_bfe_u32 v8, v7, 16, 1
	v_add3_u32 v7, v7, v8, s12
	v_accvgpr_write_b32 a16, v7
                                        ; implicit-def: $vgpr7
; %bb.383:                              ;   in Loop: Header=BB351_299 Depth=1
	s_andn2_saveexec_b64 s[6:7], s[0:1]
; %bb.384:                              ;   in Loop: Header=BB351_299 Depth=1
	v_or_b32_e32 v8, 0x10000, v7
	v_cmp_eq_u32_sdwa s[0:1], v7, v11 src0_sel:WORD_0 src1_sel:DWORD
	s_nop 1
	v_cndmask_b32_e64 v7, v8, v7, s[0:1]
	v_accvgpr_write_b32 a16, v7
; %bb.385:                              ;   in Loop: Header=BB351_299 Depth=1
	s_or_b64 exec, exec, s[6:7]
	v_and_b32_e32 v43, 0xffff0000, v6
	v_lshlrev_b32_e32 v6, 16, v16
	v_mul_f32_e32 v6, v43, v6
	v_and_b32_e32 v7, 0x7f800000, v6
	v_cmp_ne_u32_e64 s[0:1], s9, v7
                                        ; implicit-def: $agpr17
	s_and_saveexec_b64 s[6:7], s[0:1]
	s_xor_b64 s[0:1], exec, s[6:7]
; %bb.386:                              ;   in Loop: Header=BB351_299 Depth=1
	v_bfe_u32 v7, v6, 16, 1
	v_add3_u32 v6, v6, v7, s12
	v_accvgpr_write_b32 a17, v6
                                        ; implicit-def: $vgpr6
; %bb.387:                              ;   in Loop: Header=BB351_299 Depth=1
	s_andn2_saveexec_b64 s[6:7], s[0:1]
; %bb.388:                              ;   in Loop: Header=BB351_299 Depth=1
	v_or_b32_e32 v7, 0x10000, v6
	v_cmp_eq_u32_sdwa s[0:1], v6, v11 src0_sel:WORD_0 src1_sel:DWORD
	s_nop 1
	v_cndmask_b32_e64 v6, v7, v6, s[0:1]
	v_accvgpr_write_b32 a17, v6
; %bb.389:                              ;   in Loop: Header=BB351_299 Depth=1
	s_or_b64 exec, exec, s[6:7]
	v_and_b32_e32 v44, 0xffff0000, v5
	v_lshlrev_b32_e32 v3, 16, v3
	v_mul_f32_e32 v3, v44, v3
	v_and_b32_e32 v5, 0x7f800000, v3
	v_cmp_ne_u32_e64 s[0:1], s9, v5
                                        ; implicit-def: $agpr18
	s_and_saveexec_b64 s[6:7], s[0:1]
	s_xor_b64 s[0:1], exec, s[6:7]
; %bb.390:                              ;   in Loop: Header=BB351_299 Depth=1
	v_bfe_u32 v5, v3, 16, 1
	v_add3_u32 v3, v3, v5, s12
	v_accvgpr_write_b32 a18, v3
                                        ; implicit-def: $vgpr3
; %bb.391:                              ;   in Loop: Header=BB351_299 Depth=1
	s_andn2_saveexec_b64 s[6:7], s[0:1]
; %bb.392:                              ;   in Loop: Header=BB351_299 Depth=1
	v_or_b32_e32 v5, 0x10000, v3
	v_cmp_eq_u32_sdwa s[0:1], v3, v11 src0_sel:WORD_0 src1_sel:DWORD
	s_nop 1
	v_cndmask_b32_e64 v3, v5, v3, s[0:1]
	v_accvgpr_write_b32 a18, v3
; %bb.393:                              ;   in Loop: Header=BB351_299 Depth=1
	s_or_b64 exec, exec, s[6:7]
	v_and_b32_e32 v45, 0xffff0000, v4
	v_lshlrev_b32_e32 v2, 16, v2
	v_mul_f32_e32 v2, v45, v2
	v_and_b32_e32 v3, 0x7f800000, v2
	v_cmp_ne_u32_e64 s[0:1], s9, v3
                                        ; implicit-def: $agpr19
	s_and_saveexec_b64 s[6:7], s[0:1]
	s_xor_b64 s[0:1], exec, s[6:7]
; %bb.394:                              ;   in Loop: Header=BB351_299 Depth=1
	v_bfe_u32 v3, v2, 16, 1
	v_add3_u32 v2, v2, v3, s12
	v_accvgpr_write_b32 a19, v2
                                        ; implicit-def: $vgpr2
; %bb.395:                              ;   in Loop: Header=BB351_299 Depth=1
	s_andn2_saveexec_b64 s[6:7], s[0:1]
; %bb.396:                              ;   in Loop: Header=BB351_299 Depth=1
	v_or_b32_e32 v3, 0x10000, v2
	v_cmp_eq_u32_sdwa s[0:1], v2, v11 src0_sel:WORD_0 src1_sel:DWORD
	s_nop 1
	v_cndmask_b32_e64 v2, v3, v2, s[0:1]
	v_accvgpr_write_b32 a19, v2
; %bb.397:                              ;   in Loop: Header=BB351_299 Depth=1
	s_or_b64 exec, exec, s[6:7]
	flat_load_dwordx2 v[2:3], v[0:1] offset:512
	s_waitcnt vmcnt(0) lgkmcnt(0)
	v_and_b32_e32 v4, 0xff, v2
	v_cvt_f32_fp8_sdwa v4, v4 src0_sel:BYTE_0
	s_nop 0
	v_mul_f32_e32 v5, v35, v4
	v_and_b32_e32 v4, 0x7f800000, v5
	v_cmp_ne_u32_e64 s[0:1], s9, v4
                                        ; implicit-def: $vgpr4
	s_and_saveexec_b64 s[6:7], s[0:1]
	s_xor_b64 s[0:1], exec, s[6:7]
; %bb.398:                              ;   in Loop: Header=BB351_299 Depth=1
	v_bfe_u32 v4, v5, 16, 1
	v_add3_u32 v4, v5, v4, s12
                                        ; implicit-def: $vgpr5
; %bb.399:                              ;   in Loop: Header=BB351_299 Depth=1
	s_andn2_saveexec_b64 s[6:7], s[0:1]
; %bb.400:                              ;   in Loop: Header=BB351_299 Depth=1
	v_or_b32_e32 v4, 0x10000, v5
	v_cmp_eq_u32_sdwa s[0:1], v5, v11 src0_sel:WORD_0 src1_sel:DWORD
	s_nop 1
	v_cndmask_b32_e64 v4, v4, v5, s[0:1]
; %bb.401:                              ;   in Loop: Header=BB351_299 Depth=1
	s_or_b64 exec, exec, s[6:7]
	v_bfe_u32 v5, v2, 8, 8
	v_cvt_f32_fp8_sdwa v5, v5 src0_sel:BYTE_0
	s_nop 0
	v_mul_f32_e32 v6, v35, v5
	v_and_b32_e32 v5, 0x7f800000, v6
	v_cmp_ne_u32_e64 s[0:1], s9, v5
                                        ; implicit-def: $vgpr5
	s_and_saveexec_b64 s[6:7], s[0:1]
	s_xor_b64 s[0:1], exec, s[6:7]
; %bb.402:                              ;   in Loop: Header=BB351_299 Depth=1
	v_bfe_u32 v5, v6, 16, 1
	v_add3_u32 v5, v6, v5, s12
                                        ; implicit-def: $vgpr6
; %bb.403:                              ;   in Loop: Header=BB351_299 Depth=1
	s_andn2_saveexec_b64 s[6:7], s[0:1]
; %bb.404:                              ;   in Loop: Header=BB351_299 Depth=1
	v_or_b32_e32 v5, 0x10000, v6
	v_cmp_eq_u32_sdwa s[0:1], v6, v11 src0_sel:WORD_0 src1_sel:DWORD
	s_nop 1
	v_cndmask_b32_e64 v5, v5, v6, s[0:1]
; %bb.405:                              ;   in Loop: Header=BB351_299 Depth=1
	s_or_b64 exec, exec, s[6:7]
	v_bfe_u32 v6, v2, 16, 8
	v_cvt_f32_fp8_sdwa v6, v6 src0_sel:BYTE_0
	s_nop 0
	v_mul_f32_e32 v6, v35, v6
	v_and_b32_e32 v7, 0x7f800000, v6
	v_cmp_ne_u32_e64 s[0:1], s9, v7
                                        ; implicit-def: $vgpr7
	s_and_saveexec_b64 s[6:7], s[0:1]
	s_xor_b64 s[0:1], exec, s[6:7]
; %bb.406:                              ;   in Loop: Header=BB351_299 Depth=1
	v_bfe_u32 v7, v6, 16, 1
	v_add3_u32 v7, v6, v7, s12
                                        ; implicit-def: $vgpr6
; %bb.407:                              ;   in Loop: Header=BB351_299 Depth=1
	s_andn2_saveexec_b64 s[6:7], s[0:1]
; %bb.408:                              ;   in Loop: Header=BB351_299 Depth=1
	v_or_b32_e32 v7, 0x10000, v6
	v_cmp_eq_u32_sdwa s[0:1], v6, v11 src0_sel:WORD_0 src1_sel:DWORD
	s_nop 1
	v_cndmask_b32_e64 v7, v7, v6, s[0:1]
; %bb.409:                              ;   in Loop: Header=BB351_299 Depth=1
	s_or_b64 exec, exec, s[6:7]
	v_lshrrev_b32_e32 v2, 24, v2
	v_cvt_f32_fp8_sdwa v2, v2 src0_sel:BYTE_0
	s_nop 0
	v_mul_f32_e32 v6, v35, v2
	v_and_b32_e32 v2, 0x7f800000, v6
	v_cmp_ne_u32_e64 s[0:1], s9, v2
                                        ; implicit-def: $vgpr2
	s_and_saveexec_b64 s[6:7], s[0:1]
	s_xor_b64 s[0:1], exec, s[6:7]
; %bb.410:                              ;   in Loop: Header=BB351_299 Depth=1
	v_bfe_u32 v2, v6, 16, 1
	v_add3_u32 v2, v6, v2, s12
                                        ; implicit-def: $vgpr6
; %bb.411:                              ;   in Loop: Header=BB351_299 Depth=1
	s_andn2_saveexec_b64 s[6:7], s[0:1]
; %bb.412:                              ;   in Loop: Header=BB351_299 Depth=1
	v_or_b32_e32 v2, 0x10000, v6
	v_cmp_eq_u32_sdwa s[0:1], v6, v11 src0_sel:WORD_0 src1_sel:DWORD
	s_nop 1
	v_cndmask_b32_e64 v2, v2, v6, s[0:1]
; %bb.413:                              ;   in Loop: Header=BB351_299 Depth=1
	s_or_b64 exec, exec, s[6:7]
	v_and_b32_e32 v6, 0xff, v3
	v_cvt_f32_fp8_sdwa v6, v6 src0_sel:BYTE_0
	s_nop 0
	v_mul_f32_e32 v6, v35, v6
	v_and_b32_e32 v8, 0x7f800000, v6
	v_cmp_ne_u32_e64 s[0:1], s9, v8
                                        ; implicit-def: $vgpr8
	s_and_saveexec_b64 s[6:7], s[0:1]
	s_xor_b64 s[0:1], exec, s[6:7]
; %bb.414:                              ;   in Loop: Header=BB351_299 Depth=1
	v_bfe_u32 v8, v6, 16, 1
	v_add3_u32 v8, v6, v8, s12
                                        ; implicit-def: $vgpr6
; %bb.415:                              ;   in Loop: Header=BB351_299 Depth=1
	s_andn2_saveexec_b64 s[6:7], s[0:1]
; %bb.416:                              ;   in Loop: Header=BB351_299 Depth=1
	v_or_b32_e32 v8, 0x10000, v6
	v_cmp_eq_u32_sdwa s[0:1], v6, v11 src0_sel:WORD_0 src1_sel:DWORD
	s_nop 1
	v_cndmask_b32_e64 v8, v8, v6, s[0:1]
; %bb.417:                              ;   in Loop: Header=BB351_299 Depth=1
	s_or_b64 exec, exec, s[6:7]
	v_bfe_u32 v6, v3, 8, 8
	v_cvt_f32_fp8_sdwa v6, v6 src0_sel:BYTE_0
	s_nop 0
	v_mul_f32_e32 v9, v35, v6
	v_and_b32_e32 v6, 0x7f800000, v9
	v_cmp_ne_u32_e64 s[0:1], s9, v6
                                        ; implicit-def: $vgpr6
	s_and_saveexec_b64 s[6:7], s[0:1]
	s_xor_b64 s[0:1], exec, s[6:7]
; %bb.418:                              ;   in Loop: Header=BB351_299 Depth=1
	v_bfe_u32 v6, v9, 16, 1
	v_add3_u32 v6, v9, v6, s12
                                        ; implicit-def: $vgpr9
; %bb.419:                              ;   in Loop: Header=BB351_299 Depth=1
	s_andn2_saveexec_b64 s[6:7], s[0:1]
; %bb.420:                              ;   in Loop: Header=BB351_299 Depth=1
	v_or_b32_e32 v6, 0x10000, v9
	v_cmp_eq_u32_sdwa s[0:1], v9, v11 src0_sel:WORD_0 src1_sel:DWORD
	s_nop 1
	v_cndmask_b32_e64 v6, v6, v9, s[0:1]
; %bb.421:                              ;   in Loop: Header=BB351_299 Depth=1
	s_or_b64 exec, exec, s[6:7]
	v_bfe_u32 v9, v3, 16, 8
	v_cvt_f32_fp8_sdwa v9, v9 src0_sel:BYTE_0
	s_nop 0
	v_mul_f32_e32 v9, v35, v9
	v_and_b32_e32 v16, 0x7f800000, v9
	v_cmp_ne_u32_e64 s[0:1], s9, v16
                                        ; implicit-def: $vgpr16
	s_and_saveexec_b64 s[6:7], s[0:1]
	s_xor_b64 s[0:1], exec, s[6:7]
; %bb.422:                              ;   in Loop: Header=BB351_299 Depth=1
	v_bfe_u32 v16, v9, 16, 1
	v_add3_u32 v16, v9, v16, s12
                                        ; implicit-def: $vgpr9
; %bb.423:                              ;   in Loop: Header=BB351_299 Depth=1
	s_andn2_saveexec_b64 s[6:7], s[0:1]
; %bb.424:                              ;   in Loop: Header=BB351_299 Depth=1
	v_or_b32_e32 v16, 0x10000, v9
	v_cmp_eq_u32_sdwa s[0:1], v9, v11 src0_sel:WORD_0 src1_sel:DWORD
	s_nop 1
	v_cndmask_b32_e64 v16, v16, v9, s[0:1]
; %bb.425:                              ;   in Loop: Header=BB351_299 Depth=1
	s_or_b64 exec, exec, s[6:7]
	v_lshrrev_b32_e32 v3, 24, v3
	v_cvt_f32_fp8_sdwa v3, v3 src0_sel:BYTE_0
                                        ; implicit-def: $vgpr22
	s_nop 0
	v_mul_f32_e32 v3, v35, v3
	v_and_b32_e32 v9, 0x7f800000, v3
	v_cmp_ne_u32_e64 s[0:1], s9, v9
	s_and_saveexec_b64 s[6:7], s[0:1]
	s_xor_b64 s[0:1], exec, s[6:7]
; %bb.426:                              ;   in Loop: Header=BB351_299 Depth=1
	v_bfe_u32 v9, v3, 16, 1
	v_add3_u32 v22, v3, v9, s12
                                        ; implicit-def: $vgpr3
; %bb.427:                              ;   in Loop: Header=BB351_299 Depth=1
	s_andn2_saveexec_b64 s[6:7], s[0:1]
; %bb.428:                              ;   in Loop: Header=BB351_299 Depth=1
	v_or_b32_e32 v9, 0x10000, v3
	v_cmp_eq_u32_sdwa s[0:1], v3, v11 src0_sel:WORD_0 src1_sel:DWORD
	s_nop 1
	v_cndmask_b32_e64 v22, v9, v3, s[0:1]
; %bb.429:                              ;   in Loop: Header=BB351_299 Depth=1
	s_or_b64 exec, exec, s[6:7]
	v_lshrrev_b32_e32 v6, 16, v6
	v_lshrrev_b32_e32 v8, 16, v8
	;; [unrolled: 1-line block ×8, first 2 shown]
	s_and_saveexec_b64 s[6:7], vcc
	s_cbranch_execz .LBB351_431
; %bb.430:                              ;   in Loop: Header=BB351_299 Depth=1
	v_accvgpr_read_b32 v16, a20
	v_cmp_lt_i32_e64 s[0:1], v16, v33
	v_accvgpr_read_b32 v16, a26
	s_nop 0
	v_cndmask_b32_e64 v4, 0, v4, s[0:1]
	v_cmp_lt_i32_e64 s[0:1], v16, v33
	v_accvgpr_read_b32 v16, a25
	s_nop 0
	v_cndmask_b32_e64 v5, 0, v5, s[0:1]
	;; [unrolled: 4-line block ×6, first 2 shown]
	v_cmp_lt_i32_e64 s[0:1], v16, v33
	s_nop 1
	v_cndmask_b32_e64 v3, 0, v3, s[0:1]
	v_cmp_lt_i32_e64 s[0:1], v10, v33
	s_nop 1
	v_cndmask_b32_e64 v2, 0, v2, s[0:1]
.LBB351_431:                            ;   in Loop: Header=BB351_299 Depth=1
	s_or_b64 exec, exec, s[6:7]
	v_lshlrev_b32_e32 v4, 16, v4
	v_mul_f32_e32 v4, v54, v4
	v_and_b32_e32 v16, 0x7f800000, v4
	v_cmp_ne_u32_e64 s[0:1], s9, v16
                                        ; implicit-def: $agpr27
	s_and_saveexec_b64 s[6:7], s[0:1]
	s_xor_b64 s[0:1], exec, s[6:7]
; %bb.432:                              ;   in Loop: Header=BB351_299 Depth=1
	v_bfe_u32 v16, v4, 16, 1
	v_add3_u32 v4, v4, v16, s12
	v_accvgpr_write_b32 a27, v4
                                        ; implicit-def: $vgpr4
; %bb.433:                              ;   in Loop: Header=BB351_299 Depth=1
	s_andn2_saveexec_b64 s[6:7], s[0:1]
; %bb.434:                              ;   in Loop: Header=BB351_299 Depth=1
	v_or_b32_e32 v16, 0x10000, v4
	v_cmp_eq_u32_sdwa s[0:1], v4, v11 src0_sel:WORD_0 src1_sel:DWORD
	s_nop 1
	v_cndmask_b32_e64 v4, v16, v4, s[0:1]
	v_accvgpr_write_b32 a27, v4
; %bb.435:                              ;   in Loop: Header=BB351_299 Depth=1
	s_or_b64 exec, exec, s[6:7]
	v_lshlrev_b32_e32 v4, 16, v5
	v_mul_f32_e32 v4, v55, v4
	v_and_b32_e32 v5, 0x7f800000, v4
	v_cmp_ne_u32_e64 s[0:1], s9, v5
                                        ; implicit-def: $agpr28
	s_and_saveexec_b64 s[6:7], s[0:1]
	s_xor_b64 s[0:1], exec, s[6:7]
; %bb.436:                              ;   in Loop: Header=BB351_299 Depth=1
	v_bfe_u32 v5, v4, 16, 1
	v_add3_u32 v4, v4, v5, s12
	v_accvgpr_write_b32 a28, v4
                                        ; implicit-def: $vgpr4
; %bb.437:                              ;   in Loop: Header=BB351_299 Depth=1
	s_andn2_saveexec_b64 s[6:7], s[0:1]
; %bb.438:                              ;   in Loop: Header=BB351_299 Depth=1
	v_or_b32_e32 v5, 0x10000, v4
	v_cmp_eq_u32_sdwa s[0:1], v4, v11 src0_sel:WORD_0 src1_sel:DWORD
	s_nop 1
	v_cndmask_b32_e64 v4, v5, v4, s[0:1]
	v_accvgpr_write_b32 a28, v4
; %bb.439:                              ;   in Loop: Header=BB351_299 Depth=1
	s_or_b64 exec, exec, s[6:7]
	v_lshlrev_b32_e32 v4, 16, v7
	v_mul_f32_e32 v4, v40, v4
	v_and_b32_e32 v5, 0x7f800000, v4
	v_cmp_ne_u32_e64 s[0:1], s9, v5
                                        ; implicit-def: $agpr29
	s_and_saveexec_b64 s[6:7], s[0:1]
	s_xor_b64 s[0:1], exec, s[6:7]
; %bb.440:                              ;   in Loop: Header=BB351_299 Depth=1
	v_bfe_u32 v5, v4, 16, 1
	v_add3_u32 v4, v4, v5, s12
	v_accvgpr_write_b32 a29, v4
                                        ; implicit-def: $vgpr4
; %bb.441:                              ;   in Loop: Header=BB351_299 Depth=1
	s_andn2_saveexec_b64 s[6:7], s[0:1]
; %bb.442:                              ;   in Loop: Header=BB351_299 Depth=1
	v_or_b32_e32 v5, 0x10000, v4
	v_cmp_eq_u32_sdwa s[0:1], v4, v11 src0_sel:WORD_0 src1_sel:DWORD
	s_nop 1
	v_cndmask_b32_e64 v4, v5, v4, s[0:1]
	v_accvgpr_write_b32 a29, v4
; %bb.443:                              ;   in Loop: Header=BB351_299 Depth=1
	s_or_b64 exec, exec, s[6:7]
	v_lshlrev_b32_e32 v4, 16, v9
	v_mul_f32_e32 v4, v41, v4
	v_and_b32_e32 v5, 0x7f800000, v4
	v_cmp_ne_u32_e64 s[0:1], s9, v5
                                        ; implicit-def: $agpr30
	s_and_saveexec_b64 s[6:7], s[0:1]
	s_xor_b64 s[0:1], exec, s[6:7]
; %bb.444:                              ;   in Loop: Header=BB351_299 Depth=1
	v_bfe_u32 v5, v4, 16, 1
	v_add3_u32 v4, v4, v5, s12
	v_accvgpr_write_b32 a30, v4
                                        ; implicit-def: $vgpr4
; %bb.445:                              ;   in Loop: Header=BB351_299 Depth=1
	s_andn2_saveexec_b64 s[6:7], s[0:1]
; %bb.446:                              ;   in Loop: Header=BB351_299 Depth=1
	v_or_b32_e32 v5, 0x10000, v4
	v_cmp_eq_u32_sdwa s[0:1], v4, v11 src0_sel:WORD_0 src1_sel:DWORD
	s_nop 1
	v_cndmask_b32_e64 v4, v5, v4, s[0:1]
	v_accvgpr_write_b32 a30, v4
; %bb.447:                              ;   in Loop: Header=BB351_299 Depth=1
	s_or_b64 exec, exec, s[6:7]
	v_lshlrev_b32_e32 v4, 16, v8
	v_mul_f32_e32 v4, v42, v4
	v_and_b32_e32 v5, 0x7f800000, v4
	v_cmp_ne_u32_e64 s[0:1], s9, v5
                                        ; implicit-def: $agpr31
	s_and_saveexec_b64 s[6:7], s[0:1]
	s_xor_b64 s[0:1], exec, s[6:7]
; %bb.448:                              ;   in Loop: Header=BB351_299 Depth=1
	v_bfe_u32 v5, v4, 16, 1
	v_add3_u32 v4, v4, v5, s12
	v_accvgpr_write_b32 a31, v4
                                        ; implicit-def: $vgpr4
; %bb.449:                              ;   in Loop: Header=BB351_299 Depth=1
	s_andn2_saveexec_b64 s[6:7], s[0:1]
; %bb.450:                              ;   in Loop: Header=BB351_299 Depth=1
	v_or_b32_e32 v5, 0x10000, v4
	v_cmp_eq_u32_sdwa s[0:1], v4, v11 src0_sel:WORD_0 src1_sel:DWORD
	s_nop 1
	v_cndmask_b32_e64 v4, v5, v4, s[0:1]
	v_accvgpr_write_b32 a31, v4
; %bb.451:                              ;   in Loop: Header=BB351_299 Depth=1
	s_or_b64 exec, exec, s[6:7]
	v_lshlrev_b32_e32 v4, 16, v6
	v_mul_f32_e32 v4, v43, v4
	v_and_b32_e32 v5, 0x7f800000, v4
	v_cmp_ne_u32_e64 s[0:1], s9, v5
                                        ; implicit-def: $agpr32
	s_and_saveexec_b64 s[6:7], s[0:1]
	s_xor_b64 s[0:1], exec, s[6:7]
; %bb.452:                              ;   in Loop: Header=BB351_299 Depth=1
	v_bfe_u32 v5, v4, 16, 1
	v_add3_u32 v4, v4, v5, s12
	v_accvgpr_write_b32 a32, v4
                                        ; implicit-def: $vgpr4
; %bb.453:                              ;   in Loop: Header=BB351_299 Depth=1
	s_andn2_saveexec_b64 s[6:7], s[0:1]
; %bb.454:                              ;   in Loop: Header=BB351_299 Depth=1
	v_or_b32_e32 v5, 0x10000, v4
	v_cmp_eq_u32_sdwa s[0:1], v4, v11 src0_sel:WORD_0 src1_sel:DWORD
	s_nop 1
	v_cndmask_b32_e64 v4, v5, v4, s[0:1]
	v_accvgpr_write_b32 a32, v4
; %bb.455:                              ;   in Loop: Header=BB351_299 Depth=1
	s_or_b64 exec, exec, s[6:7]
	v_lshlrev_b32_e32 v3, 16, v3
	v_mul_f32_e32 v3, v44, v3
	v_and_b32_e32 v4, 0x7f800000, v3
	v_cmp_ne_u32_e64 s[0:1], s9, v4
                                        ; implicit-def: $agpr33
	s_and_saveexec_b64 s[6:7], s[0:1]
	s_xor_b64 s[0:1], exec, s[6:7]
; %bb.456:                              ;   in Loop: Header=BB351_299 Depth=1
	v_bfe_u32 v4, v3, 16, 1
	v_add3_u32 v3, v3, v4, s12
	v_accvgpr_write_b32 a33, v3
                                        ; implicit-def: $vgpr3
; %bb.457:                              ;   in Loop: Header=BB351_299 Depth=1
	s_andn2_saveexec_b64 s[6:7], s[0:1]
; %bb.458:                              ;   in Loop: Header=BB351_299 Depth=1
	v_or_b32_e32 v4, 0x10000, v3
	v_cmp_eq_u32_sdwa s[0:1], v3, v11 src0_sel:WORD_0 src1_sel:DWORD
	s_nop 1
	v_cndmask_b32_e64 v3, v4, v3, s[0:1]
	v_accvgpr_write_b32 a33, v3
; %bb.459:                              ;   in Loop: Header=BB351_299 Depth=1
	s_or_b64 exec, exec, s[6:7]
	v_lshlrev_b32_e32 v2, 16, v2
	v_mul_f32_e32 v2, v45, v2
	v_and_b32_e32 v3, 0x7f800000, v2
	v_cmp_ne_u32_e64 s[0:1], s9, v3
                                        ; implicit-def: $agpr34
	s_and_saveexec_b64 s[6:7], s[0:1]
	s_xor_b64 s[0:1], exec, s[6:7]
; %bb.460:                              ;   in Loop: Header=BB351_299 Depth=1
	v_bfe_u32 v3, v2, 16, 1
	v_add3_u32 v2, v2, v3, s12
	v_accvgpr_write_b32 a34, v2
                                        ; implicit-def: $vgpr2
; %bb.461:                              ;   in Loop: Header=BB351_299 Depth=1
	s_andn2_saveexec_b64 s[6:7], s[0:1]
; %bb.462:                              ;   in Loop: Header=BB351_299 Depth=1
	v_or_b32_e32 v3, 0x10000, v2
	v_cmp_eq_u32_sdwa s[0:1], v2, v11 src0_sel:WORD_0 src1_sel:DWORD
	s_nop 1
	v_cndmask_b32_e64 v2, v3, v2, s[0:1]
	v_accvgpr_write_b32 a34, v2
; %bb.463:                              ;   in Loop: Header=BB351_299 Depth=1
	s_or_b64 exec, exec, s[6:7]
	flat_load_dwordx2 v[2:3], v[0:1] offset:1024
	s_waitcnt vmcnt(0) lgkmcnt(0)
	v_and_b32_e32 v4, 0xff, v2
	v_cvt_f32_fp8_sdwa v4, v4 src0_sel:BYTE_0
	s_nop 0
	v_mul_f32_e32 v5, v35, v4
	v_and_b32_e32 v4, 0x7f800000, v5
	v_cmp_ne_u32_e64 s[0:1], s9, v4
                                        ; implicit-def: $vgpr4
	s_and_saveexec_b64 s[6:7], s[0:1]
	s_xor_b64 s[0:1], exec, s[6:7]
; %bb.464:                              ;   in Loop: Header=BB351_299 Depth=1
	v_bfe_u32 v4, v5, 16, 1
	v_add3_u32 v4, v5, v4, s12
                                        ; implicit-def: $vgpr5
; %bb.465:                              ;   in Loop: Header=BB351_299 Depth=1
	s_andn2_saveexec_b64 s[6:7], s[0:1]
; %bb.466:                              ;   in Loop: Header=BB351_299 Depth=1
	v_or_b32_e32 v4, 0x10000, v5
	v_cmp_eq_u32_sdwa s[0:1], v5, v11 src0_sel:WORD_0 src1_sel:DWORD
	s_nop 1
	v_cndmask_b32_e64 v4, v4, v5, s[0:1]
; %bb.467:                              ;   in Loop: Header=BB351_299 Depth=1
	s_or_b64 exec, exec, s[6:7]
	v_bfe_u32 v5, v2, 8, 8
	v_cvt_f32_fp8_sdwa v5, v5 src0_sel:BYTE_0
	s_nop 0
	v_mul_f32_e32 v6, v35, v5
	v_and_b32_e32 v5, 0x7f800000, v6
	v_cmp_ne_u32_e64 s[0:1], s9, v5
                                        ; implicit-def: $vgpr5
	s_and_saveexec_b64 s[6:7], s[0:1]
	s_xor_b64 s[0:1], exec, s[6:7]
; %bb.468:                              ;   in Loop: Header=BB351_299 Depth=1
	v_bfe_u32 v5, v6, 16, 1
	v_add3_u32 v5, v6, v5, s12
                                        ; implicit-def: $vgpr6
; %bb.469:                              ;   in Loop: Header=BB351_299 Depth=1
	s_andn2_saveexec_b64 s[6:7], s[0:1]
; %bb.470:                              ;   in Loop: Header=BB351_299 Depth=1
	v_or_b32_e32 v5, 0x10000, v6
	v_cmp_eq_u32_sdwa s[0:1], v6, v11 src0_sel:WORD_0 src1_sel:DWORD
	s_nop 1
	v_cndmask_b32_e64 v5, v5, v6, s[0:1]
; %bb.471:                              ;   in Loop: Header=BB351_299 Depth=1
	s_or_b64 exec, exec, s[6:7]
	v_bfe_u32 v6, v2, 16, 8
	v_cvt_f32_fp8_sdwa v6, v6 src0_sel:BYTE_0
	s_nop 0
	v_mul_f32_e32 v6, v35, v6
	v_and_b32_e32 v7, 0x7f800000, v6
	v_cmp_ne_u32_e64 s[0:1], s9, v7
                                        ; implicit-def: $vgpr7
	s_and_saveexec_b64 s[6:7], s[0:1]
	s_xor_b64 s[0:1], exec, s[6:7]
; %bb.472:                              ;   in Loop: Header=BB351_299 Depth=1
	v_bfe_u32 v7, v6, 16, 1
	v_add3_u32 v7, v6, v7, s12
                                        ; implicit-def: $vgpr6
; %bb.473:                              ;   in Loop: Header=BB351_299 Depth=1
	s_andn2_saveexec_b64 s[6:7], s[0:1]
; %bb.474:                              ;   in Loop: Header=BB351_299 Depth=1
	v_or_b32_e32 v7, 0x10000, v6
	v_cmp_eq_u32_sdwa s[0:1], v6, v11 src0_sel:WORD_0 src1_sel:DWORD
	s_nop 1
	v_cndmask_b32_e64 v7, v7, v6, s[0:1]
; %bb.475:                              ;   in Loop: Header=BB351_299 Depth=1
	s_or_b64 exec, exec, s[6:7]
	v_lshrrev_b32_e32 v2, 24, v2
	v_cvt_f32_fp8_sdwa v2, v2 src0_sel:BYTE_0
	s_nop 0
	v_mul_f32_e32 v6, v35, v2
	v_and_b32_e32 v2, 0x7f800000, v6
	v_cmp_ne_u32_e64 s[0:1], s9, v2
                                        ; implicit-def: $vgpr2
	s_and_saveexec_b64 s[6:7], s[0:1]
	s_xor_b64 s[0:1], exec, s[6:7]
; %bb.476:                              ;   in Loop: Header=BB351_299 Depth=1
	v_bfe_u32 v2, v6, 16, 1
	v_add3_u32 v2, v6, v2, s12
                                        ; implicit-def: $vgpr6
; %bb.477:                              ;   in Loop: Header=BB351_299 Depth=1
	s_andn2_saveexec_b64 s[6:7], s[0:1]
; %bb.478:                              ;   in Loop: Header=BB351_299 Depth=1
	v_or_b32_e32 v2, 0x10000, v6
	v_cmp_eq_u32_sdwa s[0:1], v6, v11 src0_sel:WORD_0 src1_sel:DWORD
	s_nop 1
	v_cndmask_b32_e64 v2, v2, v6, s[0:1]
; %bb.479:                              ;   in Loop: Header=BB351_299 Depth=1
	s_or_b64 exec, exec, s[6:7]
	v_and_b32_e32 v6, 0xff, v3
	v_cvt_f32_fp8_sdwa v6, v6 src0_sel:BYTE_0
	s_nop 0
	v_mul_f32_e32 v6, v35, v6
	v_and_b32_e32 v8, 0x7f800000, v6
	v_cmp_ne_u32_e64 s[0:1], s9, v8
                                        ; implicit-def: $vgpr8
	s_and_saveexec_b64 s[6:7], s[0:1]
	s_xor_b64 s[0:1], exec, s[6:7]
; %bb.480:                              ;   in Loop: Header=BB351_299 Depth=1
	v_bfe_u32 v8, v6, 16, 1
	v_add3_u32 v8, v6, v8, s12
                                        ; implicit-def: $vgpr6
; %bb.481:                              ;   in Loop: Header=BB351_299 Depth=1
	s_andn2_saveexec_b64 s[6:7], s[0:1]
; %bb.482:                              ;   in Loop: Header=BB351_299 Depth=1
	v_or_b32_e32 v8, 0x10000, v6
	v_cmp_eq_u32_sdwa s[0:1], v6, v11 src0_sel:WORD_0 src1_sel:DWORD
	s_nop 1
	v_cndmask_b32_e64 v8, v8, v6, s[0:1]
; %bb.483:                              ;   in Loop: Header=BB351_299 Depth=1
	s_or_b64 exec, exec, s[6:7]
	v_bfe_u32 v6, v3, 8, 8
	v_cvt_f32_fp8_sdwa v6, v6 src0_sel:BYTE_0
	s_nop 0
	v_mul_f32_e32 v9, v35, v6
	v_and_b32_e32 v6, 0x7f800000, v9
	v_cmp_ne_u32_e64 s[0:1], s9, v6
                                        ; implicit-def: $vgpr6
	s_and_saveexec_b64 s[6:7], s[0:1]
	s_xor_b64 s[0:1], exec, s[6:7]
; %bb.484:                              ;   in Loop: Header=BB351_299 Depth=1
	v_bfe_u32 v6, v9, 16, 1
	v_add3_u32 v6, v9, v6, s12
                                        ; implicit-def: $vgpr9
; %bb.485:                              ;   in Loop: Header=BB351_299 Depth=1
	s_andn2_saveexec_b64 s[6:7], s[0:1]
; %bb.486:                              ;   in Loop: Header=BB351_299 Depth=1
	v_or_b32_e32 v6, 0x10000, v9
	v_cmp_eq_u32_sdwa s[0:1], v9, v11 src0_sel:WORD_0 src1_sel:DWORD
	s_nop 1
	v_cndmask_b32_e64 v6, v6, v9, s[0:1]
; %bb.487:                              ;   in Loop: Header=BB351_299 Depth=1
	s_or_b64 exec, exec, s[6:7]
	v_bfe_u32 v9, v3, 16, 8
	v_cvt_f32_fp8_sdwa v9, v9 src0_sel:BYTE_0
	s_nop 0
	v_mul_f32_e32 v9, v35, v9
	v_and_b32_e32 v16, 0x7f800000, v9
	v_cmp_ne_u32_e64 s[0:1], s9, v16
                                        ; implicit-def: $vgpr16
	s_and_saveexec_b64 s[6:7], s[0:1]
	s_xor_b64 s[0:1], exec, s[6:7]
; %bb.488:                              ;   in Loop: Header=BB351_299 Depth=1
	v_bfe_u32 v16, v9, 16, 1
	v_add3_u32 v16, v9, v16, s12
                                        ; implicit-def: $vgpr9
; %bb.489:                              ;   in Loop: Header=BB351_299 Depth=1
	s_andn2_saveexec_b64 s[6:7], s[0:1]
; %bb.490:                              ;   in Loop: Header=BB351_299 Depth=1
	v_or_b32_e32 v16, 0x10000, v9
	v_cmp_eq_u32_sdwa s[0:1], v9, v11 src0_sel:WORD_0 src1_sel:DWORD
	s_nop 1
	v_cndmask_b32_e64 v16, v16, v9, s[0:1]
; %bb.491:                              ;   in Loop: Header=BB351_299 Depth=1
	s_or_b64 exec, exec, s[6:7]
	v_lshrrev_b32_e32 v3, 24, v3
	v_cvt_f32_fp8_sdwa v3, v3 src0_sel:BYTE_0
                                        ; implicit-def: $vgpr22
	s_nop 0
	v_mul_f32_e32 v3, v35, v3
	v_and_b32_e32 v9, 0x7f800000, v3
	v_cmp_ne_u32_e64 s[0:1], s9, v9
	s_and_saveexec_b64 s[6:7], s[0:1]
	s_xor_b64 s[0:1], exec, s[6:7]
; %bb.492:                              ;   in Loop: Header=BB351_299 Depth=1
	v_bfe_u32 v9, v3, 16, 1
	v_add3_u32 v22, v3, v9, s12
                                        ; implicit-def: $vgpr3
; %bb.493:                              ;   in Loop: Header=BB351_299 Depth=1
	s_andn2_saveexec_b64 s[6:7], s[0:1]
; %bb.494:                              ;   in Loop: Header=BB351_299 Depth=1
	v_or_b32_e32 v9, 0x10000, v3
	v_cmp_eq_u32_sdwa s[0:1], v3, v11 src0_sel:WORD_0 src1_sel:DWORD
	s_nop 1
	v_cndmask_b32_e64 v22, v9, v3, s[0:1]
; %bb.495:                              ;   in Loop: Header=BB351_299 Depth=1
	s_or_b64 exec, exec, s[6:7]
	v_lshrrev_b32_e32 v6, 16, v6
	v_lshrrev_b32_e32 v8, 16, v8
	;; [unrolled: 1-line block ×8, first 2 shown]
	s_and_saveexec_b64 s[6:7], vcc
	s_cbranch_execz .LBB351_497
; %bb.496:                              ;   in Loop: Header=BB351_299 Depth=1
	v_accvgpr_read_b32 v16, a20
	v_cmp_lt_i32_e64 s[0:1], v16, v33
	v_accvgpr_read_b32 v16, a26
	s_nop 0
	v_cndmask_b32_e64 v4, 0, v4, s[0:1]
	v_cmp_lt_i32_e64 s[0:1], v16, v33
	v_accvgpr_read_b32 v16, a25
	s_nop 0
	v_cndmask_b32_e64 v5, 0, v5, s[0:1]
	;; [unrolled: 4-line block ×6, first 2 shown]
	v_cmp_lt_i32_e64 s[0:1], v16, v33
	s_nop 1
	v_cndmask_b32_e64 v3, 0, v3, s[0:1]
	v_cmp_lt_i32_e64 s[0:1], v10, v33
	s_nop 1
	v_cndmask_b32_e64 v2, 0, v2, s[0:1]
.LBB351_497:                            ;   in Loop: Header=BB351_299 Depth=1
	s_or_b64 exec, exec, s[6:7]
	v_lshlrev_b32_e32 v4, 16, v4
	v_mul_f32_e32 v4, v54, v4
	v_and_b32_e32 v16, 0x7f800000, v4
	v_cmp_ne_u32_e64 s[0:1], s9, v16
                                        ; implicit-def: $agpr35
	s_and_saveexec_b64 s[6:7], s[0:1]
	s_xor_b64 s[0:1], exec, s[6:7]
; %bb.498:                              ;   in Loop: Header=BB351_299 Depth=1
	v_bfe_u32 v16, v4, 16, 1
	v_add3_u32 v4, v4, v16, s12
	v_accvgpr_write_b32 a35, v4
                                        ; implicit-def: $vgpr4
; %bb.499:                              ;   in Loop: Header=BB351_299 Depth=1
	s_andn2_saveexec_b64 s[6:7], s[0:1]
; %bb.500:                              ;   in Loop: Header=BB351_299 Depth=1
	v_or_b32_e32 v16, 0x10000, v4
	v_cmp_eq_u32_sdwa s[0:1], v4, v11 src0_sel:WORD_0 src1_sel:DWORD
	s_nop 1
	v_cndmask_b32_e64 v4, v16, v4, s[0:1]
	v_accvgpr_write_b32 a35, v4
; %bb.501:                              ;   in Loop: Header=BB351_299 Depth=1
	s_or_b64 exec, exec, s[6:7]
	v_lshlrev_b32_e32 v4, 16, v5
	v_mul_f32_e32 v4, v55, v4
	v_and_b32_e32 v5, 0x7f800000, v4
	v_cmp_ne_u32_e64 s[0:1], s9, v5
                                        ; implicit-def: $agpr36
	s_and_saveexec_b64 s[6:7], s[0:1]
	s_xor_b64 s[0:1], exec, s[6:7]
; %bb.502:                              ;   in Loop: Header=BB351_299 Depth=1
	v_bfe_u32 v5, v4, 16, 1
	v_add3_u32 v4, v4, v5, s12
	v_accvgpr_write_b32 a36, v4
                                        ; implicit-def: $vgpr4
; %bb.503:                              ;   in Loop: Header=BB351_299 Depth=1
	s_andn2_saveexec_b64 s[6:7], s[0:1]
; %bb.504:                              ;   in Loop: Header=BB351_299 Depth=1
	v_or_b32_e32 v5, 0x10000, v4
	v_cmp_eq_u32_sdwa s[0:1], v4, v11 src0_sel:WORD_0 src1_sel:DWORD
	s_nop 1
	v_cndmask_b32_e64 v4, v5, v4, s[0:1]
	v_accvgpr_write_b32 a36, v4
; %bb.505:                              ;   in Loop: Header=BB351_299 Depth=1
	s_or_b64 exec, exec, s[6:7]
	v_lshlrev_b32_e32 v4, 16, v7
	v_mul_f32_e32 v4, v40, v4
	v_and_b32_e32 v5, 0x7f800000, v4
	v_cmp_ne_u32_e64 s[0:1], s9, v5
                                        ; implicit-def: $agpr37
	s_and_saveexec_b64 s[6:7], s[0:1]
	s_xor_b64 s[0:1], exec, s[6:7]
; %bb.506:                              ;   in Loop: Header=BB351_299 Depth=1
	v_bfe_u32 v5, v4, 16, 1
	v_add3_u32 v4, v4, v5, s12
	v_accvgpr_write_b32 a37, v4
                                        ; implicit-def: $vgpr4
; %bb.507:                              ;   in Loop: Header=BB351_299 Depth=1
	s_andn2_saveexec_b64 s[6:7], s[0:1]
; %bb.508:                              ;   in Loop: Header=BB351_299 Depth=1
	v_or_b32_e32 v5, 0x10000, v4
	v_cmp_eq_u32_sdwa s[0:1], v4, v11 src0_sel:WORD_0 src1_sel:DWORD
	s_nop 1
	v_cndmask_b32_e64 v4, v5, v4, s[0:1]
	v_accvgpr_write_b32 a37, v4
; %bb.509:                              ;   in Loop: Header=BB351_299 Depth=1
	s_or_b64 exec, exec, s[6:7]
	v_lshlrev_b32_e32 v4, 16, v9
	v_mul_f32_e32 v4, v41, v4
	v_and_b32_e32 v5, 0x7f800000, v4
	v_cmp_ne_u32_e64 s[0:1], s9, v5
                                        ; implicit-def: $agpr38
	s_and_saveexec_b64 s[6:7], s[0:1]
	s_xor_b64 s[0:1], exec, s[6:7]
; %bb.510:                              ;   in Loop: Header=BB351_299 Depth=1
	v_bfe_u32 v5, v4, 16, 1
	v_add3_u32 v4, v4, v5, s12
	v_accvgpr_write_b32 a38, v4
                                        ; implicit-def: $vgpr4
; %bb.511:                              ;   in Loop: Header=BB351_299 Depth=1
	s_andn2_saveexec_b64 s[6:7], s[0:1]
; %bb.512:                              ;   in Loop: Header=BB351_299 Depth=1
	v_or_b32_e32 v5, 0x10000, v4
	v_cmp_eq_u32_sdwa s[0:1], v4, v11 src0_sel:WORD_0 src1_sel:DWORD
	s_nop 1
	v_cndmask_b32_e64 v4, v5, v4, s[0:1]
	v_accvgpr_write_b32 a38, v4
; %bb.513:                              ;   in Loop: Header=BB351_299 Depth=1
	s_or_b64 exec, exec, s[6:7]
	v_lshlrev_b32_e32 v4, 16, v8
	v_mul_f32_e32 v4, v42, v4
	v_and_b32_e32 v5, 0x7f800000, v4
	v_cmp_ne_u32_e64 s[0:1], s9, v5
                                        ; implicit-def: $agpr39
	s_and_saveexec_b64 s[6:7], s[0:1]
	s_xor_b64 s[0:1], exec, s[6:7]
; %bb.514:                              ;   in Loop: Header=BB351_299 Depth=1
	v_bfe_u32 v5, v4, 16, 1
	v_add3_u32 v4, v4, v5, s12
	v_accvgpr_write_b32 a39, v4
                                        ; implicit-def: $vgpr4
; %bb.515:                              ;   in Loop: Header=BB351_299 Depth=1
	s_andn2_saveexec_b64 s[6:7], s[0:1]
; %bb.516:                              ;   in Loop: Header=BB351_299 Depth=1
	v_or_b32_e32 v5, 0x10000, v4
	v_cmp_eq_u32_sdwa s[0:1], v4, v11 src0_sel:WORD_0 src1_sel:DWORD
	s_nop 1
	v_cndmask_b32_e64 v4, v5, v4, s[0:1]
	v_accvgpr_write_b32 a39, v4
; %bb.517:                              ;   in Loop: Header=BB351_299 Depth=1
	s_or_b64 exec, exec, s[6:7]
	v_lshlrev_b32_e32 v4, 16, v6
	v_mul_f32_e32 v4, v43, v4
	v_and_b32_e32 v5, 0x7f800000, v4
	v_cmp_ne_u32_e64 s[0:1], s9, v5
                                        ; implicit-def: $agpr40
	s_and_saveexec_b64 s[6:7], s[0:1]
	s_xor_b64 s[0:1], exec, s[6:7]
; %bb.518:                              ;   in Loop: Header=BB351_299 Depth=1
	v_bfe_u32 v5, v4, 16, 1
	v_add3_u32 v4, v4, v5, s12
	v_accvgpr_write_b32 a40, v4
                                        ; implicit-def: $vgpr4
; %bb.519:                              ;   in Loop: Header=BB351_299 Depth=1
	s_andn2_saveexec_b64 s[6:7], s[0:1]
; %bb.520:                              ;   in Loop: Header=BB351_299 Depth=1
	v_or_b32_e32 v5, 0x10000, v4
	v_cmp_eq_u32_sdwa s[0:1], v4, v11 src0_sel:WORD_0 src1_sel:DWORD
	s_nop 1
	v_cndmask_b32_e64 v4, v5, v4, s[0:1]
	v_accvgpr_write_b32 a40, v4
; %bb.521:                              ;   in Loop: Header=BB351_299 Depth=1
	s_or_b64 exec, exec, s[6:7]
	v_lshlrev_b32_e32 v3, 16, v3
	v_mul_f32_e32 v3, v44, v3
	v_and_b32_e32 v4, 0x7f800000, v3
	v_cmp_ne_u32_e64 s[0:1], s9, v4
                                        ; implicit-def: $agpr41
	s_and_saveexec_b64 s[6:7], s[0:1]
	s_xor_b64 s[0:1], exec, s[6:7]
; %bb.522:                              ;   in Loop: Header=BB351_299 Depth=1
	v_bfe_u32 v4, v3, 16, 1
	v_add3_u32 v3, v3, v4, s12
	v_accvgpr_write_b32 a41, v3
                                        ; implicit-def: $vgpr3
; %bb.523:                              ;   in Loop: Header=BB351_299 Depth=1
	s_andn2_saveexec_b64 s[6:7], s[0:1]
; %bb.524:                              ;   in Loop: Header=BB351_299 Depth=1
	v_or_b32_e32 v4, 0x10000, v3
	v_cmp_eq_u32_sdwa s[0:1], v3, v11 src0_sel:WORD_0 src1_sel:DWORD
	s_nop 1
	v_cndmask_b32_e64 v3, v4, v3, s[0:1]
	v_accvgpr_write_b32 a41, v3
; %bb.525:                              ;   in Loop: Header=BB351_299 Depth=1
	s_or_b64 exec, exec, s[6:7]
	v_lshlrev_b32_e32 v2, 16, v2
	v_mul_f32_e32 v2, v45, v2
	v_and_b32_e32 v3, 0x7f800000, v2
	v_cmp_ne_u32_e64 s[0:1], s9, v3
                                        ; implicit-def: $agpr42
	s_and_saveexec_b64 s[6:7], s[0:1]
	s_xor_b64 s[0:1], exec, s[6:7]
; %bb.526:                              ;   in Loop: Header=BB351_299 Depth=1
	v_bfe_u32 v3, v2, 16, 1
	v_add3_u32 v2, v2, v3, s12
	v_accvgpr_write_b32 a42, v2
                                        ; implicit-def: $vgpr2
; %bb.527:                              ;   in Loop: Header=BB351_299 Depth=1
	s_andn2_saveexec_b64 s[6:7], s[0:1]
; %bb.528:                              ;   in Loop: Header=BB351_299 Depth=1
	v_or_b32_e32 v3, 0x10000, v2
	v_cmp_eq_u32_sdwa s[0:1], v2, v11 src0_sel:WORD_0 src1_sel:DWORD
	s_nop 1
	v_cndmask_b32_e64 v2, v3, v2, s[0:1]
	v_accvgpr_write_b32 a42, v2
; %bb.529:                              ;   in Loop: Header=BB351_299 Depth=1
	s_or_b64 exec, exec, s[6:7]
	flat_load_dwordx2 v[2:3], v[0:1] offset:1536
                                        ; implicit-def: $vgpr6
	s_waitcnt vmcnt(0) lgkmcnt(0)
	v_and_b32_e32 v4, 0xff, v2
	v_cvt_f32_fp8_sdwa v4, v4 src0_sel:BYTE_0
	s_nop 0
	v_mul_f32_e32 v4, v35, v4
	v_and_b32_e32 v5, 0x7f800000, v4
	v_cmp_ne_u32_e64 s[0:1], s9, v5
	s_and_saveexec_b64 s[6:7], s[0:1]
	s_xor_b64 s[0:1], exec, s[6:7]
; %bb.530:                              ;   in Loop: Header=BB351_299 Depth=1
	v_bfe_u32 v5, v4, 16, 1
	v_add3_u32 v6, v4, v5, s12
                                        ; implicit-def: $vgpr4
; %bb.531:                              ;   in Loop: Header=BB351_299 Depth=1
	s_andn2_saveexec_b64 s[6:7], s[0:1]
; %bb.532:                              ;   in Loop: Header=BB351_299 Depth=1
	v_or_b32_e32 v5, 0x10000, v4
	v_cmp_eq_u32_sdwa s[0:1], v4, v11 src0_sel:WORD_0 src1_sel:DWORD
	s_nop 1
	v_cndmask_b32_e64 v6, v5, v4, s[0:1]
; %bb.533:                              ;   in Loop: Header=BB351_299 Depth=1
	s_or_b64 exec, exec, s[6:7]
	v_bfe_u32 v4, v2, 8, 8
	v_cvt_f32_fp8_sdwa v4, v4 src0_sel:BYTE_0
	s_nop 0
	v_mul_f32_e32 v4, v35, v4
	v_and_b32_e32 v5, 0x7f800000, v4
	v_cmp_ne_u32_e64 s[0:1], s9, v5
                                        ; implicit-def: $vgpr5
	s_and_saveexec_b64 s[6:7], s[0:1]
	s_xor_b64 s[0:1], exec, s[6:7]
; %bb.534:                              ;   in Loop: Header=BB351_299 Depth=1
	v_bfe_u32 v5, v4, 16, 1
	v_add3_u32 v5, v4, v5, s12
                                        ; implicit-def: $vgpr4
; %bb.535:                              ;   in Loop: Header=BB351_299 Depth=1
	s_andn2_saveexec_b64 s[6:7], s[0:1]
; %bb.536:                              ;   in Loop: Header=BB351_299 Depth=1
	v_or_b32_e32 v5, 0x10000, v4
	v_cmp_eq_u32_sdwa s[0:1], v4, v11 src0_sel:WORD_0 src1_sel:DWORD
	s_nop 1
	v_cndmask_b32_e64 v5, v5, v4, s[0:1]
; %bb.537:                              ;   in Loop: Header=BB351_299 Depth=1
	s_or_b64 exec, exec, s[6:7]
	v_bfe_u32 v4, v2, 16, 8
	v_cvt_f32_fp8_sdwa v4, v4 src0_sel:BYTE_0
	s_nop 0
	v_mul_f32_e32 v7, v35, v4
	v_and_b32_e32 v4, 0x7f800000, v7
	v_cmp_ne_u32_e64 s[0:1], s9, v4
                                        ; implicit-def: $vgpr4
	s_and_saveexec_b64 s[6:7], s[0:1]
	s_xor_b64 s[0:1], exec, s[6:7]
; %bb.538:                              ;   in Loop: Header=BB351_299 Depth=1
	v_bfe_u32 v4, v7, 16, 1
	v_add3_u32 v4, v7, v4, s12
                                        ; implicit-def: $vgpr7
; %bb.539:                              ;   in Loop: Header=BB351_299 Depth=1
	s_andn2_saveexec_b64 s[6:7], s[0:1]
; %bb.540:                              ;   in Loop: Header=BB351_299 Depth=1
	v_or_b32_e32 v4, 0x10000, v7
	v_cmp_eq_u32_sdwa s[0:1], v7, v11 src0_sel:WORD_0 src1_sel:DWORD
	s_nop 1
	v_cndmask_b32_e64 v4, v4, v7, s[0:1]
; %bb.541:                              ;   in Loop: Header=BB351_299 Depth=1
	s_or_b64 exec, exec, s[6:7]
	v_lshrrev_b32_e32 v2, 24, v2
	v_cvt_f32_fp8_sdwa v2, v2 src0_sel:BYTE_0
	s_nop 0
	v_mul_f32_e32 v7, v35, v2
	v_and_b32_e32 v2, 0x7f800000, v7
	v_cmp_ne_u32_e64 s[0:1], s9, v2
                                        ; implicit-def: $vgpr2
	s_and_saveexec_b64 s[6:7], s[0:1]
	s_xor_b64 s[0:1], exec, s[6:7]
; %bb.542:                              ;   in Loop: Header=BB351_299 Depth=1
	v_bfe_u32 v2, v7, 16, 1
	v_add3_u32 v2, v7, v2, s12
                                        ; implicit-def: $vgpr7
; %bb.543:                              ;   in Loop: Header=BB351_299 Depth=1
	s_andn2_saveexec_b64 s[6:7], s[0:1]
; %bb.544:                              ;   in Loop: Header=BB351_299 Depth=1
	v_or_b32_e32 v2, 0x10000, v7
	v_cmp_eq_u32_sdwa s[0:1], v7, v11 src0_sel:WORD_0 src1_sel:DWORD
	s_nop 1
	v_cndmask_b32_e64 v2, v2, v7, s[0:1]
; %bb.545:                              ;   in Loop: Header=BB351_299 Depth=1
	s_or_b64 exec, exec, s[6:7]
	v_and_b32_e32 v7, 0xff, v3
	v_cvt_f32_fp8_sdwa v7, v7 src0_sel:BYTE_0
	s_nop 0
	v_mul_f32_e32 v7, v35, v7
	v_and_b32_e32 v8, 0x7f800000, v7
	v_cmp_ne_u32_e64 s[0:1], s9, v8
                                        ; implicit-def: $vgpr8
	s_and_saveexec_b64 s[6:7], s[0:1]
	s_xor_b64 s[0:1], exec, s[6:7]
; %bb.546:                              ;   in Loop: Header=BB351_299 Depth=1
	v_bfe_u32 v8, v7, 16, 1
	v_add3_u32 v8, v7, v8, s12
                                        ; implicit-def: $vgpr7
; %bb.547:                              ;   in Loop: Header=BB351_299 Depth=1
	s_andn2_saveexec_b64 s[6:7], s[0:1]
; %bb.548:                              ;   in Loop: Header=BB351_299 Depth=1
	v_or_b32_e32 v8, 0x10000, v7
	v_cmp_eq_u32_sdwa s[0:1], v7, v11 src0_sel:WORD_0 src1_sel:DWORD
	s_nop 1
	v_cndmask_b32_e64 v8, v8, v7, s[0:1]
; %bb.549:                              ;   in Loop: Header=BB351_299 Depth=1
	s_or_b64 exec, exec, s[6:7]
	v_bfe_u32 v7, v3, 8, 8
	v_cvt_f32_fp8_sdwa v7, v7 src0_sel:BYTE_0
	s_nop 0
	v_mul_f32_e32 v9, v35, v7
	v_and_b32_e32 v7, 0x7f800000, v9
	v_cmp_ne_u32_e64 s[0:1], s9, v7
                                        ; implicit-def: $vgpr7
	s_and_saveexec_b64 s[6:7], s[0:1]
	s_xor_b64 s[0:1], exec, s[6:7]
; %bb.550:                              ;   in Loop: Header=BB351_299 Depth=1
	v_bfe_u32 v7, v9, 16, 1
	v_add3_u32 v7, v9, v7, s12
                                        ; implicit-def: $vgpr9
; %bb.551:                              ;   in Loop: Header=BB351_299 Depth=1
	s_andn2_saveexec_b64 s[6:7], s[0:1]
; %bb.552:                              ;   in Loop: Header=BB351_299 Depth=1
	v_or_b32_e32 v7, 0x10000, v9
	v_cmp_eq_u32_sdwa s[0:1], v9, v11 src0_sel:WORD_0 src1_sel:DWORD
	s_nop 1
	v_cndmask_b32_e64 v7, v7, v9, s[0:1]
; %bb.553:                              ;   in Loop: Header=BB351_299 Depth=1
	s_or_b64 exec, exec, s[6:7]
	v_bfe_u32 v9, v3, 16, 8
	v_cvt_f32_fp8_sdwa v9, v9 src0_sel:BYTE_0
	s_nop 0
	v_mul_f32_e32 v9, v35, v9
	v_and_b32_e32 v16, 0x7f800000, v9
	v_cmp_ne_u32_e64 s[0:1], s9, v16
                                        ; implicit-def: $vgpr16
	s_and_saveexec_b64 s[6:7], s[0:1]
	s_xor_b64 s[0:1], exec, s[6:7]
; %bb.554:                              ;   in Loop: Header=BB351_299 Depth=1
	v_bfe_u32 v16, v9, 16, 1
	v_add3_u32 v16, v9, v16, s12
                                        ; implicit-def: $vgpr9
; %bb.555:                              ;   in Loop: Header=BB351_299 Depth=1
	s_andn2_saveexec_b64 s[6:7], s[0:1]
; %bb.556:                              ;   in Loop: Header=BB351_299 Depth=1
	v_or_b32_e32 v16, 0x10000, v9
	v_cmp_eq_u32_sdwa s[0:1], v9, v11 src0_sel:WORD_0 src1_sel:DWORD
	s_nop 1
	v_cndmask_b32_e64 v16, v16, v9, s[0:1]
; %bb.557:                              ;   in Loop: Header=BB351_299 Depth=1
	s_or_b64 exec, exec, s[6:7]
	v_lshrrev_b32_e32 v3, 24, v3
	v_cvt_f32_fp8_sdwa v3, v3 src0_sel:BYTE_0
                                        ; implicit-def: $vgpr22
	s_nop 0
	v_mul_f32_e32 v3, v35, v3
	v_and_b32_e32 v9, 0x7f800000, v3
	v_cmp_ne_u32_e64 s[0:1], s9, v9
	s_and_saveexec_b64 s[6:7], s[0:1]
	s_xor_b64 s[0:1], exec, s[6:7]
; %bb.558:                              ;   in Loop: Header=BB351_299 Depth=1
	v_bfe_u32 v9, v3, 16, 1
	v_add3_u32 v22, v3, v9, s12
                                        ; implicit-def: $vgpr3
; %bb.559:                              ;   in Loop: Header=BB351_299 Depth=1
	s_andn2_saveexec_b64 s[6:7], s[0:1]
; %bb.560:                              ;   in Loop: Header=BB351_299 Depth=1
	v_or_b32_e32 v9, 0x10000, v3
	v_cmp_eq_u32_sdwa s[0:1], v3, v11 src0_sel:WORD_0 src1_sel:DWORD
	s_nop 1
	v_cndmask_b32_e64 v22, v9, v3, s[0:1]
; %bb.561:                              ;   in Loop: Header=BB351_299 Depth=1
	s_or_b64 exec, exec, s[6:7]
	v_lshrrev_b32_e32 v7, 16, v7
	v_lshrrev_b32_e32 v8, 16, v8
	;; [unrolled: 1-line block ×8, first 2 shown]
	s_and_saveexec_b64 s[6:7], vcc
	s_cbranch_execz .LBB351_563
; %bb.562:                              ;   in Loop: Header=BB351_299 Depth=1
	v_accvgpr_read_b32 v16, a20
	v_cmp_lt_i32_e64 s[0:1], v16, v33
	v_accvgpr_read_b32 v16, a26
	s_nop 0
	v_cndmask_b32_e64 v6, 0, v6, s[0:1]
	v_cmp_lt_i32_e64 s[0:1], v16, v33
	v_accvgpr_read_b32 v16, a25
	s_nop 0
	v_cndmask_b32_e64 v5, 0, v5, s[0:1]
	;; [unrolled: 4-line block ×6, first 2 shown]
	v_cmp_lt_i32_e64 s[0:1], v16, v33
	s_nop 1
	v_cndmask_b32_e64 v3, 0, v3, s[0:1]
	v_cmp_lt_i32_e64 s[0:1], v10, v33
	s_nop 1
	v_cndmask_b32_e64 v2, 0, v2, s[0:1]
.LBB351_563:                            ;   in Loop: Header=BB351_299 Depth=1
	s_or_b64 exec, exec, s[6:7]
	v_lshlrev_b32_e32 v6, 16, v6
	v_mul_f32_e32 v6, v54, v6
	v_and_b32_e32 v16, 0x7f800000, v6
	v_cmp_ne_u32_e64 s[0:1], s9, v16
                                        ; implicit-def: $agpr43
	s_and_saveexec_b64 s[6:7], s[0:1]
	s_xor_b64 s[0:1], exec, s[6:7]
; %bb.564:                              ;   in Loop: Header=BB351_299 Depth=1
	v_bfe_u32 v16, v6, 16, 1
	v_add3_u32 v6, v6, v16, s12
	v_accvgpr_write_b32 a43, v6
                                        ; implicit-def: $vgpr6
; %bb.565:                              ;   in Loop: Header=BB351_299 Depth=1
	s_andn2_saveexec_b64 s[6:7], s[0:1]
; %bb.566:                              ;   in Loop: Header=BB351_299 Depth=1
	v_or_b32_e32 v16, 0x10000, v6
	v_cmp_eq_u32_sdwa s[0:1], v6, v11 src0_sel:WORD_0 src1_sel:DWORD
	s_nop 1
	v_cndmask_b32_e64 v6, v16, v6, s[0:1]
	v_accvgpr_write_b32 a43, v6
; %bb.567:                              ;   in Loop: Header=BB351_299 Depth=1
	s_or_b64 exec, exec, s[6:7]
	v_lshlrev_b32_e32 v5, 16, v5
	v_mul_f32_e32 v5, v55, v5
	v_and_b32_e32 v6, 0x7f800000, v5
	v_cmp_ne_u32_e64 s[0:1], s9, v6
                                        ; implicit-def: $agpr44
	s_and_saveexec_b64 s[6:7], s[0:1]
	s_xor_b64 s[0:1], exec, s[6:7]
; %bb.568:                              ;   in Loop: Header=BB351_299 Depth=1
	v_bfe_u32 v6, v5, 16, 1
	v_add3_u32 v5, v5, v6, s12
	v_accvgpr_write_b32 a44, v5
                                        ; implicit-def: $vgpr5
; %bb.569:                              ;   in Loop: Header=BB351_299 Depth=1
	s_andn2_saveexec_b64 s[6:7], s[0:1]
; %bb.570:                              ;   in Loop: Header=BB351_299 Depth=1
	v_or_b32_e32 v6, 0x10000, v5
	v_cmp_eq_u32_sdwa s[0:1], v5, v11 src0_sel:WORD_0 src1_sel:DWORD
	s_nop 1
	v_cndmask_b32_e64 v5, v6, v5, s[0:1]
	v_accvgpr_write_b32 a44, v5
; %bb.571:                              ;   in Loop: Header=BB351_299 Depth=1
	s_or_b64 exec, exec, s[6:7]
	v_lshlrev_b32_e32 v4, 16, v4
	v_mul_f32_e32 v4, v40, v4
	v_and_b32_e32 v5, 0x7f800000, v4
	v_cmp_ne_u32_e64 s[0:1], s9, v5
                                        ; implicit-def: $agpr45
	s_and_saveexec_b64 s[6:7], s[0:1]
	s_xor_b64 s[0:1], exec, s[6:7]
; %bb.572:                              ;   in Loop: Header=BB351_299 Depth=1
	v_bfe_u32 v5, v4, 16, 1
	v_add3_u32 v4, v4, v5, s12
	v_accvgpr_write_b32 a45, v4
                                        ; implicit-def: $vgpr4
; %bb.573:                              ;   in Loop: Header=BB351_299 Depth=1
	s_andn2_saveexec_b64 s[6:7], s[0:1]
; %bb.574:                              ;   in Loop: Header=BB351_299 Depth=1
	v_or_b32_e32 v5, 0x10000, v4
	v_cmp_eq_u32_sdwa s[0:1], v4, v11 src0_sel:WORD_0 src1_sel:DWORD
	s_nop 1
	v_cndmask_b32_e64 v4, v5, v4, s[0:1]
	v_accvgpr_write_b32 a45, v4
; %bb.575:                              ;   in Loop: Header=BB351_299 Depth=1
	s_or_b64 exec, exec, s[6:7]
	v_lshlrev_b32_e32 v4, 16, v9
	v_mul_f32_e32 v4, v41, v4
	v_and_b32_e32 v5, 0x7f800000, v4
	v_cmp_ne_u32_e64 s[0:1], s9, v5
                                        ; implicit-def: $vgpr6
	s_and_saveexec_b64 s[6:7], s[0:1]
	s_xor_b64 s[0:1], exec, s[6:7]
; %bb.576:                              ;   in Loop: Header=BB351_299 Depth=1
	v_bfe_u32 v5, v4, 16, 1
	v_add3_u32 v6, v4, v5, s12
                                        ; implicit-def: $vgpr4
; %bb.577:                              ;   in Loop: Header=BB351_299 Depth=1
	s_andn2_saveexec_b64 s[6:7], s[0:1]
; %bb.578:                              ;   in Loop: Header=BB351_299 Depth=1
	v_or_b32_e32 v5, 0x10000, v4
	v_cmp_eq_u32_sdwa s[0:1], v4, v11 src0_sel:WORD_0 src1_sel:DWORD
	s_nop 1
	v_cndmask_b32_e64 v6, v5, v4, s[0:1]
; %bb.579:                              ;   in Loop: Header=BB351_299 Depth=1
	s_or_b64 exec, exec, s[6:7]
	v_lshlrev_b32_e32 v4, 16, v8
	v_mul_f32_e32 v4, v42, v4
	v_and_b32_e32 v5, 0x7f800000, v4
	v_cmp_ne_u32_e64 s[0:1], s9, v5
                                        ; implicit-def: $vgpr22
	s_and_saveexec_b64 s[6:7], s[0:1]
	s_xor_b64 s[0:1], exec, s[6:7]
; %bb.580:                              ;   in Loop: Header=BB351_299 Depth=1
	v_bfe_u32 v5, v4, 16, 1
	v_add3_u32 v22, v4, v5, s12
                                        ; implicit-def: $vgpr4
; %bb.581:                              ;   in Loop: Header=BB351_299 Depth=1
	s_andn2_saveexec_b64 s[6:7], s[0:1]
; %bb.582:                              ;   in Loop: Header=BB351_299 Depth=1
	v_or_b32_e32 v5, 0x10000, v4
	v_cmp_eq_u32_sdwa s[0:1], v4, v11 src0_sel:WORD_0 src1_sel:DWORD
	s_nop 1
	v_cndmask_b32_e64 v22, v5, v4, s[0:1]
; %bb.583:                              ;   in Loop: Header=BB351_299 Depth=1
	s_or_b64 exec, exec, s[6:7]
	v_lshlrev_b32_e32 v4, 16, v7
	v_mul_f32_e32 v4, v43, v4
	v_and_b32_e32 v5, 0x7f800000, v4
	v_cmp_ne_u32_e64 s[0:1], s9, v5
                                        ; implicit-def: $vgpr7
	s_and_saveexec_b64 s[6:7], s[0:1]
	s_xor_b64 s[0:1], exec, s[6:7]
; %bb.584:                              ;   in Loop: Header=BB351_299 Depth=1
	v_bfe_u32 v5, v4, 16, 1
	v_add3_u32 v7, v4, v5, s12
                                        ; implicit-def: $vgpr4
; %bb.585:                              ;   in Loop: Header=BB351_299 Depth=1
	s_andn2_saveexec_b64 s[6:7], s[0:1]
; %bb.586:                              ;   in Loop: Header=BB351_299 Depth=1
	v_or_b32_e32 v5, 0x10000, v4
	v_cmp_eq_u32_sdwa s[0:1], v4, v11 src0_sel:WORD_0 src1_sel:DWORD
	s_nop 1
	v_cndmask_b32_e64 v7, v5, v4, s[0:1]
; %bb.587:                              ;   in Loop: Header=BB351_299 Depth=1
	s_or_b64 exec, exec, s[6:7]
	v_lshlrev_b32_e32 v3, 16, v3
	v_mul_f32_e32 v3, v44, v3
	v_and_b32_e32 v4, 0x7f800000, v3
	v_cmp_ne_u32_e64 s[0:1], s9, v4
                                        ; implicit-def: $vgpr8
	s_and_saveexec_b64 s[6:7], s[0:1]
	s_xor_b64 s[0:1], exec, s[6:7]
; %bb.588:                              ;   in Loop: Header=BB351_299 Depth=1
	v_bfe_u32 v4, v3, 16, 1
	v_add3_u32 v8, v3, v4, s12
                                        ; implicit-def: $vgpr3
; %bb.589:                              ;   in Loop: Header=BB351_299 Depth=1
	s_andn2_saveexec_b64 s[6:7], s[0:1]
; %bb.590:                              ;   in Loop: Header=BB351_299 Depth=1
	v_or_b32_e32 v4, 0x10000, v3
	v_cmp_eq_u32_sdwa s[0:1], v3, v11 src0_sel:WORD_0 src1_sel:DWORD
	s_nop 1
	v_cndmask_b32_e64 v8, v4, v3, s[0:1]
; %bb.591:                              ;   in Loop: Header=BB351_299 Depth=1
	s_or_b64 exec, exec, s[6:7]
	v_lshlrev_b32_e32 v2, 16, v2
	v_mul_f32_e32 v2, v45, v2
	v_and_b32_e32 v3, 0x7f800000, v2
	v_cmp_ne_u32_e64 s[0:1], s9, v3
                                        ; implicit-def: $vgpr9
	s_and_saveexec_b64 s[6:7], s[0:1]
	s_xor_b64 s[0:1], exec, s[6:7]
; %bb.592:                              ;   in Loop: Header=BB351_299 Depth=1
	v_bfe_u32 v3, v2, 16, 1
	v_add3_u32 v9, v2, v3, s12
                                        ; implicit-def: $vgpr2
; %bb.593:                              ;   in Loop: Header=BB351_299 Depth=1
	s_andn2_saveexec_b64 s[6:7], s[0:1]
; %bb.594:                              ;   in Loop: Header=BB351_299 Depth=1
	v_or_b32_e32 v3, 0x10000, v2
	v_cmp_eq_u32_sdwa s[0:1], v2, v11 src0_sel:WORD_0 src1_sel:DWORD
	s_nop 1
	v_cndmask_b32_e64 v9, v3, v2, s[0:1]
; %bb.595:                              ;   in Loop: Header=BB351_299 Depth=1
	s_or_b64 exec, exec, s[6:7]
	flat_load_dwordx2 v[2:3], v[0:1] offset:2048
                                        ; implicit-def: $vgpr16
	s_waitcnt vmcnt(0) lgkmcnt(0)
	v_and_b32_e32 v4, 0xff, v2
	v_cvt_f32_fp8_sdwa v4, v4 src0_sel:BYTE_0
	s_nop 0
	v_mul_f32_e32 v4, v35, v4
	v_and_b32_e32 v5, 0x7f800000, v4
	v_cmp_ne_u32_e64 s[0:1], s9, v5
	s_and_saveexec_b64 s[6:7], s[0:1]
	s_xor_b64 s[0:1], exec, s[6:7]
; %bb.596:                              ;   in Loop: Header=BB351_299 Depth=1
	v_bfe_u32 v5, v4, 16, 1
	v_add3_u32 v16, v4, v5, s12
                                        ; implicit-def: $vgpr4
; %bb.597:                              ;   in Loop: Header=BB351_299 Depth=1
	s_andn2_saveexec_b64 s[6:7], s[0:1]
; %bb.598:                              ;   in Loop: Header=BB351_299 Depth=1
	v_or_b32_e32 v5, 0x10000, v4
	v_cmp_eq_u32_sdwa s[0:1], v4, v11 src0_sel:WORD_0 src1_sel:DWORD
	s_nop 1
	v_cndmask_b32_e64 v16, v5, v4, s[0:1]
; %bb.599:                              ;   in Loop: Header=BB351_299 Depth=1
	s_or_b64 exec, exec, s[6:7]
	v_bfe_u32 v4, v2, 8, 8
	v_cvt_f32_fp8_sdwa v4, v4 src0_sel:BYTE_0
	s_nop 0
	v_mul_f32_e32 v4, v35, v4
	v_and_b32_e32 v5, 0x7f800000, v4
	v_cmp_ne_u32_e64 s[0:1], s9, v5
                                        ; implicit-def: $vgpr5
	s_and_saveexec_b64 s[6:7], s[0:1]
	s_xor_b64 s[0:1], exec, s[6:7]
; %bb.600:                              ;   in Loop: Header=BB351_299 Depth=1
	v_bfe_u32 v5, v4, 16, 1
	v_add3_u32 v5, v4, v5, s12
                                        ; implicit-def: $vgpr4
; %bb.601:                              ;   in Loop: Header=BB351_299 Depth=1
	s_andn2_saveexec_b64 s[6:7], s[0:1]
; %bb.602:                              ;   in Loop: Header=BB351_299 Depth=1
	v_or_b32_e32 v5, 0x10000, v4
	v_cmp_eq_u32_sdwa s[0:1], v4, v11 src0_sel:WORD_0 src1_sel:DWORD
	s_nop 1
	v_cndmask_b32_e64 v5, v5, v4, s[0:1]
; %bb.603:                              ;   in Loop: Header=BB351_299 Depth=1
	s_or_b64 exec, exec, s[6:7]
	v_bfe_u32 v4, v2, 16, 8
	v_cvt_f32_fp8_sdwa v4, v4 src0_sel:BYTE_0
	s_nop 0
	v_mul_f32_e32 v23, v35, v4
	v_and_b32_e32 v4, 0x7f800000, v23
	v_cmp_ne_u32_e64 s[0:1], s9, v4
                                        ; implicit-def: $vgpr4
	s_and_saveexec_b64 s[6:7], s[0:1]
	s_xor_b64 s[0:1], exec, s[6:7]
; %bb.604:                              ;   in Loop: Header=BB351_299 Depth=1
	v_bfe_u32 v4, v23, 16, 1
	v_add3_u32 v4, v23, v4, s12
                                        ; implicit-def: $vgpr23
; %bb.605:                              ;   in Loop: Header=BB351_299 Depth=1
	s_andn2_saveexec_b64 s[6:7], s[0:1]
; %bb.606:                              ;   in Loop: Header=BB351_299 Depth=1
	v_or_b32_e32 v4, 0x10000, v23
	v_cmp_eq_u32_sdwa s[0:1], v23, v11 src0_sel:WORD_0 src1_sel:DWORD
	s_nop 1
	v_cndmask_b32_e64 v4, v4, v23, s[0:1]
; %bb.607:                              ;   in Loop: Header=BB351_299 Depth=1
	s_or_b64 exec, exec, s[6:7]
	v_lshrrev_b32_e32 v2, 24, v2
	v_cvt_f32_fp8_sdwa v2, v2 src0_sel:BYTE_0
	s_nop 0
	v_mul_f32_e32 v23, v35, v2
	v_and_b32_e32 v2, 0x7f800000, v23
	v_cmp_ne_u32_e64 s[0:1], s9, v2
                                        ; implicit-def: $vgpr2
	s_and_saveexec_b64 s[6:7], s[0:1]
	s_xor_b64 s[0:1], exec, s[6:7]
; %bb.608:                              ;   in Loop: Header=BB351_299 Depth=1
	v_bfe_u32 v2, v23, 16, 1
	v_add3_u32 v2, v23, v2, s12
                                        ; implicit-def: $vgpr23
; %bb.609:                              ;   in Loop: Header=BB351_299 Depth=1
	s_andn2_saveexec_b64 s[6:7], s[0:1]
; %bb.610:                              ;   in Loop: Header=BB351_299 Depth=1
	v_or_b32_e32 v2, 0x10000, v23
	v_cmp_eq_u32_sdwa s[0:1], v23, v11 src0_sel:WORD_0 src1_sel:DWORD
	s_nop 1
	v_cndmask_b32_e64 v2, v2, v23, s[0:1]
; %bb.611:                              ;   in Loop: Header=BB351_299 Depth=1
	s_or_b64 exec, exec, s[6:7]
	v_and_b32_e32 v23, 0xff, v3
	v_cvt_f32_fp8_sdwa v23, v23 src0_sel:BYTE_0
                                        ; implicit-def: $vgpr28
	s_nop 0
	v_mul_f32_e32 v23, v35, v23
	v_and_b32_e32 v26, 0x7f800000, v23
	v_cmp_ne_u32_e64 s[0:1], s9, v26
	s_and_saveexec_b64 s[6:7], s[0:1]
	s_xor_b64 s[0:1], exec, s[6:7]
; %bb.612:                              ;   in Loop: Header=BB351_299 Depth=1
	v_bfe_u32 v26, v23, 16, 1
	v_add3_u32 v28, v23, v26, s12
                                        ; implicit-def: $vgpr23
; %bb.613:                              ;   in Loop: Header=BB351_299 Depth=1
	s_andn2_saveexec_b64 s[6:7], s[0:1]
; %bb.614:                              ;   in Loop: Header=BB351_299 Depth=1
	v_or_b32_e32 v26, 0x10000, v23
	v_cmp_eq_u32_sdwa s[0:1], v23, v11 src0_sel:WORD_0 src1_sel:DWORD
	s_nop 1
	v_cndmask_b32_e64 v28, v26, v23, s[0:1]
; %bb.615:                              ;   in Loop: Header=BB351_299 Depth=1
	s_or_b64 exec, exec, s[6:7]
	v_bfe_u32 v23, v3, 8, 8
	v_cvt_f32_fp8_sdwa v23, v23 src0_sel:BYTE_0
	s_nop 0
	v_mul_f32_e32 v26, v35, v23
	v_and_b32_e32 v23, 0x7f800000, v26
	v_cmp_ne_u32_e64 s[0:1], s9, v23
                                        ; implicit-def: $vgpr23
	s_and_saveexec_b64 s[6:7], s[0:1]
	s_xor_b64 s[0:1], exec, s[6:7]
; %bb.616:                              ;   in Loop: Header=BB351_299 Depth=1
	v_bfe_u32 v23, v26, 16, 1
	v_add3_u32 v23, v26, v23, s12
                                        ; implicit-def: $vgpr26
; %bb.617:                              ;   in Loop: Header=BB351_299 Depth=1
	s_andn2_saveexec_b64 s[6:7], s[0:1]
; %bb.618:                              ;   in Loop: Header=BB351_299 Depth=1
	v_or_b32_e32 v23, 0x10000, v26
	v_cmp_eq_u32_sdwa s[0:1], v26, v11 src0_sel:WORD_0 src1_sel:DWORD
	s_nop 1
	v_cndmask_b32_e64 v23, v23, v26, s[0:1]
; %bb.619:                              ;   in Loop: Header=BB351_299 Depth=1
	s_or_b64 exec, exec, s[6:7]
	v_bfe_u32 v26, v3, 16, 8
	v_cvt_f32_fp8_sdwa v26, v26 src0_sel:BYTE_0
                                        ; implicit-def: $vgpr29
	s_nop 0
	v_mul_f32_e32 v26, v35, v26
	v_and_b32_e32 v27, 0x7f800000, v26
	v_cmp_ne_u32_e64 s[0:1], s9, v27
	s_and_saveexec_b64 s[6:7], s[0:1]
	s_xor_b64 s[0:1], exec, s[6:7]
; %bb.620:                              ;   in Loop: Header=BB351_299 Depth=1
	v_bfe_u32 v27, v26, 16, 1
	v_add3_u32 v29, v26, v27, s12
                                        ; implicit-def: $vgpr26
; %bb.621:                              ;   in Loop: Header=BB351_299 Depth=1
	s_andn2_saveexec_b64 s[6:7], s[0:1]
; %bb.622:                              ;   in Loop: Header=BB351_299 Depth=1
	v_or_b32_e32 v27, 0x10000, v26
	v_cmp_eq_u32_sdwa s[0:1], v26, v11 src0_sel:WORD_0 src1_sel:DWORD
	s_nop 1
	v_cndmask_b32_e64 v29, v27, v26, s[0:1]
; %bb.623:                              ;   in Loop: Header=BB351_299 Depth=1
	s_or_b64 exec, exec, s[6:7]
	v_lshrrev_b32_e32 v3, 24, v3
	v_cvt_f32_fp8_sdwa v3, v3 src0_sel:BYTE_0
	s_nop 0
	v_mul_f32_e32 v3, v35, v3
	v_and_b32_e32 v26, 0x7f800000, v3
	v_cmp_ne_u32_e64 s[0:1], s9, v26
                                        ; implicit-def: $vgpr26
	s_and_saveexec_b64 s[6:7], s[0:1]
	s_xor_b64 s[0:1], exec, s[6:7]
; %bb.624:                              ;   in Loop: Header=BB351_299 Depth=1
	v_bfe_u32 v26, v3, 16, 1
	v_add3_u32 v26, v3, v26, s12
                                        ; implicit-def: $vgpr3
; %bb.625:                              ;   in Loop: Header=BB351_299 Depth=1
	s_andn2_saveexec_b64 s[6:7], s[0:1]
; %bb.626:                              ;   in Loop: Header=BB351_299 Depth=1
	v_or_b32_e32 v26, 0x10000, v3
	v_cmp_eq_u32_sdwa s[0:1], v3, v11 src0_sel:WORD_0 src1_sel:DWORD
	s_nop 1
	v_cndmask_b32_e64 v26, v26, v3, s[0:1]
; %bb.627:                              ;   in Loop: Header=BB351_299 Depth=1
	s_or_b64 exec, exec, s[6:7]
	v_lshrrev_b32_e32 v23, 16, v23
	v_lshrrev_b32_e32 v31, 16, v28
	;; [unrolled: 1-line block ×8, first 2 shown]
	s_and_saveexec_b64 s[6:7], vcc
	s_cbranch_execz .LBB351_629
; %bb.628:                              ;   in Loop: Header=BB351_299 Depth=1
	v_accvgpr_read_b32 v26, a20
	v_cmp_lt_i32_e64 s[0:1], v26, v33
	v_accvgpr_read_b32 v26, a26
	s_nop 0
	v_cndmask_b32_e64 v16, 0, v16, s[0:1]
	v_cmp_lt_i32_e64 s[0:1], v26, v33
	v_accvgpr_read_b32 v26, a25
	s_nop 0
	v_cndmask_b32_e64 v5, 0, v5, s[0:1]
	v_cmp_lt_i32_e64 s[0:1], v26, v33
	v_accvgpr_read_b32 v26, a24
	s_nop 0
	v_cndmask_b32_e64 v4, 0, v4, s[0:1]
	v_cmp_lt_i32_e64 s[0:1], v26, v33
	v_accvgpr_read_b32 v26, a23
	s_nop 0
	v_cndmask_b32_e64 v30, 0, v30, s[0:1]
	v_cmp_lt_i32_e64 s[0:1], v26, v33
	v_accvgpr_read_b32 v26, a22
	s_nop 0
	v_cndmask_b32_e64 v31, 0, v31, s[0:1]
	v_cmp_lt_i32_e64 s[0:1], v26, v33
	v_accvgpr_read_b32 v26, a21
	s_nop 0
	v_cndmask_b32_e64 v23, 0, v23, s[0:1]
	v_cmp_lt_i32_e64 s[0:1], v26, v33
	s_nop 1
	v_cndmask_b32_e64 v3, 0, v3, s[0:1]
	v_cmp_lt_i32_e64 s[0:1], v10, v33
	s_nop 1
	v_cndmask_b32_e64 v2, 0, v2, s[0:1]
.LBB351_629:                            ;   in Loop: Header=BB351_299 Depth=1
	s_or_b64 exec, exec, s[6:7]
	v_lshlrev_b32_e32 v16, 16, v16
	v_mul_f32_e32 v16, v54, v16
	v_and_b32_e32 v26, 0x7f800000, v16
	v_cmp_ne_u32_e64 s[0:1], s9, v26
                                        ; implicit-def: $vgpr29
	s_and_saveexec_b64 s[6:7], s[0:1]
	s_xor_b64 s[0:1], exec, s[6:7]
; %bb.630:                              ;   in Loop: Header=BB351_299 Depth=1
	v_bfe_u32 v26, v16, 16, 1
	v_add3_u32 v29, v16, v26, s12
                                        ; implicit-def: $vgpr16
; %bb.631:                              ;   in Loop: Header=BB351_299 Depth=1
	s_andn2_saveexec_b64 s[6:7], s[0:1]
; %bb.632:                              ;   in Loop: Header=BB351_299 Depth=1
	v_or_b32_e32 v26, 0x10000, v16
	v_cmp_eq_u32_sdwa s[0:1], v16, v11 src0_sel:WORD_0 src1_sel:DWORD
	s_nop 1
	v_cndmask_b32_e64 v29, v26, v16, s[0:1]
; %bb.633:                              ;   in Loop: Header=BB351_299 Depth=1
	s_or_b64 exec, exec, s[6:7]
	v_lshlrev_b32_e32 v5, 16, v5
	v_mul_f32_e32 v5, v55, v5
	v_and_b32_e32 v16, 0x7f800000, v5
	v_cmp_ne_u32_e64 s[0:1], s9, v16
                                        ; implicit-def: $vgpr36
	s_and_saveexec_b64 s[6:7], s[0:1]
	s_xor_b64 s[0:1], exec, s[6:7]
; %bb.634:                              ;   in Loop: Header=BB351_299 Depth=1
	v_bfe_u32 v16, v5, 16, 1
	v_add3_u32 v36, v5, v16, s12
                                        ; implicit-def: $vgpr5
; %bb.635:                              ;   in Loop: Header=BB351_299 Depth=1
	s_andn2_saveexec_b64 s[6:7], s[0:1]
; %bb.636:                              ;   in Loop: Header=BB351_299 Depth=1
	v_or_b32_e32 v16, 0x10000, v5
	v_cmp_eq_u32_sdwa s[0:1], v5, v11 src0_sel:WORD_0 src1_sel:DWORD
	s_nop 1
	v_cndmask_b32_e64 v36, v16, v5, s[0:1]
; %bb.637:                              ;   in Loop: Header=BB351_299 Depth=1
	s_or_b64 exec, exec, s[6:7]
	v_lshlrev_b32_e32 v4, 16, v4
	v_mul_f32_e32 v4, v40, v4
	v_and_b32_e32 v5, 0x7f800000, v4
	v_cmp_ne_u32_e64 s[0:1], s9, v5
                                        ; implicit-def: $vgpr37
	s_and_saveexec_b64 s[6:7], s[0:1]
	s_xor_b64 s[0:1], exec, s[6:7]
; %bb.638:                              ;   in Loop: Header=BB351_299 Depth=1
	v_bfe_u32 v5, v4, 16, 1
	v_add3_u32 v37, v4, v5, s12
                                        ; implicit-def: $vgpr4
; %bb.639:                              ;   in Loop: Header=BB351_299 Depth=1
	s_andn2_saveexec_b64 s[6:7], s[0:1]
; %bb.640:                              ;   in Loop: Header=BB351_299 Depth=1
	v_or_b32_e32 v5, 0x10000, v4
	v_cmp_eq_u32_sdwa s[0:1], v4, v11 src0_sel:WORD_0 src1_sel:DWORD
	s_nop 1
	v_cndmask_b32_e64 v37, v5, v4, s[0:1]
; %bb.641:                              ;   in Loop: Header=BB351_299 Depth=1
	s_or_b64 exec, exec, s[6:7]
	v_lshlrev_b32_e32 v4, 16, v30
	v_mul_f32_e32 v4, v41, v4
	v_and_b32_e32 v5, 0x7f800000, v4
	v_cmp_ne_u32_e64 s[0:1], s9, v5
                                        ; implicit-def: $vgpr38
	s_and_saveexec_b64 s[6:7], s[0:1]
	s_xor_b64 s[0:1], exec, s[6:7]
; %bb.642:                              ;   in Loop: Header=BB351_299 Depth=1
	v_bfe_u32 v5, v4, 16, 1
	v_add3_u32 v38, v4, v5, s12
                                        ; implicit-def: $vgpr4
; %bb.643:                              ;   in Loop: Header=BB351_299 Depth=1
	s_andn2_saveexec_b64 s[6:7], s[0:1]
; %bb.644:                              ;   in Loop: Header=BB351_299 Depth=1
	v_or_b32_e32 v5, 0x10000, v4
	v_cmp_eq_u32_sdwa s[0:1], v4, v11 src0_sel:WORD_0 src1_sel:DWORD
	s_nop 1
	v_cndmask_b32_e64 v38, v5, v4, s[0:1]
; %bb.645:                              ;   in Loop: Header=BB351_299 Depth=1
	s_or_b64 exec, exec, s[6:7]
	v_lshlrev_b32_e32 v4, 16, v31
	v_mul_f32_e32 v4, v42, v4
	v_and_b32_e32 v5, 0x7f800000, v4
	v_cmp_ne_u32_e64 s[0:1], s9, v5
                                        ; implicit-def: $vgpr46
	s_and_saveexec_b64 s[6:7], s[0:1]
	s_xor_b64 s[0:1], exec, s[6:7]
; %bb.646:                              ;   in Loop: Header=BB351_299 Depth=1
	v_bfe_u32 v5, v4, 16, 1
	v_add3_u32 v46, v4, v5, s12
                                        ; implicit-def: $vgpr4
; %bb.647:                              ;   in Loop: Header=BB351_299 Depth=1
	s_andn2_saveexec_b64 s[6:7], s[0:1]
; %bb.648:                              ;   in Loop: Header=BB351_299 Depth=1
	v_or_b32_e32 v5, 0x10000, v4
	v_cmp_eq_u32_sdwa s[0:1], v4, v11 src0_sel:WORD_0 src1_sel:DWORD
	s_nop 1
	v_cndmask_b32_e64 v46, v5, v4, s[0:1]
; %bb.649:                              ;   in Loop: Header=BB351_299 Depth=1
	s_or_b64 exec, exec, s[6:7]
	v_lshlrev_b32_e32 v4, 16, v23
	v_mul_f32_e32 v4, v43, v4
	v_and_b32_e32 v5, 0x7f800000, v4
	v_cmp_ne_u32_e64 s[0:1], s9, v5
                                        ; implicit-def: $vgpr47
	s_and_saveexec_b64 s[6:7], s[0:1]
	s_xor_b64 s[0:1], exec, s[6:7]
; %bb.650:                              ;   in Loop: Header=BB351_299 Depth=1
	v_bfe_u32 v5, v4, 16, 1
	v_add3_u32 v47, v4, v5, s12
                                        ; implicit-def: $vgpr4
; %bb.651:                              ;   in Loop: Header=BB351_299 Depth=1
	s_andn2_saveexec_b64 s[6:7], s[0:1]
; %bb.652:                              ;   in Loop: Header=BB351_299 Depth=1
	v_or_b32_e32 v5, 0x10000, v4
	v_cmp_eq_u32_sdwa s[0:1], v4, v11 src0_sel:WORD_0 src1_sel:DWORD
	s_nop 1
	v_cndmask_b32_e64 v47, v5, v4, s[0:1]
; %bb.653:                              ;   in Loop: Header=BB351_299 Depth=1
	s_or_b64 exec, exec, s[6:7]
	v_lshlrev_b32_e32 v3, 16, v3
	v_mul_f32_e32 v3, v44, v3
	v_and_b32_e32 v4, 0x7f800000, v3
	v_cmp_ne_u32_e64 s[0:1], s9, v4
                                        ; implicit-def: $vgpr56
	s_and_saveexec_b64 s[6:7], s[0:1]
	s_xor_b64 s[0:1], exec, s[6:7]
; %bb.654:                              ;   in Loop: Header=BB351_299 Depth=1
	v_bfe_u32 v4, v3, 16, 1
	v_add3_u32 v56, v3, v4, s12
                                        ; implicit-def: $vgpr3
; %bb.655:                              ;   in Loop: Header=BB351_299 Depth=1
	s_andn2_saveexec_b64 s[6:7], s[0:1]
; %bb.656:                              ;   in Loop: Header=BB351_299 Depth=1
	v_or_b32_e32 v4, 0x10000, v3
	v_cmp_eq_u32_sdwa s[0:1], v3, v11 src0_sel:WORD_0 src1_sel:DWORD
	s_nop 1
	v_cndmask_b32_e64 v56, v4, v3, s[0:1]
; %bb.657:                              ;   in Loop: Header=BB351_299 Depth=1
	s_or_b64 exec, exec, s[6:7]
	v_lshlrev_b32_e32 v2, 16, v2
	v_mul_f32_e32 v2, v45, v2
	v_and_b32_e32 v3, 0x7f800000, v2
	v_cmp_ne_u32_e64 s[0:1], s9, v3
                                        ; implicit-def: $vgpr57
	s_and_saveexec_b64 s[6:7], s[0:1]
	s_xor_b64 s[0:1], exec, s[6:7]
; %bb.658:                              ;   in Loop: Header=BB351_299 Depth=1
	v_bfe_u32 v3, v2, 16, 1
	v_add3_u32 v57, v2, v3, s12
                                        ; implicit-def: $vgpr2
; %bb.659:                              ;   in Loop: Header=BB351_299 Depth=1
	s_andn2_saveexec_b64 s[6:7], s[0:1]
; %bb.660:                              ;   in Loop: Header=BB351_299 Depth=1
	v_or_b32_e32 v3, 0x10000, v2
	v_cmp_eq_u32_sdwa s[0:1], v2, v11 src0_sel:WORD_0 src1_sel:DWORD
	s_nop 1
	v_cndmask_b32_e64 v57, v3, v2, s[0:1]
; %bb.661:                              ;   in Loop: Header=BB351_299 Depth=1
	s_or_b64 exec, exec, s[6:7]
	flat_load_dwordx2 v[2:3], v[0:1] offset:2560
                                        ; implicit-def: $vgpr16
	s_waitcnt vmcnt(0) lgkmcnt(0)
	v_and_b32_e32 v4, 0xff, v2
	v_cvt_f32_fp8_sdwa v4, v4 src0_sel:BYTE_0
	s_nop 0
	v_mul_f32_e32 v4, v35, v4
	v_and_b32_e32 v5, 0x7f800000, v4
	v_cmp_ne_u32_e64 s[0:1], s9, v5
	s_and_saveexec_b64 s[6:7], s[0:1]
	s_xor_b64 s[0:1], exec, s[6:7]
; %bb.662:                              ;   in Loop: Header=BB351_299 Depth=1
	v_bfe_u32 v5, v4, 16, 1
	v_add3_u32 v16, v4, v5, s12
                                        ; implicit-def: $vgpr4
; %bb.663:                              ;   in Loop: Header=BB351_299 Depth=1
	s_andn2_saveexec_b64 s[6:7], s[0:1]
; %bb.664:                              ;   in Loop: Header=BB351_299 Depth=1
	v_or_b32_e32 v5, 0x10000, v4
	v_cmp_eq_u32_sdwa s[0:1], v4, v11 src0_sel:WORD_0 src1_sel:DWORD
	s_nop 1
	v_cndmask_b32_e64 v16, v5, v4, s[0:1]
; %bb.665:                              ;   in Loop: Header=BB351_299 Depth=1
	s_or_b64 exec, exec, s[6:7]
	v_bfe_u32 v4, v2, 8, 8
	v_cvt_f32_fp8_sdwa v4, v4 src0_sel:BYTE_0
	s_nop 0
	v_mul_f32_e32 v4, v35, v4
	v_and_b32_e32 v5, 0x7f800000, v4
	v_cmp_ne_u32_e64 s[0:1], s9, v5
                                        ; implicit-def: $vgpr5
	s_and_saveexec_b64 s[6:7], s[0:1]
	s_xor_b64 s[0:1], exec, s[6:7]
; %bb.666:                              ;   in Loop: Header=BB351_299 Depth=1
	v_bfe_u32 v5, v4, 16, 1
	v_add3_u32 v5, v4, v5, s12
                                        ; implicit-def: $vgpr4
; %bb.667:                              ;   in Loop: Header=BB351_299 Depth=1
	s_andn2_saveexec_b64 s[6:7], s[0:1]
; %bb.668:                              ;   in Loop: Header=BB351_299 Depth=1
	v_or_b32_e32 v5, 0x10000, v4
	v_cmp_eq_u32_sdwa s[0:1], v4, v11 src0_sel:WORD_0 src1_sel:DWORD
	s_nop 1
	v_cndmask_b32_e64 v5, v5, v4, s[0:1]
; %bb.669:                              ;   in Loop: Header=BB351_299 Depth=1
	s_or_b64 exec, exec, s[6:7]
	v_bfe_u32 v4, v2, 16, 8
	v_cvt_f32_fp8_sdwa v4, v4 src0_sel:BYTE_0
	s_nop 0
	v_mul_f32_e32 v23, v35, v4
	v_and_b32_e32 v4, 0x7f800000, v23
	v_cmp_ne_u32_e64 s[0:1], s9, v4
                                        ; implicit-def: $vgpr4
	s_and_saveexec_b64 s[6:7], s[0:1]
	s_xor_b64 s[0:1], exec, s[6:7]
; %bb.670:                              ;   in Loop: Header=BB351_299 Depth=1
	v_bfe_u32 v4, v23, 16, 1
	v_add3_u32 v4, v23, v4, s12
                                        ; implicit-def: $vgpr23
; %bb.671:                              ;   in Loop: Header=BB351_299 Depth=1
	s_andn2_saveexec_b64 s[6:7], s[0:1]
; %bb.672:                              ;   in Loop: Header=BB351_299 Depth=1
	v_or_b32_e32 v4, 0x10000, v23
	v_cmp_eq_u32_sdwa s[0:1], v23, v11 src0_sel:WORD_0 src1_sel:DWORD
	s_nop 1
	v_cndmask_b32_e64 v4, v4, v23, s[0:1]
; %bb.673:                              ;   in Loop: Header=BB351_299 Depth=1
	s_or_b64 exec, exec, s[6:7]
	v_lshrrev_b32_e32 v2, 24, v2
	v_cvt_f32_fp8_sdwa v2, v2 src0_sel:BYTE_0
	s_nop 0
	v_mul_f32_e32 v23, v35, v2
	v_and_b32_e32 v2, 0x7f800000, v23
	v_cmp_ne_u32_e64 s[0:1], s9, v2
                                        ; implicit-def: $vgpr2
	s_and_saveexec_b64 s[6:7], s[0:1]
	s_xor_b64 s[0:1], exec, s[6:7]
; %bb.674:                              ;   in Loop: Header=BB351_299 Depth=1
	v_bfe_u32 v2, v23, 16, 1
	v_add3_u32 v2, v23, v2, s12
                                        ; implicit-def: $vgpr23
; %bb.675:                              ;   in Loop: Header=BB351_299 Depth=1
	s_andn2_saveexec_b64 s[6:7], s[0:1]
; %bb.676:                              ;   in Loop: Header=BB351_299 Depth=1
	v_or_b32_e32 v2, 0x10000, v23
	v_cmp_eq_u32_sdwa s[0:1], v23, v11 src0_sel:WORD_0 src1_sel:DWORD
	s_nop 1
	v_cndmask_b32_e64 v2, v2, v23, s[0:1]
; %bb.677:                              ;   in Loop: Header=BB351_299 Depth=1
	s_or_b64 exec, exec, s[6:7]
	v_and_b32_e32 v23, 0xff, v3
	v_cvt_f32_fp8_sdwa v23, v23 src0_sel:BYTE_0
                                        ; implicit-def: $vgpr28
	s_nop 0
	v_mul_f32_e32 v23, v35, v23
	v_and_b32_e32 v26, 0x7f800000, v23
	v_cmp_ne_u32_e64 s[0:1], s9, v26
	s_and_saveexec_b64 s[6:7], s[0:1]
	s_xor_b64 s[0:1], exec, s[6:7]
; %bb.678:                              ;   in Loop: Header=BB351_299 Depth=1
	v_bfe_u32 v26, v23, 16, 1
	v_add3_u32 v28, v23, v26, s12
                                        ; implicit-def: $vgpr23
; %bb.679:                              ;   in Loop: Header=BB351_299 Depth=1
	s_andn2_saveexec_b64 s[6:7], s[0:1]
; %bb.680:                              ;   in Loop: Header=BB351_299 Depth=1
	v_or_b32_e32 v26, 0x10000, v23
	v_cmp_eq_u32_sdwa s[0:1], v23, v11 src0_sel:WORD_0 src1_sel:DWORD
	s_nop 1
	v_cndmask_b32_e64 v28, v26, v23, s[0:1]
; %bb.681:                              ;   in Loop: Header=BB351_299 Depth=1
	s_or_b64 exec, exec, s[6:7]
	v_bfe_u32 v23, v3, 8, 8
	v_cvt_f32_fp8_sdwa v23, v23 src0_sel:BYTE_0
	s_nop 0
	v_mul_f32_e32 v26, v35, v23
	v_and_b32_e32 v23, 0x7f800000, v26
	v_cmp_ne_u32_e64 s[0:1], s9, v23
                                        ; implicit-def: $vgpr23
	s_and_saveexec_b64 s[6:7], s[0:1]
	s_xor_b64 s[0:1], exec, s[6:7]
; %bb.682:                              ;   in Loop: Header=BB351_299 Depth=1
	v_bfe_u32 v23, v26, 16, 1
	v_add3_u32 v23, v26, v23, s12
                                        ; implicit-def: $vgpr26
; %bb.683:                              ;   in Loop: Header=BB351_299 Depth=1
	s_andn2_saveexec_b64 s[6:7], s[0:1]
; %bb.684:                              ;   in Loop: Header=BB351_299 Depth=1
	v_or_b32_e32 v23, 0x10000, v26
	v_cmp_eq_u32_sdwa s[0:1], v26, v11 src0_sel:WORD_0 src1_sel:DWORD
	s_nop 1
	v_cndmask_b32_e64 v23, v23, v26, s[0:1]
; %bb.685:                              ;   in Loop: Header=BB351_299 Depth=1
	s_or_b64 exec, exec, s[6:7]
	v_bfe_u32 v26, v3, 16, 8
	v_cvt_f32_fp8_sdwa v26, v26 src0_sel:BYTE_0
                                        ; implicit-def: $vgpr32
	s_nop 0
	v_mul_f32_e32 v26, v35, v26
	v_and_b32_e32 v27, 0x7f800000, v26
	v_cmp_ne_u32_e64 s[0:1], s9, v27
	s_and_saveexec_b64 s[6:7], s[0:1]
	s_xor_b64 s[0:1], exec, s[6:7]
; %bb.686:                              ;   in Loop: Header=BB351_299 Depth=1
	v_bfe_u32 v27, v26, 16, 1
	v_add3_u32 v32, v26, v27, s12
                                        ; implicit-def: $vgpr26
; %bb.687:                              ;   in Loop: Header=BB351_299 Depth=1
	s_andn2_saveexec_b64 s[6:7], s[0:1]
; %bb.688:                              ;   in Loop: Header=BB351_299 Depth=1
	v_or_b32_e32 v27, 0x10000, v26
	v_cmp_eq_u32_sdwa s[0:1], v26, v11 src0_sel:WORD_0 src1_sel:DWORD
	s_nop 1
	v_cndmask_b32_e64 v32, v27, v26, s[0:1]
; %bb.689:                              ;   in Loop: Header=BB351_299 Depth=1
	s_or_b64 exec, exec, s[6:7]
	v_lshrrev_b32_e32 v3, 24, v3
	v_cvt_f32_fp8_sdwa v3, v3 src0_sel:BYTE_0
	s_nop 0
	v_mul_f32_e32 v3, v35, v3
	v_and_b32_e32 v26, 0x7f800000, v3
	v_cmp_ne_u32_e64 s[0:1], s9, v26
                                        ; implicit-def: $vgpr26
	s_and_saveexec_b64 s[6:7], s[0:1]
	s_xor_b64 s[0:1], exec, s[6:7]
; %bb.690:                              ;   in Loop: Header=BB351_299 Depth=1
	v_bfe_u32 v26, v3, 16, 1
	v_add3_u32 v26, v3, v26, s12
                                        ; implicit-def: $vgpr3
; %bb.691:                              ;   in Loop: Header=BB351_299 Depth=1
	s_andn2_saveexec_b64 s[6:7], s[0:1]
; %bb.692:                              ;   in Loop: Header=BB351_299 Depth=1
	v_or_b32_e32 v26, 0x10000, v3
	v_cmp_eq_u32_sdwa s[0:1], v3, v11 src0_sel:WORD_0 src1_sel:DWORD
	s_nop 1
	v_cndmask_b32_e64 v26, v26, v3, s[0:1]
; %bb.693:                              ;   in Loop: Header=BB351_299 Depth=1
	s_or_b64 exec, exec, s[6:7]
	v_lshrrev_b32_e32 v23, 16, v23
	v_lshrrev_b32_e32 v31, 16, v28
	;; [unrolled: 1-line block ×8, first 2 shown]
	s_and_saveexec_b64 s[6:7], vcc
	s_cbranch_execz .LBB351_695
; %bb.694:                              ;   in Loop: Header=BB351_299 Depth=1
	v_accvgpr_read_b32 v26, a20
	v_cmp_lt_i32_e64 s[0:1], v26, v33
	v_accvgpr_read_b32 v26, a26
	s_nop 0
	v_cndmask_b32_e64 v16, 0, v16, s[0:1]
	v_cmp_lt_i32_e64 s[0:1], v26, v33
	v_accvgpr_read_b32 v26, a25
	s_nop 0
	v_cndmask_b32_e64 v5, 0, v5, s[0:1]
	;; [unrolled: 4-line block ×6, first 2 shown]
	v_cmp_lt_i32_e64 s[0:1], v26, v33
	s_nop 1
	v_cndmask_b32_e64 v3, 0, v3, s[0:1]
	v_cmp_lt_i32_e64 s[0:1], v10, v33
	s_nop 1
	v_cndmask_b32_e64 v2, 0, v2, s[0:1]
.LBB351_695:                            ;   in Loop: Header=BB351_299 Depth=1
	s_or_b64 exec, exec, s[6:7]
	v_lshlrev_b32_e32 v16, 16, v16
	v_mul_f32_e32 v16, v54, v16
	v_and_b32_e32 v26, 0x7f800000, v16
	v_cmp_ne_u32_e64 s[0:1], s9, v26
                                        ; implicit-def: $vgpr58
	s_and_saveexec_b64 s[6:7], s[0:1]
	s_xor_b64 s[0:1], exec, s[6:7]
; %bb.696:                              ;   in Loop: Header=BB351_299 Depth=1
	v_bfe_u32 v26, v16, 16, 1
	v_add3_u32 v58, v16, v26, s12
                                        ; implicit-def: $vgpr16
; %bb.697:                              ;   in Loop: Header=BB351_299 Depth=1
	s_andn2_saveexec_b64 s[6:7], s[0:1]
; %bb.698:                              ;   in Loop: Header=BB351_299 Depth=1
	v_or_b32_e32 v26, 0x10000, v16
	v_cmp_eq_u32_sdwa s[0:1], v16, v11 src0_sel:WORD_0 src1_sel:DWORD
	s_nop 1
	v_cndmask_b32_e64 v58, v26, v16, s[0:1]
; %bb.699:                              ;   in Loop: Header=BB351_299 Depth=1
	s_or_b64 exec, exec, s[6:7]
	v_lshlrev_b32_e32 v5, 16, v5
	v_mul_f32_e32 v5, v55, v5
	v_and_b32_e32 v16, 0x7f800000, v5
	v_cmp_ne_u32_e64 s[0:1], s9, v16
                                        ; implicit-def: $vgpr59
	s_and_saveexec_b64 s[6:7], s[0:1]
	s_xor_b64 s[0:1], exec, s[6:7]
; %bb.700:                              ;   in Loop: Header=BB351_299 Depth=1
	v_bfe_u32 v16, v5, 16, 1
	v_add3_u32 v59, v5, v16, s12
                                        ; implicit-def: $vgpr5
; %bb.701:                              ;   in Loop: Header=BB351_299 Depth=1
	s_andn2_saveexec_b64 s[6:7], s[0:1]
; %bb.702:                              ;   in Loop: Header=BB351_299 Depth=1
	v_or_b32_e32 v16, 0x10000, v5
	v_cmp_eq_u32_sdwa s[0:1], v5, v11 src0_sel:WORD_0 src1_sel:DWORD
	s_nop 1
	v_cndmask_b32_e64 v59, v16, v5, s[0:1]
; %bb.703:                              ;   in Loop: Header=BB351_299 Depth=1
	s_or_b64 exec, exec, s[6:7]
	v_lshlrev_b32_e32 v4, 16, v4
	v_mul_f32_e32 v4, v40, v4
	v_and_b32_e32 v5, 0x7f800000, v4
	v_cmp_ne_u32_e64 s[0:1], s9, v5
                                        ; implicit-def: $vgpr60
	s_and_saveexec_b64 s[6:7], s[0:1]
	s_xor_b64 s[0:1], exec, s[6:7]
; %bb.704:                              ;   in Loop: Header=BB351_299 Depth=1
	v_bfe_u32 v5, v4, 16, 1
	v_add3_u32 v60, v4, v5, s12
                                        ; implicit-def: $vgpr4
; %bb.705:                              ;   in Loop: Header=BB351_299 Depth=1
	s_andn2_saveexec_b64 s[6:7], s[0:1]
; %bb.706:                              ;   in Loop: Header=BB351_299 Depth=1
	v_or_b32_e32 v5, 0x10000, v4
	v_cmp_eq_u32_sdwa s[0:1], v4, v11 src0_sel:WORD_0 src1_sel:DWORD
	s_nop 1
	v_cndmask_b32_e64 v60, v5, v4, s[0:1]
; %bb.707:                              ;   in Loop: Header=BB351_299 Depth=1
	s_or_b64 exec, exec, s[6:7]
	v_lshlrev_b32_e32 v4, 16, v30
	v_mul_f32_e32 v4, v41, v4
	v_and_b32_e32 v5, 0x7f800000, v4
	v_cmp_ne_u32_e64 s[0:1], s9, v5
                                        ; implicit-def: $vgpr61
	s_and_saveexec_b64 s[6:7], s[0:1]
	s_xor_b64 s[0:1], exec, s[6:7]
; %bb.708:                              ;   in Loop: Header=BB351_299 Depth=1
	v_bfe_u32 v5, v4, 16, 1
	v_add3_u32 v61, v4, v5, s12
                                        ; implicit-def: $vgpr4
; %bb.709:                              ;   in Loop: Header=BB351_299 Depth=1
	s_andn2_saveexec_b64 s[6:7], s[0:1]
; %bb.710:                              ;   in Loop: Header=BB351_299 Depth=1
	v_or_b32_e32 v5, 0x10000, v4
	v_cmp_eq_u32_sdwa s[0:1], v4, v11 src0_sel:WORD_0 src1_sel:DWORD
	s_nop 1
	v_cndmask_b32_e64 v61, v5, v4, s[0:1]
; %bb.711:                              ;   in Loop: Header=BB351_299 Depth=1
	s_or_b64 exec, exec, s[6:7]
	v_lshlrev_b32_e32 v4, 16, v31
	v_mul_f32_e32 v4, v42, v4
	v_and_b32_e32 v5, 0x7f800000, v4
	v_cmp_ne_u32_e64 s[0:1], s9, v5
                                        ; implicit-def: $vgpr39
	s_and_saveexec_b64 s[6:7], s[0:1]
	s_xor_b64 s[0:1], exec, s[6:7]
; %bb.712:                              ;   in Loop: Header=BB351_299 Depth=1
	v_bfe_u32 v5, v4, 16, 1
	v_add3_u32 v39, v4, v5, s12
                                        ; implicit-def: $vgpr4
; %bb.713:                              ;   in Loop: Header=BB351_299 Depth=1
	s_andn2_saveexec_b64 s[6:7], s[0:1]
; %bb.714:                              ;   in Loop: Header=BB351_299 Depth=1
	v_or_b32_e32 v5, 0x10000, v4
	v_cmp_eq_u32_sdwa s[0:1], v4, v11 src0_sel:WORD_0 src1_sel:DWORD
	s_nop 1
	v_cndmask_b32_e64 v39, v5, v4, s[0:1]
; %bb.715:                              ;   in Loop: Header=BB351_299 Depth=1
	s_or_b64 exec, exec, s[6:7]
	v_lshlrev_b32_e32 v4, 16, v23
	v_mul_f32_e32 v4, v43, v4
	v_and_b32_e32 v5, 0x7f800000, v4
	v_cmp_ne_u32_e64 s[0:1], s9, v5
                                        ; implicit-def: $vgpr48
	s_and_saveexec_b64 s[6:7], s[0:1]
	s_xor_b64 s[0:1], exec, s[6:7]
; %bb.716:                              ;   in Loop: Header=BB351_299 Depth=1
	v_bfe_u32 v5, v4, 16, 1
	v_add3_u32 v48, v4, v5, s12
                                        ; implicit-def: $vgpr4
; %bb.717:                              ;   in Loop: Header=BB351_299 Depth=1
	s_andn2_saveexec_b64 s[6:7], s[0:1]
; %bb.718:                              ;   in Loop: Header=BB351_299 Depth=1
	v_or_b32_e32 v5, 0x10000, v4
	v_cmp_eq_u32_sdwa s[0:1], v4, v11 src0_sel:WORD_0 src1_sel:DWORD
	s_nop 1
	v_cndmask_b32_e64 v48, v5, v4, s[0:1]
; %bb.719:                              ;   in Loop: Header=BB351_299 Depth=1
	s_or_b64 exec, exec, s[6:7]
	v_lshlrev_b32_e32 v3, 16, v3
	v_mul_f32_e32 v3, v44, v3
	v_and_b32_e32 v4, 0x7f800000, v3
	v_cmp_ne_u32_e64 s[0:1], s9, v4
                                        ; implicit-def: $vgpr49
	s_and_saveexec_b64 s[6:7], s[0:1]
	s_xor_b64 s[0:1], exec, s[6:7]
; %bb.720:                              ;   in Loop: Header=BB351_299 Depth=1
	v_bfe_u32 v4, v3, 16, 1
	v_add3_u32 v49, v3, v4, s12
                                        ; implicit-def: $vgpr3
; %bb.721:                              ;   in Loop: Header=BB351_299 Depth=1
	s_andn2_saveexec_b64 s[6:7], s[0:1]
; %bb.722:                              ;   in Loop: Header=BB351_299 Depth=1
	v_or_b32_e32 v4, 0x10000, v3
	v_cmp_eq_u32_sdwa s[0:1], v3, v11 src0_sel:WORD_0 src1_sel:DWORD
	s_nop 1
	v_cndmask_b32_e64 v49, v4, v3, s[0:1]
; %bb.723:                              ;   in Loop: Header=BB351_299 Depth=1
	s_or_b64 exec, exec, s[6:7]
	v_lshlrev_b32_e32 v2, 16, v2
	v_mul_f32_e32 v2, v45, v2
	v_and_b32_e32 v3, 0x7f800000, v2
	v_cmp_ne_u32_e64 s[0:1], s9, v3
                                        ; implicit-def: $vgpr50
	s_and_saveexec_b64 s[6:7], s[0:1]
	s_xor_b64 s[0:1], exec, s[6:7]
; %bb.724:                              ;   in Loop: Header=BB351_299 Depth=1
	v_bfe_u32 v3, v2, 16, 1
	v_add3_u32 v50, v2, v3, s12
                                        ; implicit-def: $vgpr2
; %bb.725:                              ;   in Loop: Header=BB351_299 Depth=1
	s_andn2_saveexec_b64 s[6:7], s[0:1]
; %bb.726:                              ;   in Loop: Header=BB351_299 Depth=1
	v_or_b32_e32 v3, 0x10000, v2
	v_cmp_eq_u32_sdwa s[0:1], v2, v11 src0_sel:WORD_0 src1_sel:DWORD
	s_nop 1
	v_cndmask_b32_e64 v50, v3, v2, s[0:1]
; %bb.727:                              ;   in Loop: Header=BB351_299 Depth=1
	s_or_b64 exec, exec, s[6:7]
	flat_load_dwordx2 v[2:3], v[0:1] offset:3072
                                        ; implicit-def: $vgpr16
	s_waitcnt vmcnt(0) lgkmcnt(0)
	v_and_b32_e32 v4, 0xff, v2
	v_cvt_f32_fp8_sdwa v4, v4 src0_sel:BYTE_0
	s_nop 0
	v_mul_f32_e32 v4, v35, v4
	v_and_b32_e32 v5, 0x7f800000, v4
	v_cmp_ne_u32_e64 s[0:1], s9, v5
	s_and_saveexec_b64 s[6:7], s[0:1]
	s_xor_b64 s[0:1], exec, s[6:7]
; %bb.728:                              ;   in Loop: Header=BB351_299 Depth=1
	v_bfe_u32 v5, v4, 16, 1
	v_add3_u32 v16, v4, v5, s12
                                        ; implicit-def: $vgpr4
; %bb.729:                              ;   in Loop: Header=BB351_299 Depth=1
	s_andn2_saveexec_b64 s[6:7], s[0:1]
; %bb.730:                              ;   in Loop: Header=BB351_299 Depth=1
	v_or_b32_e32 v5, 0x10000, v4
	v_cmp_eq_u32_sdwa s[0:1], v4, v11 src0_sel:WORD_0 src1_sel:DWORD
	s_nop 1
	v_cndmask_b32_e64 v16, v5, v4, s[0:1]
; %bb.731:                              ;   in Loop: Header=BB351_299 Depth=1
	s_or_b64 exec, exec, s[6:7]
	v_bfe_u32 v4, v2, 8, 8
	v_cvt_f32_fp8_sdwa v4, v4 src0_sel:BYTE_0
	s_nop 0
	v_mul_f32_e32 v4, v35, v4
	v_and_b32_e32 v5, 0x7f800000, v4
	v_cmp_ne_u32_e64 s[0:1], s9, v5
                                        ; implicit-def: $vgpr5
	s_and_saveexec_b64 s[6:7], s[0:1]
	s_xor_b64 s[0:1], exec, s[6:7]
; %bb.732:                              ;   in Loop: Header=BB351_299 Depth=1
	v_bfe_u32 v5, v4, 16, 1
	v_add3_u32 v5, v4, v5, s12
                                        ; implicit-def: $vgpr4
; %bb.733:                              ;   in Loop: Header=BB351_299 Depth=1
	s_andn2_saveexec_b64 s[6:7], s[0:1]
; %bb.734:                              ;   in Loop: Header=BB351_299 Depth=1
	v_or_b32_e32 v5, 0x10000, v4
	v_cmp_eq_u32_sdwa s[0:1], v4, v11 src0_sel:WORD_0 src1_sel:DWORD
	s_nop 1
	v_cndmask_b32_e64 v5, v5, v4, s[0:1]
; %bb.735:                              ;   in Loop: Header=BB351_299 Depth=1
	s_or_b64 exec, exec, s[6:7]
	v_bfe_u32 v4, v2, 16, 8
	v_cvt_f32_fp8_sdwa v4, v4 src0_sel:BYTE_0
	s_nop 0
	v_mul_f32_e32 v23, v35, v4
	v_and_b32_e32 v4, 0x7f800000, v23
	v_cmp_ne_u32_e64 s[0:1], s9, v4
                                        ; implicit-def: $vgpr4
	s_and_saveexec_b64 s[6:7], s[0:1]
	s_xor_b64 s[0:1], exec, s[6:7]
; %bb.736:                              ;   in Loop: Header=BB351_299 Depth=1
	v_bfe_u32 v4, v23, 16, 1
	v_add3_u32 v4, v23, v4, s12
                                        ; implicit-def: $vgpr23
; %bb.737:                              ;   in Loop: Header=BB351_299 Depth=1
	s_andn2_saveexec_b64 s[6:7], s[0:1]
; %bb.738:                              ;   in Loop: Header=BB351_299 Depth=1
	v_or_b32_e32 v4, 0x10000, v23
	v_cmp_eq_u32_sdwa s[0:1], v23, v11 src0_sel:WORD_0 src1_sel:DWORD
	s_nop 1
	v_cndmask_b32_e64 v4, v4, v23, s[0:1]
; %bb.739:                              ;   in Loop: Header=BB351_299 Depth=1
	s_or_b64 exec, exec, s[6:7]
	v_lshrrev_b32_e32 v2, 24, v2
	v_cvt_f32_fp8_sdwa v2, v2 src0_sel:BYTE_0
	s_nop 0
	v_mul_f32_e32 v23, v35, v2
	v_and_b32_e32 v2, 0x7f800000, v23
	v_cmp_ne_u32_e64 s[0:1], s9, v2
                                        ; implicit-def: $vgpr2
	s_and_saveexec_b64 s[6:7], s[0:1]
	s_xor_b64 s[0:1], exec, s[6:7]
; %bb.740:                              ;   in Loop: Header=BB351_299 Depth=1
	v_bfe_u32 v2, v23, 16, 1
	v_add3_u32 v2, v23, v2, s12
                                        ; implicit-def: $vgpr23
; %bb.741:                              ;   in Loop: Header=BB351_299 Depth=1
	s_andn2_saveexec_b64 s[6:7], s[0:1]
; %bb.742:                              ;   in Loop: Header=BB351_299 Depth=1
	v_or_b32_e32 v2, 0x10000, v23
	v_cmp_eq_u32_sdwa s[0:1], v23, v11 src0_sel:WORD_0 src1_sel:DWORD
	s_nop 1
	v_cndmask_b32_e64 v2, v2, v23, s[0:1]
; %bb.743:                              ;   in Loop: Header=BB351_299 Depth=1
	s_or_b64 exec, exec, s[6:7]
	v_and_b32_e32 v23, 0xff, v3
	v_cvt_f32_fp8_sdwa v23, v23 src0_sel:BYTE_0
	s_nop 0
	v_mul_f32_e32 v26, v35, v23
	v_and_b32_e32 v23, 0x7f800000, v26
	v_cmp_ne_u32_e64 s[0:1], s9, v23
                                        ; implicit-def: $vgpr23
	s_and_saveexec_b64 s[6:7], s[0:1]
	s_xor_b64 s[0:1], exec, s[6:7]
; %bb.744:                              ;   in Loop: Header=BB351_299 Depth=1
	v_bfe_u32 v23, v26, 16, 1
	v_add3_u32 v23, v26, v23, s12
                                        ; implicit-def: $vgpr26
; %bb.745:                              ;   in Loop: Header=BB351_299 Depth=1
	s_andn2_saveexec_b64 s[6:7], s[0:1]
; %bb.746:                              ;   in Loop: Header=BB351_299 Depth=1
	v_or_b32_e32 v23, 0x10000, v26
	v_cmp_eq_u32_sdwa s[0:1], v26, v11 src0_sel:WORD_0 src1_sel:DWORD
	s_nop 1
	v_cndmask_b32_e64 v23, v23, v26, s[0:1]
; %bb.747:                              ;   in Loop: Header=BB351_299 Depth=1
	s_or_b64 exec, exec, s[6:7]
	v_bfe_u32 v26, v3, 8, 8
	v_cvt_f32_fp8_sdwa v26, v26 src0_sel:BYTE_0
                                        ; implicit-def: $vgpr28
	s_nop 0
	v_mul_f32_e32 v26, v35, v26
	v_and_b32_e32 v27, 0x7f800000, v26
	v_cmp_ne_u32_e64 s[0:1], s9, v27
	s_and_saveexec_b64 s[6:7], s[0:1]
	s_xor_b64 s[0:1], exec, s[6:7]
; %bb.748:                              ;   in Loop: Header=BB351_299 Depth=1
	v_bfe_u32 v27, v26, 16, 1
	v_add3_u32 v28, v26, v27, s12
                                        ; implicit-def: $vgpr26
; %bb.749:                              ;   in Loop: Header=BB351_299 Depth=1
	s_andn2_saveexec_b64 s[6:7], s[0:1]
; %bb.750:                              ;   in Loop: Header=BB351_299 Depth=1
	v_or_b32_e32 v27, 0x10000, v26
	v_cmp_eq_u32_sdwa s[0:1], v26, v11 src0_sel:WORD_0 src1_sel:DWORD
	s_nop 1
	v_cndmask_b32_e64 v28, v27, v26, s[0:1]
; %bb.751:                              ;   in Loop: Header=BB351_299 Depth=1
	s_or_b64 exec, exec, s[6:7]
	v_bfe_u32 v26, v3, 16, 8
	v_cvt_f32_fp8_sdwa v26, v26 src0_sel:BYTE_0
                                        ; implicit-def: $vgpr34
	s_nop 0
	v_mul_f32_e32 v26, v35, v26
	v_and_b32_e32 v27, 0x7f800000, v26
	v_cmp_ne_u32_e64 s[0:1], s9, v27
	s_and_saveexec_b64 s[6:7], s[0:1]
	s_xor_b64 s[0:1], exec, s[6:7]
; %bb.752:                              ;   in Loop: Header=BB351_299 Depth=1
	v_bfe_u32 v27, v26, 16, 1
	v_add3_u32 v34, v26, v27, s12
                                        ; implicit-def: $vgpr26
; %bb.753:                              ;   in Loop: Header=BB351_299 Depth=1
	s_andn2_saveexec_b64 s[6:7], s[0:1]
; %bb.754:                              ;   in Loop: Header=BB351_299 Depth=1
	v_or_b32_e32 v27, 0x10000, v26
	v_cmp_eq_u32_sdwa s[0:1], v26, v11 src0_sel:WORD_0 src1_sel:DWORD
	s_nop 1
	v_cndmask_b32_e64 v34, v27, v26, s[0:1]
; %bb.755:                              ;   in Loop: Header=BB351_299 Depth=1
	s_or_b64 exec, exec, s[6:7]
	v_lshrrev_b32_e32 v3, 24, v3
	v_cvt_f32_fp8_sdwa v3, v3 src0_sel:BYTE_0
	s_nop 0
	v_mul_f32_e32 v3, v35, v3
	v_and_b32_e32 v26, 0x7f800000, v3
	v_cmp_ne_u32_e64 s[0:1], s9, v26
                                        ; implicit-def: $vgpr26
	s_and_saveexec_b64 s[6:7], s[0:1]
	s_xor_b64 s[0:1], exec, s[6:7]
; %bb.756:                              ;   in Loop: Header=BB351_299 Depth=1
	v_bfe_u32 v26, v3, 16, 1
	v_add3_u32 v26, v3, v26, s12
                                        ; implicit-def: $vgpr3
; %bb.757:                              ;   in Loop: Header=BB351_299 Depth=1
	s_andn2_saveexec_b64 s[6:7], s[0:1]
; %bb.758:                              ;   in Loop: Header=BB351_299 Depth=1
	v_or_b32_e32 v26, 0x10000, v3
	v_cmp_eq_u32_sdwa s[0:1], v3, v11 src0_sel:WORD_0 src1_sel:DWORD
	s_nop 1
	v_cndmask_b32_e64 v26, v26, v3, s[0:1]
; %bb.759:                              ;   in Loop: Header=BB351_299 Depth=1
	s_or_b64 exec, exec, s[6:7]
	v_lshrrev_b32_e32 v31, 16, v28
	v_lshrrev_b32_e32 v32, 16, v23
	;; [unrolled: 1-line block ×8, first 2 shown]
	s_and_saveexec_b64 s[6:7], vcc
	s_cbranch_execz .LBB351_761
; %bb.760:                              ;   in Loop: Header=BB351_299 Depth=1
	v_accvgpr_read_b32 v5, a20
	v_cmp_lt_i32_e64 s[0:1], v5, v33
	v_accvgpr_read_b32 v5, a26
	s_nop 0
	v_cndmask_b32_e64 v2, 0, v2, s[0:1]
	v_cmp_lt_i32_e64 s[0:1], v5, v33
	v_accvgpr_read_b32 v5, a25
	s_nop 0
	v_cndmask_b32_e64 v3, 0, v3, s[0:1]
	;; [unrolled: 4-line block ×6, first 2 shown]
	v_cmp_lt_i32_e64 s[0:1], v5, v33
	s_nop 1
	v_cndmask_b32_e64 v23, 0, v23, s[0:1]
	v_cmp_lt_i32_e64 s[0:1], v10, v33
	s_nop 1
	v_cndmask_b32_e64 v16, 0, v16, s[0:1]
.LBB351_761:                            ;   in Loop: Header=BB351_299 Depth=1
	s_or_b64 exec, exec, s[6:7]
	v_lshlrev_b32_e32 v2, 16, v2
	v_mul_f32_e32 v5, v54, v2
	v_and_b32_e32 v2, 0x7f800000, v5
	v_cmp_ne_u32_e64 s[0:1], s9, v2
                                        ; implicit-def: $vgpr2
	s_and_saveexec_b64 s[6:7], s[0:1]
	s_xor_b64 s[0:1], exec, s[6:7]
; %bb.762:                              ;   in Loop: Header=BB351_299 Depth=1
	v_bfe_u32 v2, v5, 16, 1
	v_add3_u32 v2, v5, v2, s12
                                        ; implicit-def: $vgpr5
; %bb.763:                              ;   in Loop: Header=BB351_299 Depth=1
	s_andn2_saveexec_b64 s[6:7], s[0:1]
; %bb.764:                              ;   in Loop: Header=BB351_299 Depth=1
	v_or_b32_e32 v2, 0x10000, v5
	v_cmp_eq_u32_sdwa s[0:1], v5, v11 src0_sel:WORD_0 src1_sel:DWORD
	s_nop 1
	v_cndmask_b32_e64 v2, v2, v5, s[0:1]
; %bb.765:                              ;   in Loop: Header=BB351_299 Depth=1
	s_or_b64 exec, exec, s[6:7]
	v_lshlrev_b32_e32 v3, 16, v3
	v_mul_f32_e32 v5, v55, v3
	v_and_b32_e32 v3, 0x7f800000, v5
	v_cmp_ne_u32_e64 s[0:1], s9, v3
                                        ; implicit-def: $vgpr3
	s_and_saveexec_b64 s[6:7], s[0:1]
	s_xor_b64 s[0:1], exec, s[6:7]
; %bb.766:                              ;   in Loop: Header=BB351_299 Depth=1
	v_bfe_u32 v3, v5, 16, 1
	v_add3_u32 v3, v5, v3, s12
                                        ; implicit-def: $vgpr5
; %bb.767:                              ;   in Loop: Header=BB351_299 Depth=1
	s_andn2_saveexec_b64 s[6:7], s[0:1]
; %bb.768:                              ;   in Loop: Header=BB351_299 Depth=1
	v_or_b32_e32 v3, 0x10000, v5
	v_cmp_eq_u32_sdwa s[0:1], v5, v11 src0_sel:WORD_0 src1_sel:DWORD
	s_nop 1
	v_cndmask_b32_e64 v3, v3, v5, s[0:1]
; %bb.769:                              ;   in Loop: Header=BB351_299 Depth=1
	s_or_b64 exec, exec, s[6:7]
	v_lshlrev_b32_e32 v4, 16, v4
	v_mul_f32_e32 v4, v40, v4
	v_and_b32_e32 v5, 0x7f800000, v4
	v_cmp_ne_u32_e64 s[0:1], s9, v5
                                        ; implicit-def: $vgpr51
	s_and_saveexec_b64 s[6:7], s[0:1]
	s_xor_b64 s[0:1], exec, s[6:7]
; %bb.770:                              ;   in Loop: Header=BB351_299 Depth=1
	v_bfe_u32 v5, v4, 16, 1
	v_add3_u32 v51, v4, v5, s12
                                        ; implicit-def: $vgpr4
; %bb.771:                              ;   in Loop: Header=BB351_299 Depth=1
	s_andn2_saveexec_b64 s[6:7], s[0:1]
; %bb.772:                              ;   in Loop: Header=BB351_299 Depth=1
	v_or_b32_e32 v5, 0x10000, v4
	v_cmp_eq_u32_sdwa s[0:1], v4, v11 src0_sel:WORD_0 src1_sel:DWORD
	s_nop 1
	v_cndmask_b32_e64 v51, v5, v4, s[0:1]
; %bb.773:                              ;   in Loop: Header=BB351_299 Depth=1
	s_or_b64 exec, exec, s[6:7]
	v_lshlrev_b32_e32 v4, 16, v30
	v_mul_f32_e32 v4, v41, v4
	v_and_b32_e32 v5, 0x7f800000, v4
	v_cmp_ne_u32_e64 s[0:1], s9, v5
                                        ; implicit-def: $vgpr52
	s_and_saveexec_b64 s[6:7], s[0:1]
	s_xor_b64 s[0:1], exec, s[6:7]
; %bb.774:                              ;   in Loop: Header=BB351_299 Depth=1
	v_bfe_u32 v5, v4, 16, 1
	v_add3_u32 v52, v4, v5, s12
                                        ; implicit-def: $vgpr4
; %bb.775:                              ;   in Loop: Header=BB351_299 Depth=1
	s_andn2_saveexec_b64 s[6:7], s[0:1]
; %bb.776:                              ;   in Loop: Header=BB351_299 Depth=1
	v_or_b32_e32 v5, 0x10000, v4
	v_cmp_eq_u32_sdwa s[0:1], v4, v11 src0_sel:WORD_0 src1_sel:DWORD
	s_nop 1
	v_cndmask_b32_e64 v52, v5, v4, s[0:1]
; %bb.777:                              ;   in Loop: Header=BB351_299 Depth=1
	s_or_b64 exec, exec, s[6:7]
	v_lshlrev_b32_e32 v4, 16, v32
	v_mul_f32_e32 v4, v42, v4
	v_and_b32_e32 v5, 0x7f800000, v4
	v_cmp_ne_u32_e64 s[0:1], s9, v5
                                        ; implicit-def: $vgpr53
	s_and_saveexec_b64 s[6:7], s[0:1]
	s_xor_b64 s[0:1], exec, s[6:7]
; %bb.778:                              ;   in Loop: Header=BB351_299 Depth=1
	v_bfe_u32 v5, v4, 16, 1
	v_add3_u32 v53, v4, v5, s12
                                        ; implicit-def: $vgpr4
; %bb.779:                              ;   in Loop: Header=BB351_299 Depth=1
	s_andn2_saveexec_b64 s[6:7], s[0:1]
; %bb.780:                              ;   in Loop: Header=BB351_299 Depth=1
	v_or_b32_e32 v5, 0x10000, v4
	v_cmp_eq_u32_sdwa s[0:1], v4, v11 src0_sel:WORD_0 src1_sel:DWORD
	s_nop 1
	v_cndmask_b32_e64 v53, v5, v4, s[0:1]
; %bb.781:                              ;   in Loop: Header=BB351_299 Depth=1
	s_or_b64 exec, exec, s[6:7]
	v_lshlrev_b32_e32 v4, 16, v31
	v_mul_f32_e32 v4, v43, v4
	v_and_b32_e32 v5, 0x7f800000, v4
	v_cmp_ne_u32_e64 s[0:1], s9, v5
                                        ; implicit-def: $vgpr62
	s_and_saveexec_b64 s[6:7], s[0:1]
	s_xor_b64 s[0:1], exec, s[6:7]
; %bb.782:                              ;   in Loop: Header=BB351_299 Depth=1
	v_bfe_u32 v5, v4, 16, 1
	v_add3_u32 v62, v4, v5, s12
                                        ; implicit-def: $vgpr4
; %bb.783:                              ;   in Loop: Header=BB351_299 Depth=1
	s_andn2_saveexec_b64 s[6:7], s[0:1]
; %bb.784:                              ;   in Loop: Header=BB351_299 Depth=1
	v_or_b32_e32 v5, 0x10000, v4
	v_cmp_eq_u32_sdwa s[0:1], v4, v11 src0_sel:WORD_0 src1_sel:DWORD
	s_nop 1
	v_cndmask_b32_e64 v62, v5, v4, s[0:1]
; %bb.785:                              ;   in Loop: Header=BB351_299 Depth=1
	s_or_b64 exec, exec, s[6:7]
	v_lshlrev_b32_e32 v4, 16, v23
	v_mul_f32_e32 v4, v44, v4
	v_and_b32_e32 v5, 0x7f800000, v4
	v_cmp_ne_u32_e64 s[0:1], s9, v5
                                        ; implicit-def: $vgpr31
	s_and_saveexec_b64 s[6:7], s[0:1]
	s_xor_b64 s[0:1], exec, s[6:7]
; %bb.786:                              ;   in Loop: Header=BB351_299 Depth=1
	v_bfe_u32 v5, v4, 16, 1
	v_add3_u32 v31, v4, v5, s12
                                        ; implicit-def: $vgpr4
; %bb.787:                              ;   in Loop: Header=BB351_299 Depth=1
	s_andn2_saveexec_b64 s[6:7], s[0:1]
; %bb.788:                              ;   in Loop: Header=BB351_299 Depth=1
	v_or_b32_e32 v5, 0x10000, v4
	v_cmp_eq_u32_sdwa s[0:1], v4, v11 src0_sel:WORD_0 src1_sel:DWORD
	s_nop 1
	v_cndmask_b32_e64 v31, v5, v4, s[0:1]
; %bb.789:                              ;   in Loop: Header=BB351_299 Depth=1
	s_or_b64 exec, exec, s[6:7]
	v_lshlrev_b32_e32 v4, 16, v16
	v_mul_f32_e32 v4, v45, v4
	v_and_b32_e32 v5, 0x7f800000, v4
	v_cmp_ne_u32_e64 s[0:1], s9, v5
                                        ; implicit-def: $vgpr23
	s_and_saveexec_b64 s[6:7], s[0:1]
	s_xor_b64 s[0:1], exec, s[6:7]
; %bb.790:                              ;   in Loop: Header=BB351_299 Depth=1
	v_bfe_u32 v5, v4, 16, 1
	v_add3_u32 v23, v4, v5, s12
                                        ; implicit-def: $vgpr4
; %bb.791:                              ;   in Loop: Header=BB351_299 Depth=1
	s_andn2_saveexec_b64 s[6:7], s[0:1]
; %bb.792:                              ;   in Loop: Header=BB351_299 Depth=1
	v_or_b32_e32 v5, 0x10000, v4
	v_cmp_eq_u32_sdwa s[0:1], v4, v11 src0_sel:WORD_0 src1_sel:DWORD
	s_nop 1
	v_cndmask_b32_e64 v23, v5, v4, s[0:1]
; %bb.793:                              ;   in Loop: Header=BB351_299 Depth=1
	s_or_b64 exec, exec, s[6:7]
	flat_load_dwordx2 v[0:1], v[0:1] offset:3584
                                        ; implicit-def: $vgpr16
	s_waitcnt vmcnt(0) lgkmcnt(0)
	v_and_b32_e32 v4, 0xff, v0
	v_cvt_f32_fp8_sdwa v4, v4 src0_sel:BYTE_0
	s_nop 0
	v_mul_f32_e32 v4, v35, v4
	v_and_b32_e32 v5, 0x7f800000, v4
	v_cmp_ne_u32_e64 s[0:1], s9, v5
	s_and_saveexec_b64 s[6:7], s[0:1]
	s_xor_b64 s[0:1], exec, s[6:7]
; %bb.794:                              ;   in Loop: Header=BB351_299 Depth=1
	v_bfe_u32 v5, v4, 16, 1
	v_add3_u32 v16, v4, v5, s12
                                        ; implicit-def: $vgpr4
; %bb.795:                              ;   in Loop: Header=BB351_299 Depth=1
	s_andn2_saveexec_b64 s[6:7], s[0:1]
; %bb.796:                              ;   in Loop: Header=BB351_299 Depth=1
	v_or_b32_e32 v5, 0x10000, v4
	v_cmp_eq_u32_sdwa s[0:1], v4, v11 src0_sel:WORD_0 src1_sel:DWORD
	s_nop 1
	v_cndmask_b32_e64 v16, v5, v4, s[0:1]
; %bb.797:                              ;   in Loop: Header=BB351_299 Depth=1
	s_or_b64 exec, exec, s[6:7]
	v_bfe_u32 v4, v0, 8, 8
	v_cvt_f32_fp8_sdwa v4, v4 src0_sel:BYTE_0
	s_nop 0
	v_mul_f32_e32 v4, v35, v4
	v_and_b32_e32 v5, 0x7f800000, v4
	v_cmp_ne_u32_e64 s[0:1], s9, v5
                                        ; implicit-def: $vgpr5
	s_and_saveexec_b64 s[6:7], s[0:1]
	s_xor_b64 s[0:1], exec, s[6:7]
; %bb.798:                              ;   in Loop: Header=BB351_299 Depth=1
	v_bfe_u32 v5, v4, 16, 1
	v_add3_u32 v5, v4, v5, s12
                                        ; implicit-def: $vgpr4
; %bb.799:                              ;   in Loop: Header=BB351_299 Depth=1
	s_andn2_saveexec_b64 s[6:7], s[0:1]
; %bb.800:                              ;   in Loop: Header=BB351_299 Depth=1
	v_or_b32_e32 v5, 0x10000, v4
	v_cmp_eq_u32_sdwa s[0:1], v4, v11 src0_sel:WORD_0 src1_sel:DWORD
	s_nop 1
	v_cndmask_b32_e64 v5, v5, v4, s[0:1]
; %bb.801:                              ;   in Loop: Header=BB351_299 Depth=1
	s_or_b64 exec, exec, s[6:7]
	v_bfe_u32 v4, v0, 16, 8
	v_cvt_f32_fp8_sdwa v4, v4 src0_sel:BYTE_0
                                        ; implicit-def: $vgpr32
	s_nop 0
	v_mul_f32_e32 v4, v35, v4
	v_and_b32_e32 v26, 0x7f800000, v4
	v_cmp_ne_u32_e64 s[0:1], s9, v26
	s_and_saveexec_b64 s[6:7], s[0:1]
	s_xor_b64 s[0:1], exec, s[6:7]
; %bb.802:                              ;   in Loop: Header=BB351_299 Depth=1
	v_bfe_u32 v26, v4, 16, 1
	v_add3_u32 v32, v4, v26, s12
                                        ; implicit-def: $vgpr4
; %bb.803:                              ;   in Loop: Header=BB351_299 Depth=1
	s_andn2_saveexec_b64 s[6:7], s[0:1]
; %bb.804:                              ;   in Loop: Header=BB351_299 Depth=1
	v_or_b32_e32 v26, 0x10000, v4
	v_cmp_eq_u32_sdwa s[0:1], v4, v11 src0_sel:WORD_0 src1_sel:DWORD
	s_nop 1
	v_cndmask_b32_e64 v32, v26, v4, s[0:1]
; %bb.805:                              ;   in Loop: Header=BB351_299 Depth=1
	s_or_b64 exec, exec, s[6:7]
	v_lshrrev_b32_e32 v0, 24, v0
	v_cvt_f32_fp8_sdwa v0, v0 src0_sel:BYTE_0
	s_nop 0
	v_mul_f32_e32 v4, v35, v0
	v_and_b32_e32 v0, 0x7f800000, v4
	v_cmp_ne_u32_e64 s[0:1], s9, v0
                                        ; implicit-def: $vgpr0
	s_and_saveexec_b64 s[6:7], s[0:1]
	s_xor_b64 s[0:1], exec, s[6:7]
; %bb.806:                              ;   in Loop: Header=BB351_299 Depth=1
	v_bfe_u32 v0, v4, 16, 1
	v_add3_u32 v0, v4, v0, s12
                                        ; implicit-def: $vgpr4
; %bb.807:                              ;   in Loop: Header=BB351_299 Depth=1
	s_andn2_saveexec_b64 s[6:7], s[0:1]
; %bb.808:                              ;   in Loop: Header=BB351_299 Depth=1
	v_or_b32_e32 v0, 0x10000, v4
	v_cmp_eq_u32_sdwa s[0:1], v4, v11 src0_sel:WORD_0 src1_sel:DWORD
	s_nop 1
	v_cndmask_b32_e64 v0, v0, v4, s[0:1]
; %bb.809:                              ;   in Loop: Header=BB351_299 Depth=1
	s_or_b64 exec, exec, s[6:7]
	v_and_b32_e32 v4, 0xff, v1
	v_cvt_f32_fp8_sdwa v4, v4 src0_sel:BYTE_0
                                        ; implicit-def: $vgpr28
	s_nop 0
	v_mul_f32_e32 v4, v35, v4
	v_and_b32_e32 v26, 0x7f800000, v4
	v_cmp_ne_u32_e64 s[0:1], s9, v26
	s_and_saveexec_b64 s[6:7], s[0:1]
	s_xor_b64 s[0:1], exec, s[6:7]
; %bb.810:                              ;   in Loop: Header=BB351_299 Depth=1
	v_bfe_u32 v26, v4, 16, 1
	v_add3_u32 v28, v4, v26, s12
                                        ; implicit-def: $vgpr4
; %bb.811:                              ;   in Loop: Header=BB351_299 Depth=1
	s_andn2_saveexec_b64 s[6:7], s[0:1]
; %bb.812:                              ;   in Loop: Header=BB351_299 Depth=1
	v_or_b32_e32 v26, 0x10000, v4
	v_cmp_eq_u32_sdwa s[0:1], v4, v11 src0_sel:WORD_0 src1_sel:DWORD
	s_nop 1
	v_cndmask_b32_e64 v28, v26, v4, s[0:1]
; %bb.813:                              ;   in Loop: Header=BB351_299 Depth=1
	s_or_b64 exec, exec, s[6:7]
	v_bfe_u32 v4, v1, 8, 8
	v_cvt_f32_fp8_sdwa v4, v4 src0_sel:BYTE_0
	s_nop 0
	v_mul_f32_e32 v26, v35, v4
	v_and_b32_e32 v4, 0x7f800000, v26
	v_cmp_ne_u32_e64 s[0:1], s9, v4
                                        ; implicit-def: $vgpr4
	s_and_saveexec_b64 s[6:7], s[0:1]
	s_xor_b64 s[0:1], exec, s[6:7]
; %bb.814:                              ;   in Loop: Header=BB351_299 Depth=1
	v_bfe_u32 v4, v26, 16, 1
	v_add3_u32 v4, v26, v4, s12
                                        ; implicit-def: $vgpr26
; %bb.815:                              ;   in Loop: Header=BB351_299 Depth=1
	s_andn2_saveexec_b64 s[6:7], s[0:1]
; %bb.816:                              ;   in Loop: Header=BB351_299 Depth=1
	v_or_b32_e32 v4, 0x10000, v26
	v_cmp_eq_u32_sdwa s[0:1], v26, v11 src0_sel:WORD_0 src1_sel:DWORD
	s_nop 1
	v_cndmask_b32_e64 v4, v4, v26, s[0:1]
; %bb.817:                              ;   in Loop: Header=BB351_299 Depth=1
	s_or_b64 exec, exec, s[6:7]
	v_bfe_u32 v26, v1, 16, 8
	v_cvt_f32_fp8_sdwa v26, v26 src0_sel:BYTE_0
	s_nop 0
	v_mul_f32_e32 v27, v35, v26
	v_and_b32_e32 v26, 0x7f800000, v27
	v_cmp_ne_u32_e64 s[0:1], s9, v26
                                        ; implicit-def: $vgpr26
	s_and_saveexec_b64 s[6:7], s[0:1]
	s_xor_b64 s[0:1], exec, s[6:7]
; %bb.818:                              ;   in Loop: Header=BB351_299 Depth=1
	v_bfe_u32 v26, v27, 16, 1
	v_add3_u32 v26, v27, v26, s12
                                        ; implicit-def: $vgpr27
; %bb.819:                              ;   in Loop: Header=BB351_299 Depth=1
	s_andn2_saveexec_b64 s[6:7], s[0:1]
; %bb.820:                              ;   in Loop: Header=BB351_299 Depth=1
	v_or_b32_e32 v26, 0x10000, v27
	v_cmp_eq_u32_sdwa s[0:1], v27, v11 src0_sel:WORD_0 src1_sel:DWORD
	s_nop 1
	v_cndmask_b32_e64 v26, v26, v27, s[0:1]
; %bb.821:                              ;   in Loop: Header=BB351_299 Depth=1
	s_or_b64 exec, exec, s[6:7]
	v_lshrrev_b32_e32 v1, 24, v1
	v_cvt_f32_fp8_sdwa v1, v1 src0_sel:BYTE_0
	s_nop 0
	v_mul_f32_e32 v1, v35, v1
	v_and_b32_e32 v27, 0x7f800000, v1
	v_cmp_ne_u32_e64 s[0:1], s9, v27
                                        ; implicit-def: $vgpr27
	s_and_saveexec_b64 s[6:7], s[0:1]
	s_xor_b64 s[0:1], exec, s[6:7]
; %bb.822:                              ;   in Loop: Header=BB351_299 Depth=1
	v_bfe_u32 v27, v1, 16, 1
	v_add3_u32 v27, v1, v27, s12
                                        ; implicit-def: $vgpr1
; %bb.823:                              ;   in Loop: Header=BB351_299 Depth=1
	s_andn2_saveexec_b64 s[6:7], s[0:1]
; %bb.824:                              ;   in Loop: Header=BB351_299 Depth=1
	v_or_b32_e32 v27, 0x10000, v1
	v_cmp_eq_u32_sdwa s[0:1], v1, v11 src0_sel:WORD_0 src1_sel:DWORD
	s_nop 1
	v_cndmask_b32_e64 v27, v27, v1, s[0:1]
; %bb.825:                              ;   in Loop: Header=BB351_299 Depth=1
	s_or_b64 exec, exec, s[6:7]
	v_lshrrev_b32_e32 v4, 16, v4
	v_lshrrev_b32_e32 v30, 16, v28
	;; [unrolled: 1-line block ×8, first 2 shown]
	s_and_saveexec_b64 s[0:1], vcc
	s_cbranch_execz .LBB351_827
; %bb.826:                              ;   in Loop: Header=BB351_299 Depth=1
	v_accvgpr_read_b32 v16, a20
	v_cmp_lt_i32_e32 vcc, v16, v33
	v_accvgpr_read_b32 v16, a26
	s_nop 0
	v_cndmask_b32_e32 v0, 0, v0, vcc
	v_cmp_lt_i32_e32 vcc, v16, v33
	v_accvgpr_read_b32 v16, a25
	s_nop 0
	v_cndmask_b32_e32 v1, 0, v1, vcc
	;; [unrolled: 4-line block ×6, first 2 shown]
	v_cmp_lt_i32_e32 vcc, v16, v33
	s_nop 1
	v_cndmask_b32_e32 v5, 0, v5, vcc
	v_cmp_lt_i32_e32 vcc, v10, v33
	s_nop 1
	v_cndmask_b32_e32 v32, 0, v32, vcc
.LBB351_827:                            ;   in Loop: Header=BB351_299 Depth=1
	s_or_b64 exec, exec, s[0:1]
	v_lshlrev_b32_e32 v0, 16, v0
	v_mul_f32_e32 v16, v54, v0
	v_and_b32_e32 v0, 0x7f800000, v16
	v_cmp_ne_u32_e32 vcc, s9, v0
                                        ; implicit-def: $vgpr0
	s_and_saveexec_b64 s[0:1], vcc
	s_xor_b64 s[0:1], exec, s[0:1]
; %bb.828:                              ;   in Loop: Header=BB351_299 Depth=1
	v_bfe_u32 v0, v16, 16, 1
	v_add3_u32 v0, v16, v0, s12
                                        ; implicit-def: $vgpr16
; %bb.829:                              ;   in Loop: Header=BB351_299 Depth=1
	s_andn2_saveexec_b64 s[0:1], s[0:1]
; %bb.830:                              ;   in Loop: Header=BB351_299 Depth=1
	v_or_b32_e32 v0, 0x10000, v16
	v_cmp_eq_u32_sdwa vcc, v16, v11 src0_sel:WORD_0 src1_sel:DWORD
	s_nop 1
	v_cndmask_b32_e32 v0, v0, v16, vcc
; %bb.831:                              ;   in Loop: Header=BB351_299 Depth=1
	s_or_b64 exec, exec, s[0:1]
	v_lshlrev_b32_e32 v1, 16, v1
	v_mul_f32_e32 v16, v55, v1
	v_and_b32_e32 v1, 0x7f800000, v16
	v_cmp_ne_u32_e32 vcc, s9, v1
                                        ; implicit-def: $vgpr1
	s_and_saveexec_b64 s[0:1], vcc
	s_xor_b64 s[0:1], exec, s[0:1]
; %bb.832:                              ;   in Loop: Header=BB351_299 Depth=1
	v_bfe_u32 v1, v16, 16, 1
	v_add3_u32 v1, v16, v1, s12
                                        ; implicit-def: $vgpr16
; %bb.833:                              ;   in Loop: Header=BB351_299 Depth=1
	s_andn2_saveexec_b64 s[0:1], s[0:1]
; %bb.834:                              ;   in Loop: Header=BB351_299 Depth=1
	v_or_b32_e32 v1, 0x10000, v16
	v_cmp_eq_u32_sdwa vcc, v16, v11 src0_sel:WORD_0 src1_sel:DWORD
	s_nop 1
	v_cndmask_b32_e32 v1, v1, v16, vcc
; %bb.835:                              ;   in Loop: Header=BB351_299 Depth=1
	s_or_b64 exec, exec, s[0:1]
	v_lshlrev_b32_e32 v16, 16, v34
	v_mul_f32_e32 v26, v40, v16
	v_and_b32_e32 v16, 0x7f800000, v26
	v_cmp_ne_u32_e32 vcc, s9, v16
                                        ; implicit-def: $vgpr16
	s_and_saveexec_b64 s[0:1], vcc
	s_xor_b64 s[0:1], exec, s[0:1]
; %bb.836:                              ;   in Loop: Header=BB351_299 Depth=1
	v_bfe_u32 v16, v26, 16, 1
	v_add3_u32 v16, v26, v16, s12
                                        ; implicit-def: $vgpr26
; %bb.837:                              ;   in Loop: Header=BB351_299 Depth=1
	s_andn2_saveexec_b64 s[0:1], s[0:1]
; %bb.838:                              ;   in Loop: Header=BB351_299 Depth=1
	v_or_b32_e32 v16, 0x10000, v26
	v_cmp_eq_u32_sdwa vcc, v26, v11 src0_sel:WORD_0 src1_sel:DWORD
	s_nop 1
	v_cndmask_b32_e32 v16, v16, v26, vcc
; %bb.839:                              ;   in Loop: Header=BB351_299 Depth=1
	s_or_b64 exec, exec, s[0:1]
	v_lshlrev_b32_e32 v26, 16, v28
	v_mul_f32_e32 v26, v41, v26
	v_and_b32_e32 v27, 0x7f800000, v26
	v_cmp_ne_u32_e32 vcc, s9, v27
                                        ; implicit-def: $vgpr54
	s_and_saveexec_b64 s[0:1], vcc
	s_xor_b64 s[0:1], exec, s[0:1]
; %bb.840:                              ;   in Loop: Header=BB351_299 Depth=1
	v_bfe_u32 v27, v26, 16, 1
	v_add3_u32 v54, v26, v27, s12
                                        ; implicit-def: $vgpr26
; %bb.841:                              ;   in Loop: Header=BB351_299 Depth=1
	s_andn2_saveexec_b64 s[0:1], s[0:1]
; %bb.842:                              ;   in Loop: Header=BB351_299 Depth=1
	v_or_b32_e32 v27, 0x10000, v26
	v_cmp_eq_u32_sdwa vcc, v26, v11 src0_sel:WORD_0 src1_sel:DWORD
	s_nop 1
	v_cndmask_b32_e32 v54, v27, v26, vcc
; %bb.843:                              ;   in Loop: Header=BB351_299 Depth=1
	s_or_b64 exec, exec, s[0:1]
	v_lshlrev_b32_e32 v26, 16, v30
	v_mul_f32_e32 v26, v42, v26
	v_and_b32_e32 v27, 0x7f800000, v26
	v_cmp_ne_u32_e32 vcc, s9, v27
                                        ; implicit-def: $vgpr55
	s_and_saveexec_b64 s[0:1], vcc
	s_xor_b64 s[0:1], exec, s[0:1]
; %bb.844:                              ;   in Loop: Header=BB351_299 Depth=1
	v_bfe_u32 v27, v26, 16, 1
	v_add3_u32 v55, v26, v27, s12
                                        ; implicit-def: $vgpr26
; %bb.845:                              ;   in Loop: Header=BB351_299 Depth=1
	s_andn2_saveexec_b64 s[0:1], s[0:1]
; %bb.846:                              ;   in Loop: Header=BB351_299 Depth=1
	v_or_b32_e32 v27, 0x10000, v26
	v_cmp_eq_u32_sdwa vcc, v26, v11 src0_sel:WORD_0 src1_sel:DWORD
	s_nop 1
	v_cndmask_b32_e32 v55, v27, v26, vcc
; %bb.847:                              ;   in Loop: Header=BB351_299 Depth=1
	s_or_b64 exec, exec, s[0:1]
	v_lshlrev_b32_e32 v4, 16, v4
	v_mul_f32_e32 v4, v43, v4
	v_and_b32_e32 v26, 0x7f800000, v4
	v_cmp_ne_u32_e32 vcc, s9, v26
                                        ; implicit-def: $vgpr40
	s_and_saveexec_b64 s[0:1], vcc
	s_xor_b64 s[0:1], exec, s[0:1]
; %bb.848:                              ;   in Loop: Header=BB351_299 Depth=1
	v_bfe_u32 v26, v4, 16, 1
	v_add3_u32 v40, v4, v26, s12
                                        ; implicit-def: $vgpr4
; %bb.849:                              ;   in Loop: Header=BB351_299 Depth=1
	s_andn2_saveexec_b64 s[0:1], s[0:1]
; %bb.850:                              ;   in Loop: Header=BB351_299 Depth=1
	v_or_b32_e32 v26, 0x10000, v4
	v_cmp_eq_u32_sdwa vcc, v4, v11 src0_sel:WORD_0 src1_sel:DWORD
	s_nop 1
	v_cndmask_b32_e32 v40, v26, v4, vcc
; %bb.851:                              ;   in Loop: Header=BB351_299 Depth=1
	s_or_b64 exec, exec, s[0:1]
	v_lshlrev_b32_e32 v4, 16, v5
	v_mul_f32_e32 v5, v44, v4
	v_and_b32_e32 v4, 0x7f800000, v5
	v_cmp_ne_u32_e32 vcc, s9, v4
                                        ; implicit-def: $vgpr4
	s_and_saveexec_b64 s[0:1], vcc
	s_xor_b64 s[0:1], exec, s[0:1]
; %bb.852:                              ;   in Loop: Header=BB351_299 Depth=1
	v_bfe_u32 v4, v5, 16, 1
	v_add3_u32 v4, v5, v4, s12
                                        ; implicit-def: $vgpr5
; %bb.853:                              ;   in Loop: Header=BB351_299 Depth=1
	s_andn2_saveexec_b64 s[0:1], s[0:1]
; %bb.854:                              ;   in Loop: Header=BB351_299 Depth=1
	v_or_b32_e32 v4, 0x10000, v5
	v_cmp_eq_u32_sdwa vcc, v5, v11 src0_sel:WORD_0 src1_sel:DWORD
	s_nop 1
	v_cndmask_b32_e32 v4, v4, v5, vcc
; %bb.855:                              ;   in Loop: Header=BB351_299 Depth=1
	s_or_b64 exec, exec, s[0:1]
	v_lshlrev_b32_e32 v5, 16, v32
	v_mul_f32_e32 v26, v45, v5
	v_and_b32_e32 v5, 0x7f800000, v26
	v_cmp_ne_u32_e32 vcc, s9, v5
                                        ; implicit-def: $vgpr5
	s_and_saveexec_b64 s[0:1], vcc
	s_xor_b64 s[0:1], exec, s[0:1]
; %bb.856:                              ;   in Loop: Header=BB351_299 Depth=1
	v_bfe_u32 v5, v26, 16, 1
	v_add3_u32 v5, v26, v5, s12
                                        ; implicit-def: $vgpr26
; %bb.857:                              ;   in Loop: Header=BB351_299 Depth=1
	s_andn2_saveexec_b64 s[0:1], s[0:1]
	s_cbranch_execz .LBB351_298
; %bb.858:                              ;   in Loop: Header=BB351_299 Depth=1
	v_or_b32_e32 v5, 0x10000, v26
	v_cmp_eq_u32_sdwa vcc, v26, v11 src0_sel:WORD_0 src1_sel:DWORD
	s_nop 1
	v_cndmask_b32_e32 v5, v5, v26, vcc
	s_branch .LBB351_298
.LBB351_859:
	s_or_b64 exec, exec, s[4:5]
	v_accvgpr_read_b32 v22, a5
	v_accvgpr_read_b32 v23, a8
	;; [unrolled: 1-line block ×3, first 2 shown]
.LBB351_860:
	s_or_b64 exec, exec, s[2:3]
	ds_bpermute_b32 v6, v23, v12
	ds_bpermute_b32 v7, v23, v13
	s_waitcnt lgkmcnt(0)
	s_barrier
	ds_bpermute_b32 v0, v23, v24
	v_pk_add_f32 v[6:7], v[12:13], v[6:7]
	scratch_load_dword v12, off, s32 offset:284 ; 4-byte Folded Reload
	ds_bpermute_b32 v1, v23, v25
	ds_bpermute_b32 v4, v23, v18
	ds_bpermute_b32 v5, v23, v19
	ds_bpermute_b32 v2, v23, v20
	ds_bpermute_b32 v3, v23, v21
	s_waitcnt lgkmcnt(0)
	v_pk_add_f32 v[8:9], v[24:25], v[0:1]
	v_pk_add_f32 v[0:1], v[18:19], v[4:5]
	v_pk_add_f32 v[2:3], v[20:21], v[2:3]
	s_waitcnt vmcnt(0)
	v_and_b32_e32 v4, 0x3c1, v12
	v_cmp_eq_u32_e32 vcc, 64, v4
	s_and_saveexec_b64 s[0:1], vcc
	s_cbranch_execz .LBB351_862
; %bb.861:
	s_ashr_i32 s19, s18, 31
	s_lshl_b64 s[2:3], s[18:19], 2
	s_getpc_b64 s[4:5]
	s_add_u32 s4, s4, llvm.amdgcn.dynlds.offset.table@rel32@lo+4
	s_addc_u32 s5, s5, llvm.amdgcn.dynlds.offset.table@rel32@hi+12
	s_add_u32 s2, s2, s4
	s_addc_u32 s3, s3, s5
	s_load_dword s2, s[2:3], 0x0
	s_waitcnt lgkmcnt(0)
	v_lshl_add_u32 v4, v22, 1, s2
	ds_write2_b32 v4, v8, v9 offset1:32
	ds_write2_b32 v4, v2, v3 offset0:64 offset1:96
	ds_write2_b32 v4, v0, v1 offset0:128 offset1:160
	;; [unrolled: 1-line block ×3, first 2 shown]
.LBB351_862:
	s_or_b64 exec, exec, s[0:1]
	v_cmp_gt_u32_e32 vcc, 64, v12
	s_waitcnt lgkmcnt(0)
	s_barrier
	s_and_saveexec_b64 s[2:3], vcc
	s_cbranch_execz .LBB351_873
; %bb.863:
	v_cmp_eq_u32_e64 s[0:1], 0, v16
	v_lshrrev_b32_e32 v4, 1, v12
	s_and_saveexec_b64 s[4:5], s[0:1]
	s_cbranch_execnz .LBB351_909
; %bb.864:
	s_or_b64 exec, exec, s[4:5]
	s_and_saveexec_b64 s[4:5], s[0:1]
	s_cbranch_execnz .LBB351_910
.LBB351_865:
	s_or_b64 exec, exec, s[4:5]
	s_and_saveexec_b64 s[4:5], s[0:1]
	s_cbranch_execnz .LBB351_911
.LBB351_866:
	s_or_b64 exec, exec, s[4:5]
	s_and_saveexec_b64 s[4:5], s[0:1]
	s_cbranch_execnz .LBB351_912
.LBB351_867:
	s_or_b64 exec, exec, s[4:5]
	s_and_saveexec_b64 s[4:5], s[0:1]
	s_cbranch_execnz .LBB351_913
.LBB351_868:
	s_or_b64 exec, exec, s[4:5]
	s_and_saveexec_b64 s[4:5], s[0:1]
	s_cbranch_execnz .LBB351_914
.LBB351_869:
	s_or_b64 exec, exec, s[4:5]
	s_and_saveexec_b64 s[4:5], s[0:1]
	s_cbranch_execnz .LBB351_915
.LBB351_870:
	s_or_b64 exec, exec, s[4:5]
	s_and_saveexec_b64 s[4:5], s[0:1]
	s_cbranch_execz .LBB351_872
.LBB351_871:
	s_ashr_i32 s19, s18, 31
	s_lshl_b64 s[0:1], s[18:19], 2
	s_getpc_b64 s[6:7]
	s_add_u32 s6, s6, llvm.amdgcn.dynlds.offset.table@rel32@lo+4
	s_addc_u32 s7, s7, llvm.amdgcn.dynlds.offset.table@rel32@hi+12
	s_add_u32 s0, s0, s6
	s_addc_u32 s1, s1, s7
	s_load_dword s0, s[0:1], 0x0
	s_waitcnt lgkmcnt(0)
	v_lshl_add_u32 v4, v4, 2, s0
	ds_read_b32 v4, v4 offset:896
	s_waitcnt lgkmcnt(0)
	v_add_f32_e32 v7, v7, v4
.LBB351_872:
	s_or_b64 exec, exec, s[4:5]
.LBB351_873:
	s_or_b64 exec, exec, s[2:3]
	s_barrier
	s_and_b64 exec, exec, vcc
	s_cbranch_execz .LBB351_908
; %bb.874:
	v_cmp_eq_u32_e32 vcc, 0, v16
	s_and_b64 exec, exec, vcc
	s_cbranch_execz .LBB351_908
; %bb.875:
	s_mov_b32 s0, 0x7f800000
	v_and_b32_e32 v4, 0x7f800000, v8
	v_cmp_ne_u32_e32 vcc, s0, v4
                                        ; implicit-def: $vgpr4
	s_and_saveexec_b64 s[0:1], vcc
	s_xor_b64 s[0:1], exec, s[0:1]
; %bb.876:
	v_bfe_u32 v4, v8, 16, 1
	s_movk_i32 s2, 0x7fff
	v_add3_u32 v4, v8, v4, s2
; %bb.877:
	s_andn2_saveexec_b64 s[0:1], s[0:1]
; %bb.878:
	v_mov_b32_e32 v4, 0
	v_or_b32_e32 v5, 0x10000, v8
	v_cmp_eq_u32_sdwa vcc, v8, v4 src0_sel:WORD_0 src1_sel:DWORD
	s_nop 1
	v_cndmask_b32_e32 v4, v5, v8, vcc
; %bb.879:
	s_or_b64 exec, exec, s[0:1]
	scratch_load_dwordx2 v[10:11], off, s32 offset:288 ; 8-byte Folded Reload
	s_mul_i32 s0, s8, s16
	s_mul_i32 s0, s0, s17
	s_lshl_b32 s0, s0, 8
	s_mul_i32 s2, s20, s8
	s_lshl_b32 s4, s14, 8
	s_ashr_i32 s1, s0, 31
	s_ashr_i32 s3, s2, 31
	;; [unrolled: 1-line block ×3, first 2 shown]
	s_lshl_b64 s[0:1], s[0:1], 1
	s_lshl_b64 s[2:3], s[2:3], 1
	;; [unrolled: 1-line block ×3, first 2 shown]
	s_add_u32 s2, s4, s2
	s_addc_u32 s3, s5, s3
	s_add_u32 s0, s2, s0
	s_addc_u32 s1, s3, s1
	v_and_b32_e32 v12, 0x3fe, v12
	v_mov_b32_e32 v13, 0
	s_waitcnt vmcnt(0)
	v_lshl_add_u64 v[10:11], s[0:1], 0, v[10:11]
	v_lshl_add_u64 v[10:11], v[10:11], 0, v[12:13]
	flat_store_short_d16_hi v[10:11], v4
	s_mov_b32 s0, 0x7f800000
	v_and_b32_e32 v4, 0x7f800000, v9
	v_cmp_ne_u32_e32 vcc, s0, v4
                                        ; implicit-def: $vgpr4
	s_and_saveexec_b64 s[0:1], vcc
	s_xor_b64 s[0:1], exec, s[0:1]
; %bb.880:
	v_bfe_u32 v4, v9, 16, 1
	s_movk_i32 s2, 0x7fff
	v_add3_u32 v4, v9, v4, s2
; %bb.881:
	s_andn2_saveexec_b64 s[0:1], s[0:1]
; %bb.882:
	v_mov_b32_e32 v4, 0
	v_or_b32_e32 v5, 0x10000, v9
	v_cmp_eq_u32_sdwa vcc, v9, v4 src0_sel:WORD_0 src1_sel:DWORD
	s_nop 1
	v_cndmask_b32_e32 v4, v5, v9, vcc
; %bb.883:
	s_or_b64 exec, exec, s[0:1]
	flat_store_short_d16_hi v[10:11], v4 offset:64
	s_mov_b32 s0, 0x7f800000
	v_and_b32_e32 v4, 0x7f800000, v2
	v_cmp_ne_u32_e32 vcc, s0, v4
                                        ; implicit-def: $vgpr4
	s_and_saveexec_b64 s[0:1], vcc
	s_xor_b64 s[0:1], exec, s[0:1]
; %bb.884:
	v_bfe_u32 v4, v2, 16, 1
	s_movk_i32 s2, 0x7fff
	v_add3_u32 v4, v2, v4, s2
; %bb.885:
	s_andn2_saveexec_b64 s[0:1], s[0:1]
; %bb.886:
	v_mov_b32_e32 v4, 0
	v_or_b32_e32 v5, 0x10000, v2
	v_cmp_eq_u32_sdwa vcc, v2, v4 src0_sel:WORD_0 src1_sel:DWORD
	s_nop 1
	v_cndmask_b32_e32 v4, v5, v2, vcc
; %bb.887:
	s_or_b64 exec, exec, s[0:1]
	s_mov_b32 s0, 0x7f800000
	v_and_b32_e32 v2, 0x7f800000, v3
	v_cmp_ne_u32_e32 vcc, s0, v2
	flat_store_short_d16_hi v[10:11], v4 offset:128
                                        ; implicit-def: $vgpr2
	s_and_saveexec_b64 s[0:1], vcc
	s_xor_b64 s[0:1], exec, s[0:1]
; %bb.888:
	v_bfe_u32 v2, v3, 16, 1
	s_movk_i32 s2, 0x7fff
	v_add3_u32 v2, v3, v2, s2
; %bb.889:
	s_andn2_saveexec_b64 s[0:1], s[0:1]
; %bb.890:
	v_mov_b32_e32 v2, 0
	v_or_b32_e32 v4, 0x10000, v3
	v_cmp_eq_u32_sdwa vcc, v3, v2 src0_sel:WORD_0 src1_sel:DWORD
	s_nop 1
	v_cndmask_b32_e32 v2, v4, v3, vcc
; %bb.891:
	s_or_b64 exec, exec, s[0:1]
	flat_store_short_d16_hi v[10:11], v2 offset:192
	s_mov_b32 s0, 0x7f800000
	v_and_b32_e32 v2, 0x7f800000, v0
	v_cmp_ne_u32_e32 vcc, s0, v2
                                        ; implicit-def: $vgpr2
	s_and_saveexec_b64 s[0:1], vcc
	s_xor_b64 s[0:1], exec, s[0:1]
; %bb.892:
	v_bfe_u32 v2, v0, 16, 1
	s_movk_i32 s2, 0x7fff
	v_add3_u32 v2, v0, v2, s2
; %bb.893:
	s_andn2_saveexec_b64 s[0:1], s[0:1]
; %bb.894:
	v_mov_b32_e32 v2, 0
	v_or_b32_e32 v3, 0x10000, v0
	v_cmp_eq_u32_sdwa vcc, v0, v2 src0_sel:WORD_0 src1_sel:DWORD
	s_nop 1
	v_cndmask_b32_e32 v2, v3, v0, vcc
; %bb.895:
	s_or_b64 exec, exec, s[0:1]
	s_mov_b32 s0, 0x7f800000
	v_and_b32_e32 v0, 0x7f800000, v1
	v_cmp_ne_u32_e32 vcc, s0, v0
	flat_store_short_d16_hi v[10:11], v2 offset:256
                                        ; implicit-def: $vgpr0
	s_and_saveexec_b64 s[0:1], vcc
	s_xor_b64 s[0:1], exec, s[0:1]
; %bb.896:
	v_bfe_u32 v0, v1, 16, 1
	s_movk_i32 s2, 0x7fff
	v_add3_u32 v0, v1, v0, s2
; %bb.897:
	s_andn2_saveexec_b64 s[0:1], s[0:1]
; %bb.898:
	v_mov_b32_e32 v0, 0
	v_or_b32_e32 v2, 0x10000, v1
	v_cmp_eq_u32_sdwa vcc, v1, v0 src0_sel:WORD_0 src1_sel:DWORD
	s_nop 1
	v_cndmask_b32_e32 v0, v2, v1, vcc
; %bb.899:
	s_or_b64 exec, exec, s[0:1]
	flat_store_short_d16_hi v[10:11], v0 offset:320
	s_mov_b32 s0, 0x7f800000
	v_and_b32_e32 v0, 0x7f800000, v6
	v_cmp_ne_u32_e32 vcc, s0, v0
                                        ; implicit-def: $vgpr0
	s_and_saveexec_b64 s[0:1], vcc
	s_xor_b64 s[0:1], exec, s[0:1]
; %bb.900:
	v_bfe_u32 v0, v6, 16, 1
	s_movk_i32 s2, 0x7fff
	v_add3_u32 v0, v6, v0, s2
; %bb.901:
	s_andn2_saveexec_b64 s[0:1], s[0:1]
; %bb.902:
	v_mov_b32_e32 v0, 0
	v_or_b32_e32 v1, 0x10000, v6
	v_cmp_eq_u32_sdwa vcc, v6, v0 src0_sel:WORD_0 src1_sel:DWORD
	s_nop 1
	v_cndmask_b32_e32 v0, v1, v6, vcc
; %bb.903:
	s_or_b64 exec, exec, s[0:1]
	flat_store_short_d16_hi v[10:11], v0 offset:384
	s_mov_b32 s0, 0x7f800000
	v_and_b32_e32 v0, 0x7f800000, v7
	v_cmp_ne_u32_e32 vcc, s0, v0
                                        ; implicit-def: $vgpr8
	s_and_saveexec_b64 s[0:1], vcc
	s_xor_b64 s[0:1], exec, s[0:1]
; %bb.904:
	v_bfe_u32 v0, v7, 16, 1
	s_movk_i32 s2, 0x7fff
	v_add3_u32 v8, v7, v0, s2
                                        ; implicit-def: $vgpr0_vgpr1_vgpr2_vgpr3_vgpr4_vgpr5_vgpr6_vgpr7
; %bb.905:
	s_andn2_saveexec_b64 s[0:1], s[0:1]
; %bb.906:
	v_mov_b32_e32 v0, 0
	v_or_b32_e32 v1, 0x10000, v7
	v_cmp_eq_u32_sdwa vcc, v7, v0 src0_sel:WORD_0 src1_sel:DWORD
	s_nop 1
	v_cndmask_b32_e32 v8, v1, v7, vcc
; %bb.907:
	s_or_b64 exec, exec, s[0:1]
	flat_store_short_d16_hi v[10:11], v8 offset:448
.LBB351_908:
	s_or_b64 exec, exec, s[10:11]
	scratch_load_dword a63, off, s32        ; 4-byte Folded Reload
	scratch_load_dword a62, off, s32 offset:4 ; 4-byte Folded Reload
	scratch_load_dword a61, off, s32 offset:8 ; 4-byte Folded Reload
	;; [unrolled: 1-line block ×46, first 2 shown]
	v_readlane_b32 s30, v63, 0
	v_readlane_b32 s31, v63, 1
	s_or_saveexec_b64 s[0:1], -1
	scratch_load_dword v63, off, s32 offset:368 ; 4-byte Folded Reload
	s_mov_b64 exec, s[0:1]
	s_waitcnt vmcnt(0) lgkmcnt(0)
	s_setpc_b64 s[30:31]
.LBB351_909:
	s_ashr_i32 s19, s18, 31
	s_lshl_b64 s[6:7], s[18:19], 2
	s_getpc_b64 s[12:13]
	s_add_u32 s12, s12, llvm.amdgcn.dynlds.offset.table@rel32@lo+4
	s_addc_u32 s13, s13, llvm.amdgcn.dynlds.offset.table@rel32@hi+12
	s_add_u32 s6, s6, s12
	s_addc_u32 s7, s7, s13
	s_load_dword s6, s[6:7], 0x0
	s_waitcnt lgkmcnt(0)
	v_lshl_add_u32 v5, v4, 2, s6
	ds_read_b32 v5, v5
	s_waitcnt lgkmcnt(0)
	v_add_f32_e32 v8, v8, v5
	s_or_b64 exec, exec, s[4:5]
	s_and_saveexec_b64 s[4:5], s[0:1]
	s_cbranch_execz .LBB351_865
.LBB351_910:
	s_ashr_i32 s19, s18, 31
	s_lshl_b64 s[6:7], s[18:19], 2
	s_getpc_b64 s[12:13]
	s_add_u32 s12, s12, llvm.amdgcn.dynlds.offset.table@rel32@lo+4
	s_addc_u32 s13, s13, llvm.amdgcn.dynlds.offset.table@rel32@hi+12
	s_add_u32 s6, s6, s12
	s_addc_u32 s7, s7, s13
	s_load_dword s6, s[6:7], 0x0
	s_waitcnt lgkmcnt(0)
	v_lshl_add_u32 v5, v4, 2, s6
	ds_read_b32 v5, v5 offset:128
	s_waitcnt lgkmcnt(0)
	v_add_f32_e32 v9, v9, v5
	s_or_b64 exec, exec, s[4:5]
	s_and_saveexec_b64 s[4:5], s[0:1]
	s_cbranch_execz .LBB351_866
.LBB351_911:
	s_ashr_i32 s19, s18, 31
	s_lshl_b64 s[6:7], s[18:19], 2
	s_getpc_b64 s[12:13]
	s_add_u32 s12, s12, llvm.amdgcn.dynlds.offset.table@rel32@lo+4
	s_addc_u32 s13, s13, llvm.amdgcn.dynlds.offset.table@rel32@hi+12
	s_add_u32 s6, s6, s12
	s_addc_u32 s7, s7, s13
	s_load_dword s6, s[6:7], 0x0
	s_waitcnt lgkmcnt(0)
	v_lshl_add_u32 v5, v4, 2, s6
	ds_read_b32 v5, v5 offset:256
	s_waitcnt lgkmcnt(0)
	v_add_f32_e32 v2, v2, v5
	s_or_b64 exec, exec, s[4:5]
	s_and_saveexec_b64 s[4:5], s[0:1]
	s_cbranch_execz .LBB351_867
.LBB351_912:
	s_ashr_i32 s19, s18, 31
	s_lshl_b64 s[6:7], s[18:19], 2
	s_getpc_b64 s[12:13]
	s_add_u32 s12, s12, llvm.amdgcn.dynlds.offset.table@rel32@lo+4
	s_addc_u32 s13, s13, llvm.amdgcn.dynlds.offset.table@rel32@hi+12
	s_add_u32 s6, s6, s12
	s_addc_u32 s7, s7, s13
	s_load_dword s6, s[6:7], 0x0
	s_waitcnt lgkmcnt(0)
	v_lshl_add_u32 v5, v4, 2, s6
	ds_read_b32 v5, v5 offset:384
	s_waitcnt lgkmcnt(0)
	v_add_f32_e32 v3, v3, v5
	s_or_b64 exec, exec, s[4:5]
	s_and_saveexec_b64 s[4:5], s[0:1]
	s_cbranch_execz .LBB351_868
.LBB351_913:
	s_ashr_i32 s19, s18, 31
	s_lshl_b64 s[6:7], s[18:19], 2
	s_getpc_b64 s[12:13]
	s_add_u32 s12, s12, llvm.amdgcn.dynlds.offset.table@rel32@lo+4
	s_addc_u32 s13, s13, llvm.amdgcn.dynlds.offset.table@rel32@hi+12
	s_add_u32 s6, s6, s12
	s_addc_u32 s7, s7, s13
	s_load_dword s6, s[6:7], 0x0
	s_waitcnt lgkmcnt(0)
	v_lshl_add_u32 v5, v4, 2, s6
	ds_read_b32 v5, v5 offset:512
	s_waitcnt lgkmcnt(0)
	v_add_f32_e32 v0, v0, v5
	s_or_b64 exec, exec, s[4:5]
	s_and_saveexec_b64 s[4:5], s[0:1]
	s_cbranch_execz .LBB351_869
.LBB351_914:
	s_ashr_i32 s19, s18, 31
	s_lshl_b64 s[6:7], s[18:19], 2
	s_getpc_b64 s[12:13]
	s_add_u32 s12, s12, llvm.amdgcn.dynlds.offset.table@rel32@lo+4
	s_addc_u32 s13, s13, llvm.amdgcn.dynlds.offset.table@rel32@hi+12
	s_add_u32 s6, s6, s12
	s_addc_u32 s7, s7, s13
	s_load_dword s6, s[6:7], 0x0
	s_waitcnt lgkmcnt(0)
	v_lshl_add_u32 v5, v4, 2, s6
	ds_read_b32 v5, v5 offset:640
	s_waitcnt lgkmcnt(0)
	v_add_f32_e32 v1, v1, v5
	s_or_b64 exec, exec, s[4:5]
	s_and_saveexec_b64 s[4:5], s[0:1]
	s_cbranch_execz .LBB351_870
.LBB351_915:
	s_ashr_i32 s19, s18, 31
	s_lshl_b64 s[6:7], s[18:19], 2
	s_getpc_b64 s[12:13]
	s_add_u32 s12, s12, llvm.amdgcn.dynlds.offset.table@rel32@lo+4
	s_addc_u32 s13, s13, llvm.amdgcn.dynlds.offset.table@rel32@hi+12
	s_add_u32 s6, s6, s12
	s_addc_u32 s7, s7, s13
	s_load_dword s6, s[6:7], 0x0
	s_waitcnt lgkmcnt(0)
	v_lshl_add_u32 v5, v4, 2, s6
	ds_read_b32 v5, v5 offset:768
	s_waitcnt lgkmcnt(0)
	v_add_f32_e32 v6, v6, v5
	s_or_b64 exec, exec, s[4:5]
	s_and_saveexec_b64 s[4:5], s[0:1]
	s_cbranch_execnz .LBB351_871
	s_branch .LBB351_872
.Lfunc_end351:
	.size	_ZN4vllm22paged_attention_kernelI14__hip_bfloat16hLi256ELi16ELi128ELNS_18Fp8KVCacheDataTypeE1ELb0ELi512EEEvPfS3_PT_PKS4_PKT0_SA_ifPKiSC_iPKfiiiSE_SE_iiiii, .Lfunc_end351-_ZN4vllm22paged_attention_kernelI14__hip_bfloat16hLi256ELi16ELi128ELNS_18Fp8KVCacheDataTypeE1ELb0ELi512EEEvPfS3_PT_PKS4_PKT0_SA_ifPKiSC_iPKfiiiSE_SE_iiiii
                                        ; -- End function
	.section	.AMDGPU.csdata,"",@progbits
; Function info:
; codeLenInByte = 31584
; NumSgprs: 39
; NumVgprs: 64
; NumAgprs: 64
; TotalNumVgprs: 128
; ScratchSize: 376
; MemoryBound: 0
	.section	.text._ZN4vllm25paged_attention_v2_kernelI14__hip_bfloat16hLi256ELi16ELi128ELNS_18Fp8KVCacheDataTypeE1ELb0ELi512EEEvPfS3_PT_PKS4_PKT0_SA_ifPKiSC_iPKfiiiSE_SE_iiiii,"axG",@progbits,_ZN4vllm25paged_attention_v2_kernelI14__hip_bfloat16hLi256ELi16ELi128ELNS_18Fp8KVCacheDataTypeE1ELb0ELi512EEEvPfS3_PT_PKS4_PKT0_SA_ifPKiSC_iPKfiiiSE_SE_iiiii,comdat
	.protected	_ZN4vllm25paged_attention_v2_kernelI14__hip_bfloat16hLi256ELi16ELi128ELNS_18Fp8KVCacheDataTypeE1ELb0ELi512EEEvPfS3_PT_PKS4_PKT0_SA_ifPKiSC_iPKfiiiSE_SE_iiiii ; -- Begin function _ZN4vllm25paged_attention_v2_kernelI14__hip_bfloat16hLi256ELi16ELi128ELNS_18Fp8KVCacheDataTypeE1ELb0ELi512EEEvPfS3_PT_PKS4_PKT0_SA_ifPKiSC_iPKfiiiSE_SE_iiiii
	.globl	_ZN4vllm25paged_attention_v2_kernelI14__hip_bfloat16hLi256ELi16ELi128ELNS_18Fp8KVCacheDataTypeE1ELb0ELi512EEEvPfS3_PT_PKS4_PKT0_SA_ifPKiSC_iPKfiiiSE_SE_iiiii
	.p2align	8
	.type	_ZN4vllm25paged_attention_v2_kernelI14__hip_bfloat16hLi256ELi16ELi128ELNS_18Fp8KVCacheDataTypeE1ELb0ELi512EEEvPfS3_PT_PKS4_PKT0_SA_ifPKiSC_iPKfiiiSE_SE_iiiii,@function
_ZN4vllm25paged_attention_v2_kernelI14__hip_bfloat16hLi256ELi16ELi128ELNS_18Fp8KVCacheDataTypeE1ELb0ELi512EEEvPfS3_PT_PKS4_PKT0_SA_ifPKiSC_iPKfiiiSE_SE_iiiii: ; @_ZN4vllm25paged_attention_v2_kernelI14__hip_bfloat16hLi256ELi16ELi128ELNS_18Fp8KVCacheDataTypeE1ELb0ELi512EEEvPfS3_PT_PKS4_PKT0_SA_ifPKiSC_iPKfiiiSE_SE_iiiii
; %bb.0:
	s_load_dwordx8 s[24:31], s[0:1], 0x0
	s_load_dwordx8 s[16:23], s[0:1], 0x20
	s_load_dwordx2 s[6:7], s[0:1], 0x40
	s_load_dwordx2 s[10:11], s[0:1], 0x50
	s_load_dword s5, s[0:1], 0x48
	s_load_dwordx8 s[36:43], s[0:1], 0x58
	s_add_u32 s8, s0, 0x90
	s_addc_u32 s9, s1, 0
	s_mov_b32 s12, s2
	s_mov_b32 s13, s3
	;; [unrolled: 1-line block ×4, first 2 shown]
	v_mov_b32_e32 v31, v0
	s_waitcnt lgkmcnt(0)
	v_mov_b32_e32 v0, s24
	v_mov_b32_e32 v1, s25
	;; [unrolled: 1-line block ×28, first 2 shown]
	s_mov_b32 s32, 0
	s_getpc_b64 s[0:1]
	s_add_u32 s0, s0, _ZN4vllm22paged_attention_kernelI14__hip_bfloat16hLi256ELi16ELi128ELNS_18Fp8KVCacheDataTypeE1ELb0ELi512EEEvPfS3_PT_PKS4_PKT0_SA_ifPKiSC_iPKfiiiSE_SE_iiiii@rel32@lo+4
	s_addc_u32 s1, s1, _ZN4vllm22paged_attention_kernelI14__hip_bfloat16hLi256ELi16ELi128ELNS_18Fp8KVCacheDataTypeE1ELb0ELi512EEEvPfS3_PT_PKS4_PKT0_SA_ifPKiSC_iPKfiiiSE_SE_iiiii@rel32@hi+12
	s_swappc_b64 s[30:31], s[0:1]
	s_endpgm
	.section	.rodata,"a",@progbits
	.p2align	6, 0x0
	.amdhsa_kernel _ZN4vllm25paged_attention_v2_kernelI14__hip_bfloat16hLi256ELi16ELi128ELNS_18Fp8KVCacheDataTypeE1ELb0ELi512EEEvPfS3_PT_PKS4_PKT0_SA_ifPKiSC_iPKfiiiSE_SE_iiiii
		.amdhsa_group_segment_fixed_size 528
		.amdhsa_private_segment_fixed_size 376
		.amdhsa_kernarg_size 400
		.amdhsa_user_sgpr_count 2
		.amdhsa_user_sgpr_dispatch_ptr 0
		.amdhsa_user_sgpr_queue_ptr 0
		.amdhsa_user_sgpr_kernarg_segment_ptr 1
		.amdhsa_user_sgpr_dispatch_id 0
		.amdhsa_user_sgpr_kernarg_preload_length 0
		.amdhsa_user_sgpr_kernarg_preload_offset 0
		.amdhsa_user_sgpr_private_segment_size 0
		.amdhsa_uses_dynamic_stack 0
		.amdhsa_enable_private_segment 1
		.amdhsa_system_sgpr_workgroup_id_x 1
		.amdhsa_system_sgpr_workgroup_id_y 1
		.amdhsa_system_sgpr_workgroup_id_z 1
		.amdhsa_system_sgpr_workgroup_info 0
		.amdhsa_system_vgpr_workitem_id 0
		.amdhsa_next_free_vgpr 128
		.amdhsa_next_free_sgpr 44
		.amdhsa_accum_offset 64
		.amdhsa_reserve_vcc 1
		.amdhsa_float_round_mode_32 0
		.amdhsa_float_round_mode_16_64 0
		.amdhsa_float_denorm_mode_32 3
		.amdhsa_float_denorm_mode_16_64 3
		.amdhsa_dx10_clamp 1
		.amdhsa_ieee_mode 1
		.amdhsa_fp16_overflow 0
		.amdhsa_tg_split 0
		.amdhsa_exception_fp_ieee_invalid_op 0
		.amdhsa_exception_fp_denorm_src 0
		.amdhsa_exception_fp_ieee_div_zero 0
		.amdhsa_exception_fp_ieee_overflow 0
		.amdhsa_exception_fp_ieee_underflow 0
		.amdhsa_exception_fp_ieee_inexact 0
		.amdhsa_exception_int_div_zero 0
	.end_amdhsa_kernel
	.section	.text._ZN4vllm25paged_attention_v2_kernelI14__hip_bfloat16hLi256ELi16ELi128ELNS_18Fp8KVCacheDataTypeE1ELb0ELi512EEEvPfS3_PT_PKS4_PKT0_SA_ifPKiSC_iPKfiiiSE_SE_iiiii,"axG",@progbits,_ZN4vllm25paged_attention_v2_kernelI14__hip_bfloat16hLi256ELi16ELi128ELNS_18Fp8KVCacheDataTypeE1ELb0ELi512EEEvPfS3_PT_PKS4_PKT0_SA_ifPKiSC_iPKfiiiSE_SE_iiiii,comdat
.Lfunc_end352:
	.size	_ZN4vllm25paged_attention_v2_kernelI14__hip_bfloat16hLi256ELi16ELi128ELNS_18Fp8KVCacheDataTypeE1ELb0ELi512EEEvPfS3_PT_PKS4_PKT0_SA_ifPKiSC_iPKfiiiSE_SE_iiiii, .Lfunc_end352-_ZN4vllm25paged_attention_v2_kernelI14__hip_bfloat16hLi256ELi16ELi128ELNS_18Fp8KVCacheDataTypeE1ELb0ELi512EEEvPfS3_PT_PKS4_PKT0_SA_ifPKiSC_iPKfiiiSE_SE_iiiii
                                        ; -- End function
	.section	.AMDGPU.csdata,"",@progbits
; Kernel info:
; codeLenInByte = 228
; NumSgprs: 50
; NumVgprs: 64
; NumAgprs: 64
; TotalNumVgprs: 128
; ScratchSize: 376
; MemoryBound: 0
; FloatMode: 240
; IeeeMode: 1
; LDSByteSize: 528 bytes/workgroup (compile time only)
; SGPRBlocks: 6
; VGPRBlocks: 15
; NumSGPRsForWavesPerEU: 50
; NumVGPRsForWavesPerEU: 128
; AccumOffset: 64
; Occupancy: 4
; WaveLimiterHint : 1
; COMPUTE_PGM_RSRC2:SCRATCH_EN: 1
; COMPUTE_PGM_RSRC2:USER_SGPR: 2
; COMPUTE_PGM_RSRC2:TRAP_HANDLER: 0
; COMPUTE_PGM_RSRC2:TGID_X_EN: 1
; COMPUTE_PGM_RSRC2:TGID_Y_EN: 1
; COMPUTE_PGM_RSRC2:TGID_Z_EN: 1
; COMPUTE_PGM_RSRC2:TIDIG_COMP_CNT: 0
; COMPUTE_PGM_RSRC3_GFX90A:ACCUM_OFFSET: 15
; COMPUTE_PGM_RSRC3_GFX90A:TG_SPLIT: 0
	.section	.text._ZN4vllm25paged_attention_v2_kernelI14__hip_bfloat16hLi32ELi32ELi128ELNS_18Fp8KVCacheDataTypeE1ELb1ELi512EEEvPfS3_PT_PKS4_PKT0_SA_ifPKiSC_iPKfiiiSE_SE_iiiii,"axG",@progbits,_ZN4vllm25paged_attention_v2_kernelI14__hip_bfloat16hLi32ELi32ELi128ELNS_18Fp8KVCacheDataTypeE1ELb1ELi512EEEvPfS3_PT_PKS4_PKT0_SA_ifPKiSC_iPKfiiiSE_SE_iiiii,comdat
	.protected	_ZN4vllm25paged_attention_v2_kernelI14__hip_bfloat16hLi32ELi32ELi128ELNS_18Fp8KVCacheDataTypeE1ELb1ELi512EEEvPfS3_PT_PKS4_PKT0_SA_ifPKiSC_iPKfiiiSE_SE_iiiii ; -- Begin function _ZN4vllm25paged_attention_v2_kernelI14__hip_bfloat16hLi32ELi32ELi128ELNS_18Fp8KVCacheDataTypeE1ELb1ELi512EEEvPfS3_PT_PKS4_PKT0_SA_ifPKiSC_iPKfiiiSE_SE_iiiii
	.globl	_ZN4vllm25paged_attention_v2_kernelI14__hip_bfloat16hLi32ELi32ELi128ELNS_18Fp8KVCacheDataTypeE1ELb1ELi512EEEvPfS3_PT_PKS4_PKT0_SA_ifPKiSC_iPKfiiiSE_SE_iiiii
	.p2align	8
	.type	_ZN4vllm25paged_attention_v2_kernelI14__hip_bfloat16hLi32ELi32ELi128ELNS_18Fp8KVCacheDataTypeE1ELb1ELi512EEEvPfS3_PT_PKS4_PKT0_SA_ifPKiSC_iPKfiiiSE_SE_iiiii,@function
_ZN4vllm25paged_attention_v2_kernelI14__hip_bfloat16hLi32ELi32ELi128ELNS_18Fp8KVCacheDataTypeE1ELb1ELi512EEEvPfS3_PT_PKS4_PKT0_SA_ifPKiSC_iPKfiiiSE_SE_iiiii: ; @_ZN4vllm25paged_attention_v2_kernelI14__hip_bfloat16hLi32ELi32ELi128ELNS_18Fp8KVCacheDataTypeE1ELb1ELi512EEEvPfS3_PT_PKS4_PKT0_SA_ifPKiSC_iPKfiiiSE_SE_iiiii
; %bb.0:
	s_load_dwordx2 s[6:7], s[0:1], 0x40
	s_mov_b32 s28, s3
	s_ashr_i32 s29, s3, 31
	s_lshl_b64 s[8:9], s[28:29], 2
	s_waitcnt lgkmcnt(0)
	s_add_u32 s6, s6, s8
	s_addc_u32 s7, s7, s9
	s_load_dword s33, s[6:7], 0x0
	s_lshl_b32 s5, s4, 9
	s_waitcnt lgkmcnt(0)
	s_cmp_ge_i32 s5, s33
	s_cbranch_scc1 .LBB353_300
; %bb.1:
	s_load_dword s29, s[0:1], 0x90
	s_load_dwordx2 s[42:43], s[0:1], 0x30
	s_waitcnt lgkmcnt(0)
	s_abs_i32 s7, s29
	s_abs_i32 s3, s42
	v_cvt_f32_u32_e32 v1, s3
	s_sub_i32 s8, 0, s3
	s_xor_b32 s6, s29, s42
	s_ashr_i32 s6, s6, 31
	v_rcp_iflag_f32_e32 v1, v1
	s_nop 0
	v_mul_f32_e32 v1, 0x4f7ffffe, v1
	v_cvt_u32_f32_e32 v1, v1
	s_nop 0
	v_readfirstlane_b32 s9, v1
	s_mul_i32 s8, s8, s9
	s_mul_hi_u32 s8, s9, s8
	s_add_i32 s9, s9, s8
	s_mul_hi_u32 s8, s7, s9
	s_mul_i32 s9, s8, s3
	s_sub_i32 s7, s7, s9
	s_add_i32 s10, s8, 1
	s_sub_i32 s9, s7, s3
	s_cmp_ge_u32 s7, s3
	s_cselect_b32 s8, s10, s8
	s_cselect_b32 s7, s9, s7
	s_add_i32 s9, s8, 1
	s_cmp_ge_u32 s7, s3
	s_cselect_b32 s3, s9, s8
	s_xor_b32 s3, s3, s6
	s_sub_i32 s12, s3, s6
	s_abs_i32 s8, s12
	v_cvt_f32_u32_e32 v1, s8
	s_load_dwordx2 s[6:7], s[0:1], 0x50
	s_sub_i32 s10, 0, s8
	s_abs_i32 s9, s2
	v_rcp_iflag_f32_e32 v1, v1
	s_mov_b32 s3, 0
	v_mul_f32_e32 v1, 0x4f7ffffe, v1
	v_cvt_u32_f32_e32 v1, v1
	s_nop 0
	v_readfirstlane_b32 s11, v1
	s_mul_i32 s10, s10, s11
	s_mul_hi_u32 s10, s11, s10
	s_add_i32 s11, s11, s10
	s_waitcnt lgkmcnt(0)
	s_cmp_eq_u64 s[6:7], 0
	s_mul_hi_u32 s10, s9, s11
	s_cbranch_scc1 .LBB353_3
; %bb.2:
	s_ashr_i32 s3, s2, 31
	s_lshl_b64 s[14:15], s[2:3], 2
	s_add_u32 s6, s6, s14
	s_addc_u32 s7, s7, s15
	s_load_dword s3, s[6:7], 0x0
.LBB353_3:
	s_load_dwordx4 s[16:19], s[0:1], 0x58
	s_ashr_i32 s11, s2, 31
	s_ashr_i32 s12, s12, 31
	v_and_b32_e32 v2, 1, v0
	s_lshl_b32 s30, s2, 5
	v_cmp_gt_u32_e32 vcc, 8, v0
	v_lshlrev_b32_e32 v25, 3, v0
	s_and_saveexec_b64 s[6:7], vcc
	s_cbranch_execz .LBB353_5
; %bb.4:
	s_load_dwordx2 s[14:15], s[0:1], 0x18
	s_waitcnt lgkmcnt(0)
	s_mul_i32 s20, s28, s16
	s_ashr_i32 s21, s20, 31
	s_lshl_b64 s[20:21], s[20:21], 1
	v_lshlrev_b32_e32 v1, 2, v0
	s_add_u32 s13, s14, s20
	s_addc_u32 s16, s15, s21
	s_ashr_i32 s31, s30, 31
	s_lshl_b64 s[14:15], s[30:31], 1
	s_add_u32 s14, s13, s14
	s_addc_u32 s15, s16, s15
	global_load_dwordx2 v[4:5], v25, s[14:15]
	v_and_b32_e32 v1, 0xff8, v1
	v_lshl_add_u32 v1, v2, 5, v1
	s_waitcnt vmcnt(0)
	ds_write_b64 v1, v[4:5]
.LBB353_5:
	s_or_b64 exec, exec, s[6:7]
	s_mul_i32 s7, s10, s8
	s_sub_i32 s7, s9, s7
	s_xor_b32 s6, s11, s12
	s_add_i32 s9, s10, 1
	s_sub_i32 s11, s7, s8
	s_load_dwordx4 s[20:23], s[0:1], 0x78
	s_cmp_ge_u32 s7, s8
	s_cselect_b32 s9, s9, s10
	s_cselect_b32 s7, s11, s7
	s_add_i32 s10, s9, 1
	s_cmp_ge_u32 s7, s8
	s_cselect_b32 s7, s10, s9
	s_load_dword s10, s[0:1], 0x88
	s_waitcnt lgkmcnt(0)
	s_abs_i32 s31, s23
	v_cvt_f32_u32_e32 v1, s31
	s_xor_b32 s7, s7, s6
	s_sub_i32 s51, s7, s6
	s_sub_i32 s6, 0, s31
	v_rcp_iflag_f32_e32 v1, v1
	s_add_i32 s11, s33, -1
	s_abs_i32 s8, s11
	v_mul_f32_e32 v1, 0x4f7ffffe, v1
	v_cvt_u32_f32_e32 v1, v1
	s_barrier
	v_readfirstlane_b32 s48, v1
	s_mul_i32 s6, s6, s48
	s_mul_hi_u32 s6, s48, s6
	s_add_i32 s48, s48, s6
	s_cmp_lt_i32 s10, 0
	s_mul_hi_u32 s9, s8, s48
	s_cbranch_scc0 .LBB353_7
; %bb.6:
	s_mul_i32 s6, s20, s42
	s_add_i32 s6, s51, s6
	s_mul_i32 s6, s6, s10
	s_sub_i32 s42, 1, s6
	s_mov_b64 s[6:7], 0
	s_branch .LBB353_8
.LBB353_7:
	s_mov_b64 s[6:7], -1
                                        ; implicit-def: $sgpr42
.LBB353_8:
	s_load_dwordx2 s[36:37], s[0:1], 0x38
	s_ashr_i32 s11, s11, 31
	s_andn2_b64 vcc, exec, s[6:7]
	s_ashr_i32 s23, s23, 31
	s_cbranch_vccnz .LBB353_10
; %bb.9:
	s_mul_i32 s6, s29, s20
	s_add_i32 s6, s6, s2
	s_mul_i32 s6, s6, s10
	s_add_i32 s42, s6, 1
.LBB353_10:
	s_load_dwordx2 s[40:41], s[0:1], 0x28
	s_load_dword s6, s[0:1], 0x48
	s_load_dwordx4 s[24:27], s[0:1], 0x0
	s_load_dwordx2 s[34:35], s[0:1], 0x10
	s_load_dword s16, s[0:1], 0x98
	s_load_dwordx4 s[12:15], s[0:1], 0x68
	s_mul_i32 s7, s9, s31
	s_waitcnt lgkmcnt(0)
	s_mul_i32 s38, s28, s6
	s_sub_i32 s7, s8, s7
	s_ashr_i32 s39, s38, 31
	s_xor_b32 s6, s11, s23
	s_add_i32 s8, s9, 1
	s_sub_i32 s10, s7, s31
	s_cmp_ge_u32 s7, s31
	s_cselect_b32 s8, s8, s9
	s_cselect_b32 s7, s10, s7
	s_add_i32 s9, s8, 1
	s_cmp_ge_u32 s7, s31
	s_cselect_b32 s7, s9, s8
	s_xor_b32 s7, s7, s6
	s_sub_i32 s50, s7, s6
	s_add_i32 s6, s33, 31
	s_ashr_i32 s7, s6, 31
	s_lshr_b32 s7, s7, 27
	s_add_i32 s6, s6, s7
	s_lshl_b32 s52, s4, 4
	s_ashr_i32 s49, s6, 5
	s_add_i32 s6, s52, 16
	v_lshrrev_b32_e32 v26, 6, v0
	s_min_i32 s20, s6, s49
	v_or_b32_e32 v10, s52, v26
	v_cmp_gt_i32_e64 s[8:9], s20, v10
	v_mov_b32_e32 v23, 0xff7fffff
	s_mul_i32 s51, s51, s18
	v_ashrrev_i32_e32 v11, 31, v10
	v_lshl_add_u32 v1, v26, 5, s5
	v_mbcnt_lo_u32_b32 v20, -1, 0
	s_and_saveexec_b64 s[18:19], s[8:9]
	s_cbranch_execz .LBB353_84
; %bb.11:
	s_load_dwordx2 s[0:1], s[0:1], 0x20
	s_sub_i32 s53, s50, s21
	s_ashr_i32 s6, s51, 31
	v_bfe_u32 v21, v0, 1, 5
	v_mov_b32_e32 v13, 0
	s_waitcnt lgkmcnt(0)
	s_add_u32 s0, s0, s51
	s_addc_u32 s1, s1, s6
	s_abs_i32 s54, s22
	v_cvt_f32_u32_e32 v3, s54
	v_lshlrev_b32_e32 v12, 4, v21
	v_lshl_add_u64 v[14:15], s[0:1], 0, v[12:13]
	s_sub_i32 s0, 0, s54
	v_rcp_iflag_f32_e32 v3, v3
	v_cmp_eq_u32_e32 vcc, 0, v2
	v_lshlrev_b32_e32 v22, 5, v2
	v_lshlrev_b32_e32 v12, 2, v2
	v_mul_f32_e32 v3, 0x4f7ffffe, v3
	v_cvt_u32_f32_e32 v3, v3
	s_mov_b32 s55, s17
	v_cmp_neq_f32_e64 s[6:7], s3, 0
	v_lshl_add_u32 v27, v26, 5, s5
	v_mul_lo_u32 v2, s0, v3
	v_mul_hi_u32 v2, v3, v2
	v_add_u32_e32 v24, v3, v2
	s_lshl_b64 s[0:1], s[38:39], 2
	v_lshlrev_b32_e32 v2, 2, v21
	s_add_u32 s0, s36, s0
	v_lshl_or_b32 v2, v26, 7, v2
	s_addc_u32 s1, s37, s1
	v_add_u32_e32 v28, 0x50, v2
	v_subrev_u32_e32 v2, s33, v21
	v_lshl_add_u64 v[16:17], v[10:11], 2, s[0:1]
	v_add_u32_e32 v29, 1, v2
	s_mov_b64 s[44:45], 0
	v_mov_b32_e32 v30, 0xff7fffff
	s_mov_b32 s56, 0x7f800000
	s_movk_i32 s57, 0x7fff
	v_mbcnt_hi_u32_b32 v31, -1, v20
	v_mov_b32_e32 v23, 0xff7fffff
	v_mov_b32_e32 v32, v10
	s_branch .LBB353_14
.LBB353_12:                             ;   in Loop: Header=BB353_14 Depth=1
	s_or_b64 exec, exec, s[46:47]
.LBB353_13:                             ;   in Loop: Header=BB353_14 Depth=1
	s_or_b64 exec, exec, s[10:11]
	v_add_u32_e32 v32, 2, v32
	v_cmp_le_i32_e64 s[0:1], s20, v32
	v_lshl_add_u64 v[16:17], v[16:17], 0, 8
	v_add_u32_e32 v27, 64, v27
	s_or_b64 s[44:45], s[0:1], s[44:45]
	v_add_u32_e32 v28, 0x100, v28
	s_andn2_b64 exec, exec, s[44:45]
	s_cbranch_execz .LBB353_83
.LBB353_14:                             ; =>This Inner Loop Header: Depth=1
	s_waitcnt lgkmcnt(0)
	v_sub_u32_e32 v3, 0, v27
	v_max_i32_e32 v3, v27, v3
	v_mul_hi_u32 v4, v3, s48
	v_mul_lo_u32 v5, v4, s31
	v_sub_u32_e32 v3, v3, v5
	v_add_u32_e32 v5, 1, v4
	v_cmp_le_u32_e64 s[0:1], s31, v3
	v_ashrrev_i32_e32 v2, 31, v27
	v_xor_b32_e32 v2, s23, v2
	v_cndmask_b32_e64 v4, v4, v5, s[0:1]
	v_subrev_u32_e32 v5, s31, v3
	v_cndmask_b32_e64 v3, v3, v5, s[0:1]
	v_add_u32_e32 v5, 1, v4
	v_cmp_le_u32_e64 s[0:1], s31, v3
	s_nop 1
	v_cndmask_b32_e64 v3, v4, v5, s[0:1]
	v_xor_b32_e32 v3, v3, v2
	v_sub_u32_e32 v2, v3, v2
	v_add_u32_e32 v3, s42, v2
	v_sub_u32_e32 v5, 0, v3
	v_ashrrev_i32_e32 v4, 31, v3
	v_max_i32_e32 v3, v3, v5
	v_mul_hi_u32 v5, v3, v24
	v_mul_lo_u32 v5, v5, s54
	v_sub_u32_e32 v3, v3, v5
	v_subrev_u32_e32 v5, s54, v3
	v_cmp_le_u32_e64 s[0:1], s54, v3
	v_cmp_ge_i32_e64 s[10:11], s53, v2
	s_nop 0
	v_cndmask_b32_e64 v3, v3, v5, s[0:1]
	v_subrev_u32_e32 v5, s54, v3
	v_cmp_le_u32_e64 s[0:1], s54, v3
	s_nop 1
	v_cndmask_b32_e64 v3, v3, v5, s[0:1]
	v_xor_b32_e32 v3, v3, v4
	v_sub_u32_e32 v3, v3, v4
	v_cmp_ne_u32_e64 s[0:1], 0, v3
	s_and_b64 s[0:1], s[0:1], s[10:11]
	s_and_b64 s[46:47], vcc, s[0:1]
	s_and_saveexec_b64 s[10:11], s[46:47]
	s_cbranch_execz .LBB353_16
; %bb.15:                               ;   in Loop: Header=BB353_14 Depth=1
	ds_write_b32 v28, v30
.LBB353_16:                             ;   in Loop: Header=BB353_14 Depth=1
	s_or_b64 exec, exec, s[10:11]
	s_xor_b64 s[0:1], s[0:1], -1
	s_and_saveexec_b64 s[10:11], s[0:1]
	s_cbranch_execz .LBB353_13
; %bb.17:                               ;   in Loop: Header=BB353_14 Depth=1
	global_load_dword v2, v[16:17], off
	s_load_dword s58, s[12:13], 0x0
	s_waitcnt vmcnt(0)
	v_mad_i64_i32 v[2:3], s[0:1], v2, s55, v[14:15]
	v_lshl_add_u64 v[18:19], v[2:3], 0, v[12:13]
	global_load_dword v36, v[18:19], off
	s_waitcnt vmcnt(0)
	v_and_b32_e32 v2, 0xff, v36
	v_cvt_f32_fp8_sdwa v33, v2 src0_sel:BYTE_0
	ds_read_b128 v[6:9], v22
	ds_read_b128 v[2:5], v22 offset:16
	s_waitcnt lgkmcnt(0)
	v_mul_f32_e32 v34, s58, v33
	v_and_b32_e32 v33, 0x7f800000, v34
	v_cmp_ne_u32_e64 s[0:1], s56, v33
                                        ; implicit-def: $vgpr33
	s_and_saveexec_b64 s[46:47], s[0:1]
	s_xor_b64 s[0:1], exec, s[46:47]
; %bb.18:                               ;   in Loop: Header=BB353_14 Depth=1
	v_bfe_u32 v33, v34, 16, 1
	v_add3_u32 v33, v34, v33, s57
                                        ; implicit-def: $vgpr34
; %bb.19:                               ;   in Loop: Header=BB353_14 Depth=1
	s_andn2_saveexec_b64 s[46:47], s[0:1]
; %bb.20:                               ;   in Loop: Header=BB353_14 Depth=1
	v_or_b32_e32 v33, 0x10000, v34
	v_cmp_eq_u32_sdwa s[0:1], v34, v13 src0_sel:WORD_0 src1_sel:DWORD
	s_nop 1
	v_cndmask_b32_e64 v33, v33, v34, s[0:1]
; %bb.21:                               ;   in Loop: Header=BB353_14 Depth=1
	s_or_b64 exec, exec, s[46:47]
	v_bfe_u32 v34, v36, 8, 8
	v_cvt_f32_fp8_sdwa v34, v34 src0_sel:BYTE_0
	s_nop 0
	v_mul_f32_e32 v35, s58, v34
	v_and_b32_e32 v34, 0x7f800000, v35
	v_cmp_ne_u32_e64 s[0:1], s56, v34
                                        ; implicit-def: $vgpr34
	s_and_saveexec_b64 s[46:47], s[0:1]
	s_xor_b64 s[0:1], exec, s[46:47]
; %bb.22:                               ;   in Loop: Header=BB353_14 Depth=1
	v_bfe_u32 v34, v35, 16, 1
	v_add3_u32 v34, v35, v34, s57
                                        ; implicit-def: $vgpr35
; %bb.23:                               ;   in Loop: Header=BB353_14 Depth=1
	s_andn2_saveexec_b64 s[46:47], s[0:1]
; %bb.24:                               ;   in Loop: Header=BB353_14 Depth=1
	v_or_b32_e32 v34, 0x10000, v35
	v_cmp_eq_u32_sdwa s[0:1], v35, v13 src0_sel:WORD_0 src1_sel:DWORD
	s_nop 1
	v_cndmask_b32_e64 v34, v34, v35, s[0:1]
; %bb.25:                               ;   in Loop: Header=BB353_14 Depth=1
	s_or_b64 exec, exec, s[46:47]
	v_bfe_u32 v35, v36, 16, 8
	v_cvt_f32_fp8_sdwa v35, v35 src0_sel:BYTE_0
	s_nop 0
	v_mul_f32_e32 v37, s58, v35
	v_and_b32_e32 v35, 0x7f800000, v37
	v_cmp_ne_u32_e64 s[0:1], s56, v35
                                        ; implicit-def: $vgpr35
	s_and_saveexec_b64 s[46:47], s[0:1]
	s_xor_b64 s[0:1], exec, s[46:47]
; %bb.26:                               ;   in Loop: Header=BB353_14 Depth=1
	v_bfe_u32 v35, v37, 16, 1
	v_add3_u32 v35, v37, v35, s57
                                        ; implicit-def: $vgpr37
; %bb.27:                               ;   in Loop: Header=BB353_14 Depth=1
	s_andn2_saveexec_b64 s[46:47], s[0:1]
; %bb.28:                               ;   in Loop: Header=BB353_14 Depth=1
	v_or_b32_e32 v35, 0x10000, v37
	v_cmp_eq_u32_sdwa s[0:1], v37, v13 src0_sel:WORD_0 src1_sel:DWORD
	s_nop 1
	v_cndmask_b32_e64 v35, v35, v37, s[0:1]
; %bb.29:                               ;   in Loop: Header=BB353_14 Depth=1
	s_or_b64 exec, exec, s[46:47]
	v_lshrrev_b32_e32 v36, 24, v36
	v_cvt_f32_fp8_sdwa v36, v36 src0_sel:BYTE_0
	s_nop 0
	v_mul_f32_e32 v37, s58, v36
	v_and_b32_e32 v36, 0x7f800000, v37
	v_cmp_ne_u32_e64 s[0:1], s56, v36
                                        ; implicit-def: $vgpr36
	s_and_saveexec_b64 s[46:47], s[0:1]
	s_xor_b64 s[0:1], exec, s[46:47]
; %bb.30:                               ;   in Loop: Header=BB353_14 Depth=1
	v_bfe_u32 v36, v37, 16, 1
	v_add3_u32 v36, v37, v36, s57
                                        ; implicit-def: $vgpr37
; %bb.31:                               ;   in Loop: Header=BB353_14 Depth=1
	s_andn2_saveexec_b64 s[46:47], s[0:1]
; %bb.32:                               ;   in Loop: Header=BB353_14 Depth=1
	v_or_b32_e32 v36, 0x10000, v37
	v_cmp_eq_u32_sdwa s[0:1], v37, v13 src0_sel:WORD_0 src1_sel:DWORD
	s_nop 1
	v_cndmask_b32_e64 v36, v36, v37, s[0:1]
; %bb.33:                               ;   in Loop: Header=BB353_14 Depth=1
	s_or_b64 exec, exec, s[46:47]
	global_load_dword v40, v[18:19], off offset:8
	s_waitcnt vmcnt(0)
	v_and_b32_e32 v37, 0xff, v40
	v_cvt_f32_fp8_sdwa v37, v37 src0_sel:BYTE_0
	s_nop 0
	v_mul_f32_e32 v38, s58, v37
	v_and_b32_e32 v37, 0x7f800000, v38
	v_cmp_ne_u32_e64 s[0:1], s56, v37
                                        ; implicit-def: $vgpr37
	s_and_saveexec_b64 s[46:47], s[0:1]
	s_xor_b64 s[0:1], exec, s[46:47]
; %bb.34:                               ;   in Loop: Header=BB353_14 Depth=1
	v_bfe_u32 v37, v38, 16, 1
	v_add3_u32 v37, v38, v37, s57
                                        ; implicit-def: $vgpr38
; %bb.35:                               ;   in Loop: Header=BB353_14 Depth=1
	s_andn2_saveexec_b64 s[46:47], s[0:1]
; %bb.36:                               ;   in Loop: Header=BB353_14 Depth=1
	v_or_b32_e32 v37, 0x10000, v38
	v_cmp_eq_u32_sdwa s[0:1], v38, v13 src0_sel:WORD_0 src1_sel:DWORD
	s_nop 1
	v_cndmask_b32_e64 v37, v37, v38, s[0:1]
; %bb.37:                               ;   in Loop: Header=BB353_14 Depth=1
	s_or_b64 exec, exec, s[46:47]
	v_bfe_u32 v38, v40, 8, 8
	v_cvt_f32_fp8_sdwa v38, v38 src0_sel:BYTE_0
	s_nop 0
	v_mul_f32_e32 v39, s58, v38
	v_and_b32_e32 v38, 0x7f800000, v39
	v_cmp_ne_u32_e64 s[0:1], s56, v38
                                        ; implicit-def: $vgpr38
	s_and_saveexec_b64 s[46:47], s[0:1]
	s_xor_b64 s[0:1], exec, s[46:47]
; %bb.38:                               ;   in Loop: Header=BB353_14 Depth=1
	v_bfe_u32 v38, v39, 16, 1
	v_add3_u32 v38, v39, v38, s57
                                        ; implicit-def: $vgpr39
; %bb.39:                               ;   in Loop: Header=BB353_14 Depth=1
	s_andn2_saveexec_b64 s[46:47], s[0:1]
; %bb.40:                               ;   in Loop: Header=BB353_14 Depth=1
	v_or_b32_e32 v38, 0x10000, v39
	v_cmp_eq_u32_sdwa s[0:1], v39, v13 src0_sel:WORD_0 src1_sel:DWORD
	s_nop 1
	v_cndmask_b32_e64 v38, v38, v39, s[0:1]
; %bb.41:                               ;   in Loop: Header=BB353_14 Depth=1
	s_or_b64 exec, exec, s[46:47]
	v_bfe_u32 v39, v40, 16, 8
	v_cvt_f32_fp8_sdwa v39, v39 src0_sel:BYTE_0
	s_nop 0
	v_mul_f32_e32 v41, s58, v39
	v_and_b32_e32 v39, 0x7f800000, v41
	v_cmp_ne_u32_e64 s[0:1], s56, v39
                                        ; implicit-def: $vgpr39
	s_and_saveexec_b64 s[46:47], s[0:1]
	s_xor_b64 s[0:1], exec, s[46:47]
; %bb.42:                               ;   in Loop: Header=BB353_14 Depth=1
	v_bfe_u32 v39, v41, 16, 1
	v_add3_u32 v39, v41, v39, s57
                                        ; implicit-def: $vgpr41
; %bb.43:                               ;   in Loop: Header=BB353_14 Depth=1
	s_andn2_saveexec_b64 s[46:47], s[0:1]
; %bb.44:                               ;   in Loop: Header=BB353_14 Depth=1
	v_or_b32_e32 v39, 0x10000, v41
	v_cmp_eq_u32_sdwa s[0:1], v41, v13 src0_sel:WORD_0 src1_sel:DWORD
	s_nop 1
	v_cndmask_b32_e64 v39, v39, v41, s[0:1]
; %bb.45:                               ;   in Loop: Header=BB353_14 Depth=1
	s_or_b64 exec, exec, s[46:47]
	v_lshrrev_b32_e32 v40, 24, v40
	v_cvt_f32_fp8_sdwa v40, v40 src0_sel:BYTE_0
	s_nop 0
	v_mul_f32_e32 v41, s58, v40
	v_and_b32_e32 v40, 0x7f800000, v41
	v_cmp_ne_u32_e64 s[0:1], s56, v40
                                        ; implicit-def: $vgpr40
	s_and_saveexec_b64 s[46:47], s[0:1]
	s_xor_b64 s[0:1], exec, s[46:47]
; %bb.46:                               ;   in Loop: Header=BB353_14 Depth=1
	v_bfe_u32 v40, v41, 16, 1
	v_add3_u32 v40, v41, v40, s57
                                        ; implicit-def: $vgpr41
; %bb.47:                               ;   in Loop: Header=BB353_14 Depth=1
	s_andn2_saveexec_b64 s[46:47], s[0:1]
; %bb.48:                               ;   in Loop: Header=BB353_14 Depth=1
	v_or_b32_e32 v40, 0x10000, v41
	v_cmp_eq_u32_sdwa s[0:1], v41, v13 src0_sel:WORD_0 src1_sel:DWORD
	s_nop 1
	v_cndmask_b32_e64 v40, v40, v41, s[0:1]
; %bb.49:                               ;   in Loop: Header=BB353_14 Depth=1
	s_or_b64 exec, exec, s[46:47]
	global_load_dword v44, v[18:19], off offset:512
	s_waitcnt vmcnt(0)
	v_and_b32_e32 v41, 0xff, v44
	v_cvt_f32_fp8_sdwa v41, v41 src0_sel:BYTE_0
	s_nop 0
	v_mul_f32_e32 v42, s58, v41
	v_and_b32_e32 v41, 0x7f800000, v42
	v_cmp_ne_u32_e64 s[0:1], s56, v41
                                        ; implicit-def: $vgpr41
	s_and_saveexec_b64 s[46:47], s[0:1]
	s_xor_b64 s[0:1], exec, s[46:47]
; %bb.50:                               ;   in Loop: Header=BB353_14 Depth=1
	v_bfe_u32 v41, v42, 16, 1
	v_add3_u32 v41, v42, v41, s57
                                        ; implicit-def: $vgpr42
; %bb.51:                               ;   in Loop: Header=BB353_14 Depth=1
	s_andn2_saveexec_b64 s[46:47], s[0:1]
; %bb.52:                               ;   in Loop: Header=BB353_14 Depth=1
	v_or_b32_e32 v41, 0x10000, v42
	v_cmp_eq_u32_sdwa s[0:1], v42, v13 src0_sel:WORD_0 src1_sel:DWORD
	s_nop 1
	v_cndmask_b32_e64 v41, v41, v42, s[0:1]
; %bb.53:                               ;   in Loop: Header=BB353_14 Depth=1
	s_or_b64 exec, exec, s[46:47]
	v_bfe_u32 v42, v44, 8, 8
	v_cvt_f32_fp8_sdwa v42, v42 src0_sel:BYTE_0
	s_nop 0
	v_mul_f32_e32 v43, s58, v42
	v_and_b32_e32 v42, 0x7f800000, v43
	v_cmp_ne_u32_e64 s[0:1], s56, v42
                                        ; implicit-def: $vgpr42
	s_and_saveexec_b64 s[46:47], s[0:1]
	s_xor_b64 s[0:1], exec, s[46:47]
; %bb.54:                               ;   in Loop: Header=BB353_14 Depth=1
	v_bfe_u32 v42, v43, 16, 1
	v_add3_u32 v42, v43, v42, s57
                                        ; implicit-def: $vgpr43
; %bb.55:                               ;   in Loop: Header=BB353_14 Depth=1
	s_andn2_saveexec_b64 s[46:47], s[0:1]
; %bb.56:                               ;   in Loop: Header=BB353_14 Depth=1
	v_or_b32_e32 v42, 0x10000, v43
	v_cmp_eq_u32_sdwa s[0:1], v43, v13 src0_sel:WORD_0 src1_sel:DWORD
	s_nop 1
	v_cndmask_b32_e64 v42, v42, v43, s[0:1]
; %bb.57:                               ;   in Loop: Header=BB353_14 Depth=1
	s_or_b64 exec, exec, s[46:47]
	v_bfe_u32 v43, v44, 16, 8
	v_cvt_f32_fp8_sdwa v43, v43 src0_sel:BYTE_0
	s_nop 0
	v_mul_f32_e32 v45, s58, v43
	v_and_b32_e32 v43, 0x7f800000, v45
	v_cmp_ne_u32_e64 s[0:1], s56, v43
                                        ; implicit-def: $vgpr43
	s_and_saveexec_b64 s[46:47], s[0:1]
	s_xor_b64 s[0:1], exec, s[46:47]
; %bb.58:                               ;   in Loop: Header=BB353_14 Depth=1
	v_bfe_u32 v43, v45, 16, 1
	v_add3_u32 v43, v45, v43, s57
                                        ; implicit-def: $vgpr45
; %bb.59:                               ;   in Loop: Header=BB353_14 Depth=1
	s_andn2_saveexec_b64 s[46:47], s[0:1]
; %bb.60:                               ;   in Loop: Header=BB353_14 Depth=1
	v_or_b32_e32 v43, 0x10000, v45
	v_cmp_eq_u32_sdwa s[0:1], v45, v13 src0_sel:WORD_0 src1_sel:DWORD
	s_nop 1
	v_cndmask_b32_e64 v43, v43, v45, s[0:1]
; %bb.61:                               ;   in Loop: Header=BB353_14 Depth=1
	s_or_b64 exec, exec, s[46:47]
	v_lshrrev_b32_e32 v44, 24, v44
	v_cvt_f32_fp8_sdwa v44, v44 src0_sel:BYTE_0
	s_nop 0
	v_mul_f32_e32 v45, s58, v44
	v_and_b32_e32 v44, 0x7f800000, v45
	v_cmp_ne_u32_e64 s[0:1], s56, v44
                                        ; implicit-def: $vgpr44
	s_and_saveexec_b64 s[46:47], s[0:1]
	s_xor_b64 s[0:1], exec, s[46:47]
; %bb.62:                               ;   in Loop: Header=BB353_14 Depth=1
	v_bfe_u32 v44, v45, 16, 1
	v_add3_u32 v44, v45, v44, s57
                                        ; implicit-def: $vgpr45
; %bb.63:                               ;   in Loop: Header=BB353_14 Depth=1
	s_andn2_saveexec_b64 s[46:47], s[0:1]
; %bb.64:                               ;   in Loop: Header=BB353_14 Depth=1
	v_or_b32_e32 v44, 0x10000, v45
	v_cmp_eq_u32_sdwa s[0:1], v45, v13 src0_sel:WORD_0 src1_sel:DWORD
	s_nop 1
	v_cndmask_b32_e64 v44, v44, v45, s[0:1]
; %bb.65:                               ;   in Loop: Header=BB353_14 Depth=1
	s_or_b64 exec, exec, s[46:47]
	global_load_dword v19, v[18:19], off offset:520
	s_waitcnt vmcnt(0)
	v_and_b32_e32 v18, 0xff, v19
	v_cvt_f32_fp8_sdwa v18, v18 src0_sel:BYTE_0
	s_nop 0
	v_mul_f32_e32 v45, s58, v18
	v_and_b32_e32 v18, 0x7f800000, v45
	v_cmp_ne_u32_e64 s[0:1], s56, v18
                                        ; implicit-def: $vgpr18
	s_and_saveexec_b64 s[46:47], s[0:1]
	s_xor_b64 s[0:1], exec, s[46:47]
; %bb.66:                               ;   in Loop: Header=BB353_14 Depth=1
	v_bfe_u32 v18, v45, 16, 1
	v_add3_u32 v18, v45, v18, s57
                                        ; implicit-def: $vgpr45
; %bb.67:                               ;   in Loop: Header=BB353_14 Depth=1
	s_andn2_saveexec_b64 s[46:47], s[0:1]
; %bb.68:                               ;   in Loop: Header=BB353_14 Depth=1
	v_or_b32_e32 v18, 0x10000, v45
	v_cmp_eq_u32_sdwa s[0:1], v45, v13 src0_sel:WORD_0 src1_sel:DWORD
	s_nop 1
	v_cndmask_b32_e64 v18, v18, v45, s[0:1]
; %bb.69:                               ;   in Loop: Header=BB353_14 Depth=1
	s_or_b64 exec, exec, s[46:47]
	v_bfe_u32 v45, v19, 8, 8
	v_cvt_f32_fp8_sdwa v45, v45 src0_sel:BYTE_0
	s_nop 0
	v_mul_f32_e32 v46, s58, v45
	v_and_b32_e32 v45, 0x7f800000, v46
	v_cmp_ne_u32_e64 s[0:1], s56, v45
                                        ; implicit-def: $vgpr45
	s_and_saveexec_b64 s[46:47], s[0:1]
	s_xor_b64 s[0:1], exec, s[46:47]
; %bb.70:                               ;   in Loop: Header=BB353_14 Depth=1
	v_bfe_u32 v45, v46, 16, 1
	v_add3_u32 v45, v46, v45, s57
                                        ; implicit-def: $vgpr46
; %bb.71:                               ;   in Loop: Header=BB353_14 Depth=1
	s_andn2_saveexec_b64 s[46:47], s[0:1]
; %bb.72:                               ;   in Loop: Header=BB353_14 Depth=1
	v_or_b32_e32 v45, 0x10000, v46
	v_cmp_eq_u32_sdwa s[0:1], v46, v13 src0_sel:WORD_0 src1_sel:DWORD
	s_nop 1
	v_cndmask_b32_e64 v45, v45, v46, s[0:1]
; %bb.73:                               ;   in Loop: Header=BB353_14 Depth=1
	s_or_b64 exec, exec, s[46:47]
	v_bfe_u32 v46, v19, 16, 8
	v_cvt_f32_fp8_sdwa v46, v46 src0_sel:BYTE_0
	s_nop 0
	v_mul_f32_e32 v47, s58, v46
	v_and_b32_e32 v46, 0x7f800000, v47
	v_cmp_ne_u32_e64 s[0:1], s56, v46
                                        ; implicit-def: $vgpr46
	s_and_saveexec_b64 s[46:47], s[0:1]
	s_xor_b64 s[0:1], exec, s[46:47]
; %bb.74:                               ;   in Loop: Header=BB353_14 Depth=1
	v_bfe_u32 v46, v47, 16, 1
	v_add3_u32 v46, v47, v46, s57
                                        ; implicit-def: $vgpr47
; %bb.75:                               ;   in Loop: Header=BB353_14 Depth=1
	s_andn2_saveexec_b64 s[46:47], s[0:1]
; %bb.76:                               ;   in Loop: Header=BB353_14 Depth=1
	v_or_b32_e32 v46, 0x10000, v47
	v_cmp_eq_u32_sdwa s[0:1], v47, v13 src0_sel:WORD_0 src1_sel:DWORD
	s_nop 1
	v_cndmask_b32_e64 v46, v46, v47, s[0:1]
; %bb.77:                               ;   in Loop: Header=BB353_14 Depth=1
	s_or_b64 exec, exec, s[46:47]
	v_lshrrev_b32_e32 v19, 24, v19
	v_cvt_f32_fp8_sdwa v19, v19 src0_sel:BYTE_0
	s_nop 0
	v_mul_f32_e32 v47, s58, v19
	v_and_b32_e32 v19, 0x7f800000, v47
	v_cmp_ne_u32_e64 s[0:1], s56, v19
                                        ; implicit-def: $vgpr19
	s_and_saveexec_b64 s[46:47], s[0:1]
	s_xor_b64 s[0:1], exec, s[46:47]
; %bb.78:                               ;   in Loop: Header=BB353_14 Depth=1
	v_bfe_u32 v19, v47, 16, 1
	v_add3_u32 v19, v47, v19, s57
                                        ; implicit-def: $vgpr47
; %bb.79:                               ;   in Loop: Header=BB353_14 Depth=1
	s_andn2_saveexec_b64 s[46:47], s[0:1]
; %bb.80:                               ;   in Loop: Header=BB353_14 Depth=1
	v_or_b32_e32 v19, 0x10000, v47
	v_cmp_eq_u32_sdwa s[0:1], v47, v13 src0_sel:WORD_0 src1_sel:DWORD
	s_nop 1
	v_cndmask_b32_e64 v19, v19, v47, s[0:1]
; %bb.81:                               ;   in Loop: Header=BB353_14 Depth=1
	s_or_b64 exec, exec, s[46:47]
	v_and_b32_e32 v38, 0xffff0000, v38
	v_and_b32_e32 v37, 0xffff0000, v37
	v_lshlrev_b32_e32 v49, 16, v8
	v_and_b32_e32 v8, 0xffff0000, v8
	v_and_b32_e32 v39, 0xffff0000, v39
	v_and_b32_e32 v34, 0xffff0000, v34
	v_and_b32_e32 v33, 0xffff0000, v33
	v_lshlrev_b32_e32 v47, 16, v6
	v_lshlrev_b32_e32 v50, 16, v9
	v_and_b32_e32 v6, 0xffff0000, v6
	v_mul_f32_e32 v37, v49, v37
	v_mul_f32_e32 v8, v8, v38
	v_and_b32_e32 v42, 0xffff0000, v42
	v_and_b32_e32 v41, 0xffff0000, v41
	;; [unrolled: 1-line block ×4, first 2 shown]
	v_lshlrev_b32_e32 v48, 16, v7
	v_lshlrev_b32_e32 v51, 16, v2
	v_and_b32_e32 v9, 0xffff0000, v9
	v_and_b32_e32 v2, 0xffff0000, v2
	v_fmac_f32_e32 v37, v47, v33
	v_fmac_f32_e32 v8, v6, v34
	v_mul_f32_e32 v6, v50, v39
	v_and_b32_e32 v45, 0xffff0000, v45
	v_and_b32_e32 v18, 0xffff0000, v18
	;; [unrolled: 1-line block ×4, first 2 shown]
	v_lshlrev_b32_e32 v52, 16, v3
	v_lshlrev_b32_e32 v53, 16, v4
	v_and_b32_e32 v56, 64, v31
	v_and_b32_e32 v7, 0xffff0000, v7
	;; [unrolled: 1-line block ×3, first 2 shown]
	v_fmac_f32_e32 v6, v48, v35
	v_mul_f32_e32 v9, v9, v40
	v_fmac_f32_e32 v37, v51, v41
	v_fmac_f32_e32 v8, v2, v42
	v_and_b32_e32 v44, 0xffff0000, v44
	v_lshlrev_b32_e32 v54, 16, v5
	v_xor_b32_e32 v55, 1, v31
	v_add_u32_e32 v56, 64, v56
	v_and_b32_e32 v46, 0xffff0000, v46
	v_and_b32_e32 v3, 0xffff0000, v3
	v_fmac_f32_e32 v9, v7, v36
	v_fmac_f32_e32 v6, v52, v43
	;; [unrolled: 1-line block ×4, first 2 shown]
	v_cmp_lt_i32_e64 s[0:1], v55, v56
	v_and_b32_e32 v19, 0xffff0000, v19
	v_and_b32_e32 v5, 0xffff0000, v5
	v_fmac_f32_e32 v9, v3, v44
	v_fmac_f32_e32 v6, v54, v46
	v_add_f32_e32 v2, v37, v8
	v_cndmask_b32_e64 v55, v31, v55, s[0:1]
	v_fmac_f32_e32 v9, v5, v19
	v_add_f32_e32 v2, v2, v6
	v_lshlrev_b32_e32 v55, 2, v55
	v_add_f32_e32 v2, v2, v9
	ds_bpermute_b32 v3, v55, v2
	s_and_saveexec_b64 s[46:47], vcc
	s_cbranch_execz .LBB353_12
; %bb.82:                               ;   in Loop: Header=BB353_14 Depth=1
	v_add_u32_e32 v4, v29, v27
	v_cvt_f32_i32_e32 v4, v4
	s_waitcnt lgkmcnt(0)
	v_add_f32_e32 v2, v2, v3
	v_add_u32_e32 v5, v21, v27
	v_cmp_gt_i32_e64 s[0:1], s33, v5
	v_mul_f32_e32 v3, s3, v4
	v_cndmask_b32_e64 v3, 0, v3, s[6:7]
	v_fmac_f32_e32 v3, s43, v2
	v_cndmask_b32_e64 v2, 0, v3, s[0:1]
	ds_write_b32 v28, v2
	v_max_f32_e32 v2, v23, v23
	v_max_f32_e32 v2, v2, v3
	v_cndmask_b32_e64 v23, v23, v2, s[0:1]
	s_branch .LBB353_12
.LBB353_83:
	s_or_b64 exec, exec, s[44:45]
.LBB353_84:
	s_or_b64 exec, exec, s[18:19]
	v_mbcnt_hi_u32_b32 v4, -1, v20
	v_and_b32_e32 v2, 64, v4
	v_add_u32_e32 v9, 64, v2
	v_xor_b32_e32 v2, 32, v4
	v_cmp_lt_i32_e32 vcc, v2, v9
	v_xor_b32_e32 v6, 16, v4
	v_max_f32_e32 v5, v23, v23
	v_cndmask_b32_e32 v2, v4, v2, vcc
	v_lshlrev_b32_e32 v2, 2, v2
	s_waitcnt lgkmcnt(0)
	ds_bpermute_b32 v3, v2, v23
	v_cmp_lt_i32_e32 vcc, v6, v9
	v_xor_b32_e32 v7, 8, v4
	v_xor_b32_e32 v8, 4, v4
	;; [unrolled: 1-line block ×3, first 2 shown]
	s_waitcnt lgkmcnt(0)
	v_max_f32_e32 v3, v3, v3
	v_max_f32_e32 v5, v5, v3
	v_cndmask_b32_e32 v3, v4, v6, vcc
	v_lshlrev_b32_e32 v3, 2, v3
	ds_bpermute_b32 v6, v3, v5
	v_cmp_lt_i32_e32 vcc, v7, v9
	v_and_b32_e32 v20, 63, v0
	s_waitcnt lgkmcnt(0)
	v_max_f32_e32 v6, v6, v6
	v_max_f32_e32 v6, v5, v6
	v_cndmask_b32_e32 v5, v4, v7, vcc
	v_lshlrev_b32_e32 v5, 2, v5
	ds_bpermute_b32 v7, v5, v6
	v_cmp_lt_i32_e32 vcc, v8, v9
	s_waitcnt lgkmcnt(0)
	v_max_f32_e32 v7, v7, v7
	v_max_f32_e32 v7, v6, v7
	v_cndmask_b32_e32 v6, v4, v8, vcc
	v_lshlrev_b32_e32 v6, 2, v6
	ds_bpermute_b32 v8, v6, v7
	v_cmp_lt_i32_e32 vcc, v12, v9
	s_waitcnt lgkmcnt(0)
	v_max_f32_e32 v8, v8, v8
	v_max_f32_e32 v8, v7, v8
	v_cndmask_b32_e32 v7, v4, v12, vcc
	v_lshlrev_b32_e32 v21, 2, v7
	ds_bpermute_b32 v12, v21, v8
	v_cmp_eq_u32_e32 vcc, 0, v20
	v_lshlrev_b32_e32 v7, 2, v26
	s_and_saveexec_b64 s[0:1], vcc
	s_cbranch_execz .LBB353_86
; %bb.85:
	s_waitcnt lgkmcnt(0)
	v_max_f32_e32 v12, v12, v12
	v_max_f32_e32 v8, v8, v8
	;; [unrolled: 1-line block ×3, first 2 shown]
	ds_write_b32 v7, v8 offset:64
.LBB353_86:
	s_or_b64 exec, exec, s[0:1]
	v_cmp_gt_u32_e64 s[0:1], 2, v20
	s_waitcnt lgkmcnt(0)
	v_mov_b32_e32 v12, 0xff7fffff
	v_lshlrev_b32_e32 v8, 2, v20
	s_barrier
	s_and_saveexec_b64 s[6:7], s[0:1]
	s_cbranch_execz .LBB353_88
; %bb.87:
	ds_read_b32 v12, v8 offset:64
.LBB353_88:
	s_or_b64 exec, exec, s[6:7]
	v_xor_b32_e32 v13, 1, v4
	v_cmp_lt_i32_e64 s[6:7], v13, v9
	s_sub_i32 s3, s20, s52
	s_lshl_b32 s3, s3, 5
	v_cndmask_b32_e64 v9, v4, v13, s[6:7]
	v_lshlrev_b32_e32 v22, 2, v9
	s_waitcnt lgkmcnt(0)
	ds_bpermute_b32 v9, v22, v12
	v_max_f32_e32 v12, v12, v12
	v_lshlrev_b32_e32 v4, 2, v4
	s_add_i32 s3, s3, s5
	s_min_i32 s43, s3, s33
	s_waitcnt lgkmcnt(0)
	v_max_f32_e32 v9, v9, v9
	v_max_f32_e32 v12, v12, v9
	v_and_b32_e32 v9, 0x100, v4
	ds_bpermute_b32 v4, v9, v12
	s_sub_i32 s3, s43, s5
	v_cmp_gt_i32_e64 s[6:7], s3, v0
	v_mov_b32_e32 v12, 0
	s_and_saveexec_b64 s[12:13], s[6:7]
	s_cbranch_execz .LBB353_92
; %bb.89:
	v_mov_b32_e32 v12, 0x50
	v_lshl_add_u32 v13, v0, 2, v12
	s_mov_b64 s[18:19], 0
	v_mov_b32_e32 v12, 0
	v_mov_b32_e32 v14, v0
.LBB353_90:                             ; =>This Inner Loop Header: Depth=1
	ds_read_b32 v15, v13
	v_add_u32_e32 v14, 0x80, v14
	v_cmp_le_i32_e64 s[10:11], s3, v14
	s_or_b64 s[18:19], s[10:11], s[18:19]
	s_waitcnt lgkmcnt(0)
	v_sub_f32_e32 v15, v15, v4
	v_mul_f32_e32 v15, 0x3fb8aa3b, v15
	v_exp_f32_e32 v15, v15
	ds_write_b32 v13, v15
	v_add_f32_e32 v12, v12, v15
	v_add_u32_e32 v13, 0x200, v13
	s_andn2_b64 exec, exec, s[18:19]
	s_cbranch_execnz .LBB353_90
; %bb.91:
	s_or_b64 exec, exec, s[18:19]
.LBB353_92:
	s_or_b64 exec, exec, s[12:13]
	ds_bpermute_b32 v2, v2, v12
	s_waitcnt lgkmcnt(0)
	v_add_f32_e32 v2, v12, v2
	ds_bpermute_b32 v3, v3, v2
	s_waitcnt lgkmcnt(0)
	v_add_f32_e32 v2, v2, v3
	;; [unrolled: 3-line block ×6, first 2 shown]
	s_and_saveexec_b64 s[10:11], vcc
	s_cbranch_execz .LBB353_94
; %bb.93:
	ds_write_b32 v7, v2 offset:72
.LBB353_94:
	s_or_b64 exec, exec, s[10:11]
	s_waitcnt lgkmcnt(0)
	s_barrier
	s_and_saveexec_b64 s[10:11], s[0:1]
	s_cbranch_execz .LBB353_96
; %bb.95:
	ds_read_b32 v2, v8 offset:72
.LBB353_96:
	s_or_b64 exec, exec, s[10:11]
	s_waitcnt lgkmcnt(0)
	ds_bpermute_b32 v3, v22, v2
	s_waitcnt lgkmcnt(0)
	v_add_f32_e32 v2, v2, v3
	ds_bpermute_b32 v5, v9, v2
	s_and_saveexec_b64 s[0:1], s[6:7]
	s_cbranch_execz .LBB353_109
; %bb.97:
	s_waitcnt lgkmcnt(0)
	v_add_f32_e32 v2, 0x358637bd, v5
	v_div_scale_f32 v3, s[6:7], v2, v2, 1.0
	v_rcp_f32_e32 v6, v3
	v_div_scale_f32 v7, vcc, 1.0, v2, 1.0
	s_mov_b64 s[10:11], -1
	v_fma_f32 v8, -v3, v6, 1.0
	v_fmac_f32_e32 v6, v8, v6
	v_mul_f32_e32 v8, v7, v6
	v_fma_f32 v9, -v3, v8, v7
	v_fmac_f32_e32 v8, v9, v6
	v_fma_f32 v3, -v3, v8, v7
	v_div_fmas_f32 v3, v3, v6, v8
	v_div_fixup_f32 v2, v3, v2, 1.0
	v_xad_u32 v3, v0, -1, s43
	v_subrev_u32_e32 v6, s5, v3
	s_movk_i32 s5, 0x7f
	v_cmp_lt_u32_e32 vcc, s5, v6
	v_mov_b32_e32 v3, v0
	s_and_saveexec_b64 s[6:7], vcc
	s_cbranch_execz .LBB353_106
; %bb.98:
	v_lshrrev_b32_e32 v6, 7, v6
	v_add_u32_e32 v8, -1, v6
	v_lshrrev_b32_e32 v7, 1, v8
	v_mov_b32_e32 v3, v2
	v_add_u32_e32 v7, 1, v7
	v_cmp_lt_u32_e32 vcc, 13, v8
	v_mov_b32_e32 v12, 0
	s_and_saveexec_b64 s[10:11], vcc
	s_cbranch_execz .LBB353_102
; %bb.99:
	v_mov_b32_e32 v9, 0x50
	v_and_b32_e32 v8, -8, v7
	v_lshl_add_u32 v9, v0, 2, v9
	s_mov_b32 s5, 0
	s_mov_b64 s[12:13], 0
.LBB353_100:                            ; =>This Inner Loop Header: Depth=1
	ds_read2st64_b32 v[12:13], v9 offset1:2
	ds_read2st64_b32 v[14:15], v9 offset0:4 offset1:6
	ds_read2st64_b32 v[16:17], v9 offset0:8 offset1:10
	ds_read2st64_b32 v[18:19], v9 offset0:12 offset1:14
	v_add_u32_e32 v8, -8, v8
	s_waitcnt lgkmcnt(3)
	v_pk_mul_f32 v[12:13], v[2:3], v[12:13]
	s_waitcnt lgkmcnt(2)
	v_pk_mul_f32 v[14:15], v[2:3], v[14:15]
	ds_write2st64_b32 v9, v12, v13 offset1:2
	ds_write2st64_b32 v9, v14, v15 offset0:4 offset1:6
	ds_read2st64_b32 v[14:15], v9 offset0:16 offset1:18
	s_waitcnt lgkmcnt(4)
	v_pk_mul_f32 v[12:13], v[2:3], v[16:17]
	ds_write2st64_b32 v9, v12, v13 offset0:8 offset1:10
	s_waitcnt lgkmcnt(4)
	v_pk_mul_f32 v[12:13], v[2:3], v[18:19]
	ds_write2st64_b32 v9, v12, v13 offset0:12 offset1:14
	ds_read2st64_b32 v[12:13], v9 offset0:20 offset1:22
	s_waitcnt lgkmcnt(3)
	v_pk_mul_f32 v[14:15], v[2:3], v[14:15]
	ds_read2st64_b32 v[16:17], v9 offset0:24 offset1:26
	ds_write2st64_b32 v9, v14, v15 offset0:16 offset1:18
	ds_read2st64_b32 v[14:15], v9 offset0:28 offset1:30
	s_waitcnt lgkmcnt(3)
	v_pk_mul_f32 v[12:13], v[2:3], v[12:13]
	ds_write2st64_b32 v9, v12, v13 offset0:20 offset1:22
	s_waitcnt lgkmcnt(3)
	v_pk_mul_f32 v[12:13], v[2:3], v[16:17]
	ds_write2st64_b32 v9, v12, v13 offset0:24 offset1:26
	s_waitcnt lgkmcnt(2)
	v_pk_mul_f32 v[12:13], v[2:3], v[14:15]
	s_add_i32 s5, s5, 16
	v_cmp_eq_u32_e32 vcc, 0, v8
	ds_write2st64_b32 v9, v12, v13 offset0:28 offset1:30
	v_add_u32_e32 v9, 0x2000, v9
	s_or_b64 s[12:13], vcc, s[12:13]
	v_mov_b32_e32 v12, s5
	s_andn2_b64 exec, exec, s[12:13]
	s_cbranch_execnz .LBB353_100
; %bb.101:
	s_or_b64 exec, exec, s[12:13]
.LBB353_102:
	s_or_b64 exec, exec, s[10:11]
	v_and_b32_e32 v7, 7, v7
	v_cmp_ne_u32_e32 vcc, 0, v7
	s_and_saveexec_b64 s[10:11], vcc
	s_cbranch_execz .LBB353_105
; %bb.103:
	v_lshlrev_b32_e32 v8, 9, v12
	v_lshlrev_b32_e32 v9, 2, v0
	s_movk_i32 s5, 0x50
	v_add3_u32 v8, v8, v9, s5
	s_mov_b64 s[12:13], 0
.LBB353_104:                            ; =>This Inner Loop Header: Depth=1
	ds_read2st64_b32 v[12:13], v8 offset1:2
	v_add_u32_e32 v7, -1, v7
	v_cmp_eq_u32_e32 vcc, 0, v7
	s_or_b64 s[12:13], vcc, s[12:13]
	s_waitcnt lgkmcnt(0)
	v_pk_mul_f32 v[12:13], v[2:3], v[12:13]
	ds_write2st64_b32 v8, v12, v13 offset1:2
	v_add_u32_e32 v8, 0x400, v8
	s_andn2_b64 exec, exec, s[12:13]
	s_cbranch_execnz .LBB353_104
.LBB353_105:
	s_or_b64 exec, exec, s[10:11]
	v_add_u32_e32 v6, 1, v6
	v_and_b32_e32 v7, 0x3fffffe, v6
	v_cmp_ne_u32_e32 vcc, v6, v7
	v_lshl_add_u32 v3, v7, 7, v0
	s_orn2_b64 s[10:11], vcc, exec
.LBB353_106:
	s_or_b64 exec, exec, s[6:7]
	s_and_b64 exec, exec, s[10:11]
	s_cbranch_execz .LBB353_109
; %bb.107:
	v_mov_b32_e32 v6, 0x50
	v_lshl_add_u32 v6, v3, 2, v6
	s_mov_b64 s[6:7], 0
.LBB353_108:                            ; =>This Inner Loop Header: Depth=1
	ds_read_b32 v7, v6
	v_add_u32_e32 v3, 0x80, v3
	v_cmp_le_i32_e32 vcc, s3, v3
	s_or_b64 s[6:7], vcc, s[6:7]
	s_waitcnt lgkmcnt(0)
	v_mul_f32_e32 v7, v2, v7
	ds_write_b32 v6, v7
	v_add_u32_e32 v6, 0x200, v6
	s_andn2_b64 exec, exec, s[6:7]
	s_cbranch_execnz .LBB353_108
.LBB353_109:
	s_or_b64 exec, exec, s[0:1]
	v_cmp_eq_u32_e32 vcc, 0, v0
	s_waitcnt lgkmcnt(0)
	s_barrier
	s_and_saveexec_b64 s[0:1], vcc
	s_cbranch_execz .LBB353_111
; %bb.110:
	s_mul_i32 s3, s16, s28
	s_mul_i32 s6, s3, s29
	s_ashr_i32 s7, s6, 31
	s_lshl_b64 s[6:7], s[6:7], 2
	s_add_u32 s5, s26, s6
	s_mul_i32 s2, s16, s2
	s_addc_u32 s10, s27, s7
	s_ashr_i32 s3, s2, 31
	s_lshl_b64 s[2:3], s[2:3], 2
	s_add_u32 s12, s5, s2
	s_addc_u32 s13, s10, s3
	s_ashr_i32 s5, s4, 31
	s_lshl_b64 s[10:11], s[4:5], 2
	s_add_u32 s12, s12, s10
	s_addc_u32 s13, s13, s11
	s_add_u32 s5, s24, s6
	s_addc_u32 s6, s25, s7
	;; [unrolled: 2-line block ×3, first 2 shown]
	s_add_u32 s2, s2, s10
	v_mov_b32_e32 v2, 0
	s_addc_u32 s3, s3, s11
	global_store_dword v2, v4, s[12:13]
	global_store_dword v2, v5, s[2:3]
.LBB353_111:
	s_or_b64 exec, exec, s[0:1]
	v_mov_b32_e32 v17, 0
	v_and_b32_e32 v23, 3, v0
	v_mov_b32_e32 v16, v17
	s_and_saveexec_b64 s[2:3], s[8:9]
	s_cbranch_execz .LBB353_281
; %bb.112:
	s_sub_i32 s5, s50, s21
	s_ashr_i32 s1, s51, 31
	s_add_u32 s0, s40, s51
	s_addc_u32 s1, s41, s1
	s_abs_i32 s12, s22
	v_cvt_f32_u32_e32 v2, s12
	s_sub_i32 s6, 0, s12
	v_and_b32_e32 v12, 0x1f8, v25
	v_mov_b32_e32 v13, 0
	v_rcp_iflag_f32_e32 v2, v2
	s_mov_b32 s13, s17
	s_add_i32 s17, s49, -1
	v_lshl_add_u64 v[14:15], s[0:1], 0, v[12:13]
	v_mul_f32_e32 v2, 0x4f7ffffe, v2
	v_cvt_u32_f32_e32 v2, v2
	s_lshl_b64 s[0:1], s[38:39], 2
	s_add_u32 s0, s36, s0
	s_addc_u32 s1, s37, s1
	v_mul_lo_u32 v3, s6, v2
	v_mul_hi_u32 v3, v2, v3
	v_add_u32_e32 v12, v2, v3
	v_lshlrev_b32_e32 v2, 5, v23
	v_lshl_or_b32 v2, v26, 7, v2
	v_and_b32_e32 v24, 24, v25
	v_lshl_add_u64 v[18:19], v[10:11], 2, s[0:1]
	v_add_u32_e32 v11, 0x50, v2
	s_mov_b64 s[6:7], 0
	s_mov_b32 s18, 0x7f800000
	s_movk_i32 s19, 0x7fff
	v_mov_b32_e32 v16, 0
	v_mov_b32_e32 v17, v13
	s_branch .LBB353_115
.LBB353_113:                            ;   in Loop: Header=BB353_115 Depth=1
	s_or_b64 exec, exec, s[0:1]
	v_and_b32_e32 v33, 0xffff0000, v34
	v_and_b32_e32 v35, 0xffff0000, v7
	;; [unrolled: 1-line block ×5, first 2 shown]
	v_pk_add_f32 v[4:5], v[4:5], v[34:35]
	v_and_b32_e32 v32, 0xffff0000, v9
	v_and_b32_e32 v9, 0xffff0000, v25
	;; [unrolled: 1-line block ×3, first 2 shown]
	v_mov_b32_e32 v6, v5
	v_pk_add_f32 v[4:5], v[4:5], v[6:7]
	v_pk_add_f32 v[6:7], v[8:9], v[32:33]
	v_and_b32_e32 v8, 0xffff0000, v29
	v_pk_add_f32 v[4:5], v[4:5], v[6:7]
	v_mov_b32_e32 v6, v7
	v_pk_add_f32 v[4:5], v[4:5], v[6:7]
	v_and_b32_e32 v7, 0xffff0000, v3
	v_and_b32_e32 v29, 0xffff0000, v28
	;; [unrolled: 1-line block ×5, first 2 shown]
	v_pk_add_f32 v[2:3], v[2:3], v[28:29]
	v_and_b32_e32 v6, 0xffff0000, v30
	v_and_b32_e32 v9, 0xffff0000, v31
	v_mov_b32_e32 v26, v3
	v_pk_add_f32 v[2:3], v[2:3], v[26:27]
	v_pk_add_f32 v[6:7], v[8:9], v[6:7]
	;; [unrolled: 1-line block ×4, first 2 shown]
	v_mov_b32_e32 v6, v7
	v_pk_add_f32 v[2:3], v[2:3], v[6:7]
	s_nop 0
	v_mov_b32_e32 v3, v2
	v_pk_add_f32 v[2:3], v[16:17], v[2:3]
	s_nop 0
	v_mov_b32_e32 v5, v3
	v_mov_b64_e32 v[16:17], v[4:5]
.LBB353_114:                            ;   in Loop: Header=BB353_115 Depth=1
	s_or_b64 exec, exec, s[8:9]
	v_add_u32_e32 v10, 2, v10
	v_cmp_le_i32_e32 vcc, s20, v10
	v_lshl_add_u64 v[18:19], v[18:19], 0, 8
	v_add_u32_e32 v1, 64, v1
	s_or_b64 s[6:7], vcc, s[6:7]
	v_add_u32_e32 v11, 0x100, v11
	s_andn2_b64 exec, exec, s[6:7]
	s_cbranch_execz .LBB353_280
.LBB353_115:                            ; =>This Inner Loop Header: Depth=1
	v_sub_u32_e32 v3, 0, v1
	v_max_i32_e32 v3, v1, v3
	v_mul_hi_u32 v4, v3, s48
	v_mul_lo_u32 v5, v4, s31
	v_sub_u32_e32 v3, v3, v5
	v_add_u32_e32 v5, 1, v4
	v_cmp_le_u32_e32 vcc, s31, v3
	v_ashrrev_i32_e32 v2, 31, v1
	v_xor_b32_e32 v2, s23, v2
	v_cndmask_b32_e32 v4, v4, v5, vcc
	v_subrev_u32_e32 v5, s31, v3
	v_cndmask_b32_e32 v3, v3, v5, vcc
	v_add_u32_e32 v5, 1, v4
	v_cmp_le_u32_e32 vcc, s31, v3
	s_nop 1
	v_cndmask_b32_e32 v3, v4, v5, vcc
	v_xor_b32_e32 v3, v3, v2
	v_sub_u32_e32 v2, v3, v2
	v_add_u32_e32 v3, s42, v2
	v_sub_u32_e32 v5, 0, v3
	v_ashrrev_i32_e32 v4, 31, v3
	v_max_i32_e32 v3, v3, v5
	v_mul_hi_u32 v5, v3, v12
	v_mul_lo_u32 v5, v5, s12
	v_sub_u32_e32 v3, v3, v5
	v_subrev_u32_e32 v5, s12, v3
	v_cmp_le_u32_e32 vcc, s12, v3
	v_cmp_lt_i32_e64 s[0:1], s5, v2
	s_nop 0
	v_cndmask_b32_e32 v3, v3, v5, vcc
	v_subrev_u32_e32 v5, s12, v3
	v_cmp_le_u32_e32 vcc, s12, v3
	s_nop 1
	v_cndmask_b32_e32 v3, v3, v5, vcc
	v_xor_b32_e32 v3, v3, v4
	v_sub_u32_e32 v3, v3, v4
	v_cmp_eq_u32_e32 vcc, 0, v3
	s_or_b64 s[0:1], vcc, s[0:1]
	s_and_saveexec_b64 s[8:9], s[0:1]
	s_cbranch_execz .LBB353_114
; %bb.116:                              ;   in Loop: Header=BB353_115 Depth=1
	global_load_dword v26, v[18:19], off
	ds_read2_b64 v[6:9], v11 offset1:1
	ds_read2_b64 v[2:5], v11 offset0:2 offset1:3
                                        ; implicit-def: $vgpr35
	s_waitcnt lgkmcnt(1)
	v_and_b32_e32 v25, 0x7f800000, v6
	v_cmp_ne_u32_e32 vcc, s18, v25
	s_and_saveexec_b64 s[0:1], vcc
	s_xor_b64 s[0:1], exec, s[0:1]
; %bb.117:                              ;   in Loop: Header=BB353_115 Depth=1
	v_bfe_u32 v25, v6, 16, 1
	v_add3_u32 v35, v6, v25, s19
; %bb.118:                              ;   in Loop: Header=BB353_115 Depth=1
	s_andn2_saveexec_b64 s[0:1], s[0:1]
; %bb.119:                              ;   in Loop: Header=BB353_115 Depth=1
	v_or_b32_e32 v25, 0x10000, v6
	v_cmp_eq_u32_sdwa vcc, v6, v13 src0_sel:WORD_0 src1_sel:DWORD
	s_nop 1
	v_cndmask_b32_e32 v35, v25, v6, vcc
; %bb.120:                              ;   in Loop: Header=BB353_115 Depth=1
	s_or_b64 exec, exec, s[0:1]
	v_and_b32_e32 v6, 0x7f800000, v7
	v_cmp_ne_u32_e32 vcc, s18, v6
                                        ; implicit-def: $vgpr36
	s_and_saveexec_b64 s[0:1], vcc
	s_xor_b64 s[0:1], exec, s[0:1]
; %bb.121:                              ;   in Loop: Header=BB353_115 Depth=1
	v_bfe_u32 v6, v7, 16, 1
	v_add3_u32 v36, v7, v6, s19
; %bb.122:                              ;   in Loop: Header=BB353_115 Depth=1
	s_andn2_saveexec_b64 s[0:1], s[0:1]
; %bb.123:                              ;   in Loop: Header=BB353_115 Depth=1
	v_or_b32_e32 v6, 0x10000, v7
	v_cmp_eq_u32_sdwa vcc, v7, v13 src0_sel:WORD_0 src1_sel:DWORD
	s_nop 1
	v_cndmask_b32_e32 v36, v6, v7, vcc
; %bb.124:                              ;   in Loop: Header=BB353_115 Depth=1
	s_or_b64 exec, exec, s[0:1]
	v_and_b32_e32 v6, 0x7f800000, v8
	v_cmp_ne_u32_e32 vcc, s18, v6
                                        ; implicit-def: $vgpr37
	s_and_saveexec_b64 s[0:1], vcc
	s_xor_b64 s[0:1], exec, s[0:1]
; %bb.125:                              ;   in Loop: Header=BB353_115 Depth=1
	v_bfe_u32 v6, v8, 16, 1
	v_add3_u32 v37, v8, v6, s19
; %bb.126:                              ;   in Loop: Header=BB353_115 Depth=1
	s_andn2_saveexec_b64 s[0:1], s[0:1]
; %bb.127:                              ;   in Loop: Header=BB353_115 Depth=1
	v_or_b32_e32 v6, 0x10000, v8
	v_cmp_eq_u32_sdwa vcc, v8, v13 src0_sel:WORD_0 src1_sel:DWORD
	s_nop 1
	v_cndmask_b32_e32 v37, v6, v8, vcc
; %bb.128:                              ;   in Loop: Header=BB353_115 Depth=1
	s_or_b64 exec, exec, s[0:1]
	v_and_b32_e32 v6, 0x7f800000, v9
	v_cmp_ne_u32_e32 vcc, s18, v6
                                        ; implicit-def: $vgpr38
	s_and_saveexec_b64 s[0:1], vcc
	s_xor_b64 s[0:1], exec, s[0:1]
; %bb.129:                              ;   in Loop: Header=BB353_115 Depth=1
	v_bfe_u32 v6, v9, 16, 1
	v_add3_u32 v38, v9, v6, s19
                                        ; implicit-def: $vgpr6_vgpr7_vgpr8_vgpr9
; %bb.130:                              ;   in Loop: Header=BB353_115 Depth=1
	s_andn2_saveexec_b64 s[0:1], s[0:1]
; %bb.131:                              ;   in Loop: Header=BB353_115 Depth=1
	v_or_b32_e32 v6, 0x10000, v9
	v_cmp_eq_u32_sdwa vcc, v9, v13 src0_sel:WORD_0 src1_sel:DWORD
	s_nop 1
	v_cndmask_b32_e32 v38, v6, v9, vcc
; %bb.132:                              ;   in Loop: Header=BB353_115 Depth=1
	s_or_b64 exec, exec, s[0:1]
	s_waitcnt lgkmcnt(0)
	v_and_b32_e32 v6, 0x7f800000, v2
	v_cmp_ne_u32_e32 vcc, s18, v6
                                        ; implicit-def: $vgpr8
	s_and_saveexec_b64 s[0:1], vcc
	s_xor_b64 s[0:1], exec, s[0:1]
; %bb.133:                              ;   in Loop: Header=BB353_115 Depth=1
	v_bfe_u32 v6, v2, 16, 1
	v_add3_u32 v8, v2, v6, s19
; %bb.134:                              ;   in Loop: Header=BB353_115 Depth=1
	s_andn2_saveexec_b64 s[0:1], s[0:1]
; %bb.135:                              ;   in Loop: Header=BB353_115 Depth=1
	v_or_b32_e32 v6, 0x10000, v2
	v_cmp_eq_u32_sdwa vcc, v2, v13 src0_sel:WORD_0 src1_sel:DWORD
	s_nop 1
	v_cndmask_b32_e32 v8, v6, v2, vcc
; %bb.136:                              ;   in Loop: Header=BB353_115 Depth=1
	s_or_b64 exec, exec, s[0:1]
	v_and_b32_e32 v2, 0x7f800000, v3
	v_cmp_ne_u32_e32 vcc, s18, v2
                                        ; implicit-def: $vgpr9
	s_and_saveexec_b64 s[0:1], vcc
	s_xor_b64 s[0:1], exec, s[0:1]
; %bb.137:                              ;   in Loop: Header=BB353_115 Depth=1
	v_bfe_u32 v2, v3, 16, 1
	v_add3_u32 v9, v3, v2, s19
; %bb.138:                              ;   in Loop: Header=BB353_115 Depth=1
	s_andn2_saveexec_b64 s[0:1], s[0:1]
; %bb.139:                              ;   in Loop: Header=BB353_115 Depth=1
	v_or_b32_e32 v2, 0x10000, v3
	v_cmp_eq_u32_sdwa vcc, v3, v13 src0_sel:WORD_0 src1_sel:DWORD
	s_nop 1
	v_cndmask_b32_e32 v9, v2, v3, vcc
; %bb.140:                              ;   in Loop: Header=BB353_115 Depth=1
	s_or_b64 exec, exec, s[0:1]
	v_and_b32_e32 v2, 0x7f800000, v4
	v_cmp_ne_u32_e32 vcc, s18, v2
                                        ; implicit-def: $vgpr25
	s_and_saveexec_b64 s[0:1], vcc
	s_xor_b64 s[0:1], exec, s[0:1]
; %bb.141:                              ;   in Loop: Header=BB353_115 Depth=1
	v_bfe_u32 v2, v4, 16, 1
	v_add3_u32 v25, v4, v2, s19
; %bb.142:                              ;   in Loop: Header=BB353_115 Depth=1
	s_andn2_saveexec_b64 s[0:1], s[0:1]
; %bb.143:                              ;   in Loop: Header=BB353_115 Depth=1
	v_or_b32_e32 v2, 0x10000, v4
	v_cmp_eq_u32_sdwa vcc, v4, v13 src0_sel:WORD_0 src1_sel:DWORD
	s_nop 1
	v_cndmask_b32_e32 v25, v2, v4, vcc
; %bb.144:                              ;   in Loop: Header=BB353_115 Depth=1
	s_or_b64 exec, exec, s[0:1]
	v_and_b32_e32 v2, 0x7f800000, v5
	v_cmp_ne_u32_e32 vcc, s18, v2
                                        ; implicit-def: $vgpr34
	s_and_saveexec_b64 s[0:1], vcc
	s_xor_b64 s[0:1], exec, s[0:1]
; %bb.145:                              ;   in Loop: Header=BB353_115 Depth=1
	v_bfe_u32 v2, v5, 16, 1
	v_add3_u32 v34, v5, v2, s19
                                        ; implicit-def: $vgpr2_vgpr3_vgpr4_vgpr5
; %bb.146:                              ;   in Loop: Header=BB353_115 Depth=1
	s_andn2_saveexec_b64 s[0:1], s[0:1]
; %bb.147:                              ;   in Loop: Header=BB353_115 Depth=1
	v_or_b32_e32 v2, 0x10000, v5
	v_cmp_eq_u32_sdwa vcc, v5, v13 src0_sel:WORD_0 src1_sel:DWORD
	s_nop 1
	v_cndmask_b32_e32 v34, v2, v5, vcc
; %bb.148:                              ;   in Loop: Header=BB353_115 Depth=1
	s_or_b64 exec, exec, s[0:1]
	s_waitcnt vmcnt(0)
	v_mad_i64_i32 v[2:3], s[0:1], v26, s13, v[14:15]
	global_load_dwordx2 v[4:5], v[2:3], off
	s_load_dword s21, s[14:15], 0x0
	s_waitcnt vmcnt(0)
	v_and_b32_e32 v6, 0xff, v4
	v_cvt_f32_fp8_sdwa v6, v6 src0_sel:BYTE_0
	s_waitcnt lgkmcnt(0)
	v_mul_f32_e32 v7, s21, v6
	v_and_b32_e32 v6, 0x7f800000, v7
	v_cmp_ne_u32_e32 vcc, s18, v6
                                        ; implicit-def: $vgpr6
	s_and_saveexec_b64 s[0:1], vcc
	s_xor_b64 s[0:1], exec, s[0:1]
; %bb.149:                              ;   in Loop: Header=BB353_115 Depth=1
	v_bfe_u32 v6, v7, 16, 1
	v_add3_u32 v6, v7, v6, s19
                                        ; implicit-def: $vgpr7
; %bb.150:                              ;   in Loop: Header=BB353_115 Depth=1
	s_andn2_saveexec_b64 s[0:1], s[0:1]
; %bb.151:                              ;   in Loop: Header=BB353_115 Depth=1
	v_or_b32_e32 v6, 0x10000, v7
	v_cmp_eq_u32_sdwa vcc, v7, v13 src0_sel:WORD_0 src1_sel:DWORD
	s_nop 1
	v_cndmask_b32_e32 v6, v6, v7, vcc
; %bb.152:                              ;   in Loop: Header=BB353_115 Depth=1
	s_or_b64 exec, exec, s[0:1]
	v_bfe_u32 v7, v4, 8, 8
	v_cvt_f32_fp8_sdwa v7, v7 src0_sel:BYTE_0
	s_nop 0
	v_mul_f32_e32 v26, s21, v7
	v_and_b32_e32 v7, 0x7f800000, v26
	v_cmp_ne_u32_e32 vcc, s18, v7
                                        ; implicit-def: $vgpr7
	s_and_saveexec_b64 s[0:1], vcc
	s_xor_b64 s[0:1], exec, s[0:1]
; %bb.153:                              ;   in Loop: Header=BB353_115 Depth=1
	v_bfe_u32 v7, v26, 16, 1
	v_add3_u32 v7, v26, v7, s19
                                        ; implicit-def: $vgpr26
; %bb.154:                              ;   in Loop: Header=BB353_115 Depth=1
	s_andn2_saveexec_b64 s[0:1], s[0:1]
; %bb.155:                              ;   in Loop: Header=BB353_115 Depth=1
	v_or_b32_e32 v7, 0x10000, v26
	v_cmp_eq_u32_sdwa vcc, v26, v13 src0_sel:WORD_0 src1_sel:DWORD
	s_nop 1
	v_cndmask_b32_e32 v7, v7, v26, vcc
; %bb.156:                              ;   in Loop: Header=BB353_115 Depth=1
	s_or_b64 exec, exec, s[0:1]
	v_bfe_u32 v26, v4, 16, 8
	v_cvt_f32_fp8_sdwa v26, v26 src0_sel:BYTE_0
	s_nop 0
	v_mul_f32_e32 v26, s21, v26
	v_and_b32_e32 v27, 0x7f800000, v26
	v_cmp_ne_u32_e32 vcc, s18, v27
                                        ; implicit-def: $vgpr27
	s_and_saveexec_b64 s[0:1], vcc
	s_xor_b64 s[0:1], exec, s[0:1]
; %bb.157:                              ;   in Loop: Header=BB353_115 Depth=1
	v_bfe_u32 v27, v26, 16, 1
	v_add3_u32 v27, v26, v27, s19
                                        ; implicit-def: $vgpr26
; %bb.158:                              ;   in Loop: Header=BB353_115 Depth=1
	s_andn2_saveexec_b64 s[0:1], s[0:1]
; %bb.159:                              ;   in Loop: Header=BB353_115 Depth=1
	v_or_b32_e32 v27, 0x10000, v26
	v_cmp_eq_u32_sdwa vcc, v26, v13 src0_sel:WORD_0 src1_sel:DWORD
	s_nop 1
	v_cndmask_b32_e32 v27, v27, v26, vcc
; %bb.160:                              ;   in Loop: Header=BB353_115 Depth=1
	s_or_b64 exec, exec, s[0:1]
	v_lshrrev_b32_e32 v4, 24, v4
	v_cvt_f32_fp8_sdwa v4, v4 src0_sel:BYTE_0
	s_nop 0
	v_mul_f32_e32 v26, s21, v4
	v_and_b32_e32 v4, 0x7f800000, v26
	v_cmp_ne_u32_e32 vcc, s18, v4
                                        ; implicit-def: $vgpr4
	s_and_saveexec_b64 s[0:1], vcc
	s_xor_b64 s[0:1], exec, s[0:1]
; %bb.161:                              ;   in Loop: Header=BB353_115 Depth=1
	v_bfe_u32 v4, v26, 16, 1
	v_add3_u32 v4, v26, v4, s19
                                        ; implicit-def: $vgpr26
; %bb.162:                              ;   in Loop: Header=BB353_115 Depth=1
	s_andn2_saveexec_b64 s[0:1], s[0:1]
; %bb.163:                              ;   in Loop: Header=BB353_115 Depth=1
	v_or_b32_e32 v4, 0x10000, v26
	v_cmp_eq_u32_sdwa vcc, v26, v13 src0_sel:WORD_0 src1_sel:DWORD
	s_nop 1
	v_cndmask_b32_e32 v4, v4, v26, vcc
; %bb.164:                              ;   in Loop: Header=BB353_115 Depth=1
	s_or_b64 exec, exec, s[0:1]
	v_and_b32_e32 v26, 0xff, v5
	v_cvt_f32_fp8_sdwa v26, v26 src0_sel:BYTE_0
	s_nop 0
	v_mul_f32_e32 v26, s21, v26
	v_and_b32_e32 v28, 0x7f800000, v26
	v_cmp_ne_u32_e32 vcc, s18, v28
                                        ; implicit-def: $vgpr28
	s_and_saveexec_b64 s[0:1], vcc
	s_xor_b64 s[0:1], exec, s[0:1]
; %bb.165:                              ;   in Loop: Header=BB353_115 Depth=1
	v_bfe_u32 v28, v26, 16, 1
	v_add3_u32 v28, v26, v28, s19
                                        ; implicit-def: $vgpr26
; %bb.166:                              ;   in Loop: Header=BB353_115 Depth=1
	s_andn2_saveexec_b64 s[0:1], s[0:1]
; %bb.167:                              ;   in Loop: Header=BB353_115 Depth=1
	v_or_b32_e32 v28, 0x10000, v26
	v_cmp_eq_u32_sdwa vcc, v26, v13 src0_sel:WORD_0 src1_sel:DWORD
	s_nop 1
	v_cndmask_b32_e32 v28, v28, v26, vcc
; %bb.168:                              ;   in Loop: Header=BB353_115 Depth=1
	s_or_b64 exec, exec, s[0:1]
	v_bfe_u32 v26, v5, 8, 8
	v_cvt_f32_fp8_sdwa v26, v26 src0_sel:BYTE_0
	s_nop 0
	v_mul_f32_e32 v26, s21, v26
	v_and_b32_e32 v29, 0x7f800000, v26
	v_cmp_ne_u32_e32 vcc, s18, v29
                                        ; implicit-def: $vgpr29
	s_and_saveexec_b64 s[0:1], vcc
	s_xor_b64 s[0:1], exec, s[0:1]
; %bb.169:                              ;   in Loop: Header=BB353_115 Depth=1
	v_bfe_u32 v29, v26, 16, 1
	v_add3_u32 v29, v26, v29, s19
                                        ; implicit-def: $vgpr26
; %bb.170:                              ;   in Loop: Header=BB353_115 Depth=1
	s_andn2_saveexec_b64 s[0:1], s[0:1]
; %bb.171:                              ;   in Loop: Header=BB353_115 Depth=1
	v_or_b32_e32 v29, 0x10000, v26
	v_cmp_eq_u32_sdwa vcc, v26, v13 src0_sel:WORD_0 src1_sel:DWORD
	s_nop 1
	v_cndmask_b32_e32 v29, v29, v26, vcc
; %bb.172:                              ;   in Loop: Header=BB353_115 Depth=1
	s_or_b64 exec, exec, s[0:1]
	v_bfe_u32 v26, v5, 16, 8
	v_cvt_f32_fp8_sdwa v26, v26 src0_sel:BYTE_0
	s_nop 0
	v_mul_f32_e32 v26, s21, v26
	v_and_b32_e32 v30, 0x7f800000, v26
	v_cmp_ne_u32_e32 vcc, s18, v30
                                        ; implicit-def: $vgpr30
	s_and_saveexec_b64 s[0:1], vcc
	s_xor_b64 s[0:1], exec, s[0:1]
; %bb.173:                              ;   in Loop: Header=BB353_115 Depth=1
	v_bfe_u32 v30, v26, 16, 1
	v_add3_u32 v30, v26, v30, s19
                                        ; implicit-def: $vgpr26
; %bb.174:                              ;   in Loop: Header=BB353_115 Depth=1
	s_andn2_saveexec_b64 s[0:1], s[0:1]
; %bb.175:                              ;   in Loop: Header=BB353_115 Depth=1
	v_or_b32_e32 v30, 0x10000, v26
	v_cmp_eq_u32_sdwa vcc, v26, v13 src0_sel:WORD_0 src1_sel:DWORD
	s_nop 1
	v_cndmask_b32_e32 v30, v30, v26, vcc
; %bb.176:                              ;   in Loop: Header=BB353_115 Depth=1
	s_or_b64 exec, exec, s[0:1]
	v_lshrrev_b32_e32 v5, 24, v5
	v_cvt_f32_fp8_sdwa v5, v5 src0_sel:BYTE_0
                                        ; implicit-def: $vgpr31
	s_nop 0
	v_mul_f32_e32 v5, s21, v5
	v_and_b32_e32 v26, 0x7f800000, v5
	v_cmp_ne_u32_e32 vcc, s18, v26
	s_and_saveexec_b64 s[0:1], vcc
	s_xor_b64 s[0:1], exec, s[0:1]
; %bb.177:                              ;   in Loop: Header=BB353_115 Depth=1
	v_bfe_u32 v26, v5, 16, 1
	v_add3_u32 v31, v5, v26, s19
                                        ; implicit-def: $vgpr5
; %bb.178:                              ;   in Loop: Header=BB353_115 Depth=1
	s_andn2_saveexec_b64 s[0:1], s[0:1]
; %bb.179:                              ;   in Loop: Header=BB353_115 Depth=1
	v_or_b32_e32 v26, 0x10000, v5
	v_cmp_eq_u32_sdwa vcc, v5, v13 src0_sel:WORD_0 src1_sel:DWORD
	s_nop 1
	v_cndmask_b32_e32 v31, v26, v5, vcc
; %bb.180:                              ;   in Loop: Header=BB353_115 Depth=1
	s_or_b64 exec, exec, s[0:1]
	v_add_u32_e32 v26, v24, v1
	v_cmp_eq_u32_e32 vcc, s17, v10
	v_lshrrev_b32_e32 v41, 16, v29
	v_lshrrev_b32_e32 v40, 16, v28
	;; [unrolled: 1-line block ×8, first 2 shown]
	v_add_u32_e32 v33, 1, v26
	v_add_u32_e32 v32, 2, v26
	;; [unrolled: 1-line block ×7, first 2 shown]
	s_and_saveexec_b64 s[10:11], vcc
	s_cbranch_execz .LBB353_182
; %bb.181:                              ;   in Loop: Header=BB353_115 Depth=1
	v_cmp_gt_i32_e64 s[0:1], s33, v26
	s_nop 1
	v_cndmask_b32_e64 v4, 0, v4, s[0:1]
	v_cmp_gt_i32_e64 s[0:1], s33, v33
	s_nop 1
	v_cndmask_b32_e64 v5, 0, v5, s[0:1]
	;; [unrolled: 3-line block ×8, first 2 shown]
.LBB353_182:                            ;   in Loop: Header=BB353_115 Depth=1
	s_or_b64 exec, exec, s[10:11]
	v_and_b32_e32 v35, 0xffff0000, v35
	v_lshlrev_b32_e32 v4, 16, v4
	v_mul_f32_e32 v6, v35, v4
	v_and_b32_e32 v4, 0x7f800000, v6
	v_cmp_ne_u32_e64 s[0:1], s18, v4
                                        ; implicit-def: $vgpr4
	s_and_saveexec_b64 s[10:11], s[0:1]
	s_xor_b64 s[0:1], exec, s[10:11]
; %bb.183:                              ;   in Loop: Header=BB353_115 Depth=1
	v_bfe_u32 v4, v6, 16, 1
	v_add3_u32 v4, v6, v4, s19
                                        ; implicit-def: $vgpr6
; %bb.184:                              ;   in Loop: Header=BB353_115 Depth=1
	s_andn2_saveexec_b64 s[10:11], s[0:1]
; %bb.185:                              ;   in Loop: Header=BB353_115 Depth=1
	v_or_b32_e32 v4, 0x10000, v6
	v_cmp_eq_u32_sdwa s[0:1], v6, v13 src0_sel:WORD_0 src1_sel:DWORD
	s_nop 1
	v_cndmask_b32_e64 v4, v4, v6, s[0:1]
; %bb.186:                              ;   in Loop: Header=BB353_115 Depth=1
	s_or_b64 exec, exec, s[10:11]
	v_and_b32_e32 v36, 0xffff0000, v36
	v_lshlrev_b32_e32 v5, 16, v5
	v_mul_f32_e32 v6, v36, v5
	v_and_b32_e32 v5, 0x7f800000, v6
	v_cmp_ne_u32_e64 s[0:1], s18, v5
                                        ; implicit-def: $vgpr5
	s_and_saveexec_b64 s[10:11], s[0:1]
	s_xor_b64 s[0:1], exec, s[10:11]
; %bb.187:                              ;   in Loop: Header=BB353_115 Depth=1
	v_bfe_u32 v5, v6, 16, 1
	v_add3_u32 v5, v6, v5, s19
                                        ; implicit-def: $vgpr6
; %bb.188:                              ;   in Loop: Header=BB353_115 Depth=1
	s_andn2_saveexec_b64 s[10:11], s[0:1]
; %bb.189:                              ;   in Loop: Header=BB353_115 Depth=1
	v_or_b32_e32 v5, 0x10000, v6
	v_cmp_eq_u32_sdwa s[0:1], v6, v13 src0_sel:WORD_0 src1_sel:DWORD
	s_nop 1
	v_cndmask_b32_e64 v5, v5, v6, s[0:1]
; %bb.190:                              ;   in Loop: Header=BB353_115 Depth=1
	s_or_b64 exec, exec, s[10:11]
	v_and_b32_e32 v37, 0xffff0000, v37
	v_lshlrev_b32_e32 v6, 16, v44
	v_mul_f32_e32 v7, v37, v6
	v_and_b32_e32 v6, 0x7f800000, v7
	v_cmp_ne_u32_e64 s[0:1], s18, v6
                                        ; implicit-def: $vgpr6
	s_and_saveexec_b64 s[10:11], s[0:1]
	s_xor_b64 s[0:1], exec, s[10:11]
; %bb.191:                              ;   in Loop: Header=BB353_115 Depth=1
	v_bfe_u32 v6, v7, 16, 1
	v_add3_u32 v6, v7, v6, s19
                                        ; implicit-def: $vgpr7
; %bb.192:                              ;   in Loop: Header=BB353_115 Depth=1
	s_andn2_saveexec_b64 s[10:11], s[0:1]
; %bb.193:                              ;   in Loop: Header=BB353_115 Depth=1
	v_or_b32_e32 v6, 0x10000, v7
	v_cmp_eq_u32_sdwa s[0:1], v7, v13 src0_sel:WORD_0 src1_sel:DWORD
	s_nop 1
	v_cndmask_b32_e64 v6, v6, v7, s[0:1]
; %bb.194:                              ;   in Loop: Header=BB353_115 Depth=1
	s_or_b64 exec, exec, s[10:11]
	v_and_b32_e32 v38, 0xffff0000, v38
	v_lshlrev_b32_e32 v7, 16, v39
	v_mul_f32_e32 v39, v38, v7
	v_and_b32_e32 v7, 0x7f800000, v39
	v_cmp_ne_u32_e64 s[0:1], s18, v7
                                        ; implicit-def: $vgpr7
	s_and_saveexec_b64 s[10:11], s[0:1]
	s_xor_b64 s[0:1], exec, s[10:11]
; %bb.195:                              ;   in Loop: Header=BB353_115 Depth=1
	v_bfe_u32 v7, v39, 16, 1
	v_add3_u32 v7, v39, v7, s19
                                        ; implicit-def: $vgpr39
; %bb.196:                              ;   in Loop: Header=BB353_115 Depth=1
	s_andn2_saveexec_b64 s[10:11], s[0:1]
; %bb.197:                              ;   in Loop: Header=BB353_115 Depth=1
	v_or_b32_e32 v7, 0x10000, v39
	v_cmp_eq_u32_sdwa s[0:1], v39, v13 src0_sel:WORD_0 src1_sel:DWORD
	s_nop 1
	v_cndmask_b32_e64 v7, v7, v39, s[0:1]
; %bb.198:                              ;   in Loop: Header=BB353_115 Depth=1
	s_or_b64 exec, exec, s[10:11]
	v_and_b32_e32 v39, 0xffff0000, v8
	v_lshlrev_b32_e32 v8, 16, v40
	v_mul_f32_e32 v40, v39, v8
	v_and_b32_e32 v8, 0x7f800000, v40
	v_cmp_ne_u32_e64 s[0:1], s18, v8
                                        ; implicit-def: $vgpr8
	s_and_saveexec_b64 s[10:11], s[0:1]
	s_xor_b64 s[0:1], exec, s[10:11]
; %bb.199:                              ;   in Loop: Header=BB353_115 Depth=1
	v_bfe_u32 v8, v40, 16, 1
	v_add3_u32 v8, v40, v8, s19
                                        ; implicit-def: $vgpr40
; %bb.200:                              ;   in Loop: Header=BB353_115 Depth=1
	s_andn2_saveexec_b64 s[10:11], s[0:1]
; %bb.201:                              ;   in Loop: Header=BB353_115 Depth=1
	v_or_b32_e32 v8, 0x10000, v40
	v_cmp_eq_u32_sdwa s[0:1], v40, v13 src0_sel:WORD_0 src1_sel:DWORD
	s_nop 1
	v_cndmask_b32_e64 v8, v8, v40, s[0:1]
; %bb.202:                              ;   in Loop: Header=BB353_115 Depth=1
	s_or_b64 exec, exec, s[10:11]
	v_and_b32_e32 v40, 0xffff0000, v9
	v_lshlrev_b32_e32 v9, 16, v41
	v_mul_f32_e32 v41, v40, v9
	v_and_b32_e32 v9, 0x7f800000, v41
	v_cmp_ne_u32_e64 s[0:1], s18, v9
                                        ; implicit-def: $vgpr9
	s_and_saveexec_b64 s[10:11], s[0:1]
	s_xor_b64 s[0:1], exec, s[10:11]
; %bb.203:                              ;   in Loop: Header=BB353_115 Depth=1
	v_bfe_u32 v9, v41, 16, 1
	v_add3_u32 v9, v41, v9, s19
                                        ; implicit-def: $vgpr41
; %bb.204:                              ;   in Loop: Header=BB353_115 Depth=1
	s_andn2_saveexec_b64 s[10:11], s[0:1]
; %bb.205:                              ;   in Loop: Header=BB353_115 Depth=1
	v_or_b32_e32 v9, 0x10000, v41
	v_cmp_eq_u32_sdwa s[0:1], v41, v13 src0_sel:WORD_0 src1_sel:DWORD
	s_nop 1
	v_cndmask_b32_e64 v9, v9, v41, s[0:1]
; %bb.206:                              ;   in Loop: Header=BB353_115 Depth=1
	s_or_b64 exec, exec, s[10:11]
	v_and_b32_e32 v41, 0xffff0000, v25
	v_lshlrev_b32_e32 v25, 16, v42
	v_mul_f32_e32 v42, v41, v25
	v_and_b32_e32 v25, 0x7f800000, v42
	v_cmp_ne_u32_e64 s[0:1], s18, v25
                                        ; implicit-def: $vgpr25
	s_and_saveexec_b64 s[10:11], s[0:1]
	s_xor_b64 s[0:1], exec, s[10:11]
; %bb.207:                              ;   in Loop: Header=BB353_115 Depth=1
	v_bfe_u32 v25, v42, 16, 1
	v_add3_u32 v25, v42, v25, s19
                                        ; implicit-def: $vgpr42
; %bb.208:                              ;   in Loop: Header=BB353_115 Depth=1
	s_andn2_saveexec_b64 s[10:11], s[0:1]
; %bb.209:                              ;   in Loop: Header=BB353_115 Depth=1
	v_or_b32_e32 v25, 0x10000, v42
	v_cmp_eq_u32_sdwa s[0:1], v42, v13 src0_sel:WORD_0 src1_sel:DWORD
	s_nop 1
	v_cndmask_b32_e64 v25, v25, v42, s[0:1]
; %bb.210:                              ;   in Loop: Header=BB353_115 Depth=1
	s_or_b64 exec, exec, s[10:11]
	v_and_b32_e32 v42, 0xffff0000, v34
	v_lshlrev_b32_e32 v34, 16, v43
	v_mul_f32_e32 v43, v42, v34
	v_and_b32_e32 v34, 0x7f800000, v43
	v_cmp_ne_u32_e64 s[0:1], s18, v34
                                        ; implicit-def: $vgpr34
	s_and_saveexec_b64 s[10:11], s[0:1]
	s_xor_b64 s[0:1], exec, s[10:11]
; %bb.211:                              ;   in Loop: Header=BB353_115 Depth=1
	v_bfe_u32 v34, v43, 16, 1
	v_add3_u32 v34, v43, v34, s19
                                        ; implicit-def: $vgpr43
; %bb.212:                              ;   in Loop: Header=BB353_115 Depth=1
	s_andn2_saveexec_b64 s[10:11], s[0:1]
; %bb.213:                              ;   in Loop: Header=BB353_115 Depth=1
	v_or_b32_e32 v34, 0x10000, v43
	v_cmp_eq_u32_sdwa s[0:1], v43, v13 src0_sel:WORD_0 src1_sel:DWORD
	s_nop 1
	v_cndmask_b32_e64 v34, v34, v43, s[0:1]
; %bb.214:                              ;   in Loop: Header=BB353_115 Depth=1
	s_or_b64 exec, exec, s[10:11]
	global_load_dwordx2 v[2:3], v[2:3], off offset:512
	s_waitcnt vmcnt(0)
	v_and_b32_e32 v43, 0xff, v2
	v_cvt_f32_fp8_sdwa v43, v43 src0_sel:BYTE_0
	s_nop 0
	v_mul_f32_e32 v44, s21, v43
	v_and_b32_e32 v43, 0x7f800000, v44
	v_cmp_ne_u32_e64 s[0:1], s18, v43
                                        ; implicit-def: $vgpr43
	s_and_saveexec_b64 s[10:11], s[0:1]
	s_xor_b64 s[0:1], exec, s[10:11]
; %bb.215:                              ;   in Loop: Header=BB353_115 Depth=1
	v_bfe_u32 v43, v44, 16, 1
	v_add3_u32 v43, v44, v43, s19
                                        ; implicit-def: $vgpr44
; %bb.216:                              ;   in Loop: Header=BB353_115 Depth=1
	s_andn2_saveexec_b64 s[10:11], s[0:1]
; %bb.217:                              ;   in Loop: Header=BB353_115 Depth=1
	v_or_b32_e32 v43, 0x10000, v44
	v_cmp_eq_u32_sdwa s[0:1], v44, v13 src0_sel:WORD_0 src1_sel:DWORD
	s_nop 1
	v_cndmask_b32_e64 v43, v43, v44, s[0:1]
; %bb.218:                              ;   in Loop: Header=BB353_115 Depth=1
	s_or_b64 exec, exec, s[10:11]
	v_bfe_u32 v44, v2, 8, 8
	v_cvt_f32_fp8_sdwa v44, v44 src0_sel:BYTE_0
	s_nop 0
	v_mul_f32_e32 v45, s21, v44
	v_and_b32_e32 v44, 0x7f800000, v45
	v_cmp_ne_u32_e64 s[0:1], s18, v44
                                        ; implicit-def: $vgpr44
	s_and_saveexec_b64 s[10:11], s[0:1]
	s_xor_b64 s[0:1], exec, s[10:11]
; %bb.219:                              ;   in Loop: Header=BB353_115 Depth=1
	v_bfe_u32 v44, v45, 16, 1
	v_add3_u32 v44, v45, v44, s19
                                        ; implicit-def: $vgpr45
; %bb.220:                              ;   in Loop: Header=BB353_115 Depth=1
	s_andn2_saveexec_b64 s[10:11], s[0:1]
; %bb.221:                              ;   in Loop: Header=BB353_115 Depth=1
	v_or_b32_e32 v44, 0x10000, v45
	v_cmp_eq_u32_sdwa s[0:1], v45, v13 src0_sel:WORD_0 src1_sel:DWORD
	s_nop 1
	v_cndmask_b32_e64 v44, v44, v45, s[0:1]
; %bb.222:                              ;   in Loop: Header=BB353_115 Depth=1
	s_or_b64 exec, exec, s[10:11]
	v_bfe_u32 v45, v2, 16, 8
	v_cvt_f32_fp8_sdwa v45, v45 src0_sel:BYTE_0
	s_nop 0
	v_mul_f32_e32 v45, s21, v45
	v_and_b32_e32 v46, 0x7f800000, v45
	v_cmp_ne_u32_e64 s[0:1], s18, v46
                                        ; implicit-def: $vgpr46
	s_and_saveexec_b64 s[10:11], s[0:1]
	s_xor_b64 s[0:1], exec, s[10:11]
; %bb.223:                              ;   in Loop: Header=BB353_115 Depth=1
	v_bfe_u32 v46, v45, 16, 1
	v_add3_u32 v46, v45, v46, s19
                                        ; implicit-def: $vgpr45
; %bb.224:                              ;   in Loop: Header=BB353_115 Depth=1
	s_andn2_saveexec_b64 s[10:11], s[0:1]
; %bb.225:                              ;   in Loop: Header=BB353_115 Depth=1
	v_or_b32_e32 v46, 0x10000, v45
	v_cmp_eq_u32_sdwa s[0:1], v45, v13 src0_sel:WORD_0 src1_sel:DWORD
	s_nop 1
	v_cndmask_b32_e64 v46, v46, v45, s[0:1]
; %bb.226:                              ;   in Loop: Header=BB353_115 Depth=1
	s_or_b64 exec, exec, s[10:11]
	v_lshrrev_b32_e32 v2, 24, v2
	v_cvt_f32_fp8_sdwa v2, v2 src0_sel:BYTE_0
	s_nop 0
	v_mul_f32_e32 v45, s21, v2
	v_and_b32_e32 v2, 0x7f800000, v45
	v_cmp_ne_u32_e64 s[0:1], s18, v2
                                        ; implicit-def: $vgpr2
	s_and_saveexec_b64 s[10:11], s[0:1]
	s_xor_b64 s[0:1], exec, s[10:11]
; %bb.227:                              ;   in Loop: Header=BB353_115 Depth=1
	v_bfe_u32 v2, v45, 16, 1
	v_add3_u32 v2, v45, v2, s19
                                        ; implicit-def: $vgpr45
; %bb.228:                              ;   in Loop: Header=BB353_115 Depth=1
	s_andn2_saveexec_b64 s[10:11], s[0:1]
; %bb.229:                              ;   in Loop: Header=BB353_115 Depth=1
	v_or_b32_e32 v2, 0x10000, v45
	v_cmp_eq_u32_sdwa s[0:1], v45, v13 src0_sel:WORD_0 src1_sel:DWORD
	s_nop 1
	v_cndmask_b32_e64 v2, v2, v45, s[0:1]
; %bb.230:                              ;   in Loop: Header=BB353_115 Depth=1
	s_or_b64 exec, exec, s[10:11]
	v_and_b32_e32 v45, 0xff, v3
	v_cvt_f32_fp8_sdwa v45, v45 src0_sel:BYTE_0
	s_nop 0
	v_mul_f32_e32 v45, s21, v45
	v_and_b32_e32 v47, 0x7f800000, v45
	v_cmp_ne_u32_e64 s[0:1], s18, v47
                                        ; implicit-def: $vgpr47
	s_and_saveexec_b64 s[10:11], s[0:1]
	s_xor_b64 s[0:1], exec, s[10:11]
; %bb.231:                              ;   in Loop: Header=BB353_115 Depth=1
	v_bfe_u32 v47, v45, 16, 1
	v_add3_u32 v47, v45, v47, s19
                                        ; implicit-def: $vgpr45
; %bb.232:                              ;   in Loop: Header=BB353_115 Depth=1
	s_andn2_saveexec_b64 s[10:11], s[0:1]
; %bb.233:                              ;   in Loop: Header=BB353_115 Depth=1
	v_or_b32_e32 v47, 0x10000, v45
	v_cmp_eq_u32_sdwa s[0:1], v45, v13 src0_sel:WORD_0 src1_sel:DWORD
	s_nop 1
	v_cndmask_b32_e64 v47, v47, v45, s[0:1]
; %bb.234:                              ;   in Loop: Header=BB353_115 Depth=1
	s_or_b64 exec, exec, s[10:11]
	v_bfe_u32 v45, v3, 8, 8
	v_cvt_f32_fp8_sdwa v45, v45 src0_sel:BYTE_0
	s_nop 0
	v_mul_f32_e32 v48, s21, v45
	v_and_b32_e32 v45, 0x7f800000, v48
	v_cmp_ne_u32_e64 s[0:1], s18, v45
                                        ; implicit-def: $vgpr45
	s_and_saveexec_b64 s[10:11], s[0:1]
	s_xor_b64 s[0:1], exec, s[10:11]
; %bb.235:                              ;   in Loop: Header=BB353_115 Depth=1
	v_bfe_u32 v45, v48, 16, 1
	v_add3_u32 v45, v48, v45, s19
                                        ; implicit-def: $vgpr48
; %bb.236:                              ;   in Loop: Header=BB353_115 Depth=1
	s_andn2_saveexec_b64 s[10:11], s[0:1]
; %bb.237:                              ;   in Loop: Header=BB353_115 Depth=1
	v_or_b32_e32 v45, 0x10000, v48
	v_cmp_eq_u32_sdwa s[0:1], v48, v13 src0_sel:WORD_0 src1_sel:DWORD
	s_nop 1
	v_cndmask_b32_e64 v45, v45, v48, s[0:1]
; %bb.238:                              ;   in Loop: Header=BB353_115 Depth=1
	s_or_b64 exec, exec, s[10:11]
	v_bfe_u32 v48, v3, 16, 8
	v_cvt_f32_fp8_sdwa v48, v48 src0_sel:BYTE_0
	s_nop 0
	v_mul_f32_e32 v48, s21, v48
	v_and_b32_e32 v49, 0x7f800000, v48
	v_cmp_ne_u32_e64 s[0:1], s18, v49
                                        ; implicit-def: $vgpr49
	s_and_saveexec_b64 s[10:11], s[0:1]
	s_xor_b64 s[0:1], exec, s[10:11]
; %bb.239:                              ;   in Loop: Header=BB353_115 Depth=1
	v_bfe_u32 v49, v48, 16, 1
	v_add3_u32 v49, v48, v49, s19
                                        ; implicit-def: $vgpr48
; %bb.240:                              ;   in Loop: Header=BB353_115 Depth=1
	s_andn2_saveexec_b64 s[10:11], s[0:1]
; %bb.241:                              ;   in Loop: Header=BB353_115 Depth=1
	v_or_b32_e32 v49, 0x10000, v48
	v_cmp_eq_u32_sdwa s[0:1], v48, v13 src0_sel:WORD_0 src1_sel:DWORD
	s_nop 1
	v_cndmask_b32_e64 v49, v49, v48, s[0:1]
; %bb.242:                              ;   in Loop: Header=BB353_115 Depth=1
	s_or_b64 exec, exec, s[10:11]
	v_lshrrev_b32_e32 v3, 24, v3
	v_cvt_f32_fp8_sdwa v3, v3 src0_sel:BYTE_0
	s_nop 0
	v_mul_f32_e32 v48, s21, v3
	v_and_b32_e32 v3, 0x7f800000, v48
	v_cmp_ne_u32_e64 s[0:1], s18, v3
                                        ; implicit-def: $vgpr3
	s_and_saveexec_b64 s[10:11], s[0:1]
	s_xor_b64 s[0:1], exec, s[10:11]
; %bb.243:                              ;   in Loop: Header=BB353_115 Depth=1
	v_bfe_u32 v3, v48, 16, 1
	v_add3_u32 v3, v48, v3, s19
                                        ; implicit-def: $vgpr48
; %bb.244:                              ;   in Loop: Header=BB353_115 Depth=1
	s_andn2_saveexec_b64 s[10:11], s[0:1]
; %bb.245:                              ;   in Loop: Header=BB353_115 Depth=1
	v_or_b32_e32 v3, 0x10000, v48
	v_cmp_eq_u32_sdwa s[0:1], v48, v13 src0_sel:WORD_0 src1_sel:DWORD
	s_nop 1
	v_cndmask_b32_e64 v3, v3, v48, s[0:1]
; %bb.246:                              ;   in Loop: Header=BB353_115 Depth=1
	s_or_b64 exec, exec, s[10:11]
	v_lshrrev_b32_e32 v45, 16, v45
	v_lshrrev_b32_e32 v47, 16, v47
	;; [unrolled: 1-line block ×8, first 2 shown]
	s_and_saveexec_b64 s[0:1], vcc
	s_cbranch_execz .LBB353_248
; %bb.247:                              ;   in Loop: Header=BB353_115 Depth=1
	v_cmp_gt_i32_e32 vcc, s33, v26
	s_nop 1
	v_cndmask_b32_e32 v2, 0, v2, vcc
	v_cmp_gt_i32_e32 vcc, s33, v33
	s_nop 1
	v_cndmask_b32_e32 v44, 0, v44, vcc
	;; [unrolled: 3-line block ×8, first 2 shown]
.LBB353_248:                            ;   in Loop: Header=BB353_115 Depth=1
	s_or_b64 exec, exec, s[0:1]
	v_lshlrev_b32_e32 v2, 16, v2
	v_mul_f32_e32 v26, v35, v2
	v_and_b32_e32 v2, 0x7f800000, v26
	v_cmp_ne_u32_e32 vcc, s18, v2
                                        ; implicit-def: $vgpr2
	s_and_saveexec_b64 s[0:1], vcc
	s_xor_b64 s[0:1], exec, s[0:1]
; %bb.249:                              ;   in Loop: Header=BB353_115 Depth=1
	v_bfe_u32 v2, v26, 16, 1
	v_add3_u32 v2, v26, v2, s19
                                        ; implicit-def: $vgpr26
; %bb.250:                              ;   in Loop: Header=BB353_115 Depth=1
	s_andn2_saveexec_b64 s[0:1], s[0:1]
; %bb.251:                              ;   in Loop: Header=BB353_115 Depth=1
	v_or_b32_e32 v2, 0x10000, v26
	v_cmp_eq_u32_sdwa vcc, v26, v13 src0_sel:WORD_0 src1_sel:DWORD
	s_nop 1
	v_cndmask_b32_e32 v2, v2, v26, vcc
; %bb.252:                              ;   in Loop: Header=BB353_115 Depth=1
	s_or_b64 exec, exec, s[0:1]
	v_lshlrev_b32_e32 v26, 16, v44
	v_mul_f32_e32 v27, v36, v26
	v_and_b32_e32 v26, 0x7f800000, v27
	v_cmp_ne_u32_e32 vcc, s18, v26
                                        ; implicit-def: $vgpr26
	s_and_saveexec_b64 s[0:1], vcc
	s_xor_b64 s[0:1], exec, s[0:1]
; %bb.253:                              ;   in Loop: Header=BB353_115 Depth=1
	v_bfe_u32 v26, v27, 16, 1
	v_add3_u32 v26, v27, v26, s19
                                        ; implicit-def: $vgpr27
; %bb.254:                              ;   in Loop: Header=BB353_115 Depth=1
	s_andn2_saveexec_b64 s[0:1], s[0:1]
; %bb.255:                              ;   in Loop: Header=BB353_115 Depth=1
	v_or_b32_e32 v26, 0x10000, v27
	v_cmp_eq_u32_sdwa vcc, v27, v13 src0_sel:WORD_0 src1_sel:DWORD
	s_nop 1
	v_cndmask_b32_e32 v26, v26, v27, vcc
; %bb.256:                              ;   in Loop: Header=BB353_115 Depth=1
	s_or_b64 exec, exec, s[0:1]
	v_lshlrev_b32_e32 v27, 16, v46
	v_mul_f32_e32 v28, v37, v27
	v_and_b32_e32 v27, 0x7f800000, v28
	v_cmp_ne_u32_e32 vcc, s18, v27
                                        ; implicit-def: $vgpr27
	s_and_saveexec_b64 s[0:1], vcc
	s_xor_b64 s[0:1], exec, s[0:1]
; %bb.257:                              ;   in Loop: Header=BB353_115 Depth=1
	v_bfe_u32 v27, v28, 16, 1
	v_add3_u32 v27, v28, v27, s19
                                        ; implicit-def: $vgpr28
; %bb.258:                              ;   in Loop: Header=BB353_115 Depth=1
	s_andn2_saveexec_b64 s[0:1], s[0:1]
; %bb.259:                              ;   in Loop: Header=BB353_115 Depth=1
	v_or_b32_e32 v27, 0x10000, v28
	v_cmp_eq_u32_sdwa vcc, v28, v13 src0_sel:WORD_0 src1_sel:DWORD
	s_nop 1
	v_cndmask_b32_e32 v27, v27, v28, vcc
; %bb.260:                              ;   in Loop: Header=BB353_115 Depth=1
	s_or_b64 exec, exec, s[0:1]
	v_lshlrev_b32_e32 v28, 16, v48
	v_mul_f32_e32 v29, v38, v28
	v_and_b32_e32 v28, 0x7f800000, v29
	v_cmp_ne_u32_e32 vcc, s18, v28
                                        ; implicit-def: $vgpr28
	s_and_saveexec_b64 s[0:1], vcc
	s_xor_b64 s[0:1], exec, s[0:1]
; %bb.261:                              ;   in Loop: Header=BB353_115 Depth=1
	v_bfe_u32 v28, v29, 16, 1
	v_add3_u32 v28, v29, v28, s19
                                        ; implicit-def: $vgpr29
; %bb.262:                              ;   in Loop: Header=BB353_115 Depth=1
	s_andn2_saveexec_b64 s[0:1], s[0:1]
; %bb.263:                              ;   in Loop: Header=BB353_115 Depth=1
	v_or_b32_e32 v28, 0x10000, v29
	v_cmp_eq_u32_sdwa vcc, v29, v13 src0_sel:WORD_0 src1_sel:DWORD
	s_nop 1
	v_cndmask_b32_e32 v28, v28, v29, vcc
; %bb.264:                              ;   in Loop: Header=BB353_115 Depth=1
	s_or_b64 exec, exec, s[0:1]
	v_lshlrev_b32_e32 v29, 16, v47
	v_mul_f32_e32 v30, v39, v29
	v_and_b32_e32 v29, 0x7f800000, v30
	v_cmp_ne_u32_e32 vcc, s18, v29
                                        ; implicit-def: $vgpr29
	s_and_saveexec_b64 s[0:1], vcc
	s_xor_b64 s[0:1], exec, s[0:1]
; %bb.265:                              ;   in Loop: Header=BB353_115 Depth=1
	v_bfe_u32 v29, v30, 16, 1
	v_add3_u32 v29, v30, v29, s19
                                        ; implicit-def: $vgpr30
; %bb.266:                              ;   in Loop: Header=BB353_115 Depth=1
	s_andn2_saveexec_b64 s[0:1], s[0:1]
; %bb.267:                              ;   in Loop: Header=BB353_115 Depth=1
	v_or_b32_e32 v29, 0x10000, v30
	v_cmp_eq_u32_sdwa vcc, v30, v13 src0_sel:WORD_0 src1_sel:DWORD
	s_nop 1
	v_cndmask_b32_e32 v29, v29, v30, vcc
; %bb.268:                              ;   in Loop: Header=BB353_115 Depth=1
	s_or_b64 exec, exec, s[0:1]
	v_lshlrev_b32_e32 v30, 16, v45
	v_mul_f32_e32 v31, v40, v30
	v_and_b32_e32 v30, 0x7f800000, v31
	v_cmp_ne_u32_e32 vcc, s18, v30
                                        ; implicit-def: $vgpr30
	s_and_saveexec_b64 s[0:1], vcc
	s_xor_b64 s[0:1], exec, s[0:1]
; %bb.269:                              ;   in Loop: Header=BB353_115 Depth=1
	v_bfe_u32 v30, v31, 16, 1
	v_add3_u32 v30, v31, v30, s19
                                        ; implicit-def: $vgpr31
; %bb.270:                              ;   in Loop: Header=BB353_115 Depth=1
	s_andn2_saveexec_b64 s[0:1], s[0:1]
; %bb.271:                              ;   in Loop: Header=BB353_115 Depth=1
	v_or_b32_e32 v30, 0x10000, v31
	v_cmp_eq_u32_sdwa vcc, v31, v13 src0_sel:WORD_0 src1_sel:DWORD
	s_nop 1
	v_cndmask_b32_e32 v30, v30, v31, vcc
; %bb.272:                              ;   in Loop: Header=BB353_115 Depth=1
	s_or_b64 exec, exec, s[0:1]
	v_lshlrev_b32_e32 v31, 16, v43
	v_mul_f32_e32 v32, v41, v31
	v_and_b32_e32 v31, 0x7f800000, v32
	v_cmp_ne_u32_e32 vcc, s18, v31
                                        ; implicit-def: $vgpr31
	s_and_saveexec_b64 s[0:1], vcc
	s_xor_b64 s[0:1], exec, s[0:1]
; %bb.273:                              ;   in Loop: Header=BB353_115 Depth=1
	v_bfe_u32 v31, v32, 16, 1
	v_add3_u32 v31, v32, v31, s19
                                        ; implicit-def: $vgpr32
; %bb.274:                              ;   in Loop: Header=BB353_115 Depth=1
	s_andn2_saveexec_b64 s[0:1], s[0:1]
; %bb.275:                              ;   in Loop: Header=BB353_115 Depth=1
	v_or_b32_e32 v31, 0x10000, v32
	v_cmp_eq_u32_sdwa vcc, v32, v13 src0_sel:WORD_0 src1_sel:DWORD
	s_nop 1
	v_cndmask_b32_e32 v31, v31, v32, vcc
; %bb.276:                              ;   in Loop: Header=BB353_115 Depth=1
	s_or_b64 exec, exec, s[0:1]
	v_lshlrev_b32_e32 v3, 16, v3
	v_mul_f32_e32 v32, v42, v3
	v_and_b32_e32 v3, 0x7f800000, v32
	v_cmp_ne_u32_e32 vcc, s18, v3
                                        ; implicit-def: $vgpr3
	s_and_saveexec_b64 s[0:1], vcc
	s_xor_b64 s[0:1], exec, s[0:1]
; %bb.277:                              ;   in Loop: Header=BB353_115 Depth=1
	v_bfe_u32 v3, v32, 16, 1
	v_add3_u32 v3, v32, v3, s19
                                        ; implicit-def: $vgpr32
; %bb.278:                              ;   in Loop: Header=BB353_115 Depth=1
	s_andn2_saveexec_b64 s[0:1], s[0:1]
	s_cbranch_execz .LBB353_113
; %bb.279:                              ;   in Loop: Header=BB353_115 Depth=1
	v_or_b32_e32 v3, 0x10000, v32
	v_cmp_eq_u32_sdwa vcc, v32, v13 src0_sel:WORD_0 src1_sel:DWORD
	s_nop 1
	v_cndmask_b32_e32 v3, v3, v32, vcc
	s_branch .LBB353_113
.LBB353_280:
	s_or_b64 exec, exec, s[6:7]
.LBB353_281:
	s_or_b64 exec, exec, s[2:3]
	ds_bpermute_b32 v2, v21, v16
	ds_bpermute_b32 v3, v21, v17
	v_and_b32_e32 v1, 0x3c3, v0
	v_cmp_eq_u32_e32 vcc, 64, v1
	s_waitcnt lgkmcnt(0)
	s_barrier
	v_pk_add_f32 v[2:3], v[16:17], v[2:3]
	ds_bpermute_b32 v4, v22, v2
	ds_bpermute_b32 v5, v22, v3
	s_waitcnt lgkmcnt(0)
	v_pk_add_f32 v[2:3], v[2:3], v[4:5]
	s_and_saveexec_b64 s[0:1], vcc
	s_cbranch_execz .LBB353_283
; %bb.282:
	v_add_u32_e32 v4, 0x50, v20
	v_add_u32_e32 v1, 0x50, v0
	ds_write_b32 v4, v2
	ds_write_b32 v1, v3
.LBB353_283:
	s_or_b64 exec, exec, s[0:1]
	v_cmp_gt_u32_e32 vcc, 64, v0
	s_waitcnt lgkmcnt(0)
	s_barrier
	s_and_saveexec_b64 s[2:3], vcc
	s_cbranch_execz .LBB353_289
; %bb.284:
	v_cmp_eq_u32_e64 s[0:1], 0, v23
	v_lshrrev_b32_e32 v1, 2, v0
	s_and_saveexec_b64 s[6:7], s[0:1]
	s_cbranch_execz .LBB353_286
; %bb.285:
	v_mov_b32_e32 v4, 0x50
	v_lshl_add_u32 v4, v1, 2, v4
	ds_read_b32 v4, v4
	s_waitcnt lgkmcnt(0)
	v_add_f32_e32 v2, v2, v4
.LBB353_286:
	s_or_b64 exec, exec, s[6:7]
	s_and_saveexec_b64 s[6:7], s[0:1]
	s_cbranch_execz .LBB353_288
; %bb.287:
	v_mov_b32_e32 v4, 0x50
	v_lshl_add_u32 v1, v1, 2, v4
	ds_read_b32 v1, v1 offset:64
	s_waitcnt lgkmcnt(0)
	v_add_f32_e32 v3, v3, v1
.LBB353_288:
	s_or_b64 exec, exec, s[6:7]
.LBB353_289:
	s_or_b64 exec, exec, s[2:3]
	s_barrier
	s_and_saveexec_b64 s[0:1], vcc
	s_cbranch_execz .LBB353_300
; %bb.290:
	v_cmp_eq_u32_e32 vcc, 0, v23
	s_and_b64 exec, exec, vcc
	s_cbranch_execz .LBB353_300
; %bb.291:
	s_mov_b32 s0, 0x7f800000
	v_and_b32_e32 v1, 0x7f800000, v2
	v_cmp_ne_u32_e32 vcc, s0, v1
                                        ; implicit-def: $vgpr4
	s_and_saveexec_b64 s[0:1], vcc
	s_xor_b64 s[0:1], exec, s[0:1]
; %bb.292:
	v_bfe_u32 v1, v2, 16, 1
	s_movk_i32 s2, 0x7fff
	v_add3_u32 v4, v2, v1, s2
; %bb.293:
	s_andn2_saveexec_b64 s[0:1], s[0:1]
; %bb.294:
	v_mov_b32_e32 v1, 0
	v_or_b32_e32 v4, 0x10000, v2
	v_cmp_eq_u32_sdwa vcc, v2, v1 src0_sel:WORD_0 src1_sel:DWORD
	s_nop 1
	v_cndmask_b32_e32 v4, v4, v2, vcc
; %bb.295:
	s_or_b64 exec, exec, s[0:1]
	s_mul_i32 s0, s16, s28
	s_mul_i32 s0, s0, s29
	s_lshl_b32 s0, s0, 5
	s_ashr_i32 s1, s0, 31
	s_lshl_b64 s[0:1], s[0:1], 1
	s_add_u32 s2, s34, s0
	s_mul_i32 s0, s16, s30
	s_addc_u32 s3, s35, s1
	s_ashr_i32 s1, s0, 31
	s_lshl_b64 s[0:1], s[0:1], 1
	s_add_u32 s2, s2, s0
	s_addc_u32 s3, s3, s1
	s_lshl_b32 s0, s4, 5
	s_ashr_i32 s1, s0, 31
	s_lshl_b64 s[0:1], s[0:1], 1
	s_add_u32 s0, s2, s0
	v_lshrrev_b32_e32 v0, 1, v0
	s_mov_b32 s2, 0x7f800000
	v_and_b32_e32 v2, 0x7f800000, v3
	s_addc_u32 s1, s3, s1
	v_and_b32_e32 v0, 0x1fe, v0
	v_mov_b32_e32 v1, 0
	v_cmp_ne_u32_e32 vcc, s2, v2
	global_store_short_d16_hi v0, v4, s[0:1]
                                        ; implicit-def: $vgpr4
	s_and_saveexec_b64 s[2:3], vcc
	s_xor_b64 s[2:3], exec, s[2:3]
; %bb.296:
	v_bfe_u32 v2, v3, 16, 1
	s_movk_i32 s4, 0x7fff
	v_add3_u32 v4, v3, v2, s4
                                        ; implicit-def: $vgpr2_vgpr3
; %bb.297:
	s_or_saveexec_b64 s[2:3], s[2:3]
	v_lshl_add_u64 v[0:1], s[0:1], 0, v[0:1]
	s_xor_b64 exec, exec, s[2:3]
; %bb.298:
	v_mov_b32_e32 v2, 0
	v_or_b32_e32 v4, 0x10000, v3
	v_cmp_eq_u32_sdwa vcc, v3, v2 src0_sel:WORD_0 src1_sel:DWORD
	s_nop 1
	v_cndmask_b32_e32 v4, v4, v3, vcc
; %bb.299:
	s_or_b64 exec, exec, s[2:3]
	global_store_short_d16_hi v[0:1], v4, off offset:32
.LBB353_300:
	s_endpgm
	.section	.rodata,"a",@progbits
	.p2align	6, 0x0
	.amdhsa_kernel _ZN4vllm25paged_attention_v2_kernelI14__hip_bfloat16hLi32ELi32ELi128ELNS_18Fp8KVCacheDataTypeE1ELb1ELi512EEEvPfS3_PT_PKS4_PKT0_SA_ifPKiSC_iPKfiiiSE_SE_iiiii
		.amdhsa_group_segment_fixed_size 80
		.amdhsa_private_segment_fixed_size 0
		.amdhsa_kernarg_size 400
		.amdhsa_user_sgpr_count 2
		.amdhsa_user_sgpr_dispatch_ptr 0
		.amdhsa_user_sgpr_queue_ptr 0
		.amdhsa_user_sgpr_kernarg_segment_ptr 1
		.amdhsa_user_sgpr_dispatch_id 0
		.amdhsa_user_sgpr_kernarg_preload_length 0
		.amdhsa_user_sgpr_kernarg_preload_offset 0
		.amdhsa_user_sgpr_private_segment_size 0
		.amdhsa_uses_dynamic_stack 0
		.amdhsa_enable_private_segment 0
		.amdhsa_system_sgpr_workgroup_id_x 1
		.amdhsa_system_sgpr_workgroup_id_y 1
		.amdhsa_system_sgpr_workgroup_id_z 1
		.amdhsa_system_sgpr_workgroup_info 0
		.amdhsa_system_vgpr_workitem_id 0
		.amdhsa_next_free_vgpr 57
		.amdhsa_next_free_sgpr 59
		.amdhsa_accum_offset 60
		.amdhsa_reserve_vcc 1
		.amdhsa_float_round_mode_32 0
		.amdhsa_float_round_mode_16_64 0
		.amdhsa_float_denorm_mode_32 3
		.amdhsa_float_denorm_mode_16_64 3
		.amdhsa_dx10_clamp 1
		.amdhsa_ieee_mode 1
		.amdhsa_fp16_overflow 0
		.amdhsa_tg_split 0
		.amdhsa_exception_fp_ieee_invalid_op 0
		.amdhsa_exception_fp_denorm_src 0
		.amdhsa_exception_fp_ieee_div_zero 0
		.amdhsa_exception_fp_ieee_overflow 0
		.amdhsa_exception_fp_ieee_underflow 0
		.amdhsa_exception_fp_ieee_inexact 0
		.amdhsa_exception_int_div_zero 0
	.end_amdhsa_kernel
	.section	.text._ZN4vllm25paged_attention_v2_kernelI14__hip_bfloat16hLi32ELi32ELi128ELNS_18Fp8KVCacheDataTypeE1ELb1ELi512EEEvPfS3_PT_PKS4_PKT0_SA_ifPKiSC_iPKfiiiSE_SE_iiiii,"axG",@progbits,_ZN4vllm25paged_attention_v2_kernelI14__hip_bfloat16hLi32ELi32ELi128ELNS_18Fp8KVCacheDataTypeE1ELb1ELi512EEEvPfS3_PT_PKS4_PKT0_SA_ifPKiSC_iPKfiiiSE_SE_iiiii,comdat
.Lfunc_end353:
	.size	_ZN4vllm25paged_attention_v2_kernelI14__hip_bfloat16hLi32ELi32ELi128ELNS_18Fp8KVCacheDataTypeE1ELb1ELi512EEEvPfS3_PT_PKS4_PKT0_SA_ifPKiSC_iPKfiiiSE_SE_iiiii, .Lfunc_end353-_ZN4vllm25paged_attention_v2_kernelI14__hip_bfloat16hLi32ELi32ELi128ELNS_18Fp8KVCacheDataTypeE1ELb1ELi512EEEvPfS3_PT_PKS4_PKT0_SA_ifPKiSC_iPKfiiiSE_SE_iiiii
                                        ; -- End function
	.section	.AMDGPU.csdata,"",@progbits
; Kernel info:
; codeLenInByte = 10076
; NumSgprs: 65
; NumVgprs: 57
; NumAgprs: 0
; TotalNumVgprs: 57
; ScratchSize: 0
; MemoryBound: 0
; FloatMode: 240
; IeeeMode: 1
; LDSByteSize: 80 bytes/workgroup (compile time only)
; SGPRBlocks: 8
; VGPRBlocks: 7
; NumSGPRsForWavesPerEU: 65
; NumVGPRsForWavesPerEU: 57
; AccumOffset: 60
; Occupancy: 8
; WaveLimiterHint : 1
; COMPUTE_PGM_RSRC2:SCRATCH_EN: 0
; COMPUTE_PGM_RSRC2:USER_SGPR: 2
; COMPUTE_PGM_RSRC2:TRAP_HANDLER: 0
; COMPUTE_PGM_RSRC2:TGID_X_EN: 1
; COMPUTE_PGM_RSRC2:TGID_Y_EN: 1
; COMPUTE_PGM_RSRC2:TGID_Z_EN: 1
; COMPUTE_PGM_RSRC2:TIDIG_COMP_CNT: 0
; COMPUTE_PGM_RSRC3_GFX90A:ACCUM_OFFSET: 14
; COMPUTE_PGM_RSRC3_GFX90A:TG_SPLIT: 0
	.section	.text._ZN4vllm25paged_attention_v2_kernelI14__hip_bfloat16hLi64ELi32ELi128ELNS_18Fp8KVCacheDataTypeE1ELb1ELi512EEEvPfS3_PT_PKS4_PKT0_SA_ifPKiSC_iPKfiiiSE_SE_iiiii,"axG",@progbits,_ZN4vllm25paged_attention_v2_kernelI14__hip_bfloat16hLi64ELi32ELi128ELNS_18Fp8KVCacheDataTypeE1ELb1ELi512EEEvPfS3_PT_PKS4_PKT0_SA_ifPKiSC_iPKfiiiSE_SE_iiiii,comdat
	.protected	_ZN4vllm25paged_attention_v2_kernelI14__hip_bfloat16hLi64ELi32ELi128ELNS_18Fp8KVCacheDataTypeE1ELb1ELi512EEEvPfS3_PT_PKS4_PKT0_SA_ifPKiSC_iPKfiiiSE_SE_iiiii ; -- Begin function _ZN4vllm25paged_attention_v2_kernelI14__hip_bfloat16hLi64ELi32ELi128ELNS_18Fp8KVCacheDataTypeE1ELb1ELi512EEEvPfS3_PT_PKS4_PKT0_SA_ifPKiSC_iPKfiiiSE_SE_iiiii
	.globl	_ZN4vllm25paged_attention_v2_kernelI14__hip_bfloat16hLi64ELi32ELi128ELNS_18Fp8KVCacheDataTypeE1ELb1ELi512EEEvPfS3_PT_PKS4_PKT0_SA_ifPKiSC_iPKfiiiSE_SE_iiiii
	.p2align	8
	.type	_ZN4vllm25paged_attention_v2_kernelI14__hip_bfloat16hLi64ELi32ELi128ELNS_18Fp8KVCacheDataTypeE1ELb1ELi512EEEvPfS3_PT_PKS4_PKT0_SA_ifPKiSC_iPKfiiiSE_SE_iiiii,@function
_ZN4vllm25paged_attention_v2_kernelI14__hip_bfloat16hLi64ELi32ELi128ELNS_18Fp8KVCacheDataTypeE1ELb1ELi512EEEvPfS3_PT_PKS4_PKT0_SA_ifPKiSC_iPKfiiiSE_SE_iiiii: ; @_ZN4vllm25paged_attention_v2_kernelI14__hip_bfloat16hLi64ELi32ELi128ELNS_18Fp8KVCacheDataTypeE1ELb1ELi512EEEvPfS3_PT_PKS4_PKT0_SA_ifPKiSC_iPKfiiiSE_SE_iiiii
; %bb.0:
	s_load_dwordx2 s[6:7], s[0:1], 0x40
	s_mov_b32 s28, s3
	s_ashr_i32 s29, s3, 31
	s_lshl_b64 s[8:9], s[28:29], 2
	s_waitcnt lgkmcnt(0)
	s_add_u32 s6, s6, s8
	s_addc_u32 s7, s7, s9
	s_load_dword s33, s[6:7], 0x0
	s_lshl_b32 s5, s4, 9
	s_waitcnt lgkmcnt(0)
	s_cmp_ge_i32 s5, s33
	s_cbranch_scc1 .LBB354_505
; %bb.1:
	s_load_dword s29, s[0:1], 0x90
	s_load_dwordx2 s[42:43], s[0:1], 0x30
	s_mov_b32 s51, 0
	s_waitcnt lgkmcnt(0)
	s_abs_i32 s7, s29
	s_abs_i32 s3, s42
	v_cvt_f32_u32_e32 v1, s3
	s_sub_i32 s8, 0, s3
	s_xor_b32 s6, s29, s42
	s_ashr_i32 s6, s6, 31
	v_rcp_iflag_f32_e32 v1, v1
	s_nop 0
	v_mul_f32_e32 v1, 0x4f7ffffe, v1
	v_cvt_u32_f32_e32 v1, v1
	s_nop 0
	v_readfirstlane_b32 s9, v1
	s_mul_i32 s8, s8, s9
	s_mul_hi_u32 s8, s9, s8
	s_add_i32 s9, s9, s8
	s_mul_hi_u32 s8, s7, s9
	s_mul_i32 s9, s8, s3
	s_sub_i32 s7, s7, s9
	s_add_i32 s10, s8, 1
	s_sub_i32 s9, s7, s3
	s_cmp_ge_u32 s7, s3
	s_cselect_b32 s8, s10, s8
	s_cselect_b32 s7, s9, s7
	s_add_i32 s9, s8, 1
	s_cmp_ge_u32 s7, s3
	s_cselect_b32 s3, s9, s8
	s_xor_b32 s3, s3, s6
	s_sub_i32 s11, s3, s6
	s_abs_i32 s8, s11
	v_cvt_f32_u32_e32 v1, s8
	s_load_dwordx2 s[6:7], s[0:1], 0x50
	s_sub_i32 s3, 0, s8
	s_abs_i32 s9, s2
	v_rcp_iflag_f32_e32 v1, v1
	s_nop 0
	v_mul_f32_e32 v1, 0x4f7ffffe, v1
	v_cvt_u32_f32_e32 v1, v1
	s_nop 0
	v_readfirstlane_b32 s10, v1
	s_mul_i32 s3, s3, s10
	s_mul_hi_u32 s3, s10, s3
	s_add_i32 s10, s10, s3
	s_waitcnt lgkmcnt(0)
	s_cmp_eq_u64 s[6:7], 0
	s_mul_hi_u32 s10, s9, s10
	s_cbranch_scc1 .LBB354_3
; %bb.2:
	s_ashr_i32 s3, s2, 31
	s_lshl_b64 s[12:13], s[2:3], 2
	s_add_u32 s6, s6, s12
	s_addc_u32 s7, s7, s13
	s_load_dword s51, s[6:7], 0x0
.LBB354_3:
	s_load_dwordx4 s[16:19], s[0:1], 0x58
	s_ashr_i32 s3, s2, 31
	s_ashr_i32 s11, s11, 31
	v_and_b32_e32 v2, 1, v0
	s_lshl_b32 s30, s2, 6
	v_cmp_gt_u32_e32 vcc, 16, v0
	v_lshlrev_b32_e32 v28, 3, v0
	s_and_saveexec_b64 s[6:7], vcc
	s_cbranch_execz .LBB354_5
; %bb.4:
	s_load_dwordx2 s[12:13], s[0:1], 0x18
	s_waitcnt lgkmcnt(0)
	s_mul_i32 s14, s28, s16
	s_ashr_i32 s15, s14, 31
	s_lshl_b64 s[14:15], s[14:15], 1
	v_lshlrev_b32_e32 v1, 2, v0
	s_add_u32 s14, s12, s14
	s_addc_u32 s15, s13, s15
	s_ashr_i32 s31, s30, 31
	s_lshl_b64 s[12:13], s[30:31], 1
	s_add_u32 s12, s14, s12
	s_addc_u32 s13, s15, s13
	global_load_dwordx2 v[4:5], v28, s[12:13]
	v_and_b32_e32 v1, 0xff8, v1
	v_lshl_add_u32 v1, v2, 6, v1
	s_waitcnt vmcnt(0)
	ds_write_b64 v1, v[4:5]
.LBB354_5:
	s_or_b64 exec, exec, s[6:7]
	s_mul_i32 s6, s10, s8
	s_sub_i32 s6, s9, s6
	s_xor_b32 s3, s3, s11
	s_add_i32 s7, s10, 1
	s_sub_i32 s9, s6, s8
	s_load_dwordx4 s[20:23], s[0:1], 0x78
	s_cmp_ge_u32 s6, s8
	s_cselect_b32 s7, s7, s10
	s_cselect_b32 s6, s9, s6
	s_add_i32 s9, s7, 1
	s_cmp_ge_u32 s6, s8
	s_cselect_b32 s6, s9, s7
	s_load_dword s9, s[0:1], 0x88
	s_waitcnt lgkmcnt(0)
	s_abs_i32 s31, s23
	v_cvt_f32_u32_e32 v1, s31
	s_xor_b32 s6, s6, s3
	s_sub_i32 s50, s6, s3
	s_sub_i32 s6, 0, s31
	v_rcp_iflag_f32_e32 v1, v1
	s_add_i32 s10, s33, -1
	s_abs_i32 s3, s10
	v_mul_f32_e32 v1, 0x4f7ffffe, v1
	v_cvt_u32_f32_e32 v1, v1
	s_barrier
	v_readfirstlane_b32 s48, v1
	s_mul_i32 s6, s6, s48
	s_mul_hi_u32 s6, s48, s6
	s_add_i32 s48, s48, s6
	s_cmp_lt_i32 s9, 0
	s_mul_hi_u32 s8, s3, s48
	s_cbranch_scc0 .LBB354_7
; %bb.6:
	s_mul_i32 s6, s20, s42
	s_add_i32 s6, s50, s6
	s_mul_i32 s6, s6, s9
	s_sub_i32 s42, 1, s6
	s_mov_b64 s[6:7], 0
	s_branch .LBB354_8
.LBB354_7:
	s_mov_b64 s[6:7], -1
                                        ; implicit-def: $sgpr42
.LBB354_8:
	s_load_dwordx2 s[36:37], s[0:1], 0x38
	s_ashr_i32 s10, s10, 31
	s_andn2_b64 vcc, exec, s[6:7]
	s_ashr_i32 s23, s23, 31
	s_cbranch_vccnz .LBB354_10
; %bb.9:
	s_mul_i32 s6, s29, s20
	s_add_i32 s6, s6, s2
	s_mul_i32 s6, s6, s9
	s_add_i32 s42, s6, 1
.LBB354_10:
	s_load_dwordx2 s[40:41], s[0:1], 0x28
	s_load_dword s6, s[0:1], 0x48
	s_load_dwordx4 s[24:27], s[0:1], 0x0
	s_load_dwordx2 s[34:35], s[0:1], 0x10
	s_load_dword s16, s[0:1], 0x98
	s_load_dwordx4 s[12:15], s[0:1], 0x68
	s_mul_i32 s7, s8, s31
	s_waitcnt lgkmcnt(0)
	s_mul_i32 s38, s28, s6
	s_sub_i32 s3, s3, s7
	s_ashr_i32 s39, s38, 31
	s_xor_b32 s6, s10, s23
	s_add_i32 s7, s8, 1
	s_sub_i32 s9, s3, s31
	s_cmp_ge_u32 s3, s31
	s_cselect_b32 s7, s7, s8
	s_cselect_b32 s3, s9, s3
	s_add_i32 s8, s7, 1
	s_cmp_ge_u32 s3, s31
	s_cselect_b32 s3, s8, s7
	s_xor_b32 s3, s3, s6
	s_sub_i32 s49, s3, s6
	s_add_i32 s3, s33, 31
	s_ashr_i32 s6, s3, 31
	s_lshr_b32 s6, s6, 27
	s_add_i32 s3, s3, s6
	s_lshl_b32 s52, s4, 4
	s_ashr_i32 s3, s3, 5
	s_add_i32 s6, s52, 16
	v_lshrrev_b32_e32 v29, 6, v0
	s_min_i32 s20, s6, s3
	v_or_b32_e32 v18, s52, v29
	v_cmp_gt_i32_e64 s[8:9], s20, v18
	v_mov_b32_e32 v33, 0xff7fffff
	s_mul_i32 s50, s50, s18
	v_ashrrev_i32_e32 v19, 31, v18
	v_lshl_add_u32 v1, v29, 5, s5
	v_mbcnt_lo_u32_b32 v30, -1, 0
	s_and_saveexec_b64 s[18:19], s[8:9]
	s_cbranch_execz .LBB354_148
; %bb.11:
	s_load_dwordx2 s[0:1], s[0:1], 0x20
	s_sub_i32 s53, s49, s21
	s_ashr_i32 s6, s50, 31
	v_bfe_u32 v31, v0, 1, 5
	v_mov_b32_e32 v21, 0
	s_waitcnt lgkmcnt(0)
	s_add_u32 s0, s0, s50
	s_addc_u32 s1, s1, s6
	s_abs_i32 s54, s22
	v_cvt_f32_u32_e32 v3, s54
	v_lshlrev_b32_e32 v20, 4, v31
	v_lshl_add_u64 v[22:23], s[0:1], 0, v[20:21]
	s_sub_i32 s0, 0, s54
	v_rcp_iflag_f32_e32 v3, v3
	v_cmp_eq_u32_e32 vcc, 0, v2
	v_lshlrev_b32_e32 v32, 6, v2
	v_lshlrev_b32_e32 v20, 2, v2
	v_mul_f32_e32 v3, 0x4f7ffffe, v3
	v_cvt_u32_f32_e32 v3, v3
	s_mov_b32 s55, s17
	v_cmp_neq_f32_e64 s[6:7], s51, 0
	v_lshl_add_u32 v35, v29, 5, s5
	v_mul_lo_u32 v2, s0, v3
	v_mul_hi_u32 v2, v3, v2
	v_add_u32_e32 v34, v3, v2
	s_lshl_b64 s[0:1], s[38:39], 2
	v_lshlrev_b32_e32 v2, 2, v31
	s_add_u32 s0, s36, s0
	v_lshl_or_b32 v2, v29, 7, v2
	s_addc_u32 s1, s37, s1
	v_add_u32_e32 v36, 0x90, v2
	v_subrev_u32_e32 v2, s33, v31
	v_lshl_add_u64 v[24:25], v[18:19], 2, s[0:1]
	v_add_u32_e32 v37, 1, v2
	s_mov_b64 s[44:45], 0
	v_mov_b32_e32 v38, 0xff7fffff
	s_mov_b32 s56, 0x7f800000
	s_movk_i32 s57, 0x7fff
	v_mbcnt_hi_u32_b32 v39, -1, v30
	v_mov_b32_e32 v33, 0xff7fffff
	v_mov_b32_e32 v40, v18
	s_branch .LBB354_14
.LBB354_12:                             ;   in Loop: Header=BB354_14 Depth=1
	s_or_b64 exec, exec, s[46:47]
.LBB354_13:                             ;   in Loop: Header=BB354_14 Depth=1
	s_or_b64 exec, exec, s[10:11]
	v_add_u32_e32 v40, 2, v40
	v_cmp_le_i32_e64 s[0:1], s20, v40
	v_lshl_add_u64 v[24:25], v[24:25], 0, 8
	v_add_u32_e32 v35, 64, v35
	s_or_b64 s[44:45], s[0:1], s[44:45]
	v_add_u32_e32 v36, 0x100, v36
	s_andn2_b64 exec, exec, s[44:45]
	s_cbranch_execz .LBB354_147
.LBB354_14:                             ; =>This Inner Loop Header: Depth=1
	s_waitcnt lgkmcnt(0)
	v_sub_u32_e32 v3, 0, v35
	v_max_i32_e32 v3, v35, v3
	v_mul_hi_u32 v4, v3, s48
	v_mul_lo_u32 v5, v4, s31
	v_sub_u32_e32 v3, v3, v5
	v_add_u32_e32 v5, 1, v4
	v_cmp_le_u32_e64 s[0:1], s31, v3
	v_ashrrev_i32_e32 v2, 31, v35
	v_xor_b32_e32 v2, s23, v2
	v_cndmask_b32_e64 v4, v4, v5, s[0:1]
	v_subrev_u32_e32 v5, s31, v3
	v_cndmask_b32_e64 v3, v3, v5, s[0:1]
	v_add_u32_e32 v5, 1, v4
	v_cmp_le_u32_e64 s[0:1], s31, v3
	s_nop 1
	v_cndmask_b32_e64 v3, v4, v5, s[0:1]
	v_xor_b32_e32 v3, v3, v2
	v_sub_u32_e32 v2, v3, v2
	v_add_u32_e32 v3, s42, v2
	v_sub_u32_e32 v5, 0, v3
	v_ashrrev_i32_e32 v4, 31, v3
	v_max_i32_e32 v3, v3, v5
	v_mul_hi_u32 v5, v3, v34
	v_mul_lo_u32 v5, v5, s54
	v_sub_u32_e32 v3, v3, v5
	v_subrev_u32_e32 v5, s54, v3
	v_cmp_le_u32_e64 s[0:1], s54, v3
	v_cmp_ge_i32_e64 s[10:11], s53, v2
	s_nop 0
	v_cndmask_b32_e64 v3, v3, v5, s[0:1]
	v_subrev_u32_e32 v5, s54, v3
	v_cmp_le_u32_e64 s[0:1], s54, v3
	s_nop 1
	v_cndmask_b32_e64 v3, v3, v5, s[0:1]
	v_xor_b32_e32 v3, v3, v4
	v_sub_u32_e32 v3, v3, v4
	v_cmp_ne_u32_e64 s[0:1], 0, v3
	s_and_b64 s[0:1], s[0:1], s[10:11]
	s_and_b64 s[46:47], vcc, s[0:1]
	s_and_saveexec_b64 s[10:11], s[46:47]
	s_cbranch_execz .LBB354_16
; %bb.15:                               ;   in Loop: Header=BB354_14 Depth=1
	ds_write_b32 v36, v38
.LBB354_16:                             ;   in Loop: Header=BB354_14 Depth=1
	s_or_b64 exec, exec, s[10:11]
	s_xor_b64 s[0:1], s[0:1], -1
	s_and_saveexec_b64 s[10:11], s[0:1]
	s_cbranch_execz .LBB354_13
; %bb.17:                               ;   in Loop: Header=BB354_14 Depth=1
	global_load_dword v2, v[24:25], off
	s_waitcnt vmcnt(0)
	v_mad_i64_i32 v[2:3], s[0:1], v2, s55, v[22:23]
	v_lshl_add_u64 v[26:27], v[2:3], 0, v[20:21]
	global_load_dword v44, v[26:27], off
	ds_read_b128 v[14:17], v32
	ds_read_b128 v[6:9], v32 offset:16
	s_load_dword s58, s[12:13], 0x0
	s_waitcnt vmcnt(0)
	v_and_b32_e32 v2, 0xff, v44
	v_cvt_f32_fp8_sdwa v41, v2 src0_sel:BYTE_0
	ds_read_b128 v[10:13], v32 offset:32
	ds_read_b128 v[2:5], v32 offset:48
	s_waitcnt lgkmcnt(0)
	v_mul_f32_e32 v42, s58, v41
	v_and_b32_e32 v41, 0x7f800000, v42
	v_cmp_ne_u32_e64 s[0:1], s56, v41
                                        ; implicit-def: $vgpr41
	s_and_saveexec_b64 s[46:47], s[0:1]
	s_xor_b64 s[0:1], exec, s[46:47]
; %bb.18:                               ;   in Loop: Header=BB354_14 Depth=1
	v_bfe_u32 v41, v42, 16, 1
	v_add3_u32 v41, v42, v41, s57
                                        ; implicit-def: $vgpr42
; %bb.19:                               ;   in Loop: Header=BB354_14 Depth=1
	s_andn2_saveexec_b64 s[46:47], s[0:1]
; %bb.20:                               ;   in Loop: Header=BB354_14 Depth=1
	v_or_b32_e32 v41, 0x10000, v42
	v_cmp_eq_u32_sdwa s[0:1], v42, v21 src0_sel:WORD_0 src1_sel:DWORD
	s_nop 1
	v_cndmask_b32_e64 v41, v41, v42, s[0:1]
; %bb.21:                               ;   in Loop: Header=BB354_14 Depth=1
	s_or_b64 exec, exec, s[46:47]
	v_bfe_u32 v42, v44, 8, 8
	v_cvt_f32_fp8_sdwa v42, v42 src0_sel:BYTE_0
	s_nop 0
	v_mul_f32_e32 v43, s58, v42
	v_and_b32_e32 v42, 0x7f800000, v43
	v_cmp_ne_u32_e64 s[0:1], s56, v42
                                        ; implicit-def: $vgpr42
	s_and_saveexec_b64 s[46:47], s[0:1]
	s_xor_b64 s[0:1], exec, s[46:47]
; %bb.22:                               ;   in Loop: Header=BB354_14 Depth=1
	v_bfe_u32 v42, v43, 16, 1
	v_add3_u32 v42, v43, v42, s57
                                        ; implicit-def: $vgpr43
; %bb.23:                               ;   in Loop: Header=BB354_14 Depth=1
	s_andn2_saveexec_b64 s[46:47], s[0:1]
; %bb.24:                               ;   in Loop: Header=BB354_14 Depth=1
	v_or_b32_e32 v42, 0x10000, v43
	v_cmp_eq_u32_sdwa s[0:1], v43, v21 src0_sel:WORD_0 src1_sel:DWORD
	s_nop 1
	v_cndmask_b32_e64 v42, v42, v43, s[0:1]
; %bb.25:                               ;   in Loop: Header=BB354_14 Depth=1
	s_or_b64 exec, exec, s[46:47]
	v_bfe_u32 v43, v44, 16, 8
	v_cvt_f32_fp8_sdwa v43, v43 src0_sel:BYTE_0
	s_nop 0
	v_mul_f32_e32 v45, s58, v43
	v_and_b32_e32 v43, 0x7f800000, v45
	v_cmp_ne_u32_e64 s[0:1], s56, v43
                                        ; implicit-def: $vgpr43
	s_and_saveexec_b64 s[46:47], s[0:1]
	s_xor_b64 s[0:1], exec, s[46:47]
; %bb.26:                               ;   in Loop: Header=BB354_14 Depth=1
	v_bfe_u32 v43, v45, 16, 1
	v_add3_u32 v43, v45, v43, s57
                                        ; implicit-def: $vgpr45
; %bb.27:                               ;   in Loop: Header=BB354_14 Depth=1
	s_andn2_saveexec_b64 s[46:47], s[0:1]
; %bb.28:                               ;   in Loop: Header=BB354_14 Depth=1
	v_or_b32_e32 v43, 0x10000, v45
	v_cmp_eq_u32_sdwa s[0:1], v45, v21 src0_sel:WORD_0 src1_sel:DWORD
	s_nop 1
	v_cndmask_b32_e64 v43, v43, v45, s[0:1]
; %bb.29:                               ;   in Loop: Header=BB354_14 Depth=1
	s_or_b64 exec, exec, s[46:47]
	v_lshrrev_b32_e32 v44, 24, v44
	v_cvt_f32_fp8_sdwa v44, v44 src0_sel:BYTE_0
	s_nop 0
	v_mul_f32_e32 v45, s58, v44
	v_and_b32_e32 v44, 0x7f800000, v45
	v_cmp_ne_u32_e64 s[0:1], s56, v44
                                        ; implicit-def: $vgpr44
	s_and_saveexec_b64 s[46:47], s[0:1]
	s_xor_b64 s[0:1], exec, s[46:47]
; %bb.30:                               ;   in Loop: Header=BB354_14 Depth=1
	v_bfe_u32 v44, v45, 16, 1
	v_add3_u32 v44, v45, v44, s57
                                        ; implicit-def: $vgpr45
; %bb.31:                               ;   in Loop: Header=BB354_14 Depth=1
	s_andn2_saveexec_b64 s[46:47], s[0:1]
; %bb.32:                               ;   in Loop: Header=BB354_14 Depth=1
	v_or_b32_e32 v44, 0x10000, v45
	v_cmp_eq_u32_sdwa s[0:1], v45, v21 src0_sel:WORD_0 src1_sel:DWORD
	s_nop 1
	v_cndmask_b32_e64 v44, v44, v45, s[0:1]
; %bb.33:                               ;   in Loop: Header=BB354_14 Depth=1
	s_or_b64 exec, exec, s[46:47]
	global_load_dword v48, v[26:27], off offset:8
	s_waitcnt vmcnt(0)
	v_and_b32_e32 v45, 0xff, v48
	v_cvt_f32_fp8_sdwa v45, v45 src0_sel:BYTE_0
	s_nop 0
	v_mul_f32_e32 v46, s58, v45
	v_and_b32_e32 v45, 0x7f800000, v46
	v_cmp_ne_u32_e64 s[0:1], s56, v45
                                        ; implicit-def: $vgpr45
	s_and_saveexec_b64 s[46:47], s[0:1]
	s_xor_b64 s[0:1], exec, s[46:47]
; %bb.34:                               ;   in Loop: Header=BB354_14 Depth=1
	v_bfe_u32 v45, v46, 16, 1
	v_add3_u32 v45, v46, v45, s57
                                        ; implicit-def: $vgpr46
; %bb.35:                               ;   in Loop: Header=BB354_14 Depth=1
	s_andn2_saveexec_b64 s[46:47], s[0:1]
; %bb.36:                               ;   in Loop: Header=BB354_14 Depth=1
	v_or_b32_e32 v45, 0x10000, v46
	v_cmp_eq_u32_sdwa s[0:1], v46, v21 src0_sel:WORD_0 src1_sel:DWORD
	s_nop 1
	v_cndmask_b32_e64 v45, v45, v46, s[0:1]
; %bb.37:                               ;   in Loop: Header=BB354_14 Depth=1
	s_or_b64 exec, exec, s[46:47]
	v_bfe_u32 v46, v48, 8, 8
	v_cvt_f32_fp8_sdwa v46, v46 src0_sel:BYTE_0
	s_nop 0
	v_mul_f32_e32 v47, s58, v46
	v_and_b32_e32 v46, 0x7f800000, v47
	v_cmp_ne_u32_e64 s[0:1], s56, v46
                                        ; implicit-def: $vgpr46
	s_and_saveexec_b64 s[46:47], s[0:1]
	s_xor_b64 s[0:1], exec, s[46:47]
; %bb.38:                               ;   in Loop: Header=BB354_14 Depth=1
	v_bfe_u32 v46, v47, 16, 1
	v_add3_u32 v46, v47, v46, s57
                                        ; implicit-def: $vgpr47
; %bb.39:                               ;   in Loop: Header=BB354_14 Depth=1
	s_andn2_saveexec_b64 s[46:47], s[0:1]
; %bb.40:                               ;   in Loop: Header=BB354_14 Depth=1
	v_or_b32_e32 v46, 0x10000, v47
	v_cmp_eq_u32_sdwa s[0:1], v47, v21 src0_sel:WORD_0 src1_sel:DWORD
	s_nop 1
	v_cndmask_b32_e64 v46, v46, v47, s[0:1]
; %bb.41:                               ;   in Loop: Header=BB354_14 Depth=1
	s_or_b64 exec, exec, s[46:47]
	v_bfe_u32 v47, v48, 16, 8
	v_cvt_f32_fp8_sdwa v47, v47 src0_sel:BYTE_0
	s_nop 0
	v_mul_f32_e32 v49, s58, v47
	v_and_b32_e32 v47, 0x7f800000, v49
	v_cmp_ne_u32_e64 s[0:1], s56, v47
                                        ; implicit-def: $vgpr47
	s_and_saveexec_b64 s[46:47], s[0:1]
	s_xor_b64 s[0:1], exec, s[46:47]
; %bb.42:                               ;   in Loop: Header=BB354_14 Depth=1
	v_bfe_u32 v47, v49, 16, 1
	v_add3_u32 v47, v49, v47, s57
                                        ; implicit-def: $vgpr49
; %bb.43:                               ;   in Loop: Header=BB354_14 Depth=1
	s_andn2_saveexec_b64 s[46:47], s[0:1]
; %bb.44:                               ;   in Loop: Header=BB354_14 Depth=1
	v_or_b32_e32 v47, 0x10000, v49
	v_cmp_eq_u32_sdwa s[0:1], v49, v21 src0_sel:WORD_0 src1_sel:DWORD
	s_nop 1
	v_cndmask_b32_e64 v47, v47, v49, s[0:1]
; %bb.45:                               ;   in Loop: Header=BB354_14 Depth=1
	s_or_b64 exec, exec, s[46:47]
	v_lshrrev_b32_e32 v48, 24, v48
	v_cvt_f32_fp8_sdwa v48, v48 src0_sel:BYTE_0
	s_nop 0
	v_mul_f32_e32 v49, s58, v48
	v_and_b32_e32 v48, 0x7f800000, v49
	v_cmp_ne_u32_e64 s[0:1], s56, v48
                                        ; implicit-def: $vgpr48
	s_and_saveexec_b64 s[46:47], s[0:1]
	s_xor_b64 s[0:1], exec, s[46:47]
; %bb.46:                               ;   in Loop: Header=BB354_14 Depth=1
	v_bfe_u32 v48, v49, 16, 1
	v_add3_u32 v48, v49, v48, s57
                                        ; implicit-def: $vgpr49
; %bb.47:                               ;   in Loop: Header=BB354_14 Depth=1
	s_andn2_saveexec_b64 s[46:47], s[0:1]
; %bb.48:                               ;   in Loop: Header=BB354_14 Depth=1
	v_or_b32_e32 v48, 0x10000, v49
	v_cmp_eq_u32_sdwa s[0:1], v49, v21 src0_sel:WORD_0 src1_sel:DWORD
	s_nop 1
	v_cndmask_b32_e64 v48, v48, v49, s[0:1]
; %bb.49:                               ;   in Loop: Header=BB354_14 Depth=1
	s_or_b64 exec, exec, s[46:47]
	global_load_dword v52, v[26:27], off offset:512
	s_waitcnt vmcnt(0)
	v_and_b32_e32 v49, 0xff, v52
	v_cvt_f32_fp8_sdwa v49, v49 src0_sel:BYTE_0
	s_nop 0
	v_mul_f32_e32 v50, s58, v49
	v_and_b32_e32 v49, 0x7f800000, v50
	v_cmp_ne_u32_e64 s[0:1], s56, v49
                                        ; implicit-def: $vgpr49
	s_and_saveexec_b64 s[46:47], s[0:1]
	s_xor_b64 s[0:1], exec, s[46:47]
; %bb.50:                               ;   in Loop: Header=BB354_14 Depth=1
	v_bfe_u32 v49, v50, 16, 1
	v_add3_u32 v49, v50, v49, s57
                                        ; implicit-def: $vgpr50
; %bb.51:                               ;   in Loop: Header=BB354_14 Depth=1
	s_andn2_saveexec_b64 s[46:47], s[0:1]
; %bb.52:                               ;   in Loop: Header=BB354_14 Depth=1
	v_or_b32_e32 v49, 0x10000, v50
	v_cmp_eq_u32_sdwa s[0:1], v50, v21 src0_sel:WORD_0 src1_sel:DWORD
	s_nop 1
	v_cndmask_b32_e64 v49, v49, v50, s[0:1]
; %bb.53:                               ;   in Loop: Header=BB354_14 Depth=1
	s_or_b64 exec, exec, s[46:47]
	v_bfe_u32 v50, v52, 8, 8
	v_cvt_f32_fp8_sdwa v50, v50 src0_sel:BYTE_0
	s_nop 0
	v_mul_f32_e32 v51, s58, v50
	v_and_b32_e32 v50, 0x7f800000, v51
	v_cmp_ne_u32_e64 s[0:1], s56, v50
                                        ; implicit-def: $vgpr50
	s_and_saveexec_b64 s[46:47], s[0:1]
	s_xor_b64 s[0:1], exec, s[46:47]
; %bb.54:                               ;   in Loop: Header=BB354_14 Depth=1
	v_bfe_u32 v50, v51, 16, 1
	v_add3_u32 v50, v51, v50, s57
                                        ; implicit-def: $vgpr51
; %bb.55:                               ;   in Loop: Header=BB354_14 Depth=1
	s_andn2_saveexec_b64 s[46:47], s[0:1]
; %bb.56:                               ;   in Loop: Header=BB354_14 Depth=1
	v_or_b32_e32 v50, 0x10000, v51
	v_cmp_eq_u32_sdwa s[0:1], v51, v21 src0_sel:WORD_0 src1_sel:DWORD
	s_nop 1
	v_cndmask_b32_e64 v50, v50, v51, s[0:1]
; %bb.57:                               ;   in Loop: Header=BB354_14 Depth=1
	s_or_b64 exec, exec, s[46:47]
	v_bfe_u32 v51, v52, 16, 8
	v_cvt_f32_fp8_sdwa v51, v51 src0_sel:BYTE_0
	s_nop 0
	v_mul_f32_e32 v53, s58, v51
	v_and_b32_e32 v51, 0x7f800000, v53
	v_cmp_ne_u32_e64 s[0:1], s56, v51
                                        ; implicit-def: $vgpr51
	s_and_saveexec_b64 s[46:47], s[0:1]
	s_xor_b64 s[0:1], exec, s[46:47]
; %bb.58:                               ;   in Loop: Header=BB354_14 Depth=1
	v_bfe_u32 v51, v53, 16, 1
	v_add3_u32 v51, v53, v51, s57
                                        ; implicit-def: $vgpr53
; %bb.59:                               ;   in Loop: Header=BB354_14 Depth=1
	s_andn2_saveexec_b64 s[46:47], s[0:1]
; %bb.60:                               ;   in Loop: Header=BB354_14 Depth=1
	v_or_b32_e32 v51, 0x10000, v53
	v_cmp_eq_u32_sdwa s[0:1], v53, v21 src0_sel:WORD_0 src1_sel:DWORD
	s_nop 1
	v_cndmask_b32_e64 v51, v51, v53, s[0:1]
; %bb.61:                               ;   in Loop: Header=BB354_14 Depth=1
	s_or_b64 exec, exec, s[46:47]
	v_lshrrev_b32_e32 v52, 24, v52
	v_cvt_f32_fp8_sdwa v52, v52 src0_sel:BYTE_0
	s_nop 0
	v_mul_f32_e32 v53, s58, v52
	v_and_b32_e32 v52, 0x7f800000, v53
	v_cmp_ne_u32_e64 s[0:1], s56, v52
                                        ; implicit-def: $vgpr52
	s_and_saveexec_b64 s[46:47], s[0:1]
	s_xor_b64 s[0:1], exec, s[46:47]
; %bb.62:                               ;   in Loop: Header=BB354_14 Depth=1
	v_bfe_u32 v52, v53, 16, 1
	v_add3_u32 v52, v53, v52, s57
                                        ; implicit-def: $vgpr53
; %bb.63:                               ;   in Loop: Header=BB354_14 Depth=1
	s_andn2_saveexec_b64 s[46:47], s[0:1]
; %bb.64:                               ;   in Loop: Header=BB354_14 Depth=1
	v_or_b32_e32 v52, 0x10000, v53
	v_cmp_eq_u32_sdwa s[0:1], v53, v21 src0_sel:WORD_0 src1_sel:DWORD
	s_nop 1
	v_cndmask_b32_e64 v52, v52, v53, s[0:1]
; %bb.65:                               ;   in Loop: Header=BB354_14 Depth=1
	s_or_b64 exec, exec, s[46:47]
	global_load_dword v56, v[26:27], off offset:520
	s_waitcnt vmcnt(0)
	v_and_b32_e32 v53, 0xff, v56
	v_cvt_f32_fp8_sdwa v53, v53 src0_sel:BYTE_0
	s_nop 0
	v_mul_f32_e32 v54, s58, v53
	v_and_b32_e32 v53, 0x7f800000, v54
	v_cmp_ne_u32_e64 s[0:1], s56, v53
                                        ; implicit-def: $vgpr53
	s_and_saveexec_b64 s[46:47], s[0:1]
	s_xor_b64 s[0:1], exec, s[46:47]
; %bb.66:                               ;   in Loop: Header=BB354_14 Depth=1
	v_bfe_u32 v53, v54, 16, 1
	v_add3_u32 v53, v54, v53, s57
                                        ; implicit-def: $vgpr54
; %bb.67:                               ;   in Loop: Header=BB354_14 Depth=1
	s_andn2_saveexec_b64 s[46:47], s[0:1]
; %bb.68:                               ;   in Loop: Header=BB354_14 Depth=1
	v_or_b32_e32 v53, 0x10000, v54
	v_cmp_eq_u32_sdwa s[0:1], v54, v21 src0_sel:WORD_0 src1_sel:DWORD
	s_nop 1
	v_cndmask_b32_e64 v53, v53, v54, s[0:1]
; %bb.69:                               ;   in Loop: Header=BB354_14 Depth=1
	s_or_b64 exec, exec, s[46:47]
	v_bfe_u32 v54, v56, 8, 8
	v_cvt_f32_fp8_sdwa v54, v54 src0_sel:BYTE_0
	s_nop 0
	v_mul_f32_e32 v55, s58, v54
	v_and_b32_e32 v54, 0x7f800000, v55
	v_cmp_ne_u32_e64 s[0:1], s56, v54
                                        ; implicit-def: $vgpr54
	s_and_saveexec_b64 s[46:47], s[0:1]
	s_xor_b64 s[0:1], exec, s[46:47]
; %bb.70:                               ;   in Loop: Header=BB354_14 Depth=1
	v_bfe_u32 v54, v55, 16, 1
	v_add3_u32 v54, v55, v54, s57
                                        ; implicit-def: $vgpr55
; %bb.71:                               ;   in Loop: Header=BB354_14 Depth=1
	s_andn2_saveexec_b64 s[46:47], s[0:1]
; %bb.72:                               ;   in Loop: Header=BB354_14 Depth=1
	v_or_b32_e32 v54, 0x10000, v55
	v_cmp_eq_u32_sdwa s[0:1], v55, v21 src0_sel:WORD_0 src1_sel:DWORD
	s_nop 1
	v_cndmask_b32_e64 v54, v54, v55, s[0:1]
; %bb.73:                               ;   in Loop: Header=BB354_14 Depth=1
	s_or_b64 exec, exec, s[46:47]
	v_bfe_u32 v55, v56, 16, 8
	v_cvt_f32_fp8_sdwa v55, v55 src0_sel:BYTE_0
	s_nop 0
	v_mul_f32_e32 v57, s58, v55
	v_and_b32_e32 v55, 0x7f800000, v57
	v_cmp_ne_u32_e64 s[0:1], s56, v55
                                        ; implicit-def: $vgpr55
	s_and_saveexec_b64 s[46:47], s[0:1]
	s_xor_b64 s[0:1], exec, s[46:47]
; %bb.74:                               ;   in Loop: Header=BB354_14 Depth=1
	v_bfe_u32 v55, v57, 16, 1
	v_add3_u32 v55, v57, v55, s57
                                        ; implicit-def: $vgpr57
; %bb.75:                               ;   in Loop: Header=BB354_14 Depth=1
	s_andn2_saveexec_b64 s[46:47], s[0:1]
; %bb.76:                               ;   in Loop: Header=BB354_14 Depth=1
	v_or_b32_e32 v55, 0x10000, v57
	v_cmp_eq_u32_sdwa s[0:1], v57, v21 src0_sel:WORD_0 src1_sel:DWORD
	s_nop 1
	v_cndmask_b32_e64 v55, v55, v57, s[0:1]
; %bb.77:                               ;   in Loop: Header=BB354_14 Depth=1
	s_or_b64 exec, exec, s[46:47]
	v_lshrrev_b32_e32 v56, 24, v56
	v_cvt_f32_fp8_sdwa v56, v56 src0_sel:BYTE_0
	s_nop 0
	v_mul_f32_e32 v57, s58, v56
	v_and_b32_e32 v56, 0x7f800000, v57
	v_cmp_ne_u32_e64 s[0:1], s56, v56
                                        ; implicit-def: $vgpr56
	s_and_saveexec_b64 s[46:47], s[0:1]
	s_xor_b64 s[0:1], exec, s[46:47]
; %bb.78:                               ;   in Loop: Header=BB354_14 Depth=1
	v_bfe_u32 v56, v57, 16, 1
	v_add3_u32 v56, v57, v56, s57
                                        ; implicit-def: $vgpr57
; %bb.79:                               ;   in Loop: Header=BB354_14 Depth=1
	s_andn2_saveexec_b64 s[46:47], s[0:1]
; %bb.80:                               ;   in Loop: Header=BB354_14 Depth=1
	v_or_b32_e32 v56, 0x10000, v57
	v_cmp_eq_u32_sdwa s[0:1], v57, v21 src0_sel:WORD_0 src1_sel:DWORD
	s_nop 1
	v_cndmask_b32_e64 v56, v56, v57, s[0:1]
; %bb.81:                               ;   in Loop: Header=BB354_14 Depth=1
	s_or_b64 exec, exec, s[46:47]
	global_load_dword v60, v[26:27], off offset:1024
	s_waitcnt vmcnt(0)
	v_and_b32_e32 v57, 0xff, v60
	v_cvt_f32_fp8_sdwa v57, v57 src0_sel:BYTE_0
	s_nop 0
	v_mul_f32_e32 v58, s58, v57
	v_and_b32_e32 v57, 0x7f800000, v58
	v_cmp_ne_u32_e64 s[0:1], s56, v57
                                        ; implicit-def: $vgpr57
	s_and_saveexec_b64 s[46:47], s[0:1]
	s_xor_b64 s[0:1], exec, s[46:47]
; %bb.82:                               ;   in Loop: Header=BB354_14 Depth=1
	v_bfe_u32 v57, v58, 16, 1
	v_add3_u32 v57, v58, v57, s57
                                        ; implicit-def: $vgpr58
; %bb.83:                               ;   in Loop: Header=BB354_14 Depth=1
	s_andn2_saveexec_b64 s[46:47], s[0:1]
; %bb.84:                               ;   in Loop: Header=BB354_14 Depth=1
	v_or_b32_e32 v57, 0x10000, v58
	v_cmp_eq_u32_sdwa s[0:1], v58, v21 src0_sel:WORD_0 src1_sel:DWORD
	s_nop 1
	v_cndmask_b32_e64 v57, v57, v58, s[0:1]
; %bb.85:                               ;   in Loop: Header=BB354_14 Depth=1
	s_or_b64 exec, exec, s[46:47]
	v_bfe_u32 v58, v60, 8, 8
	v_cvt_f32_fp8_sdwa v58, v58 src0_sel:BYTE_0
	s_nop 0
	v_mul_f32_e32 v59, s58, v58
	v_and_b32_e32 v58, 0x7f800000, v59
	v_cmp_ne_u32_e64 s[0:1], s56, v58
                                        ; implicit-def: $vgpr58
	s_and_saveexec_b64 s[46:47], s[0:1]
	s_xor_b64 s[0:1], exec, s[46:47]
; %bb.86:                               ;   in Loop: Header=BB354_14 Depth=1
	v_bfe_u32 v58, v59, 16, 1
	v_add3_u32 v58, v59, v58, s57
                                        ; implicit-def: $vgpr59
; %bb.87:                               ;   in Loop: Header=BB354_14 Depth=1
	s_andn2_saveexec_b64 s[46:47], s[0:1]
; %bb.88:                               ;   in Loop: Header=BB354_14 Depth=1
	v_or_b32_e32 v58, 0x10000, v59
	v_cmp_eq_u32_sdwa s[0:1], v59, v21 src0_sel:WORD_0 src1_sel:DWORD
	s_nop 1
	v_cndmask_b32_e64 v58, v58, v59, s[0:1]
; %bb.89:                               ;   in Loop: Header=BB354_14 Depth=1
	s_or_b64 exec, exec, s[46:47]
	v_bfe_u32 v59, v60, 16, 8
	v_cvt_f32_fp8_sdwa v59, v59 src0_sel:BYTE_0
	s_nop 0
	v_mul_f32_e32 v61, s58, v59
	v_and_b32_e32 v59, 0x7f800000, v61
	v_cmp_ne_u32_e64 s[0:1], s56, v59
                                        ; implicit-def: $vgpr59
	s_and_saveexec_b64 s[46:47], s[0:1]
	s_xor_b64 s[0:1], exec, s[46:47]
; %bb.90:                               ;   in Loop: Header=BB354_14 Depth=1
	v_bfe_u32 v59, v61, 16, 1
	v_add3_u32 v59, v61, v59, s57
                                        ; implicit-def: $vgpr61
; %bb.91:                               ;   in Loop: Header=BB354_14 Depth=1
	s_andn2_saveexec_b64 s[46:47], s[0:1]
; %bb.92:                               ;   in Loop: Header=BB354_14 Depth=1
	v_or_b32_e32 v59, 0x10000, v61
	v_cmp_eq_u32_sdwa s[0:1], v61, v21 src0_sel:WORD_0 src1_sel:DWORD
	s_nop 1
	v_cndmask_b32_e64 v59, v59, v61, s[0:1]
; %bb.93:                               ;   in Loop: Header=BB354_14 Depth=1
	s_or_b64 exec, exec, s[46:47]
	v_lshrrev_b32_e32 v60, 24, v60
	v_cvt_f32_fp8_sdwa v60, v60 src0_sel:BYTE_0
	s_nop 0
	v_mul_f32_e32 v61, s58, v60
	v_and_b32_e32 v60, 0x7f800000, v61
	v_cmp_ne_u32_e64 s[0:1], s56, v60
                                        ; implicit-def: $vgpr60
	s_and_saveexec_b64 s[46:47], s[0:1]
	s_xor_b64 s[0:1], exec, s[46:47]
; %bb.94:                               ;   in Loop: Header=BB354_14 Depth=1
	v_bfe_u32 v60, v61, 16, 1
	v_add3_u32 v60, v61, v60, s57
                                        ; implicit-def: $vgpr61
; %bb.95:                               ;   in Loop: Header=BB354_14 Depth=1
	s_andn2_saveexec_b64 s[46:47], s[0:1]
; %bb.96:                               ;   in Loop: Header=BB354_14 Depth=1
	v_or_b32_e32 v60, 0x10000, v61
	v_cmp_eq_u32_sdwa s[0:1], v61, v21 src0_sel:WORD_0 src1_sel:DWORD
	s_nop 1
	v_cndmask_b32_e64 v60, v60, v61, s[0:1]
; %bb.97:                               ;   in Loop: Header=BB354_14 Depth=1
	s_or_b64 exec, exec, s[46:47]
	global_load_dword v64, v[26:27], off offset:1032
	s_waitcnt vmcnt(0)
	v_and_b32_e32 v61, 0xff, v64
	v_cvt_f32_fp8_sdwa v61, v61 src0_sel:BYTE_0
	s_nop 0
	v_mul_f32_e32 v62, s58, v61
	v_and_b32_e32 v61, 0x7f800000, v62
	v_cmp_ne_u32_e64 s[0:1], s56, v61
                                        ; implicit-def: $vgpr61
	s_and_saveexec_b64 s[46:47], s[0:1]
	s_xor_b64 s[0:1], exec, s[46:47]
; %bb.98:                               ;   in Loop: Header=BB354_14 Depth=1
	v_bfe_u32 v61, v62, 16, 1
	v_add3_u32 v61, v62, v61, s57
                                        ; implicit-def: $vgpr62
; %bb.99:                               ;   in Loop: Header=BB354_14 Depth=1
	s_andn2_saveexec_b64 s[46:47], s[0:1]
; %bb.100:                              ;   in Loop: Header=BB354_14 Depth=1
	v_or_b32_e32 v61, 0x10000, v62
	v_cmp_eq_u32_sdwa s[0:1], v62, v21 src0_sel:WORD_0 src1_sel:DWORD
	s_nop 1
	v_cndmask_b32_e64 v61, v61, v62, s[0:1]
; %bb.101:                              ;   in Loop: Header=BB354_14 Depth=1
	s_or_b64 exec, exec, s[46:47]
	v_bfe_u32 v62, v64, 8, 8
	v_cvt_f32_fp8_sdwa v62, v62 src0_sel:BYTE_0
	s_nop 0
	v_mul_f32_e32 v63, s58, v62
	v_and_b32_e32 v62, 0x7f800000, v63
	v_cmp_ne_u32_e64 s[0:1], s56, v62
                                        ; implicit-def: $vgpr62
	s_and_saveexec_b64 s[46:47], s[0:1]
	s_xor_b64 s[0:1], exec, s[46:47]
; %bb.102:                              ;   in Loop: Header=BB354_14 Depth=1
	v_bfe_u32 v62, v63, 16, 1
	v_add3_u32 v62, v63, v62, s57
                                        ; implicit-def: $vgpr63
; %bb.103:                              ;   in Loop: Header=BB354_14 Depth=1
	s_andn2_saveexec_b64 s[46:47], s[0:1]
; %bb.104:                              ;   in Loop: Header=BB354_14 Depth=1
	v_or_b32_e32 v62, 0x10000, v63
	v_cmp_eq_u32_sdwa s[0:1], v63, v21 src0_sel:WORD_0 src1_sel:DWORD
	s_nop 1
	v_cndmask_b32_e64 v62, v62, v63, s[0:1]
; %bb.105:                              ;   in Loop: Header=BB354_14 Depth=1
	s_or_b64 exec, exec, s[46:47]
	v_bfe_u32 v63, v64, 16, 8
	v_cvt_f32_fp8_sdwa v63, v63 src0_sel:BYTE_0
	s_nop 0
	v_mul_f32_e32 v65, s58, v63
	v_and_b32_e32 v63, 0x7f800000, v65
	v_cmp_ne_u32_e64 s[0:1], s56, v63
                                        ; implicit-def: $vgpr63
	s_and_saveexec_b64 s[46:47], s[0:1]
	s_xor_b64 s[0:1], exec, s[46:47]
; %bb.106:                              ;   in Loop: Header=BB354_14 Depth=1
	v_bfe_u32 v63, v65, 16, 1
	v_add3_u32 v63, v65, v63, s57
                                        ; implicit-def: $vgpr65
; %bb.107:                              ;   in Loop: Header=BB354_14 Depth=1
	s_andn2_saveexec_b64 s[46:47], s[0:1]
; %bb.108:                              ;   in Loop: Header=BB354_14 Depth=1
	v_or_b32_e32 v63, 0x10000, v65
	v_cmp_eq_u32_sdwa s[0:1], v65, v21 src0_sel:WORD_0 src1_sel:DWORD
	s_nop 1
	v_cndmask_b32_e64 v63, v63, v65, s[0:1]
; %bb.109:                              ;   in Loop: Header=BB354_14 Depth=1
	s_or_b64 exec, exec, s[46:47]
	v_lshrrev_b32_e32 v64, 24, v64
	v_cvt_f32_fp8_sdwa v64, v64 src0_sel:BYTE_0
	s_nop 0
	v_mul_f32_e32 v65, s58, v64
	v_and_b32_e32 v64, 0x7f800000, v65
	v_cmp_ne_u32_e64 s[0:1], s56, v64
                                        ; implicit-def: $vgpr64
	s_and_saveexec_b64 s[46:47], s[0:1]
	s_xor_b64 s[0:1], exec, s[46:47]
; %bb.110:                              ;   in Loop: Header=BB354_14 Depth=1
	v_bfe_u32 v64, v65, 16, 1
	v_add3_u32 v64, v65, v64, s57
                                        ; implicit-def: $vgpr65
; %bb.111:                              ;   in Loop: Header=BB354_14 Depth=1
	s_andn2_saveexec_b64 s[46:47], s[0:1]
; %bb.112:                              ;   in Loop: Header=BB354_14 Depth=1
	v_or_b32_e32 v64, 0x10000, v65
	v_cmp_eq_u32_sdwa s[0:1], v65, v21 src0_sel:WORD_0 src1_sel:DWORD
	s_nop 1
	v_cndmask_b32_e64 v64, v64, v65, s[0:1]
; %bb.113:                              ;   in Loop: Header=BB354_14 Depth=1
	s_or_b64 exec, exec, s[46:47]
	global_load_dword v68, v[26:27], off offset:1536
	s_waitcnt vmcnt(0)
	v_and_b32_e32 v65, 0xff, v68
	v_cvt_f32_fp8_sdwa v65, v65 src0_sel:BYTE_0
	s_nop 0
	v_mul_f32_e32 v66, s58, v65
	v_and_b32_e32 v65, 0x7f800000, v66
	v_cmp_ne_u32_e64 s[0:1], s56, v65
                                        ; implicit-def: $vgpr65
	s_and_saveexec_b64 s[46:47], s[0:1]
	s_xor_b64 s[0:1], exec, s[46:47]
; %bb.114:                              ;   in Loop: Header=BB354_14 Depth=1
	v_bfe_u32 v65, v66, 16, 1
	v_add3_u32 v65, v66, v65, s57
                                        ; implicit-def: $vgpr66
; %bb.115:                              ;   in Loop: Header=BB354_14 Depth=1
	s_andn2_saveexec_b64 s[46:47], s[0:1]
; %bb.116:                              ;   in Loop: Header=BB354_14 Depth=1
	v_or_b32_e32 v65, 0x10000, v66
	v_cmp_eq_u32_sdwa s[0:1], v66, v21 src0_sel:WORD_0 src1_sel:DWORD
	s_nop 1
	v_cndmask_b32_e64 v65, v65, v66, s[0:1]
; %bb.117:                              ;   in Loop: Header=BB354_14 Depth=1
	s_or_b64 exec, exec, s[46:47]
	v_bfe_u32 v66, v68, 8, 8
	v_cvt_f32_fp8_sdwa v66, v66 src0_sel:BYTE_0
	s_nop 0
	v_mul_f32_e32 v67, s58, v66
	v_and_b32_e32 v66, 0x7f800000, v67
	v_cmp_ne_u32_e64 s[0:1], s56, v66
                                        ; implicit-def: $vgpr66
	s_and_saveexec_b64 s[46:47], s[0:1]
	s_xor_b64 s[0:1], exec, s[46:47]
; %bb.118:                              ;   in Loop: Header=BB354_14 Depth=1
	v_bfe_u32 v66, v67, 16, 1
	v_add3_u32 v66, v67, v66, s57
                                        ; implicit-def: $vgpr67
; %bb.119:                              ;   in Loop: Header=BB354_14 Depth=1
	s_andn2_saveexec_b64 s[46:47], s[0:1]
; %bb.120:                              ;   in Loop: Header=BB354_14 Depth=1
	v_or_b32_e32 v66, 0x10000, v67
	v_cmp_eq_u32_sdwa s[0:1], v67, v21 src0_sel:WORD_0 src1_sel:DWORD
	s_nop 1
	v_cndmask_b32_e64 v66, v66, v67, s[0:1]
; %bb.121:                              ;   in Loop: Header=BB354_14 Depth=1
	s_or_b64 exec, exec, s[46:47]
	v_bfe_u32 v67, v68, 16, 8
	v_cvt_f32_fp8_sdwa v67, v67 src0_sel:BYTE_0
	s_nop 0
	v_mul_f32_e32 v69, s58, v67
	v_and_b32_e32 v67, 0x7f800000, v69
	v_cmp_ne_u32_e64 s[0:1], s56, v67
                                        ; implicit-def: $vgpr67
	s_and_saveexec_b64 s[46:47], s[0:1]
	s_xor_b64 s[0:1], exec, s[46:47]
; %bb.122:                              ;   in Loop: Header=BB354_14 Depth=1
	v_bfe_u32 v67, v69, 16, 1
	v_add3_u32 v67, v69, v67, s57
                                        ; implicit-def: $vgpr69
; %bb.123:                              ;   in Loop: Header=BB354_14 Depth=1
	s_andn2_saveexec_b64 s[46:47], s[0:1]
; %bb.124:                              ;   in Loop: Header=BB354_14 Depth=1
	v_or_b32_e32 v67, 0x10000, v69
	v_cmp_eq_u32_sdwa s[0:1], v69, v21 src0_sel:WORD_0 src1_sel:DWORD
	s_nop 1
	v_cndmask_b32_e64 v67, v67, v69, s[0:1]
; %bb.125:                              ;   in Loop: Header=BB354_14 Depth=1
	s_or_b64 exec, exec, s[46:47]
	v_lshrrev_b32_e32 v68, 24, v68
	v_cvt_f32_fp8_sdwa v68, v68 src0_sel:BYTE_0
	s_nop 0
	v_mul_f32_e32 v69, s58, v68
	v_and_b32_e32 v68, 0x7f800000, v69
	v_cmp_ne_u32_e64 s[0:1], s56, v68
                                        ; implicit-def: $vgpr68
	s_and_saveexec_b64 s[46:47], s[0:1]
	s_xor_b64 s[0:1], exec, s[46:47]
; %bb.126:                              ;   in Loop: Header=BB354_14 Depth=1
	v_bfe_u32 v68, v69, 16, 1
	v_add3_u32 v68, v69, v68, s57
                                        ; implicit-def: $vgpr69
; %bb.127:                              ;   in Loop: Header=BB354_14 Depth=1
	s_andn2_saveexec_b64 s[46:47], s[0:1]
; %bb.128:                              ;   in Loop: Header=BB354_14 Depth=1
	v_or_b32_e32 v68, 0x10000, v69
	v_cmp_eq_u32_sdwa s[0:1], v69, v21 src0_sel:WORD_0 src1_sel:DWORD
	s_nop 1
	v_cndmask_b32_e64 v68, v68, v69, s[0:1]
; %bb.129:                              ;   in Loop: Header=BB354_14 Depth=1
	s_or_b64 exec, exec, s[46:47]
	global_load_dword v69, v[26:27], off offset:1544
	s_waitcnt vmcnt(0)
	v_and_b32_e32 v26, 0xff, v69
	v_cvt_f32_fp8_sdwa v26, v26 src0_sel:BYTE_0
	s_nop 0
	v_mul_f32_e32 v27, s58, v26
	v_and_b32_e32 v26, 0x7f800000, v27
	v_cmp_ne_u32_e64 s[0:1], s56, v26
                                        ; implicit-def: $vgpr26
	s_and_saveexec_b64 s[46:47], s[0:1]
	s_xor_b64 s[0:1], exec, s[46:47]
; %bb.130:                              ;   in Loop: Header=BB354_14 Depth=1
	v_bfe_u32 v26, v27, 16, 1
	v_add3_u32 v26, v27, v26, s57
                                        ; implicit-def: $vgpr27
; %bb.131:                              ;   in Loop: Header=BB354_14 Depth=1
	s_andn2_saveexec_b64 s[46:47], s[0:1]
; %bb.132:                              ;   in Loop: Header=BB354_14 Depth=1
	v_or_b32_e32 v26, 0x10000, v27
	v_cmp_eq_u32_sdwa s[0:1], v27, v21 src0_sel:WORD_0 src1_sel:DWORD
	s_nop 1
	v_cndmask_b32_e64 v26, v26, v27, s[0:1]
; %bb.133:                              ;   in Loop: Header=BB354_14 Depth=1
	s_or_b64 exec, exec, s[46:47]
	v_bfe_u32 v27, v69, 8, 8
	v_cvt_f32_fp8_sdwa v27, v27 src0_sel:BYTE_0
	s_nop 0
	v_mul_f32_e32 v27, s58, v27
	v_and_b32_e32 v70, 0x7f800000, v27
	v_cmp_ne_u32_e64 s[0:1], s56, v70
                                        ; implicit-def: $vgpr70
	s_and_saveexec_b64 s[46:47], s[0:1]
	s_xor_b64 s[0:1], exec, s[46:47]
; %bb.134:                              ;   in Loop: Header=BB354_14 Depth=1
	v_bfe_u32 v70, v27, 16, 1
	v_add3_u32 v70, v27, v70, s57
                                        ; implicit-def: $vgpr27
; %bb.135:                              ;   in Loop: Header=BB354_14 Depth=1
	s_andn2_saveexec_b64 s[46:47], s[0:1]
; %bb.136:                              ;   in Loop: Header=BB354_14 Depth=1
	v_or_b32_e32 v70, 0x10000, v27
	v_cmp_eq_u32_sdwa s[0:1], v27, v21 src0_sel:WORD_0 src1_sel:DWORD
	s_nop 1
	v_cndmask_b32_e64 v70, v70, v27, s[0:1]
; %bb.137:                              ;   in Loop: Header=BB354_14 Depth=1
	s_or_b64 exec, exec, s[46:47]
	v_bfe_u32 v27, v69, 16, 8
	v_cvt_f32_fp8_sdwa v27, v27 src0_sel:BYTE_0
	s_nop 0
	v_mul_f32_e32 v71, s58, v27
	v_and_b32_e32 v27, 0x7f800000, v71
	v_cmp_ne_u32_e64 s[0:1], s56, v27
                                        ; implicit-def: $vgpr27
	s_and_saveexec_b64 s[46:47], s[0:1]
	s_xor_b64 s[0:1], exec, s[46:47]
; %bb.138:                              ;   in Loop: Header=BB354_14 Depth=1
	v_bfe_u32 v27, v71, 16, 1
	v_add3_u32 v27, v71, v27, s57
                                        ; implicit-def: $vgpr71
; %bb.139:                              ;   in Loop: Header=BB354_14 Depth=1
	s_andn2_saveexec_b64 s[46:47], s[0:1]
; %bb.140:                              ;   in Loop: Header=BB354_14 Depth=1
	v_or_b32_e32 v27, 0x10000, v71
	v_cmp_eq_u32_sdwa s[0:1], v71, v21 src0_sel:WORD_0 src1_sel:DWORD
	s_nop 1
	v_cndmask_b32_e64 v27, v27, v71, s[0:1]
; %bb.141:                              ;   in Loop: Header=BB354_14 Depth=1
	s_or_b64 exec, exec, s[46:47]
	v_lshrrev_b32_e32 v69, 24, v69
	v_cvt_f32_fp8_sdwa v69, v69 src0_sel:BYTE_0
	s_nop 0
	v_mul_f32_e32 v71, s58, v69
	v_and_b32_e32 v69, 0x7f800000, v71
	v_cmp_ne_u32_e64 s[0:1], s56, v69
                                        ; implicit-def: $vgpr69
	s_and_saveexec_b64 s[46:47], s[0:1]
	s_xor_b64 s[0:1], exec, s[46:47]
; %bb.142:                              ;   in Loop: Header=BB354_14 Depth=1
	v_bfe_u32 v69, v71, 16, 1
	v_add3_u32 v69, v71, v69, s57
                                        ; implicit-def: $vgpr71
; %bb.143:                              ;   in Loop: Header=BB354_14 Depth=1
	s_andn2_saveexec_b64 s[46:47], s[0:1]
; %bb.144:                              ;   in Loop: Header=BB354_14 Depth=1
	v_or_b32_e32 v69, 0x10000, v71
	v_cmp_eq_u32_sdwa s[0:1], v71, v21 src0_sel:WORD_0 src1_sel:DWORD
	s_nop 1
	v_cndmask_b32_e64 v69, v69, v71, s[0:1]
; %bb.145:                              ;   in Loop: Header=BB354_14 Depth=1
	s_or_b64 exec, exec, s[46:47]
	v_and_b32_e32 v46, 0xffff0000, v46
	v_and_b32_e32 v45, 0xffff0000, v45
	v_lshlrev_b32_e32 v73, 16, v16
	v_and_b32_e32 v16, 0xffff0000, v16
	v_and_b32_e32 v47, 0xffff0000, v47
	;; [unrolled: 1-line block ×4, first 2 shown]
	v_lshlrev_b32_e32 v71, 16, v14
	v_lshlrev_b32_e32 v74, 16, v17
	v_and_b32_e32 v14, 0xffff0000, v14
	v_mul_f32_e32 v45, v73, v45
	v_mul_f32_e32 v16, v16, v46
	v_and_b32_e32 v50, 0xffff0000, v50
	v_and_b32_e32 v49, 0xffff0000, v49
	;; [unrolled: 1-line block ×4, first 2 shown]
	v_lshlrev_b32_e32 v72, 16, v15
	v_lshlrev_b32_e32 v75, 16, v6
	v_and_b32_e32 v17, 0xffff0000, v17
	v_and_b32_e32 v6, 0xffff0000, v6
	v_fmac_f32_e32 v45, v71, v41
	v_fmac_f32_e32 v16, v14, v42
	v_mul_f32_e32 v14, v74, v47
	v_and_b32_e32 v54, 0xffff0000, v54
	v_and_b32_e32 v53, 0xffff0000, v53
	;; [unrolled: 1-line block ×4, first 2 shown]
	v_lshlrev_b32_e32 v76, 16, v7
	v_lshlrev_b32_e32 v77, 16, v8
	v_and_b32_e32 v15, 0xffff0000, v15
	v_and_b32_e32 v8, 0xffff0000, v8
	v_fmac_f32_e32 v14, v72, v43
	v_mul_f32_e32 v17, v17, v48
	v_fmac_f32_e32 v45, v75, v49
	v_fmac_f32_e32 v16, v6, v50
	v_and_b32_e32 v58, 0xffff0000, v58
	v_and_b32_e32 v57, 0xffff0000, v57
	v_and_b32_e32 v55, 0xffff0000, v55
	v_and_b32_e32 v52, 0xffff0000, v52
	v_lshlrev_b32_e32 v78, 16, v9
	v_lshlrev_b32_e32 v79, 16, v10
	v_and_b32_e32 v7, 0xffff0000, v7
	v_and_b32_e32 v10, 0xffff0000, v10
	v_fmac_f32_e32 v17, v15, v44
	v_fmac_f32_e32 v14, v76, v51
	v_fmac_f32_e32 v45, v77, v53
	v_fmac_f32_e32 v16, v8, v54
	v_and_b32_e32 v62, 0xffff0000, v62
	v_and_b32_e32 v61, 0xffff0000, v61
	v_and_b32_e32 v59, 0xffff0000, v59
	v_and_b32_e32 v56, 0xffff0000, v56
	v_lshlrev_b32_e32 v80, 16, v11
	v_lshlrev_b32_e32 v81, 16, v12
	v_and_b32_e32 v9, 0xffff0000, v9
	v_and_b32_e32 v12, 0xffff0000, v12
	v_fmac_f32_e32 v17, v7, v52
	v_fmac_f32_e32 v14, v78, v55
	;; [unrolled: 12-line block ×3, first 2 shown]
	v_fmac_f32_e32 v45, v81, v61
	v_fmac_f32_e32 v16, v12, v62
	v_and_b32_e32 v70, 0xffff0000, v70
	v_and_b32_e32 v26, 0xffff0000, v26
	;; [unrolled: 1-line block ×4, first 2 shown]
	v_lshlrev_b32_e32 v84, 16, v3
	v_lshlrev_b32_e32 v85, 16, v4
	v_and_b32_e32 v88, 64, v39
	v_and_b32_e32 v13, 0xffff0000, v13
	;; [unrolled: 1-line block ×3, first 2 shown]
	v_fmac_f32_e32 v17, v11, v60
	v_fmac_f32_e32 v14, v82, v63
	;; [unrolled: 1-line block ×4, first 2 shown]
	v_and_b32_e32 v68, 0xffff0000, v68
	v_lshlrev_b32_e32 v86, 16, v5
	v_xor_b32_e32 v87, 1, v39
	v_add_u32_e32 v88, 64, v88
	v_and_b32_e32 v27, 0xffff0000, v27
	v_and_b32_e32 v3, 0xffff0000, v3
	v_fmac_f32_e32 v17, v13, v64
	v_fmac_f32_e32 v14, v84, v67
	;; [unrolled: 1-line block ×4, first 2 shown]
	v_cmp_lt_i32_e64 s[0:1], v87, v88
	v_and_b32_e32 v69, 0xffff0000, v69
	v_and_b32_e32 v5, 0xffff0000, v5
	v_fmac_f32_e32 v17, v3, v68
	v_fmac_f32_e32 v14, v86, v27
	v_add_f32_e32 v2, v45, v16
	v_cndmask_b32_e64 v87, v39, v87, s[0:1]
	v_fmac_f32_e32 v17, v5, v69
	v_add_f32_e32 v2, v2, v14
	v_lshlrev_b32_e32 v87, 2, v87
	v_add_f32_e32 v2, v2, v17
	ds_bpermute_b32 v3, v87, v2
	s_and_saveexec_b64 s[46:47], vcc
	s_cbranch_execz .LBB354_12
; %bb.146:                              ;   in Loop: Header=BB354_14 Depth=1
	v_add_u32_e32 v4, v37, v35
	v_cvt_f32_i32_e32 v4, v4
	s_waitcnt lgkmcnt(0)
	v_add_f32_e32 v2, v2, v3
	v_add_u32_e32 v5, v31, v35
	v_cmp_gt_i32_e64 s[0:1], s33, v5
	v_mul_f32_e32 v3, s51, v4
	v_cndmask_b32_e64 v3, 0, v3, s[6:7]
	v_fmac_f32_e32 v3, s43, v2
	v_cndmask_b32_e64 v2, 0, v3, s[0:1]
	ds_write_b32 v36, v2
	v_max_f32_e32 v2, v33, v33
	v_max_f32_e32 v2, v2, v3
	v_cndmask_b32_e64 v33, v33, v2, s[0:1]
	s_branch .LBB354_12
.LBB354_147:
	s_or_b64 exec, exec, s[44:45]
.LBB354_148:
	s_or_b64 exec, exec, s[18:19]
	v_mbcnt_hi_u32_b32 v4, -1, v30
	v_and_b32_e32 v2, 64, v4
	v_add_u32_e32 v9, 64, v2
	v_xor_b32_e32 v2, 32, v4
	v_cmp_lt_i32_e32 vcc, v2, v9
	v_xor_b32_e32 v6, 16, v4
	v_max_f32_e32 v5, v33, v33
	v_cndmask_b32_e32 v2, v4, v2, vcc
	v_lshlrev_b32_e32 v2, 2, v2
	s_waitcnt lgkmcnt(0)
	ds_bpermute_b32 v3, v2, v33
	v_cmp_lt_i32_e32 vcc, v6, v9
	v_xor_b32_e32 v7, 8, v4
	v_xor_b32_e32 v8, 4, v4
	v_xor_b32_e32 v10, 2, v4
	s_waitcnt lgkmcnt(0)
	v_max_f32_e32 v3, v3, v3
	v_max_f32_e32 v5, v5, v3
	v_cndmask_b32_e32 v3, v4, v6, vcc
	v_lshlrev_b32_e32 v3, 2, v3
	ds_bpermute_b32 v6, v3, v5
	v_cmp_lt_i32_e32 vcc, v7, v9
	v_and_b32_e32 v22, 63, v0
	s_waitcnt lgkmcnt(0)
	v_max_f32_e32 v6, v6, v6
	v_max_f32_e32 v6, v5, v6
	v_cndmask_b32_e32 v5, v4, v7, vcc
	v_lshlrev_b32_e32 v5, 2, v5
	ds_bpermute_b32 v7, v5, v6
	v_cmp_lt_i32_e32 vcc, v8, v9
	s_waitcnt lgkmcnt(0)
	v_max_f32_e32 v7, v7, v7
	v_max_f32_e32 v7, v6, v7
	v_cndmask_b32_e32 v6, v4, v8, vcc
	v_lshlrev_b32_e32 v6, 2, v6
	ds_bpermute_b32 v8, v6, v7
	v_cmp_lt_i32_e32 vcc, v10, v9
	s_waitcnt lgkmcnt(0)
	v_max_f32_e32 v8, v8, v8
	v_max_f32_e32 v8, v7, v8
	v_cndmask_b32_e32 v7, v4, v10, vcc
	v_lshlrev_b32_e32 v23, 2, v7
	ds_bpermute_b32 v10, v23, v8
	v_cmp_eq_u32_e32 vcc, 0, v22
	v_lshlrev_b32_e32 v7, 2, v29
	s_and_saveexec_b64 s[0:1], vcc
	s_cbranch_execz .LBB354_150
; %bb.149:
	s_waitcnt lgkmcnt(0)
	v_max_f32_e32 v10, v10, v10
	v_max_f32_e32 v8, v8, v8
	;; [unrolled: 1-line block ×3, first 2 shown]
	ds_write_b32 v7, v8 offset:128
.LBB354_150:
	s_or_b64 exec, exec, s[0:1]
	v_cmp_gt_u32_e64 s[0:1], 2, v22
	s_waitcnt lgkmcnt(0)
	v_mov_b32_e32 v10, 0xff7fffff
	v_lshlrev_b32_e32 v8, 2, v22
	s_barrier
	s_and_saveexec_b64 s[6:7], s[0:1]
	s_cbranch_execz .LBB354_152
; %bb.151:
	ds_read_b32 v10, v8 offset:128
.LBB354_152:
	s_or_b64 exec, exec, s[6:7]
	v_xor_b32_e32 v11, 1, v4
	v_cmp_lt_i32_e64 s[6:7], v11, v9
	s_nop 1
	v_cndmask_b32_e64 v9, v4, v11, s[6:7]
	v_lshlrev_b32_e32 v24, 2, v9
	s_waitcnt lgkmcnt(0)
	ds_bpermute_b32 v9, v24, v10
	v_max_f32_e32 v10, v10, v10
	v_lshlrev_b32_e32 v4, 2, v4
	s_sub_i32 s6, s20, s52
	s_lshl_b32 s6, s6, 5
	s_waitcnt lgkmcnt(0)
	v_max_f32_e32 v9, v9, v9
	v_max_f32_e32 v10, v10, v9
	v_and_b32_e32 v9, 0x100, v4
	ds_bpermute_b32 v4, v9, v10
	s_add_i32 s6, s6, s5
	s_min_i32 s44, s6, s33
	s_sub_i32 s43, s44, s5
	v_cmp_gt_i32_e64 s[6:7], s43, v0
	v_mov_b32_e32 v10, 0
	s_and_saveexec_b64 s[12:13], s[6:7]
	s_cbranch_execz .LBB354_156
; %bb.153:
	v_mov_b32_e32 v10, 0x90
	v_lshl_add_u32 v11, v0, 2, v10
	s_mov_b64 s[18:19], 0
	v_mov_b32_e32 v10, 0
	v_mov_b32_e32 v12, v0
.LBB354_154:                            ; =>This Inner Loop Header: Depth=1
	ds_read_b32 v13, v11
	v_add_u32_e32 v12, 0x80, v12
	v_cmp_le_i32_e64 s[10:11], s43, v12
	s_or_b64 s[18:19], s[10:11], s[18:19]
	s_waitcnt lgkmcnt(0)
	v_sub_f32_e32 v13, v13, v4
	v_mul_f32_e32 v13, 0x3fb8aa3b, v13
	v_exp_f32_e32 v13, v13
	ds_write_b32 v11, v13
	v_add_f32_e32 v10, v10, v13
	v_add_u32_e32 v11, 0x200, v11
	s_andn2_b64 exec, exec, s[18:19]
	s_cbranch_execnz .LBB354_154
; %bb.155:
	s_or_b64 exec, exec, s[18:19]
.LBB354_156:
	s_or_b64 exec, exec, s[12:13]
	ds_bpermute_b32 v2, v2, v10
	s_waitcnt lgkmcnt(0)
	v_add_f32_e32 v2, v10, v2
	ds_bpermute_b32 v3, v3, v2
	s_waitcnt lgkmcnt(0)
	v_add_f32_e32 v2, v2, v3
	;; [unrolled: 3-line block ×6, first 2 shown]
	s_and_saveexec_b64 s[10:11], vcc
	s_cbranch_execz .LBB354_158
; %bb.157:
	ds_write_b32 v7, v2 offset:136
.LBB354_158:
	s_or_b64 exec, exec, s[10:11]
	s_waitcnt lgkmcnt(0)
	s_barrier
	s_and_saveexec_b64 s[10:11], s[0:1]
	s_cbranch_execz .LBB354_160
; %bb.159:
	ds_read_b32 v2, v8 offset:136
.LBB354_160:
	s_or_b64 exec, exec, s[10:11]
	s_waitcnt lgkmcnt(0)
	ds_bpermute_b32 v3, v24, v2
	s_waitcnt lgkmcnt(0)
	v_add_f32_e32 v2, v2, v3
	ds_bpermute_b32 v5, v9, v2
	s_and_saveexec_b64 s[0:1], s[6:7]
	s_cbranch_execz .LBB354_173
; %bb.161:
	s_waitcnt lgkmcnt(0)
	v_add_f32_e32 v2, 0x358637bd, v5
	v_div_scale_f32 v3, s[6:7], v2, v2, 1.0
	v_rcp_f32_e32 v6, v3
	v_div_scale_f32 v7, vcc, 1.0, v2, 1.0
	s_mov_b64 s[10:11], -1
	v_fma_f32 v8, -v3, v6, 1.0
	v_fmac_f32_e32 v6, v8, v6
	v_mul_f32_e32 v8, v7, v6
	v_fma_f32 v9, -v3, v8, v7
	v_fmac_f32_e32 v8, v9, v6
	v_fma_f32 v3, -v3, v8, v7
	v_div_fmas_f32 v3, v3, v6, v8
	v_div_fixup_f32 v2, v3, v2, 1.0
	v_xad_u32 v3, v0, -1, s44
	v_subrev_u32_e32 v6, s5, v3
	s_movk_i32 s5, 0x7f
	v_cmp_lt_u32_e32 vcc, s5, v6
	v_mov_b32_e32 v3, v0
	s_and_saveexec_b64 s[6:7], vcc
	s_cbranch_execz .LBB354_170
; %bb.162:
	v_lshrrev_b32_e32 v6, 7, v6
	v_add_u32_e32 v8, -1, v6
	v_lshrrev_b32_e32 v7, 1, v8
	v_mov_b32_e32 v3, v2
	v_add_u32_e32 v7, 1, v7
	v_cmp_lt_u32_e32 vcc, 13, v8
	v_mov_b32_e32 v10, 0
	s_and_saveexec_b64 s[10:11], vcc
	s_cbranch_execz .LBB354_166
; %bb.163:
	v_mov_b32_e32 v9, 0x90
	v_and_b32_e32 v8, -8, v7
	v_lshl_add_u32 v9, v0, 2, v9
	s_mov_b32 s5, 0
	s_mov_b64 s[12:13], 0
.LBB354_164:                            ; =>This Inner Loop Header: Depth=1
	ds_read2st64_b32 v[10:11], v9 offset1:2
	ds_read2st64_b32 v[12:13], v9 offset0:4 offset1:6
	ds_read2st64_b32 v[14:15], v9 offset0:8 offset1:10
	;; [unrolled: 1-line block ×3, first 2 shown]
	v_add_u32_e32 v8, -8, v8
	s_waitcnt lgkmcnt(3)
	v_pk_mul_f32 v[10:11], v[2:3], v[10:11]
	s_waitcnt lgkmcnt(2)
	v_pk_mul_f32 v[12:13], v[2:3], v[12:13]
	ds_write2st64_b32 v9, v10, v11 offset1:2
	ds_write2st64_b32 v9, v12, v13 offset0:4 offset1:6
	ds_read2st64_b32 v[12:13], v9 offset0:16 offset1:18
	s_waitcnt lgkmcnt(4)
	v_pk_mul_f32 v[10:11], v[2:3], v[14:15]
	ds_write2st64_b32 v9, v10, v11 offset0:8 offset1:10
	s_waitcnt lgkmcnt(4)
	v_pk_mul_f32 v[10:11], v[2:3], v[16:17]
	ds_write2st64_b32 v9, v10, v11 offset0:12 offset1:14
	ds_read2st64_b32 v[10:11], v9 offset0:20 offset1:22
	s_waitcnt lgkmcnt(3)
	v_pk_mul_f32 v[12:13], v[2:3], v[12:13]
	ds_read2st64_b32 v[14:15], v9 offset0:24 offset1:26
	ds_write2st64_b32 v9, v12, v13 offset0:16 offset1:18
	ds_read2st64_b32 v[12:13], v9 offset0:28 offset1:30
	s_waitcnt lgkmcnt(3)
	v_pk_mul_f32 v[10:11], v[2:3], v[10:11]
	ds_write2st64_b32 v9, v10, v11 offset0:20 offset1:22
	s_waitcnt lgkmcnt(3)
	v_pk_mul_f32 v[10:11], v[2:3], v[14:15]
	ds_write2st64_b32 v9, v10, v11 offset0:24 offset1:26
	s_waitcnt lgkmcnt(2)
	v_pk_mul_f32 v[10:11], v[2:3], v[12:13]
	s_add_i32 s5, s5, 16
	v_cmp_eq_u32_e32 vcc, 0, v8
	ds_write2st64_b32 v9, v10, v11 offset0:28 offset1:30
	v_add_u32_e32 v9, 0x2000, v9
	s_or_b64 s[12:13], vcc, s[12:13]
	v_mov_b32_e32 v10, s5
	s_andn2_b64 exec, exec, s[12:13]
	s_cbranch_execnz .LBB354_164
; %bb.165:
	s_or_b64 exec, exec, s[12:13]
.LBB354_166:
	s_or_b64 exec, exec, s[10:11]
	v_and_b32_e32 v7, 7, v7
	v_cmp_ne_u32_e32 vcc, 0, v7
	s_and_saveexec_b64 s[10:11], vcc
	s_cbranch_execz .LBB354_169
; %bb.167:
	v_lshlrev_b32_e32 v8, 9, v10
	v_lshlrev_b32_e32 v9, 2, v0
	s_movk_i32 s5, 0x90
	v_add3_u32 v8, v8, v9, s5
	s_mov_b64 s[12:13], 0
.LBB354_168:                            ; =>This Inner Loop Header: Depth=1
	ds_read2st64_b32 v[10:11], v8 offset1:2
	v_add_u32_e32 v7, -1, v7
	v_cmp_eq_u32_e32 vcc, 0, v7
	s_or_b64 s[12:13], vcc, s[12:13]
	s_waitcnt lgkmcnt(0)
	v_pk_mul_f32 v[10:11], v[2:3], v[10:11]
	ds_write2st64_b32 v8, v10, v11 offset1:2
	v_add_u32_e32 v8, 0x400, v8
	s_andn2_b64 exec, exec, s[12:13]
	s_cbranch_execnz .LBB354_168
.LBB354_169:
	s_or_b64 exec, exec, s[10:11]
	v_add_u32_e32 v6, 1, v6
	v_and_b32_e32 v7, 0x3fffffe, v6
	v_cmp_ne_u32_e32 vcc, v6, v7
	v_lshl_add_u32 v3, v7, 7, v0
	s_orn2_b64 s[10:11], vcc, exec
.LBB354_170:
	s_or_b64 exec, exec, s[6:7]
	s_and_b64 exec, exec, s[10:11]
	s_cbranch_execz .LBB354_173
; %bb.171:
	v_mov_b32_e32 v6, 0x90
	v_lshl_add_u32 v6, v3, 2, v6
	s_mov_b64 s[6:7], 0
.LBB354_172:                            ; =>This Inner Loop Header: Depth=1
	ds_read_b32 v7, v6
	v_add_u32_e32 v3, 0x80, v3
	v_cmp_le_i32_e32 vcc, s43, v3
	s_or_b64 s[6:7], vcc, s[6:7]
	s_waitcnt lgkmcnt(0)
	v_mul_f32_e32 v7, v2, v7
	ds_write_b32 v6, v7
	v_add_u32_e32 v6, 0x200, v6
	s_andn2_b64 exec, exec, s[6:7]
	s_cbranch_execnz .LBB354_172
.LBB354_173:
	s_or_b64 exec, exec, s[0:1]
	v_cmp_eq_u32_e32 vcc, 0, v0
	s_waitcnt lgkmcnt(0)
	s_barrier
	s_and_saveexec_b64 s[0:1], vcc
	s_cbranch_execz .LBB354_175
; %bb.174:
	s_mul_i32 s5, s16, s28
	s_mul_i32 s6, s5, s29
	s_ashr_i32 s7, s6, 31
	s_lshl_b64 s[6:7], s[6:7], 2
	s_add_u32 s5, s26, s6
	s_mul_i32 s10, s16, s2
	s_addc_u32 s12, s27, s7
	s_ashr_i32 s11, s10, 31
	s_lshl_b64 s[10:11], s[10:11], 2
	s_add_u32 s2, s5, s10
	s_addc_u32 s19, s12, s11
	s_ashr_i32 s5, s4, 31
	s_lshl_b64 s[12:13], s[4:5], 2
	s_add_u32 s18, s2, s12
	s_addc_u32 s19, s19, s13
	s_add_u32 s2, s24, s6
	s_addc_u32 s5, s25, s7
	;; [unrolled: 2-line block ×3, first 2 shown]
	s_add_u32 s6, s2, s12
	v_mov_b32_e32 v2, 0
	s_addc_u32 s7, s5, s13
	global_store_dword v2, v4, s[18:19]
	global_store_dword v2, v5, s[6:7]
.LBB354_175:
	s_or_b64 exec, exec, s[0:1]
	s_mov_b32 s0, 0
	v_mov_b32_e32 v5, 0
	v_and_b32_e32 v25, 3, v0
	v_mov_b32_e32 v4, 0
	v_mov_b32_e32 v3, 0
	;; [unrolled: 1-line block ×3, first 2 shown]
	s_and_saveexec_b64 s[6:7], s[8:9]
	s_cbranch_execz .LBB354_477
; %bb.176:
	s_sub_i32 s5, s49, s21
	s_ashr_i32 s1, s50, 31
	s_add_u32 s8, s40, s50
	s_addc_u32 s9, s41, s1
	s_abs_i32 s12, s22
	v_cvt_f32_u32_e32 v2, s12
	s_sub_i32 s1, 0, s12
	s_mov_b32 s13, s17
	s_add_i32 s17, s3, -1
	v_rcp_iflag_f32_e32 v2, v2
	s_lshl_b64 s[2:3], s[38:39], 2
	v_and_b32_e32 v14, 0x1f8, v28
	v_mov_b32_e32 v15, 0
	v_mul_f32_e32 v2, 0x4f7ffffe, v2
	v_cvt_u32_f32_e32 v2, v2
	s_add_u32 s2, s36, s2
	v_lshl_add_u64 v[16:17], s[8:9], 0, v[14:15]
	s_addc_u32 s3, s37, s3
	v_mul_lo_u32 v3, s1, v2
	v_mul_hi_u32 v3, v2, v3
	v_add_u32_e32 v14, v2, v3
	v_lshlrev_b32_e32 v2, 5, v25
	v_lshl_add_u64 v[20:21], v[18:19], 2, s[2:3]
	v_lshl_or_b32 v2, v29, 7, v2
	s_mov_b32 s2, s0
	s_mov_b32 s3, s0
	v_add_u32_e32 v19, 0x90, v2
	s_mov_b32 s1, s0
	v_mov_b64_e32 v[4:5], s[2:3]
	v_and_b32_e32 v26, 24, v28
	s_mov_b64 s[8:9], 0
	v_mov_b64_e32 v[2:3], s[0:1]
	s_mov_b32 s18, 0x7f800000
	s_movk_i32 s19, 0x7fff
	s_branch .LBB354_179
.LBB354_177:                            ;   in Loop: Header=BB354_179 Depth=1
	s_or_b64 exec, exec, s[0:1]
	v_and_b32_e32 v37, 0xffff0000, v38
	v_and_b32_e32 v39, 0xffff0000, v13
	;; [unrolled: 1-line block ×8, first 2 shown]
	v_pk_add_f32 v[10:11], v[10:11], v[38:39]
	v_pk_add_f32 v[12:13], v[28:29], v[36:37]
	v_add_f32_e32 v10, v10, v11
	v_add_f32_e32 v10, v10, v12
	v_add_f32_e32 v10, v10, v13
	v_and_b32_e32 v29, 0xffff0000, v50
	v_and_b32_e32 v28, 0xffff0000, v48
	v_and_b32_e32 v37, 0xffff0000, v49
	v_and_b32_e32 v36, 0xffff0000, v47
	v_add_f32_e32 v2, v2, v10
	v_and_b32_e32 v11, 0xffff0000, v54
	v_and_b32_e32 v10, 0xffff0000, v52
	v_and_b32_e32 v13, 0xffff0000, v53
	v_and_b32_e32 v12, 0xffff0000, v51
	v_pk_add_f32 v[28:29], v[36:37], v[28:29]
	v_pk_add_f32 v[10:11], v[12:13], v[10:11]
	v_add_f32_e32 v12, v28, v29
	v_add_f32_e32 v10, v12, v10
	v_add_f32_e32 v10, v10, v11
	v_and_b32_e32 v29, 0xffff0000, v56
	v_and_b32_e32 v28, 0xffff0000, v9
	v_and_b32_e32 v9, 0xffff0000, v55
	v_and_b32_e32 v8, 0xffff0000, v8
	v_add_f32_e32 v3, v3, v10
	v_and_b32_e32 v11, 0xffff0000, v60
	v_and_b32_e32 v10, 0xffff0000, v58
	v_and_b32_e32 v13, 0xffff0000, v59
	v_and_b32_e32 v12, 0xffff0000, v57
	;; [unrolled: 14-line block ×3, first 2 shown]
	v_pk_add_f32 v[6:7], v[6:7], v[12:13]
	v_pk_add_f32 v[8:9], v[10:11], v[8:9]
	v_add_f32_e32 v6, v6, v7
	v_add_f32_e32 v6, v6, v8
	;; [unrolled: 1-line block ×4, first 2 shown]
.LBB354_178:                            ;   in Loop: Header=BB354_179 Depth=1
	s_or_b64 exec, exec, s[2:3]
	v_add_u32_e32 v18, 2, v18
	v_cmp_le_i32_e32 vcc, s20, v18
	v_lshl_add_u64 v[20:21], v[20:21], 0, 8
	v_add_u32_e32 v1, 64, v1
	s_or_b64 s[8:9], vcc, s[8:9]
	v_add_u32_e32 v19, 0x100, v19
	s_andn2_b64 exec, exec, s[8:9]
	s_cbranch_execz .LBB354_476
.LBB354_179:                            ; =>This Inner Loop Header: Depth=1
	v_sub_u32_e32 v7, 0, v1
	v_max_i32_e32 v7, v1, v7
	v_mul_hi_u32 v8, v7, s48
	v_mul_lo_u32 v9, v8, s31
	v_sub_u32_e32 v7, v7, v9
	v_add_u32_e32 v9, 1, v8
	v_cmp_le_u32_e32 vcc, s31, v7
	v_ashrrev_i32_e32 v6, 31, v1
	v_xor_b32_e32 v6, s23, v6
	v_cndmask_b32_e32 v8, v8, v9, vcc
	v_subrev_u32_e32 v9, s31, v7
	v_cndmask_b32_e32 v7, v7, v9, vcc
	v_add_u32_e32 v9, 1, v8
	v_cmp_le_u32_e32 vcc, s31, v7
	s_nop 1
	v_cndmask_b32_e32 v7, v8, v9, vcc
	v_xor_b32_e32 v7, v7, v6
	v_sub_u32_e32 v6, v7, v6
	v_add_u32_e32 v7, s42, v6
	v_sub_u32_e32 v9, 0, v7
	v_ashrrev_i32_e32 v8, 31, v7
	v_max_i32_e32 v7, v7, v9
	v_mul_hi_u32 v9, v7, v14
	v_mul_lo_u32 v9, v9, s12
	v_sub_u32_e32 v7, v7, v9
	v_subrev_u32_e32 v9, s12, v7
	v_cmp_le_u32_e32 vcc, s12, v7
	v_cmp_lt_i32_e64 s[0:1], s5, v6
	s_nop 0
	v_cndmask_b32_e32 v7, v7, v9, vcc
	v_subrev_u32_e32 v9, s12, v7
	v_cmp_le_u32_e32 vcc, s12, v7
	s_nop 1
	v_cndmask_b32_e32 v7, v7, v9, vcc
	v_xor_b32_e32 v7, v7, v8
	v_sub_u32_e32 v7, v7, v8
	v_cmp_eq_u32_e32 vcc, 0, v7
	s_or_b64 s[0:1], vcc, s[0:1]
	s_and_saveexec_b64 s[2:3], s[0:1]
	s_cbranch_execz .LBB354_178
; %bb.180:                              ;   in Loop: Header=BB354_179 Depth=1
	global_load_dword v30, v[20:21], off
	ds_read2_b64 v[10:13], v19 offset1:1
	ds_read2_b64 v[6:9], v19 offset0:2 offset1:3
                                        ; implicit-def: $vgpr39
	s_waitcnt lgkmcnt(1)
	v_and_b32_e32 v27, 0x7f800000, v10
	v_cmp_ne_u32_e32 vcc, s18, v27
	s_and_saveexec_b64 s[0:1], vcc
	s_xor_b64 s[0:1], exec, s[0:1]
; %bb.181:                              ;   in Loop: Header=BB354_179 Depth=1
	v_bfe_u32 v27, v10, 16, 1
	v_add3_u32 v39, v10, v27, s19
; %bb.182:                              ;   in Loop: Header=BB354_179 Depth=1
	s_andn2_saveexec_b64 s[0:1], s[0:1]
; %bb.183:                              ;   in Loop: Header=BB354_179 Depth=1
	v_or_b32_e32 v27, 0x10000, v10
	v_cmp_eq_u32_sdwa vcc, v10, v15 src0_sel:WORD_0 src1_sel:DWORD
	s_nop 1
	v_cndmask_b32_e32 v39, v27, v10, vcc
; %bb.184:                              ;   in Loop: Header=BB354_179 Depth=1
	s_or_b64 exec, exec, s[0:1]
	v_and_b32_e32 v10, 0x7f800000, v11
	v_cmp_ne_u32_e32 vcc, s18, v10
                                        ; implicit-def: $vgpr40
	s_and_saveexec_b64 s[0:1], vcc
	s_xor_b64 s[0:1], exec, s[0:1]
; %bb.185:                              ;   in Loop: Header=BB354_179 Depth=1
	v_bfe_u32 v10, v11, 16, 1
	v_add3_u32 v40, v11, v10, s19
; %bb.186:                              ;   in Loop: Header=BB354_179 Depth=1
	s_andn2_saveexec_b64 s[0:1], s[0:1]
; %bb.187:                              ;   in Loop: Header=BB354_179 Depth=1
	v_or_b32_e32 v10, 0x10000, v11
	v_cmp_eq_u32_sdwa vcc, v11, v15 src0_sel:WORD_0 src1_sel:DWORD
	s_nop 1
	v_cndmask_b32_e32 v40, v10, v11, vcc
; %bb.188:                              ;   in Loop: Header=BB354_179 Depth=1
	s_or_b64 exec, exec, s[0:1]
	v_and_b32_e32 v10, 0x7f800000, v12
	v_cmp_ne_u32_e32 vcc, s18, v10
                                        ; implicit-def: $vgpr41
	s_and_saveexec_b64 s[0:1], vcc
	s_xor_b64 s[0:1], exec, s[0:1]
; %bb.189:                              ;   in Loop: Header=BB354_179 Depth=1
	v_bfe_u32 v10, v12, 16, 1
	v_add3_u32 v41, v12, v10, s19
; %bb.190:                              ;   in Loop: Header=BB354_179 Depth=1
	s_andn2_saveexec_b64 s[0:1], s[0:1]
; %bb.191:                              ;   in Loop: Header=BB354_179 Depth=1
	v_or_b32_e32 v10, 0x10000, v12
	v_cmp_eq_u32_sdwa vcc, v12, v15 src0_sel:WORD_0 src1_sel:DWORD
	s_nop 1
	v_cndmask_b32_e32 v41, v10, v12, vcc
; %bb.192:                              ;   in Loop: Header=BB354_179 Depth=1
	s_or_b64 exec, exec, s[0:1]
	v_and_b32_e32 v10, 0x7f800000, v13
	v_cmp_ne_u32_e32 vcc, s18, v10
                                        ; implicit-def: $vgpr42
	s_and_saveexec_b64 s[0:1], vcc
	s_xor_b64 s[0:1], exec, s[0:1]
; %bb.193:                              ;   in Loop: Header=BB354_179 Depth=1
	v_bfe_u32 v10, v13, 16, 1
	v_add3_u32 v42, v13, v10, s19
                                        ; implicit-def: $vgpr10_vgpr11_vgpr12_vgpr13
; %bb.194:                              ;   in Loop: Header=BB354_179 Depth=1
	s_andn2_saveexec_b64 s[0:1], s[0:1]
; %bb.195:                              ;   in Loop: Header=BB354_179 Depth=1
	v_or_b32_e32 v10, 0x10000, v13
	v_cmp_eq_u32_sdwa vcc, v13, v15 src0_sel:WORD_0 src1_sel:DWORD
	s_nop 1
	v_cndmask_b32_e32 v42, v10, v13, vcc
; %bb.196:                              ;   in Loop: Header=BB354_179 Depth=1
	s_or_b64 exec, exec, s[0:1]
	s_waitcnt lgkmcnt(0)
	v_and_b32_e32 v10, 0x7f800000, v6
	v_cmp_ne_u32_e32 vcc, s18, v10
                                        ; implicit-def: $vgpr27
	s_and_saveexec_b64 s[0:1], vcc
	s_xor_b64 s[0:1], exec, s[0:1]
; %bb.197:                              ;   in Loop: Header=BB354_179 Depth=1
	v_bfe_u32 v10, v6, 16, 1
	v_add3_u32 v27, v6, v10, s19
; %bb.198:                              ;   in Loop: Header=BB354_179 Depth=1
	s_andn2_saveexec_b64 s[0:1], s[0:1]
; %bb.199:                              ;   in Loop: Header=BB354_179 Depth=1
	v_or_b32_e32 v10, 0x10000, v6
	v_cmp_eq_u32_sdwa vcc, v6, v15 src0_sel:WORD_0 src1_sel:DWORD
	s_nop 1
	v_cndmask_b32_e32 v27, v10, v6, vcc
; %bb.200:                              ;   in Loop: Header=BB354_179 Depth=1
	s_or_b64 exec, exec, s[0:1]
	v_and_b32_e32 v6, 0x7f800000, v7
	v_cmp_ne_u32_e32 vcc, s18, v6
                                        ; implicit-def: $vgpr28
	s_and_saveexec_b64 s[0:1], vcc
	s_xor_b64 s[0:1], exec, s[0:1]
; %bb.201:                              ;   in Loop: Header=BB354_179 Depth=1
	v_bfe_u32 v6, v7, 16, 1
	v_add3_u32 v28, v7, v6, s19
; %bb.202:                              ;   in Loop: Header=BB354_179 Depth=1
	s_andn2_saveexec_b64 s[0:1], s[0:1]
; %bb.203:                              ;   in Loop: Header=BB354_179 Depth=1
	v_or_b32_e32 v6, 0x10000, v7
	v_cmp_eq_u32_sdwa vcc, v7, v15 src0_sel:WORD_0 src1_sel:DWORD
	s_nop 1
	v_cndmask_b32_e32 v28, v6, v7, vcc
; %bb.204:                              ;   in Loop: Header=BB354_179 Depth=1
	s_or_b64 exec, exec, s[0:1]
	v_and_b32_e32 v6, 0x7f800000, v8
	v_cmp_ne_u32_e32 vcc, s18, v6
                                        ; implicit-def: $vgpr29
	s_and_saveexec_b64 s[0:1], vcc
	s_xor_b64 s[0:1], exec, s[0:1]
; %bb.205:                              ;   in Loop: Header=BB354_179 Depth=1
	v_bfe_u32 v6, v8, 16, 1
	v_add3_u32 v29, v8, v6, s19
; %bb.206:                              ;   in Loop: Header=BB354_179 Depth=1
	s_andn2_saveexec_b64 s[0:1], s[0:1]
; %bb.207:                              ;   in Loop: Header=BB354_179 Depth=1
	v_or_b32_e32 v6, 0x10000, v8
	v_cmp_eq_u32_sdwa vcc, v8, v15 src0_sel:WORD_0 src1_sel:DWORD
	s_nop 1
	v_cndmask_b32_e32 v29, v6, v8, vcc
; %bb.208:                              ;   in Loop: Header=BB354_179 Depth=1
	s_or_b64 exec, exec, s[0:1]
	v_and_b32_e32 v6, 0x7f800000, v9
	v_cmp_ne_u32_e32 vcc, s18, v6
                                        ; implicit-def: $vgpr38
	s_and_saveexec_b64 s[0:1], vcc
	s_xor_b64 s[0:1], exec, s[0:1]
; %bb.209:                              ;   in Loop: Header=BB354_179 Depth=1
	v_bfe_u32 v6, v9, 16, 1
	v_add3_u32 v38, v9, v6, s19
                                        ; implicit-def: $vgpr6_vgpr7_vgpr8_vgpr9
; %bb.210:                              ;   in Loop: Header=BB354_179 Depth=1
	s_andn2_saveexec_b64 s[0:1], s[0:1]
; %bb.211:                              ;   in Loop: Header=BB354_179 Depth=1
	v_or_b32_e32 v6, 0x10000, v9
	v_cmp_eq_u32_sdwa vcc, v9, v15 src0_sel:WORD_0 src1_sel:DWORD
	s_nop 1
	v_cndmask_b32_e32 v38, v6, v9, vcc
; %bb.212:                              ;   in Loop: Header=BB354_179 Depth=1
	s_or_b64 exec, exec, s[0:1]
	s_waitcnt vmcnt(0)
	v_mad_i64_i32 v[6:7], s[0:1], v30, s13, v[16:17]
	global_load_dwordx2 v[8:9], v[6:7], off
	s_load_dword s21, s[14:15], 0x0
	s_waitcnt vmcnt(0)
	v_and_b32_e32 v10, 0xff, v8
	v_cvt_f32_fp8_sdwa v10, v10 src0_sel:BYTE_0
	s_waitcnt lgkmcnt(0)
	v_mul_f32_e32 v11, s21, v10
	v_and_b32_e32 v10, 0x7f800000, v11
	v_cmp_ne_u32_e32 vcc, s18, v10
                                        ; implicit-def: $vgpr10
	s_and_saveexec_b64 s[0:1], vcc
	s_xor_b64 s[0:1], exec, s[0:1]
; %bb.213:                              ;   in Loop: Header=BB354_179 Depth=1
	v_bfe_u32 v10, v11, 16, 1
	v_add3_u32 v10, v11, v10, s19
                                        ; implicit-def: $vgpr11
; %bb.214:                              ;   in Loop: Header=BB354_179 Depth=1
	s_andn2_saveexec_b64 s[0:1], s[0:1]
; %bb.215:                              ;   in Loop: Header=BB354_179 Depth=1
	v_or_b32_e32 v10, 0x10000, v11
	v_cmp_eq_u32_sdwa vcc, v11, v15 src0_sel:WORD_0 src1_sel:DWORD
	s_nop 1
	v_cndmask_b32_e32 v10, v10, v11, vcc
; %bb.216:                              ;   in Loop: Header=BB354_179 Depth=1
	s_or_b64 exec, exec, s[0:1]
	v_bfe_u32 v11, v8, 8, 8
	v_cvt_f32_fp8_sdwa v11, v11 src0_sel:BYTE_0
	s_nop 0
	v_mul_f32_e32 v12, s21, v11
	v_and_b32_e32 v11, 0x7f800000, v12
	v_cmp_ne_u32_e32 vcc, s18, v11
                                        ; implicit-def: $vgpr11
	s_and_saveexec_b64 s[0:1], vcc
	s_xor_b64 s[0:1], exec, s[0:1]
; %bb.217:                              ;   in Loop: Header=BB354_179 Depth=1
	v_bfe_u32 v11, v12, 16, 1
	v_add3_u32 v11, v12, v11, s19
                                        ; implicit-def: $vgpr12
; %bb.218:                              ;   in Loop: Header=BB354_179 Depth=1
	s_andn2_saveexec_b64 s[0:1], s[0:1]
; %bb.219:                              ;   in Loop: Header=BB354_179 Depth=1
	v_or_b32_e32 v11, 0x10000, v12
	v_cmp_eq_u32_sdwa vcc, v12, v15 src0_sel:WORD_0 src1_sel:DWORD
	s_nop 1
	v_cndmask_b32_e32 v11, v11, v12, vcc
; %bb.220:                              ;   in Loop: Header=BB354_179 Depth=1
	s_or_b64 exec, exec, s[0:1]
	v_bfe_u32 v12, v8, 16, 8
	v_cvt_f32_fp8_sdwa v12, v12 src0_sel:BYTE_0
	s_nop 0
	v_mul_f32_e32 v13, s21, v12
	v_and_b32_e32 v12, 0x7f800000, v13
	v_cmp_ne_u32_e32 vcc, s18, v12
                                        ; implicit-def: $vgpr12
	s_and_saveexec_b64 s[0:1], vcc
	s_xor_b64 s[0:1], exec, s[0:1]
; %bb.221:                              ;   in Loop: Header=BB354_179 Depth=1
	v_bfe_u32 v12, v13, 16, 1
	v_add3_u32 v12, v13, v12, s19
                                        ; implicit-def: $vgpr13
; %bb.222:                              ;   in Loop: Header=BB354_179 Depth=1
	s_andn2_saveexec_b64 s[0:1], s[0:1]
; %bb.223:                              ;   in Loop: Header=BB354_179 Depth=1
	v_or_b32_e32 v12, 0x10000, v13
	v_cmp_eq_u32_sdwa vcc, v13, v15 src0_sel:WORD_0 src1_sel:DWORD
	s_nop 1
	v_cndmask_b32_e32 v12, v12, v13, vcc
; %bb.224:                              ;   in Loop: Header=BB354_179 Depth=1
	s_or_b64 exec, exec, s[0:1]
	v_lshrrev_b32_e32 v8, 24, v8
	v_cvt_f32_fp8_sdwa v8, v8 src0_sel:BYTE_0
	s_nop 0
	v_mul_f32_e32 v13, s21, v8
	v_and_b32_e32 v8, 0x7f800000, v13
	v_cmp_ne_u32_e32 vcc, s18, v8
                                        ; implicit-def: $vgpr8
	s_and_saveexec_b64 s[0:1], vcc
	s_xor_b64 s[0:1], exec, s[0:1]
; %bb.225:                              ;   in Loop: Header=BB354_179 Depth=1
	v_bfe_u32 v8, v13, 16, 1
	v_add3_u32 v8, v13, v8, s19
                                        ; implicit-def: $vgpr13
; %bb.226:                              ;   in Loop: Header=BB354_179 Depth=1
	s_andn2_saveexec_b64 s[0:1], s[0:1]
; %bb.227:                              ;   in Loop: Header=BB354_179 Depth=1
	v_or_b32_e32 v8, 0x10000, v13
	v_cmp_eq_u32_sdwa vcc, v13, v15 src0_sel:WORD_0 src1_sel:DWORD
	s_nop 1
	v_cndmask_b32_e32 v8, v8, v13, vcc
; %bb.228:                              ;   in Loop: Header=BB354_179 Depth=1
	s_or_b64 exec, exec, s[0:1]
	v_and_b32_e32 v13, 0xff, v9
	v_cvt_f32_fp8_sdwa v13, v13 src0_sel:BYTE_0
	s_nop 0
	v_mul_f32_e32 v30, s21, v13
	v_and_b32_e32 v13, 0x7f800000, v30
	v_cmp_ne_u32_e32 vcc, s18, v13
                                        ; implicit-def: $vgpr13
	s_and_saveexec_b64 s[0:1], vcc
	s_xor_b64 s[0:1], exec, s[0:1]
; %bb.229:                              ;   in Loop: Header=BB354_179 Depth=1
	v_bfe_u32 v13, v30, 16, 1
	v_add3_u32 v13, v30, v13, s19
                                        ; implicit-def: $vgpr30
; %bb.230:                              ;   in Loop: Header=BB354_179 Depth=1
	s_andn2_saveexec_b64 s[0:1], s[0:1]
; %bb.231:                              ;   in Loop: Header=BB354_179 Depth=1
	v_or_b32_e32 v13, 0x10000, v30
	v_cmp_eq_u32_sdwa vcc, v30, v15 src0_sel:WORD_0 src1_sel:DWORD
	s_nop 1
	v_cndmask_b32_e32 v13, v13, v30, vcc
; %bb.232:                              ;   in Loop: Header=BB354_179 Depth=1
	s_or_b64 exec, exec, s[0:1]
	v_bfe_u32 v30, v9, 8, 8
	v_cvt_f32_fp8_sdwa v30, v30 src0_sel:BYTE_0
	s_nop 0
	v_mul_f32_e32 v30, s21, v30
	v_and_b32_e32 v31, 0x7f800000, v30
	v_cmp_ne_u32_e32 vcc, s18, v31
                                        ; implicit-def: $vgpr31
	s_and_saveexec_b64 s[0:1], vcc
	s_xor_b64 s[0:1], exec, s[0:1]
; %bb.233:                              ;   in Loop: Header=BB354_179 Depth=1
	v_bfe_u32 v31, v30, 16, 1
	v_add3_u32 v31, v30, v31, s19
                                        ; implicit-def: $vgpr30
; %bb.234:                              ;   in Loop: Header=BB354_179 Depth=1
	s_andn2_saveexec_b64 s[0:1], s[0:1]
; %bb.235:                              ;   in Loop: Header=BB354_179 Depth=1
	v_or_b32_e32 v31, 0x10000, v30
	v_cmp_eq_u32_sdwa vcc, v30, v15 src0_sel:WORD_0 src1_sel:DWORD
	s_nop 1
	v_cndmask_b32_e32 v31, v31, v30, vcc
; %bb.236:                              ;   in Loop: Header=BB354_179 Depth=1
	s_or_b64 exec, exec, s[0:1]
	v_bfe_u32 v30, v9, 16, 8
	v_cvt_f32_fp8_sdwa v30, v30 src0_sel:BYTE_0
	s_nop 0
	v_mul_f32_e32 v30, s21, v30
	v_and_b32_e32 v32, 0x7f800000, v30
	v_cmp_ne_u32_e32 vcc, s18, v32
                                        ; implicit-def: $vgpr32
	s_and_saveexec_b64 s[0:1], vcc
	s_xor_b64 s[0:1], exec, s[0:1]
; %bb.237:                              ;   in Loop: Header=BB354_179 Depth=1
	v_bfe_u32 v32, v30, 16, 1
	v_add3_u32 v32, v30, v32, s19
                                        ; implicit-def: $vgpr30
; %bb.238:                              ;   in Loop: Header=BB354_179 Depth=1
	s_andn2_saveexec_b64 s[0:1], s[0:1]
; %bb.239:                              ;   in Loop: Header=BB354_179 Depth=1
	v_or_b32_e32 v32, 0x10000, v30
	v_cmp_eq_u32_sdwa vcc, v30, v15 src0_sel:WORD_0 src1_sel:DWORD
	s_nop 1
	v_cndmask_b32_e32 v32, v32, v30, vcc
; %bb.240:                              ;   in Loop: Header=BB354_179 Depth=1
	s_or_b64 exec, exec, s[0:1]
	v_lshrrev_b32_e32 v9, 24, v9
	v_cvt_f32_fp8_sdwa v9, v9 src0_sel:BYTE_0
                                        ; implicit-def: $vgpr33
	s_nop 0
	v_mul_f32_e32 v9, s21, v9
	v_and_b32_e32 v30, 0x7f800000, v9
	v_cmp_ne_u32_e32 vcc, s18, v30
	s_and_saveexec_b64 s[0:1], vcc
	s_xor_b64 s[0:1], exec, s[0:1]
; %bb.241:                              ;   in Loop: Header=BB354_179 Depth=1
	v_bfe_u32 v30, v9, 16, 1
	v_add3_u32 v33, v9, v30, s19
                                        ; implicit-def: $vgpr9
; %bb.242:                              ;   in Loop: Header=BB354_179 Depth=1
	s_andn2_saveexec_b64 s[0:1], s[0:1]
; %bb.243:                              ;   in Loop: Header=BB354_179 Depth=1
	v_or_b32_e32 v30, 0x10000, v9
	v_cmp_eq_u32_sdwa vcc, v9, v15 src0_sel:WORD_0 src1_sel:DWORD
	s_nop 1
	v_cndmask_b32_e32 v33, v30, v9, vcc
; %bb.244:                              ;   in Loop: Header=BB354_179 Depth=1
	s_or_b64 exec, exec, s[0:1]
	v_add_u32_e32 v30, v26, v1
	v_cmp_eq_u32_e32 vcc, s17, v18
	v_lshrrev_b32_e32 v45, 16, v31
	v_lshrrev_b32_e32 v44, 16, v13
	;; [unrolled: 1-line block ×8, first 2 shown]
	v_add_u32_e32 v37, 1, v30
	v_add_u32_e32 v36, 2, v30
	;; [unrolled: 1-line block ×7, first 2 shown]
	s_and_saveexec_b64 s[10:11], vcc
	s_cbranch_execz .LBB354_246
; %bb.245:                              ;   in Loop: Header=BB354_179 Depth=1
	v_cmp_gt_i32_e64 s[0:1], s33, v30
	s_nop 1
	v_cndmask_b32_e64 v10, 0, v10, s[0:1]
	v_cmp_gt_i32_e64 s[0:1], s33, v37
	s_nop 1
	v_cndmask_b32_e64 v11, 0, v11, s[0:1]
	;; [unrolled: 3-line block ×8, first 2 shown]
.LBB354_246:                            ;   in Loop: Header=BB354_179 Depth=1
	s_or_b64 exec, exec, s[10:11]
	v_and_b32_e32 v39, 0xffff0000, v39
	v_lshlrev_b32_e32 v10, 16, v10
	v_mul_f32_e32 v43, v39, v10
	v_and_b32_e32 v10, 0x7f800000, v43
	v_cmp_ne_u32_e64 s[0:1], s18, v10
                                        ; implicit-def: $vgpr10
	s_and_saveexec_b64 s[10:11], s[0:1]
	s_xor_b64 s[0:1], exec, s[10:11]
; %bb.247:                              ;   in Loop: Header=BB354_179 Depth=1
	v_bfe_u32 v10, v43, 16, 1
	v_add3_u32 v10, v43, v10, s19
                                        ; implicit-def: $vgpr43
; %bb.248:                              ;   in Loop: Header=BB354_179 Depth=1
	s_andn2_saveexec_b64 s[10:11], s[0:1]
; %bb.249:                              ;   in Loop: Header=BB354_179 Depth=1
	v_or_b32_e32 v10, 0x10000, v43
	v_cmp_eq_u32_sdwa s[0:1], v43, v15 src0_sel:WORD_0 src1_sel:DWORD
	s_nop 1
	v_cndmask_b32_e64 v10, v10, v43, s[0:1]
; %bb.250:                              ;   in Loop: Header=BB354_179 Depth=1
	s_or_b64 exec, exec, s[10:11]
	v_and_b32_e32 v40, 0xffff0000, v40
	v_lshlrev_b32_e32 v11, 16, v11
	v_mul_f32_e32 v43, v40, v11
	v_and_b32_e32 v11, 0x7f800000, v43
	v_cmp_ne_u32_e64 s[0:1], s18, v11
                                        ; implicit-def: $vgpr11
	s_and_saveexec_b64 s[10:11], s[0:1]
	s_xor_b64 s[0:1], exec, s[10:11]
; %bb.251:                              ;   in Loop: Header=BB354_179 Depth=1
	v_bfe_u32 v11, v43, 16, 1
	v_add3_u32 v11, v43, v11, s19
                                        ; implicit-def: $vgpr43
; %bb.252:                              ;   in Loop: Header=BB354_179 Depth=1
	s_andn2_saveexec_b64 s[10:11], s[0:1]
; %bb.253:                              ;   in Loop: Header=BB354_179 Depth=1
	v_or_b32_e32 v11, 0x10000, v43
	v_cmp_eq_u32_sdwa s[0:1], v43, v15 src0_sel:WORD_0 src1_sel:DWORD
	s_nop 1
	v_cndmask_b32_e64 v11, v11, v43, s[0:1]
; %bb.254:                              ;   in Loop: Header=BB354_179 Depth=1
	s_or_b64 exec, exec, s[10:11]
	v_and_b32_e32 v41, 0xffff0000, v41
	v_lshlrev_b32_e32 v12, 16, v12
	v_mul_f32_e32 v43, v41, v12
	v_and_b32_e32 v12, 0x7f800000, v43
	v_cmp_ne_u32_e64 s[0:1], s18, v12
                                        ; implicit-def: $vgpr12
	s_and_saveexec_b64 s[10:11], s[0:1]
	s_xor_b64 s[0:1], exec, s[10:11]
; %bb.255:                              ;   in Loop: Header=BB354_179 Depth=1
	v_bfe_u32 v12, v43, 16, 1
	v_add3_u32 v12, v43, v12, s19
                                        ; implicit-def: $vgpr43
; %bb.256:                              ;   in Loop: Header=BB354_179 Depth=1
	s_andn2_saveexec_b64 s[10:11], s[0:1]
; %bb.257:                              ;   in Loop: Header=BB354_179 Depth=1
	v_or_b32_e32 v12, 0x10000, v43
	v_cmp_eq_u32_sdwa s[0:1], v43, v15 src0_sel:WORD_0 src1_sel:DWORD
	s_nop 1
	v_cndmask_b32_e64 v12, v12, v43, s[0:1]
; %bb.258:                              ;   in Loop: Header=BB354_179 Depth=1
	s_or_b64 exec, exec, s[10:11]
	v_and_b32_e32 v42, 0xffff0000, v42
	v_lshlrev_b32_e32 v13, 16, v13
	v_mul_f32_e32 v43, v42, v13
	v_and_b32_e32 v13, 0x7f800000, v43
	v_cmp_ne_u32_e64 s[0:1], s18, v13
                                        ; implicit-def: $vgpr13
	s_and_saveexec_b64 s[10:11], s[0:1]
	s_xor_b64 s[0:1], exec, s[10:11]
; %bb.259:                              ;   in Loop: Header=BB354_179 Depth=1
	v_bfe_u32 v13, v43, 16, 1
	v_add3_u32 v13, v43, v13, s19
                                        ; implicit-def: $vgpr43
; %bb.260:                              ;   in Loop: Header=BB354_179 Depth=1
	s_andn2_saveexec_b64 s[10:11], s[0:1]
; %bb.261:                              ;   in Loop: Header=BB354_179 Depth=1
	v_or_b32_e32 v13, 0x10000, v43
	v_cmp_eq_u32_sdwa s[0:1], v43, v15 src0_sel:WORD_0 src1_sel:DWORD
	s_nop 1
	v_cndmask_b32_e64 v13, v13, v43, s[0:1]
; %bb.262:                              ;   in Loop: Header=BB354_179 Depth=1
	s_or_b64 exec, exec, s[10:11]
	v_and_b32_e32 v43, 0xffff0000, v27
	v_lshlrev_b32_e32 v27, 16, v44
	v_mul_f32_e32 v44, v43, v27
	v_and_b32_e32 v27, 0x7f800000, v44
	v_cmp_ne_u32_e64 s[0:1], s18, v27
                                        ; implicit-def: $vgpr27
	s_and_saveexec_b64 s[10:11], s[0:1]
	s_xor_b64 s[0:1], exec, s[10:11]
; %bb.263:                              ;   in Loop: Header=BB354_179 Depth=1
	v_bfe_u32 v27, v44, 16, 1
	v_add3_u32 v27, v44, v27, s19
                                        ; implicit-def: $vgpr44
; %bb.264:                              ;   in Loop: Header=BB354_179 Depth=1
	s_andn2_saveexec_b64 s[10:11], s[0:1]
; %bb.265:                              ;   in Loop: Header=BB354_179 Depth=1
	v_or_b32_e32 v27, 0x10000, v44
	v_cmp_eq_u32_sdwa s[0:1], v44, v15 src0_sel:WORD_0 src1_sel:DWORD
	s_nop 1
	v_cndmask_b32_e64 v27, v27, v44, s[0:1]
; %bb.266:                              ;   in Loop: Header=BB354_179 Depth=1
	s_or_b64 exec, exec, s[10:11]
	v_and_b32_e32 v44, 0xffff0000, v28
	v_lshlrev_b32_e32 v28, 16, v45
	v_mul_f32_e32 v45, v44, v28
	v_and_b32_e32 v28, 0x7f800000, v45
	v_cmp_ne_u32_e64 s[0:1], s18, v28
                                        ; implicit-def: $vgpr28
	s_and_saveexec_b64 s[10:11], s[0:1]
	s_xor_b64 s[0:1], exec, s[10:11]
; %bb.267:                              ;   in Loop: Header=BB354_179 Depth=1
	v_bfe_u32 v28, v45, 16, 1
	v_add3_u32 v28, v45, v28, s19
                                        ; implicit-def: $vgpr45
; %bb.268:                              ;   in Loop: Header=BB354_179 Depth=1
	s_andn2_saveexec_b64 s[10:11], s[0:1]
; %bb.269:                              ;   in Loop: Header=BB354_179 Depth=1
	v_or_b32_e32 v28, 0x10000, v45
	v_cmp_eq_u32_sdwa s[0:1], v45, v15 src0_sel:WORD_0 src1_sel:DWORD
	s_nop 1
	v_cndmask_b32_e64 v28, v28, v45, s[0:1]
; %bb.270:                              ;   in Loop: Header=BB354_179 Depth=1
	s_or_b64 exec, exec, s[10:11]
	v_and_b32_e32 v45, 0xffff0000, v29
	v_lshlrev_b32_e32 v9, 16, v9
	v_mul_f32_e32 v9, v45, v9
	v_and_b32_e32 v29, 0x7f800000, v9
	v_cmp_ne_u32_e64 s[0:1], s18, v29
                                        ; implicit-def: $vgpr29
	s_and_saveexec_b64 s[10:11], s[0:1]
	s_xor_b64 s[0:1], exec, s[10:11]
; %bb.271:                              ;   in Loop: Header=BB354_179 Depth=1
	v_bfe_u32 v29, v9, 16, 1
	v_add3_u32 v29, v9, v29, s19
                                        ; implicit-def: $vgpr9
; %bb.272:                              ;   in Loop: Header=BB354_179 Depth=1
	s_andn2_saveexec_b64 s[10:11], s[0:1]
; %bb.273:                              ;   in Loop: Header=BB354_179 Depth=1
	v_or_b32_e32 v29, 0x10000, v9
	v_cmp_eq_u32_sdwa s[0:1], v9, v15 src0_sel:WORD_0 src1_sel:DWORD
	s_nop 1
	v_cndmask_b32_e64 v29, v29, v9, s[0:1]
; %bb.274:                              ;   in Loop: Header=BB354_179 Depth=1
	s_or_b64 exec, exec, s[10:11]
	v_and_b32_e32 v46, 0xffff0000, v38
	v_lshlrev_b32_e32 v8, 16, v8
	v_mul_f32_e32 v8, v46, v8
	v_and_b32_e32 v9, 0x7f800000, v8
	v_cmp_ne_u32_e64 s[0:1], s18, v9
                                        ; implicit-def: $vgpr38
	s_and_saveexec_b64 s[10:11], s[0:1]
	s_xor_b64 s[0:1], exec, s[10:11]
; %bb.275:                              ;   in Loop: Header=BB354_179 Depth=1
	v_bfe_u32 v9, v8, 16, 1
	v_add3_u32 v38, v8, v9, s19
                                        ; implicit-def: $vgpr8
; %bb.276:                              ;   in Loop: Header=BB354_179 Depth=1
	s_andn2_saveexec_b64 s[10:11], s[0:1]
; %bb.277:                              ;   in Loop: Header=BB354_179 Depth=1
	v_or_b32_e32 v9, 0x10000, v8
	v_cmp_eq_u32_sdwa s[0:1], v8, v15 src0_sel:WORD_0 src1_sel:DWORD
	s_nop 1
	v_cndmask_b32_e64 v38, v9, v8, s[0:1]
; %bb.278:                              ;   in Loop: Header=BB354_179 Depth=1
	s_or_b64 exec, exec, s[10:11]
	global_load_dwordx2 v[8:9], v[6:7], off offset:512
	s_waitcnt vmcnt(0)
	v_and_b32_e32 v47, 0xff, v8
	v_cvt_f32_fp8_sdwa v47, v47 src0_sel:BYTE_0
	s_nop 0
	v_mul_f32_e32 v48, s21, v47
	v_and_b32_e32 v47, 0x7f800000, v48
	v_cmp_ne_u32_e64 s[0:1], s18, v47
                                        ; implicit-def: $vgpr47
	s_and_saveexec_b64 s[10:11], s[0:1]
	s_xor_b64 s[0:1], exec, s[10:11]
; %bb.279:                              ;   in Loop: Header=BB354_179 Depth=1
	v_bfe_u32 v47, v48, 16, 1
	v_add3_u32 v47, v48, v47, s19
                                        ; implicit-def: $vgpr48
; %bb.280:                              ;   in Loop: Header=BB354_179 Depth=1
	s_andn2_saveexec_b64 s[10:11], s[0:1]
; %bb.281:                              ;   in Loop: Header=BB354_179 Depth=1
	v_or_b32_e32 v47, 0x10000, v48
	v_cmp_eq_u32_sdwa s[0:1], v48, v15 src0_sel:WORD_0 src1_sel:DWORD
	s_nop 1
	v_cndmask_b32_e64 v47, v47, v48, s[0:1]
; %bb.282:                              ;   in Loop: Header=BB354_179 Depth=1
	s_or_b64 exec, exec, s[10:11]
	v_bfe_u32 v48, v8, 8, 8
	v_cvt_f32_fp8_sdwa v48, v48 src0_sel:BYTE_0
	s_nop 0
	v_mul_f32_e32 v49, s21, v48
	v_and_b32_e32 v48, 0x7f800000, v49
	v_cmp_ne_u32_e64 s[0:1], s18, v48
                                        ; implicit-def: $vgpr48
	s_and_saveexec_b64 s[10:11], s[0:1]
	s_xor_b64 s[0:1], exec, s[10:11]
; %bb.283:                              ;   in Loop: Header=BB354_179 Depth=1
	v_bfe_u32 v48, v49, 16, 1
	v_add3_u32 v48, v49, v48, s19
                                        ; implicit-def: $vgpr49
; %bb.284:                              ;   in Loop: Header=BB354_179 Depth=1
	s_andn2_saveexec_b64 s[10:11], s[0:1]
; %bb.285:                              ;   in Loop: Header=BB354_179 Depth=1
	v_or_b32_e32 v48, 0x10000, v49
	v_cmp_eq_u32_sdwa s[0:1], v49, v15 src0_sel:WORD_0 src1_sel:DWORD
	s_nop 1
	v_cndmask_b32_e64 v48, v48, v49, s[0:1]
; %bb.286:                              ;   in Loop: Header=BB354_179 Depth=1
	s_or_b64 exec, exec, s[10:11]
	v_bfe_u32 v49, v8, 16, 8
	v_cvt_f32_fp8_sdwa v49, v49 src0_sel:BYTE_0
	s_nop 0
	v_mul_f32_e32 v50, s21, v49
	v_and_b32_e32 v49, 0x7f800000, v50
	v_cmp_ne_u32_e64 s[0:1], s18, v49
                                        ; implicit-def: $vgpr49
	s_and_saveexec_b64 s[10:11], s[0:1]
	s_xor_b64 s[0:1], exec, s[10:11]
; %bb.287:                              ;   in Loop: Header=BB354_179 Depth=1
	v_bfe_u32 v49, v50, 16, 1
	v_add3_u32 v49, v50, v49, s19
                                        ; implicit-def: $vgpr50
; %bb.288:                              ;   in Loop: Header=BB354_179 Depth=1
	s_andn2_saveexec_b64 s[10:11], s[0:1]
; %bb.289:                              ;   in Loop: Header=BB354_179 Depth=1
	v_or_b32_e32 v49, 0x10000, v50
	v_cmp_eq_u32_sdwa s[0:1], v50, v15 src0_sel:WORD_0 src1_sel:DWORD
	s_nop 1
	v_cndmask_b32_e64 v49, v49, v50, s[0:1]
; %bb.290:                              ;   in Loop: Header=BB354_179 Depth=1
	s_or_b64 exec, exec, s[10:11]
	v_lshrrev_b32_e32 v8, 24, v8
	v_cvt_f32_fp8_sdwa v8, v8 src0_sel:BYTE_0
	s_nop 0
	v_mul_f32_e32 v50, s21, v8
	v_and_b32_e32 v8, 0x7f800000, v50
	v_cmp_ne_u32_e64 s[0:1], s18, v8
                                        ; implicit-def: $vgpr8
	s_and_saveexec_b64 s[10:11], s[0:1]
	s_xor_b64 s[0:1], exec, s[10:11]
; %bb.291:                              ;   in Loop: Header=BB354_179 Depth=1
	v_bfe_u32 v8, v50, 16, 1
	v_add3_u32 v8, v50, v8, s19
                                        ; implicit-def: $vgpr50
; %bb.292:                              ;   in Loop: Header=BB354_179 Depth=1
	s_andn2_saveexec_b64 s[10:11], s[0:1]
; %bb.293:                              ;   in Loop: Header=BB354_179 Depth=1
	v_or_b32_e32 v8, 0x10000, v50
	v_cmp_eq_u32_sdwa s[0:1], v50, v15 src0_sel:WORD_0 src1_sel:DWORD
	s_nop 1
	v_cndmask_b32_e64 v8, v8, v50, s[0:1]
; %bb.294:                              ;   in Loop: Header=BB354_179 Depth=1
	s_or_b64 exec, exec, s[10:11]
	v_and_b32_e32 v50, 0xff, v9
	v_cvt_f32_fp8_sdwa v50, v50 src0_sel:BYTE_0
	s_nop 0
	v_mul_f32_e32 v51, s21, v50
	v_and_b32_e32 v50, 0x7f800000, v51
	v_cmp_ne_u32_e64 s[0:1], s18, v50
                                        ; implicit-def: $vgpr50
	s_and_saveexec_b64 s[10:11], s[0:1]
	s_xor_b64 s[0:1], exec, s[10:11]
; %bb.295:                              ;   in Loop: Header=BB354_179 Depth=1
	v_bfe_u32 v50, v51, 16, 1
	v_add3_u32 v50, v51, v50, s19
                                        ; implicit-def: $vgpr51
; %bb.296:                              ;   in Loop: Header=BB354_179 Depth=1
	s_andn2_saveexec_b64 s[10:11], s[0:1]
; %bb.297:                              ;   in Loop: Header=BB354_179 Depth=1
	v_or_b32_e32 v50, 0x10000, v51
	v_cmp_eq_u32_sdwa s[0:1], v51, v15 src0_sel:WORD_0 src1_sel:DWORD
	s_nop 1
	v_cndmask_b32_e64 v50, v50, v51, s[0:1]
; %bb.298:                              ;   in Loop: Header=BB354_179 Depth=1
	s_or_b64 exec, exec, s[10:11]
	v_bfe_u32 v51, v9, 8, 8
	v_cvt_f32_fp8_sdwa v51, v51 src0_sel:BYTE_0
	s_nop 0
	v_mul_f32_e32 v52, s21, v51
	v_and_b32_e32 v51, 0x7f800000, v52
	v_cmp_ne_u32_e64 s[0:1], s18, v51
                                        ; implicit-def: $vgpr51
	s_and_saveexec_b64 s[10:11], s[0:1]
	s_xor_b64 s[0:1], exec, s[10:11]
; %bb.299:                              ;   in Loop: Header=BB354_179 Depth=1
	v_bfe_u32 v51, v52, 16, 1
	v_add3_u32 v51, v52, v51, s19
                                        ; implicit-def: $vgpr52
; %bb.300:                              ;   in Loop: Header=BB354_179 Depth=1
	s_andn2_saveexec_b64 s[10:11], s[0:1]
; %bb.301:                              ;   in Loop: Header=BB354_179 Depth=1
	v_or_b32_e32 v51, 0x10000, v52
	v_cmp_eq_u32_sdwa s[0:1], v52, v15 src0_sel:WORD_0 src1_sel:DWORD
	s_nop 1
	v_cndmask_b32_e64 v51, v51, v52, s[0:1]
; %bb.302:                              ;   in Loop: Header=BB354_179 Depth=1
	s_or_b64 exec, exec, s[10:11]
	v_bfe_u32 v52, v9, 16, 8
	v_cvt_f32_fp8_sdwa v52, v52 src0_sel:BYTE_0
	s_nop 0
	v_mul_f32_e32 v52, s21, v52
	v_and_b32_e32 v53, 0x7f800000, v52
	v_cmp_ne_u32_e64 s[0:1], s18, v53
                                        ; implicit-def: $vgpr53
	s_and_saveexec_b64 s[10:11], s[0:1]
	s_xor_b64 s[0:1], exec, s[10:11]
; %bb.303:                              ;   in Loop: Header=BB354_179 Depth=1
	v_bfe_u32 v53, v52, 16, 1
	v_add3_u32 v53, v52, v53, s19
                                        ; implicit-def: $vgpr52
; %bb.304:                              ;   in Loop: Header=BB354_179 Depth=1
	s_andn2_saveexec_b64 s[10:11], s[0:1]
; %bb.305:                              ;   in Loop: Header=BB354_179 Depth=1
	v_or_b32_e32 v53, 0x10000, v52
	v_cmp_eq_u32_sdwa s[0:1], v52, v15 src0_sel:WORD_0 src1_sel:DWORD
	s_nop 1
	v_cndmask_b32_e64 v53, v53, v52, s[0:1]
; %bb.306:                              ;   in Loop: Header=BB354_179 Depth=1
	s_or_b64 exec, exec, s[10:11]
	v_lshrrev_b32_e32 v9, 24, v9
	v_cvt_f32_fp8_sdwa v9, v9 src0_sel:BYTE_0
                                        ; implicit-def: $vgpr54
	s_nop 0
	v_mul_f32_e32 v9, s21, v9
	v_and_b32_e32 v52, 0x7f800000, v9
	v_cmp_ne_u32_e64 s[0:1], s18, v52
	s_and_saveexec_b64 s[10:11], s[0:1]
	s_xor_b64 s[0:1], exec, s[10:11]
; %bb.307:                              ;   in Loop: Header=BB354_179 Depth=1
	v_bfe_u32 v52, v9, 16, 1
	v_add3_u32 v54, v9, v52, s19
                                        ; implicit-def: $vgpr9
; %bb.308:                              ;   in Loop: Header=BB354_179 Depth=1
	s_andn2_saveexec_b64 s[10:11], s[0:1]
; %bb.309:                              ;   in Loop: Header=BB354_179 Depth=1
	v_or_b32_e32 v52, 0x10000, v9
	v_cmp_eq_u32_sdwa s[0:1], v9, v15 src0_sel:WORD_0 src1_sel:DWORD
	s_nop 1
	v_cndmask_b32_e64 v54, v52, v9, s[0:1]
; %bb.310:                              ;   in Loop: Header=BB354_179 Depth=1
	s_or_b64 exec, exec, s[10:11]
	v_lshrrev_b32_e32 v52, 16, v51
	v_lshrrev_b32_e32 v51, 16, v50
	;; [unrolled: 1-line block ×8, first 2 shown]
	s_and_saveexec_b64 s[10:11], vcc
	s_cbranch_execz .LBB354_312
; %bb.311:                              ;   in Loop: Header=BB354_179 Depth=1
	v_cmp_gt_i32_e64 s[0:1], s33, v30
	s_nop 1
	v_cndmask_b32_e64 v47, 0, v47, s[0:1]
	v_cmp_gt_i32_e64 s[0:1], s33, v37
	s_nop 1
	v_cndmask_b32_e64 v48, 0, v48, s[0:1]
	;; [unrolled: 3-line block ×8, first 2 shown]
.LBB354_312:                            ;   in Loop: Header=BB354_179 Depth=1
	s_or_b64 exec, exec, s[10:11]
	v_lshlrev_b32_e32 v47, 16, v47
	v_mul_f32_e32 v53, v39, v47
	v_and_b32_e32 v47, 0x7f800000, v53
	v_cmp_ne_u32_e64 s[0:1], s18, v47
                                        ; implicit-def: $vgpr47
	s_and_saveexec_b64 s[10:11], s[0:1]
	s_xor_b64 s[0:1], exec, s[10:11]
; %bb.313:                              ;   in Loop: Header=BB354_179 Depth=1
	v_bfe_u32 v47, v53, 16, 1
	v_add3_u32 v47, v53, v47, s19
                                        ; implicit-def: $vgpr53
; %bb.314:                              ;   in Loop: Header=BB354_179 Depth=1
	s_andn2_saveexec_b64 s[10:11], s[0:1]
; %bb.315:                              ;   in Loop: Header=BB354_179 Depth=1
	v_or_b32_e32 v47, 0x10000, v53
	v_cmp_eq_u32_sdwa s[0:1], v53, v15 src0_sel:WORD_0 src1_sel:DWORD
	s_nop 1
	v_cndmask_b32_e64 v47, v47, v53, s[0:1]
; %bb.316:                              ;   in Loop: Header=BB354_179 Depth=1
	s_or_b64 exec, exec, s[10:11]
	v_lshlrev_b32_e32 v48, 16, v48
	v_mul_f32_e32 v53, v40, v48
	v_and_b32_e32 v48, 0x7f800000, v53
	v_cmp_ne_u32_e64 s[0:1], s18, v48
                                        ; implicit-def: $vgpr48
	s_and_saveexec_b64 s[10:11], s[0:1]
	s_xor_b64 s[0:1], exec, s[10:11]
; %bb.317:                              ;   in Loop: Header=BB354_179 Depth=1
	v_bfe_u32 v48, v53, 16, 1
	v_add3_u32 v48, v53, v48, s19
                                        ; implicit-def: $vgpr53
; %bb.318:                              ;   in Loop: Header=BB354_179 Depth=1
	s_andn2_saveexec_b64 s[10:11], s[0:1]
; %bb.319:                              ;   in Loop: Header=BB354_179 Depth=1
	v_or_b32_e32 v48, 0x10000, v53
	v_cmp_eq_u32_sdwa s[0:1], v53, v15 src0_sel:WORD_0 src1_sel:DWORD
	s_nop 1
	v_cndmask_b32_e64 v48, v48, v53, s[0:1]
; %bb.320:                              ;   in Loop: Header=BB354_179 Depth=1
	s_or_b64 exec, exec, s[10:11]
	v_lshlrev_b32_e32 v49, 16, v49
	v_mul_f32_e32 v53, v41, v49
	v_and_b32_e32 v49, 0x7f800000, v53
	v_cmp_ne_u32_e64 s[0:1], s18, v49
                                        ; implicit-def: $vgpr49
	s_and_saveexec_b64 s[10:11], s[0:1]
	s_xor_b64 s[0:1], exec, s[10:11]
; %bb.321:                              ;   in Loop: Header=BB354_179 Depth=1
	v_bfe_u32 v49, v53, 16, 1
	v_add3_u32 v49, v53, v49, s19
                                        ; implicit-def: $vgpr53
; %bb.322:                              ;   in Loop: Header=BB354_179 Depth=1
	s_andn2_saveexec_b64 s[10:11], s[0:1]
; %bb.323:                              ;   in Loop: Header=BB354_179 Depth=1
	v_or_b32_e32 v49, 0x10000, v53
	v_cmp_eq_u32_sdwa s[0:1], v53, v15 src0_sel:WORD_0 src1_sel:DWORD
	s_nop 1
	v_cndmask_b32_e64 v49, v49, v53, s[0:1]
; %bb.324:                              ;   in Loop: Header=BB354_179 Depth=1
	s_or_b64 exec, exec, s[10:11]
	v_lshlrev_b32_e32 v50, 16, v50
	v_mul_f32_e32 v53, v42, v50
	v_and_b32_e32 v50, 0x7f800000, v53
	v_cmp_ne_u32_e64 s[0:1], s18, v50
                                        ; implicit-def: $vgpr50
	s_and_saveexec_b64 s[10:11], s[0:1]
	s_xor_b64 s[0:1], exec, s[10:11]
; %bb.325:                              ;   in Loop: Header=BB354_179 Depth=1
	v_bfe_u32 v50, v53, 16, 1
	v_add3_u32 v50, v53, v50, s19
                                        ; implicit-def: $vgpr53
; %bb.326:                              ;   in Loop: Header=BB354_179 Depth=1
	s_andn2_saveexec_b64 s[10:11], s[0:1]
; %bb.327:                              ;   in Loop: Header=BB354_179 Depth=1
	v_or_b32_e32 v50, 0x10000, v53
	v_cmp_eq_u32_sdwa s[0:1], v53, v15 src0_sel:WORD_0 src1_sel:DWORD
	s_nop 1
	v_cndmask_b32_e64 v50, v50, v53, s[0:1]
; %bb.328:                              ;   in Loop: Header=BB354_179 Depth=1
	s_or_b64 exec, exec, s[10:11]
	v_lshlrev_b32_e32 v51, 16, v51
	v_mul_f32_e32 v53, v43, v51
	v_and_b32_e32 v51, 0x7f800000, v53
	v_cmp_ne_u32_e64 s[0:1], s18, v51
                                        ; implicit-def: $vgpr51
	s_and_saveexec_b64 s[10:11], s[0:1]
	s_xor_b64 s[0:1], exec, s[10:11]
; %bb.329:                              ;   in Loop: Header=BB354_179 Depth=1
	v_bfe_u32 v51, v53, 16, 1
	v_add3_u32 v51, v53, v51, s19
                                        ; implicit-def: $vgpr53
; %bb.330:                              ;   in Loop: Header=BB354_179 Depth=1
	s_andn2_saveexec_b64 s[10:11], s[0:1]
; %bb.331:                              ;   in Loop: Header=BB354_179 Depth=1
	v_or_b32_e32 v51, 0x10000, v53
	v_cmp_eq_u32_sdwa s[0:1], v53, v15 src0_sel:WORD_0 src1_sel:DWORD
	s_nop 1
	v_cndmask_b32_e64 v51, v51, v53, s[0:1]
; %bb.332:                              ;   in Loop: Header=BB354_179 Depth=1
	s_or_b64 exec, exec, s[10:11]
	v_lshlrev_b32_e32 v52, 16, v52
	v_mul_f32_e32 v53, v44, v52
	v_and_b32_e32 v52, 0x7f800000, v53
	v_cmp_ne_u32_e64 s[0:1], s18, v52
                                        ; implicit-def: $vgpr52
	s_and_saveexec_b64 s[10:11], s[0:1]
	s_xor_b64 s[0:1], exec, s[10:11]
; %bb.333:                              ;   in Loop: Header=BB354_179 Depth=1
	v_bfe_u32 v52, v53, 16, 1
	v_add3_u32 v52, v53, v52, s19
                                        ; implicit-def: $vgpr53
; %bb.334:                              ;   in Loop: Header=BB354_179 Depth=1
	s_andn2_saveexec_b64 s[10:11], s[0:1]
; %bb.335:                              ;   in Loop: Header=BB354_179 Depth=1
	v_or_b32_e32 v52, 0x10000, v53
	v_cmp_eq_u32_sdwa s[0:1], v53, v15 src0_sel:WORD_0 src1_sel:DWORD
	s_nop 1
	v_cndmask_b32_e64 v52, v52, v53, s[0:1]
; %bb.336:                              ;   in Loop: Header=BB354_179 Depth=1
	s_or_b64 exec, exec, s[10:11]
	v_lshlrev_b32_e32 v9, 16, v9
	v_mul_f32_e32 v9, v45, v9
	v_and_b32_e32 v53, 0x7f800000, v9
	v_cmp_ne_u32_e64 s[0:1], s18, v53
                                        ; implicit-def: $vgpr53
	s_and_saveexec_b64 s[10:11], s[0:1]
	s_xor_b64 s[0:1], exec, s[10:11]
; %bb.337:                              ;   in Loop: Header=BB354_179 Depth=1
	v_bfe_u32 v53, v9, 16, 1
	v_add3_u32 v53, v9, v53, s19
                                        ; implicit-def: $vgpr9
; %bb.338:                              ;   in Loop: Header=BB354_179 Depth=1
	s_andn2_saveexec_b64 s[10:11], s[0:1]
; %bb.339:                              ;   in Loop: Header=BB354_179 Depth=1
	v_or_b32_e32 v53, 0x10000, v9
	v_cmp_eq_u32_sdwa s[0:1], v9, v15 src0_sel:WORD_0 src1_sel:DWORD
	s_nop 1
	v_cndmask_b32_e64 v53, v53, v9, s[0:1]
; %bb.340:                              ;   in Loop: Header=BB354_179 Depth=1
	s_or_b64 exec, exec, s[10:11]
	v_lshlrev_b32_e32 v8, 16, v8
	v_mul_f32_e32 v8, v46, v8
	v_and_b32_e32 v9, 0x7f800000, v8
	v_cmp_ne_u32_e64 s[0:1], s18, v9
                                        ; implicit-def: $vgpr54
	s_and_saveexec_b64 s[10:11], s[0:1]
	s_xor_b64 s[0:1], exec, s[10:11]
; %bb.341:                              ;   in Loop: Header=BB354_179 Depth=1
	v_bfe_u32 v9, v8, 16, 1
	v_add3_u32 v54, v8, v9, s19
                                        ; implicit-def: $vgpr8
; %bb.342:                              ;   in Loop: Header=BB354_179 Depth=1
	s_andn2_saveexec_b64 s[10:11], s[0:1]
; %bb.343:                              ;   in Loop: Header=BB354_179 Depth=1
	v_or_b32_e32 v9, 0x10000, v8
	v_cmp_eq_u32_sdwa s[0:1], v8, v15 src0_sel:WORD_0 src1_sel:DWORD
	s_nop 1
	v_cndmask_b32_e64 v54, v9, v8, s[0:1]
; %bb.344:                              ;   in Loop: Header=BB354_179 Depth=1
	s_or_b64 exec, exec, s[10:11]
	global_load_dwordx2 v[8:9], v[6:7], off offset:1024
	s_waitcnt vmcnt(0)
	v_and_b32_e32 v55, 0xff, v8
	v_cvt_f32_fp8_sdwa v55, v55 src0_sel:BYTE_0
	s_nop 0
	v_mul_f32_e32 v56, s21, v55
	v_and_b32_e32 v55, 0x7f800000, v56
	v_cmp_ne_u32_e64 s[0:1], s18, v55
                                        ; implicit-def: $vgpr55
	s_and_saveexec_b64 s[10:11], s[0:1]
	s_xor_b64 s[0:1], exec, s[10:11]
; %bb.345:                              ;   in Loop: Header=BB354_179 Depth=1
	v_bfe_u32 v55, v56, 16, 1
	v_add3_u32 v55, v56, v55, s19
                                        ; implicit-def: $vgpr56
; %bb.346:                              ;   in Loop: Header=BB354_179 Depth=1
	s_andn2_saveexec_b64 s[10:11], s[0:1]
; %bb.347:                              ;   in Loop: Header=BB354_179 Depth=1
	v_or_b32_e32 v55, 0x10000, v56
	v_cmp_eq_u32_sdwa s[0:1], v56, v15 src0_sel:WORD_0 src1_sel:DWORD
	s_nop 1
	v_cndmask_b32_e64 v55, v55, v56, s[0:1]
; %bb.348:                              ;   in Loop: Header=BB354_179 Depth=1
	s_or_b64 exec, exec, s[10:11]
	v_bfe_u32 v56, v8, 8, 8
	v_cvt_f32_fp8_sdwa v56, v56 src0_sel:BYTE_0
	s_nop 0
	v_mul_f32_e32 v57, s21, v56
	v_and_b32_e32 v56, 0x7f800000, v57
	v_cmp_ne_u32_e64 s[0:1], s18, v56
                                        ; implicit-def: $vgpr56
	s_and_saveexec_b64 s[10:11], s[0:1]
	s_xor_b64 s[0:1], exec, s[10:11]
; %bb.349:                              ;   in Loop: Header=BB354_179 Depth=1
	v_bfe_u32 v56, v57, 16, 1
	v_add3_u32 v56, v57, v56, s19
                                        ; implicit-def: $vgpr57
; %bb.350:                              ;   in Loop: Header=BB354_179 Depth=1
	s_andn2_saveexec_b64 s[10:11], s[0:1]
; %bb.351:                              ;   in Loop: Header=BB354_179 Depth=1
	v_or_b32_e32 v56, 0x10000, v57
	v_cmp_eq_u32_sdwa s[0:1], v57, v15 src0_sel:WORD_0 src1_sel:DWORD
	s_nop 1
	v_cndmask_b32_e64 v56, v56, v57, s[0:1]
; %bb.352:                              ;   in Loop: Header=BB354_179 Depth=1
	s_or_b64 exec, exec, s[10:11]
	v_bfe_u32 v57, v8, 16, 8
	v_cvt_f32_fp8_sdwa v57, v57 src0_sel:BYTE_0
	s_nop 0
	v_mul_f32_e32 v58, s21, v57
	v_and_b32_e32 v57, 0x7f800000, v58
	v_cmp_ne_u32_e64 s[0:1], s18, v57
                                        ; implicit-def: $vgpr57
	s_and_saveexec_b64 s[10:11], s[0:1]
	s_xor_b64 s[0:1], exec, s[10:11]
; %bb.353:                              ;   in Loop: Header=BB354_179 Depth=1
	v_bfe_u32 v57, v58, 16, 1
	v_add3_u32 v57, v58, v57, s19
                                        ; implicit-def: $vgpr58
; %bb.354:                              ;   in Loop: Header=BB354_179 Depth=1
	s_andn2_saveexec_b64 s[10:11], s[0:1]
; %bb.355:                              ;   in Loop: Header=BB354_179 Depth=1
	v_or_b32_e32 v57, 0x10000, v58
	v_cmp_eq_u32_sdwa s[0:1], v58, v15 src0_sel:WORD_0 src1_sel:DWORD
	s_nop 1
	v_cndmask_b32_e64 v57, v57, v58, s[0:1]
; %bb.356:                              ;   in Loop: Header=BB354_179 Depth=1
	s_or_b64 exec, exec, s[10:11]
	v_lshrrev_b32_e32 v8, 24, v8
	v_cvt_f32_fp8_sdwa v8, v8 src0_sel:BYTE_0
	s_nop 0
	v_mul_f32_e32 v58, s21, v8
	v_and_b32_e32 v8, 0x7f800000, v58
	v_cmp_ne_u32_e64 s[0:1], s18, v8
                                        ; implicit-def: $vgpr8
	s_and_saveexec_b64 s[10:11], s[0:1]
	s_xor_b64 s[0:1], exec, s[10:11]
; %bb.357:                              ;   in Loop: Header=BB354_179 Depth=1
	v_bfe_u32 v8, v58, 16, 1
	v_add3_u32 v8, v58, v8, s19
                                        ; implicit-def: $vgpr58
; %bb.358:                              ;   in Loop: Header=BB354_179 Depth=1
	s_andn2_saveexec_b64 s[10:11], s[0:1]
; %bb.359:                              ;   in Loop: Header=BB354_179 Depth=1
	v_or_b32_e32 v8, 0x10000, v58
	v_cmp_eq_u32_sdwa s[0:1], v58, v15 src0_sel:WORD_0 src1_sel:DWORD
	s_nop 1
	v_cndmask_b32_e64 v8, v8, v58, s[0:1]
; %bb.360:                              ;   in Loop: Header=BB354_179 Depth=1
	s_or_b64 exec, exec, s[10:11]
	v_and_b32_e32 v58, 0xff, v9
	v_cvt_f32_fp8_sdwa v58, v58 src0_sel:BYTE_0
	s_nop 0
	v_mul_f32_e32 v58, s21, v58
	v_and_b32_e32 v59, 0x7f800000, v58
	v_cmp_ne_u32_e64 s[0:1], s18, v59
                                        ; implicit-def: $vgpr59
	s_and_saveexec_b64 s[10:11], s[0:1]
	s_xor_b64 s[0:1], exec, s[10:11]
; %bb.361:                              ;   in Loop: Header=BB354_179 Depth=1
	v_bfe_u32 v59, v58, 16, 1
	v_add3_u32 v59, v58, v59, s19
                                        ; implicit-def: $vgpr58
; %bb.362:                              ;   in Loop: Header=BB354_179 Depth=1
	s_andn2_saveexec_b64 s[10:11], s[0:1]
; %bb.363:                              ;   in Loop: Header=BB354_179 Depth=1
	v_or_b32_e32 v59, 0x10000, v58
	v_cmp_eq_u32_sdwa s[0:1], v58, v15 src0_sel:WORD_0 src1_sel:DWORD
	s_nop 1
	v_cndmask_b32_e64 v59, v59, v58, s[0:1]
; %bb.364:                              ;   in Loop: Header=BB354_179 Depth=1
	s_or_b64 exec, exec, s[10:11]
	v_bfe_u32 v58, v9, 8, 8
	v_cvt_f32_fp8_sdwa v58, v58 src0_sel:BYTE_0
	s_nop 0
	v_mul_f32_e32 v60, s21, v58
	v_and_b32_e32 v58, 0x7f800000, v60
	v_cmp_ne_u32_e64 s[0:1], s18, v58
                                        ; implicit-def: $vgpr58
	s_and_saveexec_b64 s[10:11], s[0:1]
	s_xor_b64 s[0:1], exec, s[10:11]
; %bb.365:                              ;   in Loop: Header=BB354_179 Depth=1
	v_bfe_u32 v58, v60, 16, 1
	v_add3_u32 v58, v60, v58, s19
                                        ; implicit-def: $vgpr60
; %bb.366:                              ;   in Loop: Header=BB354_179 Depth=1
	s_andn2_saveexec_b64 s[10:11], s[0:1]
; %bb.367:                              ;   in Loop: Header=BB354_179 Depth=1
	v_or_b32_e32 v58, 0x10000, v60
	v_cmp_eq_u32_sdwa s[0:1], v60, v15 src0_sel:WORD_0 src1_sel:DWORD
	s_nop 1
	v_cndmask_b32_e64 v58, v58, v60, s[0:1]
; %bb.368:                              ;   in Loop: Header=BB354_179 Depth=1
	s_or_b64 exec, exec, s[10:11]
	v_bfe_u32 v60, v9, 16, 8
	v_cvt_f32_fp8_sdwa v60, v60 src0_sel:BYTE_0
	s_nop 0
	v_mul_f32_e32 v61, s21, v60
	v_and_b32_e32 v60, 0x7f800000, v61
	v_cmp_ne_u32_e64 s[0:1], s18, v60
                                        ; implicit-def: $vgpr60
	s_and_saveexec_b64 s[10:11], s[0:1]
	s_xor_b64 s[0:1], exec, s[10:11]
; %bb.369:                              ;   in Loop: Header=BB354_179 Depth=1
	v_bfe_u32 v60, v61, 16, 1
	v_add3_u32 v60, v61, v60, s19
                                        ; implicit-def: $vgpr61
; %bb.370:                              ;   in Loop: Header=BB354_179 Depth=1
	s_andn2_saveexec_b64 s[10:11], s[0:1]
; %bb.371:                              ;   in Loop: Header=BB354_179 Depth=1
	v_or_b32_e32 v60, 0x10000, v61
	v_cmp_eq_u32_sdwa s[0:1], v61, v15 src0_sel:WORD_0 src1_sel:DWORD
	s_nop 1
	v_cndmask_b32_e64 v60, v60, v61, s[0:1]
; %bb.372:                              ;   in Loop: Header=BB354_179 Depth=1
	s_or_b64 exec, exec, s[10:11]
	v_lshrrev_b32_e32 v9, 24, v9
	v_cvt_f32_fp8_sdwa v9, v9 src0_sel:BYTE_0
                                        ; implicit-def: $vgpr63
	s_nop 0
	v_mul_f32_e32 v9, s21, v9
	v_and_b32_e32 v61, 0x7f800000, v9
	v_cmp_ne_u32_e64 s[0:1], s18, v61
	s_and_saveexec_b64 s[10:11], s[0:1]
	s_xor_b64 s[0:1], exec, s[10:11]
; %bb.373:                              ;   in Loop: Header=BB354_179 Depth=1
	v_bfe_u32 v61, v9, 16, 1
	v_add3_u32 v63, v9, v61, s19
                                        ; implicit-def: $vgpr9
; %bb.374:                              ;   in Loop: Header=BB354_179 Depth=1
	s_andn2_saveexec_b64 s[10:11], s[0:1]
; %bb.375:                              ;   in Loop: Header=BB354_179 Depth=1
	v_or_b32_e32 v61, 0x10000, v9
	v_cmp_eq_u32_sdwa s[0:1], v9, v15 src0_sel:WORD_0 src1_sel:DWORD
	s_nop 1
	v_cndmask_b32_e64 v63, v61, v9, s[0:1]
; %bb.376:                              ;   in Loop: Header=BB354_179 Depth=1
	s_or_b64 exec, exec, s[10:11]
	v_lshrrev_b32_e32 v58, 16, v58
	v_lshrrev_b32_e32 v61, 16, v59
	;; [unrolled: 1-line block ×8, first 2 shown]
	s_and_saveexec_b64 s[10:11], vcc
	s_cbranch_execz .LBB354_378
; %bb.377:                              ;   in Loop: Header=BB354_179 Depth=1
	v_cmp_gt_i32_e64 s[0:1], s33, v30
	s_nop 1
	v_cndmask_b32_e64 v8, 0, v8, s[0:1]
	v_cmp_gt_i32_e64 s[0:1], s33, v37
	s_nop 1
	v_cndmask_b32_e64 v9, 0, v9, s[0:1]
	;; [unrolled: 3-line block ×8, first 2 shown]
.LBB354_378:                            ;   in Loop: Header=BB354_179 Depth=1
	s_or_b64 exec, exec, s[10:11]
	v_lshlrev_b32_e32 v8, 16, v8
	v_mul_f32_e32 v55, v39, v8
	v_and_b32_e32 v8, 0x7f800000, v55
	v_cmp_ne_u32_e64 s[0:1], s18, v8
                                        ; implicit-def: $vgpr8
	s_and_saveexec_b64 s[10:11], s[0:1]
	s_xor_b64 s[0:1], exec, s[10:11]
; %bb.379:                              ;   in Loop: Header=BB354_179 Depth=1
	v_bfe_u32 v8, v55, 16, 1
	v_add3_u32 v8, v55, v8, s19
                                        ; implicit-def: $vgpr55
; %bb.380:                              ;   in Loop: Header=BB354_179 Depth=1
	s_andn2_saveexec_b64 s[10:11], s[0:1]
; %bb.381:                              ;   in Loop: Header=BB354_179 Depth=1
	v_or_b32_e32 v8, 0x10000, v55
	v_cmp_eq_u32_sdwa s[0:1], v55, v15 src0_sel:WORD_0 src1_sel:DWORD
	s_nop 1
	v_cndmask_b32_e64 v8, v8, v55, s[0:1]
; %bb.382:                              ;   in Loop: Header=BB354_179 Depth=1
	s_or_b64 exec, exec, s[10:11]
	v_lshlrev_b32_e32 v9, 16, v9
	v_mul_f32_e32 v55, v40, v9
	v_and_b32_e32 v9, 0x7f800000, v55
	v_cmp_ne_u32_e64 s[0:1], s18, v9
                                        ; implicit-def: $vgpr9
	s_and_saveexec_b64 s[10:11], s[0:1]
	s_xor_b64 s[0:1], exec, s[10:11]
; %bb.383:                              ;   in Loop: Header=BB354_179 Depth=1
	v_bfe_u32 v9, v55, 16, 1
	v_add3_u32 v9, v55, v9, s19
                                        ; implicit-def: $vgpr55
; %bb.384:                              ;   in Loop: Header=BB354_179 Depth=1
	s_andn2_saveexec_b64 s[10:11], s[0:1]
; %bb.385:                              ;   in Loop: Header=BB354_179 Depth=1
	v_or_b32_e32 v9, 0x10000, v55
	v_cmp_eq_u32_sdwa s[0:1], v55, v15 src0_sel:WORD_0 src1_sel:DWORD
	s_nop 1
	v_cndmask_b32_e64 v9, v9, v55, s[0:1]
; %bb.386:                              ;   in Loop: Header=BB354_179 Depth=1
	s_or_b64 exec, exec, s[10:11]
	v_lshlrev_b32_e32 v55, 16, v57
	v_mul_f32_e32 v56, v41, v55
	v_and_b32_e32 v55, 0x7f800000, v56
	v_cmp_ne_u32_e64 s[0:1], s18, v55
                                        ; implicit-def: $vgpr55
	s_and_saveexec_b64 s[10:11], s[0:1]
	s_xor_b64 s[0:1], exec, s[10:11]
; %bb.387:                              ;   in Loop: Header=BB354_179 Depth=1
	v_bfe_u32 v55, v56, 16, 1
	v_add3_u32 v55, v56, v55, s19
                                        ; implicit-def: $vgpr56
; %bb.388:                              ;   in Loop: Header=BB354_179 Depth=1
	s_andn2_saveexec_b64 s[10:11], s[0:1]
; %bb.389:                              ;   in Loop: Header=BB354_179 Depth=1
	v_or_b32_e32 v55, 0x10000, v56
	v_cmp_eq_u32_sdwa s[0:1], v56, v15 src0_sel:WORD_0 src1_sel:DWORD
	s_nop 1
	v_cndmask_b32_e64 v55, v55, v56, s[0:1]
; %bb.390:                              ;   in Loop: Header=BB354_179 Depth=1
	s_or_b64 exec, exec, s[10:11]
	v_lshlrev_b32_e32 v56, 16, v62
	v_mul_f32_e32 v57, v42, v56
	v_and_b32_e32 v56, 0x7f800000, v57
	v_cmp_ne_u32_e64 s[0:1], s18, v56
                                        ; implicit-def: $vgpr56
	s_and_saveexec_b64 s[10:11], s[0:1]
	s_xor_b64 s[0:1], exec, s[10:11]
; %bb.391:                              ;   in Loop: Header=BB354_179 Depth=1
	v_bfe_u32 v56, v57, 16, 1
	v_add3_u32 v56, v57, v56, s19
                                        ; implicit-def: $vgpr57
; %bb.392:                              ;   in Loop: Header=BB354_179 Depth=1
	s_andn2_saveexec_b64 s[10:11], s[0:1]
; %bb.393:                              ;   in Loop: Header=BB354_179 Depth=1
	v_or_b32_e32 v56, 0x10000, v57
	v_cmp_eq_u32_sdwa s[0:1], v57, v15 src0_sel:WORD_0 src1_sel:DWORD
	s_nop 1
	v_cndmask_b32_e64 v56, v56, v57, s[0:1]
; %bb.394:                              ;   in Loop: Header=BB354_179 Depth=1
	s_or_b64 exec, exec, s[10:11]
	v_lshlrev_b32_e32 v57, 16, v61
	v_mul_f32_e32 v61, v43, v57
	v_and_b32_e32 v57, 0x7f800000, v61
	v_cmp_ne_u32_e64 s[0:1], s18, v57
                                        ; implicit-def: $vgpr57
	s_and_saveexec_b64 s[10:11], s[0:1]
	s_xor_b64 s[0:1], exec, s[10:11]
; %bb.395:                              ;   in Loop: Header=BB354_179 Depth=1
	v_bfe_u32 v57, v61, 16, 1
	v_add3_u32 v57, v61, v57, s19
                                        ; implicit-def: $vgpr61
; %bb.396:                              ;   in Loop: Header=BB354_179 Depth=1
	s_andn2_saveexec_b64 s[10:11], s[0:1]
; %bb.397:                              ;   in Loop: Header=BB354_179 Depth=1
	v_or_b32_e32 v57, 0x10000, v61
	v_cmp_eq_u32_sdwa s[0:1], v61, v15 src0_sel:WORD_0 src1_sel:DWORD
	s_nop 1
	v_cndmask_b32_e64 v57, v57, v61, s[0:1]
; %bb.398:                              ;   in Loop: Header=BB354_179 Depth=1
	s_or_b64 exec, exec, s[10:11]
	v_lshlrev_b32_e32 v58, 16, v58
	v_mul_f32_e32 v61, v44, v58
	v_and_b32_e32 v58, 0x7f800000, v61
	v_cmp_ne_u32_e64 s[0:1], s18, v58
                                        ; implicit-def: $vgpr58
	s_and_saveexec_b64 s[10:11], s[0:1]
	s_xor_b64 s[0:1], exec, s[10:11]
; %bb.399:                              ;   in Loop: Header=BB354_179 Depth=1
	v_bfe_u32 v58, v61, 16, 1
	v_add3_u32 v58, v61, v58, s19
                                        ; implicit-def: $vgpr61
; %bb.400:                              ;   in Loop: Header=BB354_179 Depth=1
	s_andn2_saveexec_b64 s[10:11], s[0:1]
; %bb.401:                              ;   in Loop: Header=BB354_179 Depth=1
	v_or_b32_e32 v58, 0x10000, v61
	v_cmp_eq_u32_sdwa s[0:1], v61, v15 src0_sel:WORD_0 src1_sel:DWORD
	s_nop 1
	v_cndmask_b32_e64 v58, v58, v61, s[0:1]
; %bb.402:                              ;   in Loop: Header=BB354_179 Depth=1
	s_or_b64 exec, exec, s[10:11]
	v_lshlrev_b32_e32 v59, 16, v59
	v_mul_f32_e32 v61, v45, v59
	v_and_b32_e32 v59, 0x7f800000, v61
	v_cmp_ne_u32_e64 s[0:1], s18, v59
                                        ; implicit-def: $vgpr59
	s_and_saveexec_b64 s[10:11], s[0:1]
	s_xor_b64 s[0:1], exec, s[10:11]
; %bb.403:                              ;   in Loop: Header=BB354_179 Depth=1
	v_bfe_u32 v59, v61, 16, 1
	v_add3_u32 v59, v61, v59, s19
                                        ; implicit-def: $vgpr61
; %bb.404:                              ;   in Loop: Header=BB354_179 Depth=1
	s_andn2_saveexec_b64 s[10:11], s[0:1]
; %bb.405:                              ;   in Loop: Header=BB354_179 Depth=1
	v_or_b32_e32 v59, 0x10000, v61
	v_cmp_eq_u32_sdwa s[0:1], v61, v15 src0_sel:WORD_0 src1_sel:DWORD
	s_nop 1
	v_cndmask_b32_e64 v59, v59, v61, s[0:1]
; %bb.406:                              ;   in Loop: Header=BB354_179 Depth=1
	s_or_b64 exec, exec, s[10:11]
	v_lshlrev_b32_e32 v60, 16, v60
	v_mul_f32_e32 v61, v46, v60
	v_and_b32_e32 v60, 0x7f800000, v61
	v_cmp_ne_u32_e64 s[0:1], s18, v60
                                        ; implicit-def: $vgpr60
	s_and_saveexec_b64 s[10:11], s[0:1]
	s_xor_b64 s[0:1], exec, s[10:11]
; %bb.407:                              ;   in Loop: Header=BB354_179 Depth=1
	v_bfe_u32 v60, v61, 16, 1
	v_add3_u32 v60, v61, v60, s19
                                        ; implicit-def: $vgpr61
; %bb.408:                              ;   in Loop: Header=BB354_179 Depth=1
	s_andn2_saveexec_b64 s[10:11], s[0:1]
; %bb.409:                              ;   in Loop: Header=BB354_179 Depth=1
	v_or_b32_e32 v60, 0x10000, v61
	v_cmp_eq_u32_sdwa s[0:1], v61, v15 src0_sel:WORD_0 src1_sel:DWORD
	s_nop 1
	v_cndmask_b32_e64 v60, v60, v61, s[0:1]
; %bb.410:                              ;   in Loop: Header=BB354_179 Depth=1
	s_or_b64 exec, exec, s[10:11]
	global_load_dwordx2 v[6:7], v[6:7], off offset:1536
	s_waitcnt vmcnt(0)
	v_and_b32_e32 v61, 0xff, v6
	v_cvt_f32_fp8_sdwa v61, v61 src0_sel:BYTE_0
	s_nop 0
	v_mul_f32_e32 v62, s21, v61
	v_and_b32_e32 v61, 0x7f800000, v62
	v_cmp_ne_u32_e64 s[0:1], s18, v61
                                        ; implicit-def: $vgpr61
	s_and_saveexec_b64 s[10:11], s[0:1]
	s_xor_b64 s[0:1], exec, s[10:11]
; %bb.411:                              ;   in Loop: Header=BB354_179 Depth=1
	v_bfe_u32 v61, v62, 16, 1
	v_add3_u32 v61, v62, v61, s19
                                        ; implicit-def: $vgpr62
; %bb.412:                              ;   in Loop: Header=BB354_179 Depth=1
	s_andn2_saveexec_b64 s[10:11], s[0:1]
; %bb.413:                              ;   in Loop: Header=BB354_179 Depth=1
	v_or_b32_e32 v61, 0x10000, v62
	v_cmp_eq_u32_sdwa s[0:1], v62, v15 src0_sel:WORD_0 src1_sel:DWORD
	s_nop 1
	v_cndmask_b32_e64 v61, v61, v62, s[0:1]
; %bb.414:                              ;   in Loop: Header=BB354_179 Depth=1
	s_or_b64 exec, exec, s[10:11]
	v_bfe_u32 v62, v6, 8, 8
	v_cvt_f32_fp8_sdwa v62, v62 src0_sel:BYTE_0
	s_nop 0
	v_mul_f32_e32 v63, s21, v62
	v_and_b32_e32 v62, 0x7f800000, v63
	v_cmp_ne_u32_e64 s[0:1], s18, v62
                                        ; implicit-def: $vgpr62
	s_and_saveexec_b64 s[10:11], s[0:1]
	s_xor_b64 s[0:1], exec, s[10:11]
; %bb.415:                              ;   in Loop: Header=BB354_179 Depth=1
	v_bfe_u32 v62, v63, 16, 1
	v_add3_u32 v62, v63, v62, s19
                                        ; implicit-def: $vgpr63
; %bb.416:                              ;   in Loop: Header=BB354_179 Depth=1
	s_andn2_saveexec_b64 s[10:11], s[0:1]
; %bb.417:                              ;   in Loop: Header=BB354_179 Depth=1
	v_or_b32_e32 v62, 0x10000, v63
	v_cmp_eq_u32_sdwa s[0:1], v63, v15 src0_sel:WORD_0 src1_sel:DWORD
	s_nop 1
	v_cndmask_b32_e64 v62, v62, v63, s[0:1]
; %bb.418:                              ;   in Loop: Header=BB354_179 Depth=1
	s_or_b64 exec, exec, s[10:11]
	v_bfe_u32 v63, v6, 16, 8
	v_cvt_f32_fp8_sdwa v63, v63 src0_sel:BYTE_0
	s_nop 0
	v_mul_f32_e32 v63, s21, v63
	v_and_b32_e32 v64, 0x7f800000, v63
	v_cmp_ne_u32_e64 s[0:1], s18, v64
                                        ; implicit-def: $vgpr64
	s_and_saveexec_b64 s[10:11], s[0:1]
	s_xor_b64 s[0:1], exec, s[10:11]
; %bb.419:                              ;   in Loop: Header=BB354_179 Depth=1
	v_bfe_u32 v64, v63, 16, 1
	v_add3_u32 v64, v63, v64, s19
                                        ; implicit-def: $vgpr63
; %bb.420:                              ;   in Loop: Header=BB354_179 Depth=1
	s_andn2_saveexec_b64 s[10:11], s[0:1]
; %bb.421:                              ;   in Loop: Header=BB354_179 Depth=1
	v_or_b32_e32 v64, 0x10000, v63
	v_cmp_eq_u32_sdwa s[0:1], v63, v15 src0_sel:WORD_0 src1_sel:DWORD
	s_nop 1
	v_cndmask_b32_e64 v64, v64, v63, s[0:1]
; %bb.422:                              ;   in Loop: Header=BB354_179 Depth=1
	s_or_b64 exec, exec, s[10:11]
	v_lshrrev_b32_e32 v6, 24, v6
	v_cvt_f32_fp8_sdwa v6, v6 src0_sel:BYTE_0
	s_nop 0
	v_mul_f32_e32 v63, s21, v6
	v_and_b32_e32 v6, 0x7f800000, v63
	v_cmp_ne_u32_e64 s[0:1], s18, v6
                                        ; implicit-def: $vgpr6
	s_and_saveexec_b64 s[10:11], s[0:1]
	s_xor_b64 s[0:1], exec, s[10:11]
; %bb.423:                              ;   in Loop: Header=BB354_179 Depth=1
	v_bfe_u32 v6, v63, 16, 1
	v_add3_u32 v6, v63, v6, s19
                                        ; implicit-def: $vgpr63
; %bb.424:                              ;   in Loop: Header=BB354_179 Depth=1
	s_andn2_saveexec_b64 s[10:11], s[0:1]
; %bb.425:                              ;   in Loop: Header=BB354_179 Depth=1
	v_or_b32_e32 v6, 0x10000, v63
	v_cmp_eq_u32_sdwa s[0:1], v63, v15 src0_sel:WORD_0 src1_sel:DWORD
	s_nop 1
	v_cndmask_b32_e64 v6, v6, v63, s[0:1]
; %bb.426:                              ;   in Loop: Header=BB354_179 Depth=1
	s_or_b64 exec, exec, s[10:11]
	v_and_b32_e32 v63, 0xff, v7
	v_cvt_f32_fp8_sdwa v63, v63 src0_sel:BYTE_0
	s_nop 0
	v_mul_f32_e32 v63, s21, v63
	v_and_b32_e32 v65, 0x7f800000, v63
	v_cmp_ne_u32_e64 s[0:1], s18, v65
                                        ; implicit-def: $vgpr65
	s_and_saveexec_b64 s[10:11], s[0:1]
	s_xor_b64 s[0:1], exec, s[10:11]
; %bb.427:                              ;   in Loop: Header=BB354_179 Depth=1
	v_bfe_u32 v65, v63, 16, 1
	v_add3_u32 v65, v63, v65, s19
                                        ; implicit-def: $vgpr63
; %bb.428:                              ;   in Loop: Header=BB354_179 Depth=1
	s_andn2_saveexec_b64 s[10:11], s[0:1]
; %bb.429:                              ;   in Loop: Header=BB354_179 Depth=1
	v_or_b32_e32 v65, 0x10000, v63
	v_cmp_eq_u32_sdwa s[0:1], v63, v15 src0_sel:WORD_0 src1_sel:DWORD
	s_nop 1
	v_cndmask_b32_e64 v65, v65, v63, s[0:1]
; %bb.430:                              ;   in Loop: Header=BB354_179 Depth=1
	s_or_b64 exec, exec, s[10:11]
	v_bfe_u32 v63, v7, 8, 8
	v_cvt_f32_fp8_sdwa v63, v63 src0_sel:BYTE_0
	s_nop 0
	v_mul_f32_e32 v66, s21, v63
	v_and_b32_e32 v63, 0x7f800000, v66
	v_cmp_ne_u32_e64 s[0:1], s18, v63
                                        ; implicit-def: $vgpr63
	s_and_saveexec_b64 s[10:11], s[0:1]
	s_xor_b64 s[0:1], exec, s[10:11]
; %bb.431:                              ;   in Loop: Header=BB354_179 Depth=1
	v_bfe_u32 v63, v66, 16, 1
	v_add3_u32 v63, v66, v63, s19
                                        ; implicit-def: $vgpr66
; %bb.432:                              ;   in Loop: Header=BB354_179 Depth=1
	s_andn2_saveexec_b64 s[10:11], s[0:1]
; %bb.433:                              ;   in Loop: Header=BB354_179 Depth=1
	v_or_b32_e32 v63, 0x10000, v66
	v_cmp_eq_u32_sdwa s[0:1], v66, v15 src0_sel:WORD_0 src1_sel:DWORD
	s_nop 1
	v_cndmask_b32_e64 v63, v63, v66, s[0:1]
; %bb.434:                              ;   in Loop: Header=BB354_179 Depth=1
	s_or_b64 exec, exec, s[10:11]
	v_bfe_u32 v66, v7, 16, 8
	v_cvt_f32_fp8_sdwa v66, v66 src0_sel:BYTE_0
	s_nop 0
	v_mul_f32_e32 v66, s21, v66
	v_and_b32_e32 v67, 0x7f800000, v66
	v_cmp_ne_u32_e64 s[0:1], s18, v67
                                        ; implicit-def: $vgpr67
	s_and_saveexec_b64 s[10:11], s[0:1]
	s_xor_b64 s[0:1], exec, s[10:11]
; %bb.435:                              ;   in Loop: Header=BB354_179 Depth=1
	v_bfe_u32 v67, v66, 16, 1
	v_add3_u32 v67, v66, v67, s19
                                        ; implicit-def: $vgpr66
; %bb.436:                              ;   in Loop: Header=BB354_179 Depth=1
	s_andn2_saveexec_b64 s[10:11], s[0:1]
; %bb.437:                              ;   in Loop: Header=BB354_179 Depth=1
	v_or_b32_e32 v67, 0x10000, v66
	v_cmp_eq_u32_sdwa s[0:1], v66, v15 src0_sel:WORD_0 src1_sel:DWORD
	s_nop 1
	v_cndmask_b32_e64 v67, v67, v66, s[0:1]
; %bb.438:                              ;   in Loop: Header=BB354_179 Depth=1
	s_or_b64 exec, exec, s[10:11]
	v_lshrrev_b32_e32 v7, 24, v7
	v_cvt_f32_fp8_sdwa v7, v7 src0_sel:BYTE_0
                                        ; implicit-def: $vgpr68
	s_nop 0
	v_mul_f32_e32 v7, s21, v7
	v_and_b32_e32 v66, 0x7f800000, v7
	v_cmp_ne_u32_e64 s[0:1], s18, v66
	s_and_saveexec_b64 s[10:11], s[0:1]
	s_xor_b64 s[0:1], exec, s[10:11]
; %bb.439:                              ;   in Loop: Header=BB354_179 Depth=1
	v_bfe_u32 v66, v7, 16, 1
	v_add3_u32 v68, v7, v66, s19
                                        ; implicit-def: $vgpr7
; %bb.440:                              ;   in Loop: Header=BB354_179 Depth=1
	s_andn2_saveexec_b64 s[10:11], s[0:1]
; %bb.441:                              ;   in Loop: Header=BB354_179 Depth=1
	v_or_b32_e32 v66, 0x10000, v7
	v_cmp_eq_u32_sdwa s[0:1], v7, v15 src0_sel:WORD_0 src1_sel:DWORD
	s_nop 1
	v_cndmask_b32_e64 v68, v66, v7, s[0:1]
; %bb.442:                              ;   in Loop: Header=BB354_179 Depth=1
	s_or_b64 exec, exec, s[10:11]
	v_lshrrev_b32_e32 v63, 16, v63
	v_lshrrev_b32_e32 v65, 16, v65
	;; [unrolled: 1-line block ×8, first 2 shown]
	s_and_saveexec_b64 s[0:1], vcc
	s_cbranch_execz .LBB354_444
; %bb.443:                              ;   in Loop: Header=BB354_179 Depth=1
	v_cmp_gt_i32_e32 vcc, s33, v30
	s_nop 1
	v_cndmask_b32_e32 v6, 0, v6, vcc
	v_cmp_gt_i32_e32 vcc, s33, v37
	s_nop 1
	v_cndmask_b32_e32 v7, 0, v7, vcc
	;; [unrolled: 3-line block ×8, first 2 shown]
.LBB354_444:                            ;   in Loop: Header=BB354_179 Depth=1
	s_or_b64 exec, exec, s[0:1]
	v_lshlrev_b32_e32 v6, 16, v6
	v_mul_f32_e32 v30, v39, v6
	v_and_b32_e32 v6, 0x7f800000, v30
	v_cmp_ne_u32_e32 vcc, s18, v6
                                        ; implicit-def: $vgpr6
	s_and_saveexec_b64 s[0:1], vcc
	s_xor_b64 s[0:1], exec, s[0:1]
; %bb.445:                              ;   in Loop: Header=BB354_179 Depth=1
	v_bfe_u32 v6, v30, 16, 1
	v_add3_u32 v6, v30, v6, s19
                                        ; implicit-def: $vgpr30
; %bb.446:                              ;   in Loop: Header=BB354_179 Depth=1
	s_andn2_saveexec_b64 s[0:1], s[0:1]
; %bb.447:                              ;   in Loop: Header=BB354_179 Depth=1
	v_or_b32_e32 v6, 0x10000, v30
	v_cmp_eq_u32_sdwa vcc, v30, v15 src0_sel:WORD_0 src1_sel:DWORD
	s_nop 1
	v_cndmask_b32_e32 v6, v6, v30, vcc
; %bb.448:                              ;   in Loop: Header=BB354_179 Depth=1
	s_or_b64 exec, exec, s[0:1]
	v_lshlrev_b32_e32 v7, 16, v7
	v_mul_f32_e32 v30, v40, v7
	v_and_b32_e32 v7, 0x7f800000, v30
	v_cmp_ne_u32_e32 vcc, s18, v7
                                        ; implicit-def: $vgpr7
	s_and_saveexec_b64 s[0:1], vcc
	s_xor_b64 s[0:1], exec, s[0:1]
; %bb.449:                              ;   in Loop: Header=BB354_179 Depth=1
	v_bfe_u32 v7, v30, 16, 1
	v_add3_u32 v7, v30, v7, s19
                                        ; implicit-def: $vgpr30
; %bb.450:                              ;   in Loop: Header=BB354_179 Depth=1
	s_andn2_saveexec_b64 s[0:1], s[0:1]
; %bb.451:                              ;   in Loop: Header=BB354_179 Depth=1
	v_or_b32_e32 v7, 0x10000, v30
	v_cmp_eq_u32_sdwa vcc, v30, v15 src0_sel:WORD_0 src1_sel:DWORD
	s_nop 1
	v_cndmask_b32_e32 v7, v7, v30, vcc
; %bb.452:                              ;   in Loop: Header=BB354_179 Depth=1
	s_or_b64 exec, exec, s[0:1]
	v_lshlrev_b32_e32 v30, 16, v64
	v_mul_f32_e32 v31, v41, v30
	v_and_b32_e32 v30, 0x7f800000, v31
	v_cmp_ne_u32_e32 vcc, s18, v30
                                        ; implicit-def: $vgpr30
	s_and_saveexec_b64 s[0:1], vcc
	s_xor_b64 s[0:1], exec, s[0:1]
; %bb.453:                              ;   in Loop: Header=BB354_179 Depth=1
	v_bfe_u32 v30, v31, 16, 1
	v_add3_u32 v30, v31, v30, s19
                                        ; implicit-def: $vgpr31
; %bb.454:                              ;   in Loop: Header=BB354_179 Depth=1
	s_andn2_saveexec_b64 s[0:1], s[0:1]
; %bb.455:                              ;   in Loop: Header=BB354_179 Depth=1
	v_or_b32_e32 v30, 0x10000, v31
	v_cmp_eq_u32_sdwa vcc, v31, v15 src0_sel:WORD_0 src1_sel:DWORD
	s_nop 1
	v_cndmask_b32_e32 v30, v30, v31, vcc
; %bb.456:                              ;   in Loop: Header=BB354_179 Depth=1
	s_or_b64 exec, exec, s[0:1]
	v_lshlrev_b32_e32 v31, 16, v66
	v_mul_f32_e32 v32, v42, v31
	v_and_b32_e32 v31, 0x7f800000, v32
	v_cmp_ne_u32_e32 vcc, s18, v31
                                        ; implicit-def: $vgpr31
	s_and_saveexec_b64 s[0:1], vcc
	s_xor_b64 s[0:1], exec, s[0:1]
; %bb.457:                              ;   in Loop: Header=BB354_179 Depth=1
	v_bfe_u32 v31, v32, 16, 1
	v_add3_u32 v31, v32, v31, s19
                                        ; implicit-def: $vgpr32
; %bb.458:                              ;   in Loop: Header=BB354_179 Depth=1
	s_andn2_saveexec_b64 s[0:1], s[0:1]
; %bb.459:                              ;   in Loop: Header=BB354_179 Depth=1
	v_or_b32_e32 v31, 0x10000, v32
	v_cmp_eq_u32_sdwa vcc, v32, v15 src0_sel:WORD_0 src1_sel:DWORD
	s_nop 1
	v_cndmask_b32_e32 v31, v31, v32, vcc
; %bb.460:                              ;   in Loop: Header=BB354_179 Depth=1
	s_or_b64 exec, exec, s[0:1]
	v_lshlrev_b32_e32 v32, 16, v65
	v_mul_f32_e32 v33, v43, v32
	v_and_b32_e32 v32, 0x7f800000, v33
	v_cmp_ne_u32_e32 vcc, s18, v32
                                        ; implicit-def: $vgpr32
	s_and_saveexec_b64 s[0:1], vcc
	s_xor_b64 s[0:1], exec, s[0:1]
; %bb.461:                              ;   in Loop: Header=BB354_179 Depth=1
	v_bfe_u32 v32, v33, 16, 1
	v_add3_u32 v32, v33, v32, s19
                                        ; implicit-def: $vgpr33
; %bb.462:                              ;   in Loop: Header=BB354_179 Depth=1
	s_andn2_saveexec_b64 s[0:1], s[0:1]
; %bb.463:                              ;   in Loop: Header=BB354_179 Depth=1
	v_or_b32_e32 v32, 0x10000, v33
	v_cmp_eq_u32_sdwa vcc, v33, v15 src0_sel:WORD_0 src1_sel:DWORD
	s_nop 1
	v_cndmask_b32_e32 v32, v32, v33, vcc
; %bb.464:                              ;   in Loop: Header=BB354_179 Depth=1
	s_or_b64 exec, exec, s[0:1]
	v_lshlrev_b32_e32 v33, 16, v63
	v_mul_f32_e32 v34, v44, v33
	v_and_b32_e32 v33, 0x7f800000, v34
	v_cmp_ne_u32_e32 vcc, s18, v33
                                        ; implicit-def: $vgpr33
	s_and_saveexec_b64 s[0:1], vcc
	s_xor_b64 s[0:1], exec, s[0:1]
; %bb.465:                              ;   in Loop: Header=BB354_179 Depth=1
	v_bfe_u32 v33, v34, 16, 1
	v_add3_u32 v33, v34, v33, s19
                                        ; implicit-def: $vgpr34
; %bb.466:                              ;   in Loop: Header=BB354_179 Depth=1
	s_andn2_saveexec_b64 s[0:1], s[0:1]
; %bb.467:                              ;   in Loop: Header=BB354_179 Depth=1
	v_or_b32_e32 v33, 0x10000, v34
	v_cmp_eq_u32_sdwa vcc, v34, v15 src0_sel:WORD_0 src1_sel:DWORD
	s_nop 1
	v_cndmask_b32_e32 v33, v33, v34, vcc
; %bb.468:                              ;   in Loop: Header=BB354_179 Depth=1
	s_or_b64 exec, exec, s[0:1]
	v_lshlrev_b32_e32 v34, 16, v62
	v_mul_f32_e32 v35, v45, v34
	v_and_b32_e32 v34, 0x7f800000, v35
	v_cmp_ne_u32_e32 vcc, s18, v34
                                        ; implicit-def: $vgpr34
	s_and_saveexec_b64 s[0:1], vcc
	s_xor_b64 s[0:1], exec, s[0:1]
; %bb.469:                              ;   in Loop: Header=BB354_179 Depth=1
	v_bfe_u32 v34, v35, 16, 1
	v_add3_u32 v34, v35, v34, s19
                                        ; implicit-def: $vgpr35
; %bb.470:                              ;   in Loop: Header=BB354_179 Depth=1
	s_andn2_saveexec_b64 s[0:1], s[0:1]
; %bb.471:                              ;   in Loop: Header=BB354_179 Depth=1
	v_or_b32_e32 v34, 0x10000, v35
	v_cmp_eq_u32_sdwa vcc, v35, v15 src0_sel:WORD_0 src1_sel:DWORD
	s_nop 1
	v_cndmask_b32_e32 v34, v34, v35, vcc
; %bb.472:                              ;   in Loop: Header=BB354_179 Depth=1
	s_or_b64 exec, exec, s[0:1]
	v_lshlrev_b32_e32 v35, 16, v61
	v_mul_f32_e32 v36, v46, v35
	v_and_b32_e32 v35, 0x7f800000, v36
	v_cmp_ne_u32_e32 vcc, s18, v35
                                        ; implicit-def: $vgpr35
	s_and_saveexec_b64 s[0:1], vcc
	s_xor_b64 s[0:1], exec, s[0:1]
; %bb.473:                              ;   in Loop: Header=BB354_179 Depth=1
	v_bfe_u32 v35, v36, 16, 1
	v_add3_u32 v35, v36, v35, s19
                                        ; implicit-def: $vgpr36
; %bb.474:                              ;   in Loop: Header=BB354_179 Depth=1
	s_andn2_saveexec_b64 s[0:1], s[0:1]
	s_cbranch_execz .LBB354_177
; %bb.475:                              ;   in Loop: Header=BB354_179 Depth=1
	v_or_b32_e32 v35, 0x10000, v36
	v_cmp_eq_u32_sdwa vcc, v36, v15 src0_sel:WORD_0 src1_sel:DWORD
	s_nop 1
	v_cndmask_b32_e32 v35, v35, v36, vcc
	s_branch .LBB354_177
.LBB354_476:
	s_or_b64 exec, exec, s[8:9]
.LBB354_477:
	s_or_b64 exec, exec, s[6:7]
	ds_bpermute_b32 v6, v23, v2
	ds_bpermute_b32 v7, v23, v3
	;; [unrolled: 1-line block ×4, first 2 shown]
	v_and_b32_e32 v1, 0x3c3, v0
	v_cmp_eq_u32_e32 vcc, 64, v1
	s_waitcnt lgkmcnt(2)
	v_pk_add_f32 v[2:3], v[2:3], v[6:7]
	ds_bpermute_b32 v6, v24, v2
	s_waitcnt lgkmcnt(1)
	v_pk_add_f32 v[8:9], v[4:5], v[8:9]
	ds_bpermute_b32 v7, v24, v3
	ds_bpermute_b32 v10, v24, v8
	;; [unrolled: 1-line block ×3, first 2 shown]
	s_waitcnt lgkmcnt(0)
	s_barrier
	v_pk_add_f32 v[4:5], v[2:3], v[6:7]
	v_pk_add_f32 v[2:3], v[8:9], v[10:11]
	s_and_saveexec_b64 s[0:1], vcc
	s_cbranch_execz .LBB354_479
; %bb.478:
	v_add_u32_e32 v1, 0x90, v22
	ds_write2_b32 v1, v4, v5 offset1:16
	ds_write2_b32 v1, v2, v3 offset0:32 offset1:48
.LBB354_479:
	s_or_b64 exec, exec, s[0:1]
	v_cmp_gt_u32_e32 vcc, 64, v0
	s_waitcnt lgkmcnt(0)
	s_barrier
	s_and_saveexec_b64 s[2:3], vcc
	s_cbranch_execz .LBB354_486
; %bb.480:
	v_cmp_eq_u32_e64 s[0:1], 0, v25
	v_lshrrev_b32_e32 v1, 2, v0
	s_and_saveexec_b64 s[6:7], s[0:1]
	s_cbranch_execnz .LBB354_506
; %bb.481:
	s_or_b64 exec, exec, s[6:7]
	s_and_saveexec_b64 s[6:7], s[0:1]
	s_cbranch_execnz .LBB354_507
.LBB354_482:
	s_or_b64 exec, exec, s[6:7]
	s_and_saveexec_b64 s[6:7], s[0:1]
	s_cbranch_execnz .LBB354_508
.LBB354_483:
	s_or_b64 exec, exec, s[6:7]
	s_and_saveexec_b64 s[6:7], s[0:1]
	s_cbranch_execz .LBB354_485
.LBB354_484:
	v_mov_b32_e32 v6, 0x90
	v_lshl_add_u32 v1, v1, 2, v6
	ds_read_b32 v1, v1 offset:192
	s_waitcnt lgkmcnt(0)
	v_add_f32_e32 v3, v3, v1
.LBB354_485:
	s_or_b64 exec, exec, s[6:7]
.LBB354_486:
	s_or_b64 exec, exec, s[2:3]
	s_barrier
	s_and_saveexec_b64 s[0:1], vcc
	s_cbranch_execz .LBB354_505
; %bb.487:
	v_cmp_eq_u32_e32 vcc, 0, v25
	s_and_b64 exec, exec, vcc
	s_cbranch_execz .LBB354_505
; %bb.488:
	s_mov_b32 s0, 0x7f800000
	v_and_b32_e32 v1, 0x7f800000, v4
	v_cmp_ne_u32_e32 vcc, s0, v1
                                        ; implicit-def: $vgpr6
	s_and_saveexec_b64 s[0:1], vcc
	s_xor_b64 s[0:1], exec, s[0:1]
; %bb.489:
	v_bfe_u32 v1, v4, 16, 1
	s_movk_i32 s2, 0x7fff
	v_add3_u32 v6, v4, v1, s2
; %bb.490:
	s_andn2_saveexec_b64 s[0:1], s[0:1]
; %bb.491:
	v_mov_b32_e32 v1, 0
	v_or_b32_e32 v6, 0x10000, v4
	v_cmp_eq_u32_sdwa vcc, v4, v1 src0_sel:WORD_0 src1_sel:DWORD
	s_nop 1
	v_cndmask_b32_e32 v6, v6, v4, vcc
; %bb.492:
	s_or_b64 exec, exec, s[0:1]
	s_mul_i32 s0, s16, s28
	s_mul_i32 s0, s0, s29
	s_lshl_b32 s0, s0, 6
	s_ashr_i32 s1, s0, 31
	s_lshl_b64 s[0:1], s[0:1], 1
	s_add_u32 s2, s34, s0
	s_mul_i32 s0, s16, s30
	s_addc_u32 s3, s35, s1
	s_ashr_i32 s1, s0, 31
	s_lshl_b64 s[0:1], s[0:1], 1
	s_add_u32 s2, s2, s0
	s_addc_u32 s3, s3, s1
	s_lshl_b32 s0, s4, 6
	s_ashr_i32 s1, s0, 31
	s_lshl_b64 s[0:1], s[0:1], 1
	s_add_u32 s0, s2, s0
	v_lshrrev_b32_e32 v0, 1, v0
	s_mov_b32 s2, 0x7f800000
	v_and_b32_e32 v4, 0x7f800000, v5
	s_addc_u32 s1, s3, s1
	v_and_b32_e32 v0, 0x1fe, v0
	v_mov_b32_e32 v1, 0
	v_cmp_ne_u32_e32 vcc, s2, v4
	global_store_short_d16_hi v0, v6, s[0:1]
                                        ; implicit-def: $vgpr4
	s_and_saveexec_b64 s[2:3], vcc
	s_xor_b64 s[2:3], exec, s[2:3]
; %bb.493:
	v_bfe_u32 v4, v5, 16, 1
	s_movk_i32 s4, 0x7fff
	v_add3_u32 v4, v5, v4, s4
; %bb.494:
	s_or_saveexec_b64 s[2:3], s[2:3]
	v_lshl_add_u64 v[6:7], s[0:1], 0, v[0:1]
	s_xor_b64 exec, exec, s[2:3]
; %bb.495:
	v_mov_b32_e32 v0, 0
	v_or_b32_e32 v1, 0x10000, v5
	v_cmp_eq_u32_sdwa vcc, v5, v0 src0_sel:WORD_0 src1_sel:DWORD
	s_nop 1
	v_cndmask_b32_e32 v4, v1, v5, vcc
; %bb.496:
	s_or_b64 exec, exec, s[2:3]
	s_mov_b32 s0, 0x7f800000
	v_and_b32_e32 v0, 0x7f800000, v2
	v_cmp_ne_u32_e32 vcc, s0, v0
	global_store_short_d16_hi v[6:7], v4, off offset:32
                                        ; implicit-def: $vgpr0
	s_and_saveexec_b64 s[0:1], vcc
	s_xor_b64 s[0:1], exec, s[0:1]
; %bb.497:
	v_bfe_u32 v0, v2, 16, 1
	s_movk_i32 s2, 0x7fff
	v_add3_u32 v0, v2, v0, s2
; %bb.498:
	s_andn2_saveexec_b64 s[0:1], s[0:1]
; %bb.499:
	v_mov_b32_e32 v0, 0
	v_or_b32_e32 v1, 0x10000, v2
	v_cmp_eq_u32_sdwa vcc, v2, v0 src0_sel:WORD_0 src1_sel:DWORD
	s_nop 1
	v_cndmask_b32_e32 v0, v1, v2, vcc
; %bb.500:
	s_or_b64 exec, exec, s[0:1]
	global_store_short_d16_hi v[6:7], v0, off offset:64
	s_mov_b32 s0, 0x7f800000
	v_and_b32_e32 v0, 0x7f800000, v3
	v_cmp_ne_u32_e32 vcc, s0, v0
                                        ; implicit-def: $vgpr4
	s_and_saveexec_b64 s[0:1], vcc
	s_xor_b64 s[0:1], exec, s[0:1]
; %bb.501:
	v_bfe_u32 v0, v3, 16, 1
	s_movk_i32 s2, 0x7fff
	v_add3_u32 v4, v3, v0, s2
                                        ; implicit-def: $vgpr0_vgpr1_vgpr2_vgpr3
; %bb.502:
	s_andn2_saveexec_b64 s[0:1], s[0:1]
; %bb.503:
	v_mov_b32_e32 v0, 0
	v_or_b32_e32 v1, 0x10000, v3
	v_cmp_eq_u32_sdwa vcc, v3, v0 src0_sel:WORD_0 src1_sel:DWORD
	s_nop 1
	v_cndmask_b32_e32 v4, v1, v3, vcc
; %bb.504:
	s_or_b64 exec, exec, s[0:1]
	global_store_short_d16_hi v[6:7], v4, off offset:96
.LBB354_505:
	s_endpgm
.LBB354_506:
	v_mov_b32_e32 v6, 0x90
	v_lshl_add_u32 v6, v1, 2, v6
	ds_read_b32 v6, v6
	s_waitcnt lgkmcnt(0)
	v_add_f32_e32 v4, v4, v6
	s_or_b64 exec, exec, s[6:7]
	s_and_saveexec_b64 s[6:7], s[0:1]
	s_cbranch_execz .LBB354_482
.LBB354_507:
	v_mov_b32_e32 v6, 0x90
	v_lshl_add_u32 v6, v1, 2, v6
	ds_read_b32 v6, v6 offset:64
	s_waitcnt lgkmcnt(0)
	v_add_f32_e32 v5, v5, v6
	s_or_b64 exec, exec, s[6:7]
	s_and_saveexec_b64 s[6:7], s[0:1]
	s_cbranch_execz .LBB354_483
.LBB354_508:
	v_mov_b32_e32 v6, 0x90
	v_lshl_add_u32 v6, v1, 2, v6
	ds_read_b32 v6, v6 offset:128
	s_waitcnt lgkmcnt(0)
	v_add_f32_e32 v2, v2, v6
	s_or_b64 exec, exec, s[6:7]
	s_and_saveexec_b64 s[6:7], s[0:1]
	s_cbranch_execnz .LBB354_484
	s_branch .LBB354_485
	.section	.rodata,"a",@progbits
	.p2align	6, 0x0
	.amdhsa_kernel _ZN4vllm25paged_attention_v2_kernelI14__hip_bfloat16hLi64ELi32ELi128ELNS_18Fp8KVCacheDataTypeE1ELb1ELi512EEEvPfS3_PT_PKS4_PKT0_SA_ifPKiSC_iPKfiiiSE_SE_iiiii
		.amdhsa_group_segment_fixed_size 144
		.amdhsa_private_segment_fixed_size 0
		.amdhsa_kernarg_size 400
		.amdhsa_user_sgpr_count 2
		.amdhsa_user_sgpr_dispatch_ptr 0
		.amdhsa_user_sgpr_queue_ptr 0
		.amdhsa_user_sgpr_kernarg_segment_ptr 1
		.amdhsa_user_sgpr_dispatch_id 0
		.amdhsa_user_sgpr_kernarg_preload_length 0
		.amdhsa_user_sgpr_kernarg_preload_offset 0
		.amdhsa_user_sgpr_private_segment_size 0
		.amdhsa_uses_dynamic_stack 0
		.amdhsa_enable_private_segment 0
		.amdhsa_system_sgpr_workgroup_id_x 1
		.amdhsa_system_sgpr_workgroup_id_y 1
		.amdhsa_system_sgpr_workgroup_id_z 1
		.amdhsa_system_sgpr_workgroup_info 0
		.amdhsa_system_vgpr_workitem_id 0
		.amdhsa_next_free_vgpr 89
		.amdhsa_next_free_sgpr 59
		.amdhsa_accum_offset 92
		.amdhsa_reserve_vcc 1
		.amdhsa_float_round_mode_32 0
		.amdhsa_float_round_mode_16_64 0
		.amdhsa_float_denorm_mode_32 3
		.amdhsa_float_denorm_mode_16_64 3
		.amdhsa_dx10_clamp 1
		.amdhsa_ieee_mode 1
		.amdhsa_fp16_overflow 0
		.amdhsa_tg_split 0
		.amdhsa_exception_fp_ieee_invalid_op 0
		.amdhsa_exception_fp_denorm_src 0
		.amdhsa_exception_fp_ieee_div_zero 0
		.amdhsa_exception_fp_ieee_overflow 0
		.amdhsa_exception_fp_ieee_underflow 0
		.amdhsa_exception_fp_ieee_inexact 0
		.amdhsa_exception_int_div_zero 0
	.end_amdhsa_kernel
	.section	.text._ZN4vllm25paged_attention_v2_kernelI14__hip_bfloat16hLi64ELi32ELi128ELNS_18Fp8KVCacheDataTypeE1ELb1ELi512EEEvPfS3_PT_PKS4_PKT0_SA_ifPKiSC_iPKfiiiSE_SE_iiiii,"axG",@progbits,_ZN4vllm25paged_attention_v2_kernelI14__hip_bfloat16hLi64ELi32ELi128ELNS_18Fp8KVCacheDataTypeE1ELb1ELi512EEEvPfS3_PT_PKS4_PKT0_SA_ifPKiSC_iPKfiiiSE_SE_iiiii,comdat
.Lfunc_end354:
	.size	_ZN4vllm25paged_attention_v2_kernelI14__hip_bfloat16hLi64ELi32ELi128ELNS_18Fp8KVCacheDataTypeE1ELb1ELi512EEEvPfS3_PT_PKS4_PKT0_SA_ifPKiSC_iPKfiiiSE_SE_iiiii, .Lfunc_end354-_ZN4vllm25paged_attention_v2_kernelI14__hip_bfloat16hLi64ELi32ELi128ELNS_18Fp8KVCacheDataTypeE1ELb1ELi512EEEvPfS3_PT_PKS4_PKT0_SA_ifPKiSC_iPKfiiiSE_SE_iiiii
                                        ; -- End function
	.section	.AMDGPU.csdata,"",@progbits
; Kernel info:
; codeLenInByte = 15884
; NumSgprs: 65
; NumVgprs: 89
; NumAgprs: 0
; TotalNumVgprs: 89
; ScratchSize: 0
; MemoryBound: 0
; FloatMode: 240
; IeeeMode: 1
; LDSByteSize: 144 bytes/workgroup (compile time only)
; SGPRBlocks: 8
; VGPRBlocks: 11
; NumSGPRsForWavesPerEU: 65
; NumVGPRsForWavesPerEU: 89
; AccumOffset: 92
; Occupancy: 5
; WaveLimiterHint : 1
; COMPUTE_PGM_RSRC2:SCRATCH_EN: 0
; COMPUTE_PGM_RSRC2:USER_SGPR: 2
; COMPUTE_PGM_RSRC2:TRAP_HANDLER: 0
; COMPUTE_PGM_RSRC2:TGID_X_EN: 1
; COMPUTE_PGM_RSRC2:TGID_Y_EN: 1
; COMPUTE_PGM_RSRC2:TGID_Z_EN: 1
; COMPUTE_PGM_RSRC2:TIDIG_COMP_CNT: 0
; COMPUTE_PGM_RSRC3_GFX90A:ACCUM_OFFSET: 22
; COMPUTE_PGM_RSRC3_GFX90A:TG_SPLIT: 0
	.section	.text._ZN4vllm25paged_attention_v2_kernelI14__hip_bfloat16hLi80ELi32ELi128ELNS_18Fp8KVCacheDataTypeE1ELb1ELi512EEEvPfS3_PT_PKS4_PKT0_SA_ifPKiSC_iPKfiiiSE_SE_iiiii,"axG",@progbits,_ZN4vllm25paged_attention_v2_kernelI14__hip_bfloat16hLi80ELi32ELi128ELNS_18Fp8KVCacheDataTypeE1ELb1ELi512EEEvPfS3_PT_PKS4_PKT0_SA_ifPKiSC_iPKfiiiSE_SE_iiiii,comdat
	.protected	_ZN4vllm25paged_attention_v2_kernelI14__hip_bfloat16hLi80ELi32ELi128ELNS_18Fp8KVCacheDataTypeE1ELb1ELi512EEEvPfS3_PT_PKS4_PKT0_SA_ifPKiSC_iPKfiiiSE_SE_iiiii ; -- Begin function _ZN4vllm25paged_attention_v2_kernelI14__hip_bfloat16hLi80ELi32ELi128ELNS_18Fp8KVCacheDataTypeE1ELb1ELi512EEEvPfS3_PT_PKS4_PKT0_SA_ifPKiSC_iPKfiiiSE_SE_iiiii
	.globl	_ZN4vllm25paged_attention_v2_kernelI14__hip_bfloat16hLi80ELi32ELi128ELNS_18Fp8KVCacheDataTypeE1ELb1ELi512EEEvPfS3_PT_PKS4_PKT0_SA_ifPKiSC_iPKfiiiSE_SE_iiiii
	.p2align	8
	.type	_ZN4vllm25paged_attention_v2_kernelI14__hip_bfloat16hLi80ELi32ELi128ELNS_18Fp8KVCacheDataTypeE1ELb1ELi512EEEvPfS3_PT_PKS4_PKT0_SA_ifPKiSC_iPKfiiiSE_SE_iiiii,@function
_ZN4vllm25paged_attention_v2_kernelI14__hip_bfloat16hLi80ELi32ELi128ELNS_18Fp8KVCacheDataTypeE1ELb1ELi512EEEvPfS3_PT_PKS4_PKT0_SA_ifPKiSC_iPKfiiiSE_SE_iiiii: ; @_ZN4vllm25paged_attention_v2_kernelI14__hip_bfloat16hLi80ELi32ELi128ELNS_18Fp8KVCacheDataTypeE1ELb1ELi512EEEvPfS3_PT_PKS4_PKT0_SA_ifPKiSC_iPKfiiiSE_SE_iiiii
; %bb.0:
	s_load_dwordx2 s[6:7], s[0:1], 0x40
	s_mov_b32 s28, s3
	s_ashr_i32 s29, s3, 31
	s_lshl_b64 s[8:9], s[28:29], 2
	s_waitcnt lgkmcnt(0)
	s_add_u32 s6, s6, s8
	s_addc_u32 s7, s7, s9
	s_load_dword s33, s[6:7], 0x0
	s_lshl_b32 s5, s4, 9
	s_waitcnt lgkmcnt(0)
	s_cmp_ge_i32 s5, s33
	s_cbranch_scc1 .LBB355_608
; %bb.1:
	s_load_dword s29, s[0:1], 0x90
	s_load_dwordx2 s[42:43], s[0:1], 0x30
	s_waitcnt lgkmcnt(0)
	s_abs_i32 s7, s29
	s_abs_i32 s3, s42
	v_cvt_f32_u32_e32 v1, s3
	s_sub_i32 s8, 0, s3
	s_xor_b32 s6, s29, s42
	s_ashr_i32 s6, s6, 31
	v_rcp_iflag_f32_e32 v1, v1
	s_nop 0
	v_mul_f32_e32 v1, 0x4f7ffffe, v1
	v_cvt_u32_f32_e32 v1, v1
	s_nop 0
	v_readfirstlane_b32 s9, v1
	s_mul_i32 s8, s8, s9
	s_mul_hi_u32 s8, s9, s8
	s_add_i32 s9, s9, s8
	s_mul_hi_u32 s8, s7, s9
	s_mul_i32 s9, s8, s3
	s_sub_i32 s7, s7, s9
	s_add_i32 s10, s8, 1
	s_sub_i32 s9, s7, s3
	s_cmp_ge_u32 s7, s3
	s_cselect_b32 s8, s10, s8
	s_cselect_b32 s7, s9, s7
	s_add_i32 s9, s8, 1
	s_cmp_ge_u32 s7, s3
	s_cselect_b32 s3, s9, s8
	s_xor_b32 s3, s3, s6
	s_sub_i32 s12, s3, s6
	s_abs_i32 s8, s12
	v_cvt_f32_u32_e32 v1, s8
	s_load_dwordx2 s[6:7], s[0:1], 0x50
	s_sub_i32 s10, 0, s8
	s_abs_i32 s9, s2
	v_rcp_iflag_f32_e32 v1, v1
	s_mov_b32 s3, 0
	v_mul_f32_e32 v1, 0x4f7ffffe, v1
	v_cvt_u32_f32_e32 v1, v1
	s_nop 0
	v_readfirstlane_b32 s11, v1
	s_mul_i32 s10, s10, s11
	s_mul_hi_u32 s10, s11, s10
	s_add_i32 s11, s11, s10
	s_waitcnt lgkmcnt(0)
	s_cmp_eq_u64 s[6:7], 0
	s_mul_hi_u32 s10, s9, s11
	s_cbranch_scc1 .LBB355_3
; %bb.2:
	s_ashr_i32 s3, s2, 31
	s_lshl_b64 s[14:15], s[2:3], 2
	s_add_u32 s6, s6, s14
	s_addc_u32 s7, s7, s15
	s_load_dword s3, s[6:7], 0x0
.LBB355_3:
	s_load_dwordx4 s[16:19], s[0:1], 0x58
	s_ashr_i32 s11, s2, 31
	s_ashr_i32 s12, s12, 31
	v_and_b32_e32 v2, 1, v0
	s_movk_i32 s13, 0x50
	s_mul_i32 s30, s2, 0x50
	v_cmp_gt_u32_e32 vcc, 20, v0
	v_lshlrev_b32_e32 v32, 3, v0
	s_and_saveexec_b64 s[6:7], vcc
	s_cbranch_execz .LBB355_5
; %bb.4:
	s_load_dwordx2 s[14:15], s[0:1], 0x18
	s_waitcnt lgkmcnt(0)
	s_mul_i32 s20, s28, s16
	s_ashr_i32 s21, s20, 31
	s_lshl_b64 s[20:21], s[20:21], 1
	v_lshlrev_b32_e32 v1, 2, v0
	s_add_u32 s16, s14, s20
	s_addc_u32 s19, s15, s21
	s_ashr_i32 s31, s30, 31
	s_lshl_b64 s[14:15], s[30:31], 1
	s_add_u32 s14, s16, s14
	s_addc_u32 s15, s19, s15
	global_load_dwordx2 v[4:5], v32, s[14:15]
	v_and_b32_e32 v1, 0xff8, v1
	v_mad_u32_u24 v1, v2, s13, v1
	s_waitcnt vmcnt(0)
	ds_write_b64 v1, v[4:5]
.LBB355_5:
	s_or_b64 exec, exec, s[6:7]
	s_mul_i32 s7, s10, s8
	s_sub_i32 s7, s9, s7
	s_xor_b32 s6, s11, s12
	s_add_i32 s9, s10, 1
	s_sub_i32 s11, s7, s8
	s_load_dwordx4 s[20:23], s[0:1], 0x78
	s_cmp_ge_u32 s7, s8
	s_cselect_b32 s9, s9, s10
	s_cselect_b32 s7, s11, s7
	s_add_i32 s10, s9, 1
	s_cmp_ge_u32 s7, s8
	s_cselect_b32 s7, s10, s9
	s_load_dword s10, s[0:1], 0x88
	s_waitcnt lgkmcnt(0)
	s_abs_i32 s31, s23
	v_cvt_f32_u32_e32 v1, s31
	s_xor_b32 s7, s7, s6
	s_sub_i32 s51, s7, s6
	s_sub_i32 s6, 0, s31
	v_rcp_iflag_f32_e32 v1, v1
	s_add_i32 s11, s33, -1
	s_abs_i32 s8, s11
	v_mul_f32_e32 v1, 0x4f7ffffe, v1
	v_cvt_u32_f32_e32 v1, v1
	s_barrier
	v_readfirstlane_b32 s48, v1
	s_mul_i32 s6, s6, s48
	s_mul_hi_u32 s6, s48, s6
	s_add_i32 s48, s48, s6
	s_cmp_lt_i32 s10, 0
	s_mul_hi_u32 s9, s8, s48
	s_cbranch_scc0 .LBB355_7
; %bb.6:
	s_mul_i32 s6, s20, s42
	s_add_i32 s6, s51, s6
	s_mul_i32 s6, s6, s10
	s_sub_i32 s42, 1, s6
	s_mov_b64 s[6:7], 0
	s_branch .LBB355_8
.LBB355_7:
	s_mov_b64 s[6:7], -1
                                        ; implicit-def: $sgpr42
.LBB355_8:
	s_load_dwordx2 s[36:37], s[0:1], 0x38
	s_ashr_i32 s11, s11, 31
	s_andn2_b64 vcc, exec, s[6:7]
	s_ashr_i32 s23, s23, 31
	s_cbranch_vccnz .LBB355_10
; %bb.9:
	s_mul_i32 s6, s29, s20
	s_add_i32 s6, s6, s2
	s_mul_i32 s6, s6, s10
	s_add_i32 s42, s6, 1
.LBB355_10:
	s_load_dwordx2 s[40:41], s[0:1], 0x28
	s_load_dword s6, s[0:1], 0x48
	s_load_dwordx4 s[24:27], s[0:1], 0x0
	s_load_dwordx2 s[34:35], s[0:1], 0x10
	s_load_dword s16, s[0:1], 0x98
	s_load_dwordx4 s[12:15], s[0:1], 0x68
	s_mul_i32 s7, s9, s31
	s_waitcnt lgkmcnt(0)
	s_mul_i32 s38, s28, s6
	s_sub_i32 s7, s8, s7
	s_ashr_i32 s39, s38, 31
	s_xor_b32 s6, s11, s23
	s_add_i32 s8, s9, 1
	s_sub_i32 s10, s7, s31
	s_cmp_ge_u32 s7, s31
	s_cselect_b32 s8, s8, s9
	s_cselect_b32 s7, s10, s7
	s_add_i32 s9, s8, 1
	s_cmp_ge_u32 s7, s31
	s_cselect_b32 s7, s9, s8
	s_xor_b32 s7, s7, s6
	s_sub_i32 s50, s7, s6
	s_add_i32 s6, s33, 31
	s_ashr_i32 s7, s6, 31
	s_lshr_b32 s7, s7, 27
	s_add_i32 s6, s6, s7
	s_lshl_b32 s52, s4, 4
	s_ashr_i32 s49, s6, 5
	s_add_i32 s6, s52, 16
	v_lshrrev_b32_e32 v33, 6, v0
	s_min_i32 s20, s6, s49
	v_or_b32_e32 v22, s52, v33
	v_cmp_gt_i32_e64 s[8:9], s20, v22
	v_mov_b32_e32 v37, 0xff7fffff
	s_mul_i32 s51, s51, s18
	v_ashrrev_i32_e32 v23, 31, v22
	v_lshl_add_u32 v1, v33, 5, s5
	v_mbcnt_lo_u32_b32 v34, -1, 0
	s_and_saveexec_b64 s[18:19], s[8:9]
	s_cbranch_execz .LBB355_180
; %bb.11:
	s_load_dwordx2 s[0:1], s[0:1], 0x20
	s_sub_i32 s53, s50, s21
	s_ashr_i32 s6, s51, 31
	v_bfe_u32 v35, v0, 1, 5
	v_mov_b32_e32 v25, 0
	s_waitcnt lgkmcnt(0)
	s_add_u32 s0, s0, s51
	s_addc_u32 s1, s1, s6
	s_abs_i32 s54, s22
	v_cvt_f32_u32_e32 v3, s54
	v_lshlrev_b32_e32 v24, 4, v35
	v_lshl_add_u64 v[26:27], s[0:1], 0, v[24:25]
	s_sub_i32 s0, 0, s54
	v_rcp_iflag_f32_e32 v3, v3
	v_cmp_eq_u32_e32 vcc, 0, v2
	v_mul_u32_u24_e32 v36, 0x50, v2
	v_lshlrev_b32_e32 v24, 2, v2
	v_mul_f32_e32 v3, 0x4f7ffffe, v3
	v_cvt_u32_f32_e32 v3, v3
	s_mov_b32 s55, s17
	v_cmp_neq_f32_e64 s[6:7], s3, 0
	v_lshl_add_u32 v39, v33, 5, s5
	v_mul_lo_u32 v2, s0, v3
	v_mul_hi_u32 v2, v3, v2
	v_add_u32_e32 v38, v3, v2
	s_lshl_b64 s[0:1], s[38:39], 2
	v_lshlrev_b32_e32 v2, 2, v35
	s_add_u32 s0, s36, s0
	v_lshl_or_b32 v2, v33, 7, v2
	s_addc_u32 s1, s37, s1
	v_add_u32_e32 v40, 0xb0, v2
	v_subrev_u32_e32 v2, s33, v35
	v_lshl_add_u64 v[28:29], v[22:23], 2, s[0:1]
	v_add_u32_e32 v41, 1, v2
	s_mov_b64 s[44:45], 0
	v_mov_b32_e32 v42, 0xff7fffff
	s_mov_b32 s56, 0x7f800000
	s_movk_i32 s57, 0x7fff
	v_mbcnt_hi_u32_b32 v43, -1, v34
	v_mov_b32_e32 v37, 0xff7fffff
	v_mov_b32_e32 v44, v22
	s_branch .LBB355_14
.LBB355_12:                             ;   in Loop: Header=BB355_14 Depth=1
	s_or_b64 exec, exec, s[46:47]
.LBB355_13:                             ;   in Loop: Header=BB355_14 Depth=1
	s_or_b64 exec, exec, s[10:11]
	v_add_u32_e32 v44, 2, v44
	v_cmp_le_i32_e64 s[0:1], s20, v44
	v_lshl_add_u64 v[28:29], v[28:29], 0, 8
	v_add_u32_e32 v39, 64, v39
	s_or_b64 s[44:45], s[0:1], s[44:45]
	v_add_u32_e32 v40, 0x100, v40
	s_andn2_b64 exec, exec, s[44:45]
	s_cbranch_execz .LBB355_179
.LBB355_14:                             ; =>This Inner Loop Header: Depth=1
	s_waitcnt lgkmcnt(0)
	v_sub_u32_e32 v3, 0, v39
	v_max_i32_e32 v3, v39, v3
	v_mul_hi_u32 v4, v3, s48
	v_mul_lo_u32 v5, v4, s31
	v_sub_u32_e32 v3, v3, v5
	v_add_u32_e32 v5, 1, v4
	v_cmp_le_u32_e64 s[0:1], s31, v3
	v_ashrrev_i32_e32 v2, 31, v39
	v_xor_b32_e32 v2, s23, v2
	v_cndmask_b32_e64 v4, v4, v5, s[0:1]
	v_subrev_u32_e32 v5, s31, v3
	v_cndmask_b32_e64 v3, v3, v5, s[0:1]
	v_add_u32_e32 v5, 1, v4
	v_cmp_le_u32_e64 s[0:1], s31, v3
	s_nop 1
	v_cndmask_b32_e64 v3, v4, v5, s[0:1]
	v_xor_b32_e32 v3, v3, v2
	v_sub_u32_e32 v2, v3, v2
	v_add_u32_e32 v3, s42, v2
	v_sub_u32_e32 v5, 0, v3
	v_ashrrev_i32_e32 v4, 31, v3
	v_max_i32_e32 v3, v3, v5
	v_mul_hi_u32 v5, v3, v38
	v_mul_lo_u32 v5, v5, s54
	v_sub_u32_e32 v3, v3, v5
	v_subrev_u32_e32 v5, s54, v3
	v_cmp_le_u32_e64 s[0:1], s54, v3
	v_cmp_ge_i32_e64 s[10:11], s53, v2
	s_nop 0
	v_cndmask_b32_e64 v3, v3, v5, s[0:1]
	v_subrev_u32_e32 v5, s54, v3
	v_cmp_le_u32_e64 s[0:1], s54, v3
	s_nop 1
	v_cndmask_b32_e64 v3, v3, v5, s[0:1]
	v_xor_b32_e32 v3, v3, v4
	v_sub_u32_e32 v3, v3, v4
	v_cmp_ne_u32_e64 s[0:1], 0, v3
	s_and_b64 s[0:1], s[0:1], s[10:11]
	s_and_b64 s[46:47], vcc, s[0:1]
	s_and_saveexec_b64 s[10:11], s[46:47]
	s_cbranch_execz .LBB355_16
; %bb.15:                               ;   in Loop: Header=BB355_14 Depth=1
	ds_write_b32 v40, v42
.LBB355_16:                             ;   in Loop: Header=BB355_14 Depth=1
	s_or_b64 exec, exec, s[10:11]
	s_xor_b64 s[0:1], s[0:1], -1
	s_and_saveexec_b64 s[10:11], s[0:1]
	s_cbranch_execz .LBB355_13
; %bb.17:                               ;   in Loop: Header=BB355_14 Depth=1
	global_load_dword v2, v[28:29], off
	s_waitcnt vmcnt(0)
	v_mad_i64_i32 v[2:3], s[0:1], v2, s55, v[26:27]
	v_lshl_add_u64 v[30:31], v[2:3], 0, v[24:25]
	global_load_dword v48, v[30:31], off
	ds_read_b128 v[18:21], v36
	ds_read_b128 v[10:13], v36 offset:16
	s_load_dword s58, s[12:13], 0x0
	s_waitcnt vmcnt(0)
	v_and_b32_e32 v2, 0xff, v48
	v_cvt_f32_fp8_sdwa v45, v2 src0_sel:BYTE_0
	ds_read_b128 v[14:17], v36 offset:32
	ds_read_b128 v[6:9], v36 offset:48
	ds_read_b128 v[2:5], v36 offset:64
	s_waitcnt lgkmcnt(0)
	v_mul_f32_e32 v46, s58, v45
	v_and_b32_e32 v45, 0x7f800000, v46
	v_cmp_ne_u32_e64 s[0:1], s56, v45
                                        ; implicit-def: $vgpr45
	s_and_saveexec_b64 s[46:47], s[0:1]
	s_xor_b64 s[0:1], exec, s[46:47]
; %bb.18:                               ;   in Loop: Header=BB355_14 Depth=1
	v_bfe_u32 v45, v46, 16, 1
	v_add3_u32 v45, v46, v45, s57
                                        ; implicit-def: $vgpr46
; %bb.19:                               ;   in Loop: Header=BB355_14 Depth=1
	s_andn2_saveexec_b64 s[46:47], s[0:1]
; %bb.20:                               ;   in Loop: Header=BB355_14 Depth=1
	v_or_b32_e32 v45, 0x10000, v46
	v_cmp_eq_u32_sdwa s[0:1], v46, v25 src0_sel:WORD_0 src1_sel:DWORD
	s_nop 1
	v_cndmask_b32_e64 v45, v45, v46, s[0:1]
; %bb.21:                               ;   in Loop: Header=BB355_14 Depth=1
	s_or_b64 exec, exec, s[46:47]
	v_bfe_u32 v46, v48, 8, 8
	v_cvt_f32_fp8_sdwa v46, v46 src0_sel:BYTE_0
	s_nop 0
	v_mul_f32_e32 v47, s58, v46
	v_and_b32_e32 v46, 0x7f800000, v47
	v_cmp_ne_u32_e64 s[0:1], s56, v46
                                        ; implicit-def: $vgpr46
	s_and_saveexec_b64 s[46:47], s[0:1]
	s_xor_b64 s[0:1], exec, s[46:47]
; %bb.22:                               ;   in Loop: Header=BB355_14 Depth=1
	v_bfe_u32 v46, v47, 16, 1
	v_add3_u32 v46, v47, v46, s57
                                        ; implicit-def: $vgpr47
; %bb.23:                               ;   in Loop: Header=BB355_14 Depth=1
	s_andn2_saveexec_b64 s[46:47], s[0:1]
; %bb.24:                               ;   in Loop: Header=BB355_14 Depth=1
	v_or_b32_e32 v46, 0x10000, v47
	v_cmp_eq_u32_sdwa s[0:1], v47, v25 src0_sel:WORD_0 src1_sel:DWORD
	s_nop 1
	v_cndmask_b32_e64 v46, v46, v47, s[0:1]
; %bb.25:                               ;   in Loop: Header=BB355_14 Depth=1
	s_or_b64 exec, exec, s[46:47]
	v_bfe_u32 v47, v48, 16, 8
	v_cvt_f32_fp8_sdwa v47, v47 src0_sel:BYTE_0
	s_nop 0
	v_mul_f32_e32 v49, s58, v47
	v_and_b32_e32 v47, 0x7f800000, v49
	v_cmp_ne_u32_e64 s[0:1], s56, v47
                                        ; implicit-def: $vgpr47
	s_and_saveexec_b64 s[46:47], s[0:1]
	s_xor_b64 s[0:1], exec, s[46:47]
; %bb.26:                               ;   in Loop: Header=BB355_14 Depth=1
	v_bfe_u32 v47, v49, 16, 1
	v_add3_u32 v47, v49, v47, s57
                                        ; implicit-def: $vgpr49
; %bb.27:                               ;   in Loop: Header=BB355_14 Depth=1
	s_andn2_saveexec_b64 s[46:47], s[0:1]
; %bb.28:                               ;   in Loop: Header=BB355_14 Depth=1
	v_or_b32_e32 v47, 0x10000, v49
	v_cmp_eq_u32_sdwa s[0:1], v49, v25 src0_sel:WORD_0 src1_sel:DWORD
	s_nop 1
	v_cndmask_b32_e64 v47, v47, v49, s[0:1]
; %bb.29:                               ;   in Loop: Header=BB355_14 Depth=1
	s_or_b64 exec, exec, s[46:47]
	v_lshrrev_b32_e32 v48, 24, v48
	v_cvt_f32_fp8_sdwa v48, v48 src0_sel:BYTE_0
	s_nop 0
	v_mul_f32_e32 v49, s58, v48
	v_and_b32_e32 v48, 0x7f800000, v49
	v_cmp_ne_u32_e64 s[0:1], s56, v48
                                        ; implicit-def: $vgpr48
	s_and_saveexec_b64 s[46:47], s[0:1]
	s_xor_b64 s[0:1], exec, s[46:47]
; %bb.30:                               ;   in Loop: Header=BB355_14 Depth=1
	v_bfe_u32 v48, v49, 16, 1
	v_add3_u32 v48, v49, v48, s57
                                        ; implicit-def: $vgpr49
; %bb.31:                               ;   in Loop: Header=BB355_14 Depth=1
	s_andn2_saveexec_b64 s[46:47], s[0:1]
; %bb.32:                               ;   in Loop: Header=BB355_14 Depth=1
	v_or_b32_e32 v48, 0x10000, v49
	v_cmp_eq_u32_sdwa s[0:1], v49, v25 src0_sel:WORD_0 src1_sel:DWORD
	s_nop 1
	v_cndmask_b32_e64 v48, v48, v49, s[0:1]
; %bb.33:                               ;   in Loop: Header=BB355_14 Depth=1
	s_or_b64 exec, exec, s[46:47]
	global_load_dword v52, v[30:31], off offset:8
	s_waitcnt vmcnt(0)
	v_and_b32_e32 v49, 0xff, v52
	v_cvt_f32_fp8_sdwa v49, v49 src0_sel:BYTE_0
	s_nop 0
	v_mul_f32_e32 v50, s58, v49
	v_and_b32_e32 v49, 0x7f800000, v50
	v_cmp_ne_u32_e64 s[0:1], s56, v49
                                        ; implicit-def: $vgpr49
	s_and_saveexec_b64 s[46:47], s[0:1]
	s_xor_b64 s[0:1], exec, s[46:47]
; %bb.34:                               ;   in Loop: Header=BB355_14 Depth=1
	v_bfe_u32 v49, v50, 16, 1
	v_add3_u32 v49, v50, v49, s57
                                        ; implicit-def: $vgpr50
; %bb.35:                               ;   in Loop: Header=BB355_14 Depth=1
	s_andn2_saveexec_b64 s[46:47], s[0:1]
; %bb.36:                               ;   in Loop: Header=BB355_14 Depth=1
	v_or_b32_e32 v49, 0x10000, v50
	v_cmp_eq_u32_sdwa s[0:1], v50, v25 src0_sel:WORD_0 src1_sel:DWORD
	s_nop 1
	v_cndmask_b32_e64 v49, v49, v50, s[0:1]
; %bb.37:                               ;   in Loop: Header=BB355_14 Depth=1
	s_or_b64 exec, exec, s[46:47]
	v_bfe_u32 v50, v52, 8, 8
	v_cvt_f32_fp8_sdwa v50, v50 src0_sel:BYTE_0
	s_nop 0
	v_mul_f32_e32 v51, s58, v50
	v_and_b32_e32 v50, 0x7f800000, v51
	v_cmp_ne_u32_e64 s[0:1], s56, v50
                                        ; implicit-def: $vgpr50
	s_and_saveexec_b64 s[46:47], s[0:1]
	s_xor_b64 s[0:1], exec, s[46:47]
; %bb.38:                               ;   in Loop: Header=BB355_14 Depth=1
	v_bfe_u32 v50, v51, 16, 1
	v_add3_u32 v50, v51, v50, s57
                                        ; implicit-def: $vgpr51
; %bb.39:                               ;   in Loop: Header=BB355_14 Depth=1
	s_andn2_saveexec_b64 s[46:47], s[0:1]
; %bb.40:                               ;   in Loop: Header=BB355_14 Depth=1
	v_or_b32_e32 v50, 0x10000, v51
	v_cmp_eq_u32_sdwa s[0:1], v51, v25 src0_sel:WORD_0 src1_sel:DWORD
	s_nop 1
	v_cndmask_b32_e64 v50, v50, v51, s[0:1]
; %bb.41:                               ;   in Loop: Header=BB355_14 Depth=1
	s_or_b64 exec, exec, s[46:47]
	v_bfe_u32 v51, v52, 16, 8
	v_cvt_f32_fp8_sdwa v51, v51 src0_sel:BYTE_0
	s_nop 0
	v_mul_f32_e32 v53, s58, v51
	v_and_b32_e32 v51, 0x7f800000, v53
	v_cmp_ne_u32_e64 s[0:1], s56, v51
                                        ; implicit-def: $vgpr51
	s_and_saveexec_b64 s[46:47], s[0:1]
	s_xor_b64 s[0:1], exec, s[46:47]
; %bb.42:                               ;   in Loop: Header=BB355_14 Depth=1
	v_bfe_u32 v51, v53, 16, 1
	v_add3_u32 v51, v53, v51, s57
                                        ; implicit-def: $vgpr53
; %bb.43:                               ;   in Loop: Header=BB355_14 Depth=1
	s_andn2_saveexec_b64 s[46:47], s[0:1]
; %bb.44:                               ;   in Loop: Header=BB355_14 Depth=1
	v_or_b32_e32 v51, 0x10000, v53
	v_cmp_eq_u32_sdwa s[0:1], v53, v25 src0_sel:WORD_0 src1_sel:DWORD
	s_nop 1
	v_cndmask_b32_e64 v51, v51, v53, s[0:1]
; %bb.45:                               ;   in Loop: Header=BB355_14 Depth=1
	s_or_b64 exec, exec, s[46:47]
	v_lshrrev_b32_e32 v52, 24, v52
	v_cvt_f32_fp8_sdwa v52, v52 src0_sel:BYTE_0
	s_nop 0
	v_mul_f32_e32 v53, s58, v52
	v_and_b32_e32 v52, 0x7f800000, v53
	v_cmp_ne_u32_e64 s[0:1], s56, v52
                                        ; implicit-def: $vgpr52
	s_and_saveexec_b64 s[46:47], s[0:1]
	s_xor_b64 s[0:1], exec, s[46:47]
; %bb.46:                               ;   in Loop: Header=BB355_14 Depth=1
	v_bfe_u32 v52, v53, 16, 1
	v_add3_u32 v52, v53, v52, s57
                                        ; implicit-def: $vgpr53
; %bb.47:                               ;   in Loop: Header=BB355_14 Depth=1
	s_andn2_saveexec_b64 s[46:47], s[0:1]
; %bb.48:                               ;   in Loop: Header=BB355_14 Depth=1
	v_or_b32_e32 v52, 0x10000, v53
	v_cmp_eq_u32_sdwa s[0:1], v53, v25 src0_sel:WORD_0 src1_sel:DWORD
	s_nop 1
	v_cndmask_b32_e64 v52, v52, v53, s[0:1]
; %bb.49:                               ;   in Loop: Header=BB355_14 Depth=1
	s_or_b64 exec, exec, s[46:47]
	global_load_dword v56, v[30:31], off offset:512
	s_waitcnt vmcnt(0)
	v_and_b32_e32 v53, 0xff, v56
	v_cvt_f32_fp8_sdwa v53, v53 src0_sel:BYTE_0
	s_nop 0
	v_mul_f32_e32 v54, s58, v53
	v_and_b32_e32 v53, 0x7f800000, v54
	v_cmp_ne_u32_e64 s[0:1], s56, v53
                                        ; implicit-def: $vgpr53
	s_and_saveexec_b64 s[46:47], s[0:1]
	s_xor_b64 s[0:1], exec, s[46:47]
; %bb.50:                               ;   in Loop: Header=BB355_14 Depth=1
	v_bfe_u32 v53, v54, 16, 1
	v_add3_u32 v53, v54, v53, s57
                                        ; implicit-def: $vgpr54
; %bb.51:                               ;   in Loop: Header=BB355_14 Depth=1
	s_andn2_saveexec_b64 s[46:47], s[0:1]
; %bb.52:                               ;   in Loop: Header=BB355_14 Depth=1
	v_or_b32_e32 v53, 0x10000, v54
	v_cmp_eq_u32_sdwa s[0:1], v54, v25 src0_sel:WORD_0 src1_sel:DWORD
	s_nop 1
	v_cndmask_b32_e64 v53, v53, v54, s[0:1]
; %bb.53:                               ;   in Loop: Header=BB355_14 Depth=1
	s_or_b64 exec, exec, s[46:47]
	v_bfe_u32 v54, v56, 8, 8
	v_cvt_f32_fp8_sdwa v54, v54 src0_sel:BYTE_0
	s_nop 0
	v_mul_f32_e32 v55, s58, v54
	v_and_b32_e32 v54, 0x7f800000, v55
	v_cmp_ne_u32_e64 s[0:1], s56, v54
                                        ; implicit-def: $vgpr54
	s_and_saveexec_b64 s[46:47], s[0:1]
	s_xor_b64 s[0:1], exec, s[46:47]
; %bb.54:                               ;   in Loop: Header=BB355_14 Depth=1
	v_bfe_u32 v54, v55, 16, 1
	v_add3_u32 v54, v55, v54, s57
                                        ; implicit-def: $vgpr55
; %bb.55:                               ;   in Loop: Header=BB355_14 Depth=1
	s_andn2_saveexec_b64 s[46:47], s[0:1]
; %bb.56:                               ;   in Loop: Header=BB355_14 Depth=1
	v_or_b32_e32 v54, 0x10000, v55
	v_cmp_eq_u32_sdwa s[0:1], v55, v25 src0_sel:WORD_0 src1_sel:DWORD
	s_nop 1
	v_cndmask_b32_e64 v54, v54, v55, s[0:1]
; %bb.57:                               ;   in Loop: Header=BB355_14 Depth=1
	s_or_b64 exec, exec, s[46:47]
	v_bfe_u32 v55, v56, 16, 8
	v_cvt_f32_fp8_sdwa v55, v55 src0_sel:BYTE_0
	s_nop 0
	v_mul_f32_e32 v57, s58, v55
	v_and_b32_e32 v55, 0x7f800000, v57
	v_cmp_ne_u32_e64 s[0:1], s56, v55
                                        ; implicit-def: $vgpr55
	s_and_saveexec_b64 s[46:47], s[0:1]
	s_xor_b64 s[0:1], exec, s[46:47]
; %bb.58:                               ;   in Loop: Header=BB355_14 Depth=1
	v_bfe_u32 v55, v57, 16, 1
	v_add3_u32 v55, v57, v55, s57
                                        ; implicit-def: $vgpr57
; %bb.59:                               ;   in Loop: Header=BB355_14 Depth=1
	s_andn2_saveexec_b64 s[46:47], s[0:1]
; %bb.60:                               ;   in Loop: Header=BB355_14 Depth=1
	v_or_b32_e32 v55, 0x10000, v57
	v_cmp_eq_u32_sdwa s[0:1], v57, v25 src0_sel:WORD_0 src1_sel:DWORD
	s_nop 1
	v_cndmask_b32_e64 v55, v55, v57, s[0:1]
; %bb.61:                               ;   in Loop: Header=BB355_14 Depth=1
	s_or_b64 exec, exec, s[46:47]
	v_lshrrev_b32_e32 v56, 24, v56
	v_cvt_f32_fp8_sdwa v56, v56 src0_sel:BYTE_0
	s_nop 0
	v_mul_f32_e32 v57, s58, v56
	v_and_b32_e32 v56, 0x7f800000, v57
	v_cmp_ne_u32_e64 s[0:1], s56, v56
                                        ; implicit-def: $vgpr56
	s_and_saveexec_b64 s[46:47], s[0:1]
	s_xor_b64 s[0:1], exec, s[46:47]
; %bb.62:                               ;   in Loop: Header=BB355_14 Depth=1
	v_bfe_u32 v56, v57, 16, 1
	v_add3_u32 v56, v57, v56, s57
                                        ; implicit-def: $vgpr57
; %bb.63:                               ;   in Loop: Header=BB355_14 Depth=1
	s_andn2_saveexec_b64 s[46:47], s[0:1]
; %bb.64:                               ;   in Loop: Header=BB355_14 Depth=1
	v_or_b32_e32 v56, 0x10000, v57
	v_cmp_eq_u32_sdwa s[0:1], v57, v25 src0_sel:WORD_0 src1_sel:DWORD
	s_nop 1
	v_cndmask_b32_e64 v56, v56, v57, s[0:1]
; %bb.65:                               ;   in Loop: Header=BB355_14 Depth=1
	s_or_b64 exec, exec, s[46:47]
	global_load_dword v60, v[30:31], off offset:520
	s_waitcnt vmcnt(0)
	v_and_b32_e32 v57, 0xff, v60
	v_cvt_f32_fp8_sdwa v57, v57 src0_sel:BYTE_0
	s_nop 0
	v_mul_f32_e32 v58, s58, v57
	v_and_b32_e32 v57, 0x7f800000, v58
	v_cmp_ne_u32_e64 s[0:1], s56, v57
                                        ; implicit-def: $vgpr57
	s_and_saveexec_b64 s[46:47], s[0:1]
	s_xor_b64 s[0:1], exec, s[46:47]
; %bb.66:                               ;   in Loop: Header=BB355_14 Depth=1
	v_bfe_u32 v57, v58, 16, 1
	v_add3_u32 v57, v58, v57, s57
                                        ; implicit-def: $vgpr58
; %bb.67:                               ;   in Loop: Header=BB355_14 Depth=1
	s_andn2_saveexec_b64 s[46:47], s[0:1]
; %bb.68:                               ;   in Loop: Header=BB355_14 Depth=1
	v_or_b32_e32 v57, 0x10000, v58
	v_cmp_eq_u32_sdwa s[0:1], v58, v25 src0_sel:WORD_0 src1_sel:DWORD
	s_nop 1
	v_cndmask_b32_e64 v57, v57, v58, s[0:1]
; %bb.69:                               ;   in Loop: Header=BB355_14 Depth=1
	s_or_b64 exec, exec, s[46:47]
	v_bfe_u32 v58, v60, 8, 8
	v_cvt_f32_fp8_sdwa v58, v58 src0_sel:BYTE_0
	s_nop 0
	v_mul_f32_e32 v59, s58, v58
	v_and_b32_e32 v58, 0x7f800000, v59
	v_cmp_ne_u32_e64 s[0:1], s56, v58
                                        ; implicit-def: $vgpr58
	s_and_saveexec_b64 s[46:47], s[0:1]
	s_xor_b64 s[0:1], exec, s[46:47]
; %bb.70:                               ;   in Loop: Header=BB355_14 Depth=1
	v_bfe_u32 v58, v59, 16, 1
	v_add3_u32 v58, v59, v58, s57
                                        ; implicit-def: $vgpr59
; %bb.71:                               ;   in Loop: Header=BB355_14 Depth=1
	s_andn2_saveexec_b64 s[46:47], s[0:1]
; %bb.72:                               ;   in Loop: Header=BB355_14 Depth=1
	v_or_b32_e32 v58, 0x10000, v59
	v_cmp_eq_u32_sdwa s[0:1], v59, v25 src0_sel:WORD_0 src1_sel:DWORD
	s_nop 1
	v_cndmask_b32_e64 v58, v58, v59, s[0:1]
; %bb.73:                               ;   in Loop: Header=BB355_14 Depth=1
	s_or_b64 exec, exec, s[46:47]
	v_bfe_u32 v59, v60, 16, 8
	v_cvt_f32_fp8_sdwa v59, v59 src0_sel:BYTE_0
	s_nop 0
	v_mul_f32_e32 v61, s58, v59
	v_and_b32_e32 v59, 0x7f800000, v61
	v_cmp_ne_u32_e64 s[0:1], s56, v59
                                        ; implicit-def: $vgpr59
	s_and_saveexec_b64 s[46:47], s[0:1]
	s_xor_b64 s[0:1], exec, s[46:47]
; %bb.74:                               ;   in Loop: Header=BB355_14 Depth=1
	v_bfe_u32 v59, v61, 16, 1
	v_add3_u32 v59, v61, v59, s57
                                        ; implicit-def: $vgpr61
; %bb.75:                               ;   in Loop: Header=BB355_14 Depth=1
	s_andn2_saveexec_b64 s[46:47], s[0:1]
; %bb.76:                               ;   in Loop: Header=BB355_14 Depth=1
	v_or_b32_e32 v59, 0x10000, v61
	v_cmp_eq_u32_sdwa s[0:1], v61, v25 src0_sel:WORD_0 src1_sel:DWORD
	s_nop 1
	v_cndmask_b32_e64 v59, v59, v61, s[0:1]
; %bb.77:                               ;   in Loop: Header=BB355_14 Depth=1
	s_or_b64 exec, exec, s[46:47]
	v_lshrrev_b32_e32 v60, 24, v60
	v_cvt_f32_fp8_sdwa v60, v60 src0_sel:BYTE_0
	s_nop 0
	v_mul_f32_e32 v61, s58, v60
	v_and_b32_e32 v60, 0x7f800000, v61
	v_cmp_ne_u32_e64 s[0:1], s56, v60
                                        ; implicit-def: $vgpr60
	s_and_saveexec_b64 s[46:47], s[0:1]
	s_xor_b64 s[0:1], exec, s[46:47]
; %bb.78:                               ;   in Loop: Header=BB355_14 Depth=1
	v_bfe_u32 v60, v61, 16, 1
	v_add3_u32 v60, v61, v60, s57
                                        ; implicit-def: $vgpr61
; %bb.79:                               ;   in Loop: Header=BB355_14 Depth=1
	s_andn2_saveexec_b64 s[46:47], s[0:1]
; %bb.80:                               ;   in Loop: Header=BB355_14 Depth=1
	v_or_b32_e32 v60, 0x10000, v61
	v_cmp_eq_u32_sdwa s[0:1], v61, v25 src0_sel:WORD_0 src1_sel:DWORD
	s_nop 1
	v_cndmask_b32_e64 v60, v60, v61, s[0:1]
; %bb.81:                               ;   in Loop: Header=BB355_14 Depth=1
	s_or_b64 exec, exec, s[46:47]
	global_load_dword v64, v[30:31], off offset:1024
	s_waitcnt vmcnt(0)
	v_and_b32_e32 v61, 0xff, v64
	v_cvt_f32_fp8_sdwa v61, v61 src0_sel:BYTE_0
	s_nop 0
	v_mul_f32_e32 v62, s58, v61
	v_and_b32_e32 v61, 0x7f800000, v62
	v_cmp_ne_u32_e64 s[0:1], s56, v61
                                        ; implicit-def: $vgpr61
	s_and_saveexec_b64 s[46:47], s[0:1]
	s_xor_b64 s[0:1], exec, s[46:47]
; %bb.82:                               ;   in Loop: Header=BB355_14 Depth=1
	v_bfe_u32 v61, v62, 16, 1
	v_add3_u32 v61, v62, v61, s57
                                        ; implicit-def: $vgpr62
; %bb.83:                               ;   in Loop: Header=BB355_14 Depth=1
	s_andn2_saveexec_b64 s[46:47], s[0:1]
; %bb.84:                               ;   in Loop: Header=BB355_14 Depth=1
	v_or_b32_e32 v61, 0x10000, v62
	v_cmp_eq_u32_sdwa s[0:1], v62, v25 src0_sel:WORD_0 src1_sel:DWORD
	s_nop 1
	v_cndmask_b32_e64 v61, v61, v62, s[0:1]
; %bb.85:                               ;   in Loop: Header=BB355_14 Depth=1
	s_or_b64 exec, exec, s[46:47]
	v_bfe_u32 v62, v64, 8, 8
	v_cvt_f32_fp8_sdwa v62, v62 src0_sel:BYTE_0
	s_nop 0
	v_mul_f32_e32 v63, s58, v62
	v_and_b32_e32 v62, 0x7f800000, v63
	v_cmp_ne_u32_e64 s[0:1], s56, v62
                                        ; implicit-def: $vgpr62
	s_and_saveexec_b64 s[46:47], s[0:1]
	s_xor_b64 s[0:1], exec, s[46:47]
; %bb.86:                               ;   in Loop: Header=BB355_14 Depth=1
	v_bfe_u32 v62, v63, 16, 1
	v_add3_u32 v62, v63, v62, s57
                                        ; implicit-def: $vgpr63
; %bb.87:                               ;   in Loop: Header=BB355_14 Depth=1
	s_andn2_saveexec_b64 s[46:47], s[0:1]
; %bb.88:                               ;   in Loop: Header=BB355_14 Depth=1
	v_or_b32_e32 v62, 0x10000, v63
	v_cmp_eq_u32_sdwa s[0:1], v63, v25 src0_sel:WORD_0 src1_sel:DWORD
	s_nop 1
	v_cndmask_b32_e64 v62, v62, v63, s[0:1]
; %bb.89:                               ;   in Loop: Header=BB355_14 Depth=1
	s_or_b64 exec, exec, s[46:47]
	v_bfe_u32 v63, v64, 16, 8
	v_cvt_f32_fp8_sdwa v63, v63 src0_sel:BYTE_0
	s_nop 0
	v_mul_f32_e32 v65, s58, v63
	v_and_b32_e32 v63, 0x7f800000, v65
	v_cmp_ne_u32_e64 s[0:1], s56, v63
                                        ; implicit-def: $vgpr63
	s_and_saveexec_b64 s[46:47], s[0:1]
	s_xor_b64 s[0:1], exec, s[46:47]
; %bb.90:                               ;   in Loop: Header=BB355_14 Depth=1
	v_bfe_u32 v63, v65, 16, 1
	v_add3_u32 v63, v65, v63, s57
                                        ; implicit-def: $vgpr65
; %bb.91:                               ;   in Loop: Header=BB355_14 Depth=1
	s_andn2_saveexec_b64 s[46:47], s[0:1]
; %bb.92:                               ;   in Loop: Header=BB355_14 Depth=1
	v_or_b32_e32 v63, 0x10000, v65
	v_cmp_eq_u32_sdwa s[0:1], v65, v25 src0_sel:WORD_0 src1_sel:DWORD
	s_nop 1
	v_cndmask_b32_e64 v63, v63, v65, s[0:1]
; %bb.93:                               ;   in Loop: Header=BB355_14 Depth=1
	s_or_b64 exec, exec, s[46:47]
	v_lshrrev_b32_e32 v64, 24, v64
	v_cvt_f32_fp8_sdwa v64, v64 src0_sel:BYTE_0
	s_nop 0
	v_mul_f32_e32 v65, s58, v64
	v_and_b32_e32 v64, 0x7f800000, v65
	v_cmp_ne_u32_e64 s[0:1], s56, v64
                                        ; implicit-def: $vgpr64
	s_and_saveexec_b64 s[46:47], s[0:1]
	s_xor_b64 s[0:1], exec, s[46:47]
; %bb.94:                               ;   in Loop: Header=BB355_14 Depth=1
	v_bfe_u32 v64, v65, 16, 1
	v_add3_u32 v64, v65, v64, s57
                                        ; implicit-def: $vgpr65
; %bb.95:                               ;   in Loop: Header=BB355_14 Depth=1
	s_andn2_saveexec_b64 s[46:47], s[0:1]
; %bb.96:                               ;   in Loop: Header=BB355_14 Depth=1
	v_or_b32_e32 v64, 0x10000, v65
	v_cmp_eq_u32_sdwa s[0:1], v65, v25 src0_sel:WORD_0 src1_sel:DWORD
	s_nop 1
	v_cndmask_b32_e64 v64, v64, v65, s[0:1]
; %bb.97:                               ;   in Loop: Header=BB355_14 Depth=1
	s_or_b64 exec, exec, s[46:47]
	global_load_dword v68, v[30:31], off offset:1032
	s_waitcnt vmcnt(0)
	v_and_b32_e32 v65, 0xff, v68
	v_cvt_f32_fp8_sdwa v65, v65 src0_sel:BYTE_0
	s_nop 0
	v_mul_f32_e32 v66, s58, v65
	v_and_b32_e32 v65, 0x7f800000, v66
	v_cmp_ne_u32_e64 s[0:1], s56, v65
                                        ; implicit-def: $vgpr65
	s_and_saveexec_b64 s[46:47], s[0:1]
	s_xor_b64 s[0:1], exec, s[46:47]
; %bb.98:                               ;   in Loop: Header=BB355_14 Depth=1
	v_bfe_u32 v65, v66, 16, 1
	v_add3_u32 v65, v66, v65, s57
                                        ; implicit-def: $vgpr66
; %bb.99:                               ;   in Loop: Header=BB355_14 Depth=1
	s_andn2_saveexec_b64 s[46:47], s[0:1]
; %bb.100:                              ;   in Loop: Header=BB355_14 Depth=1
	v_or_b32_e32 v65, 0x10000, v66
	v_cmp_eq_u32_sdwa s[0:1], v66, v25 src0_sel:WORD_0 src1_sel:DWORD
	s_nop 1
	v_cndmask_b32_e64 v65, v65, v66, s[0:1]
; %bb.101:                              ;   in Loop: Header=BB355_14 Depth=1
	s_or_b64 exec, exec, s[46:47]
	v_bfe_u32 v66, v68, 8, 8
	v_cvt_f32_fp8_sdwa v66, v66 src0_sel:BYTE_0
	s_nop 0
	v_mul_f32_e32 v67, s58, v66
	v_and_b32_e32 v66, 0x7f800000, v67
	v_cmp_ne_u32_e64 s[0:1], s56, v66
                                        ; implicit-def: $vgpr66
	s_and_saveexec_b64 s[46:47], s[0:1]
	s_xor_b64 s[0:1], exec, s[46:47]
; %bb.102:                              ;   in Loop: Header=BB355_14 Depth=1
	v_bfe_u32 v66, v67, 16, 1
	v_add3_u32 v66, v67, v66, s57
                                        ; implicit-def: $vgpr67
; %bb.103:                              ;   in Loop: Header=BB355_14 Depth=1
	s_andn2_saveexec_b64 s[46:47], s[0:1]
; %bb.104:                              ;   in Loop: Header=BB355_14 Depth=1
	v_or_b32_e32 v66, 0x10000, v67
	v_cmp_eq_u32_sdwa s[0:1], v67, v25 src0_sel:WORD_0 src1_sel:DWORD
	s_nop 1
	v_cndmask_b32_e64 v66, v66, v67, s[0:1]
; %bb.105:                              ;   in Loop: Header=BB355_14 Depth=1
	s_or_b64 exec, exec, s[46:47]
	v_bfe_u32 v67, v68, 16, 8
	v_cvt_f32_fp8_sdwa v67, v67 src0_sel:BYTE_0
	s_nop 0
	v_mul_f32_e32 v69, s58, v67
	v_and_b32_e32 v67, 0x7f800000, v69
	v_cmp_ne_u32_e64 s[0:1], s56, v67
                                        ; implicit-def: $vgpr67
	s_and_saveexec_b64 s[46:47], s[0:1]
	s_xor_b64 s[0:1], exec, s[46:47]
; %bb.106:                              ;   in Loop: Header=BB355_14 Depth=1
	v_bfe_u32 v67, v69, 16, 1
	v_add3_u32 v67, v69, v67, s57
                                        ; implicit-def: $vgpr69
; %bb.107:                              ;   in Loop: Header=BB355_14 Depth=1
	s_andn2_saveexec_b64 s[46:47], s[0:1]
; %bb.108:                              ;   in Loop: Header=BB355_14 Depth=1
	v_or_b32_e32 v67, 0x10000, v69
	v_cmp_eq_u32_sdwa s[0:1], v69, v25 src0_sel:WORD_0 src1_sel:DWORD
	s_nop 1
	v_cndmask_b32_e64 v67, v67, v69, s[0:1]
; %bb.109:                              ;   in Loop: Header=BB355_14 Depth=1
	s_or_b64 exec, exec, s[46:47]
	v_lshrrev_b32_e32 v68, 24, v68
	v_cvt_f32_fp8_sdwa v68, v68 src0_sel:BYTE_0
	s_nop 0
	v_mul_f32_e32 v69, s58, v68
	v_and_b32_e32 v68, 0x7f800000, v69
	v_cmp_ne_u32_e64 s[0:1], s56, v68
                                        ; implicit-def: $vgpr68
	s_and_saveexec_b64 s[46:47], s[0:1]
	s_xor_b64 s[0:1], exec, s[46:47]
; %bb.110:                              ;   in Loop: Header=BB355_14 Depth=1
	v_bfe_u32 v68, v69, 16, 1
	v_add3_u32 v68, v69, v68, s57
                                        ; implicit-def: $vgpr69
; %bb.111:                              ;   in Loop: Header=BB355_14 Depth=1
	s_andn2_saveexec_b64 s[46:47], s[0:1]
; %bb.112:                              ;   in Loop: Header=BB355_14 Depth=1
	v_or_b32_e32 v68, 0x10000, v69
	v_cmp_eq_u32_sdwa s[0:1], v69, v25 src0_sel:WORD_0 src1_sel:DWORD
	s_nop 1
	v_cndmask_b32_e64 v68, v68, v69, s[0:1]
; %bb.113:                              ;   in Loop: Header=BB355_14 Depth=1
	s_or_b64 exec, exec, s[46:47]
	global_load_dword v72, v[30:31], off offset:1536
	s_waitcnt vmcnt(0)
	v_and_b32_e32 v69, 0xff, v72
	v_cvt_f32_fp8_sdwa v69, v69 src0_sel:BYTE_0
	s_nop 0
	v_mul_f32_e32 v70, s58, v69
	v_and_b32_e32 v69, 0x7f800000, v70
	v_cmp_ne_u32_e64 s[0:1], s56, v69
                                        ; implicit-def: $vgpr69
	s_and_saveexec_b64 s[46:47], s[0:1]
	s_xor_b64 s[0:1], exec, s[46:47]
; %bb.114:                              ;   in Loop: Header=BB355_14 Depth=1
	v_bfe_u32 v69, v70, 16, 1
	v_add3_u32 v69, v70, v69, s57
                                        ; implicit-def: $vgpr70
; %bb.115:                              ;   in Loop: Header=BB355_14 Depth=1
	s_andn2_saveexec_b64 s[46:47], s[0:1]
; %bb.116:                              ;   in Loop: Header=BB355_14 Depth=1
	v_or_b32_e32 v69, 0x10000, v70
	v_cmp_eq_u32_sdwa s[0:1], v70, v25 src0_sel:WORD_0 src1_sel:DWORD
	s_nop 1
	v_cndmask_b32_e64 v69, v69, v70, s[0:1]
; %bb.117:                              ;   in Loop: Header=BB355_14 Depth=1
	s_or_b64 exec, exec, s[46:47]
	v_bfe_u32 v70, v72, 8, 8
	v_cvt_f32_fp8_sdwa v70, v70 src0_sel:BYTE_0
	s_nop 0
	v_mul_f32_e32 v71, s58, v70
	v_and_b32_e32 v70, 0x7f800000, v71
	v_cmp_ne_u32_e64 s[0:1], s56, v70
                                        ; implicit-def: $vgpr70
	s_and_saveexec_b64 s[46:47], s[0:1]
	s_xor_b64 s[0:1], exec, s[46:47]
; %bb.118:                              ;   in Loop: Header=BB355_14 Depth=1
	v_bfe_u32 v70, v71, 16, 1
	v_add3_u32 v70, v71, v70, s57
                                        ; implicit-def: $vgpr71
; %bb.119:                              ;   in Loop: Header=BB355_14 Depth=1
	s_andn2_saveexec_b64 s[46:47], s[0:1]
; %bb.120:                              ;   in Loop: Header=BB355_14 Depth=1
	v_or_b32_e32 v70, 0x10000, v71
	v_cmp_eq_u32_sdwa s[0:1], v71, v25 src0_sel:WORD_0 src1_sel:DWORD
	s_nop 1
	v_cndmask_b32_e64 v70, v70, v71, s[0:1]
; %bb.121:                              ;   in Loop: Header=BB355_14 Depth=1
	s_or_b64 exec, exec, s[46:47]
	v_bfe_u32 v71, v72, 16, 8
	v_cvt_f32_fp8_sdwa v71, v71 src0_sel:BYTE_0
	s_nop 0
	v_mul_f32_e32 v73, s58, v71
	v_and_b32_e32 v71, 0x7f800000, v73
	v_cmp_ne_u32_e64 s[0:1], s56, v71
                                        ; implicit-def: $vgpr71
	s_and_saveexec_b64 s[46:47], s[0:1]
	s_xor_b64 s[0:1], exec, s[46:47]
; %bb.122:                              ;   in Loop: Header=BB355_14 Depth=1
	v_bfe_u32 v71, v73, 16, 1
	v_add3_u32 v71, v73, v71, s57
                                        ; implicit-def: $vgpr73
; %bb.123:                              ;   in Loop: Header=BB355_14 Depth=1
	s_andn2_saveexec_b64 s[46:47], s[0:1]
; %bb.124:                              ;   in Loop: Header=BB355_14 Depth=1
	v_or_b32_e32 v71, 0x10000, v73
	v_cmp_eq_u32_sdwa s[0:1], v73, v25 src0_sel:WORD_0 src1_sel:DWORD
	s_nop 1
	v_cndmask_b32_e64 v71, v71, v73, s[0:1]
; %bb.125:                              ;   in Loop: Header=BB355_14 Depth=1
	s_or_b64 exec, exec, s[46:47]
	v_lshrrev_b32_e32 v72, 24, v72
	v_cvt_f32_fp8_sdwa v72, v72 src0_sel:BYTE_0
	s_nop 0
	v_mul_f32_e32 v73, s58, v72
	v_and_b32_e32 v72, 0x7f800000, v73
	v_cmp_ne_u32_e64 s[0:1], s56, v72
                                        ; implicit-def: $vgpr72
	s_and_saveexec_b64 s[46:47], s[0:1]
	s_xor_b64 s[0:1], exec, s[46:47]
; %bb.126:                              ;   in Loop: Header=BB355_14 Depth=1
	v_bfe_u32 v72, v73, 16, 1
	v_add3_u32 v72, v73, v72, s57
                                        ; implicit-def: $vgpr73
; %bb.127:                              ;   in Loop: Header=BB355_14 Depth=1
	s_andn2_saveexec_b64 s[46:47], s[0:1]
; %bb.128:                              ;   in Loop: Header=BB355_14 Depth=1
	v_or_b32_e32 v72, 0x10000, v73
	v_cmp_eq_u32_sdwa s[0:1], v73, v25 src0_sel:WORD_0 src1_sel:DWORD
	s_nop 1
	v_cndmask_b32_e64 v72, v72, v73, s[0:1]
; %bb.129:                              ;   in Loop: Header=BB355_14 Depth=1
	s_or_b64 exec, exec, s[46:47]
	global_load_dword v76, v[30:31], off offset:1544
	s_waitcnt vmcnt(0)
	v_and_b32_e32 v73, 0xff, v76
	v_cvt_f32_fp8_sdwa v73, v73 src0_sel:BYTE_0
	s_nop 0
	v_mul_f32_e32 v74, s58, v73
	v_and_b32_e32 v73, 0x7f800000, v74
	v_cmp_ne_u32_e64 s[0:1], s56, v73
                                        ; implicit-def: $vgpr73
	s_and_saveexec_b64 s[46:47], s[0:1]
	s_xor_b64 s[0:1], exec, s[46:47]
; %bb.130:                              ;   in Loop: Header=BB355_14 Depth=1
	v_bfe_u32 v73, v74, 16, 1
	v_add3_u32 v73, v74, v73, s57
                                        ; implicit-def: $vgpr74
; %bb.131:                              ;   in Loop: Header=BB355_14 Depth=1
	s_andn2_saveexec_b64 s[46:47], s[0:1]
; %bb.132:                              ;   in Loop: Header=BB355_14 Depth=1
	v_or_b32_e32 v73, 0x10000, v74
	v_cmp_eq_u32_sdwa s[0:1], v74, v25 src0_sel:WORD_0 src1_sel:DWORD
	s_nop 1
	v_cndmask_b32_e64 v73, v73, v74, s[0:1]
; %bb.133:                              ;   in Loop: Header=BB355_14 Depth=1
	s_or_b64 exec, exec, s[46:47]
	v_bfe_u32 v74, v76, 8, 8
	v_cvt_f32_fp8_sdwa v74, v74 src0_sel:BYTE_0
	s_nop 0
	v_mul_f32_e32 v75, s58, v74
	v_and_b32_e32 v74, 0x7f800000, v75
	v_cmp_ne_u32_e64 s[0:1], s56, v74
                                        ; implicit-def: $vgpr74
	s_and_saveexec_b64 s[46:47], s[0:1]
	s_xor_b64 s[0:1], exec, s[46:47]
; %bb.134:                              ;   in Loop: Header=BB355_14 Depth=1
	v_bfe_u32 v74, v75, 16, 1
	v_add3_u32 v74, v75, v74, s57
                                        ; implicit-def: $vgpr75
; %bb.135:                              ;   in Loop: Header=BB355_14 Depth=1
	s_andn2_saveexec_b64 s[46:47], s[0:1]
; %bb.136:                              ;   in Loop: Header=BB355_14 Depth=1
	v_or_b32_e32 v74, 0x10000, v75
	v_cmp_eq_u32_sdwa s[0:1], v75, v25 src0_sel:WORD_0 src1_sel:DWORD
	s_nop 1
	v_cndmask_b32_e64 v74, v74, v75, s[0:1]
; %bb.137:                              ;   in Loop: Header=BB355_14 Depth=1
	s_or_b64 exec, exec, s[46:47]
	v_bfe_u32 v75, v76, 16, 8
	v_cvt_f32_fp8_sdwa v75, v75 src0_sel:BYTE_0
	s_nop 0
	v_mul_f32_e32 v77, s58, v75
	v_and_b32_e32 v75, 0x7f800000, v77
	v_cmp_ne_u32_e64 s[0:1], s56, v75
                                        ; implicit-def: $vgpr75
	s_and_saveexec_b64 s[46:47], s[0:1]
	s_xor_b64 s[0:1], exec, s[46:47]
; %bb.138:                              ;   in Loop: Header=BB355_14 Depth=1
	v_bfe_u32 v75, v77, 16, 1
	v_add3_u32 v75, v77, v75, s57
                                        ; implicit-def: $vgpr77
; %bb.139:                              ;   in Loop: Header=BB355_14 Depth=1
	s_andn2_saveexec_b64 s[46:47], s[0:1]
; %bb.140:                              ;   in Loop: Header=BB355_14 Depth=1
	v_or_b32_e32 v75, 0x10000, v77
	v_cmp_eq_u32_sdwa s[0:1], v77, v25 src0_sel:WORD_0 src1_sel:DWORD
	s_nop 1
	v_cndmask_b32_e64 v75, v75, v77, s[0:1]
; %bb.141:                              ;   in Loop: Header=BB355_14 Depth=1
	s_or_b64 exec, exec, s[46:47]
	v_lshrrev_b32_e32 v76, 24, v76
	v_cvt_f32_fp8_sdwa v76, v76 src0_sel:BYTE_0
	s_nop 0
	v_mul_f32_e32 v77, s58, v76
	v_and_b32_e32 v76, 0x7f800000, v77
	v_cmp_ne_u32_e64 s[0:1], s56, v76
                                        ; implicit-def: $vgpr76
	s_and_saveexec_b64 s[46:47], s[0:1]
	s_xor_b64 s[0:1], exec, s[46:47]
; %bb.142:                              ;   in Loop: Header=BB355_14 Depth=1
	v_bfe_u32 v76, v77, 16, 1
	v_add3_u32 v76, v77, v76, s57
                                        ; implicit-def: $vgpr77
; %bb.143:                              ;   in Loop: Header=BB355_14 Depth=1
	s_andn2_saveexec_b64 s[46:47], s[0:1]
; %bb.144:                              ;   in Loop: Header=BB355_14 Depth=1
	v_or_b32_e32 v76, 0x10000, v77
	v_cmp_eq_u32_sdwa s[0:1], v77, v25 src0_sel:WORD_0 src1_sel:DWORD
	s_nop 1
	v_cndmask_b32_e64 v76, v76, v77, s[0:1]
; %bb.145:                              ;   in Loop: Header=BB355_14 Depth=1
	s_or_b64 exec, exec, s[46:47]
	global_load_dword v80, v[30:31], off offset:2048
	s_waitcnt vmcnt(0)
	v_and_b32_e32 v77, 0xff, v80
	v_cvt_f32_fp8_sdwa v77, v77 src0_sel:BYTE_0
	s_nop 0
	v_mul_f32_e32 v78, s58, v77
	v_and_b32_e32 v77, 0x7f800000, v78
	v_cmp_ne_u32_e64 s[0:1], s56, v77
                                        ; implicit-def: $vgpr77
	s_and_saveexec_b64 s[46:47], s[0:1]
	s_xor_b64 s[0:1], exec, s[46:47]
; %bb.146:                              ;   in Loop: Header=BB355_14 Depth=1
	v_bfe_u32 v77, v78, 16, 1
	v_add3_u32 v77, v78, v77, s57
                                        ; implicit-def: $vgpr78
; %bb.147:                              ;   in Loop: Header=BB355_14 Depth=1
	s_andn2_saveexec_b64 s[46:47], s[0:1]
; %bb.148:                              ;   in Loop: Header=BB355_14 Depth=1
	v_or_b32_e32 v77, 0x10000, v78
	v_cmp_eq_u32_sdwa s[0:1], v78, v25 src0_sel:WORD_0 src1_sel:DWORD
	s_nop 1
	v_cndmask_b32_e64 v77, v77, v78, s[0:1]
; %bb.149:                              ;   in Loop: Header=BB355_14 Depth=1
	s_or_b64 exec, exec, s[46:47]
	v_bfe_u32 v78, v80, 8, 8
	v_cvt_f32_fp8_sdwa v78, v78 src0_sel:BYTE_0
	s_nop 0
	v_mul_f32_e32 v79, s58, v78
	v_and_b32_e32 v78, 0x7f800000, v79
	v_cmp_ne_u32_e64 s[0:1], s56, v78
                                        ; implicit-def: $vgpr78
	s_and_saveexec_b64 s[46:47], s[0:1]
	s_xor_b64 s[0:1], exec, s[46:47]
; %bb.150:                              ;   in Loop: Header=BB355_14 Depth=1
	v_bfe_u32 v78, v79, 16, 1
	v_add3_u32 v78, v79, v78, s57
                                        ; implicit-def: $vgpr79
; %bb.151:                              ;   in Loop: Header=BB355_14 Depth=1
	s_andn2_saveexec_b64 s[46:47], s[0:1]
; %bb.152:                              ;   in Loop: Header=BB355_14 Depth=1
	v_or_b32_e32 v78, 0x10000, v79
	v_cmp_eq_u32_sdwa s[0:1], v79, v25 src0_sel:WORD_0 src1_sel:DWORD
	s_nop 1
	v_cndmask_b32_e64 v78, v78, v79, s[0:1]
; %bb.153:                              ;   in Loop: Header=BB355_14 Depth=1
	s_or_b64 exec, exec, s[46:47]
	v_bfe_u32 v79, v80, 16, 8
	v_cvt_f32_fp8_sdwa v79, v79 src0_sel:BYTE_0
	s_nop 0
	v_mul_f32_e32 v81, s58, v79
	v_and_b32_e32 v79, 0x7f800000, v81
	v_cmp_ne_u32_e64 s[0:1], s56, v79
                                        ; implicit-def: $vgpr79
	s_and_saveexec_b64 s[46:47], s[0:1]
	s_xor_b64 s[0:1], exec, s[46:47]
; %bb.154:                              ;   in Loop: Header=BB355_14 Depth=1
	v_bfe_u32 v79, v81, 16, 1
	v_add3_u32 v79, v81, v79, s57
                                        ; implicit-def: $vgpr81
; %bb.155:                              ;   in Loop: Header=BB355_14 Depth=1
	s_andn2_saveexec_b64 s[46:47], s[0:1]
; %bb.156:                              ;   in Loop: Header=BB355_14 Depth=1
	v_or_b32_e32 v79, 0x10000, v81
	v_cmp_eq_u32_sdwa s[0:1], v81, v25 src0_sel:WORD_0 src1_sel:DWORD
	s_nop 1
	v_cndmask_b32_e64 v79, v79, v81, s[0:1]
; %bb.157:                              ;   in Loop: Header=BB355_14 Depth=1
	s_or_b64 exec, exec, s[46:47]
	v_lshrrev_b32_e32 v80, 24, v80
	v_cvt_f32_fp8_sdwa v80, v80 src0_sel:BYTE_0
	s_nop 0
	v_mul_f32_e32 v81, s58, v80
	v_and_b32_e32 v80, 0x7f800000, v81
	v_cmp_ne_u32_e64 s[0:1], s56, v80
                                        ; implicit-def: $vgpr80
	s_and_saveexec_b64 s[46:47], s[0:1]
	s_xor_b64 s[0:1], exec, s[46:47]
; %bb.158:                              ;   in Loop: Header=BB355_14 Depth=1
	v_bfe_u32 v80, v81, 16, 1
	v_add3_u32 v80, v81, v80, s57
                                        ; implicit-def: $vgpr81
; %bb.159:                              ;   in Loop: Header=BB355_14 Depth=1
	s_andn2_saveexec_b64 s[46:47], s[0:1]
; %bb.160:                              ;   in Loop: Header=BB355_14 Depth=1
	v_or_b32_e32 v80, 0x10000, v81
	v_cmp_eq_u32_sdwa s[0:1], v81, v25 src0_sel:WORD_0 src1_sel:DWORD
	s_nop 1
	v_cndmask_b32_e64 v80, v80, v81, s[0:1]
; %bb.161:                              ;   in Loop: Header=BB355_14 Depth=1
	s_or_b64 exec, exec, s[46:47]
	global_load_dword v81, v[30:31], off offset:2056
	s_waitcnt vmcnt(0)
	v_and_b32_e32 v30, 0xff, v81
	v_cvt_f32_fp8_sdwa v30, v30 src0_sel:BYTE_0
	s_nop 0
	v_mul_f32_e32 v31, s58, v30
	v_and_b32_e32 v30, 0x7f800000, v31
	v_cmp_ne_u32_e64 s[0:1], s56, v30
                                        ; implicit-def: $vgpr30
	s_and_saveexec_b64 s[46:47], s[0:1]
	s_xor_b64 s[0:1], exec, s[46:47]
; %bb.162:                              ;   in Loop: Header=BB355_14 Depth=1
	v_bfe_u32 v30, v31, 16, 1
	v_add3_u32 v30, v31, v30, s57
                                        ; implicit-def: $vgpr31
; %bb.163:                              ;   in Loop: Header=BB355_14 Depth=1
	s_andn2_saveexec_b64 s[46:47], s[0:1]
; %bb.164:                              ;   in Loop: Header=BB355_14 Depth=1
	v_or_b32_e32 v30, 0x10000, v31
	v_cmp_eq_u32_sdwa s[0:1], v31, v25 src0_sel:WORD_0 src1_sel:DWORD
	s_nop 1
	v_cndmask_b32_e64 v30, v30, v31, s[0:1]
; %bb.165:                              ;   in Loop: Header=BB355_14 Depth=1
	s_or_b64 exec, exec, s[46:47]
	v_bfe_u32 v31, v81, 8, 8
	v_cvt_f32_fp8_sdwa v31, v31 src0_sel:BYTE_0
	s_nop 0
	v_mul_f32_e32 v31, s58, v31
	v_and_b32_e32 v82, 0x7f800000, v31
	v_cmp_ne_u32_e64 s[0:1], s56, v82
                                        ; implicit-def: $vgpr82
	s_and_saveexec_b64 s[46:47], s[0:1]
	s_xor_b64 s[0:1], exec, s[46:47]
; %bb.166:                              ;   in Loop: Header=BB355_14 Depth=1
	v_bfe_u32 v82, v31, 16, 1
	v_add3_u32 v82, v31, v82, s57
                                        ; implicit-def: $vgpr31
; %bb.167:                              ;   in Loop: Header=BB355_14 Depth=1
	s_andn2_saveexec_b64 s[46:47], s[0:1]
; %bb.168:                              ;   in Loop: Header=BB355_14 Depth=1
	v_or_b32_e32 v82, 0x10000, v31
	v_cmp_eq_u32_sdwa s[0:1], v31, v25 src0_sel:WORD_0 src1_sel:DWORD
	s_nop 1
	v_cndmask_b32_e64 v82, v82, v31, s[0:1]
; %bb.169:                              ;   in Loop: Header=BB355_14 Depth=1
	s_or_b64 exec, exec, s[46:47]
	v_bfe_u32 v31, v81, 16, 8
	v_cvt_f32_fp8_sdwa v31, v31 src0_sel:BYTE_0
	s_nop 0
	v_mul_f32_e32 v83, s58, v31
	v_and_b32_e32 v31, 0x7f800000, v83
	v_cmp_ne_u32_e64 s[0:1], s56, v31
                                        ; implicit-def: $vgpr31
	s_and_saveexec_b64 s[46:47], s[0:1]
	s_xor_b64 s[0:1], exec, s[46:47]
; %bb.170:                              ;   in Loop: Header=BB355_14 Depth=1
	v_bfe_u32 v31, v83, 16, 1
	v_add3_u32 v31, v83, v31, s57
                                        ; implicit-def: $vgpr83
; %bb.171:                              ;   in Loop: Header=BB355_14 Depth=1
	s_andn2_saveexec_b64 s[46:47], s[0:1]
; %bb.172:                              ;   in Loop: Header=BB355_14 Depth=1
	v_or_b32_e32 v31, 0x10000, v83
	v_cmp_eq_u32_sdwa s[0:1], v83, v25 src0_sel:WORD_0 src1_sel:DWORD
	s_nop 1
	v_cndmask_b32_e64 v31, v31, v83, s[0:1]
; %bb.173:                              ;   in Loop: Header=BB355_14 Depth=1
	s_or_b64 exec, exec, s[46:47]
	v_lshrrev_b32_e32 v81, 24, v81
	v_cvt_f32_fp8_sdwa v81, v81 src0_sel:BYTE_0
	s_nop 0
	v_mul_f32_e32 v83, s58, v81
	v_and_b32_e32 v81, 0x7f800000, v83
	v_cmp_ne_u32_e64 s[0:1], s56, v81
                                        ; implicit-def: $vgpr81
	s_and_saveexec_b64 s[46:47], s[0:1]
	s_xor_b64 s[0:1], exec, s[46:47]
; %bb.174:                              ;   in Loop: Header=BB355_14 Depth=1
	v_bfe_u32 v81, v83, 16, 1
	v_add3_u32 v81, v83, v81, s57
                                        ; implicit-def: $vgpr83
; %bb.175:                              ;   in Loop: Header=BB355_14 Depth=1
	s_andn2_saveexec_b64 s[46:47], s[0:1]
; %bb.176:                              ;   in Loop: Header=BB355_14 Depth=1
	v_or_b32_e32 v81, 0x10000, v83
	v_cmp_eq_u32_sdwa s[0:1], v83, v25 src0_sel:WORD_0 src1_sel:DWORD
	s_nop 1
	v_cndmask_b32_e64 v81, v81, v83, s[0:1]
; %bb.177:                              ;   in Loop: Header=BB355_14 Depth=1
	s_or_b64 exec, exec, s[46:47]
	v_and_b32_e32 v50, 0xffff0000, v50
	v_and_b32_e32 v49, 0xffff0000, v49
	v_lshlrev_b32_e32 v85, 16, v20
	v_and_b32_e32 v20, 0xffff0000, v20
	v_and_b32_e32 v51, 0xffff0000, v51
	;; [unrolled: 1-line block ×4, first 2 shown]
	v_lshlrev_b32_e32 v83, 16, v18
	v_lshlrev_b32_e32 v86, 16, v21
	v_and_b32_e32 v18, 0xffff0000, v18
	v_mul_f32_e32 v49, v85, v49
	v_mul_f32_e32 v20, v20, v50
	v_and_b32_e32 v54, 0xffff0000, v54
	v_and_b32_e32 v53, 0xffff0000, v53
	;; [unrolled: 1-line block ×4, first 2 shown]
	v_lshlrev_b32_e32 v84, 16, v19
	v_lshlrev_b32_e32 v87, 16, v10
	v_and_b32_e32 v21, 0xffff0000, v21
	v_and_b32_e32 v10, 0xffff0000, v10
	v_fmac_f32_e32 v49, v83, v45
	v_fmac_f32_e32 v20, v18, v46
	v_mul_f32_e32 v18, v86, v51
	v_and_b32_e32 v58, 0xffff0000, v58
	v_and_b32_e32 v57, 0xffff0000, v57
	v_and_b32_e32 v55, 0xffff0000, v55
	v_and_b32_e32 v48, 0xffff0000, v48
	v_lshlrev_b32_e32 v88, 16, v11
	v_lshlrev_b32_e32 v89, 16, v12
	v_and_b32_e32 v19, 0xffff0000, v19
	v_and_b32_e32 v12, 0xffff0000, v12
	v_fmac_f32_e32 v18, v84, v47
	v_mul_f32_e32 v21, v21, v52
	v_fmac_f32_e32 v49, v87, v53
	v_fmac_f32_e32 v20, v10, v54
	v_and_b32_e32 v62, 0xffff0000, v62
	v_and_b32_e32 v61, 0xffff0000, v61
	v_and_b32_e32 v59, 0xffff0000, v59
	v_and_b32_e32 v56, 0xffff0000, v56
	v_lshlrev_b32_e32 v90, 16, v13
	v_lshlrev_b32_e32 v91, 16, v14
	v_and_b32_e32 v11, 0xffff0000, v11
	v_and_b32_e32 v14, 0xffff0000, v14
	v_fmac_f32_e32 v21, v19, v48
	v_fmac_f32_e32 v18, v88, v55
	v_fmac_f32_e32 v49, v89, v57
	v_fmac_f32_e32 v20, v12, v58
	v_and_b32_e32 v66, 0xffff0000, v66
	v_and_b32_e32 v65, 0xffff0000, v65
	v_and_b32_e32 v63, 0xffff0000, v63
	v_and_b32_e32 v60, 0xffff0000, v60
	v_lshlrev_b32_e32 v92, 16, v15
	v_lshlrev_b32_e32 v93, 16, v16
	v_and_b32_e32 v13, 0xffff0000, v13
	v_and_b32_e32 v16, 0xffff0000, v16
	v_fmac_f32_e32 v21, v11, v56
	v_fmac_f32_e32 v18, v90, v59
	;; [unrolled: 12-line block ×5, first 2 shown]
	v_fmac_f32_e32 v49, v97, v73
	v_fmac_f32_e32 v20, v8, v74
	v_and_b32_e32 v82, 0xffff0000, v82
	v_and_b32_e32 v30, 0xffff0000, v30
	;; [unrolled: 1-line block ×4, first 2 shown]
	v_lshlrev_b32_e32 v100, 16, v3
	v_lshlrev_b32_e32 v101, 16, v4
	v_and_b32_e32 v104, 64, v43
	v_and_b32_e32 v9, 0xffff0000, v9
	;; [unrolled: 1-line block ×3, first 2 shown]
	v_fmac_f32_e32 v21, v7, v72
	v_fmac_f32_e32 v18, v98, v75
	;; [unrolled: 1-line block ×4, first 2 shown]
	v_and_b32_e32 v80, 0xffff0000, v80
	v_lshlrev_b32_e32 v102, 16, v5
	v_xor_b32_e32 v103, 1, v43
	v_add_u32_e32 v104, 64, v104
	v_and_b32_e32 v31, 0xffff0000, v31
	v_and_b32_e32 v3, 0xffff0000, v3
	v_fmac_f32_e32 v21, v9, v76
	v_fmac_f32_e32 v18, v100, v79
	;; [unrolled: 1-line block ×4, first 2 shown]
	v_cmp_lt_i32_e64 s[0:1], v103, v104
	v_and_b32_e32 v81, 0xffff0000, v81
	v_and_b32_e32 v5, 0xffff0000, v5
	v_fmac_f32_e32 v21, v3, v80
	v_fmac_f32_e32 v18, v102, v31
	v_add_f32_e32 v2, v49, v20
	v_cndmask_b32_e64 v103, v43, v103, s[0:1]
	v_fmac_f32_e32 v21, v5, v81
	v_add_f32_e32 v2, v2, v18
	v_lshlrev_b32_e32 v103, 2, v103
	v_add_f32_e32 v2, v2, v21
	ds_bpermute_b32 v3, v103, v2
	s_and_saveexec_b64 s[46:47], vcc
	s_cbranch_execz .LBB355_12
; %bb.178:                              ;   in Loop: Header=BB355_14 Depth=1
	v_add_u32_e32 v4, v41, v39
	v_cvt_f32_i32_e32 v4, v4
	s_waitcnt lgkmcnt(0)
	v_add_f32_e32 v2, v2, v3
	v_add_u32_e32 v5, v35, v39
	v_cmp_gt_i32_e64 s[0:1], s33, v5
	v_mul_f32_e32 v3, s3, v4
	v_cndmask_b32_e64 v3, 0, v3, s[6:7]
	v_fmac_f32_e32 v3, s43, v2
	v_cndmask_b32_e64 v2, 0, v3, s[0:1]
	ds_write_b32 v40, v2
	v_max_f32_e32 v2, v37, v37
	v_max_f32_e32 v2, v2, v3
	v_cndmask_b32_e64 v37, v37, v2, s[0:1]
	s_branch .LBB355_12
.LBB355_179:
	s_or_b64 exec, exec, s[44:45]
.LBB355_180:
	s_or_b64 exec, exec, s[18:19]
	v_mbcnt_hi_u32_b32 v4, -1, v34
	v_and_b32_e32 v2, 64, v4
	v_add_u32_e32 v9, 64, v2
	v_xor_b32_e32 v2, 32, v4
	v_cmp_lt_i32_e32 vcc, v2, v9
	v_xor_b32_e32 v6, 16, v4
	v_max_f32_e32 v5, v37, v37
	v_cndmask_b32_e32 v2, v4, v2, vcc
	v_lshlrev_b32_e32 v2, 2, v2
	s_waitcnt lgkmcnt(0)
	ds_bpermute_b32 v3, v2, v37
	v_cmp_lt_i32_e32 vcc, v6, v9
	v_xor_b32_e32 v7, 8, v4
	v_xor_b32_e32 v8, 4, v4
	;; [unrolled: 1-line block ×3, first 2 shown]
	s_waitcnt lgkmcnt(0)
	v_max_f32_e32 v3, v3, v3
	v_max_f32_e32 v5, v5, v3
	v_cndmask_b32_e32 v3, v4, v6, vcc
	v_lshlrev_b32_e32 v3, 2, v3
	ds_bpermute_b32 v6, v3, v5
	v_cmp_lt_i32_e32 vcc, v7, v9
	v_and_b32_e32 v20, 63, v0
	s_waitcnt lgkmcnt(0)
	v_max_f32_e32 v6, v6, v6
	v_max_f32_e32 v6, v5, v6
	v_cndmask_b32_e32 v5, v4, v7, vcc
	v_lshlrev_b32_e32 v5, 2, v5
	ds_bpermute_b32 v7, v5, v6
	v_cmp_lt_i32_e32 vcc, v8, v9
	s_waitcnt lgkmcnt(0)
	v_max_f32_e32 v7, v7, v7
	v_max_f32_e32 v7, v6, v7
	v_cndmask_b32_e32 v6, v4, v8, vcc
	v_lshlrev_b32_e32 v6, 2, v6
	ds_bpermute_b32 v8, v6, v7
	v_cmp_lt_i32_e32 vcc, v10, v9
	s_waitcnt lgkmcnt(0)
	v_max_f32_e32 v8, v8, v8
	v_max_f32_e32 v8, v7, v8
	v_cndmask_b32_e32 v7, v4, v10, vcc
	v_lshlrev_b32_e32 v21, 2, v7
	ds_bpermute_b32 v10, v21, v8
	v_cmp_eq_u32_e32 vcc, 0, v20
	v_lshlrev_b32_e32 v7, 2, v33
	s_and_saveexec_b64 s[0:1], vcc
	s_cbranch_execz .LBB355_182
; %bb.181:
	s_waitcnt lgkmcnt(0)
	v_max_f32_e32 v10, v10, v10
	v_max_f32_e32 v8, v8, v8
	;; [unrolled: 1-line block ×3, first 2 shown]
	ds_write_b32 v7, v8 offset:160
.LBB355_182:
	s_or_b64 exec, exec, s[0:1]
	v_cmp_gt_u32_e64 s[0:1], 2, v20
	s_waitcnt lgkmcnt(0)
	v_mov_b32_e32 v10, 0xff7fffff
	v_lshlrev_b32_e32 v8, 2, v20
	s_barrier
	s_and_saveexec_b64 s[6:7], s[0:1]
	s_cbranch_execz .LBB355_184
; %bb.183:
	ds_read_b32 v10, v8 offset:160
.LBB355_184:
	s_or_b64 exec, exec, s[6:7]
	v_xor_b32_e32 v11, 1, v4
	v_cmp_lt_i32_e64 s[6:7], v11, v9
	s_sub_i32 s3, s20, s52
	s_lshl_b32 s3, s3, 5
	v_cndmask_b32_e64 v9, v4, v11, s[6:7]
	v_lshlrev_b32_e32 v24, 2, v9
	s_waitcnt lgkmcnt(0)
	ds_bpermute_b32 v9, v24, v10
	v_max_f32_e32 v10, v10, v10
	v_lshlrev_b32_e32 v4, 2, v4
	s_add_i32 s3, s3, s5
	s_min_i32 s43, s3, s33
	s_waitcnt lgkmcnt(0)
	v_max_f32_e32 v9, v9, v9
	v_max_f32_e32 v10, v10, v9
	v_and_b32_e32 v9, 0x100, v4
	ds_bpermute_b32 v4, v9, v10
	s_sub_i32 s3, s43, s5
	v_cmp_gt_i32_e64 s[6:7], s3, v0
	v_mov_b32_e32 v10, 0
	s_and_saveexec_b64 s[12:13], s[6:7]
	s_cbranch_execz .LBB355_188
; %bb.185:
	v_mov_b32_e32 v10, 0xb0
	v_lshl_add_u32 v11, v0, 2, v10
	s_mov_b64 s[18:19], 0
	v_mov_b32_e32 v10, 0
	v_mov_b32_e32 v12, v0
.LBB355_186:                            ; =>This Inner Loop Header: Depth=1
	ds_read_b32 v13, v11
	v_add_u32_e32 v12, 0x80, v12
	v_cmp_le_i32_e64 s[10:11], s3, v12
	s_or_b64 s[18:19], s[10:11], s[18:19]
	s_waitcnt lgkmcnt(0)
	v_sub_f32_e32 v13, v13, v4
	v_mul_f32_e32 v13, 0x3fb8aa3b, v13
	v_exp_f32_e32 v13, v13
	ds_write_b32 v11, v13
	v_add_f32_e32 v10, v10, v13
	v_add_u32_e32 v11, 0x200, v11
	s_andn2_b64 exec, exec, s[18:19]
	s_cbranch_execnz .LBB355_186
; %bb.187:
	s_or_b64 exec, exec, s[18:19]
.LBB355_188:
	s_or_b64 exec, exec, s[12:13]
	ds_bpermute_b32 v2, v2, v10
	s_waitcnt lgkmcnt(0)
	v_add_f32_e32 v2, v10, v2
	ds_bpermute_b32 v3, v3, v2
	s_waitcnt lgkmcnt(0)
	v_add_f32_e32 v2, v2, v3
	;; [unrolled: 3-line block ×6, first 2 shown]
	s_and_saveexec_b64 s[10:11], vcc
	s_cbranch_execz .LBB355_190
; %bb.189:
	ds_write_b32 v7, v2 offset:168
.LBB355_190:
	s_or_b64 exec, exec, s[10:11]
	s_waitcnt lgkmcnt(0)
	s_barrier
	s_and_saveexec_b64 s[10:11], s[0:1]
	s_cbranch_execz .LBB355_192
; %bb.191:
	ds_read_b32 v2, v8 offset:168
.LBB355_192:
	s_or_b64 exec, exec, s[10:11]
	s_waitcnt lgkmcnt(0)
	ds_bpermute_b32 v3, v24, v2
	s_waitcnt lgkmcnt(0)
	v_add_f32_e32 v2, v2, v3
	ds_bpermute_b32 v5, v9, v2
	s_and_saveexec_b64 s[0:1], s[6:7]
	s_cbranch_execz .LBB355_205
; %bb.193:
	s_waitcnt lgkmcnt(0)
	v_add_f32_e32 v2, 0x358637bd, v5
	v_div_scale_f32 v3, s[6:7], v2, v2, 1.0
	v_rcp_f32_e32 v6, v3
	v_div_scale_f32 v7, vcc, 1.0, v2, 1.0
	s_mov_b64 s[10:11], -1
	v_fma_f32 v8, -v3, v6, 1.0
	v_fmac_f32_e32 v6, v8, v6
	v_mul_f32_e32 v8, v7, v6
	v_fma_f32 v9, -v3, v8, v7
	v_fmac_f32_e32 v8, v9, v6
	v_fma_f32 v3, -v3, v8, v7
	v_div_fmas_f32 v3, v3, v6, v8
	v_div_fixup_f32 v2, v3, v2, 1.0
	v_xad_u32 v3, v0, -1, s43
	v_subrev_u32_e32 v6, s5, v3
	s_movk_i32 s5, 0x7f
	v_cmp_lt_u32_e32 vcc, s5, v6
	v_mov_b32_e32 v3, v0
	s_and_saveexec_b64 s[6:7], vcc
	s_cbranch_execz .LBB355_202
; %bb.194:
	v_lshrrev_b32_e32 v6, 7, v6
	v_add_u32_e32 v8, -1, v6
	v_lshrrev_b32_e32 v7, 1, v8
	v_mov_b32_e32 v3, v2
	v_add_u32_e32 v7, 1, v7
	v_cmp_lt_u32_e32 vcc, 13, v8
	v_mov_b32_e32 v10, 0
	s_and_saveexec_b64 s[10:11], vcc
	s_cbranch_execz .LBB355_198
; %bb.195:
	v_mov_b32_e32 v9, 0xb0
	v_and_b32_e32 v8, -8, v7
	v_lshl_add_u32 v9, v0, 2, v9
	s_mov_b32 s5, 0
	s_mov_b64 s[12:13], 0
.LBB355_196:                            ; =>This Inner Loop Header: Depth=1
	ds_read2st64_b32 v[10:11], v9 offset1:2
	ds_read2st64_b32 v[12:13], v9 offset0:4 offset1:6
	ds_read2st64_b32 v[14:15], v9 offset0:8 offset1:10
	;; [unrolled: 1-line block ×3, first 2 shown]
	v_add_u32_e32 v8, -8, v8
	s_waitcnt lgkmcnt(3)
	v_pk_mul_f32 v[10:11], v[2:3], v[10:11]
	s_waitcnt lgkmcnt(2)
	v_pk_mul_f32 v[12:13], v[2:3], v[12:13]
	ds_write2st64_b32 v9, v10, v11 offset1:2
	ds_write2st64_b32 v9, v12, v13 offset0:4 offset1:6
	ds_read2st64_b32 v[12:13], v9 offset0:16 offset1:18
	s_waitcnt lgkmcnt(4)
	v_pk_mul_f32 v[10:11], v[2:3], v[14:15]
	ds_write2st64_b32 v9, v10, v11 offset0:8 offset1:10
	s_waitcnt lgkmcnt(4)
	v_pk_mul_f32 v[10:11], v[2:3], v[16:17]
	ds_write2st64_b32 v9, v10, v11 offset0:12 offset1:14
	ds_read2st64_b32 v[10:11], v9 offset0:20 offset1:22
	s_waitcnt lgkmcnt(3)
	v_pk_mul_f32 v[12:13], v[2:3], v[12:13]
	ds_read2st64_b32 v[14:15], v9 offset0:24 offset1:26
	ds_write2st64_b32 v9, v12, v13 offset0:16 offset1:18
	ds_read2st64_b32 v[12:13], v9 offset0:28 offset1:30
	s_waitcnt lgkmcnt(3)
	v_pk_mul_f32 v[10:11], v[2:3], v[10:11]
	ds_write2st64_b32 v9, v10, v11 offset0:20 offset1:22
	s_waitcnt lgkmcnt(3)
	v_pk_mul_f32 v[10:11], v[2:3], v[14:15]
	ds_write2st64_b32 v9, v10, v11 offset0:24 offset1:26
	s_waitcnt lgkmcnt(2)
	v_pk_mul_f32 v[10:11], v[2:3], v[12:13]
	s_add_i32 s5, s5, 16
	v_cmp_eq_u32_e32 vcc, 0, v8
	ds_write2st64_b32 v9, v10, v11 offset0:28 offset1:30
	v_add_u32_e32 v9, 0x2000, v9
	s_or_b64 s[12:13], vcc, s[12:13]
	v_mov_b32_e32 v10, s5
	s_andn2_b64 exec, exec, s[12:13]
	s_cbranch_execnz .LBB355_196
; %bb.197:
	s_or_b64 exec, exec, s[12:13]
.LBB355_198:
	s_or_b64 exec, exec, s[10:11]
	v_and_b32_e32 v7, 7, v7
	v_cmp_ne_u32_e32 vcc, 0, v7
	s_and_saveexec_b64 s[10:11], vcc
	s_cbranch_execz .LBB355_201
; %bb.199:
	v_lshlrev_b32_e32 v8, 9, v10
	v_lshlrev_b32_e32 v9, 2, v0
	s_movk_i32 s5, 0xb0
	v_add3_u32 v8, v8, v9, s5
	s_mov_b64 s[12:13], 0
.LBB355_200:                            ; =>This Inner Loop Header: Depth=1
	ds_read2st64_b32 v[10:11], v8 offset1:2
	v_add_u32_e32 v7, -1, v7
	v_cmp_eq_u32_e32 vcc, 0, v7
	s_or_b64 s[12:13], vcc, s[12:13]
	s_waitcnt lgkmcnt(0)
	v_pk_mul_f32 v[10:11], v[2:3], v[10:11]
	ds_write2st64_b32 v8, v10, v11 offset1:2
	v_add_u32_e32 v8, 0x400, v8
	s_andn2_b64 exec, exec, s[12:13]
	s_cbranch_execnz .LBB355_200
.LBB355_201:
	s_or_b64 exec, exec, s[10:11]
	v_add_u32_e32 v6, 1, v6
	v_and_b32_e32 v7, 0x3fffffe, v6
	v_cmp_ne_u32_e32 vcc, v6, v7
	v_lshl_add_u32 v3, v7, 7, v0
	s_orn2_b64 s[10:11], vcc, exec
.LBB355_202:
	s_or_b64 exec, exec, s[6:7]
	s_and_b64 exec, exec, s[10:11]
	s_cbranch_execz .LBB355_205
; %bb.203:
	v_mov_b32_e32 v6, 0xb0
	v_lshl_add_u32 v6, v3, 2, v6
	s_mov_b64 s[6:7], 0
.LBB355_204:                            ; =>This Inner Loop Header: Depth=1
	ds_read_b32 v7, v6
	v_add_u32_e32 v3, 0x80, v3
	v_cmp_le_i32_e32 vcc, s3, v3
	s_or_b64 s[6:7], vcc, s[6:7]
	s_waitcnt lgkmcnt(0)
	v_mul_f32_e32 v7, v2, v7
	ds_write_b32 v6, v7
	v_add_u32_e32 v6, 0x200, v6
	s_andn2_b64 exec, exec, s[6:7]
	s_cbranch_execnz .LBB355_204
.LBB355_205:
	s_or_b64 exec, exec, s[0:1]
	v_cmp_eq_u32_e32 vcc, 0, v0
	s_waitcnt lgkmcnt(0)
	s_barrier
	s_and_saveexec_b64 s[0:1], vcc
	s_cbranch_execz .LBB355_207
; %bb.206:
	s_mul_i32 s3, s16, s28
	s_mul_i32 s6, s3, s29
	s_ashr_i32 s7, s6, 31
	s_lshl_b64 s[6:7], s[6:7], 2
	s_add_u32 s5, s26, s6
	s_mul_i32 s2, s16, s2
	s_addc_u32 s10, s27, s7
	s_ashr_i32 s3, s2, 31
	s_lshl_b64 s[2:3], s[2:3], 2
	s_add_u32 s12, s5, s2
	s_addc_u32 s13, s10, s3
	s_ashr_i32 s5, s4, 31
	s_lshl_b64 s[10:11], s[4:5], 2
	s_add_u32 s12, s12, s10
	s_addc_u32 s13, s13, s11
	s_add_u32 s5, s24, s6
	s_addc_u32 s6, s25, s7
	;; [unrolled: 2-line block ×3, first 2 shown]
	s_add_u32 s2, s2, s10
	v_mov_b32_e32 v2, 0
	s_addc_u32 s3, s3, s11
	global_store_dword v2, v4, s[12:13]
	global_store_dword v2, v5, s[2:3]
.LBB355_207:
	s_or_b64 exec, exec, s[0:1]
	v_mov_b32_e32 v14, 0
	v_and_b32_e32 v25, 3, v0
	v_mov_b32_e32 v11, 0
	v_mov_b32_e32 v10, 0
	;; [unrolled: 1-line block ×4, first 2 shown]
	s_and_saveexec_b64 s[2:3], s[8:9]
	s_cbranch_execz .LBB355_575
; %bb.208:
	s_sub_i32 s5, s50, s21
	s_ashr_i32 s1, s51, 31
	s_add_u32 s0, s40, s51
	s_addc_u32 s1, s41, s1
	s_abs_i32 s12, s22
	v_cvt_f32_u32_e32 v2, s12
	s_sub_i32 s6, 0, s12
	v_and_b32_e32 v14, 0x1f8, v32
	v_mov_b32_e32 v15, 0
	v_rcp_iflag_f32_e32 v2, v2
	s_mov_b32 s13, s17
	s_add_i32 s17, s49, -1
	v_lshl_add_u64 v[16:17], s[0:1], 0, v[14:15]
	v_mul_f32_e32 v2, 0x4f7ffffe, v2
	v_cvt_u32_f32_e32 v2, v2
	s_lshl_b64 s[0:1], s[38:39], 2
	s_add_u32 s0, s36, s0
	s_addc_u32 s1, s37, s1
	v_mul_lo_u32 v3, s6, v2
	v_mul_hi_u32 v3, v2, v3
	v_add_u32_e32 v27, v2, v3
	v_lshlrev_b32_e32 v2, 5, v25
	v_lshl_or_b32 v2, v33, 7, v2
	v_and_b32_e32 v26, 24, v32
	v_lshl_add_u64 v[18:19], v[22:23], 2, s[0:1]
	v_add_u32_e32 v23, 0xb0, v2
	s_mov_b64 s[6:7], 0
	s_mov_b32 s18, 0x7f800000
	s_movk_i32 s19, 0x7fff
	v_mov_b32_e32 v12, 0
	v_mov_b32_e32 v13, 0
	;; [unrolled: 1-line block ×5, first 2 shown]
	s_branch .LBB355_211
.LBB355_209:                            ;   in Loop: Header=BB355_211 Depth=1
	s_or_b64 exec, exec, s[0:1]
	v_and_b32_e32 v43, 0xffff0000, v65
	v_and_b32_e32 v42, 0xffff0000, v5
	;; [unrolled: 1-line block ×8, first 2 shown]
	v_pk_add_f32 v[4:5], v[4:5], v[42:43]
	v_pk_add_f32 v[38:39], v[40:41], v[38:39]
	v_add_f32_e32 v4, v4, v5
	v_add_f32_e32 v4, v4, v38
	;; [unrolled: 1-line block ×3, first 2 shown]
	v_and_b32_e32 v41, 0xffff0000, v59
	v_and_b32_e32 v40, 0xffff0000, v57
	;; [unrolled: 1-line block ×4, first 2 shown]
	v_add_f32_e32 v11, v11, v4
	v_and_b32_e32 v5, 0xffff0000, v63
	v_and_b32_e32 v4, 0xffff0000, v61
	;; [unrolled: 1-line block ×4, first 2 shown]
	v_pk_add_f32 v[40:41], v[42:43], v[40:41]
	v_pk_add_f32 v[4:5], v[38:39], v[4:5]
	v_add_f32_e32 v38, v40, v41
	v_add_f32_e32 v4, v38, v4
	;; [unrolled: 1-line block ×3, first 2 shown]
	v_and_b32_e32 v41, 0xffff0000, v51
	v_and_b32_e32 v40, 0xffff0000, v49
	;; [unrolled: 1-line block ×4, first 2 shown]
	v_add_f32_e32 v10, v10, v4
	v_and_b32_e32 v5, 0xffff0000, v55
	v_and_b32_e32 v4, 0xffff0000, v53
	;; [unrolled: 1-line block ×4, first 2 shown]
	v_pk_add_f32 v[40:41], v[42:43], v[40:41]
	v_pk_add_f32 v[4:5], v[38:39], v[4:5]
	v_add_f32_e32 v38, v40, v41
	v_add_f32_e32 v4, v38, v4
	;; [unrolled: 1-line block ×4, first 2 shown]
	v_and_b32_e32 v5, 0xffff0000, v31
	v_and_b32_e32 v4, 0xffff0000, v29
	;; [unrolled: 1-line block ×8, first 2 shown]
	v_pk_add_f32 v[6:7], v[6:7], v[30:31]
	v_pk_add_f32 v[4:5], v[28:29], v[4:5]
	v_add_f32_e32 v6, v6, v7
	v_add_f32_e32 v4, v6, v4
	v_add_f32_e32 v4, v4, v5
	v_and_b32_e32 v9, 0xffff0000, v33
	v_and_b32_e32 v8, 0xffff0000, v3
	;; [unrolled: 1-line block ×4, first 2 shown]
	v_add_f32_e32 v12, v12, v4
	v_and_b32_e32 v5, 0xffff0000, v37
	v_and_b32_e32 v4, 0xffff0000, v35
	;; [unrolled: 1-line block ×4, first 2 shown]
	v_pk_add_f32 v[2:3], v[2:3], v[8:9]
	v_pk_add_f32 v[4:5], v[6:7], v[4:5]
	v_add_f32_e32 v2, v2, v3
	v_add_f32_e32 v2, v2, v4
	;; [unrolled: 1-line block ×4, first 2 shown]
.LBB355_210:                            ;   in Loop: Header=BB355_211 Depth=1
	s_or_b64 exec, exec, s[8:9]
	v_add_u32_e32 v22, 2, v22
	v_cmp_le_i32_e32 vcc, s20, v22
	v_lshl_add_u64 v[18:19], v[18:19], 0, 8
	v_add_u32_e32 v1, 64, v1
	s_or_b64 s[6:7], vcc, s[6:7]
	v_add_u32_e32 v23, 0x100, v23
	s_andn2_b64 exec, exec, s[6:7]
	s_cbranch_execz .LBB355_574
.LBB355_211:                            ; =>This Inner Loop Header: Depth=1
	v_sub_u32_e32 v3, 0, v1
	v_max_i32_e32 v3, v1, v3
	v_mul_hi_u32 v4, v3, s48
	v_mul_lo_u32 v5, v4, s31
	v_sub_u32_e32 v3, v3, v5
	v_add_u32_e32 v5, 1, v4
	v_cmp_le_u32_e32 vcc, s31, v3
	v_ashrrev_i32_e32 v2, 31, v1
	v_xor_b32_e32 v2, s23, v2
	v_cndmask_b32_e32 v4, v4, v5, vcc
	v_subrev_u32_e32 v5, s31, v3
	v_cndmask_b32_e32 v3, v3, v5, vcc
	v_add_u32_e32 v5, 1, v4
	v_cmp_le_u32_e32 vcc, s31, v3
	s_nop 1
	v_cndmask_b32_e32 v3, v4, v5, vcc
	v_xor_b32_e32 v3, v3, v2
	v_sub_u32_e32 v2, v3, v2
	v_add_u32_e32 v3, s42, v2
	v_sub_u32_e32 v5, 0, v3
	v_ashrrev_i32_e32 v4, 31, v3
	v_max_i32_e32 v3, v3, v5
	v_mul_hi_u32 v5, v3, v27
	v_mul_lo_u32 v5, v5, s12
	v_sub_u32_e32 v3, v3, v5
	v_subrev_u32_e32 v5, s12, v3
	v_cmp_le_u32_e32 vcc, s12, v3
	v_cmp_lt_i32_e64 s[0:1], s5, v2
	s_nop 0
	v_cndmask_b32_e32 v3, v3, v5, vcc
	v_subrev_u32_e32 v5, s12, v3
	v_cmp_le_u32_e32 vcc, s12, v3
	s_nop 1
	v_cndmask_b32_e32 v3, v3, v5, vcc
	v_xor_b32_e32 v3, v3, v4
	v_sub_u32_e32 v3, v3, v4
	v_cmp_eq_u32_e32 vcc, 0, v3
	s_or_b64 s[0:1], vcc, s[0:1]
	s_and_saveexec_b64 s[8:9], s[0:1]
	s_cbranch_execz .LBB355_210
; %bb.212:                              ;   in Loop: Header=BB355_211 Depth=1
	global_load_dword v32, v[18:19], off
	ds_read2_b64 v[6:9], v23 offset1:1
	ds_read2_b64 v[2:5], v23 offset0:2 offset1:3
                                        ; implicit-def: $vgpr40
	s_waitcnt lgkmcnt(1)
	v_and_b32_e32 v28, 0x7f800000, v6
	v_cmp_ne_u32_e32 vcc, s18, v28
	s_and_saveexec_b64 s[0:1], vcc
	s_xor_b64 s[0:1], exec, s[0:1]
; %bb.213:                              ;   in Loop: Header=BB355_211 Depth=1
	v_bfe_u32 v28, v6, 16, 1
	v_add3_u32 v40, v6, v28, s19
; %bb.214:                              ;   in Loop: Header=BB355_211 Depth=1
	s_andn2_saveexec_b64 s[0:1], s[0:1]
; %bb.215:                              ;   in Loop: Header=BB355_211 Depth=1
	v_or_b32_e32 v28, 0x10000, v6
	v_cmp_eq_u32_sdwa vcc, v6, v15 src0_sel:WORD_0 src1_sel:DWORD
	s_nop 1
	v_cndmask_b32_e32 v40, v28, v6, vcc
; %bb.216:                              ;   in Loop: Header=BB355_211 Depth=1
	s_or_b64 exec, exec, s[0:1]
	v_and_b32_e32 v6, 0x7f800000, v7
	v_cmp_ne_u32_e32 vcc, s18, v6
                                        ; implicit-def: $vgpr41
	s_and_saveexec_b64 s[0:1], vcc
	s_xor_b64 s[0:1], exec, s[0:1]
; %bb.217:                              ;   in Loop: Header=BB355_211 Depth=1
	v_bfe_u32 v6, v7, 16, 1
	v_add3_u32 v41, v7, v6, s19
; %bb.218:                              ;   in Loop: Header=BB355_211 Depth=1
	s_andn2_saveexec_b64 s[0:1], s[0:1]
; %bb.219:                              ;   in Loop: Header=BB355_211 Depth=1
	v_or_b32_e32 v6, 0x10000, v7
	v_cmp_eq_u32_sdwa vcc, v7, v15 src0_sel:WORD_0 src1_sel:DWORD
	s_nop 1
	v_cndmask_b32_e32 v41, v6, v7, vcc
; %bb.220:                              ;   in Loop: Header=BB355_211 Depth=1
	s_or_b64 exec, exec, s[0:1]
	v_and_b32_e32 v6, 0x7f800000, v8
	v_cmp_ne_u32_e32 vcc, s18, v6
                                        ; implicit-def: $vgpr42
	s_and_saveexec_b64 s[0:1], vcc
	s_xor_b64 s[0:1], exec, s[0:1]
; %bb.221:                              ;   in Loop: Header=BB355_211 Depth=1
	v_bfe_u32 v6, v8, 16, 1
	v_add3_u32 v42, v8, v6, s19
; %bb.222:                              ;   in Loop: Header=BB355_211 Depth=1
	s_andn2_saveexec_b64 s[0:1], s[0:1]
; %bb.223:                              ;   in Loop: Header=BB355_211 Depth=1
	v_or_b32_e32 v6, 0x10000, v8
	v_cmp_eq_u32_sdwa vcc, v8, v15 src0_sel:WORD_0 src1_sel:DWORD
	s_nop 1
	v_cndmask_b32_e32 v42, v6, v8, vcc
; %bb.224:                              ;   in Loop: Header=BB355_211 Depth=1
	s_or_b64 exec, exec, s[0:1]
	v_and_b32_e32 v6, 0x7f800000, v9
	v_cmp_ne_u32_e32 vcc, s18, v6
                                        ; implicit-def: $vgpr43
	s_and_saveexec_b64 s[0:1], vcc
	s_xor_b64 s[0:1], exec, s[0:1]
; %bb.225:                              ;   in Loop: Header=BB355_211 Depth=1
	v_bfe_u32 v6, v9, 16, 1
	v_add3_u32 v43, v9, v6, s19
                                        ; implicit-def: $vgpr6_vgpr7_vgpr8_vgpr9
; %bb.226:                              ;   in Loop: Header=BB355_211 Depth=1
	s_andn2_saveexec_b64 s[0:1], s[0:1]
; %bb.227:                              ;   in Loop: Header=BB355_211 Depth=1
	v_or_b32_e32 v6, 0x10000, v9
	v_cmp_eq_u32_sdwa vcc, v9, v15 src0_sel:WORD_0 src1_sel:DWORD
	s_nop 1
	v_cndmask_b32_e32 v43, v6, v9, vcc
; %bb.228:                              ;   in Loop: Header=BB355_211 Depth=1
	s_or_b64 exec, exec, s[0:1]
	s_waitcnt lgkmcnt(0)
	v_and_b32_e32 v6, 0x7f800000, v2
	v_cmp_ne_u32_e32 vcc, s18, v6
                                        ; implicit-def: $vgpr28
	s_and_saveexec_b64 s[0:1], vcc
	s_xor_b64 s[0:1], exec, s[0:1]
; %bb.229:                              ;   in Loop: Header=BB355_211 Depth=1
	v_bfe_u32 v6, v2, 16, 1
	v_add3_u32 v28, v2, v6, s19
; %bb.230:                              ;   in Loop: Header=BB355_211 Depth=1
	s_andn2_saveexec_b64 s[0:1], s[0:1]
; %bb.231:                              ;   in Loop: Header=BB355_211 Depth=1
	v_or_b32_e32 v6, 0x10000, v2
	v_cmp_eq_u32_sdwa vcc, v2, v15 src0_sel:WORD_0 src1_sel:DWORD
	s_nop 1
	v_cndmask_b32_e32 v28, v6, v2, vcc
; %bb.232:                              ;   in Loop: Header=BB355_211 Depth=1
	s_or_b64 exec, exec, s[0:1]
	v_and_b32_e32 v2, 0x7f800000, v3
	v_cmp_ne_u32_e32 vcc, s18, v2
                                        ; implicit-def: $vgpr29
	s_and_saveexec_b64 s[0:1], vcc
	s_xor_b64 s[0:1], exec, s[0:1]
; %bb.233:                              ;   in Loop: Header=BB355_211 Depth=1
	v_bfe_u32 v2, v3, 16, 1
	v_add3_u32 v29, v3, v2, s19
; %bb.234:                              ;   in Loop: Header=BB355_211 Depth=1
	s_andn2_saveexec_b64 s[0:1], s[0:1]
; %bb.235:                              ;   in Loop: Header=BB355_211 Depth=1
	v_or_b32_e32 v2, 0x10000, v3
	v_cmp_eq_u32_sdwa vcc, v3, v15 src0_sel:WORD_0 src1_sel:DWORD
	s_nop 1
	v_cndmask_b32_e32 v29, v2, v3, vcc
; %bb.236:                              ;   in Loop: Header=BB355_211 Depth=1
	s_or_b64 exec, exec, s[0:1]
	v_and_b32_e32 v2, 0x7f800000, v4
	v_cmp_ne_u32_e32 vcc, s18, v2
                                        ; implicit-def: $vgpr30
	s_and_saveexec_b64 s[0:1], vcc
	s_xor_b64 s[0:1], exec, s[0:1]
; %bb.237:                              ;   in Loop: Header=BB355_211 Depth=1
	v_bfe_u32 v2, v4, 16, 1
	v_add3_u32 v30, v4, v2, s19
; %bb.238:                              ;   in Loop: Header=BB355_211 Depth=1
	s_andn2_saveexec_b64 s[0:1], s[0:1]
; %bb.239:                              ;   in Loop: Header=BB355_211 Depth=1
	v_or_b32_e32 v2, 0x10000, v4
	v_cmp_eq_u32_sdwa vcc, v4, v15 src0_sel:WORD_0 src1_sel:DWORD
	s_nop 1
	v_cndmask_b32_e32 v30, v2, v4, vcc
; %bb.240:                              ;   in Loop: Header=BB355_211 Depth=1
	s_or_b64 exec, exec, s[0:1]
	v_and_b32_e32 v2, 0x7f800000, v5
	v_cmp_ne_u32_e32 vcc, s18, v2
                                        ; implicit-def: $vgpr31
	s_and_saveexec_b64 s[0:1], vcc
	s_xor_b64 s[0:1], exec, s[0:1]
; %bb.241:                              ;   in Loop: Header=BB355_211 Depth=1
	v_bfe_u32 v2, v5, 16, 1
	v_add3_u32 v31, v5, v2, s19
                                        ; implicit-def: $vgpr2_vgpr3_vgpr4_vgpr5
; %bb.242:                              ;   in Loop: Header=BB355_211 Depth=1
	s_andn2_saveexec_b64 s[0:1], s[0:1]
; %bb.243:                              ;   in Loop: Header=BB355_211 Depth=1
	v_or_b32_e32 v2, 0x10000, v5
	v_cmp_eq_u32_sdwa vcc, v5, v15 src0_sel:WORD_0 src1_sel:DWORD
	s_nop 1
	v_cndmask_b32_e32 v31, v2, v5, vcc
; %bb.244:                              ;   in Loop: Header=BB355_211 Depth=1
	s_or_b64 exec, exec, s[0:1]
	s_waitcnt vmcnt(0)
	v_mad_i64_i32 v[2:3], s[0:1], v32, s13, v[16:17]
	global_load_dwordx2 v[4:5], v[2:3], off
	s_load_dword s21, s[14:15], 0x0
	s_waitcnt vmcnt(0)
	v_and_b32_e32 v6, 0xff, v4
	v_cvt_f32_fp8_sdwa v6, v6 src0_sel:BYTE_0
	s_waitcnt lgkmcnt(0)
	v_mul_f32_e32 v7, s21, v6
	v_and_b32_e32 v6, 0x7f800000, v7
	v_cmp_ne_u32_e32 vcc, s18, v6
                                        ; implicit-def: $vgpr6
	s_and_saveexec_b64 s[0:1], vcc
	s_xor_b64 s[0:1], exec, s[0:1]
; %bb.245:                              ;   in Loop: Header=BB355_211 Depth=1
	v_bfe_u32 v6, v7, 16, 1
	v_add3_u32 v6, v7, v6, s19
                                        ; implicit-def: $vgpr7
; %bb.246:                              ;   in Loop: Header=BB355_211 Depth=1
	s_andn2_saveexec_b64 s[0:1], s[0:1]
; %bb.247:                              ;   in Loop: Header=BB355_211 Depth=1
	v_or_b32_e32 v6, 0x10000, v7
	v_cmp_eq_u32_sdwa vcc, v7, v15 src0_sel:WORD_0 src1_sel:DWORD
	s_nop 1
	v_cndmask_b32_e32 v6, v6, v7, vcc
; %bb.248:                              ;   in Loop: Header=BB355_211 Depth=1
	s_or_b64 exec, exec, s[0:1]
	v_bfe_u32 v7, v4, 8, 8
	v_cvt_f32_fp8_sdwa v7, v7 src0_sel:BYTE_0
	s_nop 0
	v_mul_f32_e32 v8, s21, v7
	v_and_b32_e32 v7, 0x7f800000, v8
	v_cmp_ne_u32_e32 vcc, s18, v7
                                        ; implicit-def: $vgpr7
	s_and_saveexec_b64 s[0:1], vcc
	s_xor_b64 s[0:1], exec, s[0:1]
; %bb.249:                              ;   in Loop: Header=BB355_211 Depth=1
	v_bfe_u32 v7, v8, 16, 1
	v_add3_u32 v7, v8, v7, s19
                                        ; implicit-def: $vgpr8
; %bb.250:                              ;   in Loop: Header=BB355_211 Depth=1
	s_andn2_saveexec_b64 s[0:1], s[0:1]
; %bb.251:                              ;   in Loop: Header=BB355_211 Depth=1
	v_or_b32_e32 v7, 0x10000, v8
	v_cmp_eq_u32_sdwa vcc, v8, v15 src0_sel:WORD_0 src1_sel:DWORD
	s_nop 1
	v_cndmask_b32_e32 v7, v7, v8, vcc
; %bb.252:                              ;   in Loop: Header=BB355_211 Depth=1
	s_or_b64 exec, exec, s[0:1]
	v_bfe_u32 v8, v4, 16, 8
	v_cvt_f32_fp8_sdwa v8, v8 src0_sel:BYTE_0
	s_nop 0
	v_mul_f32_e32 v9, s21, v8
	v_and_b32_e32 v8, 0x7f800000, v9
	v_cmp_ne_u32_e32 vcc, s18, v8
                                        ; implicit-def: $vgpr8
	s_and_saveexec_b64 s[0:1], vcc
	s_xor_b64 s[0:1], exec, s[0:1]
; %bb.253:                              ;   in Loop: Header=BB355_211 Depth=1
	v_bfe_u32 v8, v9, 16, 1
	v_add3_u32 v8, v9, v8, s19
                                        ; implicit-def: $vgpr9
; %bb.254:                              ;   in Loop: Header=BB355_211 Depth=1
	s_andn2_saveexec_b64 s[0:1], s[0:1]
; %bb.255:                              ;   in Loop: Header=BB355_211 Depth=1
	v_or_b32_e32 v8, 0x10000, v9
	v_cmp_eq_u32_sdwa vcc, v9, v15 src0_sel:WORD_0 src1_sel:DWORD
	s_nop 1
	v_cndmask_b32_e32 v8, v8, v9, vcc
; %bb.256:                              ;   in Loop: Header=BB355_211 Depth=1
	s_or_b64 exec, exec, s[0:1]
	v_lshrrev_b32_e32 v4, 24, v4
	v_cvt_f32_fp8_sdwa v4, v4 src0_sel:BYTE_0
	s_nop 0
	v_mul_f32_e32 v9, s21, v4
	v_and_b32_e32 v4, 0x7f800000, v9
	v_cmp_ne_u32_e32 vcc, s18, v4
                                        ; implicit-def: $vgpr4
	s_and_saveexec_b64 s[0:1], vcc
	s_xor_b64 s[0:1], exec, s[0:1]
; %bb.257:                              ;   in Loop: Header=BB355_211 Depth=1
	v_bfe_u32 v4, v9, 16, 1
	v_add3_u32 v4, v9, v4, s19
                                        ; implicit-def: $vgpr9
; %bb.258:                              ;   in Loop: Header=BB355_211 Depth=1
	s_andn2_saveexec_b64 s[0:1], s[0:1]
; %bb.259:                              ;   in Loop: Header=BB355_211 Depth=1
	v_or_b32_e32 v4, 0x10000, v9
	v_cmp_eq_u32_sdwa vcc, v9, v15 src0_sel:WORD_0 src1_sel:DWORD
	s_nop 1
	v_cndmask_b32_e32 v4, v4, v9, vcc
; %bb.260:                              ;   in Loop: Header=BB355_211 Depth=1
	s_or_b64 exec, exec, s[0:1]
	v_and_b32_e32 v9, 0xff, v5
	v_cvt_f32_fp8_sdwa v9, v9 src0_sel:BYTE_0
	s_nop 0
	v_mul_f32_e32 v32, s21, v9
	v_and_b32_e32 v9, 0x7f800000, v32
	v_cmp_ne_u32_e32 vcc, s18, v9
                                        ; implicit-def: $vgpr9
	s_and_saveexec_b64 s[0:1], vcc
	s_xor_b64 s[0:1], exec, s[0:1]
; %bb.261:                              ;   in Loop: Header=BB355_211 Depth=1
	v_bfe_u32 v9, v32, 16, 1
	v_add3_u32 v9, v32, v9, s19
                                        ; implicit-def: $vgpr32
; %bb.262:                              ;   in Loop: Header=BB355_211 Depth=1
	s_andn2_saveexec_b64 s[0:1], s[0:1]
; %bb.263:                              ;   in Loop: Header=BB355_211 Depth=1
	v_or_b32_e32 v9, 0x10000, v32
	v_cmp_eq_u32_sdwa vcc, v32, v15 src0_sel:WORD_0 src1_sel:DWORD
	s_nop 1
	v_cndmask_b32_e32 v9, v9, v32, vcc
; %bb.264:                              ;   in Loop: Header=BB355_211 Depth=1
	s_or_b64 exec, exec, s[0:1]
	v_bfe_u32 v32, v5, 8, 8
	v_cvt_f32_fp8_sdwa v32, v32 src0_sel:BYTE_0
	s_nop 0
	v_mul_f32_e32 v32, s21, v32
	v_and_b32_e32 v33, 0x7f800000, v32
	v_cmp_ne_u32_e32 vcc, s18, v33
                                        ; implicit-def: $vgpr33
	s_and_saveexec_b64 s[0:1], vcc
	s_xor_b64 s[0:1], exec, s[0:1]
; %bb.265:                              ;   in Loop: Header=BB355_211 Depth=1
	v_bfe_u32 v33, v32, 16, 1
	v_add3_u32 v33, v32, v33, s19
                                        ; implicit-def: $vgpr32
; %bb.266:                              ;   in Loop: Header=BB355_211 Depth=1
	s_andn2_saveexec_b64 s[0:1], s[0:1]
; %bb.267:                              ;   in Loop: Header=BB355_211 Depth=1
	v_or_b32_e32 v33, 0x10000, v32
	v_cmp_eq_u32_sdwa vcc, v32, v15 src0_sel:WORD_0 src1_sel:DWORD
	s_nop 1
	v_cndmask_b32_e32 v33, v33, v32, vcc
; %bb.268:                              ;   in Loop: Header=BB355_211 Depth=1
	s_or_b64 exec, exec, s[0:1]
	v_bfe_u32 v32, v5, 16, 8
	v_cvt_f32_fp8_sdwa v32, v32 src0_sel:BYTE_0
	s_nop 0
	v_mul_f32_e32 v32, s21, v32
	v_and_b32_e32 v34, 0x7f800000, v32
	v_cmp_ne_u32_e32 vcc, s18, v34
                                        ; implicit-def: $vgpr34
	s_and_saveexec_b64 s[0:1], vcc
	s_xor_b64 s[0:1], exec, s[0:1]
; %bb.269:                              ;   in Loop: Header=BB355_211 Depth=1
	v_bfe_u32 v34, v32, 16, 1
	v_add3_u32 v34, v32, v34, s19
                                        ; implicit-def: $vgpr32
; %bb.270:                              ;   in Loop: Header=BB355_211 Depth=1
	s_andn2_saveexec_b64 s[0:1], s[0:1]
; %bb.271:                              ;   in Loop: Header=BB355_211 Depth=1
	v_or_b32_e32 v34, 0x10000, v32
	v_cmp_eq_u32_sdwa vcc, v32, v15 src0_sel:WORD_0 src1_sel:DWORD
	s_nop 1
	v_cndmask_b32_e32 v34, v34, v32, vcc
; %bb.272:                              ;   in Loop: Header=BB355_211 Depth=1
	s_or_b64 exec, exec, s[0:1]
	v_lshrrev_b32_e32 v5, 24, v5
	v_cvt_f32_fp8_sdwa v5, v5 src0_sel:BYTE_0
                                        ; implicit-def: $vgpr35
	s_nop 0
	v_mul_f32_e32 v5, s21, v5
	v_and_b32_e32 v32, 0x7f800000, v5
	v_cmp_ne_u32_e32 vcc, s18, v32
	s_and_saveexec_b64 s[0:1], vcc
	s_xor_b64 s[0:1], exec, s[0:1]
; %bb.273:                              ;   in Loop: Header=BB355_211 Depth=1
	v_bfe_u32 v32, v5, 16, 1
	v_add3_u32 v35, v5, v32, s19
                                        ; implicit-def: $vgpr5
; %bb.274:                              ;   in Loop: Header=BB355_211 Depth=1
	s_andn2_saveexec_b64 s[0:1], s[0:1]
; %bb.275:                              ;   in Loop: Header=BB355_211 Depth=1
	v_or_b32_e32 v32, 0x10000, v5
	v_cmp_eq_u32_sdwa vcc, v5, v15 src0_sel:WORD_0 src1_sel:DWORD
	s_nop 1
	v_cndmask_b32_e32 v35, v32, v5, vcc
; %bb.276:                              ;   in Loop: Header=BB355_211 Depth=1
	s_or_b64 exec, exec, s[0:1]
	v_add_u32_e32 v32, v26, v1
	v_cmp_eq_u32_e32 vcc, s17, v22
	v_lshrrev_b32_e32 v46, 16, v33
	v_lshrrev_b32_e32 v45, 16, v9
	;; [unrolled: 1-line block ×8, first 2 shown]
	v_add_u32_e32 v39, 1, v32
	v_add_u32_e32 v38, 2, v32
	;; [unrolled: 1-line block ×7, first 2 shown]
	s_and_saveexec_b64 s[10:11], vcc
	s_cbranch_execz .LBB355_278
; %bb.277:                              ;   in Loop: Header=BB355_211 Depth=1
	v_cmp_gt_i32_e64 s[0:1], s33, v32
	s_nop 1
	v_cndmask_b32_e64 v6, 0, v6, s[0:1]
	v_cmp_gt_i32_e64 s[0:1], s33, v39
	s_nop 1
	v_cndmask_b32_e64 v7, 0, v7, s[0:1]
	;; [unrolled: 3-line block ×8, first 2 shown]
.LBB355_278:                            ;   in Loop: Header=BB355_211 Depth=1
	s_or_b64 exec, exec, s[10:11]
	v_and_b32_e32 v40, 0xffff0000, v40
	v_lshlrev_b32_e32 v6, 16, v6
	v_mul_f32_e32 v44, v40, v6
	v_and_b32_e32 v6, 0x7f800000, v44
	v_cmp_ne_u32_e64 s[0:1], s18, v6
                                        ; implicit-def: $vgpr6
	s_and_saveexec_b64 s[10:11], s[0:1]
	s_xor_b64 s[0:1], exec, s[10:11]
; %bb.279:                              ;   in Loop: Header=BB355_211 Depth=1
	v_bfe_u32 v6, v44, 16, 1
	v_add3_u32 v6, v44, v6, s19
                                        ; implicit-def: $vgpr44
; %bb.280:                              ;   in Loop: Header=BB355_211 Depth=1
	s_andn2_saveexec_b64 s[10:11], s[0:1]
; %bb.281:                              ;   in Loop: Header=BB355_211 Depth=1
	v_or_b32_e32 v6, 0x10000, v44
	v_cmp_eq_u32_sdwa s[0:1], v44, v15 src0_sel:WORD_0 src1_sel:DWORD
	s_nop 1
	v_cndmask_b32_e64 v6, v6, v44, s[0:1]
; %bb.282:                              ;   in Loop: Header=BB355_211 Depth=1
	s_or_b64 exec, exec, s[10:11]
	v_and_b32_e32 v41, 0xffff0000, v41
	v_lshlrev_b32_e32 v7, 16, v7
	v_mul_f32_e32 v44, v41, v7
	v_and_b32_e32 v7, 0x7f800000, v44
	v_cmp_ne_u32_e64 s[0:1], s18, v7
                                        ; implicit-def: $vgpr7
	s_and_saveexec_b64 s[10:11], s[0:1]
	s_xor_b64 s[0:1], exec, s[10:11]
; %bb.283:                              ;   in Loop: Header=BB355_211 Depth=1
	v_bfe_u32 v7, v44, 16, 1
	v_add3_u32 v7, v44, v7, s19
                                        ; implicit-def: $vgpr44
; %bb.284:                              ;   in Loop: Header=BB355_211 Depth=1
	s_andn2_saveexec_b64 s[10:11], s[0:1]
; %bb.285:                              ;   in Loop: Header=BB355_211 Depth=1
	v_or_b32_e32 v7, 0x10000, v44
	v_cmp_eq_u32_sdwa s[0:1], v44, v15 src0_sel:WORD_0 src1_sel:DWORD
	s_nop 1
	v_cndmask_b32_e64 v7, v7, v44, s[0:1]
; %bb.286:                              ;   in Loop: Header=BB355_211 Depth=1
	s_or_b64 exec, exec, s[10:11]
	v_and_b32_e32 v42, 0xffff0000, v42
	v_lshlrev_b32_e32 v8, 16, v8
	v_mul_f32_e32 v44, v42, v8
	v_and_b32_e32 v8, 0x7f800000, v44
	v_cmp_ne_u32_e64 s[0:1], s18, v8
                                        ; implicit-def: $vgpr8
	s_and_saveexec_b64 s[10:11], s[0:1]
	s_xor_b64 s[0:1], exec, s[10:11]
; %bb.287:                              ;   in Loop: Header=BB355_211 Depth=1
	v_bfe_u32 v8, v44, 16, 1
	v_add3_u32 v8, v44, v8, s19
                                        ; implicit-def: $vgpr44
; %bb.288:                              ;   in Loop: Header=BB355_211 Depth=1
	s_andn2_saveexec_b64 s[10:11], s[0:1]
; %bb.289:                              ;   in Loop: Header=BB355_211 Depth=1
	v_or_b32_e32 v8, 0x10000, v44
	v_cmp_eq_u32_sdwa s[0:1], v44, v15 src0_sel:WORD_0 src1_sel:DWORD
	s_nop 1
	v_cndmask_b32_e64 v8, v8, v44, s[0:1]
; %bb.290:                              ;   in Loop: Header=BB355_211 Depth=1
	s_or_b64 exec, exec, s[10:11]
	v_and_b32_e32 v43, 0xffff0000, v43
	v_lshlrev_b32_e32 v9, 16, v9
	v_mul_f32_e32 v44, v43, v9
	v_and_b32_e32 v9, 0x7f800000, v44
	v_cmp_ne_u32_e64 s[0:1], s18, v9
                                        ; implicit-def: $vgpr9
	s_and_saveexec_b64 s[10:11], s[0:1]
	s_xor_b64 s[0:1], exec, s[10:11]
; %bb.291:                              ;   in Loop: Header=BB355_211 Depth=1
	v_bfe_u32 v9, v44, 16, 1
	v_add3_u32 v9, v44, v9, s19
                                        ; implicit-def: $vgpr44
; %bb.292:                              ;   in Loop: Header=BB355_211 Depth=1
	s_andn2_saveexec_b64 s[10:11], s[0:1]
; %bb.293:                              ;   in Loop: Header=BB355_211 Depth=1
	v_or_b32_e32 v9, 0x10000, v44
	v_cmp_eq_u32_sdwa s[0:1], v44, v15 src0_sel:WORD_0 src1_sel:DWORD
	s_nop 1
	v_cndmask_b32_e64 v9, v9, v44, s[0:1]
; %bb.294:                              ;   in Loop: Header=BB355_211 Depth=1
	s_or_b64 exec, exec, s[10:11]
	v_and_b32_e32 v44, 0xffff0000, v28
	v_lshlrev_b32_e32 v28, 16, v45
	v_mul_f32_e32 v45, v44, v28
	v_and_b32_e32 v28, 0x7f800000, v45
	v_cmp_ne_u32_e64 s[0:1], s18, v28
                                        ; implicit-def: $vgpr28
	s_and_saveexec_b64 s[10:11], s[0:1]
	s_xor_b64 s[0:1], exec, s[10:11]
; %bb.295:                              ;   in Loop: Header=BB355_211 Depth=1
	v_bfe_u32 v28, v45, 16, 1
	v_add3_u32 v28, v45, v28, s19
                                        ; implicit-def: $vgpr45
; %bb.296:                              ;   in Loop: Header=BB355_211 Depth=1
	s_andn2_saveexec_b64 s[10:11], s[0:1]
; %bb.297:                              ;   in Loop: Header=BB355_211 Depth=1
	v_or_b32_e32 v28, 0x10000, v45
	v_cmp_eq_u32_sdwa s[0:1], v45, v15 src0_sel:WORD_0 src1_sel:DWORD
	s_nop 1
	v_cndmask_b32_e64 v28, v28, v45, s[0:1]
; %bb.298:                              ;   in Loop: Header=BB355_211 Depth=1
	s_or_b64 exec, exec, s[10:11]
	v_and_b32_e32 v45, 0xffff0000, v29
	v_lshlrev_b32_e32 v29, 16, v46
	v_mul_f32_e32 v46, v45, v29
	v_and_b32_e32 v29, 0x7f800000, v46
	v_cmp_ne_u32_e64 s[0:1], s18, v29
                                        ; implicit-def: $vgpr29
	s_and_saveexec_b64 s[10:11], s[0:1]
	s_xor_b64 s[0:1], exec, s[10:11]
; %bb.299:                              ;   in Loop: Header=BB355_211 Depth=1
	v_bfe_u32 v29, v46, 16, 1
	v_add3_u32 v29, v46, v29, s19
                                        ; implicit-def: $vgpr46
; %bb.300:                              ;   in Loop: Header=BB355_211 Depth=1
	s_andn2_saveexec_b64 s[10:11], s[0:1]
; %bb.301:                              ;   in Loop: Header=BB355_211 Depth=1
	v_or_b32_e32 v29, 0x10000, v46
	v_cmp_eq_u32_sdwa s[0:1], v46, v15 src0_sel:WORD_0 src1_sel:DWORD
	s_nop 1
	v_cndmask_b32_e64 v29, v29, v46, s[0:1]
; %bb.302:                              ;   in Loop: Header=BB355_211 Depth=1
	s_or_b64 exec, exec, s[10:11]
	v_and_b32_e32 v46, 0xffff0000, v30
	v_lshlrev_b32_e32 v5, 16, v5
	v_mul_f32_e32 v5, v46, v5
	v_and_b32_e32 v30, 0x7f800000, v5
	v_cmp_ne_u32_e64 s[0:1], s18, v30
                                        ; implicit-def: $vgpr30
	s_and_saveexec_b64 s[10:11], s[0:1]
	s_xor_b64 s[0:1], exec, s[10:11]
; %bb.303:                              ;   in Loop: Header=BB355_211 Depth=1
	v_bfe_u32 v30, v5, 16, 1
	v_add3_u32 v30, v5, v30, s19
                                        ; implicit-def: $vgpr5
; %bb.304:                              ;   in Loop: Header=BB355_211 Depth=1
	s_andn2_saveexec_b64 s[10:11], s[0:1]
; %bb.305:                              ;   in Loop: Header=BB355_211 Depth=1
	v_or_b32_e32 v30, 0x10000, v5
	v_cmp_eq_u32_sdwa s[0:1], v5, v15 src0_sel:WORD_0 src1_sel:DWORD
	s_nop 1
	v_cndmask_b32_e64 v30, v30, v5, s[0:1]
; %bb.306:                              ;   in Loop: Header=BB355_211 Depth=1
	s_or_b64 exec, exec, s[10:11]
	v_and_b32_e32 v47, 0xffff0000, v31
	v_lshlrev_b32_e32 v4, 16, v4
	v_mul_f32_e32 v4, v47, v4
	v_and_b32_e32 v5, 0x7f800000, v4
	v_cmp_ne_u32_e64 s[0:1], s18, v5
                                        ; implicit-def: $vgpr31
	s_and_saveexec_b64 s[10:11], s[0:1]
	s_xor_b64 s[0:1], exec, s[10:11]
; %bb.307:                              ;   in Loop: Header=BB355_211 Depth=1
	v_bfe_u32 v5, v4, 16, 1
	v_add3_u32 v31, v4, v5, s19
                                        ; implicit-def: $vgpr4
; %bb.308:                              ;   in Loop: Header=BB355_211 Depth=1
	s_andn2_saveexec_b64 s[10:11], s[0:1]
; %bb.309:                              ;   in Loop: Header=BB355_211 Depth=1
	v_or_b32_e32 v5, 0x10000, v4
	v_cmp_eq_u32_sdwa s[0:1], v4, v15 src0_sel:WORD_0 src1_sel:DWORD
	s_nop 1
	v_cndmask_b32_e64 v31, v5, v4, s[0:1]
; %bb.310:                              ;   in Loop: Header=BB355_211 Depth=1
	s_or_b64 exec, exec, s[10:11]
	global_load_dwordx2 v[4:5], v[2:3], off offset:512
	s_waitcnt vmcnt(0)
	v_and_b32_e32 v48, 0xff, v4
	v_cvt_f32_fp8_sdwa v48, v48 src0_sel:BYTE_0
	s_nop 0
	v_mul_f32_e32 v49, s21, v48
	v_and_b32_e32 v48, 0x7f800000, v49
	v_cmp_ne_u32_e64 s[0:1], s18, v48
                                        ; implicit-def: $vgpr48
	s_and_saveexec_b64 s[10:11], s[0:1]
	s_xor_b64 s[0:1], exec, s[10:11]
; %bb.311:                              ;   in Loop: Header=BB355_211 Depth=1
	v_bfe_u32 v48, v49, 16, 1
	v_add3_u32 v48, v49, v48, s19
                                        ; implicit-def: $vgpr49
; %bb.312:                              ;   in Loop: Header=BB355_211 Depth=1
	s_andn2_saveexec_b64 s[10:11], s[0:1]
; %bb.313:                              ;   in Loop: Header=BB355_211 Depth=1
	v_or_b32_e32 v48, 0x10000, v49
	v_cmp_eq_u32_sdwa s[0:1], v49, v15 src0_sel:WORD_0 src1_sel:DWORD
	s_nop 1
	v_cndmask_b32_e64 v48, v48, v49, s[0:1]
; %bb.314:                              ;   in Loop: Header=BB355_211 Depth=1
	s_or_b64 exec, exec, s[10:11]
	v_bfe_u32 v49, v4, 8, 8
	v_cvt_f32_fp8_sdwa v49, v49 src0_sel:BYTE_0
	s_nop 0
	v_mul_f32_e32 v50, s21, v49
	v_and_b32_e32 v49, 0x7f800000, v50
	v_cmp_ne_u32_e64 s[0:1], s18, v49
                                        ; implicit-def: $vgpr49
	s_and_saveexec_b64 s[10:11], s[0:1]
	s_xor_b64 s[0:1], exec, s[10:11]
; %bb.315:                              ;   in Loop: Header=BB355_211 Depth=1
	v_bfe_u32 v49, v50, 16, 1
	v_add3_u32 v49, v50, v49, s19
                                        ; implicit-def: $vgpr50
; %bb.316:                              ;   in Loop: Header=BB355_211 Depth=1
	s_andn2_saveexec_b64 s[10:11], s[0:1]
; %bb.317:                              ;   in Loop: Header=BB355_211 Depth=1
	v_or_b32_e32 v49, 0x10000, v50
	v_cmp_eq_u32_sdwa s[0:1], v50, v15 src0_sel:WORD_0 src1_sel:DWORD
	s_nop 1
	v_cndmask_b32_e64 v49, v49, v50, s[0:1]
; %bb.318:                              ;   in Loop: Header=BB355_211 Depth=1
	s_or_b64 exec, exec, s[10:11]
	v_bfe_u32 v50, v4, 16, 8
	v_cvt_f32_fp8_sdwa v50, v50 src0_sel:BYTE_0
	s_nop 0
	v_mul_f32_e32 v51, s21, v50
	v_and_b32_e32 v50, 0x7f800000, v51
	v_cmp_ne_u32_e64 s[0:1], s18, v50
                                        ; implicit-def: $vgpr50
	s_and_saveexec_b64 s[10:11], s[0:1]
	s_xor_b64 s[0:1], exec, s[10:11]
; %bb.319:                              ;   in Loop: Header=BB355_211 Depth=1
	v_bfe_u32 v50, v51, 16, 1
	v_add3_u32 v50, v51, v50, s19
                                        ; implicit-def: $vgpr51
; %bb.320:                              ;   in Loop: Header=BB355_211 Depth=1
	s_andn2_saveexec_b64 s[10:11], s[0:1]
; %bb.321:                              ;   in Loop: Header=BB355_211 Depth=1
	v_or_b32_e32 v50, 0x10000, v51
	v_cmp_eq_u32_sdwa s[0:1], v51, v15 src0_sel:WORD_0 src1_sel:DWORD
	s_nop 1
	v_cndmask_b32_e64 v50, v50, v51, s[0:1]
; %bb.322:                              ;   in Loop: Header=BB355_211 Depth=1
	s_or_b64 exec, exec, s[10:11]
	v_lshrrev_b32_e32 v4, 24, v4
	v_cvt_f32_fp8_sdwa v4, v4 src0_sel:BYTE_0
	s_nop 0
	v_mul_f32_e32 v51, s21, v4
	v_and_b32_e32 v4, 0x7f800000, v51
	v_cmp_ne_u32_e64 s[0:1], s18, v4
                                        ; implicit-def: $vgpr4
	s_and_saveexec_b64 s[10:11], s[0:1]
	s_xor_b64 s[0:1], exec, s[10:11]
; %bb.323:                              ;   in Loop: Header=BB355_211 Depth=1
	v_bfe_u32 v4, v51, 16, 1
	v_add3_u32 v4, v51, v4, s19
                                        ; implicit-def: $vgpr51
; %bb.324:                              ;   in Loop: Header=BB355_211 Depth=1
	s_andn2_saveexec_b64 s[10:11], s[0:1]
; %bb.325:                              ;   in Loop: Header=BB355_211 Depth=1
	v_or_b32_e32 v4, 0x10000, v51
	v_cmp_eq_u32_sdwa s[0:1], v51, v15 src0_sel:WORD_0 src1_sel:DWORD
	s_nop 1
	v_cndmask_b32_e64 v4, v4, v51, s[0:1]
; %bb.326:                              ;   in Loop: Header=BB355_211 Depth=1
	s_or_b64 exec, exec, s[10:11]
	v_and_b32_e32 v51, 0xff, v5
	v_cvt_f32_fp8_sdwa v51, v51 src0_sel:BYTE_0
	s_nop 0
	v_mul_f32_e32 v52, s21, v51
	v_and_b32_e32 v51, 0x7f800000, v52
	v_cmp_ne_u32_e64 s[0:1], s18, v51
                                        ; implicit-def: $vgpr51
	s_and_saveexec_b64 s[10:11], s[0:1]
	s_xor_b64 s[0:1], exec, s[10:11]
; %bb.327:                              ;   in Loop: Header=BB355_211 Depth=1
	v_bfe_u32 v51, v52, 16, 1
	v_add3_u32 v51, v52, v51, s19
                                        ; implicit-def: $vgpr52
; %bb.328:                              ;   in Loop: Header=BB355_211 Depth=1
	s_andn2_saveexec_b64 s[10:11], s[0:1]
; %bb.329:                              ;   in Loop: Header=BB355_211 Depth=1
	v_or_b32_e32 v51, 0x10000, v52
	v_cmp_eq_u32_sdwa s[0:1], v52, v15 src0_sel:WORD_0 src1_sel:DWORD
	s_nop 1
	v_cndmask_b32_e64 v51, v51, v52, s[0:1]
; %bb.330:                              ;   in Loop: Header=BB355_211 Depth=1
	s_or_b64 exec, exec, s[10:11]
	v_bfe_u32 v52, v5, 8, 8
	v_cvt_f32_fp8_sdwa v52, v52 src0_sel:BYTE_0
	s_nop 0
	v_mul_f32_e32 v53, s21, v52
	v_and_b32_e32 v52, 0x7f800000, v53
	v_cmp_ne_u32_e64 s[0:1], s18, v52
                                        ; implicit-def: $vgpr52
	s_and_saveexec_b64 s[10:11], s[0:1]
	s_xor_b64 s[0:1], exec, s[10:11]
; %bb.331:                              ;   in Loop: Header=BB355_211 Depth=1
	v_bfe_u32 v52, v53, 16, 1
	v_add3_u32 v52, v53, v52, s19
                                        ; implicit-def: $vgpr53
; %bb.332:                              ;   in Loop: Header=BB355_211 Depth=1
	s_andn2_saveexec_b64 s[10:11], s[0:1]
; %bb.333:                              ;   in Loop: Header=BB355_211 Depth=1
	v_or_b32_e32 v52, 0x10000, v53
	v_cmp_eq_u32_sdwa s[0:1], v53, v15 src0_sel:WORD_0 src1_sel:DWORD
	s_nop 1
	v_cndmask_b32_e64 v52, v52, v53, s[0:1]
; %bb.334:                              ;   in Loop: Header=BB355_211 Depth=1
	s_or_b64 exec, exec, s[10:11]
	v_bfe_u32 v53, v5, 16, 8
	v_cvt_f32_fp8_sdwa v53, v53 src0_sel:BYTE_0
	s_nop 0
	v_mul_f32_e32 v53, s21, v53
	v_and_b32_e32 v54, 0x7f800000, v53
	v_cmp_ne_u32_e64 s[0:1], s18, v54
                                        ; implicit-def: $vgpr54
	s_and_saveexec_b64 s[10:11], s[0:1]
	s_xor_b64 s[0:1], exec, s[10:11]
; %bb.335:                              ;   in Loop: Header=BB355_211 Depth=1
	v_bfe_u32 v54, v53, 16, 1
	v_add3_u32 v54, v53, v54, s19
                                        ; implicit-def: $vgpr53
; %bb.336:                              ;   in Loop: Header=BB355_211 Depth=1
	s_andn2_saveexec_b64 s[10:11], s[0:1]
; %bb.337:                              ;   in Loop: Header=BB355_211 Depth=1
	v_or_b32_e32 v54, 0x10000, v53
	v_cmp_eq_u32_sdwa s[0:1], v53, v15 src0_sel:WORD_0 src1_sel:DWORD
	s_nop 1
	v_cndmask_b32_e64 v54, v54, v53, s[0:1]
; %bb.338:                              ;   in Loop: Header=BB355_211 Depth=1
	s_or_b64 exec, exec, s[10:11]
	v_lshrrev_b32_e32 v5, 24, v5
	v_cvt_f32_fp8_sdwa v5, v5 src0_sel:BYTE_0
                                        ; implicit-def: $vgpr55
	s_nop 0
	v_mul_f32_e32 v5, s21, v5
	v_and_b32_e32 v53, 0x7f800000, v5
	v_cmp_ne_u32_e64 s[0:1], s18, v53
	s_and_saveexec_b64 s[10:11], s[0:1]
	s_xor_b64 s[0:1], exec, s[10:11]
; %bb.339:                              ;   in Loop: Header=BB355_211 Depth=1
	v_bfe_u32 v53, v5, 16, 1
	v_add3_u32 v55, v5, v53, s19
                                        ; implicit-def: $vgpr5
; %bb.340:                              ;   in Loop: Header=BB355_211 Depth=1
	s_andn2_saveexec_b64 s[10:11], s[0:1]
; %bb.341:                              ;   in Loop: Header=BB355_211 Depth=1
	v_or_b32_e32 v53, 0x10000, v5
	v_cmp_eq_u32_sdwa s[0:1], v5, v15 src0_sel:WORD_0 src1_sel:DWORD
	s_nop 1
	v_cndmask_b32_e64 v55, v53, v5, s[0:1]
; %bb.342:                              ;   in Loop: Header=BB355_211 Depth=1
	s_or_b64 exec, exec, s[10:11]
	v_lshrrev_b32_e32 v53, 16, v52
	v_lshrrev_b32_e32 v52, 16, v51
	;; [unrolled: 1-line block ×8, first 2 shown]
	s_and_saveexec_b64 s[10:11], vcc
	s_cbranch_execz .LBB355_344
; %bb.343:                              ;   in Loop: Header=BB355_211 Depth=1
	v_cmp_gt_i32_e64 s[0:1], s33, v32
	s_nop 1
	v_cndmask_b32_e64 v48, 0, v48, s[0:1]
	v_cmp_gt_i32_e64 s[0:1], s33, v39
	s_nop 1
	v_cndmask_b32_e64 v49, 0, v49, s[0:1]
	;; [unrolled: 3-line block ×8, first 2 shown]
.LBB355_344:                            ;   in Loop: Header=BB355_211 Depth=1
	s_or_b64 exec, exec, s[10:11]
	v_lshlrev_b32_e32 v48, 16, v48
	v_mul_f32_e32 v54, v40, v48
	v_and_b32_e32 v48, 0x7f800000, v54
	v_cmp_ne_u32_e64 s[0:1], s18, v48
                                        ; implicit-def: $vgpr48
	s_and_saveexec_b64 s[10:11], s[0:1]
	s_xor_b64 s[0:1], exec, s[10:11]
; %bb.345:                              ;   in Loop: Header=BB355_211 Depth=1
	v_bfe_u32 v48, v54, 16, 1
	v_add3_u32 v48, v54, v48, s19
                                        ; implicit-def: $vgpr54
; %bb.346:                              ;   in Loop: Header=BB355_211 Depth=1
	s_andn2_saveexec_b64 s[10:11], s[0:1]
; %bb.347:                              ;   in Loop: Header=BB355_211 Depth=1
	v_or_b32_e32 v48, 0x10000, v54
	v_cmp_eq_u32_sdwa s[0:1], v54, v15 src0_sel:WORD_0 src1_sel:DWORD
	s_nop 1
	v_cndmask_b32_e64 v48, v48, v54, s[0:1]
; %bb.348:                              ;   in Loop: Header=BB355_211 Depth=1
	s_or_b64 exec, exec, s[10:11]
	v_lshlrev_b32_e32 v49, 16, v49
	v_mul_f32_e32 v54, v41, v49
	v_and_b32_e32 v49, 0x7f800000, v54
	v_cmp_ne_u32_e64 s[0:1], s18, v49
                                        ; implicit-def: $vgpr49
	s_and_saveexec_b64 s[10:11], s[0:1]
	s_xor_b64 s[0:1], exec, s[10:11]
; %bb.349:                              ;   in Loop: Header=BB355_211 Depth=1
	v_bfe_u32 v49, v54, 16, 1
	v_add3_u32 v49, v54, v49, s19
                                        ; implicit-def: $vgpr54
; %bb.350:                              ;   in Loop: Header=BB355_211 Depth=1
	s_andn2_saveexec_b64 s[10:11], s[0:1]
; %bb.351:                              ;   in Loop: Header=BB355_211 Depth=1
	v_or_b32_e32 v49, 0x10000, v54
	v_cmp_eq_u32_sdwa s[0:1], v54, v15 src0_sel:WORD_0 src1_sel:DWORD
	s_nop 1
	v_cndmask_b32_e64 v49, v49, v54, s[0:1]
; %bb.352:                              ;   in Loop: Header=BB355_211 Depth=1
	s_or_b64 exec, exec, s[10:11]
	v_lshlrev_b32_e32 v50, 16, v50
	v_mul_f32_e32 v54, v42, v50
	v_and_b32_e32 v50, 0x7f800000, v54
	v_cmp_ne_u32_e64 s[0:1], s18, v50
                                        ; implicit-def: $vgpr50
	s_and_saveexec_b64 s[10:11], s[0:1]
	s_xor_b64 s[0:1], exec, s[10:11]
; %bb.353:                              ;   in Loop: Header=BB355_211 Depth=1
	v_bfe_u32 v50, v54, 16, 1
	v_add3_u32 v50, v54, v50, s19
                                        ; implicit-def: $vgpr54
; %bb.354:                              ;   in Loop: Header=BB355_211 Depth=1
	s_andn2_saveexec_b64 s[10:11], s[0:1]
; %bb.355:                              ;   in Loop: Header=BB355_211 Depth=1
	v_or_b32_e32 v50, 0x10000, v54
	v_cmp_eq_u32_sdwa s[0:1], v54, v15 src0_sel:WORD_0 src1_sel:DWORD
	s_nop 1
	v_cndmask_b32_e64 v50, v50, v54, s[0:1]
; %bb.356:                              ;   in Loop: Header=BB355_211 Depth=1
	s_or_b64 exec, exec, s[10:11]
	v_lshlrev_b32_e32 v51, 16, v51
	v_mul_f32_e32 v54, v43, v51
	v_and_b32_e32 v51, 0x7f800000, v54
	v_cmp_ne_u32_e64 s[0:1], s18, v51
                                        ; implicit-def: $vgpr51
	s_and_saveexec_b64 s[10:11], s[0:1]
	s_xor_b64 s[0:1], exec, s[10:11]
; %bb.357:                              ;   in Loop: Header=BB355_211 Depth=1
	v_bfe_u32 v51, v54, 16, 1
	v_add3_u32 v51, v54, v51, s19
                                        ; implicit-def: $vgpr54
; %bb.358:                              ;   in Loop: Header=BB355_211 Depth=1
	s_andn2_saveexec_b64 s[10:11], s[0:1]
; %bb.359:                              ;   in Loop: Header=BB355_211 Depth=1
	v_or_b32_e32 v51, 0x10000, v54
	v_cmp_eq_u32_sdwa s[0:1], v54, v15 src0_sel:WORD_0 src1_sel:DWORD
	s_nop 1
	v_cndmask_b32_e64 v51, v51, v54, s[0:1]
; %bb.360:                              ;   in Loop: Header=BB355_211 Depth=1
	s_or_b64 exec, exec, s[10:11]
	v_lshlrev_b32_e32 v52, 16, v52
	v_mul_f32_e32 v54, v44, v52
	v_and_b32_e32 v52, 0x7f800000, v54
	v_cmp_ne_u32_e64 s[0:1], s18, v52
                                        ; implicit-def: $vgpr52
	s_and_saveexec_b64 s[10:11], s[0:1]
	s_xor_b64 s[0:1], exec, s[10:11]
; %bb.361:                              ;   in Loop: Header=BB355_211 Depth=1
	v_bfe_u32 v52, v54, 16, 1
	v_add3_u32 v52, v54, v52, s19
                                        ; implicit-def: $vgpr54
; %bb.362:                              ;   in Loop: Header=BB355_211 Depth=1
	s_andn2_saveexec_b64 s[10:11], s[0:1]
; %bb.363:                              ;   in Loop: Header=BB355_211 Depth=1
	v_or_b32_e32 v52, 0x10000, v54
	v_cmp_eq_u32_sdwa s[0:1], v54, v15 src0_sel:WORD_0 src1_sel:DWORD
	s_nop 1
	v_cndmask_b32_e64 v52, v52, v54, s[0:1]
; %bb.364:                              ;   in Loop: Header=BB355_211 Depth=1
	s_or_b64 exec, exec, s[10:11]
	v_lshlrev_b32_e32 v53, 16, v53
	v_mul_f32_e32 v54, v45, v53
	v_and_b32_e32 v53, 0x7f800000, v54
	v_cmp_ne_u32_e64 s[0:1], s18, v53
                                        ; implicit-def: $vgpr53
	s_and_saveexec_b64 s[10:11], s[0:1]
	s_xor_b64 s[0:1], exec, s[10:11]
; %bb.365:                              ;   in Loop: Header=BB355_211 Depth=1
	v_bfe_u32 v53, v54, 16, 1
	v_add3_u32 v53, v54, v53, s19
                                        ; implicit-def: $vgpr54
; %bb.366:                              ;   in Loop: Header=BB355_211 Depth=1
	s_andn2_saveexec_b64 s[10:11], s[0:1]
; %bb.367:                              ;   in Loop: Header=BB355_211 Depth=1
	v_or_b32_e32 v53, 0x10000, v54
	v_cmp_eq_u32_sdwa s[0:1], v54, v15 src0_sel:WORD_0 src1_sel:DWORD
	s_nop 1
	v_cndmask_b32_e64 v53, v53, v54, s[0:1]
; %bb.368:                              ;   in Loop: Header=BB355_211 Depth=1
	s_or_b64 exec, exec, s[10:11]
	v_lshlrev_b32_e32 v5, 16, v5
	v_mul_f32_e32 v5, v46, v5
	v_and_b32_e32 v54, 0x7f800000, v5
	v_cmp_ne_u32_e64 s[0:1], s18, v54
                                        ; implicit-def: $vgpr54
	s_and_saveexec_b64 s[10:11], s[0:1]
	s_xor_b64 s[0:1], exec, s[10:11]
; %bb.369:                              ;   in Loop: Header=BB355_211 Depth=1
	v_bfe_u32 v54, v5, 16, 1
	v_add3_u32 v54, v5, v54, s19
                                        ; implicit-def: $vgpr5
; %bb.370:                              ;   in Loop: Header=BB355_211 Depth=1
	s_andn2_saveexec_b64 s[10:11], s[0:1]
; %bb.371:                              ;   in Loop: Header=BB355_211 Depth=1
	v_or_b32_e32 v54, 0x10000, v5
	v_cmp_eq_u32_sdwa s[0:1], v5, v15 src0_sel:WORD_0 src1_sel:DWORD
	s_nop 1
	v_cndmask_b32_e64 v54, v54, v5, s[0:1]
; %bb.372:                              ;   in Loop: Header=BB355_211 Depth=1
	s_or_b64 exec, exec, s[10:11]
	v_lshlrev_b32_e32 v4, 16, v4
	v_mul_f32_e32 v4, v47, v4
	v_and_b32_e32 v5, 0x7f800000, v4
	v_cmp_ne_u32_e64 s[0:1], s18, v5
                                        ; implicit-def: $vgpr55
	s_and_saveexec_b64 s[10:11], s[0:1]
	s_xor_b64 s[0:1], exec, s[10:11]
; %bb.373:                              ;   in Loop: Header=BB355_211 Depth=1
	v_bfe_u32 v5, v4, 16, 1
	v_add3_u32 v55, v4, v5, s19
                                        ; implicit-def: $vgpr4
; %bb.374:                              ;   in Loop: Header=BB355_211 Depth=1
	s_andn2_saveexec_b64 s[10:11], s[0:1]
; %bb.375:                              ;   in Loop: Header=BB355_211 Depth=1
	v_or_b32_e32 v5, 0x10000, v4
	v_cmp_eq_u32_sdwa s[0:1], v4, v15 src0_sel:WORD_0 src1_sel:DWORD
	s_nop 1
	v_cndmask_b32_e64 v55, v5, v4, s[0:1]
; %bb.376:                              ;   in Loop: Header=BB355_211 Depth=1
	s_or_b64 exec, exec, s[10:11]
	global_load_dwordx2 v[4:5], v[2:3], off offset:1024
	s_waitcnt vmcnt(0)
	v_and_b32_e32 v56, 0xff, v4
	v_cvt_f32_fp8_sdwa v56, v56 src0_sel:BYTE_0
	s_nop 0
	v_mul_f32_e32 v57, s21, v56
	v_and_b32_e32 v56, 0x7f800000, v57
	v_cmp_ne_u32_e64 s[0:1], s18, v56
                                        ; implicit-def: $vgpr56
	s_and_saveexec_b64 s[10:11], s[0:1]
	s_xor_b64 s[0:1], exec, s[10:11]
; %bb.377:                              ;   in Loop: Header=BB355_211 Depth=1
	v_bfe_u32 v56, v57, 16, 1
	v_add3_u32 v56, v57, v56, s19
                                        ; implicit-def: $vgpr57
; %bb.378:                              ;   in Loop: Header=BB355_211 Depth=1
	s_andn2_saveexec_b64 s[10:11], s[0:1]
; %bb.379:                              ;   in Loop: Header=BB355_211 Depth=1
	v_or_b32_e32 v56, 0x10000, v57
	v_cmp_eq_u32_sdwa s[0:1], v57, v15 src0_sel:WORD_0 src1_sel:DWORD
	s_nop 1
	v_cndmask_b32_e64 v56, v56, v57, s[0:1]
; %bb.380:                              ;   in Loop: Header=BB355_211 Depth=1
	s_or_b64 exec, exec, s[10:11]
	v_bfe_u32 v57, v4, 8, 8
	v_cvt_f32_fp8_sdwa v57, v57 src0_sel:BYTE_0
	s_nop 0
	v_mul_f32_e32 v58, s21, v57
	v_and_b32_e32 v57, 0x7f800000, v58
	v_cmp_ne_u32_e64 s[0:1], s18, v57
                                        ; implicit-def: $vgpr57
	s_and_saveexec_b64 s[10:11], s[0:1]
	s_xor_b64 s[0:1], exec, s[10:11]
; %bb.381:                              ;   in Loop: Header=BB355_211 Depth=1
	v_bfe_u32 v57, v58, 16, 1
	v_add3_u32 v57, v58, v57, s19
                                        ; implicit-def: $vgpr58
; %bb.382:                              ;   in Loop: Header=BB355_211 Depth=1
	s_andn2_saveexec_b64 s[10:11], s[0:1]
; %bb.383:                              ;   in Loop: Header=BB355_211 Depth=1
	v_or_b32_e32 v57, 0x10000, v58
	v_cmp_eq_u32_sdwa s[0:1], v58, v15 src0_sel:WORD_0 src1_sel:DWORD
	s_nop 1
	v_cndmask_b32_e64 v57, v57, v58, s[0:1]
; %bb.384:                              ;   in Loop: Header=BB355_211 Depth=1
	s_or_b64 exec, exec, s[10:11]
	v_bfe_u32 v58, v4, 16, 8
	v_cvt_f32_fp8_sdwa v58, v58 src0_sel:BYTE_0
	s_nop 0
	v_mul_f32_e32 v59, s21, v58
	v_and_b32_e32 v58, 0x7f800000, v59
	v_cmp_ne_u32_e64 s[0:1], s18, v58
                                        ; implicit-def: $vgpr58
	s_and_saveexec_b64 s[10:11], s[0:1]
	s_xor_b64 s[0:1], exec, s[10:11]
; %bb.385:                              ;   in Loop: Header=BB355_211 Depth=1
	v_bfe_u32 v58, v59, 16, 1
	v_add3_u32 v58, v59, v58, s19
                                        ; implicit-def: $vgpr59
; %bb.386:                              ;   in Loop: Header=BB355_211 Depth=1
	s_andn2_saveexec_b64 s[10:11], s[0:1]
; %bb.387:                              ;   in Loop: Header=BB355_211 Depth=1
	v_or_b32_e32 v58, 0x10000, v59
	v_cmp_eq_u32_sdwa s[0:1], v59, v15 src0_sel:WORD_0 src1_sel:DWORD
	s_nop 1
	v_cndmask_b32_e64 v58, v58, v59, s[0:1]
; %bb.388:                              ;   in Loop: Header=BB355_211 Depth=1
	s_or_b64 exec, exec, s[10:11]
	v_lshrrev_b32_e32 v4, 24, v4
	v_cvt_f32_fp8_sdwa v4, v4 src0_sel:BYTE_0
	s_nop 0
	v_mul_f32_e32 v59, s21, v4
	v_and_b32_e32 v4, 0x7f800000, v59
	v_cmp_ne_u32_e64 s[0:1], s18, v4
                                        ; implicit-def: $vgpr4
	s_and_saveexec_b64 s[10:11], s[0:1]
	s_xor_b64 s[0:1], exec, s[10:11]
; %bb.389:                              ;   in Loop: Header=BB355_211 Depth=1
	v_bfe_u32 v4, v59, 16, 1
	v_add3_u32 v4, v59, v4, s19
                                        ; implicit-def: $vgpr59
; %bb.390:                              ;   in Loop: Header=BB355_211 Depth=1
	s_andn2_saveexec_b64 s[10:11], s[0:1]
; %bb.391:                              ;   in Loop: Header=BB355_211 Depth=1
	v_or_b32_e32 v4, 0x10000, v59
	v_cmp_eq_u32_sdwa s[0:1], v59, v15 src0_sel:WORD_0 src1_sel:DWORD
	s_nop 1
	v_cndmask_b32_e64 v4, v4, v59, s[0:1]
; %bb.392:                              ;   in Loop: Header=BB355_211 Depth=1
	s_or_b64 exec, exec, s[10:11]
	v_and_b32_e32 v59, 0xff, v5
	v_cvt_f32_fp8_sdwa v59, v59 src0_sel:BYTE_0
	s_nop 0
	v_mul_f32_e32 v60, s21, v59
	v_and_b32_e32 v59, 0x7f800000, v60
	v_cmp_ne_u32_e64 s[0:1], s18, v59
                                        ; implicit-def: $vgpr59
	s_and_saveexec_b64 s[10:11], s[0:1]
	s_xor_b64 s[0:1], exec, s[10:11]
; %bb.393:                              ;   in Loop: Header=BB355_211 Depth=1
	v_bfe_u32 v59, v60, 16, 1
	v_add3_u32 v59, v60, v59, s19
                                        ; implicit-def: $vgpr60
; %bb.394:                              ;   in Loop: Header=BB355_211 Depth=1
	s_andn2_saveexec_b64 s[10:11], s[0:1]
; %bb.395:                              ;   in Loop: Header=BB355_211 Depth=1
	v_or_b32_e32 v59, 0x10000, v60
	v_cmp_eq_u32_sdwa s[0:1], v60, v15 src0_sel:WORD_0 src1_sel:DWORD
	s_nop 1
	v_cndmask_b32_e64 v59, v59, v60, s[0:1]
; %bb.396:                              ;   in Loop: Header=BB355_211 Depth=1
	s_or_b64 exec, exec, s[10:11]
	v_bfe_u32 v60, v5, 8, 8
	v_cvt_f32_fp8_sdwa v60, v60 src0_sel:BYTE_0
	s_nop 0
	v_mul_f32_e32 v61, s21, v60
	v_and_b32_e32 v60, 0x7f800000, v61
	v_cmp_ne_u32_e64 s[0:1], s18, v60
                                        ; implicit-def: $vgpr60
	s_and_saveexec_b64 s[10:11], s[0:1]
	s_xor_b64 s[0:1], exec, s[10:11]
; %bb.397:                              ;   in Loop: Header=BB355_211 Depth=1
	v_bfe_u32 v60, v61, 16, 1
	v_add3_u32 v60, v61, v60, s19
                                        ; implicit-def: $vgpr61
; %bb.398:                              ;   in Loop: Header=BB355_211 Depth=1
	s_andn2_saveexec_b64 s[10:11], s[0:1]
; %bb.399:                              ;   in Loop: Header=BB355_211 Depth=1
	v_or_b32_e32 v60, 0x10000, v61
	v_cmp_eq_u32_sdwa s[0:1], v61, v15 src0_sel:WORD_0 src1_sel:DWORD
	s_nop 1
	v_cndmask_b32_e64 v60, v60, v61, s[0:1]
; %bb.400:                              ;   in Loop: Header=BB355_211 Depth=1
	s_or_b64 exec, exec, s[10:11]
	v_bfe_u32 v61, v5, 16, 8
	v_cvt_f32_fp8_sdwa v61, v61 src0_sel:BYTE_0
	s_nop 0
	v_mul_f32_e32 v61, s21, v61
	v_and_b32_e32 v62, 0x7f800000, v61
	v_cmp_ne_u32_e64 s[0:1], s18, v62
                                        ; implicit-def: $vgpr62
	s_and_saveexec_b64 s[10:11], s[0:1]
	s_xor_b64 s[0:1], exec, s[10:11]
; %bb.401:                              ;   in Loop: Header=BB355_211 Depth=1
	v_bfe_u32 v62, v61, 16, 1
	v_add3_u32 v62, v61, v62, s19
                                        ; implicit-def: $vgpr61
; %bb.402:                              ;   in Loop: Header=BB355_211 Depth=1
	s_andn2_saveexec_b64 s[10:11], s[0:1]
; %bb.403:                              ;   in Loop: Header=BB355_211 Depth=1
	v_or_b32_e32 v62, 0x10000, v61
	v_cmp_eq_u32_sdwa s[0:1], v61, v15 src0_sel:WORD_0 src1_sel:DWORD
	s_nop 1
	v_cndmask_b32_e64 v62, v62, v61, s[0:1]
; %bb.404:                              ;   in Loop: Header=BB355_211 Depth=1
	s_or_b64 exec, exec, s[10:11]
	v_lshrrev_b32_e32 v5, 24, v5
	v_cvt_f32_fp8_sdwa v5, v5 src0_sel:BYTE_0
                                        ; implicit-def: $vgpr63
	s_nop 0
	v_mul_f32_e32 v5, s21, v5
	v_and_b32_e32 v61, 0x7f800000, v5
	v_cmp_ne_u32_e64 s[0:1], s18, v61
	s_and_saveexec_b64 s[10:11], s[0:1]
	s_xor_b64 s[0:1], exec, s[10:11]
; %bb.405:                              ;   in Loop: Header=BB355_211 Depth=1
	v_bfe_u32 v61, v5, 16, 1
	v_add3_u32 v63, v5, v61, s19
                                        ; implicit-def: $vgpr5
; %bb.406:                              ;   in Loop: Header=BB355_211 Depth=1
	s_andn2_saveexec_b64 s[10:11], s[0:1]
; %bb.407:                              ;   in Loop: Header=BB355_211 Depth=1
	v_or_b32_e32 v61, 0x10000, v5
	v_cmp_eq_u32_sdwa s[0:1], v5, v15 src0_sel:WORD_0 src1_sel:DWORD
	s_nop 1
	v_cndmask_b32_e64 v63, v61, v5, s[0:1]
; %bb.408:                              ;   in Loop: Header=BB355_211 Depth=1
	s_or_b64 exec, exec, s[10:11]
	v_lshrrev_b32_e32 v61, 16, v60
	v_lshrrev_b32_e32 v60, 16, v59
	;; [unrolled: 1-line block ×8, first 2 shown]
	s_and_saveexec_b64 s[10:11], vcc
	s_cbranch_execz .LBB355_410
; %bb.409:                              ;   in Loop: Header=BB355_211 Depth=1
	v_cmp_gt_i32_e64 s[0:1], s33, v32
	s_nop 1
	v_cndmask_b32_e64 v56, 0, v56, s[0:1]
	v_cmp_gt_i32_e64 s[0:1], s33, v39
	s_nop 1
	v_cndmask_b32_e64 v57, 0, v57, s[0:1]
	;; [unrolled: 3-line block ×8, first 2 shown]
.LBB355_410:                            ;   in Loop: Header=BB355_211 Depth=1
	s_or_b64 exec, exec, s[10:11]
	v_lshlrev_b32_e32 v56, 16, v56
	v_mul_f32_e32 v62, v40, v56
	v_and_b32_e32 v56, 0x7f800000, v62
	v_cmp_ne_u32_e64 s[0:1], s18, v56
                                        ; implicit-def: $vgpr56
	s_and_saveexec_b64 s[10:11], s[0:1]
	s_xor_b64 s[0:1], exec, s[10:11]
; %bb.411:                              ;   in Loop: Header=BB355_211 Depth=1
	v_bfe_u32 v56, v62, 16, 1
	v_add3_u32 v56, v62, v56, s19
                                        ; implicit-def: $vgpr62
; %bb.412:                              ;   in Loop: Header=BB355_211 Depth=1
	s_andn2_saveexec_b64 s[10:11], s[0:1]
; %bb.413:                              ;   in Loop: Header=BB355_211 Depth=1
	v_or_b32_e32 v56, 0x10000, v62
	v_cmp_eq_u32_sdwa s[0:1], v62, v15 src0_sel:WORD_0 src1_sel:DWORD
	s_nop 1
	v_cndmask_b32_e64 v56, v56, v62, s[0:1]
; %bb.414:                              ;   in Loop: Header=BB355_211 Depth=1
	s_or_b64 exec, exec, s[10:11]
	v_lshlrev_b32_e32 v57, 16, v57
	v_mul_f32_e32 v62, v41, v57
	v_and_b32_e32 v57, 0x7f800000, v62
	v_cmp_ne_u32_e64 s[0:1], s18, v57
                                        ; implicit-def: $vgpr57
	s_and_saveexec_b64 s[10:11], s[0:1]
	s_xor_b64 s[0:1], exec, s[10:11]
; %bb.415:                              ;   in Loop: Header=BB355_211 Depth=1
	v_bfe_u32 v57, v62, 16, 1
	v_add3_u32 v57, v62, v57, s19
                                        ; implicit-def: $vgpr62
; %bb.416:                              ;   in Loop: Header=BB355_211 Depth=1
	s_andn2_saveexec_b64 s[10:11], s[0:1]
; %bb.417:                              ;   in Loop: Header=BB355_211 Depth=1
	v_or_b32_e32 v57, 0x10000, v62
	v_cmp_eq_u32_sdwa s[0:1], v62, v15 src0_sel:WORD_0 src1_sel:DWORD
	s_nop 1
	v_cndmask_b32_e64 v57, v57, v62, s[0:1]
; %bb.418:                              ;   in Loop: Header=BB355_211 Depth=1
	s_or_b64 exec, exec, s[10:11]
	v_lshlrev_b32_e32 v58, 16, v58
	v_mul_f32_e32 v62, v42, v58
	v_and_b32_e32 v58, 0x7f800000, v62
	v_cmp_ne_u32_e64 s[0:1], s18, v58
                                        ; implicit-def: $vgpr58
	s_and_saveexec_b64 s[10:11], s[0:1]
	s_xor_b64 s[0:1], exec, s[10:11]
; %bb.419:                              ;   in Loop: Header=BB355_211 Depth=1
	v_bfe_u32 v58, v62, 16, 1
	v_add3_u32 v58, v62, v58, s19
                                        ; implicit-def: $vgpr62
; %bb.420:                              ;   in Loop: Header=BB355_211 Depth=1
	s_andn2_saveexec_b64 s[10:11], s[0:1]
; %bb.421:                              ;   in Loop: Header=BB355_211 Depth=1
	v_or_b32_e32 v58, 0x10000, v62
	v_cmp_eq_u32_sdwa s[0:1], v62, v15 src0_sel:WORD_0 src1_sel:DWORD
	s_nop 1
	v_cndmask_b32_e64 v58, v58, v62, s[0:1]
; %bb.422:                              ;   in Loop: Header=BB355_211 Depth=1
	s_or_b64 exec, exec, s[10:11]
	v_lshlrev_b32_e32 v59, 16, v59
	v_mul_f32_e32 v62, v43, v59
	v_and_b32_e32 v59, 0x7f800000, v62
	v_cmp_ne_u32_e64 s[0:1], s18, v59
                                        ; implicit-def: $vgpr59
	s_and_saveexec_b64 s[10:11], s[0:1]
	s_xor_b64 s[0:1], exec, s[10:11]
; %bb.423:                              ;   in Loop: Header=BB355_211 Depth=1
	v_bfe_u32 v59, v62, 16, 1
	v_add3_u32 v59, v62, v59, s19
                                        ; implicit-def: $vgpr62
; %bb.424:                              ;   in Loop: Header=BB355_211 Depth=1
	s_andn2_saveexec_b64 s[10:11], s[0:1]
; %bb.425:                              ;   in Loop: Header=BB355_211 Depth=1
	v_or_b32_e32 v59, 0x10000, v62
	v_cmp_eq_u32_sdwa s[0:1], v62, v15 src0_sel:WORD_0 src1_sel:DWORD
	s_nop 1
	v_cndmask_b32_e64 v59, v59, v62, s[0:1]
; %bb.426:                              ;   in Loop: Header=BB355_211 Depth=1
	s_or_b64 exec, exec, s[10:11]
	v_lshlrev_b32_e32 v60, 16, v60
	v_mul_f32_e32 v62, v44, v60
	v_and_b32_e32 v60, 0x7f800000, v62
	v_cmp_ne_u32_e64 s[0:1], s18, v60
                                        ; implicit-def: $vgpr60
	s_and_saveexec_b64 s[10:11], s[0:1]
	s_xor_b64 s[0:1], exec, s[10:11]
; %bb.427:                              ;   in Loop: Header=BB355_211 Depth=1
	v_bfe_u32 v60, v62, 16, 1
	v_add3_u32 v60, v62, v60, s19
                                        ; implicit-def: $vgpr62
; %bb.428:                              ;   in Loop: Header=BB355_211 Depth=1
	s_andn2_saveexec_b64 s[10:11], s[0:1]
; %bb.429:                              ;   in Loop: Header=BB355_211 Depth=1
	v_or_b32_e32 v60, 0x10000, v62
	v_cmp_eq_u32_sdwa s[0:1], v62, v15 src0_sel:WORD_0 src1_sel:DWORD
	s_nop 1
	v_cndmask_b32_e64 v60, v60, v62, s[0:1]
; %bb.430:                              ;   in Loop: Header=BB355_211 Depth=1
	s_or_b64 exec, exec, s[10:11]
	v_lshlrev_b32_e32 v61, 16, v61
	v_mul_f32_e32 v62, v45, v61
	v_and_b32_e32 v61, 0x7f800000, v62
	v_cmp_ne_u32_e64 s[0:1], s18, v61
                                        ; implicit-def: $vgpr61
	s_and_saveexec_b64 s[10:11], s[0:1]
	s_xor_b64 s[0:1], exec, s[10:11]
; %bb.431:                              ;   in Loop: Header=BB355_211 Depth=1
	v_bfe_u32 v61, v62, 16, 1
	v_add3_u32 v61, v62, v61, s19
                                        ; implicit-def: $vgpr62
; %bb.432:                              ;   in Loop: Header=BB355_211 Depth=1
	s_andn2_saveexec_b64 s[10:11], s[0:1]
; %bb.433:                              ;   in Loop: Header=BB355_211 Depth=1
	v_or_b32_e32 v61, 0x10000, v62
	v_cmp_eq_u32_sdwa s[0:1], v62, v15 src0_sel:WORD_0 src1_sel:DWORD
	s_nop 1
	v_cndmask_b32_e64 v61, v61, v62, s[0:1]
; %bb.434:                              ;   in Loop: Header=BB355_211 Depth=1
	s_or_b64 exec, exec, s[10:11]
	v_lshlrev_b32_e32 v5, 16, v5
	v_mul_f32_e32 v5, v46, v5
	v_and_b32_e32 v62, 0x7f800000, v5
	v_cmp_ne_u32_e64 s[0:1], s18, v62
                                        ; implicit-def: $vgpr62
	s_and_saveexec_b64 s[10:11], s[0:1]
	s_xor_b64 s[0:1], exec, s[10:11]
; %bb.435:                              ;   in Loop: Header=BB355_211 Depth=1
	v_bfe_u32 v62, v5, 16, 1
	v_add3_u32 v62, v5, v62, s19
                                        ; implicit-def: $vgpr5
; %bb.436:                              ;   in Loop: Header=BB355_211 Depth=1
	s_andn2_saveexec_b64 s[10:11], s[0:1]
; %bb.437:                              ;   in Loop: Header=BB355_211 Depth=1
	v_or_b32_e32 v62, 0x10000, v5
	v_cmp_eq_u32_sdwa s[0:1], v5, v15 src0_sel:WORD_0 src1_sel:DWORD
	s_nop 1
	v_cndmask_b32_e64 v62, v62, v5, s[0:1]
; %bb.438:                              ;   in Loop: Header=BB355_211 Depth=1
	s_or_b64 exec, exec, s[10:11]
	v_lshlrev_b32_e32 v4, 16, v4
	v_mul_f32_e32 v4, v47, v4
	v_and_b32_e32 v5, 0x7f800000, v4
	v_cmp_ne_u32_e64 s[0:1], s18, v5
                                        ; implicit-def: $vgpr63
	s_and_saveexec_b64 s[10:11], s[0:1]
	s_xor_b64 s[0:1], exec, s[10:11]
; %bb.439:                              ;   in Loop: Header=BB355_211 Depth=1
	v_bfe_u32 v5, v4, 16, 1
	v_add3_u32 v63, v4, v5, s19
                                        ; implicit-def: $vgpr4
; %bb.440:                              ;   in Loop: Header=BB355_211 Depth=1
	s_andn2_saveexec_b64 s[10:11], s[0:1]
; %bb.441:                              ;   in Loop: Header=BB355_211 Depth=1
	v_or_b32_e32 v5, 0x10000, v4
	v_cmp_eq_u32_sdwa s[0:1], v4, v15 src0_sel:WORD_0 src1_sel:DWORD
	s_nop 1
	v_cndmask_b32_e64 v63, v5, v4, s[0:1]
; %bb.442:                              ;   in Loop: Header=BB355_211 Depth=1
	s_or_b64 exec, exec, s[10:11]
	global_load_dwordx2 v[4:5], v[2:3], off offset:1536
	s_waitcnt vmcnt(0)
	v_and_b32_e32 v64, 0xff, v4
	v_cvt_f32_fp8_sdwa v64, v64 src0_sel:BYTE_0
	s_nop 0
	v_mul_f32_e32 v65, s21, v64
	v_and_b32_e32 v64, 0x7f800000, v65
	v_cmp_ne_u32_e64 s[0:1], s18, v64
                                        ; implicit-def: $vgpr64
	s_and_saveexec_b64 s[10:11], s[0:1]
	s_xor_b64 s[0:1], exec, s[10:11]
; %bb.443:                              ;   in Loop: Header=BB355_211 Depth=1
	v_bfe_u32 v64, v65, 16, 1
	v_add3_u32 v64, v65, v64, s19
                                        ; implicit-def: $vgpr65
; %bb.444:                              ;   in Loop: Header=BB355_211 Depth=1
	s_andn2_saveexec_b64 s[10:11], s[0:1]
; %bb.445:                              ;   in Loop: Header=BB355_211 Depth=1
	v_or_b32_e32 v64, 0x10000, v65
	v_cmp_eq_u32_sdwa s[0:1], v65, v15 src0_sel:WORD_0 src1_sel:DWORD
	s_nop 1
	v_cndmask_b32_e64 v64, v64, v65, s[0:1]
; %bb.446:                              ;   in Loop: Header=BB355_211 Depth=1
	s_or_b64 exec, exec, s[10:11]
	v_bfe_u32 v65, v4, 8, 8
	v_cvt_f32_fp8_sdwa v65, v65 src0_sel:BYTE_0
	s_nop 0
	v_mul_f32_e32 v66, s21, v65
	v_and_b32_e32 v65, 0x7f800000, v66
	v_cmp_ne_u32_e64 s[0:1], s18, v65
                                        ; implicit-def: $vgpr65
	s_and_saveexec_b64 s[10:11], s[0:1]
	s_xor_b64 s[0:1], exec, s[10:11]
; %bb.447:                              ;   in Loop: Header=BB355_211 Depth=1
	v_bfe_u32 v65, v66, 16, 1
	v_add3_u32 v65, v66, v65, s19
                                        ; implicit-def: $vgpr66
; %bb.448:                              ;   in Loop: Header=BB355_211 Depth=1
	s_andn2_saveexec_b64 s[10:11], s[0:1]
; %bb.449:                              ;   in Loop: Header=BB355_211 Depth=1
	v_or_b32_e32 v65, 0x10000, v66
	v_cmp_eq_u32_sdwa s[0:1], v66, v15 src0_sel:WORD_0 src1_sel:DWORD
	s_nop 1
	v_cndmask_b32_e64 v65, v65, v66, s[0:1]
; %bb.450:                              ;   in Loop: Header=BB355_211 Depth=1
	s_or_b64 exec, exec, s[10:11]
	v_bfe_u32 v66, v4, 16, 8
	v_cvt_f32_fp8_sdwa v66, v66 src0_sel:BYTE_0
	s_nop 0
	v_mul_f32_e32 v67, s21, v66
	v_and_b32_e32 v66, 0x7f800000, v67
	v_cmp_ne_u32_e64 s[0:1], s18, v66
                                        ; implicit-def: $vgpr66
	s_and_saveexec_b64 s[10:11], s[0:1]
	s_xor_b64 s[0:1], exec, s[10:11]
; %bb.451:                              ;   in Loop: Header=BB355_211 Depth=1
	v_bfe_u32 v66, v67, 16, 1
	v_add3_u32 v66, v67, v66, s19
                                        ; implicit-def: $vgpr67
; %bb.452:                              ;   in Loop: Header=BB355_211 Depth=1
	s_andn2_saveexec_b64 s[10:11], s[0:1]
; %bb.453:                              ;   in Loop: Header=BB355_211 Depth=1
	v_or_b32_e32 v66, 0x10000, v67
	v_cmp_eq_u32_sdwa s[0:1], v67, v15 src0_sel:WORD_0 src1_sel:DWORD
	s_nop 1
	v_cndmask_b32_e64 v66, v66, v67, s[0:1]
; %bb.454:                              ;   in Loop: Header=BB355_211 Depth=1
	s_or_b64 exec, exec, s[10:11]
	v_lshrrev_b32_e32 v4, 24, v4
	v_cvt_f32_fp8_sdwa v4, v4 src0_sel:BYTE_0
	s_nop 0
	v_mul_f32_e32 v67, s21, v4
	v_and_b32_e32 v4, 0x7f800000, v67
	v_cmp_ne_u32_e64 s[0:1], s18, v4
                                        ; implicit-def: $vgpr4
	s_and_saveexec_b64 s[10:11], s[0:1]
	s_xor_b64 s[0:1], exec, s[10:11]
; %bb.455:                              ;   in Loop: Header=BB355_211 Depth=1
	v_bfe_u32 v4, v67, 16, 1
	v_add3_u32 v4, v67, v4, s19
                                        ; implicit-def: $vgpr67
; %bb.456:                              ;   in Loop: Header=BB355_211 Depth=1
	s_andn2_saveexec_b64 s[10:11], s[0:1]
; %bb.457:                              ;   in Loop: Header=BB355_211 Depth=1
	v_or_b32_e32 v4, 0x10000, v67
	v_cmp_eq_u32_sdwa s[0:1], v67, v15 src0_sel:WORD_0 src1_sel:DWORD
	s_nop 1
	v_cndmask_b32_e64 v4, v4, v67, s[0:1]
; %bb.458:                              ;   in Loop: Header=BB355_211 Depth=1
	s_or_b64 exec, exec, s[10:11]
	v_and_b32_e32 v67, 0xff, v5
	v_cvt_f32_fp8_sdwa v67, v67 src0_sel:BYTE_0
	s_nop 0
	v_mul_f32_e32 v67, s21, v67
	v_and_b32_e32 v68, 0x7f800000, v67
	v_cmp_ne_u32_e64 s[0:1], s18, v68
                                        ; implicit-def: $vgpr68
	s_and_saveexec_b64 s[10:11], s[0:1]
	s_xor_b64 s[0:1], exec, s[10:11]
; %bb.459:                              ;   in Loop: Header=BB355_211 Depth=1
	v_bfe_u32 v68, v67, 16, 1
	v_add3_u32 v68, v67, v68, s19
                                        ; implicit-def: $vgpr67
; %bb.460:                              ;   in Loop: Header=BB355_211 Depth=1
	s_andn2_saveexec_b64 s[10:11], s[0:1]
; %bb.461:                              ;   in Loop: Header=BB355_211 Depth=1
	v_or_b32_e32 v68, 0x10000, v67
	v_cmp_eq_u32_sdwa s[0:1], v67, v15 src0_sel:WORD_0 src1_sel:DWORD
	s_nop 1
	v_cndmask_b32_e64 v68, v68, v67, s[0:1]
; %bb.462:                              ;   in Loop: Header=BB355_211 Depth=1
	s_or_b64 exec, exec, s[10:11]
	v_bfe_u32 v67, v5, 8, 8
	v_cvt_f32_fp8_sdwa v67, v67 src0_sel:BYTE_0
	s_nop 0
	v_mul_f32_e32 v69, s21, v67
	v_and_b32_e32 v67, 0x7f800000, v69
	v_cmp_ne_u32_e64 s[0:1], s18, v67
                                        ; implicit-def: $vgpr67
	s_and_saveexec_b64 s[10:11], s[0:1]
	s_xor_b64 s[0:1], exec, s[10:11]
; %bb.463:                              ;   in Loop: Header=BB355_211 Depth=1
	v_bfe_u32 v67, v69, 16, 1
	v_add3_u32 v67, v69, v67, s19
                                        ; implicit-def: $vgpr69
; %bb.464:                              ;   in Loop: Header=BB355_211 Depth=1
	s_andn2_saveexec_b64 s[10:11], s[0:1]
; %bb.465:                              ;   in Loop: Header=BB355_211 Depth=1
	v_or_b32_e32 v67, 0x10000, v69
	v_cmp_eq_u32_sdwa s[0:1], v69, v15 src0_sel:WORD_0 src1_sel:DWORD
	s_nop 1
	v_cndmask_b32_e64 v67, v67, v69, s[0:1]
; %bb.466:                              ;   in Loop: Header=BB355_211 Depth=1
	s_or_b64 exec, exec, s[10:11]
	v_bfe_u32 v69, v5, 16, 8
	v_cvt_f32_fp8_sdwa v69, v69 src0_sel:BYTE_0
	s_nop 0
	v_mul_f32_e32 v70, s21, v69
	v_and_b32_e32 v69, 0x7f800000, v70
	v_cmp_ne_u32_e64 s[0:1], s18, v69
                                        ; implicit-def: $vgpr69
	s_and_saveexec_b64 s[10:11], s[0:1]
	s_xor_b64 s[0:1], exec, s[10:11]
; %bb.467:                              ;   in Loop: Header=BB355_211 Depth=1
	v_bfe_u32 v69, v70, 16, 1
	v_add3_u32 v69, v70, v69, s19
                                        ; implicit-def: $vgpr70
; %bb.468:                              ;   in Loop: Header=BB355_211 Depth=1
	s_andn2_saveexec_b64 s[10:11], s[0:1]
; %bb.469:                              ;   in Loop: Header=BB355_211 Depth=1
	v_or_b32_e32 v69, 0x10000, v70
	v_cmp_eq_u32_sdwa s[0:1], v70, v15 src0_sel:WORD_0 src1_sel:DWORD
	s_nop 1
	v_cndmask_b32_e64 v69, v69, v70, s[0:1]
; %bb.470:                              ;   in Loop: Header=BB355_211 Depth=1
	s_or_b64 exec, exec, s[10:11]
	v_lshrrev_b32_e32 v5, 24, v5
	v_cvt_f32_fp8_sdwa v5, v5 src0_sel:BYTE_0
                                        ; implicit-def: $vgpr72
	s_nop 0
	v_mul_f32_e32 v5, s21, v5
	v_and_b32_e32 v70, 0x7f800000, v5
	v_cmp_ne_u32_e64 s[0:1], s18, v70
	s_and_saveexec_b64 s[10:11], s[0:1]
	s_xor_b64 s[0:1], exec, s[10:11]
; %bb.471:                              ;   in Loop: Header=BB355_211 Depth=1
	v_bfe_u32 v70, v5, 16, 1
	v_add3_u32 v72, v5, v70, s19
                                        ; implicit-def: $vgpr5
; %bb.472:                              ;   in Loop: Header=BB355_211 Depth=1
	s_andn2_saveexec_b64 s[10:11], s[0:1]
; %bb.473:                              ;   in Loop: Header=BB355_211 Depth=1
	v_or_b32_e32 v70, 0x10000, v5
	v_cmp_eq_u32_sdwa s[0:1], v5, v15 src0_sel:WORD_0 src1_sel:DWORD
	s_nop 1
	v_cndmask_b32_e64 v72, v70, v5, s[0:1]
; %bb.474:                              ;   in Loop: Header=BB355_211 Depth=1
	s_or_b64 exec, exec, s[10:11]
	v_lshrrev_b32_e32 v67, 16, v67
	v_lshrrev_b32_e32 v70, 16, v68
	;; [unrolled: 1-line block ×8, first 2 shown]
	s_and_saveexec_b64 s[10:11], vcc
	s_cbranch_execz .LBB355_476
; %bb.475:                              ;   in Loop: Header=BB355_211 Depth=1
	v_cmp_gt_i32_e64 s[0:1], s33, v32
	s_nop 1
	v_cndmask_b32_e64 v4, 0, v4, s[0:1]
	v_cmp_gt_i32_e64 s[0:1], s33, v39
	s_nop 1
	v_cndmask_b32_e64 v5, 0, v5, s[0:1]
	;; [unrolled: 3-line block ×8, first 2 shown]
.LBB355_476:                            ;   in Loop: Header=BB355_211 Depth=1
	s_or_b64 exec, exec, s[10:11]
	v_lshlrev_b32_e32 v4, 16, v4
	v_mul_f32_e32 v64, v40, v4
	v_and_b32_e32 v4, 0x7f800000, v64
	v_cmp_ne_u32_e64 s[0:1], s18, v4
                                        ; implicit-def: $vgpr4
	s_and_saveexec_b64 s[10:11], s[0:1]
	s_xor_b64 s[0:1], exec, s[10:11]
; %bb.477:                              ;   in Loop: Header=BB355_211 Depth=1
	v_bfe_u32 v4, v64, 16, 1
	v_add3_u32 v4, v64, v4, s19
                                        ; implicit-def: $vgpr64
; %bb.478:                              ;   in Loop: Header=BB355_211 Depth=1
	s_andn2_saveexec_b64 s[10:11], s[0:1]
; %bb.479:                              ;   in Loop: Header=BB355_211 Depth=1
	v_or_b32_e32 v4, 0x10000, v64
	v_cmp_eq_u32_sdwa s[0:1], v64, v15 src0_sel:WORD_0 src1_sel:DWORD
	s_nop 1
	v_cndmask_b32_e64 v4, v4, v64, s[0:1]
; %bb.480:                              ;   in Loop: Header=BB355_211 Depth=1
	s_or_b64 exec, exec, s[10:11]
	v_lshlrev_b32_e32 v5, 16, v5
	v_mul_f32_e32 v64, v41, v5
	v_and_b32_e32 v5, 0x7f800000, v64
	v_cmp_ne_u32_e64 s[0:1], s18, v5
                                        ; implicit-def: $vgpr5
	s_and_saveexec_b64 s[10:11], s[0:1]
	s_xor_b64 s[0:1], exec, s[10:11]
; %bb.481:                              ;   in Loop: Header=BB355_211 Depth=1
	v_bfe_u32 v5, v64, 16, 1
	v_add3_u32 v5, v64, v5, s19
                                        ; implicit-def: $vgpr64
; %bb.482:                              ;   in Loop: Header=BB355_211 Depth=1
	s_andn2_saveexec_b64 s[10:11], s[0:1]
; %bb.483:                              ;   in Loop: Header=BB355_211 Depth=1
	v_or_b32_e32 v5, 0x10000, v64
	v_cmp_eq_u32_sdwa s[0:1], v64, v15 src0_sel:WORD_0 src1_sel:DWORD
	s_nop 1
	v_cndmask_b32_e64 v5, v5, v64, s[0:1]
; %bb.484:                              ;   in Loop: Header=BB355_211 Depth=1
	s_or_b64 exec, exec, s[10:11]
	v_lshlrev_b32_e32 v64, 16, v66
	v_mul_f32_e32 v65, v42, v64
	v_and_b32_e32 v64, 0x7f800000, v65
	v_cmp_ne_u32_e64 s[0:1], s18, v64
                                        ; implicit-def: $vgpr64
	s_and_saveexec_b64 s[10:11], s[0:1]
	s_xor_b64 s[0:1], exec, s[10:11]
; %bb.485:                              ;   in Loop: Header=BB355_211 Depth=1
	v_bfe_u32 v64, v65, 16, 1
	v_add3_u32 v64, v65, v64, s19
                                        ; implicit-def: $vgpr65
; %bb.486:                              ;   in Loop: Header=BB355_211 Depth=1
	s_andn2_saveexec_b64 s[10:11], s[0:1]
; %bb.487:                              ;   in Loop: Header=BB355_211 Depth=1
	v_or_b32_e32 v64, 0x10000, v65
	v_cmp_eq_u32_sdwa s[0:1], v65, v15 src0_sel:WORD_0 src1_sel:DWORD
	s_nop 1
	v_cndmask_b32_e64 v64, v64, v65, s[0:1]
; %bb.488:                              ;   in Loop: Header=BB355_211 Depth=1
	s_or_b64 exec, exec, s[10:11]
	v_lshlrev_b32_e32 v65, 16, v71
	v_mul_f32_e32 v66, v43, v65
	v_and_b32_e32 v65, 0x7f800000, v66
	v_cmp_ne_u32_e64 s[0:1], s18, v65
                                        ; implicit-def: $vgpr65
	s_and_saveexec_b64 s[10:11], s[0:1]
	s_xor_b64 s[0:1], exec, s[10:11]
; %bb.489:                              ;   in Loop: Header=BB355_211 Depth=1
	v_bfe_u32 v65, v66, 16, 1
	v_add3_u32 v65, v66, v65, s19
                                        ; implicit-def: $vgpr66
; %bb.490:                              ;   in Loop: Header=BB355_211 Depth=1
	s_andn2_saveexec_b64 s[10:11], s[0:1]
; %bb.491:                              ;   in Loop: Header=BB355_211 Depth=1
	v_or_b32_e32 v65, 0x10000, v66
	v_cmp_eq_u32_sdwa s[0:1], v66, v15 src0_sel:WORD_0 src1_sel:DWORD
	s_nop 1
	v_cndmask_b32_e64 v65, v65, v66, s[0:1]
; %bb.492:                              ;   in Loop: Header=BB355_211 Depth=1
	s_or_b64 exec, exec, s[10:11]
	v_lshlrev_b32_e32 v66, 16, v70
	v_mul_f32_e32 v70, v44, v66
	v_and_b32_e32 v66, 0x7f800000, v70
	v_cmp_ne_u32_e64 s[0:1], s18, v66
                                        ; implicit-def: $vgpr66
	s_and_saveexec_b64 s[10:11], s[0:1]
	s_xor_b64 s[0:1], exec, s[10:11]
; %bb.493:                              ;   in Loop: Header=BB355_211 Depth=1
	v_bfe_u32 v66, v70, 16, 1
	v_add3_u32 v66, v70, v66, s19
                                        ; implicit-def: $vgpr70
; %bb.494:                              ;   in Loop: Header=BB355_211 Depth=1
	s_andn2_saveexec_b64 s[10:11], s[0:1]
; %bb.495:                              ;   in Loop: Header=BB355_211 Depth=1
	v_or_b32_e32 v66, 0x10000, v70
	v_cmp_eq_u32_sdwa s[0:1], v70, v15 src0_sel:WORD_0 src1_sel:DWORD
	s_nop 1
	v_cndmask_b32_e64 v66, v66, v70, s[0:1]
; %bb.496:                              ;   in Loop: Header=BB355_211 Depth=1
	s_or_b64 exec, exec, s[10:11]
	v_lshlrev_b32_e32 v67, 16, v67
	v_mul_f32_e32 v70, v45, v67
	v_and_b32_e32 v67, 0x7f800000, v70
	v_cmp_ne_u32_e64 s[0:1], s18, v67
                                        ; implicit-def: $vgpr67
	s_and_saveexec_b64 s[10:11], s[0:1]
	s_xor_b64 s[0:1], exec, s[10:11]
; %bb.497:                              ;   in Loop: Header=BB355_211 Depth=1
	v_bfe_u32 v67, v70, 16, 1
	v_add3_u32 v67, v70, v67, s19
                                        ; implicit-def: $vgpr70
; %bb.498:                              ;   in Loop: Header=BB355_211 Depth=1
	s_andn2_saveexec_b64 s[10:11], s[0:1]
; %bb.499:                              ;   in Loop: Header=BB355_211 Depth=1
	v_or_b32_e32 v67, 0x10000, v70
	v_cmp_eq_u32_sdwa s[0:1], v70, v15 src0_sel:WORD_0 src1_sel:DWORD
	s_nop 1
	v_cndmask_b32_e64 v67, v67, v70, s[0:1]
; %bb.500:                              ;   in Loop: Header=BB355_211 Depth=1
	s_or_b64 exec, exec, s[10:11]
	v_lshlrev_b32_e32 v68, 16, v68
	v_mul_f32_e32 v70, v46, v68
	v_and_b32_e32 v68, 0x7f800000, v70
	v_cmp_ne_u32_e64 s[0:1], s18, v68
                                        ; implicit-def: $vgpr68
	s_and_saveexec_b64 s[10:11], s[0:1]
	s_xor_b64 s[0:1], exec, s[10:11]
; %bb.501:                              ;   in Loop: Header=BB355_211 Depth=1
	v_bfe_u32 v68, v70, 16, 1
	v_add3_u32 v68, v70, v68, s19
                                        ; implicit-def: $vgpr70
; %bb.502:                              ;   in Loop: Header=BB355_211 Depth=1
	s_andn2_saveexec_b64 s[10:11], s[0:1]
; %bb.503:                              ;   in Loop: Header=BB355_211 Depth=1
	v_or_b32_e32 v68, 0x10000, v70
	v_cmp_eq_u32_sdwa s[0:1], v70, v15 src0_sel:WORD_0 src1_sel:DWORD
	s_nop 1
	v_cndmask_b32_e64 v68, v68, v70, s[0:1]
; %bb.504:                              ;   in Loop: Header=BB355_211 Depth=1
	s_or_b64 exec, exec, s[10:11]
	v_lshlrev_b32_e32 v69, 16, v69
	v_mul_f32_e32 v70, v47, v69
	v_and_b32_e32 v69, 0x7f800000, v70
	v_cmp_ne_u32_e64 s[0:1], s18, v69
                                        ; implicit-def: $vgpr69
	s_and_saveexec_b64 s[10:11], s[0:1]
	s_xor_b64 s[0:1], exec, s[10:11]
; %bb.505:                              ;   in Loop: Header=BB355_211 Depth=1
	v_bfe_u32 v69, v70, 16, 1
	v_add3_u32 v69, v70, v69, s19
                                        ; implicit-def: $vgpr70
; %bb.506:                              ;   in Loop: Header=BB355_211 Depth=1
	s_andn2_saveexec_b64 s[10:11], s[0:1]
; %bb.507:                              ;   in Loop: Header=BB355_211 Depth=1
	v_or_b32_e32 v69, 0x10000, v70
	v_cmp_eq_u32_sdwa s[0:1], v70, v15 src0_sel:WORD_0 src1_sel:DWORD
	s_nop 1
	v_cndmask_b32_e64 v69, v69, v70, s[0:1]
; %bb.508:                              ;   in Loop: Header=BB355_211 Depth=1
	s_or_b64 exec, exec, s[10:11]
	global_load_dwordx2 v[2:3], v[2:3], off offset:2048
	s_waitcnt vmcnt(0)
	v_and_b32_e32 v70, 0xff, v2
	v_cvt_f32_fp8_sdwa v70, v70 src0_sel:BYTE_0
	s_nop 0
	v_mul_f32_e32 v71, s21, v70
	v_and_b32_e32 v70, 0x7f800000, v71
	v_cmp_ne_u32_e64 s[0:1], s18, v70
                                        ; implicit-def: $vgpr70
	s_and_saveexec_b64 s[10:11], s[0:1]
	s_xor_b64 s[0:1], exec, s[10:11]
; %bb.509:                              ;   in Loop: Header=BB355_211 Depth=1
	v_bfe_u32 v70, v71, 16, 1
	v_add3_u32 v70, v71, v70, s19
                                        ; implicit-def: $vgpr71
; %bb.510:                              ;   in Loop: Header=BB355_211 Depth=1
	s_andn2_saveexec_b64 s[10:11], s[0:1]
; %bb.511:                              ;   in Loop: Header=BB355_211 Depth=1
	v_or_b32_e32 v70, 0x10000, v71
	v_cmp_eq_u32_sdwa s[0:1], v71, v15 src0_sel:WORD_0 src1_sel:DWORD
	s_nop 1
	v_cndmask_b32_e64 v70, v70, v71, s[0:1]
; %bb.512:                              ;   in Loop: Header=BB355_211 Depth=1
	s_or_b64 exec, exec, s[10:11]
	v_bfe_u32 v71, v2, 8, 8
	v_cvt_f32_fp8_sdwa v71, v71 src0_sel:BYTE_0
	s_nop 0
	v_mul_f32_e32 v72, s21, v71
	v_and_b32_e32 v71, 0x7f800000, v72
	v_cmp_ne_u32_e64 s[0:1], s18, v71
                                        ; implicit-def: $vgpr71
	s_and_saveexec_b64 s[10:11], s[0:1]
	s_xor_b64 s[0:1], exec, s[10:11]
; %bb.513:                              ;   in Loop: Header=BB355_211 Depth=1
	v_bfe_u32 v71, v72, 16, 1
	v_add3_u32 v71, v72, v71, s19
                                        ; implicit-def: $vgpr72
; %bb.514:                              ;   in Loop: Header=BB355_211 Depth=1
	s_andn2_saveexec_b64 s[10:11], s[0:1]
; %bb.515:                              ;   in Loop: Header=BB355_211 Depth=1
	v_or_b32_e32 v71, 0x10000, v72
	v_cmp_eq_u32_sdwa s[0:1], v72, v15 src0_sel:WORD_0 src1_sel:DWORD
	s_nop 1
	v_cndmask_b32_e64 v71, v71, v72, s[0:1]
; %bb.516:                              ;   in Loop: Header=BB355_211 Depth=1
	s_or_b64 exec, exec, s[10:11]
	v_bfe_u32 v72, v2, 16, 8
	v_cvt_f32_fp8_sdwa v72, v72 src0_sel:BYTE_0
	s_nop 0
	v_mul_f32_e32 v72, s21, v72
	v_and_b32_e32 v73, 0x7f800000, v72
	v_cmp_ne_u32_e64 s[0:1], s18, v73
                                        ; implicit-def: $vgpr73
	s_and_saveexec_b64 s[10:11], s[0:1]
	s_xor_b64 s[0:1], exec, s[10:11]
; %bb.517:                              ;   in Loop: Header=BB355_211 Depth=1
	v_bfe_u32 v73, v72, 16, 1
	v_add3_u32 v73, v72, v73, s19
                                        ; implicit-def: $vgpr72
; %bb.518:                              ;   in Loop: Header=BB355_211 Depth=1
	s_andn2_saveexec_b64 s[10:11], s[0:1]
; %bb.519:                              ;   in Loop: Header=BB355_211 Depth=1
	v_or_b32_e32 v73, 0x10000, v72
	v_cmp_eq_u32_sdwa s[0:1], v72, v15 src0_sel:WORD_0 src1_sel:DWORD
	s_nop 1
	v_cndmask_b32_e64 v73, v73, v72, s[0:1]
; %bb.520:                              ;   in Loop: Header=BB355_211 Depth=1
	s_or_b64 exec, exec, s[10:11]
	v_lshrrev_b32_e32 v2, 24, v2
	v_cvt_f32_fp8_sdwa v2, v2 src0_sel:BYTE_0
	s_nop 0
	v_mul_f32_e32 v72, s21, v2
	v_and_b32_e32 v2, 0x7f800000, v72
	v_cmp_ne_u32_e64 s[0:1], s18, v2
                                        ; implicit-def: $vgpr2
	s_and_saveexec_b64 s[10:11], s[0:1]
	s_xor_b64 s[0:1], exec, s[10:11]
; %bb.521:                              ;   in Loop: Header=BB355_211 Depth=1
	v_bfe_u32 v2, v72, 16, 1
	v_add3_u32 v2, v72, v2, s19
                                        ; implicit-def: $vgpr72
; %bb.522:                              ;   in Loop: Header=BB355_211 Depth=1
	s_andn2_saveexec_b64 s[10:11], s[0:1]
; %bb.523:                              ;   in Loop: Header=BB355_211 Depth=1
	v_or_b32_e32 v2, 0x10000, v72
	v_cmp_eq_u32_sdwa s[0:1], v72, v15 src0_sel:WORD_0 src1_sel:DWORD
	s_nop 1
	v_cndmask_b32_e64 v2, v2, v72, s[0:1]
; %bb.524:                              ;   in Loop: Header=BB355_211 Depth=1
	s_or_b64 exec, exec, s[10:11]
	v_and_b32_e32 v72, 0xff, v3
	v_cvt_f32_fp8_sdwa v72, v72 src0_sel:BYTE_0
	s_nop 0
	v_mul_f32_e32 v72, s21, v72
	v_and_b32_e32 v74, 0x7f800000, v72
	v_cmp_ne_u32_e64 s[0:1], s18, v74
                                        ; implicit-def: $vgpr74
	s_and_saveexec_b64 s[10:11], s[0:1]
	s_xor_b64 s[0:1], exec, s[10:11]
; %bb.525:                              ;   in Loop: Header=BB355_211 Depth=1
	v_bfe_u32 v74, v72, 16, 1
	v_add3_u32 v74, v72, v74, s19
                                        ; implicit-def: $vgpr72
; %bb.526:                              ;   in Loop: Header=BB355_211 Depth=1
	s_andn2_saveexec_b64 s[10:11], s[0:1]
; %bb.527:                              ;   in Loop: Header=BB355_211 Depth=1
	v_or_b32_e32 v74, 0x10000, v72
	v_cmp_eq_u32_sdwa s[0:1], v72, v15 src0_sel:WORD_0 src1_sel:DWORD
	s_nop 1
	v_cndmask_b32_e64 v74, v74, v72, s[0:1]
; %bb.528:                              ;   in Loop: Header=BB355_211 Depth=1
	s_or_b64 exec, exec, s[10:11]
	v_bfe_u32 v72, v3, 8, 8
	v_cvt_f32_fp8_sdwa v72, v72 src0_sel:BYTE_0
	s_nop 0
	v_mul_f32_e32 v75, s21, v72
	v_and_b32_e32 v72, 0x7f800000, v75
	v_cmp_ne_u32_e64 s[0:1], s18, v72
                                        ; implicit-def: $vgpr72
	s_and_saveexec_b64 s[10:11], s[0:1]
	s_xor_b64 s[0:1], exec, s[10:11]
; %bb.529:                              ;   in Loop: Header=BB355_211 Depth=1
	v_bfe_u32 v72, v75, 16, 1
	v_add3_u32 v72, v75, v72, s19
                                        ; implicit-def: $vgpr75
; %bb.530:                              ;   in Loop: Header=BB355_211 Depth=1
	s_andn2_saveexec_b64 s[10:11], s[0:1]
; %bb.531:                              ;   in Loop: Header=BB355_211 Depth=1
	v_or_b32_e32 v72, 0x10000, v75
	v_cmp_eq_u32_sdwa s[0:1], v75, v15 src0_sel:WORD_0 src1_sel:DWORD
	s_nop 1
	v_cndmask_b32_e64 v72, v72, v75, s[0:1]
; %bb.532:                              ;   in Loop: Header=BB355_211 Depth=1
	s_or_b64 exec, exec, s[10:11]
	v_bfe_u32 v75, v3, 16, 8
	v_cvt_f32_fp8_sdwa v75, v75 src0_sel:BYTE_0
	s_nop 0
	v_mul_f32_e32 v75, s21, v75
	v_and_b32_e32 v76, 0x7f800000, v75
	v_cmp_ne_u32_e64 s[0:1], s18, v76
                                        ; implicit-def: $vgpr76
	s_and_saveexec_b64 s[10:11], s[0:1]
	s_xor_b64 s[0:1], exec, s[10:11]
; %bb.533:                              ;   in Loop: Header=BB355_211 Depth=1
	v_bfe_u32 v76, v75, 16, 1
	v_add3_u32 v76, v75, v76, s19
                                        ; implicit-def: $vgpr75
; %bb.534:                              ;   in Loop: Header=BB355_211 Depth=1
	s_andn2_saveexec_b64 s[10:11], s[0:1]
; %bb.535:                              ;   in Loop: Header=BB355_211 Depth=1
	v_or_b32_e32 v76, 0x10000, v75
	v_cmp_eq_u32_sdwa s[0:1], v75, v15 src0_sel:WORD_0 src1_sel:DWORD
	s_nop 1
	v_cndmask_b32_e64 v76, v76, v75, s[0:1]
; %bb.536:                              ;   in Loop: Header=BB355_211 Depth=1
	s_or_b64 exec, exec, s[10:11]
	v_lshrrev_b32_e32 v3, 24, v3
	v_cvt_f32_fp8_sdwa v3, v3 src0_sel:BYTE_0
                                        ; implicit-def: $vgpr77
	s_nop 0
	v_mul_f32_e32 v3, s21, v3
	v_and_b32_e32 v75, 0x7f800000, v3
	v_cmp_ne_u32_e64 s[0:1], s18, v75
	s_and_saveexec_b64 s[10:11], s[0:1]
	s_xor_b64 s[0:1], exec, s[10:11]
; %bb.537:                              ;   in Loop: Header=BB355_211 Depth=1
	v_bfe_u32 v75, v3, 16, 1
	v_add3_u32 v77, v3, v75, s19
                                        ; implicit-def: $vgpr3
; %bb.538:                              ;   in Loop: Header=BB355_211 Depth=1
	s_andn2_saveexec_b64 s[10:11], s[0:1]
; %bb.539:                              ;   in Loop: Header=BB355_211 Depth=1
	v_or_b32_e32 v75, 0x10000, v3
	v_cmp_eq_u32_sdwa s[0:1], v3, v15 src0_sel:WORD_0 src1_sel:DWORD
	s_nop 1
	v_cndmask_b32_e64 v77, v75, v3, s[0:1]
; %bb.540:                              ;   in Loop: Header=BB355_211 Depth=1
	s_or_b64 exec, exec, s[10:11]
	v_lshrrev_b32_e32 v72, 16, v72
	v_lshrrev_b32_e32 v74, 16, v74
	;; [unrolled: 1-line block ×8, first 2 shown]
	s_and_saveexec_b64 s[0:1], vcc
	s_cbranch_execz .LBB355_542
; %bb.541:                              ;   in Loop: Header=BB355_211 Depth=1
	v_cmp_gt_i32_e32 vcc, s33, v32
	s_nop 1
	v_cndmask_b32_e32 v2, 0, v2, vcc
	v_cmp_gt_i32_e32 vcc, s33, v39
	s_nop 1
	v_cndmask_b32_e32 v3, 0, v3, vcc
	;; [unrolled: 3-line block ×8, first 2 shown]
.LBB355_542:                            ;   in Loop: Header=BB355_211 Depth=1
	s_or_b64 exec, exec, s[0:1]
	v_lshlrev_b32_e32 v2, 16, v2
	v_mul_f32_e32 v32, v40, v2
	v_and_b32_e32 v2, 0x7f800000, v32
	v_cmp_ne_u32_e32 vcc, s18, v2
                                        ; implicit-def: $vgpr2
	s_and_saveexec_b64 s[0:1], vcc
	s_xor_b64 s[0:1], exec, s[0:1]
; %bb.543:                              ;   in Loop: Header=BB355_211 Depth=1
	v_bfe_u32 v2, v32, 16, 1
	v_add3_u32 v2, v32, v2, s19
                                        ; implicit-def: $vgpr32
; %bb.544:                              ;   in Loop: Header=BB355_211 Depth=1
	s_andn2_saveexec_b64 s[0:1], s[0:1]
; %bb.545:                              ;   in Loop: Header=BB355_211 Depth=1
	v_or_b32_e32 v2, 0x10000, v32
	v_cmp_eq_u32_sdwa vcc, v32, v15 src0_sel:WORD_0 src1_sel:DWORD
	s_nop 1
	v_cndmask_b32_e32 v2, v2, v32, vcc
; %bb.546:                              ;   in Loop: Header=BB355_211 Depth=1
	s_or_b64 exec, exec, s[0:1]
	v_lshlrev_b32_e32 v3, 16, v3
	v_mul_f32_e32 v32, v41, v3
	v_and_b32_e32 v3, 0x7f800000, v32
	v_cmp_ne_u32_e32 vcc, s18, v3
                                        ; implicit-def: $vgpr3
	s_and_saveexec_b64 s[0:1], vcc
	s_xor_b64 s[0:1], exec, s[0:1]
; %bb.547:                              ;   in Loop: Header=BB355_211 Depth=1
	v_bfe_u32 v3, v32, 16, 1
	v_add3_u32 v3, v32, v3, s19
                                        ; implicit-def: $vgpr32
; %bb.548:                              ;   in Loop: Header=BB355_211 Depth=1
	s_andn2_saveexec_b64 s[0:1], s[0:1]
; %bb.549:                              ;   in Loop: Header=BB355_211 Depth=1
	v_or_b32_e32 v3, 0x10000, v32
	v_cmp_eq_u32_sdwa vcc, v32, v15 src0_sel:WORD_0 src1_sel:DWORD
	s_nop 1
	v_cndmask_b32_e32 v3, v3, v32, vcc
; %bb.550:                              ;   in Loop: Header=BB355_211 Depth=1
	s_or_b64 exec, exec, s[0:1]
	v_lshlrev_b32_e32 v32, 16, v73
	v_mul_f32_e32 v33, v42, v32
	v_and_b32_e32 v32, 0x7f800000, v33
	v_cmp_ne_u32_e32 vcc, s18, v32
                                        ; implicit-def: $vgpr32
	s_and_saveexec_b64 s[0:1], vcc
	s_xor_b64 s[0:1], exec, s[0:1]
; %bb.551:                              ;   in Loop: Header=BB355_211 Depth=1
	v_bfe_u32 v32, v33, 16, 1
	v_add3_u32 v32, v33, v32, s19
                                        ; implicit-def: $vgpr33
; %bb.552:                              ;   in Loop: Header=BB355_211 Depth=1
	s_andn2_saveexec_b64 s[0:1], s[0:1]
; %bb.553:                              ;   in Loop: Header=BB355_211 Depth=1
	v_or_b32_e32 v32, 0x10000, v33
	v_cmp_eq_u32_sdwa vcc, v33, v15 src0_sel:WORD_0 src1_sel:DWORD
	s_nop 1
	v_cndmask_b32_e32 v32, v32, v33, vcc
; %bb.554:                              ;   in Loop: Header=BB355_211 Depth=1
	s_or_b64 exec, exec, s[0:1]
	v_lshlrev_b32_e32 v33, 16, v75
	v_mul_f32_e32 v34, v43, v33
	v_and_b32_e32 v33, 0x7f800000, v34
	v_cmp_ne_u32_e32 vcc, s18, v33
                                        ; implicit-def: $vgpr33
	s_and_saveexec_b64 s[0:1], vcc
	s_xor_b64 s[0:1], exec, s[0:1]
; %bb.555:                              ;   in Loop: Header=BB355_211 Depth=1
	v_bfe_u32 v33, v34, 16, 1
	v_add3_u32 v33, v34, v33, s19
                                        ; implicit-def: $vgpr34
; %bb.556:                              ;   in Loop: Header=BB355_211 Depth=1
	s_andn2_saveexec_b64 s[0:1], s[0:1]
; %bb.557:                              ;   in Loop: Header=BB355_211 Depth=1
	v_or_b32_e32 v33, 0x10000, v34
	v_cmp_eq_u32_sdwa vcc, v34, v15 src0_sel:WORD_0 src1_sel:DWORD
	s_nop 1
	v_cndmask_b32_e32 v33, v33, v34, vcc
; %bb.558:                              ;   in Loop: Header=BB355_211 Depth=1
	s_or_b64 exec, exec, s[0:1]
	v_lshlrev_b32_e32 v34, 16, v74
	v_mul_f32_e32 v35, v44, v34
	v_and_b32_e32 v34, 0x7f800000, v35
	v_cmp_ne_u32_e32 vcc, s18, v34
                                        ; implicit-def: $vgpr34
	s_and_saveexec_b64 s[0:1], vcc
	s_xor_b64 s[0:1], exec, s[0:1]
; %bb.559:                              ;   in Loop: Header=BB355_211 Depth=1
	v_bfe_u32 v34, v35, 16, 1
	v_add3_u32 v34, v35, v34, s19
                                        ; implicit-def: $vgpr35
; %bb.560:                              ;   in Loop: Header=BB355_211 Depth=1
	s_andn2_saveexec_b64 s[0:1], s[0:1]
; %bb.561:                              ;   in Loop: Header=BB355_211 Depth=1
	v_or_b32_e32 v34, 0x10000, v35
	v_cmp_eq_u32_sdwa vcc, v35, v15 src0_sel:WORD_0 src1_sel:DWORD
	s_nop 1
	v_cndmask_b32_e32 v34, v34, v35, vcc
; %bb.562:                              ;   in Loop: Header=BB355_211 Depth=1
	s_or_b64 exec, exec, s[0:1]
	v_lshlrev_b32_e32 v35, 16, v72
	v_mul_f32_e32 v36, v45, v35
	v_and_b32_e32 v35, 0x7f800000, v36
	v_cmp_ne_u32_e32 vcc, s18, v35
                                        ; implicit-def: $vgpr35
	s_and_saveexec_b64 s[0:1], vcc
	s_xor_b64 s[0:1], exec, s[0:1]
; %bb.563:                              ;   in Loop: Header=BB355_211 Depth=1
	v_bfe_u32 v35, v36, 16, 1
	v_add3_u32 v35, v36, v35, s19
                                        ; implicit-def: $vgpr36
; %bb.564:                              ;   in Loop: Header=BB355_211 Depth=1
	s_andn2_saveexec_b64 s[0:1], s[0:1]
; %bb.565:                              ;   in Loop: Header=BB355_211 Depth=1
	v_or_b32_e32 v35, 0x10000, v36
	v_cmp_eq_u32_sdwa vcc, v36, v15 src0_sel:WORD_0 src1_sel:DWORD
	s_nop 1
	v_cndmask_b32_e32 v35, v35, v36, vcc
; %bb.566:                              ;   in Loop: Header=BB355_211 Depth=1
	s_or_b64 exec, exec, s[0:1]
	v_lshlrev_b32_e32 v36, 16, v71
	v_mul_f32_e32 v37, v46, v36
	v_and_b32_e32 v36, 0x7f800000, v37
	v_cmp_ne_u32_e32 vcc, s18, v36
                                        ; implicit-def: $vgpr36
	s_and_saveexec_b64 s[0:1], vcc
	s_xor_b64 s[0:1], exec, s[0:1]
; %bb.567:                              ;   in Loop: Header=BB355_211 Depth=1
	v_bfe_u32 v36, v37, 16, 1
	v_add3_u32 v36, v37, v36, s19
                                        ; implicit-def: $vgpr37
; %bb.568:                              ;   in Loop: Header=BB355_211 Depth=1
	s_andn2_saveexec_b64 s[0:1], s[0:1]
; %bb.569:                              ;   in Loop: Header=BB355_211 Depth=1
	v_or_b32_e32 v36, 0x10000, v37
	v_cmp_eq_u32_sdwa vcc, v37, v15 src0_sel:WORD_0 src1_sel:DWORD
	s_nop 1
	v_cndmask_b32_e32 v36, v36, v37, vcc
; %bb.570:                              ;   in Loop: Header=BB355_211 Depth=1
	s_or_b64 exec, exec, s[0:1]
	v_lshlrev_b32_e32 v37, 16, v70
	v_mul_f32_e32 v38, v47, v37
	v_and_b32_e32 v37, 0x7f800000, v38
	v_cmp_ne_u32_e32 vcc, s18, v37
                                        ; implicit-def: $vgpr37
	s_and_saveexec_b64 s[0:1], vcc
	s_xor_b64 s[0:1], exec, s[0:1]
; %bb.571:                              ;   in Loop: Header=BB355_211 Depth=1
	v_bfe_u32 v37, v38, 16, 1
	v_add3_u32 v37, v38, v37, s19
                                        ; implicit-def: $vgpr38
; %bb.572:                              ;   in Loop: Header=BB355_211 Depth=1
	s_andn2_saveexec_b64 s[0:1], s[0:1]
	s_cbranch_execz .LBB355_209
; %bb.573:                              ;   in Loop: Header=BB355_211 Depth=1
	v_or_b32_e32 v37, 0x10000, v38
	v_cmp_eq_u32_sdwa vcc, v38, v15 src0_sel:WORD_0 src1_sel:DWORD
	s_nop 1
	v_cndmask_b32_e32 v37, v37, v38, vcc
	s_branch .LBB355_209
.LBB355_574:
	s_or_b64 exec, exec, s[6:7]
.LBB355_575:
	s_or_b64 exec, exec, s[2:3]
	ds_bpermute_b32 v2, v21, v12
	ds_bpermute_b32 v3, v21, v13
	;; [unrolled: 1-line block ×5, first 2 shown]
	s_waitcnt lgkmcnt(0)
	v_pk_add_f32 v[2:3], v[12:13], v[2:3]
	ds_bpermute_b32 v6, v24, v2
	v_pk_add_f32 v[4:5], v[10:11], v[4:5]
	v_add_f32_e32 v1, v14, v1
	ds_bpermute_b32 v7, v24, v3
	ds_bpermute_b32 v8, v24, v4
	;; [unrolled: 1-line block ×4, first 2 shown]
	s_barrier
	s_waitcnt lgkmcnt(3)
	v_pk_add_f32 v[6:7], v[2:3], v[6:7]
	s_waitcnt lgkmcnt(0)
	v_pk_add_f32 v[2:3], v[4:5], v[8:9]
	v_add_f32_e32 v4, v1, v10
	v_and_b32_e32 v1, 0x3c3, v0
	v_cmp_eq_u32_e32 vcc, 64, v1
	s_and_saveexec_b64 s[0:1], vcc
	s_cbranch_execz .LBB355_577
; %bb.576:
	v_add_u32_e32 v1, 0xb0, v20
	ds_write2_b32 v1, v6, v7 offset1:16
	ds_write2_b32 v1, v2, v3 offset0:32 offset1:48
	ds_write_b32 v1, v4 offset:256
.LBB355_577:
	s_or_b64 exec, exec, s[0:1]
	v_cmp_gt_u32_e32 vcc, 64, v0
	s_waitcnt lgkmcnt(0)
	s_barrier
	s_and_saveexec_b64 s[2:3], vcc
	s_cbranch_execz .LBB355_585
; %bb.578:
	v_cmp_eq_u32_e64 s[0:1], 0, v25
	v_lshrrev_b32_e32 v1, 2, v0
	s_and_saveexec_b64 s[6:7], s[0:1]
	s_cbranch_execnz .LBB355_609
; %bb.579:
	s_or_b64 exec, exec, s[6:7]
	s_and_saveexec_b64 s[6:7], s[0:1]
	s_cbranch_execnz .LBB355_610
.LBB355_580:
	s_or_b64 exec, exec, s[6:7]
	s_and_saveexec_b64 s[6:7], s[0:1]
	s_cbranch_execnz .LBB355_611
.LBB355_581:
	s_or_b64 exec, exec, s[6:7]
	s_and_saveexec_b64 s[6:7], s[0:1]
	s_cbranch_execnz .LBB355_612
.LBB355_582:
	s_or_b64 exec, exec, s[6:7]
	s_and_saveexec_b64 s[6:7], s[0:1]
	s_cbranch_execz .LBB355_584
.LBB355_583:
	v_mov_b32_e32 v5, 0xb0
	v_lshl_add_u32 v1, v1, 2, v5
	ds_read_b32 v1, v1 offset:256
	s_waitcnt lgkmcnt(0)
	v_add_f32_e32 v4, v4, v1
.LBB355_584:
	s_or_b64 exec, exec, s[6:7]
.LBB355_585:
	s_or_b64 exec, exec, s[2:3]
	s_barrier
	s_and_saveexec_b64 s[0:1], vcc
	s_cbranch_execz .LBB355_608
; %bb.586:
	v_cmp_eq_u32_e32 vcc, 0, v25
	s_and_b64 exec, exec, vcc
	s_cbranch_execz .LBB355_608
; %bb.587:
	s_mov_b32 s0, 0x7f800000
	v_and_b32_e32 v1, 0x7f800000, v6
	v_cmp_ne_u32_e32 vcc, s0, v1
                                        ; implicit-def: $vgpr5
	s_and_saveexec_b64 s[0:1], vcc
	s_xor_b64 s[0:1], exec, s[0:1]
; %bb.588:
	v_bfe_u32 v1, v6, 16, 1
	s_movk_i32 s2, 0x7fff
	v_add3_u32 v5, v6, v1, s2
; %bb.589:
	s_andn2_saveexec_b64 s[0:1], s[0:1]
; %bb.590:
	v_mov_b32_e32 v1, 0
	v_or_b32_e32 v5, 0x10000, v6
	v_cmp_eq_u32_sdwa vcc, v6, v1 src0_sel:WORD_0 src1_sel:DWORD
	s_nop 1
	v_cndmask_b32_e32 v5, v5, v6, vcc
; %bb.591:
	s_or_b64 exec, exec, s[0:1]
	s_mul_i32 s0, s16, s28
	s_mul_i32 s0, s0, s29
	s_mulk_i32 s0, 0x50
	s_ashr_i32 s1, s0, 31
	s_lshl_b64 s[0:1], s[0:1], 1
	s_add_u32 s2, s34, s0
	s_mul_i32 s0, s16, s30
	s_addc_u32 s3, s35, s1
	s_ashr_i32 s1, s0, 31
	s_lshl_b64 s[0:1], s[0:1], 1
	s_add_u32 s2, s2, s0
	s_mul_i32 s0, s4, 0x50
	s_addc_u32 s3, s3, s1
	s_ashr_i32 s1, s0, 31
	s_lshl_b64 s[0:1], s[0:1], 1
	s_add_u32 s0, s2, s0
	v_lshrrev_b32_e32 v0, 1, v0
	s_addc_u32 s1, s3, s1
	v_and_b32_e32 v0, 0x1fe, v0
	global_store_short_d16_hi v0, v5, s[0:1]
	s_mov_b32 s2, 0x7f800000
	v_and_b32_e32 v5, 0x7f800000, v7
	v_mov_b32_e32 v1, 0
	v_cmp_ne_u32_e32 vcc, s2, v5
                                        ; implicit-def: $vgpr5
	s_and_saveexec_b64 s[2:3], vcc
	s_xor_b64 s[2:3], exec, s[2:3]
; %bb.592:
	v_bfe_u32 v5, v7, 16, 1
	s_movk_i32 s4, 0x7fff
	v_add3_u32 v5, v7, v5, s4
; %bb.593:
	s_or_saveexec_b64 s[2:3], s[2:3]
	v_lshl_add_u64 v[8:9], s[0:1], 0, v[0:1]
	s_xor_b64 exec, exec, s[2:3]
; %bb.594:
	v_mov_b32_e32 v0, 0
	v_or_b32_e32 v1, 0x10000, v7
	v_cmp_eq_u32_sdwa vcc, v7, v0 src0_sel:WORD_0 src1_sel:DWORD
	s_nop 1
	v_cndmask_b32_e32 v5, v1, v7, vcc
; %bb.595:
	s_or_b64 exec, exec, s[2:3]
	s_mov_b32 s0, 0x7f800000
	v_and_b32_e32 v0, 0x7f800000, v2
	v_cmp_ne_u32_e32 vcc, s0, v0
	global_store_short_d16_hi v[8:9], v5, off offset:32
                                        ; implicit-def: $vgpr0
	s_and_saveexec_b64 s[0:1], vcc
	s_xor_b64 s[0:1], exec, s[0:1]
; %bb.596:
	v_bfe_u32 v0, v2, 16, 1
	s_movk_i32 s2, 0x7fff
	v_add3_u32 v0, v2, v0, s2
; %bb.597:
	s_andn2_saveexec_b64 s[0:1], s[0:1]
; %bb.598:
	v_mov_b32_e32 v0, 0
	v_or_b32_e32 v1, 0x10000, v2
	v_cmp_eq_u32_sdwa vcc, v2, v0 src0_sel:WORD_0 src1_sel:DWORD
	s_nop 1
	v_cndmask_b32_e32 v0, v1, v2, vcc
; %bb.599:
	s_or_b64 exec, exec, s[0:1]
	global_store_short_d16_hi v[8:9], v0, off offset:64
	s_mov_b32 s0, 0x7f800000
	v_and_b32_e32 v0, 0x7f800000, v3
	v_cmp_ne_u32_e32 vcc, s0, v0
                                        ; implicit-def: $vgpr0
	s_and_saveexec_b64 s[0:1], vcc
	s_xor_b64 s[0:1], exec, s[0:1]
; %bb.600:
	v_bfe_u32 v0, v3, 16, 1
	s_movk_i32 s2, 0x7fff
	v_add3_u32 v0, v3, v0, s2
; %bb.601:
	s_andn2_saveexec_b64 s[0:1], s[0:1]
; %bb.602:
	v_mov_b32_e32 v0, 0
	v_or_b32_e32 v1, 0x10000, v3
	v_cmp_eq_u32_sdwa vcc, v3, v0 src0_sel:WORD_0 src1_sel:DWORD
	s_nop 1
	v_cndmask_b32_e32 v0, v1, v3, vcc
; %bb.603:
	s_or_b64 exec, exec, s[0:1]
	global_store_short_d16_hi v[8:9], v0, off offset:96
	s_mov_b32 s0, 0x7f800000
	v_and_b32_e32 v0, 0x7f800000, v4
	v_cmp_ne_u32_e32 vcc, s0, v0
                                        ; implicit-def: $vgpr5
	s_and_saveexec_b64 s[0:1], vcc
	s_xor_b64 s[0:1], exec, s[0:1]
; %bb.604:
	v_bfe_u32 v0, v4, 16, 1
	s_movk_i32 s2, 0x7fff
	v_add3_u32 v5, v4, v0, s2
                                        ; implicit-def: $vgpr0_vgpr1_vgpr2_vgpr3_vgpr4
; %bb.605:
	s_andn2_saveexec_b64 s[0:1], s[0:1]
; %bb.606:
	v_mov_b32_e32 v0, 0
	v_or_b32_e32 v1, 0x10000, v4
	v_cmp_eq_u32_sdwa vcc, v4, v0 src0_sel:WORD_0 src1_sel:DWORD
	s_nop 1
	v_cndmask_b32_e32 v5, v1, v4, vcc
; %bb.607:
	s_or_b64 exec, exec, s[0:1]
	global_store_short_d16_hi v[8:9], v5, off offset:128
.LBB355_608:
	s_endpgm
.LBB355_609:
	v_mov_b32_e32 v5, 0xb0
	v_lshl_add_u32 v5, v1, 2, v5
	ds_read_b32 v5, v5
	s_waitcnt lgkmcnt(0)
	v_add_f32_e32 v6, v6, v5
	s_or_b64 exec, exec, s[6:7]
	s_and_saveexec_b64 s[6:7], s[0:1]
	s_cbranch_execz .LBB355_580
.LBB355_610:
	v_mov_b32_e32 v5, 0xb0
	v_lshl_add_u32 v5, v1, 2, v5
	ds_read_b32 v5, v5 offset:64
	s_waitcnt lgkmcnt(0)
	v_add_f32_e32 v7, v7, v5
	s_or_b64 exec, exec, s[6:7]
	s_and_saveexec_b64 s[6:7], s[0:1]
	s_cbranch_execz .LBB355_581
.LBB355_611:
	v_mov_b32_e32 v5, 0xb0
	v_lshl_add_u32 v5, v1, 2, v5
	ds_read_b32 v5, v5 offset:128
	s_waitcnt lgkmcnt(0)
	v_add_f32_e32 v2, v2, v5
	s_or_b64 exec, exec, s[6:7]
	s_and_saveexec_b64 s[6:7], s[0:1]
	s_cbranch_execz .LBB355_582
.LBB355_612:
	v_mov_b32_e32 v5, 0xb0
	v_lshl_add_u32 v5, v1, 2, v5
	ds_read_b32 v5, v5 offset:192
	s_waitcnt lgkmcnt(0)
	v_add_f32_e32 v3, v3, v5
	s_or_b64 exec, exec, s[6:7]
	s_and_saveexec_b64 s[6:7], s[0:1]
	s_cbranch_execnz .LBB355_583
	s_branch .LBB355_584
	.section	.rodata,"a",@progbits
	.p2align	6, 0x0
	.amdhsa_kernel _ZN4vllm25paged_attention_v2_kernelI14__hip_bfloat16hLi80ELi32ELi128ELNS_18Fp8KVCacheDataTypeE1ELb1ELi512EEEvPfS3_PT_PKS4_PKT0_SA_ifPKiSC_iPKfiiiSE_SE_iiiii
		.amdhsa_group_segment_fixed_size 176
		.amdhsa_private_segment_fixed_size 0
		.amdhsa_kernarg_size 400
		.amdhsa_user_sgpr_count 2
		.amdhsa_user_sgpr_dispatch_ptr 0
		.amdhsa_user_sgpr_queue_ptr 0
		.amdhsa_user_sgpr_kernarg_segment_ptr 1
		.amdhsa_user_sgpr_dispatch_id 0
		.amdhsa_user_sgpr_kernarg_preload_length 0
		.amdhsa_user_sgpr_kernarg_preload_offset 0
		.amdhsa_user_sgpr_private_segment_size 0
		.amdhsa_uses_dynamic_stack 0
		.amdhsa_enable_private_segment 0
		.amdhsa_system_sgpr_workgroup_id_x 1
		.amdhsa_system_sgpr_workgroup_id_y 1
		.amdhsa_system_sgpr_workgroup_id_z 1
		.amdhsa_system_sgpr_workgroup_info 0
		.amdhsa_system_vgpr_workitem_id 0
		.amdhsa_next_free_vgpr 105
		.amdhsa_next_free_sgpr 59
		.amdhsa_accum_offset 108
		.amdhsa_reserve_vcc 1
		.amdhsa_float_round_mode_32 0
		.amdhsa_float_round_mode_16_64 0
		.amdhsa_float_denorm_mode_32 3
		.amdhsa_float_denorm_mode_16_64 3
		.amdhsa_dx10_clamp 1
		.amdhsa_ieee_mode 1
		.amdhsa_fp16_overflow 0
		.amdhsa_tg_split 0
		.amdhsa_exception_fp_ieee_invalid_op 0
		.amdhsa_exception_fp_denorm_src 0
		.amdhsa_exception_fp_ieee_div_zero 0
		.amdhsa_exception_fp_ieee_overflow 0
		.amdhsa_exception_fp_ieee_underflow 0
		.amdhsa_exception_fp_ieee_inexact 0
		.amdhsa_exception_int_div_zero 0
	.end_amdhsa_kernel
	.section	.text._ZN4vllm25paged_attention_v2_kernelI14__hip_bfloat16hLi80ELi32ELi128ELNS_18Fp8KVCacheDataTypeE1ELb1ELi512EEEvPfS3_PT_PKS4_PKT0_SA_ifPKiSC_iPKfiiiSE_SE_iiiii,"axG",@progbits,_ZN4vllm25paged_attention_v2_kernelI14__hip_bfloat16hLi80ELi32ELi128ELNS_18Fp8KVCacheDataTypeE1ELb1ELi512EEEvPfS3_PT_PKS4_PKT0_SA_ifPKiSC_iPKfiiiSE_SE_iiiii,comdat
.Lfunc_end355:
	.size	_ZN4vllm25paged_attention_v2_kernelI14__hip_bfloat16hLi80ELi32ELi128ELNS_18Fp8KVCacheDataTypeE1ELb1ELi512EEEvPfS3_PT_PKS4_PKT0_SA_ifPKiSC_iPKfiiiSE_SE_iiiii, .Lfunc_end355-_ZN4vllm25paged_attention_v2_kernelI14__hip_bfloat16hLi80ELi32ELi128ELNS_18Fp8KVCacheDataTypeE1ELb1ELi512EEEvPfS3_PT_PKS4_PKT0_SA_ifPKiSC_iPKfiiiSE_SE_iiiii
                                        ; -- End function
	.section	.AMDGPU.csdata,"",@progbits
; Kernel info:
; codeLenInByte = 18816
; NumSgprs: 65
; NumVgprs: 105
; NumAgprs: 0
; TotalNumVgprs: 105
; ScratchSize: 0
; MemoryBound: 0
; FloatMode: 240
; IeeeMode: 1
; LDSByteSize: 176 bytes/workgroup (compile time only)
; SGPRBlocks: 8
; VGPRBlocks: 13
; NumSGPRsForWavesPerEU: 65
; NumVGPRsForWavesPerEU: 105
; AccumOffset: 108
; Occupancy: 4
; WaveLimiterHint : 1
; COMPUTE_PGM_RSRC2:SCRATCH_EN: 0
; COMPUTE_PGM_RSRC2:USER_SGPR: 2
; COMPUTE_PGM_RSRC2:TRAP_HANDLER: 0
; COMPUTE_PGM_RSRC2:TGID_X_EN: 1
; COMPUTE_PGM_RSRC2:TGID_Y_EN: 1
; COMPUTE_PGM_RSRC2:TGID_Z_EN: 1
; COMPUTE_PGM_RSRC2:TIDIG_COMP_CNT: 0
; COMPUTE_PGM_RSRC3_GFX90A:ACCUM_OFFSET: 26
; COMPUTE_PGM_RSRC3_GFX90A:TG_SPLIT: 0
	.section	.text._ZN4vllm25paged_attention_v2_kernelI14__hip_bfloat16hLi96ELi32ELi128ELNS_18Fp8KVCacheDataTypeE1ELb1ELi512EEEvPfS3_PT_PKS4_PKT0_SA_ifPKiSC_iPKfiiiSE_SE_iiiii,"axG",@progbits,_ZN4vllm25paged_attention_v2_kernelI14__hip_bfloat16hLi96ELi32ELi128ELNS_18Fp8KVCacheDataTypeE1ELb1ELi512EEEvPfS3_PT_PKS4_PKT0_SA_ifPKiSC_iPKfiiiSE_SE_iiiii,comdat
	.protected	_ZN4vllm25paged_attention_v2_kernelI14__hip_bfloat16hLi96ELi32ELi128ELNS_18Fp8KVCacheDataTypeE1ELb1ELi512EEEvPfS3_PT_PKS4_PKT0_SA_ifPKiSC_iPKfiiiSE_SE_iiiii ; -- Begin function _ZN4vllm25paged_attention_v2_kernelI14__hip_bfloat16hLi96ELi32ELi128ELNS_18Fp8KVCacheDataTypeE1ELb1ELi512EEEvPfS3_PT_PKS4_PKT0_SA_ifPKiSC_iPKfiiiSE_SE_iiiii
	.globl	_ZN4vllm25paged_attention_v2_kernelI14__hip_bfloat16hLi96ELi32ELi128ELNS_18Fp8KVCacheDataTypeE1ELb1ELi512EEEvPfS3_PT_PKS4_PKT0_SA_ifPKiSC_iPKfiiiSE_SE_iiiii
	.p2align	8
	.type	_ZN4vllm25paged_attention_v2_kernelI14__hip_bfloat16hLi96ELi32ELi128ELNS_18Fp8KVCacheDataTypeE1ELb1ELi512EEEvPfS3_PT_PKS4_PKT0_SA_ifPKiSC_iPKfiiiSE_SE_iiiii,@function
_ZN4vllm25paged_attention_v2_kernelI14__hip_bfloat16hLi96ELi32ELi128ELNS_18Fp8KVCacheDataTypeE1ELb1ELi512EEEvPfS3_PT_PKS4_PKT0_SA_ifPKiSC_iPKfiiiSE_SE_iiiii: ; @_ZN4vllm25paged_attention_v2_kernelI14__hip_bfloat16hLi96ELi32ELi128ELNS_18Fp8KVCacheDataTypeE1ELb1ELi512EEEvPfS3_PT_PKS4_PKT0_SA_ifPKiSC_iPKfiiiSE_SE_iiiii
; %bb.0:
	s_load_dwordx2 s[6:7], s[0:1], 0x40
	s_mov_b32 s28, s3
	s_ashr_i32 s29, s3, 31
	s_lshl_b64 s[8:9], s[28:29], 2
	s_waitcnt lgkmcnt(0)
	s_add_u32 s6, s6, s8
	s_addc_u32 s7, s7, s9
	s_load_dword s33, s[6:7], 0x0
	s_lshl_b32 s5, s4, 9
	s_waitcnt lgkmcnt(0)
	s_cmp_ge_i32 s5, s33
	s_cbranch_scc1 .LBB356_711
; %bb.1:
	s_load_dword s29, s[0:1], 0x90
	s_load_dwordx2 s[42:43], s[0:1], 0x30
	s_waitcnt lgkmcnt(0)
	s_abs_i32 s7, s29
	s_abs_i32 s3, s42
	v_cvt_f32_u32_e32 v1, s3
	s_sub_i32 s8, 0, s3
	s_xor_b32 s6, s29, s42
	s_ashr_i32 s6, s6, 31
	v_rcp_iflag_f32_e32 v1, v1
	s_nop 0
	v_mul_f32_e32 v1, 0x4f7ffffe, v1
	v_cvt_u32_f32_e32 v1, v1
	s_nop 0
	v_readfirstlane_b32 s9, v1
	s_mul_i32 s8, s8, s9
	s_mul_hi_u32 s8, s9, s8
	s_add_i32 s9, s9, s8
	s_mul_hi_u32 s8, s7, s9
	s_mul_i32 s9, s8, s3
	s_sub_i32 s7, s7, s9
	s_add_i32 s10, s8, 1
	s_sub_i32 s9, s7, s3
	s_cmp_ge_u32 s7, s3
	s_cselect_b32 s8, s10, s8
	s_cselect_b32 s7, s9, s7
	s_add_i32 s9, s8, 1
	s_cmp_ge_u32 s7, s3
	s_cselect_b32 s3, s9, s8
	s_xor_b32 s3, s3, s6
	s_sub_i32 s12, s3, s6
	s_abs_i32 s8, s12
	v_cvt_f32_u32_e32 v1, s8
	s_load_dwordx2 s[6:7], s[0:1], 0x50
	s_sub_i32 s10, 0, s8
	s_abs_i32 s9, s2
	v_rcp_iflag_f32_e32 v1, v1
	s_mov_b32 s3, 0
	v_mul_f32_e32 v1, 0x4f7ffffe, v1
	v_cvt_u32_f32_e32 v1, v1
	s_nop 0
	v_readfirstlane_b32 s11, v1
	s_mul_i32 s10, s10, s11
	s_mul_hi_u32 s10, s11, s10
	s_add_i32 s11, s11, s10
	s_waitcnt lgkmcnt(0)
	s_cmp_eq_u64 s[6:7], 0
	s_mul_hi_u32 s10, s9, s11
	s_cbranch_scc1 .LBB356_3
; %bb.2:
	s_ashr_i32 s3, s2, 31
	s_lshl_b64 s[14:15], s[2:3], 2
	s_add_u32 s6, s6, s14
	s_addc_u32 s7, s7, s15
	s_load_dword s3, s[6:7], 0x0
.LBB356_3:
	s_load_dwordx4 s[16:19], s[0:1], 0x58
	s_ashr_i32 s11, s2, 31
	s_ashr_i32 s12, s12, 31
	v_and_b32_e32 v2, 1, v0
	s_movk_i32 s13, 0x60
	s_mul_i32 s30, s2, 0x60
	v_cmp_gt_u32_e32 vcc, 24, v0
	v_lshlrev_b32_e32 v36, 3, v0
	s_and_saveexec_b64 s[6:7], vcc
	s_cbranch_execz .LBB356_5
; %bb.4:
	s_load_dwordx2 s[14:15], s[0:1], 0x18
	s_waitcnt lgkmcnt(0)
	s_mul_i32 s20, s28, s16
	s_ashr_i32 s21, s20, 31
	s_lshl_b64 s[20:21], s[20:21], 1
	v_lshlrev_b32_e32 v1, 2, v0
	s_add_u32 s16, s14, s20
	s_addc_u32 s19, s15, s21
	s_ashr_i32 s31, s30, 31
	s_lshl_b64 s[14:15], s[30:31], 1
	s_add_u32 s14, s16, s14
	s_addc_u32 s15, s19, s15
	global_load_dwordx2 v[4:5], v36, s[14:15]
	v_and_b32_e32 v1, 0xff8, v1
	v_mad_u32_u24 v1, v2, s13, v1
	s_waitcnt vmcnt(0)
	ds_write_b64 v1, v[4:5]
.LBB356_5:
	s_or_b64 exec, exec, s[6:7]
	s_mul_i32 s7, s10, s8
	s_sub_i32 s7, s9, s7
	s_xor_b32 s6, s11, s12
	s_add_i32 s9, s10, 1
	s_sub_i32 s11, s7, s8
	s_load_dwordx4 s[20:23], s[0:1], 0x78
	s_cmp_ge_u32 s7, s8
	s_cselect_b32 s9, s9, s10
	s_cselect_b32 s7, s11, s7
	s_add_i32 s10, s9, 1
	s_cmp_ge_u32 s7, s8
	s_cselect_b32 s7, s10, s9
	s_load_dword s10, s[0:1], 0x88
	s_waitcnt lgkmcnt(0)
	s_abs_i32 s31, s23
	v_cvt_f32_u32_e32 v1, s31
	s_xor_b32 s7, s7, s6
	s_sub_i32 s51, s7, s6
	s_sub_i32 s6, 0, s31
	v_rcp_iflag_f32_e32 v1, v1
	s_add_i32 s11, s33, -1
	s_abs_i32 s8, s11
	v_mul_f32_e32 v1, 0x4f7ffffe, v1
	v_cvt_u32_f32_e32 v1, v1
	s_barrier
	v_readfirstlane_b32 s48, v1
	s_mul_i32 s6, s6, s48
	s_mul_hi_u32 s6, s48, s6
	s_add_i32 s48, s48, s6
	s_cmp_lt_i32 s10, 0
	s_mul_hi_u32 s9, s8, s48
	s_cbranch_scc0 .LBB356_7
; %bb.6:
	s_mul_i32 s6, s20, s42
	s_add_i32 s6, s51, s6
	s_mul_i32 s6, s6, s10
	s_sub_i32 s42, 1, s6
	s_mov_b64 s[6:7], 0
	s_branch .LBB356_8
.LBB356_7:
	s_mov_b64 s[6:7], -1
                                        ; implicit-def: $sgpr42
.LBB356_8:
	s_load_dwordx2 s[36:37], s[0:1], 0x38
	s_ashr_i32 s11, s11, 31
	s_andn2_b64 vcc, exec, s[6:7]
	s_ashr_i32 s23, s23, 31
	s_cbranch_vccnz .LBB356_10
; %bb.9:
	s_mul_i32 s6, s29, s20
	s_add_i32 s6, s6, s2
	s_mul_i32 s6, s6, s10
	s_add_i32 s42, s6, 1
.LBB356_10:
	s_load_dwordx2 s[40:41], s[0:1], 0x28
	s_load_dword s6, s[0:1], 0x48
	s_load_dwordx4 s[24:27], s[0:1], 0x0
	s_load_dwordx2 s[34:35], s[0:1], 0x10
	s_load_dword s16, s[0:1], 0x98
	s_load_dwordx4 s[12:15], s[0:1], 0x68
	s_mul_i32 s7, s9, s31
	s_waitcnt lgkmcnt(0)
	s_mul_i32 s38, s28, s6
	s_sub_i32 s7, s8, s7
	s_ashr_i32 s39, s38, 31
	s_xor_b32 s6, s11, s23
	s_add_i32 s8, s9, 1
	s_sub_i32 s10, s7, s31
	s_cmp_ge_u32 s7, s31
	s_cselect_b32 s8, s8, s9
	s_cselect_b32 s7, s10, s7
	s_add_i32 s9, s8, 1
	s_cmp_ge_u32 s7, s31
	s_cselect_b32 s7, s9, s8
	s_xor_b32 s7, s7, s6
	s_sub_i32 s50, s7, s6
	s_add_i32 s6, s33, 31
	s_ashr_i32 s7, s6, 31
	s_lshr_b32 s7, s7, 27
	s_add_i32 s6, s6, s7
	s_lshl_b32 s52, s4, 4
	s_ashr_i32 s49, s6, 5
	s_add_i32 s6, s52, 16
	v_lshrrev_b32_e32 v37, 6, v0
	s_min_i32 s20, s6, s49
	v_or_b32_e32 v26, s52, v37
	v_cmp_gt_i32_e64 s[8:9], s20, v26
	v_mov_b32_e32 v41, 0xff7fffff
	s_mul_i32 s51, s51, s18
	v_ashrrev_i32_e32 v27, 31, v26
	v_lshl_add_u32 v1, v37, 5, s5
	v_mbcnt_lo_u32_b32 v38, -1, 0
	s_and_saveexec_b64 s[18:19], s[8:9]
	s_cbranch_execz .LBB356_212
; %bb.11:
	s_load_dwordx2 s[0:1], s[0:1], 0x20
	s_sub_i32 s53, s50, s21
	s_ashr_i32 s6, s51, 31
	v_bfe_u32 v39, v0, 1, 5
	v_mov_b32_e32 v29, 0
	s_waitcnt lgkmcnt(0)
	s_add_u32 s0, s0, s51
	s_addc_u32 s1, s1, s6
	s_abs_i32 s54, s22
	v_cvt_f32_u32_e32 v3, s54
	v_lshlrev_b32_e32 v28, 4, v39
	v_lshl_add_u64 v[30:31], s[0:1], 0, v[28:29]
	s_sub_i32 s0, 0, s54
	v_rcp_iflag_f32_e32 v3, v3
	v_cmp_eq_u32_e32 vcc, 0, v2
	v_mul_u32_u24_e32 v40, 0x60, v2
	v_lshlrev_b32_e32 v28, 2, v2
	v_mul_f32_e32 v3, 0x4f7ffffe, v3
	v_cvt_u32_f32_e32 v3, v3
	s_mov_b32 s55, s17
	v_cmp_neq_f32_e64 s[6:7], s3, 0
	v_lshl_add_u32 v43, v37, 5, s5
	v_mul_lo_u32 v2, s0, v3
	v_mul_hi_u32 v2, v3, v2
	v_add_u32_e32 v42, v3, v2
	s_lshl_b64 s[0:1], s[38:39], 2
	v_lshlrev_b32_e32 v2, 2, v39
	s_add_u32 s0, s36, s0
	v_lshl_or_b32 v2, v37, 7, v2
	s_addc_u32 s1, s37, s1
	v_add_u32_e32 v44, 0xd0, v2
	v_subrev_u32_e32 v2, s33, v39
	v_lshl_add_u64 v[32:33], v[26:27], 2, s[0:1]
	v_add_u32_e32 v45, 1, v2
	s_mov_b64 s[44:45], 0
	v_mov_b32_e32 v46, 0xff7fffff
	s_mov_b32 s56, 0x7f800000
	s_movk_i32 s57, 0x7fff
	v_mbcnt_hi_u32_b32 v47, -1, v38
	v_mov_b32_e32 v41, 0xff7fffff
	v_mov_b32_e32 v48, v26
	s_branch .LBB356_14
.LBB356_12:                             ;   in Loop: Header=BB356_14 Depth=1
	s_or_b64 exec, exec, s[46:47]
.LBB356_13:                             ;   in Loop: Header=BB356_14 Depth=1
	s_or_b64 exec, exec, s[10:11]
	v_add_u32_e32 v48, 2, v48
	v_cmp_le_i32_e64 s[0:1], s20, v48
	v_lshl_add_u64 v[32:33], v[32:33], 0, 8
	v_add_u32_e32 v43, 64, v43
	s_or_b64 s[44:45], s[0:1], s[44:45]
	v_add_u32_e32 v44, 0x100, v44
	s_andn2_b64 exec, exec, s[44:45]
	s_cbranch_execz .LBB356_211
.LBB356_14:                             ; =>This Inner Loop Header: Depth=1
	s_waitcnt lgkmcnt(0)
	v_sub_u32_e32 v3, 0, v43
	v_max_i32_e32 v3, v43, v3
	v_mul_hi_u32 v4, v3, s48
	v_mul_lo_u32 v5, v4, s31
	v_sub_u32_e32 v3, v3, v5
	v_add_u32_e32 v5, 1, v4
	v_cmp_le_u32_e64 s[0:1], s31, v3
	v_ashrrev_i32_e32 v2, 31, v43
	v_xor_b32_e32 v2, s23, v2
	v_cndmask_b32_e64 v4, v4, v5, s[0:1]
	v_subrev_u32_e32 v5, s31, v3
	v_cndmask_b32_e64 v3, v3, v5, s[0:1]
	v_add_u32_e32 v5, 1, v4
	v_cmp_le_u32_e64 s[0:1], s31, v3
	s_nop 1
	v_cndmask_b32_e64 v3, v4, v5, s[0:1]
	v_xor_b32_e32 v3, v3, v2
	v_sub_u32_e32 v2, v3, v2
	v_add_u32_e32 v3, s42, v2
	v_sub_u32_e32 v5, 0, v3
	v_ashrrev_i32_e32 v4, 31, v3
	v_max_i32_e32 v3, v3, v5
	v_mul_hi_u32 v5, v3, v42
	v_mul_lo_u32 v5, v5, s54
	v_sub_u32_e32 v3, v3, v5
	v_subrev_u32_e32 v5, s54, v3
	v_cmp_le_u32_e64 s[0:1], s54, v3
	v_cmp_ge_i32_e64 s[10:11], s53, v2
	s_nop 0
	v_cndmask_b32_e64 v3, v3, v5, s[0:1]
	v_subrev_u32_e32 v5, s54, v3
	v_cmp_le_u32_e64 s[0:1], s54, v3
	s_nop 1
	v_cndmask_b32_e64 v3, v3, v5, s[0:1]
	v_xor_b32_e32 v3, v3, v4
	v_sub_u32_e32 v3, v3, v4
	v_cmp_ne_u32_e64 s[0:1], 0, v3
	s_and_b64 s[0:1], s[0:1], s[10:11]
	s_and_b64 s[46:47], vcc, s[0:1]
	s_and_saveexec_b64 s[10:11], s[46:47]
	s_cbranch_execz .LBB356_16
; %bb.15:                               ;   in Loop: Header=BB356_14 Depth=1
	ds_write_b32 v44, v46
.LBB356_16:                             ;   in Loop: Header=BB356_14 Depth=1
	s_or_b64 exec, exec, s[10:11]
	s_xor_b64 s[0:1], s[0:1], -1
	s_and_saveexec_b64 s[10:11], s[0:1]
	s_cbranch_execz .LBB356_13
; %bb.17:                               ;   in Loop: Header=BB356_14 Depth=1
	global_load_dword v2, v[32:33], off
	s_waitcnt vmcnt(0)
	v_mad_i64_i32 v[2:3], s[0:1], v2, s55, v[30:31]
	v_lshl_add_u64 v[34:35], v[2:3], 0, v[28:29]
	global_load_dword v52, v[34:35], off
	ds_read_b128 v[22:25], v40
	ds_read_b128 v[18:21], v40 offset:16
	ds_read_b128 v[14:17], v40 offset:32
	;; [unrolled: 1-line block ×3, first 2 shown]
	s_load_dword s58, s[12:13], 0x0
	s_waitcnt vmcnt(0)
	v_and_b32_e32 v2, 0xff, v52
	v_cvt_f32_fp8_sdwa v49, v2 src0_sel:BYTE_0
	ds_read_b128 v[10:13], v40 offset:64
	ds_read_b128 v[2:5], v40 offset:80
	s_waitcnt lgkmcnt(0)
	v_mul_f32_e32 v50, s58, v49
	v_and_b32_e32 v49, 0x7f800000, v50
	v_cmp_ne_u32_e64 s[0:1], s56, v49
                                        ; implicit-def: $vgpr49
	s_and_saveexec_b64 s[46:47], s[0:1]
	s_xor_b64 s[0:1], exec, s[46:47]
; %bb.18:                               ;   in Loop: Header=BB356_14 Depth=1
	v_bfe_u32 v49, v50, 16, 1
	v_add3_u32 v49, v50, v49, s57
                                        ; implicit-def: $vgpr50
; %bb.19:                               ;   in Loop: Header=BB356_14 Depth=1
	s_andn2_saveexec_b64 s[46:47], s[0:1]
; %bb.20:                               ;   in Loop: Header=BB356_14 Depth=1
	v_or_b32_e32 v49, 0x10000, v50
	v_cmp_eq_u32_sdwa s[0:1], v50, v29 src0_sel:WORD_0 src1_sel:DWORD
	s_nop 1
	v_cndmask_b32_e64 v49, v49, v50, s[0:1]
; %bb.21:                               ;   in Loop: Header=BB356_14 Depth=1
	s_or_b64 exec, exec, s[46:47]
	v_bfe_u32 v50, v52, 8, 8
	v_cvt_f32_fp8_sdwa v50, v50 src0_sel:BYTE_0
	s_nop 0
	v_mul_f32_e32 v51, s58, v50
	v_and_b32_e32 v50, 0x7f800000, v51
	v_cmp_ne_u32_e64 s[0:1], s56, v50
                                        ; implicit-def: $vgpr50
	s_and_saveexec_b64 s[46:47], s[0:1]
	s_xor_b64 s[0:1], exec, s[46:47]
; %bb.22:                               ;   in Loop: Header=BB356_14 Depth=1
	v_bfe_u32 v50, v51, 16, 1
	v_add3_u32 v50, v51, v50, s57
                                        ; implicit-def: $vgpr51
; %bb.23:                               ;   in Loop: Header=BB356_14 Depth=1
	s_andn2_saveexec_b64 s[46:47], s[0:1]
; %bb.24:                               ;   in Loop: Header=BB356_14 Depth=1
	v_or_b32_e32 v50, 0x10000, v51
	v_cmp_eq_u32_sdwa s[0:1], v51, v29 src0_sel:WORD_0 src1_sel:DWORD
	s_nop 1
	v_cndmask_b32_e64 v50, v50, v51, s[0:1]
; %bb.25:                               ;   in Loop: Header=BB356_14 Depth=1
	s_or_b64 exec, exec, s[46:47]
	v_bfe_u32 v51, v52, 16, 8
	v_cvt_f32_fp8_sdwa v51, v51 src0_sel:BYTE_0
	s_nop 0
	v_mul_f32_e32 v53, s58, v51
	v_and_b32_e32 v51, 0x7f800000, v53
	v_cmp_ne_u32_e64 s[0:1], s56, v51
                                        ; implicit-def: $vgpr51
	s_and_saveexec_b64 s[46:47], s[0:1]
	s_xor_b64 s[0:1], exec, s[46:47]
; %bb.26:                               ;   in Loop: Header=BB356_14 Depth=1
	v_bfe_u32 v51, v53, 16, 1
	v_add3_u32 v51, v53, v51, s57
                                        ; implicit-def: $vgpr53
; %bb.27:                               ;   in Loop: Header=BB356_14 Depth=1
	s_andn2_saveexec_b64 s[46:47], s[0:1]
; %bb.28:                               ;   in Loop: Header=BB356_14 Depth=1
	v_or_b32_e32 v51, 0x10000, v53
	v_cmp_eq_u32_sdwa s[0:1], v53, v29 src0_sel:WORD_0 src1_sel:DWORD
	s_nop 1
	v_cndmask_b32_e64 v51, v51, v53, s[0:1]
; %bb.29:                               ;   in Loop: Header=BB356_14 Depth=1
	s_or_b64 exec, exec, s[46:47]
	v_lshrrev_b32_e32 v52, 24, v52
	v_cvt_f32_fp8_sdwa v52, v52 src0_sel:BYTE_0
	s_nop 0
	v_mul_f32_e32 v53, s58, v52
	v_and_b32_e32 v52, 0x7f800000, v53
	v_cmp_ne_u32_e64 s[0:1], s56, v52
                                        ; implicit-def: $vgpr52
	s_and_saveexec_b64 s[46:47], s[0:1]
	s_xor_b64 s[0:1], exec, s[46:47]
; %bb.30:                               ;   in Loop: Header=BB356_14 Depth=1
	v_bfe_u32 v52, v53, 16, 1
	v_add3_u32 v52, v53, v52, s57
                                        ; implicit-def: $vgpr53
; %bb.31:                               ;   in Loop: Header=BB356_14 Depth=1
	s_andn2_saveexec_b64 s[46:47], s[0:1]
; %bb.32:                               ;   in Loop: Header=BB356_14 Depth=1
	v_or_b32_e32 v52, 0x10000, v53
	v_cmp_eq_u32_sdwa s[0:1], v53, v29 src0_sel:WORD_0 src1_sel:DWORD
	s_nop 1
	v_cndmask_b32_e64 v52, v52, v53, s[0:1]
; %bb.33:                               ;   in Loop: Header=BB356_14 Depth=1
	s_or_b64 exec, exec, s[46:47]
	global_load_dword v56, v[34:35], off offset:8
	s_waitcnt vmcnt(0)
	v_and_b32_e32 v53, 0xff, v56
	v_cvt_f32_fp8_sdwa v53, v53 src0_sel:BYTE_0
	s_nop 0
	v_mul_f32_e32 v54, s58, v53
	v_and_b32_e32 v53, 0x7f800000, v54
	v_cmp_ne_u32_e64 s[0:1], s56, v53
                                        ; implicit-def: $vgpr53
	s_and_saveexec_b64 s[46:47], s[0:1]
	s_xor_b64 s[0:1], exec, s[46:47]
; %bb.34:                               ;   in Loop: Header=BB356_14 Depth=1
	v_bfe_u32 v53, v54, 16, 1
	v_add3_u32 v53, v54, v53, s57
                                        ; implicit-def: $vgpr54
; %bb.35:                               ;   in Loop: Header=BB356_14 Depth=1
	s_andn2_saveexec_b64 s[46:47], s[0:1]
; %bb.36:                               ;   in Loop: Header=BB356_14 Depth=1
	v_or_b32_e32 v53, 0x10000, v54
	v_cmp_eq_u32_sdwa s[0:1], v54, v29 src0_sel:WORD_0 src1_sel:DWORD
	s_nop 1
	v_cndmask_b32_e64 v53, v53, v54, s[0:1]
; %bb.37:                               ;   in Loop: Header=BB356_14 Depth=1
	s_or_b64 exec, exec, s[46:47]
	v_bfe_u32 v54, v56, 8, 8
	v_cvt_f32_fp8_sdwa v54, v54 src0_sel:BYTE_0
	s_nop 0
	v_mul_f32_e32 v55, s58, v54
	v_and_b32_e32 v54, 0x7f800000, v55
	v_cmp_ne_u32_e64 s[0:1], s56, v54
                                        ; implicit-def: $vgpr54
	s_and_saveexec_b64 s[46:47], s[0:1]
	s_xor_b64 s[0:1], exec, s[46:47]
; %bb.38:                               ;   in Loop: Header=BB356_14 Depth=1
	v_bfe_u32 v54, v55, 16, 1
	v_add3_u32 v54, v55, v54, s57
                                        ; implicit-def: $vgpr55
; %bb.39:                               ;   in Loop: Header=BB356_14 Depth=1
	s_andn2_saveexec_b64 s[46:47], s[0:1]
; %bb.40:                               ;   in Loop: Header=BB356_14 Depth=1
	v_or_b32_e32 v54, 0x10000, v55
	v_cmp_eq_u32_sdwa s[0:1], v55, v29 src0_sel:WORD_0 src1_sel:DWORD
	s_nop 1
	v_cndmask_b32_e64 v54, v54, v55, s[0:1]
; %bb.41:                               ;   in Loop: Header=BB356_14 Depth=1
	s_or_b64 exec, exec, s[46:47]
	v_bfe_u32 v55, v56, 16, 8
	v_cvt_f32_fp8_sdwa v55, v55 src0_sel:BYTE_0
	s_nop 0
	v_mul_f32_e32 v57, s58, v55
	v_and_b32_e32 v55, 0x7f800000, v57
	v_cmp_ne_u32_e64 s[0:1], s56, v55
                                        ; implicit-def: $vgpr55
	s_and_saveexec_b64 s[46:47], s[0:1]
	s_xor_b64 s[0:1], exec, s[46:47]
; %bb.42:                               ;   in Loop: Header=BB356_14 Depth=1
	v_bfe_u32 v55, v57, 16, 1
	v_add3_u32 v55, v57, v55, s57
                                        ; implicit-def: $vgpr57
; %bb.43:                               ;   in Loop: Header=BB356_14 Depth=1
	s_andn2_saveexec_b64 s[46:47], s[0:1]
; %bb.44:                               ;   in Loop: Header=BB356_14 Depth=1
	v_or_b32_e32 v55, 0x10000, v57
	v_cmp_eq_u32_sdwa s[0:1], v57, v29 src0_sel:WORD_0 src1_sel:DWORD
	s_nop 1
	v_cndmask_b32_e64 v55, v55, v57, s[0:1]
; %bb.45:                               ;   in Loop: Header=BB356_14 Depth=1
	s_or_b64 exec, exec, s[46:47]
	v_lshrrev_b32_e32 v56, 24, v56
	v_cvt_f32_fp8_sdwa v56, v56 src0_sel:BYTE_0
	s_nop 0
	v_mul_f32_e32 v57, s58, v56
	v_and_b32_e32 v56, 0x7f800000, v57
	v_cmp_ne_u32_e64 s[0:1], s56, v56
                                        ; implicit-def: $vgpr56
	s_and_saveexec_b64 s[46:47], s[0:1]
	s_xor_b64 s[0:1], exec, s[46:47]
; %bb.46:                               ;   in Loop: Header=BB356_14 Depth=1
	v_bfe_u32 v56, v57, 16, 1
	v_add3_u32 v56, v57, v56, s57
                                        ; implicit-def: $vgpr57
; %bb.47:                               ;   in Loop: Header=BB356_14 Depth=1
	s_andn2_saveexec_b64 s[46:47], s[0:1]
; %bb.48:                               ;   in Loop: Header=BB356_14 Depth=1
	v_or_b32_e32 v56, 0x10000, v57
	v_cmp_eq_u32_sdwa s[0:1], v57, v29 src0_sel:WORD_0 src1_sel:DWORD
	s_nop 1
	v_cndmask_b32_e64 v56, v56, v57, s[0:1]
; %bb.49:                               ;   in Loop: Header=BB356_14 Depth=1
	s_or_b64 exec, exec, s[46:47]
	global_load_dword v60, v[34:35], off offset:512
	s_waitcnt vmcnt(0)
	v_and_b32_e32 v57, 0xff, v60
	v_cvt_f32_fp8_sdwa v57, v57 src0_sel:BYTE_0
	s_nop 0
	v_mul_f32_e32 v58, s58, v57
	v_and_b32_e32 v57, 0x7f800000, v58
	v_cmp_ne_u32_e64 s[0:1], s56, v57
                                        ; implicit-def: $vgpr57
	s_and_saveexec_b64 s[46:47], s[0:1]
	s_xor_b64 s[0:1], exec, s[46:47]
; %bb.50:                               ;   in Loop: Header=BB356_14 Depth=1
	v_bfe_u32 v57, v58, 16, 1
	v_add3_u32 v57, v58, v57, s57
                                        ; implicit-def: $vgpr58
; %bb.51:                               ;   in Loop: Header=BB356_14 Depth=1
	s_andn2_saveexec_b64 s[46:47], s[0:1]
; %bb.52:                               ;   in Loop: Header=BB356_14 Depth=1
	v_or_b32_e32 v57, 0x10000, v58
	v_cmp_eq_u32_sdwa s[0:1], v58, v29 src0_sel:WORD_0 src1_sel:DWORD
	s_nop 1
	v_cndmask_b32_e64 v57, v57, v58, s[0:1]
; %bb.53:                               ;   in Loop: Header=BB356_14 Depth=1
	s_or_b64 exec, exec, s[46:47]
	v_bfe_u32 v58, v60, 8, 8
	v_cvt_f32_fp8_sdwa v58, v58 src0_sel:BYTE_0
	s_nop 0
	v_mul_f32_e32 v59, s58, v58
	v_and_b32_e32 v58, 0x7f800000, v59
	v_cmp_ne_u32_e64 s[0:1], s56, v58
                                        ; implicit-def: $vgpr58
	s_and_saveexec_b64 s[46:47], s[0:1]
	s_xor_b64 s[0:1], exec, s[46:47]
; %bb.54:                               ;   in Loop: Header=BB356_14 Depth=1
	v_bfe_u32 v58, v59, 16, 1
	v_add3_u32 v58, v59, v58, s57
                                        ; implicit-def: $vgpr59
; %bb.55:                               ;   in Loop: Header=BB356_14 Depth=1
	s_andn2_saveexec_b64 s[46:47], s[0:1]
; %bb.56:                               ;   in Loop: Header=BB356_14 Depth=1
	v_or_b32_e32 v58, 0x10000, v59
	v_cmp_eq_u32_sdwa s[0:1], v59, v29 src0_sel:WORD_0 src1_sel:DWORD
	s_nop 1
	v_cndmask_b32_e64 v58, v58, v59, s[0:1]
; %bb.57:                               ;   in Loop: Header=BB356_14 Depth=1
	s_or_b64 exec, exec, s[46:47]
	v_bfe_u32 v59, v60, 16, 8
	v_cvt_f32_fp8_sdwa v59, v59 src0_sel:BYTE_0
	s_nop 0
	v_mul_f32_e32 v61, s58, v59
	v_and_b32_e32 v59, 0x7f800000, v61
	v_cmp_ne_u32_e64 s[0:1], s56, v59
                                        ; implicit-def: $vgpr59
	s_and_saveexec_b64 s[46:47], s[0:1]
	s_xor_b64 s[0:1], exec, s[46:47]
; %bb.58:                               ;   in Loop: Header=BB356_14 Depth=1
	v_bfe_u32 v59, v61, 16, 1
	v_add3_u32 v59, v61, v59, s57
                                        ; implicit-def: $vgpr61
; %bb.59:                               ;   in Loop: Header=BB356_14 Depth=1
	s_andn2_saveexec_b64 s[46:47], s[0:1]
; %bb.60:                               ;   in Loop: Header=BB356_14 Depth=1
	v_or_b32_e32 v59, 0x10000, v61
	v_cmp_eq_u32_sdwa s[0:1], v61, v29 src0_sel:WORD_0 src1_sel:DWORD
	s_nop 1
	v_cndmask_b32_e64 v59, v59, v61, s[0:1]
; %bb.61:                               ;   in Loop: Header=BB356_14 Depth=1
	s_or_b64 exec, exec, s[46:47]
	v_lshrrev_b32_e32 v60, 24, v60
	v_cvt_f32_fp8_sdwa v60, v60 src0_sel:BYTE_0
	s_nop 0
	v_mul_f32_e32 v61, s58, v60
	v_and_b32_e32 v60, 0x7f800000, v61
	v_cmp_ne_u32_e64 s[0:1], s56, v60
                                        ; implicit-def: $vgpr60
	s_and_saveexec_b64 s[46:47], s[0:1]
	s_xor_b64 s[0:1], exec, s[46:47]
; %bb.62:                               ;   in Loop: Header=BB356_14 Depth=1
	v_bfe_u32 v60, v61, 16, 1
	v_add3_u32 v60, v61, v60, s57
                                        ; implicit-def: $vgpr61
; %bb.63:                               ;   in Loop: Header=BB356_14 Depth=1
	s_andn2_saveexec_b64 s[46:47], s[0:1]
; %bb.64:                               ;   in Loop: Header=BB356_14 Depth=1
	v_or_b32_e32 v60, 0x10000, v61
	v_cmp_eq_u32_sdwa s[0:1], v61, v29 src0_sel:WORD_0 src1_sel:DWORD
	s_nop 1
	v_cndmask_b32_e64 v60, v60, v61, s[0:1]
; %bb.65:                               ;   in Loop: Header=BB356_14 Depth=1
	s_or_b64 exec, exec, s[46:47]
	global_load_dword v64, v[34:35], off offset:520
	s_waitcnt vmcnt(0)
	v_and_b32_e32 v61, 0xff, v64
	v_cvt_f32_fp8_sdwa v61, v61 src0_sel:BYTE_0
	s_nop 0
	v_mul_f32_e32 v62, s58, v61
	v_and_b32_e32 v61, 0x7f800000, v62
	v_cmp_ne_u32_e64 s[0:1], s56, v61
                                        ; implicit-def: $vgpr61
	s_and_saveexec_b64 s[46:47], s[0:1]
	s_xor_b64 s[0:1], exec, s[46:47]
; %bb.66:                               ;   in Loop: Header=BB356_14 Depth=1
	v_bfe_u32 v61, v62, 16, 1
	v_add3_u32 v61, v62, v61, s57
                                        ; implicit-def: $vgpr62
; %bb.67:                               ;   in Loop: Header=BB356_14 Depth=1
	s_andn2_saveexec_b64 s[46:47], s[0:1]
; %bb.68:                               ;   in Loop: Header=BB356_14 Depth=1
	v_or_b32_e32 v61, 0x10000, v62
	v_cmp_eq_u32_sdwa s[0:1], v62, v29 src0_sel:WORD_0 src1_sel:DWORD
	s_nop 1
	v_cndmask_b32_e64 v61, v61, v62, s[0:1]
; %bb.69:                               ;   in Loop: Header=BB356_14 Depth=1
	s_or_b64 exec, exec, s[46:47]
	v_bfe_u32 v62, v64, 8, 8
	v_cvt_f32_fp8_sdwa v62, v62 src0_sel:BYTE_0
	s_nop 0
	v_mul_f32_e32 v63, s58, v62
	v_and_b32_e32 v62, 0x7f800000, v63
	v_cmp_ne_u32_e64 s[0:1], s56, v62
                                        ; implicit-def: $vgpr62
	s_and_saveexec_b64 s[46:47], s[0:1]
	s_xor_b64 s[0:1], exec, s[46:47]
; %bb.70:                               ;   in Loop: Header=BB356_14 Depth=1
	v_bfe_u32 v62, v63, 16, 1
	v_add3_u32 v62, v63, v62, s57
                                        ; implicit-def: $vgpr63
; %bb.71:                               ;   in Loop: Header=BB356_14 Depth=1
	s_andn2_saveexec_b64 s[46:47], s[0:1]
; %bb.72:                               ;   in Loop: Header=BB356_14 Depth=1
	v_or_b32_e32 v62, 0x10000, v63
	v_cmp_eq_u32_sdwa s[0:1], v63, v29 src0_sel:WORD_0 src1_sel:DWORD
	s_nop 1
	v_cndmask_b32_e64 v62, v62, v63, s[0:1]
; %bb.73:                               ;   in Loop: Header=BB356_14 Depth=1
	s_or_b64 exec, exec, s[46:47]
	v_bfe_u32 v63, v64, 16, 8
	v_cvt_f32_fp8_sdwa v63, v63 src0_sel:BYTE_0
	s_nop 0
	v_mul_f32_e32 v65, s58, v63
	v_and_b32_e32 v63, 0x7f800000, v65
	v_cmp_ne_u32_e64 s[0:1], s56, v63
                                        ; implicit-def: $vgpr63
	s_and_saveexec_b64 s[46:47], s[0:1]
	s_xor_b64 s[0:1], exec, s[46:47]
; %bb.74:                               ;   in Loop: Header=BB356_14 Depth=1
	v_bfe_u32 v63, v65, 16, 1
	v_add3_u32 v63, v65, v63, s57
                                        ; implicit-def: $vgpr65
; %bb.75:                               ;   in Loop: Header=BB356_14 Depth=1
	s_andn2_saveexec_b64 s[46:47], s[0:1]
; %bb.76:                               ;   in Loop: Header=BB356_14 Depth=1
	v_or_b32_e32 v63, 0x10000, v65
	v_cmp_eq_u32_sdwa s[0:1], v65, v29 src0_sel:WORD_0 src1_sel:DWORD
	s_nop 1
	v_cndmask_b32_e64 v63, v63, v65, s[0:1]
; %bb.77:                               ;   in Loop: Header=BB356_14 Depth=1
	s_or_b64 exec, exec, s[46:47]
	v_lshrrev_b32_e32 v64, 24, v64
	v_cvt_f32_fp8_sdwa v64, v64 src0_sel:BYTE_0
	s_nop 0
	v_mul_f32_e32 v65, s58, v64
	v_and_b32_e32 v64, 0x7f800000, v65
	v_cmp_ne_u32_e64 s[0:1], s56, v64
                                        ; implicit-def: $vgpr64
	s_and_saveexec_b64 s[46:47], s[0:1]
	s_xor_b64 s[0:1], exec, s[46:47]
; %bb.78:                               ;   in Loop: Header=BB356_14 Depth=1
	v_bfe_u32 v64, v65, 16, 1
	v_add3_u32 v64, v65, v64, s57
                                        ; implicit-def: $vgpr65
; %bb.79:                               ;   in Loop: Header=BB356_14 Depth=1
	s_andn2_saveexec_b64 s[46:47], s[0:1]
; %bb.80:                               ;   in Loop: Header=BB356_14 Depth=1
	v_or_b32_e32 v64, 0x10000, v65
	v_cmp_eq_u32_sdwa s[0:1], v65, v29 src0_sel:WORD_0 src1_sel:DWORD
	s_nop 1
	v_cndmask_b32_e64 v64, v64, v65, s[0:1]
; %bb.81:                               ;   in Loop: Header=BB356_14 Depth=1
	s_or_b64 exec, exec, s[46:47]
	global_load_dword v68, v[34:35], off offset:1024
	s_waitcnt vmcnt(0)
	v_and_b32_e32 v65, 0xff, v68
	v_cvt_f32_fp8_sdwa v65, v65 src0_sel:BYTE_0
	s_nop 0
	v_mul_f32_e32 v66, s58, v65
	v_and_b32_e32 v65, 0x7f800000, v66
	v_cmp_ne_u32_e64 s[0:1], s56, v65
                                        ; implicit-def: $vgpr65
	s_and_saveexec_b64 s[46:47], s[0:1]
	s_xor_b64 s[0:1], exec, s[46:47]
; %bb.82:                               ;   in Loop: Header=BB356_14 Depth=1
	v_bfe_u32 v65, v66, 16, 1
	v_add3_u32 v65, v66, v65, s57
                                        ; implicit-def: $vgpr66
; %bb.83:                               ;   in Loop: Header=BB356_14 Depth=1
	s_andn2_saveexec_b64 s[46:47], s[0:1]
; %bb.84:                               ;   in Loop: Header=BB356_14 Depth=1
	v_or_b32_e32 v65, 0x10000, v66
	v_cmp_eq_u32_sdwa s[0:1], v66, v29 src0_sel:WORD_0 src1_sel:DWORD
	s_nop 1
	v_cndmask_b32_e64 v65, v65, v66, s[0:1]
; %bb.85:                               ;   in Loop: Header=BB356_14 Depth=1
	s_or_b64 exec, exec, s[46:47]
	v_bfe_u32 v66, v68, 8, 8
	v_cvt_f32_fp8_sdwa v66, v66 src0_sel:BYTE_0
	s_nop 0
	v_mul_f32_e32 v67, s58, v66
	v_and_b32_e32 v66, 0x7f800000, v67
	v_cmp_ne_u32_e64 s[0:1], s56, v66
                                        ; implicit-def: $vgpr66
	s_and_saveexec_b64 s[46:47], s[0:1]
	s_xor_b64 s[0:1], exec, s[46:47]
; %bb.86:                               ;   in Loop: Header=BB356_14 Depth=1
	v_bfe_u32 v66, v67, 16, 1
	v_add3_u32 v66, v67, v66, s57
                                        ; implicit-def: $vgpr67
; %bb.87:                               ;   in Loop: Header=BB356_14 Depth=1
	s_andn2_saveexec_b64 s[46:47], s[0:1]
; %bb.88:                               ;   in Loop: Header=BB356_14 Depth=1
	v_or_b32_e32 v66, 0x10000, v67
	v_cmp_eq_u32_sdwa s[0:1], v67, v29 src0_sel:WORD_0 src1_sel:DWORD
	s_nop 1
	v_cndmask_b32_e64 v66, v66, v67, s[0:1]
; %bb.89:                               ;   in Loop: Header=BB356_14 Depth=1
	s_or_b64 exec, exec, s[46:47]
	v_bfe_u32 v67, v68, 16, 8
	v_cvt_f32_fp8_sdwa v67, v67 src0_sel:BYTE_0
	s_nop 0
	v_mul_f32_e32 v69, s58, v67
	v_and_b32_e32 v67, 0x7f800000, v69
	v_cmp_ne_u32_e64 s[0:1], s56, v67
                                        ; implicit-def: $vgpr67
	s_and_saveexec_b64 s[46:47], s[0:1]
	s_xor_b64 s[0:1], exec, s[46:47]
; %bb.90:                               ;   in Loop: Header=BB356_14 Depth=1
	v_bfe_u32 v67, v69, 16, 1
	v_add3_u32 v67, v69, v67, s57
                                        ; implicit-def: $vgpr69
; %bb.91:                               ;   in Loop: Header=BB356_14 Depth=1
	s_andn2_saveexec_b64 s[46:47], s[0:1]
; %bb.92:                               ;   in Loop: Header=BB356_14 Depth=1
	v_or_b32_e32 v67, 0x10000, v69
	v_cmp_eq_u32_sdwa s[0:1], v69, v29 src0_sel:WORD_0 src1_sel:DWORD
	s_nop 1
	v_cndmask_b32_e64 v67, v67, v69, s[0:1]
; %bb.93:                               ;   in Loop: Header=BB356_14 Depth=1
	s_or_b64 exec, exec, s[46:47]
	v_lshrrev_b32_e32 v68, 24, v68
	v_cvt_f32_fp8_sdwa v68, v68 src0_sel:BYTE_0
	s_nop 0
	v_mul_f32_e32 v69, s58, v68
	v_and_b32_e32 v68, 0x7f800000, v69
	v_cmp_ne_u32_e64 s[0:1], s56, v68
                                        ; implicit-def: $vgpr68
	s_and_saveexec_b64 s[46:47], s[0:1]
	s_xor_b64 s[0:1], exec, s[46:47]
; %bb.94:                               ;   in Loop: Header=BB356_14 Depth=1
	v_bfe_u32 v68, v69, 16, 1
	v_add3_u32 v68, v69, v68, s57
                                        ; implicit-def: $vgpr69
; %bb.95:                               ;   in Loop: Header=BB356_14 Depth=1
	s_andn2_saveexec_b64 s[46:47], s[0:1]
; %bb.96:                               ;   in Loop: Header=BB356_14 Depth=1
	v_or_b32_e32 v68, 0x10000, v69
	v_cmp_eq_u32_sdwa s[0:1], v69, v29 src0_sel:WORD_0 src1_sel:DWORD
	s_nop 1
	v_cndmask_b32_e64 v68, v68, v69, s[0:1]
; %bb.97:                               ;   in Loop: Header=BB356_14 Depth=1
	s_or_b64 exec, exec, s[46:47]
	global_load_dword v72, v[34:35], off offset:1032
	s_waitcnt vmcnt(0)
	v_and_b32_e32 v69, 0xff, v72
	v_cvt_f32_fp8_sdwa v69, v69 src0_sel:BYTE_0
	s_nop 0
	v_mul_f32_e32 v70, s58, v69
	v_and_b32_e32 v69, 0x7f800000, v70
	v_cmp_ne_u32_e64 s[0:1], s56, v69
                                        ; implicit-def: $vgpr69
	s_and_saveexec_b64 s[46:47], s[0:1]
	s_xor_b64 s[0:1], exec, s[46:47]
; %bb.98:                               ;   in Loop: Header=BB356_14 Depth=1
	v_bfe_u32 v69, v70, 16, 1
	v_add3_u32 v69, v70, v69, s57
                                        ; implicit-def: $vgpr70
; %bb.99:                               ;   in Loop: Header=BB356_14 Depth=1
	s_andn2_saveexec_b64 s[46:47], s[0:1]
; %bb.100:                              ;   in Loop: Header=BB356_14 Depth=1
	v_or_b32_e32 v69, 0x10000, v70
	v_cmp_eq_u32_sdwa s[0:1], v70, v29 src0_sel:WORD_0 src1_sel:DWORD
	s_nop 1
	v_cndmask_b32_e64 v69, v69, v70, s[0:1]
; %bb.101:                              ;   in Loop: Header=BB356_14 Depth=1
	s_or_b64 exec, exec, s[46:47]
	v_bfe_u32 v70, v72, 8, 8
	v_cvt_f32_fp8_sdwa v70, v70 src0_sel:BYTE_0
	s_nop 0
	v_mul_f32_e32 v71, s58, v70
	v_and_b32_e32 v70, 0x7f800000, v71
	v_cmp_ne_u32_e64 s[0:1], s56, v70
                                        ; implicit-def: $vgpr70
	s_and_saveexec_b64 s[46:47], s[0:1]
	s_xor_b64 s[0:1], exec, s[46:47]
; %bb.102:                              ;   in Loop: Header=BB356_14 Depth=1
	v_bfe_u32 v70, v71, 16, 1
	v_add3_u32 v70, v71, v70, s57
                                        ; implicit-def: $vgpr71
; %bb.103:                              ;   in Loop: Header=BB356_14 Depth=1
	s_andn2_saveexec_b64 s[46:47], s[0:1]
; %bb.104:                              ;   in Loop: Header=BB356_14 Depth=1
	v_or_b32_e32 v70, 0x10000, v71
	v_cmp_eq_u32_sdwa s[0:1], v71, v29 src0_sel:WORD_0 src1_sel:DWORD
	s_nop 1
	v_cndmask_b32_e64 v70, v70, v71, s[0:1]
; %bb.105:                              ;   in Loop: Header=BB356_14 Depth=1
	s_or_b64 exec, exec, s[46:47]
	v_bfe_u32 v71, v72, 16, 8
	v_cvt_f32_fp8_sdwa v71, v71 src0_sel:BYTE_0
	s_nop 0
	v_mul_f32_e32 v73, s58, v71
	v_and_b32_e32 v71, 0x7f800000, v73
	v_cmp_ne_u32_e64 s[0:1], s56, v71
                                        ; implicit-def: $vgpr71
	s_and_saveexec_b64 s[46:47], s[0:1]
	s_xor_b64 s[0:1], exec, s[46:47]
; %bb.106:                              ;   in Loop: Header=BB356_14 Depth=1
	v_bfe_u32 v71, v73, 16, 1
	v_add3_u32 v71, v73, v71, s57
                                        ; implicit-def: $vgpr73
; %bb.107:                              ;   in Loop: Header=BB356_14 Depth=1
	s_andn2_saveexec_b64 s[46:47], s[0:1]
; %bb.108:                              ;   in Loop: Header=BB356_14 Depth=1
	v_or_b32_e32 v71, 0x10000, v73
	v_cmp_eq_u32_sdwa s[0:1], v73, v29 src0_sel:WORD_0 src1_sel:DWORD
	s_nop 1
	v_cndmask_b32_e64 v71, v71, v73, s[0:1]
; %bb.109:                              ;   in Loop: Header=BB356_14 Depth=1
	s_or_b64 exec, exec, s[46:47]
	v_lshrrev_b32_e32 v72, 24, v72
	v_cvt_f32_fp8_sdwa v72, v72 src0_sel:BYTE_0
	s_nop 0
	v_mul_f32_e32 v73, s58, v72
	v_and_b32_e32 v72, 0x7f800000, v73
	v_cmp_ne_u32_e64 s[0:1], s56, v72
                                        ; implicit-def: $vgpr72
	s_and_saveexec_b64 s[46:47], s[0:1]
	s_xor_b64 s[0:1], exec, s[46:47]
; %bb.110:                              ;   in Loop: Header=BB356_14 Depth=1
	v_bfe_u32 v72, v73, 16, 1
	v_add3_u32 v72, v73, v72, s57
                                        ; implicit-def: $vgpr73
; %bb.111:                              ;   in Loop: Header=BB356_14 Depth=1
	s_andn2_saveexec_b64 s[46:47], s[0:1]
; %bb.112:                              ;   in Loop: Header=BB356_14 Depth=1
	v_or_b32_e32 v72, 0x10000, v73
	v_cmp_eq_u32_sdwa s[0:1], v73, v29 src0_sel:WORD_0 src1_sel:DWORD
	s_nop 1
	v_cndmask_b32_e64 v72, v72, v73, s[0:1]
; %bb.113:                              ;   in Loop: Header=BB356_14 Depth=1
	s_or_b64 exec, exec, s[46:47]
	global_load_dword v76, v[34:35], off offset:1536
	s_waitcnt vmcnt(0)
	v_and_b32_e32 v73, 0xff, v76
	v_cvt_f32_fp8_sdwa v73, v73 src0_sel:BYTE_0
	s_nop 0
	v_mul_f32_e32 v74, s58, v73
	v_and_b32_e32 v73, 0x7f800000, v74
	v_cmp_ne_u32_e64 s[0:1], s56, v73
                                        ; implicit-def: $vgpr73
	s_and_saveexec_b64 s[46:47], s[0:1]
	s_xor_b64 s[0:1], exec, s[46:47]
; %bb.114:                              ;   in Loop: Header=BB356_14 Depth=1
	v_bfe_u32 v73, v74, 16, 1
	v_add3_u32 v73, v74, v73, s57
                                        ; implicit-def: $vgpr74
; %bb.115:                              ;   in Loop: Header=BB356_14 Depth=1
	s_andn2_saveexec_b64 s[46:47], s[0:1]
; %bb.116:                              ;   in Loop: Header=BB356_14 Depth=1
	v_or_b32_e32 v73, 0x10000, v74
	v_cmp_eq_u32_sdwa s[0:1], v74, v29 src0_sel:WORD_0 src1_sel:DWORD
	s_nop 1
	v_cndmask_b32_e64 v73, v73, v74, s[0:1]
; %bb.117:                              ;   in Loop: Header=BB356_14 Depth=1
	s_or_b64 exec, exec, s[46:47]
	v_bfe_u32 v74, v76, 8, 8
	v_cvt_f32_fp8_sdwa v74, v74 src0_sel:BYTE_0
	s_nop 0
	v_mul_f32_e32 v75, s58, v74
	v_and_b32_e32 v74, 0x7f800000, v75
	v_cmp_ne_u32_e64 s[0:1], s56, v74
                                        ; implicit-def: $vgpr74
	s_and_saveexec_b64 s[46:47], s[0:1]
	s_xor_b64 s[0:1], exec, s[46:47]
; %bb.118:                              ;   in Loop: Header=BB356_14 Depth=1
	v_bfe_u32 v74, v75, 16, 1
	v_add3_u32 v74, v75, v74, s57
                                        ; implicit-def: $vgpr75
; %bb.119:                              ;   in Loop: Header=BB356_14 Depth=1
	s_andn2_saveexec_b64 s[46:47], s[0:1]
; %bb.120:                              ;   in Loop: Header=BB356_14 Depth=1
	v_or_b32_e32 v74, 0x10000, v75
	v_cmp_eq_u32_sdwa s[0:1], v75, v29 src0_sel:WORD_0 src1_sel:DWORD
	s_nop 1
	v_cndmask_b32_e64 v74, v74, v75, s[0:1]
; %bb.121:                              ;   in Loop: Header=BB356_14 Depth=1
	s_or_b64 exec, exec, s[46:47]
	v_bfe_u32 v75, v76, 16, 8
	v_cvt_f32_fp8_sdwa v75, v75 src0_sel:BYTE_0
	s_nop 0
	v_mul_f32_e32 v77, s58, v75
	v_and_b32_e32 v75, 0x7f800000, v77
	v_cmp_ne_u32_e64 s[0:1], s56, v75
                                        ; implicit-def: $vgpr75
	s_and_saveexec_b64 s[46:47], s[0:1]
	s_xor_b64 s[0:1], exec, s[46:47]
; %bb.122:                              ;   in Loop: Header=BB356_14 Depth=1
	v_bfe_u32 v75, v77, 16, 1
	v_add3_u32 v75, v77, v75, s57
                                        ; implicit-def: $vgpr77
; %bb.123:                              ;   in Loop: Header=BB356_14 Depth=1
	s_andn2_saveexec_b64 s[46:47], s[0:1]
; %bb.124:                              ;   in Loop: Header=BB356_14 Depth=1
	v_or_b32_e32 v75, 0x10000, v77
	v_cmp_eq_u32_sdwa s[0:1], v77, v29 src0_sel:WORD_0 src1_sel:DWORD
	s_nop 1
	v_cndmask_b32_e64 v75, v75, v77, s[0:1]
; %bb.125:                              ;   in Loop: Header=BB356_14 Depth=1
	s_or_b64 exec, exec, s[46:47]
	v_lshrrev_b32_e32 v76, 24, v76
	v_cvt_f32_fp8_sdwa v76, v76 src0_sel:BYTE_0
	s_nop 0
	v_mul_f32_e32 v77, s58, v76
	v_and_b32_e32 v76, 0x7f800000, v77
	v_cmp_ne_u32_e64 s[0:1], s56, v76
                                        ; implicit-def: $vgpr76
	s_and_saveexec_b64 s[46:47], s[0:1]
	s_xor_b64 s[0:1], exec, s[46:47]
; %bb.126:                              ;   in Loop: Header=BB356_14 Depth=1
	v_bfe_u32 v76, v77, 16, 1
	v_add3_u32 v76, v77, v76, s57
                                        ; implicit-def: $vgpr77
; %bb.127:                              ;   in Loop: Header=BB356_14 Depth=1
	s_andn2_saveexec_b64 s[46:47], s[0:1]
; %bb.128:                              ;   in Loop: Header=BB356_14 Depth=1
	v_or_b32_e32 v76, 0x10000, v77
	v_cmp_eq_u32_sdwa s[0:1], v77, v29 src0_sel:WORD_0 src1_sel:DWORD
	s_nop 1
	v_cndmask_b32_e64 v76, v76, v77, s[0:1]
; %bb.129:                              ;   in Loop: Header=BB356_14 Depth=1
	s_or_b64 exec, exec, s[46:47]
	global_load_dword v80, v[34:35], off offset:1544
	s_waitcnt vmcnt(0)
	v_and_b32_e32 v77, 0xff, v80
	v_cvt_f32_fp8_sdwa v77, v77 src0_sel:BYTE_0
	s_nop 0
	v_mul_f32_e32 v78, s58, v77
	v_and_b32_e32 v77, 0x7f800000, v78
	v_cmp_ne_u32_e64 s[0:1], s56, v77
                                        ; implicit-def: $vgpr77
	s_and_saveexec_b64 s[46:47], s[0:1]
	s_xor_b64 s[0:1], exec, s[46:47]
; %bb.130:                              ;   in Loop: Header=BB356_14 Depth=1
	v_bfe_u32 v77, v78, 16, 1
	v_add3_u32 v77, v78, v77, s57
                                        ; implicit-def: $vgpr78
; %bb.131:                              ;   in Loop: Header=BB356_14 Depth=1
	s_andn2_saveexec_b64 s[46:47], s[0:1]
; %bb.132:                              ;   in Loop: Header=BB356_14 Depth=1
	v_or_b32_e32 v77, 0x10000, v78
	v_cmp_eq_u32_sdwa s[0:1], v78, v29 src0_sel:WORD_0 src1_sel:DWORD
	s_nop 1
	v_cndmask_b32_e64 v77, v77, v78, s[0:1]
; %bb.133:                              ;   in Loop: Header=BB356_14 Depth=1
	s_or_b64 exec, exec, s[46:47]
	v_bfe_u32 v78, v80, 8, 8
	v_cvt_f32_fp8_sdwa v78, v78 src0_sel:BYTE_0
	s_nop 0
	v_mul_f32_e32 v79, s58, v78
	v_and_b32_e32 v78, 0x7f800000, v79
	v_cmp_ne_u32_e64 s[0:1], s56, v78
                                        ; implicit-def: $vgpr78
	s_and_saveexec_b64 s[46:47], s[0:1]
	s_xor_b64 s[0:1], exec, s[46:47]
; %bb.134:                              ;   in Loop: Header=BB356_14 Depth=1
	v_bfe_u32 v78, v79, 16, 1
	v_add3_u32 v78, v79, v78, s57
                                        ; implicit-def: $vgpr79
; %bb.135:                              ;   in Loop: Header=BB356_14 Depth=1
	s_andn2_saveexec_b64 s[46:47], s[0:1]
; %bb.136:                              ;   in Loop: Header=BB356_14 Depth=1
	v_or_b32_e32 v78, 0x10000, v79
	v_cmp_eq_u32_sdwa s[0:1], v79, v29 src0_sel:WORD_0 src1_sel:DWORD
	s_nop 1
	v_cndmask_b32_e64 v78, v78, v79, s[0:1]
; %bb.137:                              ;   in Loop: Header=BB356_14 Depth=1
	s_or_b64 exec, exec, s[46:47]
	v_bfe_u32 v79, v80, 16, 8
	v_cvt_f32_fp8_sdwa v79, v79 src0_sel:BYTE_0
	s_nop 0
	v_mul_f32_e32 v81, s58, v79
	v_and_b32_e32 v79, 0x7f800000, v81
	v_cmp_ne_u32_e64 s[0:1], s56, v79
                                        ; implicit-def: $vgpr79
	s_and_saveexec_b64 s[46:47], s[0:1]
	s_xor_b64 s[0:1], exec, s[46:47]
; %bb.138:                              ;   in Loop: Header=BB356_14 Depth=1
	v_bfe_u32 v79, v81, 16, 1
	v_add3_u32 v79, v81, v79, s57
                                        ; implicit-def: $vgpr81
; %bb.139:                              ;   in Loop: Header=BB356_14 Depth=1
	s_andn2_saveexec_b64 s[46:47], s[0:1]
; %bb.140:                              ;   in Loop: Header=BB356_14 Depth=1
	v_or_b32_e32 v79, 0x10000, v81
	v_cmp_eq_u32_sdwa s[0:1], v81, v29 src0_sel:WORD_0 src1_sel:DWORD
	s_nop 1
	v_cndmask_b32_e64 v79, v79, v81, s[0:1]
; %bb.141:                              ;   in Loop: Header=BB356_14 Depth=1
	s_or_b64 exec, exec, s[46:47]
	v_lshrrev_b32_e32 v80, 24, v80
	v_cvt_f32_fp8_sdwa v80, v80 src0_sel:BYTE_0
	s_nop 0
	v_mul_f32_e32 v81, s58, v80
	v_and_b32_e32 v80, 0x7f800000, v81
	v_cmp_ne_u32_e64 s[0:1], s56, v80
                                        ; implicit-def: $vgpr80
	s_and_saveexec_b64 s[46:47], s[0:1]
	s_xor_b64 s[0:1], exec, s[46:47]
; %bb.142:                              ;   in Loop: Header=BB356_14 Depth=1
	v_bfe_u32 v80, v81, 16, 1
	v_add3_u32 v80, v81, v80, s57
                                        ; implicit-def: $vgpr81
; %bb.143:                              ;   in Loop: Header=BB356_14 Depth=1
	s_andn2_saveexec_b64 s[46:47], s[0:1]
; %bb.144:                              ;   in Loop: Header=BB356_14 Depth=1
	v_or_b32_e32 v80, 0x10000, v81
	v_cmp_eq_u32_sdwa s[0:1], v81, v29 src0_sel:WORD_0 src1_sel:DWORD
	s_nop 1
	v_cndmask_b32_e64 v80, v80, v81, s[0:1]
; %bb.145:                              ;   in Loop: Header=BB356_14 Depth=1
	s_or_b64 exec, exec, s[46:47]
	global_load_dword v84, v[34:35], off offset:2048
	s_waitcnt vmcnt(0)
	v_and_b32_e32 v81, 0xff, v84
	v_cvt_f32_fp8_sdwa v81, v81 src0_sel:BYTE_0
	s_nop 0
	v_mul_f32_e32 v82, s58, v81
	v_and_b32_e32 v81, 0x7f800000, v82
	v_cmp_ne_u32_e64 s[0:1], s56, v81
                                        ; implicit-def: $vgpr81
	s_and_saveexec_b64 s[46:47], s[0:1]
	s_xor_b64 s[0:1], exec, s[46:47]
; %bb.146:                              ;   in Loop: Header=BB356_14 Depth=1
	v_bfe_u32 v81, v82, 16, 1
	v_add3_u32 v81, v82, v81, s57
                                        ; implicit-def: $vgpr82
; %bb.147:                              ;   in Loop: Header=BB356_14 Depth=1
	s_andn2_saveexec_b64 s[46:47], s[0:1]
; %bb.148:                              ;   in Loop: Header=BB356_14 Depth=1
	v_or_b32_e32 v81, 0x10000, v82
	v_cmp_eq_u32_sdwa s[0:1], v82, v29 src0_sel:WORD_0 src1_sel:DWORD
	s_nop 1
	v_cndmask_b32_e64 v81, v81, v82, s[0:1]
; %bb.149:                              ;   in Loop: Header=BB356_14 Depth=1
	s_or_b64 exec, exec, s[46:47]
	v_bfe_u32 v82, v84, 8, 8
	v_cvt_f32_fp8_sdwa v82, v82 src0_sel:BYTE_0
	s_nop 0
	v_mul_f32_e32 v83, s58, v82
	v_and_b32_e32 v82, 0x7f800000, v83
	v_cmp_ne_u32_e64 s[0:1], s56, v82
                                        ; implicit-def: $vgpr82
	s_and_saveexec_b64 s[46:47], s[0:1]
	s_xor_b64 s[0:1], exec, s[46:47]
; %bb.150:                              ;   in Loop: Header=BB356_14 Depth=1
	v_bfe_u32 v82, v83, 16, 1
	v_add3_u32 v82, v83, v82, s57
                                        ; implicit-def: $vgpr83
; %bb.151:                              ;   in Loop: Header=BB356_14 Depth=1
	s_andn2_saveexec_b64 s[46:47], s[0:1]
; %bb.152:                              ;   in Loop: Header=BB356_14 Depth=1
	v_or_b32_e32 v82, 0x10000, v83
	v_cmp_eq_u32_sdwa s[0:1], v83, v29 src0_sel:WORD_0 src1_sel:DWORD
	s_nop 1
	v_cndmask_b32_e64 v82, v82, v83, s[0:1]
; %bb.153:                              ;   in Loop: Header=BB356_14 Depth=1
	s_or_b64 exec, exec, s[46:47]
	v_bfe_u32 v83, v84, 16, 8
	v_cvt_f32_fp8_sdwa v83, v83 src0_sel:BYTE_0
	s_nop 0
	v_mul_f32_e32 v85, s58, v83
	v_and_b32_e32 v83, 0x7f800000, v85
	v_cmp_ne_u32_e64 s[0:1], s56, v83
                                        ; implicit-def: $vgpr83
	s_and_saveexec_b64 s[46:47], s[0:1]
	s_xor_b64 s[0:1], exec, s[46:47]
; %bb.154:                              ;   in Loop: Header=BB356_14 Depth=1
	v_bfe_u32 v83, v85, 16, 1
	v_add3_u32 v83, v85, v83, s57
                                        ; implicit-def: $vgpr85
; %bb.155:                              ;   in Loop: Header=BB356_14 Depth=1
	s_andn2_saveexec_b64 s[46:47], s[0:1]
; %bb.156:                              ;   in Loop: Header=BB356_14 Depth=1
	v_or_b32_e32 v83, 0x10000, v85
	v_cmp_eq_u32_sdwa s[0:1], v85, v29 src0_sel:WORD_0 src1_sel:DWORD
	s_nop 1
	v_cndmask_b32_e64 v83, v83, v85, s[0:1]
; %bb.157:                              ;   in Loop: Header=BB356_14 Depth=1
	s_or_b64 exec, exec, s[46:47]
	v_lshrrev_b32_e32 v84, 24, v84
	v_cvt_f32_fp8_sdwa v84, v84 src0_sel:BYTE_0
	s_nop 0
	v_mul_f32_e32 v85, s58, v84
	v_and_b32_e32 v84, 0x7f800000, v85
	v_cmp_ne_u32_e64 s[0:1], s56, v84
                                        ; implicit-def: $vgpr84
	s_and_saveexec_b64 s[46:47], s[0:1]
	s_xor_b64 s[0:1], exec, s[46:47]
; %bb.158:                              ;   in Loop: Header=BB356_14 Depth=1
	v_bfe_u32 v84, v85, 16, 1
	v_add3_u32 v84, v85, v84, s57
                                        ; implicit-def: $vgpr85
; %bb.159:                              ;   in Loop: Header=BB356_14 Depth=1
	s_andn2_saveexec_b64 s[46:47], s[0:1]
; %bb.160:                              ;   in Loop: Header=BB356_14 Depth=1
	v_or_b32_e32 v84, 0x10000, v85
	v_cmp_eq_u32_sdwa s[0:1], v85, v29 src0_sel:WORD_0 src1_sel:DWORD
	s_nop 1
	v_cndmask_b32_e64 v84, v84, v85, s[0:1]
; %bb.161:                              ;   in Loop: Header=BB356_14 Depth=1
	s_or_b64 exec, exec, s[46:47]
	global_load_dword v88, v[34:35], off offset:2056
	s_waitcnt vmcnt(0)
	v_and_b32_e32 v85, 0xff, v88
	v_cvt_f32_fp8_sdwa v85, v85 src0_sel:BYTE_0
	s_nop 0
	v_mul_f32_e32 v86, s58, v85
	v_and_b32_e32 v85, 0x7f800000, v86
	v_cmp_ne_u32_e64 s[0:1], s56, v85
                                        ; implicit-def: $vgpr85
	s_and_saveexec_b64 s[46:47], s[0:1]
	s_xor_b64 s[0:1], exec, s[46:47]
; %bb.162:                              ;   in Loop: Header=BB356_14 Depth=1
	v_bfe_u32 v85, v86, 16, 1
	v_add3_u32 v85, v86, v85, s57
                                        ; implicit-def: $vgpr86
; %bb.163:                              ;   in Loop: Header=BB356_14 Depth=1
	s_andn2_saveexec_b64 s[46:47], s[0:1]
; %bb.164:                              ;   in Loop: Header=BB356_14 Depth=1
	v_or_b32_e32 v85, 0x10000, v86
	v_cmp_eq_u32_sdwa s[0:1], v86, v29 src0_sel:WORD_0 src1_sel:DWORD
	s_nop 1
	v_cndmask_b32_e64 v85, v85, v86, s[0:1]
; %bb.165:                              ;   in Loop: Header=BB356_14 Depth=1
	s_or_b64 exec, exec, s[46:47]
	v_bfe_u32 v86, v88, 8, 8
	v_cvt_f32_fp8_sdwa v86, v86 src0_sel:BYTE_0
	s_nop 0
	v_mul_f32_e32 v87, s58, v86
	v_and_b32_e32 v86, 0x7f800000, v87
	v_cmp_ne_u32_e64 s[0:1], s56, v86
                                        ; implicit-def: $vgpr86
	s_and_saveexec_b64 s[46:47], s[0:1]
	s_xor_b64 s[0:1], exec, s[46:47]
; %bb.166:                              ;   in Loop: Header=BB356_14 Depth=1
	v_bfe_u32 v86, v87, 16, 1
	v_add3_u32 v86, v87, v86, s57
                                        ; implicit-def: $vgpr87
; %bb.167:                              ;   in Loop: Header=BB356_14 Depth=1
	s_andn2_saveexec_b64 s[46:47], s[0:1]
; %bb.168:                              ;   in Loop: Header=BB356_14 Depth=1
	v_or_b32_e32 v86, 0x10000, v87
	v_cmp_eq_u32_sdwa s[0:1], v87, v29 src0_sel:WORD_0 src1_sel:DWORD
	s_nop 1
	v_cndmask_b32_e64 v86, v86, v87, s[0:1]
; %bb.169:                              ;   in Loop: Header=BB356_14 Depth=1
	s_or_b64 exec, exec, s[46:47]
	v_bfe_u32 v87, v88, 16, 8
	v_cvt_f32_fp8_sdwa v87, v87 src0_sel:BYTE_0
	s_nop 0
	v_mul_f32_e32 v89, s58, v87
	v_and_b32_e32 v87, 0x7f800000, v89
	v_cmp_ne_u32_e64 s[0:1], s56, v87
                                        ; implicit-def: $vgpr87
	s_and_saveexec_b64 s[46:47], s[0:1]
	s_xor_b64 s[0:1], exec, s[46:47]
; %bb.170:                              ;   in Loop: Header=BB356_14 Depth=1
	v_bfe_u32 v87, v89, 16, 1
	v_add3_u32 v87, v89, v87, s57
                                        ; implicit-def: $vgpr89
; %bb.171:                              ;   in Loop: Header=BB356_14 Depth=1
	s_andn2_saveexec_b64 s[46:47], s[0:1]
; %bb.172:                              ;   in Loop: Header=BB356_14 Depth=1
	v_or_b32_e32 v87, 0x10000, v89
	v_cmp_eq_u32_sdwa s[0:1], v89, v29 src0_sel:WORD_0 src1_sel:DWORD
	s_nop 1
	v_cndmask_b32_e64 v87, v87, v89, s[0:1]
; %bb.173:                              ;   in Loop: Header=BB356_14 Depth=1
	s_or_b64 exec, exec, s[46:47]
	v_lshrrev_b32_e32 v88, 24, v88
	v_cvt_f32_fp8_sdwa v88, v88 src0_sel:BYTE_0
	s_nop 0
	v_mul_f32_e32 v89, s58, v88
	v_and_b32_e32 v88, 0x7f800000, v89
	v_cmp_ne_u32_e64 s[0:1], s56, v88
                                        ; implicit-def: $vgpr88
	s_and_saveexec_b64 s[46:47], s[0:1]
	s_xor_b64 s[0:1], exec, s[46:47]
; %bb.174:                              ;   in Loop: Header=BB356_14 Depth=1
	v_bfe_u32 v88, v89, 16, 1
	v_add3_u32 v88, v89, v88, s57
                                        ; implicit-def: $vgpr89
; %bb.175:                              ;   in Loop: Header=BB356_14 Depth=1
	s_andn2_saveexec_b64 s[46:47], s[0:1]
; %bb.176:                              ;   in Loop: Header=BB356_14 Depth=1
	v_or_b32_e32 v88, 0x10000, v89
	v_cmp_eq_u32_sdwa s[0:1], v89, v29 src0_sel:WORD_0 src1_sel:DWORD
	s_nop 1
	v_cndmask_b32_e64 v88, v88, v89, s[0:1]
; %bb.177:                              ;   in Loop: Header=BB356_14 Depth=1
	s_or_b64 exec, exec, s[46:47]
	global_load_dword v92, v[34:35], off offset:2560
	s_waitcnt vmcnt(0)
	v_and_b32_e32 v89, 0xff, v92
	v_cvt_f32_fp8_sdwa v89, v89 src0_sel:BYTE_0
	s_nop 0
	v_mul_f32_e32 v90, s58, v89
	v_and_b32_e32 v89, 0x7f800000, v90
	v_cmp_ne_u32_e64 s[0:1], s56, v89
                                        ; implicit-def: $vgpr89
	s_and_saveexec_b64 s[46:47], s[0:1]
	s_xor_b64 s[0:1], exec, s[46:47]
; %bb.178:                              ;   in Loop: Header=BB356_14 Depth=1
	v_bfe_u32 v89, v90, 16, 1
	v_add3_u32 v89, v90, v89, s57
                                        ; implicit-def: $vgpr90
; %bb.179:                              ;   in Loop: Header=BB356_14 Depth=1
	s_andn2_saveexec_b64 s[46:47], s[0:1]
; %bb.180:                              ;   in Loop: Header=BB356_14 Depth=1
	v_or_b32_e32 v89, 0x10000, v90
	v_cmp_eq_u32_sdwa s[0:1], v90, v29 src0_sel:WORD_0 src1_sel:DWORD
	s_nop 1
	v_cndmask_b32_e64 v89, v89, v90, s[0:1]
; %bb.181:                              ;   in Loop: Header=BB356_14 Depth=1
	s_or_b64 exec, exec, s[46:47]
	v_bfe_u32 v90, v92, 8, 8
	v_cvt_f32_fp8_sdwa v90, v90 src0_sel:BYTE_0
	s_nop 0
	v_mul_f32_e32 v91, s58, v90
	v_and_b32_e32 v90, 0x7f800000, v91
	v_cmp_ne_u32_e64 s[0:1], s56, v90
                                        ; implicit-def: $vgpr90
	s_and_saveexec_b64 s[46:47], s[0:1]
	s_xor_b64 s[0:1], exec, s[46:47]
; %bb.182:                              ;   in Loop: Header=BB356_14 Depth=1
	v_bfe_u32 v90, v91, 16, 1
	v_add3_u32 v90, v91, v90, s57
                                        ; implicit-def: $vgpr91
; %bb.183:                              ;   in Loop: Header=BB356_14 Depth=1
	s_andn2_saveexec_b64 s[46:47], s[0:1]
; %bb.184:                              ;   in Loop: Header=BB356_14 Depth=1
	v_or_b32_e32 v90, 0x10000, v91
	v_cmp_eq_u32_sdwa s[0:1], v91, v29 src0_sel:WORD_0 src1_sel:DWORD
	s_nop 1
	v_cndmask_b32_e64 v90, v90, v91, s[0:1]
; %bb.185:                              ;   in Loop: Header=BB356_14 Depth=1
	s_or_b64 exec, exec, s[46:47]
	v_bfe_u32 v91, v92, 16, 8
	v_cvt_f32_fp8_sdwa v91, v91 src0_sel:BYTE_0
	s_nop 0
	v_mul_f32_e32 v93, s58, v91
	v_and_b32_e32 v91, 0x7f800000, v93
	v_cmp_ne_u32_e64 s[0:1], s56, v91
                                        ; implicit-def: $vgpr91
	s_and_saveexec_b64 s[46:47], s[0:1]
	s_xor_b64 s[0:1], exec, s[46:47]
; %bb.186:                              ;   in Loop: Header=BB356_14 Depth=1
	v_bfe_u32 v91, v93, 16, 1
	v_add3_u32 v91, v93, v91, s57
                                        ; implicit-def: $vgpr93
; %bb.187:                              ;   in Loop: Header=BB356_14 Depth=1
	s_andn2_saveexec_b64 s[46:47], s[0:1]
; %bb.188:                              ;   in Loop: Header=BB356_14 Depth=1
	v_or_b32_e32 v91, 0x10000, v93
	v_cmp_eq_u32_sdwa s[0:1], v93, v29 src0_sel:WORD_0 src1_sel:DWORD
	s_nop 1
	v_cndmask_b32_e64 v91, v91, v93, s[0:1]
; %bb.189:                              ;   in Loop: Header=BB356_14 Depth=1
	s_or_b64 exec, exec, s[46:47]
	v_lshrrev_b32_e32 v92, 24, v92
	v_cvt_f32_fp8_sdwa v92, v92 src0_sel:BYTE_0
	s_nop 0
	v_mul_f32_e32 v93, s58, v92
	v_and_b32_e32 v92, 0x7f800000, v93
	v_cmp_ne_u32_e64 s[0:1], s56, v92
                                        ; implicit-def: $vgpr92
	s_and_saveexec_b64 s[46:47], s[0:1]
	s_xor_b64 s[0:1], exec, s[46:47]
; %bb.190:                              ;   in Loop: Header=BB356_14 Depth=1
	v_bfe_u32 v92, v93, 16, 1
	v_add3_u32 v92, v93, v92, s57
                                        ; implicit-def: $vgpr93
; %bb.191:                              ;   in Loop: Header=BB356_14 Depth=1
	s_andn2_saveexec_b64 s[46:47], s[0:1]
; %bb.192:                              ;   in Loop: Header=BB356_14 Depth=1
	v_or_b32_e32 v92, 0x10000, v93
	v_cmp_eq_u32_sdwa s[0:1], v93, v29 src0_sel:WORD_0 src1_sel:DWORD
	s_nop 1
	v_cndmask_b32_e64 v92, v92, v93, s[0:1]
; %bb.193:                              ;   in Loop: Header=BB356_14 Depth=1
	s_or_b64 exec, exec, s[46:47]
	global_load_dword v93, v[34:35], off offset:2568
	s_waitcnt vmcnt(0)
	v_and_b32_e32 v34, 0xff, v93
	v_cvt_f32_fp8_sdwa v34, v34 src0_sel:BYTE_0
	s_nop 0
	v_mul_f32_e32 v34, s58, v34
	v_and_b32_e32 v35, 0x7f800000, v34
	v_cmp_ne_u32_e64 s[0:1], s56, v35
                                        ; implicit-def: $vgpr35
	s_and_saveexec_b64 s[46:47], s[0:1]
	s_xor_b64 s[0:1], exec, s[46:47]
; %bb.194:                              ;   in Loop: Header=BB356_14 Depth=1
	v_bfe_u32 v35, v34, 16, 1
	v_add3_u32 v35, v34, v35, s57
                                        ; implicit-def: $vgpr34
; %bb.195:                              ;   in Loop: Header=BB356_14 Depth=1
	s_andn2_saveexec_b64 s[46:47], s[0:1]
; %bb.196:                              ;   in Loop: Header=BB356_14 Depth=1
	v_or_b32_e32 v35, 0x10000, v34
	v_cmp_eq_u32_sdwa s[0:1], v34, v29 src0_sel:WORD_0 src1_sel:DWORD
	s_nop 1
	v_cndmask_b32_e64 v35, v35, v34, s[0:1]
; %bb.197:                              ;   in Loop: Header=BB356_14 Depth=1
	s_or_b64 exec, exec, s[46:47]
	v_bfe_u32 v34, v93, 8, 8
	v_cvt_f32_fp8_sdwa v34, v34 src0_sel:BYTE_0
	s_nop 0
	v_mul_f32_e32 v34, s58, v34
	v_and_b32_e32 v94, 0x7f800000, v34
	v_cmp_ne_u32_e64 s[0:1], s56, v94
                                        ; implicit-def: $vgpr94
	s_and_saveexec_b64 s[46:47], s[0:1]
	s_xor_b64 s[0:1], exec, s[46:47]
; %bb.198:                              ;   in Loop: Header=BB356_14 Depth=1
	v_bfe_u32 v94, v34, 16, 1
	v_add3_u32 v94, v34, v94, s57
                                        ; implicit-def: $vgpr34
; %bb.199:                              ;   in Loop: Header=BB356_14 Depth=1
	s_andn2_saveexec_b64 s[46:47], s[0:1]
; %bb.200:                              ;   in Loop: Header=BB356_14 Depth=1
	v_or_b32_e32 v94, 0x10000, v34
	v_cmp_eq_u32_sdwa s[0:1], v34, v29 src0_sel:WORD_0 src1_sel:DWORD
	s_nop 1
	v_cndmask_b32_e64 v94, v94, v34, s[0:1]
; %bb.201:                              ;   in Loop: Header=BB356_14 Depth=1
	s_or_b64 exec, exec, s[46:47]
	v_bfe_u32 v34, v93, 16, 8
	v_cvt_f32_fp8_sdwa v34, v34 src0_sel:BYTE_0
	s_nop 0
	v_mul_f32_e32 v95, s58, v34
	v_and_b32_e32 v34, 0x7f800000, v95
	v_cmp_ne_u32_e64 s[0:1], s56, v34
                                        ; implicit-def: $vgpr34
	s_and_saveexec_b64 s[46:47], s[0:1]
	s_xor_b64 s[0:1], exec, s[46:47]
; %bb.202:                              ;   in Loop: Header=BB356_14 Depth=1
	v_bfe_u32 v34, v95, 16, 1
	v_add3_u32 v34, v95, v34, s57
                                        ; implicit-def: $vgpr95
; %bb.203:                              ;   in Loop: Header=BB356_14 Depth=1
	s_andn2_saveexec_b64 s[46:47], s[0:1]
; %bb.204:                              ;   in Loop: Header=BB356_14 Depth=1
	v_or_b32_e32 v34, 0x10000, v95
	v_cmp_eq_u32_sdwa s[0:1], v95, v29 src0_sel:WORD_0 src1_sel:DWORD
	s_nop 1
	v_cndmask_b32_e64 v34, v34, v95, s[0:1]
; %bb.205:                              ;   in Loop: Header=BB356_14 Depth=1
	s_or_b64 exec, exec, s[46:47]
	v_lshrrev_b32_e32 v93, 24, v93
	v_cvt_f32_fp8_sdwa v93, v93 src0_sel:BYTE_0
	s_nop 0
	v_mul_f32_e32 v95, s58, v93
	v_and_b32_e32 v93, 0x7f800000, v95
	v_cmp_ne_u32_e64 s[0:1], s56, v93
                                        ; implicit-def: $vgpr93
	s_and_saveexec_b64 s[46:47], s[0:1]
	s_xor_b64 s[0:1], exec, s[46:47]
; %bb.206:                              ;   in Loop: Header=BB356_14 Depth=1
	v_bfe_u32 v93, v95, 16, 1
	v_add3_u32 v93, v95, v93, s57
                                        ; implicit-def: $vgpr95
; %bb.207:                              ;   in Loop: Header=BB356_14 Depth=1
	s_andn2_saveexec_b64 s[46:47], s[0:1]
; %bb.208:                              ;   in Loop: Header=BB356_14 Depth=1
	v_or_b32_e32 v93, 0x10000, v95
	v_cmp_eq_u32_sdwa s[0:1], v95, v29 src0_sel:WORD_0 src1_sel:DWORD
	s_nop 1
	v_cndmask_b32_e64 v93, v93, v95, s[0:1]
; %bb.209:                              ;   in Loop: Header=BB356_14 Depth=1
	s_or_b64 exec, exec, s[46:47]
	v_and_b32_e32 v54, 0xffff0000, v54
	v_and_b32_e32 v53, 0xffff0000, v53
	v_lshlrev_b32_e32 v97, 16, v24
	v_and_b32_e32 v24, 0xffff0000, v24
	v_and_b32_e32 v55, 0xffff0000, v55
	;; [unrolled: 1-line block ×4, first 2 shown]
	v_lshlrev_b32_e32 v95, 16, v22
	v_lshlrev_b32_e32 v98, 16, v25
	v_and_b32_e32 v22, 0xffff0000, v22
	v_mul_f32_e32 v53, v97, v53
	v_mul_f32_e32 v24, v24, v54
	v_and_b32_e32 v58, 0xffff0000, v58
	v_and_b32_e32 v57, 0xffff0000, v57
	;; [unrolled: 1-line block ×4, first 2 shown]
	v_lshlrev_b32_e32 v96, 16, v23
	v_lshlrev_b32_e32 v99, 16, v18
	v_and_b32_e32 v25, 0xffff0000, v25
	v_and_b32_e32 v18, 0xffff0000, v18
	v_fmac_f32_e32 v53, v95, v49
	v_fmac_f32_e32 v24, v22, v50
	v_mul_f32_e32 v22, v98, v55
	v_and_b32_e32 v62, 0xffff0000, v62
	v_and_b32_e32 v61, 0xffff0000, v61
	;; [unrolled: 1-line block ×4, first 2 shown]
	v_lshlrev_b32_e32 v100, 16, v19
	v_lshlrev_b32_e32 v101, 16, v20
	v_and_b32_e32 v23, 0xffff0000, v23
	v_and_b32_e32 v20, 0xffff0000, v20
	v_fmac_f32_e32 v22, v96, v51
	v_mul_f32_e32 v25, v25, v56
	v_fmac_f32_e32 v53, v99, v57
	v_fmac_f32_e32 v24, v18, v58
	v_and_b32_e32 v66, 0xffff0000, v66
	v_and_b32_e32 v65, 0xffff0000, v65
	v_and_b32_e32 v63, 0xffff0000, v63
	v_and_b32_e32 v60, 0xffff0000, v60
	v_lshlrev_b32_e32 v102, 16, v21
	v_lshlrev_b32_e32 v103, 16, v14
	v_and_b32_e32 v19, 0xffff0000, v19
	v_and_b32_e32 v14, 0xffff0000, v14
	v_fmac_f32_e32 v25, v23, v52
	v_fmac_f32_e32 v22, v100, v59
	v_fmac_f32_e32 v53, v101, v61
	v_fmac_f32_e32 v24, v20, v62
	v_and_b32_e32 v70, 0xffff0000, v70
	v_and_b32_e32 v69, 0xffff0000, v69
	v_and_b32_e32 v67, 0xffff0000, v67
	v_and_b32_e32 v64, 0xffff0000, v64
	v_lshlrev_b32_e32 v104, 16, v15
	v_lshlrev_b32_e32 v105, 16, v16
	v_and_b32_e32 v21, 0xffff0000, v21
	v_and_b32_e32 v16, 0xffff0000, v16
	v_fmac_f32_e32 v25, v19, v60
	v_fmac_f32_e32 v22, v102, v63
	;; [unrolled: 12-line block ×7, first 2 shown]
	v_fmac_f32_e32 v53, v113, v85
	v_fmac_f32_e32 v24, v12, v86
	v_and_b32_e32 v94, 0xffff0000, v94
	v_and_b32_e32 v35, 0xffff0000, v35
	;; [unrolled: 1-line block ×4, first 2 shown]
	v_lshlrev_b32_e32 v116, 16, v3
	v_lshlrev_b32_e32 v117, 16, v4
	v_and_b32_e32 v120, 64, v47
	v_and_b32_e32 v13, 0xffff0000, v13
	;; [unrolled: 1-line block ×3, first 2 shown]
	v_fmac_f32_e32 v25, v11, v84
	v_fmac_f32_e32 v22, v114, v87
	v_fmac_f32_e32 v53, v115, v89
	v_fmac_f32_e32 v24, v2, v90
	v_and_b32_e32 v92, 0xffff0000, v92
	v_lshlrev_b32_e32 v118, 16, v5
	v_xor_b32_e32 v119, 1, v47
	v_add_u32_e32 v120, 64, v120
	v_and_b32_e32 v34, 0xffff0000, v34
	v_and_b32_e32 v3, 0xffff0000, v3
	v_fmac_f32_e32 v25, v13, v88
	v_fmac_f32_e32 v22, v116, v91
	;; [unrolled: 1-line block ×4, first 2 shown]
	v_cmp_lt_i32_e64 s[0:1], v119, v120
	v_and_b32_e32 v93, 0xffff0000, v93
	v_and_b32_e32 v5, 0xffff0000, v5
	v_fmac_f32_e32 v25, v3, v92
	v_fmac_f32_e32 v22, v118, v34
	v_add_f32_e32 v2, v53, v24
	v_cndmask_b32_e64 v119, v47, v119, s[0:1]
	v_fmac_f32_e32 v25, v5, v93
	v_add_f32_e32 v2, v2, v22
	v_lshlrev_b32_e32 v119, 2, v119
	v_add_f32_e32 v2, v2, v25
	ds_bpermute_b32 v3, v119, v2
	s_and_saveexec_b64 s[46:47], vcc
	s_cbranch_execz .LBB356_12
; %bb.210:                              ;   in Loop: Header=BB356_14 Depth=1
	v_add_u32_e32 v4, v45, v43
	v_cvt_f32_i32_e32 v4, v4
	s_waitcnt lgkmcnt(0)
	v_add_f32_e32 v2, v2, v3
	v_add_u32_e32 v5, v39, v43
	v_cmp_gt_i32_e64 s[0:1], s33, v5
	v_mul_f32_e32 v3, s3, v4
	v_cndmask_b32_e64 v3, 0, v3, s[6:7]
	v_fmac_f32_e32 v3, s43, v2
	v_cndmask_b32_e64 v2, 0, v3, s[0:1]
	ds_write_b32 v44, v2
	v_max_f32_e32 v2, v41, v41
	v_max_f32_e32 v2, v2, v3
	v_cndmask_b32_e64 v41, v41, v2, s[0:1]
	s_branch .LBB356_12
.LBB356_211:
	s_or_b64 exec, exec, s[44:45]
.LBB356_212:
	s_or_b64 exec, exec, s[18:19]
	v_mbcnt_hi_u32_b32 v4, -1, v38
	v_and_b32_e32 v2, 64, v4
	v_add_u32_e32 v9, 64, v2
	v_xor_b32_e32 v2, 32, v4
	v_cmp_lt_i32_e32 vcc, v2, v9
	v_xor_b32_e32 v6, 16, v4
	v_max_f32_e32 v5, v41, v41
	v_cndmask_b32_e32 v2, v4, v2, vcc
	v_lshlrev_b32_e32 v2, 2, v2
	s_waitcnt lgkmcnt(0)
	ds_bpermute_b32 v3, v2, v41
	v_cmp_lt_i32_e32 vcc, v6, v9
	v_xor_b32_e32 v7, 8, v4
	v_xor_b32_e32 v8, 4, v4
	;; [unrolled: 1-line block ×3, first 2 shown]
	s_waitcnt lgkmcnt(0)
	v_max_f32_e32 v3, v3, v3
	v_max_f32_e32 v5, v5, v3
	v_cndmask_b32_e32 v3, v4, v6, vcc
	v_lshlrev_b32_e32 v3, 2, v3
	ds_bpermute_b32 v6, v3, v5
	v_cmp_lt_i32_e32 vcc, v7, v9
	v_and_b32_e32 v22, 63, v0
	s_waitcnt lgkmcnt(0)
	v_max_f32_e32 v6, v6, v6
	v_max_f32_e32 v6, v5, v6
	v_cndmask_b32_e32 v5, v4, v7, vcc
	v_lshlrev_b32_e32 v5, 2, v5
	ds_bpermute_b32 v7, v5, v6
	v_cmp_lt_i32_e32 vcc, v8, v9
	s_waitcnt lgkmcnt(0)
	v_max_f32_e32 v7, v7, v7
	v_max_f32_e32 v7, v6, v7
	v_cndmask_b32_e32 v6, v4, v8, vcc
	v_lshlrev_b32_e32 v6, 2, v6
	ds_bpermute_b32 v8, v6, v7
	v_cmp_lt_i32_e32 vcc, v10, v9
	s_waitcnt lgkmcnt(0)
	v_max_f32_e32 v8, v8, v8
	v_max_f32_e32 v8, v7, v8
	v_cndmask_b32_e32 v7, v4, v10, vcc
	v_lshlrev_b32_e32 v23, 2, v7
	ds_bpermute_b32 v10, v23, v8
	v_cmp_eq_u32_e32 vcc, 0, v22
	v_lshlrev_b32_e32 v7, 2, v37
	s_and_saveexec_b64 s[0:1], vcc
	s_cbranch_execz .LBB356_214
; %bb.213:
	s_waitcnt lgkmcnt(0)
	v_max_f32_e32 v10, v10, v10
	v_max_f32_e32 v8, v8, v8
	;; [unrolled: 1-line block ×3, first 2 shown]
	ds_write_b32 v7, v8 offset:192
.LBB356_214:
	s_or_b64 exec, exec, s[0:1]
	v_cmp_gt_u32_e64 s[0:1], 2, v22
	s_waitcnt lgkmcnt(0)
	v_mov_b32_e32 v10, 0xff7fffff
	v_lshlrev_b32_e32 v8, 2, v22
	s_barrier
	s_and_saveexec_b64 s[6:7], s[0:1]
	s_cbranch_execz .LBB356_216
; %bb.215:
	ds_read_b32 v10, v8 offset:192
.LBB356_216:
	s_or_b64 exec, exec, s[6:7]
	v_xor_b32_e32 v11, 1, v4
	v_cmp_lt_i32_e64 s[6:7], v11, v9
	s_sub_i32 s3, s20, s52
	s_lshl_b32 s3, s3, 5
	v_cndmask_b32_e64 v9, v4, v11, s[6:7]
	v_lshlrev_b32_e32 v24, 2, v9
	s_waitcnt lgkmcnt(0)
	ds_bpermute_b32 v9, v24, v10
	v_max_f32_e32 v10, v10, v10
	v_lshlrev_b32_e32 v4, 2, v4
	s_add_i32 s3, s3, s5
	s_min_i32 s43, s3, s33
	s_waitcnt lgkmcnt(0)
	v_max_f32_e32 v9, v9, v9
	v_max_f32_e32 v10, v10, v9
	v_and_b32_e32 v9, 0x100, v4
	ds_bpermute_b32 v4, v9, v10
	s_sub_i32 s3, s43, s5
	v_cmp_gt_i32_e64 s[6:7], s3, v0
	v_mov_b32_e32 v10, 0
	s_and_saveexec_b64 s[12:13], s[6:7]
	s_cbranch_execz .LBB356_220
; %bb.217:
	v_mov_b32_e32 v10, 0xd0
	v_lshl_add_u32 v11, v0, 2, v10
	s_mov_b64 s[18:19], 0
	v_mov_b32_e32 v10, 0
	v_mov_b32_e32 v12, v0
.LBB356_218:                            ; =>This Inner Loop Header: Depth=1
	ds_read_b32 v13, v11
	v_add_u32_e32 v12, 0x80, v12
	v_cmp_le_i32_e64 s[10:11], s3, v12
	s_or_b64 s[18:19], s[10:11], s[18:19]
	s_waitcnt lgkmcnt(0)
	v_sub_f32_e32 v13, v13, v4
	v_mul_f32_e32 v13, 0x3fb8aa3b, v13
	v_exp_f32_e32 v13, v13
	ds_write_b32 v11, v13
	v_add_f32_e32 v10, v10, v13
	v_add_u32_e32 v11, 0x200, v11
	s_andn2_b64 exec, exec, s[18:19]
	s_cbranch_execnz .LBB356_218
; %bb.219:
	s_or_b64 exec, exec, s[18:19]
.LBB356_220:
	s_or_b64 exec, exec, s[12:13]
	ds_bpermute_b32 v2, v2, v10
	s_waitcnt lgkmcnt(0)
	v_add_f32_e32 v2, v10, v2
	ds_bpermute_b32 v3, v3, v2
	s_waitcnt lgkmcnt(0)
	v_add_f32_e32 v2, v2, v3
	;; [unrolled: 3-line block ×6, first 2 shown]
	s_and_saveexec_b64 s[10:11], vcc
	s_cbranch_execz .LBB356_222
; %bb.221:
	ds_write_b32 v7, v2 offset:200
.LBB356_222:
	s_or_b64 exec, exec, s[10:11]
	s_waitcnt lgkmcnt(0)
	s_barrier
	s_and_saveexec_b64 s[10:11], s[0:1]
	s_cbranch_execz .LBB356_224
; %bb.223:
	ds_read_b32 v2, v8 offset:200
.LBB356_224:
	s_or_b64 exec, exec, s[10:11]
	s_waitcnt lgkmcnt(0)
	ds_bpermute_b32 v3, v24, v2
	s_waitcnt lgkmcnt(0)
	v_add_f32_e32 v2, v2, v3
	ds_bpermute_b32 v5, v9, v2
	s_and_saveexec_b64 s[0:1], s[6:7]
	s_cbranch_execz .LBB356_237
; %bb.225:
	s_waitcnt lgkmcnt(0)
	v_add_f32_e32 v2, 0x358637bd, v5
	v_div_scale_f32 v3, s[6:7], v2, v2, 1.0
	v_rcp_f32_e32 v6, v3
	v_div_scale_f32 v7, vcc, 1.0, v2, 1.0
	s_mov_b64 s[10:11], -1
	v_fma_f32 v8, -v3, v6, 1.0
	v_fmac_f32_e32 v6, v8, v6
	v_mul_f32_e32 v8, v7, v6
	v_fma_f32 v9, -v3, v8, v7
	v_fmac_f32_e32 v8, v9, v6
	v_fma_f32 v3, -v3, v8, v7
	v_div_fmas_f32 v3, v3, v6, v8
	v_div_fixup_f32 v2, v3, v2, 1.0
	v_xad_u32 v3, v0, -1, s43
	v_subrev_u32_e32 v6, s5, v3
	s_movk_i32 s5, 0x7f
	v_cmp_lt_u32_e32 vcc, s5, v6
	v_mov_b32_e32 v3, v0
	s_and_saveexec_b64 s[6:7], vcc
	s_cbranch_execz .LBB356_234
; %bb.226:
	v_lshrrev_b32_e32 v6, 7, v6
	v_add_u32_e32 v8, -1, v6
	v_lshrrev_b32_e32 v7, 1, v8
	v_mov_b32_e32 v3, v2
	v_add_u32_e32 v7, 1, v7
	v_cmp_lt_u32_e32 vcc, 13, v8
	v_mov_b32_e32 v10, 0
	s_and_saveexec_b64 s[10:11], vcc
	s_cbranch_execz .LBB356_230
; %bb.227:
	v_mov_b32_e32 v9, 0xd0
	v_and_b32_e32 v8, -8, v7
	v_lshl_add_u32 v9, v0, 2, v9
	s_mov_b32 s5, 0
	s_mov_b64 s[12:13], 0
.LBB356_228:                            ; =>This Inner Loop Header: Depth=1
	ds_read2st64_b32 v[10:11], v9 offset1:2
	ds_read2st64_b32 v[12:13], v9 offset0:4 offset1:6
	ds_read2st64_b32 v[14:15], v9 offset0:8 offset1:10
	;; [unrolled: 1-line block ×3, first 2 shown]
	v_add_u32_e32 v8, -8, v8
	s_waitcnt lgkmcnt(3)
	v_pk_mul_f32 v[10:11], v[2:3], v[10:11]
	s_waitcnt lgkmcnt(2)
	v_pk_mul_f32 v[12:13], v[2:3], v[12:13]
	ds_write2st64_b32 v9, v10, v11 offset1:2
	ds_write2st64_b32 v9, v12, v13 offset0:4 offset1:6
	ds_read2st64_b32 v[12:13], v9 offset0:16 offset1:18
	s_waitcnt lgkmcnt(4)
	v_pk_mul_f32 v[10:11], v[2:3], v[14:15]
	ds_write2st64_b32 v9, v10, v11 offset0:8 offset1:10
	s_waitcnt lgkmcnt(4)
	v_pk_mul_f32 v[10:11], v[2:3], v[16:17]
	ds_write2st64_b32 v9, v10, v11 offset0:12 offset1:14
	ds_read2st64_b32 v[10:11], v9 offset0:20 offset1:22
	s_waitcnt lgkmcnt(3)
	v_pk_mul_f32 v[12:13], v[2:3], v[12:13]
	ds_read2st64_b32 v[14:15], v9 offset0:24 offset1:26
	ds_write2st64_b32 v9, v12, v13 offset0:16 offset1:18
	ds_read2st64_b32 v[12:13], v9 offset0:28 offset1:30
	s_waitcnt lgkmcnt(3)
	v_pk_mul_f32 v[10:11], v[2:3], v[10:11]
	ds_write2st64_b32 v9, v10, v11 offset0:20 offset1:22
	s_waitcnt lgkmcnt(3)
	v_pk_mul_f32 v[10:11], v[2:3], v[14:15]
	ds_write2st64_b32 v9, v10, v11 offset0:24 offset1:26
	s_waitcnt lgkmcnt(2)
	v_pk_mul_f32 v[10:11], v[2:3], v[12:13]
	s_add_i32 s5, s5, 16
	v_cmp_eq_u32_e32 vcc, 0, v8
	ds_write2st64_b32 v9, v10, v11 offset0:28 offset1:30
	v_add_u32_e32 v9, 0x2000, v9
	s_or_b64 s[12:13], vcc, s[12:13]
	v_mov_b32_e32 v10, s5
	s_andn2_b64 exec, exec, s[12:13]
	s_cbranch_execnz .LBB356_228
; %bb.229:
	s_or_b64 exec, exec, s[12:13]
.LBB356_230:
	s_or_b64 exec, exec, s[10:11]
	v_and_b32_e32 v7, 7, v7
	v_cmp_ne_u32_e32 vcc, 0, v7
	s_and_saveexec_b64 s[10:11], vcc
	s_cbranch_execz .LBB356_233
; %bb.231:
	v_lshlrev_b32_e32 v8, 9, v10
	v_lshlrev_b32_e32 v9, 2, v0
	s_movk_i32 s5, 0xd0
	v_add3_u32 v8, v8, v9, s5
	s_mov_b64 s[12:13], 0
.LBB356_232:                            ; =>This Inner Loop Header: Depth=1
	ds_read2st64_b32 v[10:11], v8 offset1:2
	v_add_u32_e32 v7, -1, v7
	v_cmp_eq_u32_e32 vcc, 0, v7
	s_or_b64 s[12:13], vcc, s[12:13]
	s_waitcnt lgkmcnt(0)
	v_pk_mul_f32 v[10:11], v[2:3], v[10:11]
	ds_write2st64_b32 v8, v10, v11 offset1:2
	v_add_u32_e32 v8, 0x400, v8
	s_andn2_b64 exec, exec, s[12:13]
	s_cbranch_execnz .LBB356_232
.LBB356_233:
	s_or_b64 exec, exec, s[10:11]
	v_add_u32_e32 v6, 1, v6
	v_and_b32_e32 v7, 0x3fffffe, v6
	v_cmp_ne_u32_e32 vcc, v6, v7
	v_lshl_add_u32 v3, v7, 7, v0
	s_orn2_b64 s[10:11], vcc, exec
.LBB356_234:
	s_or_b64 exec, exec, s[6:7]
	s_and_b64 exec, exec, s[10:11]
	s_cbranch_execz .LBB356_237
; %bb.235:
	v_mov_b32_e32 v6, 0xd0
	v_lshl_add_u32 v6, v3, 2, v6
	s_mov_b64 s[6:7], 0
.LBB356_236:                            ; =>This Inner Loop Header: Depth=1
	ds_read_b32 v7, v6
	v_add_u32_e32 v3, 0x80, v3
	v_cmp_le_i32_e32 vcc, s3, v3
	s_or_b64 s[6:7], vcc, s[6:7]
	s_waitcnt lgkmcnt(0)
	v_mul_f32_e32 v7, v2, v7
	ds_write_b32 v6, v7
	v_add_u32_e32 v6, 0x200, v6
	s_andn2_b64 exec, exec, s[6:7]
	s_cbranch_execnz .LBB356_236
.LBB356_237:
	s_or_b64 exec, exec, s[0:1]
	v_cmp_eq_u32_e32 vcc, 0, v0
	s_waitcnt lgkmcnt(0)
	s_barrier
	s_and_saveexec_b64 s[0:1], vcc
	s_cbranch_execz .LBB356_239
; %bb.238:
	s_mul_i32 s3, s16, s28
	s_mul_i32 s6, s3, s29
	s_ashr_i32 s7, s6, 31
	s_lshl_b64 s[6:7], s[6:7], 2
	s_add_u32 s5, s26, s6
	s_mul_i32 s2, s16, s2
	s_addc_u32 s10, s27, s7
	s_ashr_i32 s3, s2, 31
	s_lshl_b64 s[2:3], s[2:3], 2
	s_add_u32 s12, s5, s2
	s_addc_u32 s13, s10, s3
	s_ashr_i32 s5, s4, 31
	s_lshl_b64 s[10:11], s[4:5], 2
	s_add_u32 s12, s12, s10
	s_addc_u32 s13, s13, s11
	s_add_u32 s5, s24, s6
	s_addc_u32 s6, s25, s7
	;; [unrolled: 2-line block ×3, first 2 shown]
	s_add_u32 s2, s2, s10
	v_mov_b32_e32 v2, 0
	s_addc_u32 s3, s3, s11
	global_store_dword v2, v4, s[12:13]
	global_store_dword v2, v5, s[2:3]
.LBB356_239:
	s_or_b64 exec, exec, s[0:1]
	v_mov_b32_e32 v11, 0
	v_and_b32_e32 v25, 3, v0
	v_mov_b32_e32 v10, 0
	v_mov_b32_e32 v13, 0
	;; [unrolled: 1-line block ×5, first 2 shown]
	s_and_saveexec_b64 s[2:3], s[8:9]
	s_cbranch_execz .LBB356_673
; %bb.240:
	s_sub_i32 s5, s50, s21
	s_ashr_i32 s1, s51, 31
	s_add_u32 s0, s40, s51
	s_addc_u32 s1, s41, s1
	s_abs_i32 s12, s22
	v_cvt_f32_u32_e32 v2, s12
	s_sub_i32 s6, 0, s12
	v_and_b32_e32 v16, 0x1f8, v36
	v_mov_b32_e32 v17, 0
	v_rcp_iflag_f32_e32 v2, v2
	s_mov_b32 s13, s17
	s_add_i32 s17, s49, -1
	v_lshl_add_u64 v[18:19], s[0:1], 0, v[16:17]
	v_mul_f32_e32 v2, 0x4f7ffffe, v2
	v_cvt_u32_f32_e32 v2, v2
	s_lshl_b64 s[0:1], s[38:39], 2
	s_add_u32 s0, s36, s0
	s_addc_u32 s1, s37, s1
	v_mul_lo_u32 v3, s6, v2
	v_mul_hi_u32 v3, v2, v3
	v_add_u32_e32 v16, v2, v3
	v_lshlrev_b32_e32 v2, 5, v25
	v_lshl_or_b32 v2, v37, 7, v2
	v_and_b32_e32 v28, 24, v36
	v_lshl_add_u64 v[20:21], v[26:27], 2, s[0:1]
	v_add_u32_e32 v27, 0xd0, v2
	s_mov_b64 s[6:7], 0
	s_mov_b32 s18, 0x7f800000
	s_movk_i32 s19, 0x7fff
	v_mov_b32_e32 v14, 0
	v_mov_b32_e32 v15, 0
	;; [unrolled: 1-line block ×6, first 2 shown]
	s_branch .LBB356_243
.LBB356_241:                            ;   in Loop: Header=BB356_243 Depth=1
	s_or_b64 exec, exec, s[0:1]
	v_and_b32_e32 v45, 0xffff0000, v74
	v_and_b32_e32 v44, 0xffff0000, v5
	;; [unrolled: 1-line block ×8, first 2 shown]
	v_pk_add_f32 v[4:5], v[4:5], v[44:45]
	v_pk_add_f32 v[40:41], v[42:43], v[40:41]
	v_add_f32_e32 v4, v4, v5
	v_add_f32_e32 v4, v4, v40
	v_add_f32_e32 v4, v4, v41
	v_and_b32_e32 v43, 0xffff0000, v68
	v_and_b32_e32 v42, 0xffff0000, v66
	v_and_b32_e32 v45, 0xffff0000, v67
	v_and_b32_e32 v44, 0xffff0000, v65
	v_add_f32_e32 v10, v10, v4
	v_and_b32_e32 v5, 0xffff0000, v72
	v_and_b32_e32 v4, 0xffff0000, v70
	v_and_b32_e32 v41, 0xffff0000, v71
	v_and_b32_e32 v40, 0xffff0000, v69
	v_pk_add_f32 v[42:43], v[44:45], v[42:43]
	v_pk_add_f32 v[4:5], v[40:41], v[4:5]
	v_add_f32_e32 v39, v42, v43
	v_add_f32_e32 v4, v39, v4
	v_add_f32_e32 v4, v4, v5
	v_and_b32_e32 v43, 0xffff0000, v60
	v_and_b32_e32 v42, 0xffff0000, v58
	v_and_b32_e32 v45, 0xffff0000, v59
	v_and_b32_e32 v44, 0xffff0000, v57
	v_add_f32_e32 v13, v13, v4
	v_and_b32_e32 v5, 0xffff0000, v64
	v_and_b32_e32 v4, 0xffff0000, v62
	v_and_b32_e32 v41, 0xffff0000, v63
	v_and_b32_e32 v40, 0xffff0000, v61
	;; [unrolled: 14-line block ×5, first 2 shown]
	v_pk_add_f32 v[2:3], v[2:3], v[8:9]
	v_pk_add_f32 v[4:5], v[6:7], v[4:5]
	v_add_f32_e32 v2, v2, v3
	v_add_f32_e32 v2, v2, v4
	;; [unrolled: 1-line block ×4, first 2 shown]
.LBB356_242:                            ;   in Loop: Header=BB356_243 Depth=1
	s_or_b64 exec, exec, s[8:9]
	v_add_u32_e32 v26, 2, v26
	v_cmp_le_i32_e32 vcc, s20, v26
	v_lshl_add_u64 v[20:21], v[20:21], 0, 8
	v_add_u32_e32 v1, 64, v1
	s_or_b64 s[6:7], vcc, s[6:7]
	v_add_u32_e32 v27, 0x100, v27
	s_andn2_b64 exec, exec, s[6:7]
	s_cbranch_execz .LBB356_672
.LBB356_243:                            ; =>This Inner Loop Header: Depth=1
	v_sub_u32_e32 v3, 0, v1
	v_max_i32_e32 v3, v1, v3
	v_mul_hi_u32 v4, v3, s48
	v_mul_lo_u32 v5, v4, s31
	v_sub_u32_e32 v3, v3, v5
	v_add_u32_e32 v5, 1, v4
	v_cmp_le_u32_e32 vcc, s31, v3
	v_ashrrev_i32_e32 v2, 31, v1
	v_xor_b32_e32 v2, s23, v2
	v_cndmask_b32_e32 v4, v4, v5, vcc
	v_subrev_u32_e32 v5, s31, v3
	v_cndmask_b32_e32 v3, v3, v5, vcc
	v_add_u32_e32 v5, 1, v4
	v_cmp_le_u32_e32 vcc, s31, v3
	s_nop 1
	v_cndmask_b32_e32 v3, v4, v5, vcc
	v_xor_b32_e32 v3, v3, v2
	v_sub_u32_e32 v2, v3, v2
	v_add_u32_e32 v3, s42, v2
	v_sub_u32_e32 v5, 0, v3
	v_ashrrev_i32_e32 v4, 31, v3
	v_max_i32_e32 v3, v3, v5
	v_mul_hi_u32 v5, v3, v16
	v_mul_lo_u32 v5, v5, s12
	v_sub_u32_e32 v3, v3, v5
	v_subrev_u32_e32 v5, s12, v3
	v_cmp_le_u32_e32 vcc, s12, v3
	v_cmp_lt_i32_e64 s[0:1], s5, v2
	s_nop 0
	v_cndmask_b32_e32 v3, v3, v5, vcc
	v_subrev_u32_e32 v5, s12, v3
	v_cmp_le_u32_e32 vcc, s12, v3
	s_nop 1
	v_cndmask_b32_e32 v3, v3, v5, vcc
	v_xor_b32_e32 v3, v3, v4
	v_sub_u32_e32 v3, v3, v4
	v_cmp_eq_u32_e32 vcc, 0, v3
	s_or_b64 s[0:1], vcc, s[0:1]
	s_and_saveexec_b64 s[8:9], s[0:1]
	s_cbranch_execz .LBB356_242
; %bb.244:                              ;   in Loop: Header=BB356_243 Depth=1
	global_load_dword v33, v[20:21], off
	ds_read2_b64 v[6:9], v27 offset1:1
	ds_read2_b64 v[2:5], v27 offset0:2 offset1:3
                                        ; implicit-def: $vgpr41
	s_waitcnt lgkmcnt(1)
	v_and_b32_e32 v29, 0x7f800000, v6
	v_cmp_ne_u32_e32 vcc, s18, v29
	s_and_saveexec_b64 s[0:1], vcc
	s_xor_b64 s[0:1], exec, s[0:1]
; %bb.245:                              ;   in Loop: Header=BB356_243 Depth=1
	v_bfe_u32 v29, v6, 16, 1
	v_add3_u32 v41, v6, v29, s19
; %bb.246:                              ;   in Loop: Header=BB356_243 Depth=1
	s_andn2_saveexec_b64 s[0:1], s[0:1]
; %bb.247:                              ;   in Loop: Header=BB356_243 Depth=1
	v_or_b32_e32 v29, 0x10000, v6
	v_cmp_eq_u32_sdwa vcc, v6, v17 src0_sel:WORD_0 src1_sel:DWORD
	s_nop 1
	v_cndmask_b32_e32 v41, v29, v6, vcc
; %bb.248:                              ;   in Loop: Header=BB356_243 Depth=1
	s_or_b64 exec, exec, s[0:1]
	v_and_b32_e32 v6, 0x7f800000, v7
	v_cmp_ne_u32_e32 vcc, s18, v6
                                        ; implicit-def: $vgpr42
	s_and_saveexec_b64 s[0:1], vcc
	s_xor_b64 s[0:1], exec, s[0:1]
; %bb.249:                              ;   in Loop: Header=BB356_243 Depth=1
	v_bfe_u32 v6, v7, 16, 1
	v_add3_u32 v42, v7, v6, s19
; %bb.250:                              ;   in Loop: Header=BB356_243 Depth=1
	s_andn2_saveexec_b64 s[0:1], s[0:1]
; %bb.251:                              ;   in Loop: Header=BB356_243 Depth=1
	v_or_b32_e32 v6, 0x10000, v7
	v_cmp_eq_u32_sdwa vcc, v7, v17 src0_sel:WORD_0 src1_sel:DWORD
	s_nop 1
	v_cndmask_b32_e32 v42, v6, v7, vcc
; %bb.252:                              ;   in Loop: Header=BB356_243 Depth=1
	s_or_b64 exec, exec, s[0:1]
	v_and_b32_e32 v6, 0x7f800000, v8
	v_cmp_ne_u32_e32 vcc, s18, v6
                                        ; implicit-def: $vgpr43
	s_and_saveexec_b64 s[0:1], vcc
	s_xor_b64 s[0:1], exec, s[0:1]
; %bb.253:                              ;   in Loop: Header=BB356_243 Depth=1
	v_bfe_u32 v6, v8, 16, 1
	v_add3_u32 v43, v8, v6, s19
; %bb.254:                              ;   in Loop: Header=BB356_243 Depth=1
	s_andn2_saveexec_b64 s[0:1], s[0:1]
; %bb.255:                              ;   in Loop: Header=BB356_243 Depth=1
	v_or_b32_e32 v6, 0x10000, v8
	v_cmp_eq_u32_sdwa vcc, v8, v17 src0_sel:WORD_0 src1_sel:DWORD
	s_nop 1
	v_cndmask_b32_e32 v43, v6, v8, vcc
; %bb.256:                              ;   in Loop: Header=BB356_243 Depth=1
	s_or_b64 exec, exec, s[0:1]
	v_and_b32_e32 v6, 0x7f800000, v9
	v_cmp_ne_u32_e32 vcc, s18, v6
                                        ; implicit-def: $vgpr44
	s_and_saveexec_b64 s[0:1], vcc
	s_xor_b64 s[0:1], exec, s[0:1]
; %bb.257:                              ;   in Loop: Header=BB356_243 Depth=1
	v_bfe_u32 v6, v9, 16, 1
	v_add3_u32 v44, v9, v6, s19
                                        ; implicit-def: $vgpr6_vgpr7_vgpr8_vgpr9
; %bb.258:                              ;   in Loop: Header=BB356_243 Depth=1
	s_andn2_saveexec_b64 s[0:1], s[0:1]
; %bb.259:                              ;   in Loop: Header=BB356_243 Depth=1
	v_or_b32_e32 v6, 0x10000, v9
	v_cmp_eq_u32_sdwa vcc, v9, v17 src0_sel:WORD_0 src1_sel:DWORD
	s_nop 1
	v_cndmask_b32_e32 v44, v6, v9, vcc
; %bb.260:                              ;   in Loop: Header=BB356_243 Depth=1
	s_or_b64 exec, exec, s[0:1]
	s_waitcnt lgkmcnt(0)
	v_and_b32_e32 v6, 0x7f800000, v2
	v_cmp_ne_u32_e32 vcc, s18, v6
                                        ; implicit-def: $vgpr29
	s_and_saveexec_b64 s[0:1], vcc
	s_xor_b64 s[0:1], exec, s[0:1]
; %bb.261:                              ;   in Loop: Header=BB356_243 Depth=1
	v_bfe_u32 v6, v2, 16, 1
	v_add3_u32 v29, v2, v6, s19
; %bb.262:                              ;   in Loop: Header=BB356_243 Depth=1
	s_andn2_saveexec_b64 s[0:1], s[0:1]
; %bb.263:                              ;   in Loop: Header=BB356_243 Depth=1
	v_or_b32_e32 v6, 0x10000, v2
	v_cmp_eq_u32_sdwa vcc, v2, v17 src0_sel:WORD_0 src1_sel:DWORD
	s_nop 1
	v_cndmask_b32_e32 v29, v6, v2, vcc
; %bb.264:                              ;   in Loop: Header=BB356_243 Depth=1
	s_or_b64 exec, exec, s[0:1]
	v_and_b32_e32 v2, 0x7f800000, v3
	v_cmp_ne_u32_e32 vcc, s18, v2
                                        ; implicit-def: $vgpr30
	s_and_saveexec_b64 s[0:1], vcc
	s_xor_b64 s[0:1], exec, s[0:1]
; %bb.265:                              ;   in Loop: Header=BB356_243 Depth=1
	v_bfe_u32 v2, v3, 16, 1
	v_add3_u32 v30, v3, v2, s19
; %bb.266:                              ;   in Loop: Header=BB356_243 Depth=1
	s_andn2_saveexec_b64 s[0:1], s[0:1]
; %bb.267:                              ;   in Loop: Header=BB356_243 Depth=1
	v_or_b32_e32 v2, 0x10000, v3
	v_cmp_eq_u32_sdwa vcc, v3, v17 src0_sel:WORD_0 src1_sel:DWORD
	s_nop 1
	v_cndmask_b32_e32 v30, v2, v3, vcc
; %bb.268:                              ;   in Loop: Header=BB356_243 Depth=1
	s_or_b64 exec, exec, s[0:1]
	v_and_b32_e32 v2, 0x7f800000, v4
	v_cmp_ne_u32_e32 vcc, s18, v2
                                        ; implicit-def: $vgpr31
	s_and_saveexec_b64 s[0:1], vcc
	s_xor_b64 s[0:1], exec, s[0:1]
; %bb.269:                              ;   in Loop: Header=BB356_243 Depth=1
	v_bfe_u32 v2, v4, 16, 1
	v_add3_u32 v31, v4, v2, s19
; %bb.270:                              ;   in Loop: Header=BB356_243 Depth=1
	s_andn2_saveexec_b64 s[0:1], s[0:1]
; %bb.271:                              ;   in Loop: Header=BB356_243 Depth=1
	v_or_b32_e32 v2, 0x10000, v4
	v_cmp_eq_u32_sdwa vcc, v4, v17 src0_sel:WORD_0 src1_sel:DWORD
	s_nop 1
	v_cndmask_b32_e32 v31, v2, v4, vcc
; %bb.272:                              ;   in Loop: Header=BB356_243 Depth=1
	s_or_b64 exec, exec, s[0:1]
	v_and_b32_e32 v2, 0x7f800000, v5
	v_cmp_ne_u32_e32 vcc, s18, v2
                                        ; implicit-def: $vgpr32
	s_and_saveexec_b64 s[0:1], vcc
	s_xor_b64 s[0:1], exec, s[0:1]
; %bb.273:                              ;   in Loop: Header=BB356_243 Depth=1
	v_bfe_u32 v2, v5, 16, 1
	v_add3_u32 v32, v5, v2, s19
                                        ; implicit-def: $vgpr2_vgpr3_vgpr4_vgpr5
; %bb.274:                              ;   in Loop: Header=BB356_243 Depth=1
	s_andn2_saveexec_b64 s[0:1], s[0:1]
; %bb.275:                              ;   in Loop: Header=BB356_243 Depth=1
	v_or_b32_e32 v2, 0x10000, v5
	v_cmp_eq_u32_sdwa vcc, v5, v17 src0_sel:WORD_0 src1_sel:DWORD
	s_nop 1
	v_cndmask_b32_e32 v32, v2, v5, vcc
; %bb.276:                              ;   in Loop: Header=BB356_243 Depth=1
	s_or_b64 exec, exec, s[0:1]
	s_waitcnt vmcnt(0)
	v_mad_i64_i32 v[2:3], s[0:1], v33, s13, v[18:19]
	global_load_dwordx2 v[4:5], v[2:3], off
	s_load_dword s21, s[14:15], 0x0
	s_waitcnt vmcnt(0)
	v_and_b32_e32 v6, 0xff, v4
	v_cvt_f32_fp8_sdwa v6, v6 src0_sel:BYTE_0
	s_waitcnt lgkmcnt(0)
	v_mul_f32_e32 v7, s21, v6
	v_and_b32_e32 v6, 0x7f800000, v7
	v_cmp_ne_u32_e32 vcc, s18, v6
                                        ; implicit-def: $vgpr6
	s_and_saveexec_b64 s[0:1], vcc
	s_xor_b64 s[0:1], exec, s[0:1]
; %bb.277:                              ;   in Loop: Header=BB356_243 Depth=1
	v_bfe_u32 v6, v7, 16, 1
	v_add3_u32 v6, v7, v6, s19
                                        ; implicit-def: $vgpr7
; %bb.278:                              ;   in Loop: Header=BB356_243 Depth=1
	s_andn2_saveexec_b64 s[0:1], s[0:1]
; %bb.279:                              ;   in Loop: Header=BB356_243 Depth=1
	v_or_b32_e32 v6, 0x10000, v7
	v_cmp_eq_u32_sdwa vcc, v7, v17 src0_sel:WORD_0 src1_sel:DWORD
	s_nop 1
	v_cndmask_b32_e32 v6, v6, v7, vcc
; %bb.280:                              ;   in Loop: Header=BB356_243 Depth=1
	s_or_b64 exec, exec, s[0:1]
	v_bfe_u32 v7, v4, 8, 8
	v_cvt_f32_fp8_sdwa v7, v7 src0_sel:BYTE_0
	s_nop 0
	v_mul_f32_e32 v8, s21, v7
	v_and_b32_e32 v7, 0x7f800000, v8
	v_cmp_ne_u32_e32 vcc, s18, v7
                                        ; implicit-def: $vgpr7
	s_and_saveexec_b64 s[0:1], vcc
	s_xor_b64 s[0:1], exec, s[0:1]
; %bb.281:                              ;   in Loop: Header=BB356_243 Depth=1
	v_bfe_u32 v7, v8, 16, 1
	v_add3_u32 v7, v8, v7, s19
                                        ; implicit-def: $vgpr8
; %bb.282:                              ;   in Loop: Header=BB356_243 Depth=1
	s_andn2_saveexec_b64 s[0:1], s[0:1]
; %bb.283:                              ;   in Loop: Header=BB356_243 Depth=1
	v_or_b32_e32 v7, 0x10000, v8
	v_cmp_eq_u32_sdwa vcc, v8, v17 src0_sel:WORD_0 src1_sel:DWORD
	s_nop 1
	v_cndmask_b32_e32 v7, v7, v8, vcc
; %bb.284:                              ;   in Loop: Header=BB356_243 Depth=1
	s_or_b64 exec, exec, s[0:1]
	v_bfe_u32 v8, v4, 16, 8
	v_cvt_f32_fp8_sdwa v8, v8 src0_sel:BYTE_0
	s_nop 0
	v_mul_f32_e32 v9, s21, v8
	v_and_b32_e32 v8, 0x7f800000, v9
	v_cmp_ne_u32_e32 vcc, s18, v8
                                        ; implicit-def: $vgpr8
	s_and_saveexec_b64 s[0:1], vcc
	s_xor_b64 s[0:1], exec, s[0:1]
; %bb.285:                              ;   in Loop: Header=BB356_243 Depth=1
	v_bfe_u32 v8, v9, 16, 1
	v_add3_u32 v8, v9, v8, s19
                                        ; implicit-def: $vgpr9
; %bb.286:                              ;   in Loop: Header=BB356_243 Depth=1
	s_andn2_saveexec_b64 s[0:1], s[0:1]
; %bb.287:                              ;   in Loop: Header=BB356_243 Depth=1
	v_or_b32_e32 v8, 0x10000, v9
	v_cmp_eq_u32_sdwa vcc, v9, v17 src0_sel:WORD_0 src1_sel:DWORD
	s_nop 1
	v_cndmask_b32_e32 v8, v8, v9, vcc
; %bb.288:                              ;   in Loop: Header=BB356_243 Depth=1
	s_or_b64 exec, exec, s[0:1]
	v_lshrrev_b32_e32 v4, 24, v4
	v_cvt_f32_fp8_sdwa v4, v4 src0_sel:BYTE_0
	s_nop 0
	v_mul_f32_e32 v9, s21, v4
	v_and_b32_e32 v4, 0x7f800000, v9
	v_cmp_ne_u32_e32 vcc, s18, v4
                                        ; implicit-def: $vgpr4
	s_and_saveexec_b64 s[0:1], vcc
	s_xor_b64 s[0:1], exec, s[0:1]
; %bb.289:                              ;   in Loop: Header=BB356_243 Depth=1
	v_bfe_u32 v4, v9, 16, 1
	v_add3_u32 v4, v9, v4, s19
                                        ; implicit-def: $vgpr9
; %bb.290:                              ;   in Loop: Header=BB356_243 Depth=1
	s_andn2_saveexec_b64 s[0:1], s[0:1]
; %bb.291:                              ;   in Loop: Header=BB356_243 Depth=1
	v_or_b32_e32 v4, 0x10000, v9
	v_cmp_eq_u32_sdwa vcc, v9, v17 src0_sel:WORD_0 src1_sel:DWORD
	s_nop 1
	v_cndmask_b32_e32 v4, v4, v9, vcc
; %bb.292:                              ;   in Loop: Header=BB356_243 Depth=1
	s_or_b64 exec, exec, s[0:1]
	v_and_b32_e32 v9, 0xff, v5
	v_cvt_f32_fp8_sdwa v9, v9 src0_sel:BYTE_0
	s_nop 0
	v_mul_f32_e32 v33, s21, v9
	v_and_b32_e32 v9, 0x7f800000, v33
	v_cmp_ne_u32_e32 vcc, s18, v9
                                        ; implicit-def: $vgpr9
	s_and_saveexec_b64 s[0:1], vcc
	s_xor_b64 s[0:1], exec, s[0:1]
; %bb.293:                              ;   in Loop: Header=BB356_243 Depth=1
	v_bfe_u32 v9, v33, 16, 1
	v_add3_u32 v9, v33, v9, s19
                                        ; implicit-def: $vgpr33
; %bb.294:                              ;   in Loop: Header=BB356_243 Depth=1
	s_andn2_saveexec_b64 s[0:1], s[0:1]
; %bb.295:                              ;   in Loop: Header=BB356_243 Depth=1
	v_or_b32_e32 v9, 0x10000, v33
	v_cmp_eq_u32_sdwa vcc, v33, v17 src0_sel:WORD_0 src1_sel:DWORD
	s_nop 1
	v_cndmask_b32_e32 v9, v9, v33, vcc
; %bb.296:                              ;   in Loop: Header=BB356_243 Depth=1
	s_or_b64 exec, exec, s[0:1]
	v_bfe_u32 v33, v5, 8, 8
	v_cvt_f32_fp8_sdwa v33, v33 src0_sel:BYTE_0
	s_nop 0
	v_mul_f32_e32 v33, s21, v33
	v_and_b32_e32 v34, 0x7f800000, v33
	v_cmp_ne_u32_e32 vcc, s18, v34
                                        ; implicit-def: $vgpr34
	s_and_saveexec_b64 s[0:1], vcc
	s_xor_b64 s[0:1], exec, s[0:1]
; %bb.297:                              ;   in Loop: Header=BB356_243 Depth=1
	v_bfe_u32 v34, v33, 16, 1
	v_add3_u32 v34, v33, v34, s19
                                        ; implicit-def: $vgpr33
; %bb.298:                              ;   in Loop: Header=BB356_243 Depth=1
	s_andn2_saveexec_b64 s[0:1], s[0:1]
; %bb.299:                              ;   in Loop: Header=BB356_243 Depth=1
	v_or_b32_e32 v34, 0x10000, v33
	v_cmp_eq_u32_sdwa vcc, v33, v17 src0_sel:WORD_0 src1_sel:DWORD
	s_nop 1
	v_cndmask_b32_e32 v34, v34, v33, vcc
; %bb.300:                              ;   in Loop: Header=BB356_243 Depth=1
	s_or_b64 exec, exec, s[0:1]
	v_bfe_u32 v33, v5, 16, 8
	v_cvt_f32_fp8_sdwa v33, v33 src0_sel:BYTE_0
	s_nop 0
	v_mul_f32_e32 v33, s21, v33
	v_and_b32_e32 v35, 0x7f800000, v33
	v_cmp_ne_u32_e32 vcc, s18, v35
                                        ; implicit-def: $vgpr35
	s_and_saveexec_b64 s[0:1], vcc
	s_xor_b64 s[0:1], exec, s[0:1]
; %bb.301:                              ;   in Loop: Header=BB356_243 Depth=1
	v_bfe_u32 v35, v33, 16, 1
	v_add3_u32 v35, v33, v35, s19
                                        ; implicit-def: $vgpr33
; %bb.302:                              ;   in Loop: Header=BB356_243 Depth=1
	s_andn2_saveexec_b64 s[0:1], s[0:1]
; %bb.303:                              ;   in Loop: Header=BB356_243 Depth=1
	v_or_b32_e32 v35, 0x10000, v33
	v_cmp_eq_u32_sdwa vcc, v33, v17 src0_sel:WORD_0 src1_sel:DWORD
	s_nop 1
	v_cndmask_b32_e32 v35, v35, v33, vcc
; %bb.304:                              ;   in Loop: Header=BB356_243 Depth=1
	s_or_b64 exec, exec, s[0:1]
	v_lshrrev_b32_e32 v5, 24, v5
	v_cvt_f32_fp8_sdwa v5, v5 src0_sel:BYTE_0
                                        ; implicit-def: $vgpr36
	s_nop 0
	v_mul_f32_e32 v5, s21, v5
	v_and_b32_e32 v33, 0x7f800000, v5
	v_cmp_ne_u32_e32 vcc, s18, v33
	s_and_saveexec_b64 s[0:1], vcc
	s_xor_b64 s[0:1], exec, s[0:1]
; %bb.305:                              ;   in Loop: Header=BB356_243 Depth=1
	v_bfe_u32 v33, v5, 16, 1
	v_add3_u32 v36, v5, v33, s19
                                        ; implicit-def: $vgpr5
; %bb.306:                              ;   in Loop: Header=BB356_243 Depth=1
	s_andn2_saveexec_b64 s[0:1], s[0:1]
; %bb.307:                              ;   in Loop: Header=BB356_243 Depth=1
	v_or_b32_e32 v33, 0x10000, v5
	v_cmp_eq_u32_sdwa vcc, v5, v17 src0_sel:WORD_0 src1_sel:DWORD
	s_nop 1
	v_cndmask_b32_e32 v36, v33, v5, vcc
; %bb.308:                              ;   in Loop: Header=BB356_243 Depth=1
	s_or_b64 exec, exec, s[0:1]
	v_add_u32_e32 v33, v28, v1
	v_cmp_eq_u32_e32 vcc, s17, v26
	v_lshrrev_b32_e32 v47, 16, v34
	v_lshrrev_b32_e32 v46, 16, v9
	;; [unrolled: 1-line block ×8, first 2 shown]
	v_add_u32_e32 v40, 1, v33
	v_add_u32_e32 v39, 2, v33
	;; [unrolled: 1-line block ×7, first 2 shown]
	s_and_saveexec_b64 s[10:11], vcc
	s_cbranch_execz .LBB356_310
; %bb.309:                              ;   in Loop: Header=BB356_243 Depth=1
	v_cmp_gt_i32_e64 s[0:1], s33, v33
	s_nop 1
	v_cndmask_b32_e64 v6, 0, v6, s[0:1]
	v_cmp_gt_i32_e64 s[0:1], s33, v40
	s_nop 1
	v_cndmask_b32_e64 v7, 0, v7, s[0:1]
	;; [unrolled: 3-line block ×8, first 2 shown]
.LBB356_310:                            ;   in Loop: Header=BB356_243 Depth=1
	s_or_b64 exec, exec, s[10:11]
	v_and_b32_e32 v41, 0xffff0000, v41
	v_lshlrev_b32_e32 v6, 16, v6
	v_mul_f32_e32 v45, v41, v6
	v_and_b32_e32 v6, 0x7f800000, v45
	v_cmp_ne_u32_e64 s[0:1], s18, v6
                                        ; implicit-def: $vgpr6
	s_and_saveexec_b64 s[10:11], s[0:1]
	s_xor_b64 s[0:1], exec, s[10:11]
; %bb.311:                              ;   in Loop: Header=BB356_243 Depth=1
	v_bfe_u32 v6, v45, 16, 1
	v_add3_u32 v6, v45, v6, s19
                                        ; implicit-def: $vgpr45
; %bb.312:                              ;   in Loop: Header=BB356_243 Depth=1
	s_andn2_saveexec_b64 s[10:11], s[0:1]
; %bb.313:                              ;   in Loop: Header=BB356_243 Depth=1
	v_or_b32_e32 v6, 0x10000, v45
	v_cmp_eq_u32_sdwa s[0:1], v45, v17 src0_sel:WORD_0 src1_sel:DWORD
	s_nop 1
	v_cndmask_b32_e64 v6, v6, v45, s[0:1]
; %bb.314:                              ;   in Loop: Header=BB356_243 Depth=1
	s_or_b64 exec, exec, s[10:11]
	v_and_b32_e32 v42, 0xffff0000, v42
	v_lshlrev_b32_e32 v7, 16, v7
	v_mul_f32_e32 v45, v42, v7
	v_and_b32_e32 v7, 0x7f800000, v45
	v_cmp_ne_u32_e64 s[0:1], s18, v7
                                        ; implicit-def: $vgpr7
	s_and_saveexec_b64 s[10:11], s[0:1]
	s_xor_b64 s[0:1], exec, s[10:11]
; %bb.315:                              ;   in Loop: Header=BB356_243 Depth=1
	v_bfe_u32 v7, v45, 16, 1
	v_add3_u32 v7, v45, v7, s19
                                        ; implicit-def: $vgpr45
; %bb.316:                              ;   in Loop: Header=BB356_243 Depth=1
	s_andn2_saveexec_b64 s[10:11], s[0:1]
; %bb.317:                              ;   in Loop: Header=BB356_243 Depth=1
	v_or_b32_e32 v7, 0x10000, v45
	v_cmp_eq_u32_sdwa s[0:1], v45, v17 src0_sel:WORD_0 src1_sel:DWORD
	s_nop 1
	v_cndmask_b32_e64 v7, v7, v45, s[0:1]
; %bb.318:                              ;   in Loop: Header=BB356_243 Depth=1
	s_or_b64 exec, exec, s[10:11]
	v_and_b32_e32 v43, 0xffff0000, v43
	v_lshlrev_b32_e32 v8, 16, v8
	v_mul_f32_e32 v45, v43, v8
	v_and_b32_e32 v8, 0x7f800000, v45
	v_cmp_ne_u32_e64 s[0:1], s18, v8
                                        ; implicit-def: $vgpr8
	s_and_saveexec_b64 s[10:11], s[0:1]
	s_xor_b64 s[0:1], exec, s[10:11]
; %bb.319:                              ;   in Loop: Header=BB356_243 Depth=1
	v_bfe_u32 v8, v45, 16, 1
	v_add3_u32 v8, v45, v8, s19
                                        ; implicit-def: $vgpr45
; %bb.320:                              ;   in Loop: Header=BB356_243 Depth=1
	s_andn2_saveexec_b64 s[10:11], s[0:1]
; %bb.321:                              ;   in Loop: Header=BB356_243 Depth=1
	v_or_b32_e32 v8, 0x10000, v45
	v_cmp_eq_u32_sdwa s[0:1], v45, v17 src0_sel:WORD_0 src1_sel:DWORD
	s_nop 1
	v_cndmask_b32_e64 v8, v8, v45, s[0:1]
; %bb.322:                              ;   in Loop: Header=BB356_243 Depth=1
	s_or_b64 exec, exec, s[10:11]
	v_and_b32_e32 v44, 0xffff0000, v44
	v_lshlrev_b32_e32 v9, 16, v9
	v_mul_f32_e32 v45, v44, v9
	v_and_b32_e32 v9, 0x7f800000, v45
	v_cmp_ne_u32_e64 s[0:1], s18, v9
                                        ; implicit-def: $vgpr9
	s_and_saveexec_b64 s[10:11], s[0:1]
	s_xor_b64 s[0:1], exec, s[10:11]
; %bb.323:                              ;   in Loop: Header=BB356_243 Depth=1
	v_bfe_u32 v9, v45, 16, 1
	v_add3_u32 v9, v45, v9, s19
                                        ; implicit-def: $vgpr45
; %bb.324:                              ;   in Loop: Header=BB356_243 Depth=1
	s_andn2_saveexec_b64 s[10:11], s[0:1]
; %bb.325:                              ;   in Loop: Header=BB356_243 Depth=1
	v_or_b32_e32 v9, 0x10000, v45
	v_cmp_eq_u32_sdwa s[0:1], v45, v17 src0_sel:WORD_0 src1_sel:DWORD
	s_nop 1
	v_cndmask_b32_e64 v9, v9, v45, s[0:1]
; %bb.326:                              ;   in Loop: Header=BB356_243 Depth=1
	s_or_b64 exec, exec, s[10:11]
	v_and_b32_e32 v45, 0xffff0000, v29
	v_lshlrev_b32_e32 v29, 16, v46
	v_mul_f32_e32 v46, v45, v29
	v_and_b32_e32 v29, 0x7f800000, v46
	v_cmp_ne_u32_e64 s[0:1], s18, v29
                                        ; implicit-def: $vgpr29
	s_and_saveexec_b64 s[10:11], s[0:1]
	s_xor_b64 s[0:1], exec, s[10:11]
; %bb.327:                              ;   in Loop: Header=BB356_243 Depth=1
	v_bfe_u32 v29, v46, 16, 1
	v_add3_u32 v29, v46, v29, s19
                                        ; implicit-def: $vgpr46
; %bb.328:                              ;   in Loop: Header=BB356_243 Depth=1
	s_andn2_saveexec_b64 s[10:11], s[0:1]
; %bb.329:                              ;   in Loop: Header=BB356_243 Depth=1
	v_or_b32_e32 v29, 0x10000, v46
	v_cmp_eq_u32_sdwa s[0:1], v46, v17 src0_sel:WORD_0 src1_sel:DWORD
	s_nop 1
	v_cndmask_b32_e64 v29, v29, v46, s[0:1]
; %bb.330:                              ;   in Loop: Header=BB356_243 Depth=1
	s_or_b64 exec, exec, s[10:11]
	v_and_b32_e32 v46, 0xffff0000, v30
	v_lshlrev_b32_e32 v30, 16, v47
	v_mul_f32_e32 v47, v46, v30
	v_and_b32_e32 v30, 0x7f800000, v47
	v_cmp_ne_u32_e64 s[0:1], s18, v30
                                        ; implicit-def: $vgpr30
	s_and_saveexec_b64 s[10:11], s[0:1]
	s_xor_b64 s[0:1], exec, s[10:11]
; %bb.331:                              ;   in Loop: Header=BB356_243 Depth=1
	v_bfe_u32 v30, v47, 16, 1
	v_add3_u32 v30, v47, v30, s19
                                        ; implicit-def: $vgpr47
; %bb.332:                              ;   in Loop: Header=BB356_243 Depth=1
	s_andn2_saveexec_b64 s[10:11], s[0:1]
; %bb.333:                              ;   in Loop: Header=BB356_243 Depth=1
	v_or_b32_e32 v30, 0x10000, v47
	v_cmp_eq_u32_sdwa s[0:1], v47, v17 src0_sel:WORD_0 src1_sel:DWORD
	s_nop 1
	v_cndmask_b32_e64 v30, v30, v47, s[0:1]
; %bb.334:                              ;   in Loop: Header=BB356_243 Depth=1
	s_or_b64 exec, exec, s[10:11]
	v_and_b32_e32 v47, 0xffff0000, v31
	v_lshlrev_b32_e32 v5, 16, v5
	v_mul_f32_e32 v5, v47, v5
	v_and_b32_e32 v31, 0x7f800000, v5
	v_cmp_ne_u32_e64 s[0:1], s18, v31
                                        ; implicit-def: $vgpr31
	s_and_saveexec_b64 s[10:11], s[0:1]
	s_xor_b64 s[0:1], exec, s[10:11]
; %bb.335:                              ;   in Loop: Header=BB356_243 Depth=1
	v_bfe_u32 v31, v5, 16, 1
	v_add3_u32 v31, v5, v31, s19
                                        ; implicit-def: $vgpr5
; %bb.336:                              ;   in Loop: Header=BB356_243 Depth=1
	s_andn2_saveexec_b64 s[10:11], s[0:1]
; %bb.337:                              ;   in Loop: Header=BB356_243 Depth=1
	v_or_b32_e32 v31, 0x10000, v5
	v_cmp_eq_u32_sdwa s[0:1], v5, v17 src0_sel:WORD_0 src1_sel:DWORD
	s_nop 1
	v_cndmask_b32_e64 v31, v31, v5, s[0:1]
; %bb.338:                              ;   in Loop: Header=BB356_243 Depth=1
	s_or_b64 exec, exec, s[10:11]
	v_and_b32_e32 v48, 0xffff0000, v32
	v_lshlrev_b32_e32 v4, 16, v4
	v_mul_f32_e32 v4, v48, v4
	v_and_b32_e32 v5, 0x7f800000, v4
	v_cmp_ne_u32_e64 s[0:1], s18, v5
                                        ; implicit-def: $vgpr32
	s_and_saveexec_b64 s[10:11], s[0:1]
	s_xor_b64 s[0:1], exec, s[10:11]
; %bb.339:                              ;   in Loop: Header=BB356_243 Depth=1
	v_bfe_u32 v5, v4, 16, 1
	v_add3_u32 v32, v4, v5, s19
                                        ; implicit-def: $vgpr4
; %bb.340:                              ;   in Loop: Header=BB356_243 Depth=1
	s_andn2_saveexec_b64 s[10:11], s[0:1]
; %bb.341:                              ;   in Loop: Header=BB356_243 Depth=1
	v_or_b32_e32 v5, 0x10000, v4
	v_cmp_eq_u32_sdwa s[0:1], v4, v17 src0_sel:WORD_0 src1_sel:DWORD
	s_nop 1
	v_cndmask_b32_e64 v32, v5, v4, s[0:1]
; %bb.342:                              ;   in Loop: Header=BB356_243 Depth=1
	s_or_b64 exec, exec, s[10:11]
	global_load_dwordx2 v[4:5], v[2:3], off offset:512
	s_waitcnt vmcnt(0)
	v_and_b32_e32 v49, 0xff, v4
	v_cvt_f32_fp8_sdwa v49, v49 src0_sel:BYTE_0
	s_nop 0
	v_mul_f32_e32 v50, s21, v49
	v_and_b32_e32 v49, 0x7f800000, v50
	v_cmp_ne_u32_e64 s[0:1], s18, v49
                                        ; implicit-def: $vgpr49
	s_and_saveexec_b64 s[10:11], s[0:1]
	s_xor_b64 s[0:1], exec, s[10:11]
; %bb.343:                              ;   in Loop: Header=BB356_243 Depth=1
	v_bfe_u32 v49, v50, 16, 1
	v_add3_u32 v49, v50, v49, s19
                                        ; implicit-def: $vgpr50
; %bb.344:                              ;   in Loop: Header=BB356_243 Depth=1
	s_andn2_saveexec_b64 s[10:11], s[0:1]
; %bb.345:                              ;   in Loop: Header=BB356_243 Depth=1
	v_or_b32_e32 v49, 0x10000, v50
	v_cmp_eq_u32_sdwa s[0:1], v50, v17 src0_sel:WORD_0 src1_sel:DWORD
	s_nop 1
	v_cndmask_b32_e64 v49, v49, v50, s[0:1]
; %bb.346:                              ;   in Loop: Header=BB356_243 Depth=1
	s_or_b64 exec, exec, s[10:11]
	v_bfe_u32 v50, v4, 8, 8
	v_cvt_f32_fp8_sdwa v50, v50 src0_sel:BYTE_0
	s_nop 0
	v_mul_f32_e32 v51, s21, v50
	v_and_b32_e32 v50, 0x7f800000, v51
	v_cmp_ne_u32_e64 s[0:1], s18, v50
                                        ; implicit-def: $vgpr50
	s_and_saveexec_b64 s[10:11], s[0:1]
	s_xor_b64 s[0:1], exec, s[10:11]
; %bb.347:                              ;   in Loop: Header=BB356_243 Depth=1
	v_bfe_u32 v50, v51, 16, 1
	v_add3_u32 v50, v51, v50, s19
                                        ; implicit-def: $vgpr51
; %bb.348:                              ;   in Loop: Header=BB356_243 Depth=1
	s_andn2_saveexec_b64 s[10:11], s[0:1]
; %bb.349:                              ;   in Loop: Header=BB356_243 Depth=1
	v_or_b32_e32 v50, 0x10000, v51
	v_cmp_eq_u32_sdwa s[0:1], v51, v17 src0_sel:WORD_0 src1_sel:DWORD
	s_nop 1
	v_cndmask_b32_e64 v50, v50, v51, s[0:1]
; %bb.350:                              ;   in Loop: Header=BB356_243 Depth=1
	s_or_b64 exec, exec, s[10:11]
	v_bfe_u32 v51, v4, 16, 8
	v_cvt_f32_fp8_sdwa v51, v51 src0_sel:BYTE_0
	s_nop 0
	v_mul_f32_e32 v52, s21, v51
	v_and_b32_e32 v51, 0x7f800000, v52
	v_cmp_ne_u32_e64 s[0:1], s18, v51
                                        ; implicit-def: $vgpr51
	s_and_saveexec_b64 s[10:11], s[0:1]
	s_xor_b64 s[0:1], exec, s[10:11]
; %bb.351:                              ;   in Loop: Header=BB356_243 Depth=1
	v_bfe_u32 v51, v52, 16, 1
	v_add3_u32 v51, v52, v51, s19
                                        ; implicit-def: $vgpr52
; %bb.352:                              ;   in Loop: Header=BB356_243 Depth=1
	s_andn2_saveexec_b64 s[10:11], s[0:1]
; %bb.353:                              ;   in Loop: Header=BB356_243 Depth=1
	v_or_b32_e32 v51, 0x10000, v52
	v_cmp_eq_u32_sdwa s[0:1], v52, v17 src0_sel:WORD_0 src1_sel:DWORD
	s_nop 1
	v_cndmask_b32_e64 v51, v51, v52, s[0:1]
; %bb.354:                              ;   in Loop: Header=BB356_243 Depth=1
	s_or_b64 exec, exec, s[10:11]
	v_lshrrev_b32_e32 v4, 24, v4
	v_cvt_f32_fp8_sdwa v4, v4 src0_sel:BYTE_0
	s_nop 0
	v_mul_f32_e32 v52, s21, v4
	v_and_b32_e32 v4, 0x7f800000, v52
	v_cmp_ne_u32_e64 s[0:1], s18, v4
                                        ; implicit-def: $vgpr4
	s_and_saveexec_b64 s[10:11], s[0:1]
	s_xor_b64 s[0:1], exec, s[10:11]
; %bb.355:                              ;   in Loop: Header=BB356_243 Depth=1
	v_bfe_u32 v4, v52, 16, 1
	v_add3_u32 v4, v52, v4, s19
                                        ; implicit-def: $vgpr52
; %bb.356:                              ;   in Loop: Header=BB356_243 Depth=1
	s_andn2_saveexec_b64 s[10:11], s[0:1]
; %bb.357:                              ;   in Loop: Header=BB356_243 Depth=1
	v_or_b32_e32 v4, 0x10000, v52
	v_cmp_eq_u32_sdwa s[0:1], v52, v17 src0_sel:WORD_0 src1_sel:DWORD
	s_nop 1
	v_cndmask_b32_e64 v4, v4, v52, s[0:1]
; %bb.358:                              ;   in Loop: Header=BB356_243 Depth=1
	s_or_b64 exec, exec, s[10:11]
	v_and_b32_e32 v52, 0xff, v5
	v_cvt_f32_fp8_sdwa v52, v52 src0_sel:BYTE_0
	s_nop 0
	v_mul_f32_e32 v53, s21, v52
	v_and_b32_e32 v52, 0x7f800000, v53
	v_cmp_ne_u32_e64 s[0:1], s18, v52
                                        ; implicit-def: $vgpr52
	s_and_saveexec_b64 s[10:11], s[0:1]
	s_xor_b64 s[0:1], exec, s[10:11]
; %bb.359:                              ;   in Loop: Header=BB356_243 Depth=1
	v_bfe_u32 v52, v53, 16, 1
	v_add3_u32 v52, v53, v52, s19
                                        ; implicit-def: $vgpr53
; %bb.360:                              ;   in Loop: Header=BB356_243 Depth=1
	s_andn2_saveexec_b64 s[10:11], s[0:1]
; %bb.361:                              ;   in Loop: Header=BB356_243 Depth=1
	v_or_b32_e32 v52, 0x10000, v53
	v_cmp_eq_u32_sdwa s[0:1], v53, v17 src0_sel:WORD_0 src1_sel:DWORD
	s_nop 1
	v_cndmask_b32_e64 v52, v52, v53, s[0:1]
; %bb.362:                              ;   in Loop: Header=BB356_243 Depth=1
	s_or_b64 exec, exec, s[10:11]
	v_bfe_u32 v53, v5, 8, 8
	v_cvt_f32_fp8_sdwa v53, v53 src0_sel:BYTE_0
	s_nop 0
	v_mul_f32_e32 v54, s21, v53
	v_and_b32_e32 v53, 0x7f800000, v54
	v_cmp_ne_u32_e64 s[0:1], s18, v53
                                        ; implicit-def: $vgpr53
	s_and_saveexec_b64 s[10:11], s[0:1]
	s_xor_b64 s[0:1], exec, s[10:11]
; %bb.363:                              ;   in Loop: Header=BB356_243 Depth=1
	v_bfe_u32 v53, v54, 16, 1
	v_add3_u32 v53, v54, v53, s19
                                        ; implicit-def: $vgpr54
; %bb.364:                              ;   in Loop: Header=BB356_243 Depth=1
	s_andn2_saveexec_b64 s[10:11], s[0:1]
; %bb.365:                              ;   in Loop: Header=BB356_243 Depth=1
	v_or_b32_e32 v53, 0x10000, v54
	v_cmp_eq_u32_sdwa s[0:1], v54, v17 src0_sel:WORD_0 src1_sel:DWORD
	s_nop 1
	v_cndmask_b32_e64 v53, v53, v54, s[0:1]
; %bb.366:                              ;   in Loop: Header=BB356_243 Depth=1
	s_or_b64 exec, exec, s[10:11]
	v_bfe_u32 v54, v5, 16, 8
	v_cvt_f32_fp8_sdwa v54, v54 src0_sel:BYTE_0
	s_nop 0
	v_mul_f32_e32 v54, s21, v54
	v_and_b32_e32 v55, 0x7f800000, v54
	v_cmp_ne_u32_e64 s[0:1], s18, v55
                                        ; implicit-def: $vgpr55
	s_and_saveexec_b64 s[10:11], s[0:1]
	s_xor_b64 s[0:1], exec, s[10:11]
; %bb.367:                              ;   in Loop: Header=BB356_243 Depth=1
	v_bfe_u32 v55, v54, 16, 1
	v_add3_u32 v55, v54, v55, s19
                                        ; implicit-def: $vgpr54
; %bb.368:                              ;   in Loop: Header=BB356_243 Depth=1
	s_andn2_saveexec_b64 s[10:11], s[0:1]
; %bb.369:                              ;   in Loop: Header=BB356_243 Depth=1
	v_or_b32_e32 v55, 0x10000, v54
	v_cmp_eq_u32_sdwa s[0:1], v54, v17 src0_sel:WORD_0 src1_sel:DWORD
	s_nop 1
	v_cndmask_b32_e64 v55, v55, v54, s[0:1]
; %bb.370:                              ;   in Loop: Header=BB356_243 Depth=1
	s_or_b64 exec, exec, s[10:11]
	v_lshrrev_b32_e32 v5, 24, v5
	v_cvt_f32_fp8_sdwa v5, v5 src0_sel:BYTE_0
                                        ; implicit-def: $vgpr56
	s_nop 0
	v_mul_f32_e32 v5, s21, v5
	v_and_b32_e32 v54, 0x7f800000, v5
	v_cmp_ne_u32_e64 s[0:1], s18, v54
	s_and_saveexec_b64 s[10:11], s[0:1]
	s_xor_b64 s[0:1], exec, s[10:11]
; %bb.371:                              ;   in Loop: Header=BB356_243 Depth=1
	v_bfe_u32 v54, v5, 16, 1
	v_add3_u32 v56, v5, v54, s19
                                        ; implicit-def: $vgpr5
; %bb.372:                              ;   in Loop: Header=BB356_243 Depth=1
	s_andn2_saveexec_b64 s[10:11], s[0:1]
; %bb.373:                              ;   in Loop: Header=BB356_243 Depth=1
	v_or_b32_e32 v54, 0x10000, v5
	v_cmp_eq_u32_sdwa s[0:1], v5, v17 src0_sel:WORD_0 src1_sel:DWORD
	s_nop 1
	v_cndmask_b32_e64 v56, v54, v5, s[0:1]
; %bb.374:                              ;   in Loop: Header=BB356_243 Depth=1
	s_or_b64 exec, exec, s[10:11]
	v_lshrrev_b32_e32 v54, 16, v53
	v_lshrrev_b32_e32 v53, 16, v52
	;; [unrolled: 1-line block ×8, first 2 shown]
	s_and_saveexec_b64 s[10:11], vcc
	s_cbranch_execz .LBB356_376
; %bb.375:                              ;   in Loop: Header=BB356_243 Depth=1
	v_cmp_gt_i32_e64 s[0:1], s33, v33
	s_nop 1
	v_cndmask_b32_e64 v49, 0, v49, s[0:1]
	v_cmp_gt_i32_e64 s[0:1], s33, v40
	s_nop 1
	v_cndmask_b32_e64 v50, 0, v50, s[0:1]
	;; [unrolled: 3-line block ×8, first 2 shown]
.LBB356_376:                            ;   in Loop: Header=BB356_243 Depth=1
	s_or_b64 exec, exec, s[10:11]
	v_lshlrev_b32_e32 v49, 16, v49
	v_mul_f32_e32 v55, v41, v49
	v_and_b32_e32 v49, 0x7f800000, v55
	v_cmp_ne_u32_e64 s[0:1], s18, v49
                                        ; implicit-def: $vgpr49
	s_and_saveexec_b64 s[10:11], s[0:1]
	s_xor_b64 s[0:1], exec, s[10:11]
; %bb.377:                              ;   in Loop: Header=BB356_243 Depth=1
	v_bfe_u32 v49, v55, 16, 1
	v_add3_u32 v49, v55, v49, s19
                                        ; implicit-def: $vgpr55
; %bb.378:                              ;   in Loop: Header=BB356_243 Depth=1
	s_andn2_saveexec_b64 s[10:11], s[0:1]
; %bb.379:                              ;   in Loop: Header=BB356_243 Depth=1
	v_or_b32_e32 v49, 0x10000, v55
	v_cmp_eq_u32_sdwa s[0:1], v55, v17 src0_sel:WORD_0 src1_sel:DWORD
	s_nop 1
	v_cndmask_b32_e64 v49, v49, v55, s[0:1]
; %bb.380:                              ;   in Loop: Header=BB356_243 Depth=1
	s_or_b64 exec, exec, s[10:11]
	v_lshlrev_b32_e32 v50, 16, v50
	v_mul_f32_e32 v55, v42, v50
	v_and_b32_e32 v50, 0x7f800000, v55
	v_cmp_ne_u32_e64 s[0:1], s18, v50
                                        ; implicit-def: $vgpr50
	s_and_saveexec_b64 s[10:11], s[0:1]
	s_xor_b64 s[0:1], exec, s[10:11]
; %bb.381:                              ;   in Loop: Header=BB356_243 Depth=1
	v_bfe_u32 v50, v55, 16, 1
	v_add3_u32 v50, v55, v50, s19
                                        ; implicit-def: $vgpr55
; %bb.382:                              ;   in Loop: Header=BB356_243 Depth=1
	s_andn2_saveexec_b64 s[10:11], s[0:1]
; %bb.383:                              ;   in Loop: Header=BB356_243 Depth=1
	v_or_b32_e32 v50, 0x10000, v55
	v_cmp_eq_u32_sdwa s[0:1], v55, v17 src0_sel:WORD_0 src1_sel:DWORD
	s_nop 1
	v_cndmask_b32_e64 v50, v50, v55, s[0:1]
; %bb.384:                              ;   in Loop: Header=BB356_243 Depth=1
	s_or_b64 exec, exec, s[10:11]
	v_lshlrev_b32_e32 v51, 16, v51
	v_mul_f32_e32 v55, v43, v51
	v_and_b32_e32 v51, 0x7f800000, v55
	v_cmp_ne_u32_e64 s[0:1], s18, v51
                                        ; implicit-def: $vgpr51
	s_and_saveexec_b64 s[10:11], s[0:1]
	s_xor_b64 s[0:1], exec, s[10:11]
; %bb.385:                              ;   in Loop: Header=BB356_243 Depth=1
	v_bfe_u32 v51, v55, 16, 1
	v_add3_u32 v51, v55, v51, s19
                                        ; implicit-def: $vgpr55
; %bb.386:                              ;   in Loop: Header=BB356_243 Depth=1
	s_andn2_saveexec_b64 s[10:11], s[0:1]
; %bb.387:                              ;   in Loop: Header=BB356_243 Depth=1
	v_or_b32_e32 v51, 0x10000, v55
	v_cmp_eq_u32_sdwa s[0:1], v55, v17 src0_sel:WORD_0 src1_sel:DWORD
	s_nop 1
	v_cndmask_b32_e64 v51, v51, v55, s[0:1]
; %bb.388:                              ;   in Loop: Header=BB356_243 Depth=1
	s_or_b64 exec, exec, s[10:11]
	v_lshlrev_b32_e32 v52, 16, v52
	v_mul_f32_e32 v55, v44, v52
	v_and_b32_e32 v52, 0x7f800000, v55
	v_cmp_ne_u32_e64 s[0:1], s18, v52
                                        ; implicit-def: $vgpr52
	s_and_saveexec_b64 s[10:11], s[0:1]
	s_xor_b64 s[0:1], exec, s[10:11]
; %bb.389:                              ;   in Loop: Header=BB356_243 Depth=1
	v_bfe_u32 v52, v55, 16, 1
	v_add3_u32 v52, v55, v52, s19
                                        ; implicit-def: $vgpr55
; %bb.390:                              ;   in Loop: Header=BB356_243 Depth=1
	s_andn2_saveexec_b64 s[10:11], s[0:1]
; %bb.391:                              ;   in Loop: Header=BB356_243 Depth=1
	v_or_b32_e32 v52, 0x10000, v55
	v_cmp_eq_u32_sdwa s[0:1], v55, v17 src0_sel:WORD_0 src1_sel:DWORD
	s_nop 1
	v_cndmask_b32_e64 v52, v52, v55, s[0:1]
; %bb.392:                              ;   in Loop: Header=BB356_243 Depth=1
	s_or_b64 exec, exec, s[10:11]
	v_lshlrev_b32_e32 v53, 16, v53
	v_mul_f32_e32 v55, v45, v53
	v_and_b32_e32 v53, 0x7f800000, v55
	v_cmp_ne_u32_e64 s[0:1], s18, v53
                                        ; implicit-def: $vgpr53
	s_and_saveexec_b64 s[10:11], s[0:1]
	s_xor_b64 s[0:1], exec, s[10:11]
; %bb.393:                              ;   in Loop: Header=BB356_243 Depth=1
	v_bfe_u32 v53, v55, 16, 1
	v_add3_u32 v53, v55, v53, s19
                                        ; implicit-def: $vgpr55
; %bb.394:                              ;   in Loop: Header=BB356_243 Depth=1
	s_andn2_saveexec_b64 s[10:11], s[0:1]
; %bb.395:                              ;   in Loop: Header=BB356_243 Depth=1
	v_or_b32_e32 v53, 0x10000, v55
	v_cmp_eq_u32_sdwa s[0:1], v55, v17 src0_sel:WORD_0 src1_sel:DWORD
	s_nop 1
	v_cndmask_b32_e64 v53, v53, v55, s[0:1]
; %bb.396:                              ;   in Loop: Header=BB356_243 Depth=1
	s_or_b64 exec, exec, s[10:11]
	v_lshlrev_b32_e32 v54, 16, v54
	v_mul_f32_e32 v55, v46, v54
	v_and_b32_e32 v54, 0x7f800000, v55
	v_cmp_ne_u32_e64 s[0:1], s18, v54
                                        ; implicit-def: $vgpr54
	s_and_saveexec_b64 s[10:11], s[0:1]
	s_xor_b64 s[0:1], exec, s[10:11]
; %bb.397:                              ;   in Loop: Header=BB356_243 Depth=1
	v_bfe_u32 v54, v55, 16, 1
	v_add3_u32 v54, v55, v54, s19
                                        ; implicit-def: $vgpr55
; %bb.398:                              ;   in Loop: Header=BB356_243 Depth=1
	s_andn2_saveexec_b64 s[10:11], s[0:1]
; %bb.399:                              ;   in Loop: Header=BB356_243 Depth=1
	v_or_b32_e32 v54, 0x10000, v55
	v_cmp_eq_u32_sdwa s[0:1], v55, v17 src0_sel:WORD_0 src1_sel:DWORD
	s_nop 1
	v_cndmask_b32_e64 v54, v54, v55, s[0:1]
; %bb.400:                              ;   in Loop: Header=BB356_243 Depth=1
	s_or_b64 exec, exec, s[10:11]
	v_lshlrev_b32_e32 v5, 16, v5
	v_mul_f32_e32 v5, v47, v5
	v_and_b32_e32 v55, 0x7f800000, v5
	v_cmp_ne_u32_e64 s[0:1], s18, v55
                                        ; implicit-def: $vgpr55
	s_and_saveexec_b64 s[10:11], s[0:1]
	s_xor_b64 s[0:1], exec, s[10:11]
; %bb.401:                              ;   in Loop: Header=BB356_243 Depth=1
	v_bfe_u32 v55, v5, 16, 1
	v_add3_u32 v55, v5, v55, s19
                                        ; implicit-def: $vgpr5
; %bb.402:                              ;   in Loop: Header=BB356_243 Depth=1
	s_andn2_saveexec_b64 s[10:11], s[0:1]
; %bb.403:                              ;   in Loop: Header=BB356_243 Depth=1
	v_or_b32_e32 v55, 0x10000, v5
	v_cmp_eq_u32_sdwa s[0:1], v5, v17 src0_sel:WORD_0 src1_sel:DWORD
	s_nop 1
	v_cndmask_b32_e64 v55, v55, v5, s[0:1]
; %bb.404:                              ;   in Loop: Header=BB356_243 Depth=1
	s_or_b64 exec, exec, s[10:11]
	v_lshlrev_b32_e32 v4, 16, v4
	v_mul_f32_e32 v4, v48, v4
	v_and_b32_e32 v5, 0x7f800000, v4
	v_cmp_ne_u32_e64 s[0:1], s18, v5
                                        ; implicit-def: $vgpr56
	s_and_saveexec_b64 s[10:11], s[0:1]
	s_xor_b64 s[0:1], exec, s[10:11]
; %bb.405:                              ;   in Loop: Header=BB356_243 Depth=1
	v_bfe_u32 v5, v4, 16, 1
	v_add3_u32 v56, v4, v5, s19
                                        ; implicit-def: $vgpr4
; %bb.406:                              ;   in Loop: Header=BB356_243 Depth=1
	s_andn2_saveexec_b64 s[10:11], s[0:1]
; %bb.407:                              ;   in Loop: Header=BB356_243 Depth=1
	v_or_b32_e32 v5, 0x10000, v4
	v_cmp_eq_u32_sdwa s[0:1], v4, v17 src0_sel:WORD_0 src1_sel:DWORD
	s_nop 1
	v_cndmask_b32_e64 v56, v5, v4, s[0:1]
; %bb.408:                              ;   in Loop: Header=BB356_243 Depth=1
	s_or_b64 exec, exec, s[10:11]
	global_load_dwordx2 v[4:5], v[2:3], off offset:1024
	s_waitcnt vmcnt(0)
	v_and_b32_e32 v57, 0xff, v4
	v_cvt_f32_fp8_sdwa v57, v57 src0_sel:BYTE_0
	s_nop 0
	v_mul_f32_e32 v58, s21, v57
	v_and_b32_e32 v57, 0x7f800000, v58
	v_cmp_ne_u32_e64 s[0:1], s18, v57
                                        ; implicit-def: $vgpr57
	s_and_saveexec_b64 s[10:11], s[0:1]
	s_xor_b64 s[0:1], exec, s[10:11]
; %bb.409:                              ;   in Loop: Header=BB356_243 Depth=1
	v_bfe_u32 v57, v58, 16, 1
	v_add3_u32 v57, v58, v57, s19
                                        ; implicit-def: $vgpr58
; %bb.410:                              ;   in Loop: Header=BB356_243 Depth=1
	s_andn2_saveexec_b64 s[10:11], s[0:1]
; %bb.411:                              ;   in Loop: Header=BB356_243 Depth=1
	v_or_b32_e32 v57, 0x10000, v58
	v_cmp_eq_u32_sdwa s[0:1], v58, v17 src0_sel:WORD_0 src1_sel:DWORD
	s_nop 1
	v_cndmask_b32_e64 v57, v57, v58, s[0:1]
; %bb.412:                              ;   in Loop: Header=BB356_243 Depth=1
	s_or_b64 exec, exec, s[10:11]
	v_bfe_u32 v58, v4, 8, 8
	v_cvt_f32_fp8_sdwa v58, v58 src0_sel:BYTE_0
	s_nop 0
	v_mul_f32_e32 v59, s21, v58
	v_and_b32_e32 v58, 0x7f800000, v59
	v_cmp_ne_u32_e64 s[0:1], s18, v58
                                        ; implicit-def: $vgpr58
	s_and_saveexec_b64 s[10:11], s[0:1]
	s_xor_b64 s[0:1], exec, s[10:11]
; %bb.413:                              ;   in Loop: Header=BB356_243 Depth=1
	v_bfe_u32 v58, v59, 16, 1
	v_add3_u32 v58, v59, v58, s19
                                        ; implicit-def: $vgpr59
; %bb.414:                              ;   in Loop: Header=BB356_243 Depth=1
	s_andn2_saveexec_b64 s[10:11], s[0:1]
; %bb.415:                              ;   in Loop: Header=BB356_243 Depth=1
	v_or_b32_e32 v58, 0x10000, v59
	v_cmp_eq_u32_sdwa s[0:1], v59, v17 src0_sel:WORD_0 src1_sel:DWORD
	s_nop 1
	v_cndmask_b32_e64 v58, v58, v59, s[0:1]
; %bb.416:                              ;   in Loop: Header=BB356_243 Depth=1
	s_or_b64 exec, exec, s[10:11]
	v_bfe_u32 v59, v4, 16, 8
	v_cvt_f32_fp8_sdwa v59, v59 src0_sel:BYTE_0
	s_nop 0
	v_mul_f32_e32 v60, s21, v59
	v_and_b32_e32 v59, 0x7f800000, v60
	v_cmp_ne_u32_e64 s[0:1], s18, v59
                                        ; implicit-def: $vgpr59
	s_and_saveexec_b64 s[10:11], s[0:1]
	s_xor_b64 s[0:1], exec, s[10:11]
; %bb.417:                              ;   in Loop: Header=BB356_243 Depth=1
	v_bfe_u32 v59, v60, 16, 1
	v_add3_u32 v59, v60, v59, s19
                                        ; implicit-def: $vgpr60
; %bb.418:                              ;   in Loop: Header=BB356_243 Depth=1
	s_andn2_saveexec_b64 s[10:11], s[0:1]
; %bb.419:                              ;   in Loop: Header=BB356_243 Depth=1
	v_or_b32_e32 v59, 0x10000, v60
	v_cmp_eq_u32_sdwa s[0:1], v60, v17 src0_sel:WORD_0 src1_sel:DWORD
	s_nop 1
	v_cndmask_b32_e64 v59, v59, v60, s[0:1]
; %bb.420:                              ;   in Loop: Header=BB356_243 Depth=1
	s_or_b64 exec, exec, s[10:11]
	v_lshrrev_b32_e32 v4, 24, v4
	v_cvt_f32_fp8_sdwa v4, v4 src0_sel:BYTE_0
	s_nop 0
	v_mul_f32_e32 v60, s21, v4
	v_and_b32_e32 v4, 0x7f800000, v60
	v_cmp_ne_u32_e64 s[0:1], s18, v4
                                        ; implicit-def: $vgpr4
	s_and_saveexec_b64 s[10:11], s[0:1]
	s_xor_b64 s[0:1], exec, s[10:11]
; %bb.421:                              ;   in Loop: Header=BB356_243 Depth=1
	v_bfe_u32 v4, v60, 16, 1
	v_add3_u32 v4, v60, v4, s19
                                        ; implicit-def: $vgpr60
; %bb.422:                              ;   in Loop: Header=BB356_243 Depth=1
	s_andn2_saveexec_b64 s[10:11], s[0:1]
; %bb.423:                              ;   in Loop: Header=BB356_243 Depth=1
	v_or_b32_e32 v4, 0x10000, v60
	v_cmp_eq_u32_sdwa s[0:1], v60, v17 src0_sel:WORD_0 src1_sel:DWORD
	s_nop 1
	v_cndmask_b32_e64 v4, v4, v60, s[0:1]
; %bb.424:                              ;   in Loop: Header=BB356_243 Depth=1
	s_or_b64 exec, exec, s[10:11]
	v_and_b32_e32 v60, 0xff, v5
	v_cvt_f32_fp8_sdwa v60, v60 src0_sel:BYTE_0
	s_nop 0
	v_mul_f32_e32 v61, s21, v60
	v_and_b32_e32 v60, 0x7f800000, v61
	v_cmp_ne_u32_e64 s[0:1], s18, v60
                                        ; implicit-def: $vgpr60
	s_and_saveexec_b64 s[10:11], s[0:1]
	s_xor_b64 s[0:1], exec, s[10:11]
; %bb.425:                              ;   in Loop: Header=BB356_243 Depth=1
	v_bfe_u32 v60, v61, 16, 1
	v_add3_u32 v60, v61, v60, s19
                                        ; implicit-def: $vgpr61
; %bb.426:                              ;   in Loop: Header=BB356_243 Depth=1
	s_andn2_saveexec_b64 s[10:11], s[0:1]
; %bb.427:                              ;   in Loop: Header=BB356_243 Depth=1
	v_or_b32_e32 v60, 0x10000, v61
	v_cmp_eq_u32_sdwa s[0:1], v61, v17 src0_sel:WORD_0 src1_sel:DWORD
	s_nop 1
	v_cndmask_b32_e64 v60, v60, v61, s[0:1]
; %bb.428:                              ;   in Loop: Header=BB356_243 Depth=1
	s_or_b64 exec, exec, s[10:11]
	v_bfe_u32 v61, v5, 8, 8
	v_cvt_f32_fp8_sdwa v61, v61 src0_sel:BYTE_0
	s_nop 0
	v_mul_f32_e32 v62, s21, v61
	v_and_b32_e32 v61, 0x7f800000, v62
	v_cmp_ne_u32_e64 s[0:1], s18, v61
                                        ; implicit-def: $vgpr61
	s_and_saveexec_b64 s[10:11], s[0:1]
	s_xor_b64 s[0:1], exec, s[10:11]
; %bb.429:                              ;   in Loop: Header=BB356_243 Depth=1
	v_bfe_u32 v61, v62, 16, 1
	v_add3_u32 v61, v62, v61, s19
                                        ; implicit-def: $vgpr62
; %bb.430:                              ;   in Loop: Header=BB356_243 Depth=1
	s_andn2_saveexec_b64 s[10:11], s[0:1]
; %bb.431:                              ;   in Loop: Header=BB356_243 Depth=1
	v_or_b32_e32 v61, 0x10000, v62
	v_cmp_eq_u32_sdwa s[0:1], v62, v17 src0_sel:WORD_0 src1_sel:DWORD
	s_nop 1
	v_cndmask_b32_e64 v61, v61, v62, s[0:1]
; %bb.432:                              ;   in Loop: Header=BB356_243 Depth=1
	s_or_b64 exec, exec, s[10:11]
	v_bfe_u32 v62, v5, 16, 8
	v_cvt_f32_fp8_sdwa v62, v62 src0_sel:BYTE_0
	s_nop 0
	v_mul_f32_e32 v62, s21, v62
	v_and_b32_e32 v63, 0x7f800000, v62
	v_cmp_ne_u32_e64 s[0:1], s18, v63
                                        ; implicit-def: $vgpr63
	s_and_saveexec_b64 s[10:11], s[0:1]
	s_xor_b64 s[0:1], exec, s[10:11]
; %bb.433:                              ;   in Loop: Header=BB356_243 Depth=1
	v_bfe_u32 v63, v62, 16, 1
	v_add3_u32 v63, v62, v63, s19
                                        ; implicit-def: $vgpr62
; %bb.434:                              ;   in Loop: Header=BB356_243 Depth=1
	s_andn2_saveexec_b64 s[10:11], s[0:1]
; %bb.435:                              ;   in Loop: Header=BB356_243 Depth=1
	v_or_b32_e32 v63, 0x10000, v62
	v_cmp_eq_u32_sdwa s[0:1], v62, v17 src0_sel:WORD_0 src1_sel:DWORD
	s_nop 1
	v_cndmask_b32_e64 v63, v63, v62, s[0:1]
; %bb.436:                              ;   in Loop: Header=BB356_243 Depth=1
	s_or_b64 exec, exec, s[10:11]
	v_lshrrev_b32_e32 v5, 24, v5
	v_cvt_f32_fp8_sdwa v5, v5 src0_sel:BYTE_0
                                        ; implicit-def: $vgpr64
	s_nop 0
	v_mul_f32_e32 v5, s21, v5
	v_and_b32_e32 v62, 0x7f800000, v5
	v_cmp_ne_u32_e64 s[0:1], s18, v62
	s_and_saveexec_b64 s[10:11], s[0:1]
	s_xor_b64 s[0:1], exec, s[10:11]
; %bb.437:                              ;   in Loop: Header=BB356_243 Depth=1
	v_bfe_u32 v62, v5, 16, 1
	v_add3_u32 v64, v5, v62, s19
                                        ; implicit-def: $vgpr5
; %bb.438:                              ;   in Loop: Header=BB356_243 Depth=1
	s_andn2_saveexec_b64 s[10:11], s[0:1]
; %bb.439:                              ;   in Loop: Header=BB356_243 Depth=1
	v_or_b32_e32 v62, 0x10000, v5
	v_cmp_eq_u32_sdwa s[0:1], v5, v17 src0_sel:WORD_0 src1_sel:DWORD
	s_nop 1
	v_cndmask_b32_e64 v64, v62, v5, s[0:1]
; %bb.440:                              ;   in Loop: Header=BB356_243 Depth=1
	s_or_b64 exec, exec, s[10:11]
	v_lshrrev_b32_e32 v62, 16, v61
	v_lshrrev_b32_e32 v61, 16, v60
	;; [unrolled: 1-line block ×8, first 2 shown]
	s_and_saveexec_b64 s[10:11], vcc
	s_cbranch_execz .LBB356_442
; %bb.441:                              ;   in Loop: Header=BB356_243 Depth=1
	v_cmp_gt_i32_e64 s[0:1], s33, v33
	s_nop 1
	v_cndmask_b32_e64 v57, 0, v57, s[0:1]
	v_cmp_gt_i32_e64 s[0:1], s33, v40
	s_nop 1
	v_cndmask_b32_e64 v58, 0, v58, s[0:1]
	;; [unrolled: 3-line block ×8, first 2 shown]
.LBB356_442:                            ;   in Loop: Header=BB356_243 Depth=1
	s_or_b64 exec, exec, s[10:11]
	v_lshlrev_b32_e32 v57, 16, v57
	v_mul_f32_e32 v63, v41, v57
	v_and_b32_e32 v57, 0x7f800000, v63
	v_cmp_ne_u32_e64 s[0:1], s18, v57
                                        ; implicit-def: $vgpr57
	s_and_saveexec_b64 s[10:11], s[0:1]
	s_xor_b64 s[0:1], exec, s[10:11]
; %bb.443:                              ;   in Loop: Header=BB356_243 Depth=1
	v_bfe_u32 v57, v63, 16, 1
	v_add3_u32 v57, v63, v57, s19
                                        ; implicit-def: $vgpr63
; %bb.444:                              ;   in Loop: Header=BB356_243 Depth=1
	s_andn2_saveexec_b64 s[10:11], s[0:1]
; %bb.445:                              ;   in Loop: Header=BB356_243 Depth=1
	v_or_b32_e32 v57, 0x10000, v63
	v_cmp_eq_u32_sdwa s[0:1], v63, v17 src0_sel:WORD_0 src1_sel:DWORD
	s_nop 1
	v_cndmask_b32_e64 v57, v57, v63, s[0:1]
; %bb.446:                              ;   in Loop: Header=BB356_243 Depth=1
	s_or_b64 exec, exec, s[10:11]
	v_lshlrev_b32_e32 v58, 16, v58
	v_mul_f32_e32 v63, v42, v58
	v_and_b32_e32 v58, 0x7f800000, v63
	v_cmp_ne_u32_e64 s[0:1], s18, v58
                                        ; implicit-def: $vgpr58
	s_and_saveexec_b64 s[10:11], s[0:1]
	s_xor_b64 s[0:1], exec, s[10:11]
; %bb.447:                              ;   in Loop: Header=BB356_243 Depth=1
	v_bfe_u32 v58, v63, 16, 1
	v_add3_u32 v58, v63, v58, s19
                                        ; implicit-def: $vgpr63
; %bb.448:                              ;   in Loop: Header=BB356_243 Depth=1
	s_andn2_saveexec_b64 s[10:11], s[0:1]
; %bb.449:                              ;   in Loop: Header=BB356_243 Depth=1
	v_or_b32_e32 v58, 0x10000, v63
	v_cmp_eq_u32_sdwa s[0:1], v63, v17 src0_sel:WORD_0 src1_sel:DWORD
	s_nop 1
	v_cndmask_b32_e64 v58, v58, v63, s[0:1]
; %bb.450:                              ;   in Loop: Header=BB356_243 Depth=1
	s_or_b64 exec, exec, s[10:11]
	v_lshlrev_b32_e32 v59, 16, v59
	v_mul_f32_e32 v63, v43, v59
	v_and_b32_e32 v59, 0x7f800000, v63
	v_cmp_ne_u32_e64 s[0:1], s18, v59
                                        ; implicit-def: $vgpr59
	s_and_saveexec_b64 s[10:11], s[0:1]
	s_xor_b64 s[0:1], exec, s[10:11]
; %bb.451:                              ;   in Loop: Header=BB356_243 Depth=1
	v_bfe_u32 v59, v63, 16, 1
	v_add3_u32 v59, v63, v59, s19
                                        ; implicit-def: $vgpr63
; %bb.452:                              ;   in Loop: Header=BB356_243 Depth=1
	s_andn2_saveexec_b64 s[10:11], s[0:1]
; %bb.453:                              ;   in Loop: Header=BB356_243 Depth=1
	v_or_b32_e32 v59, 0x10000, v63
	v_cmp_eq_u32_sdwa s[0:1], v63, v17 src0_sel:WORD_0 src1_sel:DWORD
	s_nop 1
	v_cndmask_b32_e64 v59, v59, v63, s[0:1]
; %bb.454:                              ;   in Loop: Header=BB356_243 Depth=1
	s_or_b64 exec, exec, s[10:11]
	v_lshlrev_b32_e32 v60, 16, v60
	v_mul_f32_e32 v63, v44, v60
	v_and_b32_e32 v60, 0x7f800000, v63
	v_cmp_ne_u32_e64 s[0:1], s18, v60
                                        ; implicit-def: $vgpr60
	s_and_saveexec_b64 s[10:11], s[0:1]
	s_xor_b64 s[0:1], exec, s[10:11]
; %bb.455:                              ;   in Loop: Header=BB356_243 Depth=1
	v_bfe_u32 v60, v63, 16, 1
	v_add3_u32 v60, v63, v60, s19
                                        ; implicit-def: $vgpr63
; %bb.456:                              ;   in Loop: Header=BB356_243 Depth=1
	s_andn2_saveexec_b64 s[10:11], s[0:1]
; %bb.457:                              ;   in Loop: Header=BB356_243 Depth=1
	v_or_b32_e32 v60, 0x10000, v63
	v_cmp_eq_u32_sdwa s[0:1], v63, v17 src0_sel:WORD_0 src1_sel:DWORD
	s_nop 1
	v_cndmask_b32_e64 v60, v60, v63, s[0:1]
; %bb.458:                              ;   in Loop: Header=BB356_243 Depth=1
	s_or_b64 exec, exec, s[10:11]
	v_lshlrev_b32_e32 v61, 16, v61
	v_mul_f32_e32 v63, v45, v61
	v_and_b32_e32 v61, 0x7f800000, v63
	v_cmp_ne_u32_e64 s[0:1], s18, v61
                                        ; implicit-def: $vgpr61
	s_and_saveexec_b64 s[10:11], s[0:1]
	s_xor_b64 s[0:1], exec, s[10:11]
; %bb.459:                              ;   in Loop: Header=BB356_243 Depth=1
	v_bfe_u32 v61, v63, 16, 1
	v_add3_u32 v61, v63, v61, s19
                                        ; implicit-def: $vgpr63
; %bb.460:                              ;   in Loop: Header=BB356_243 Depth=1
	s_andn2_saveexec_b64 s[10:11], s[0:1]
; %bb.461:                              ;   in Loop: Header=BB356_243 Depth=1
	v_or_b32_e32 v61, 0x10000, v63
	v_cmp_eq_u32_sdwa s[0:1], v63, v17 src0_sel:WORD_0 src1_sel:DWORD
	s_nop 1
	v_cndmask_b32_e64 v61, v61, v63, s[0:1]
; %bb.462:                              ;   in Loop: Header=BB356_243 Depth=1
	s_or_b64 exec, exec, s[10:11]
	v_lshlrev_b32_e32 v62, 16, v62
	v_mul_f32_e32 v63, v46, v62
	v_and_b32_e32 v62, 0x7f800000, v63
	v_cmp_ne_u32_e64 s[0:1], s18, v62
                                        ; implicit-def: $vgpr62
	s_and_saveexec_b64 s[10:11], s[0:1]
	s_xor_b64 s[0:1], exec, s[10:11]
; %bb.463:                              ;   in Loop: Header=BB356_243 Depth=1
	v_bfe_u32 v62, v63, 16, 1
	v_add3_u32 v62, v63, v62, s19
                                        ; implicit-def: $vgpr63
; %bb.464:                              ;   in Loop: Header=BB356_243 Depth=1
	s_andn2_saveexec_b64 s[10:11], s[0:1]
; %bb.465:                              ;   in Loop: Header=BB356_243 Depth=1
	v_or_b32_e32 v62, 0x10000, v63
	v_cmp_eq_u32_sdwa s[0:1], v63, v17 src0_sel:WORD_0 src1_sel:DWORD
	s_nop 1
	v_cndmask_b32_e64 v62, v62, v63, s[0:1]
; %bb.466:                              ;   in Loop: Header=BB356_243 Depth=1
	s_or_b64 exec, exec, s[10:11]
	v_lshlrev_b32_e32 v5, 16, v5
	v_mul_f32_e32 v5, v47, v5
	v_and_b32_e32 v63, 0x7f800000, v5
	v_cmp_ne_u32_e64 s[0:1], s18, v63
                                        ; implicit-def: $vgpr63
	s_and_saveexec_b64 s[10:11], s[0:1]
	s_xor_b64 s[0:1], exec, s[10:11]
; %bb.467:                              ;   in Loop: Header=BB356_243 Depth=1
	v_bfe_u32 v63, v5, 16, 1
	v_add3_u32 v63, v5, v63, s19
                                        ; implicit-def: $vgpr5
; %bb.468:                              ;   in Loop: Header=BB356_243 Depth=1
	s_andn2_saveexec_b64 s[10:11], s[0:1]
; %bb.469:                              ;   in Loop: Header=BB356_243 Depth=1
	v_or_b32_e32 v63, 0x10000, v5
	v_cmp_eq_u32_sdwa s[0:1], v5, v17 src0_sel:WORD_0 src1_sel:DWORD
	s_nop 1
	v_cndmask_b32_e64 v63, v63, v5, s[0:1]
; %bb.470:                              ;   in Loop: Header=BB356_243 Depth=1
	s_or_b64 exec, exec, s[10:11]
	v_lshlrev_b32_e32 v4, 16, v4
	v_mul_f32_e32 v4, v48, v4
	v_and_b32_e32 v5, 0x7f800000, v4
	v_cmp_ne_u32_e64 s[0:1], s18, v5
                                        ; implicit-def: $vgpr64
	s_and_saveexec_b64 s[10:11], s[0:1]
	s_xor_b64 s[0:1], exec, s[10:11]
; %bb.471:                              ;   in Loop: Header=BB356_243 Depth=1
	v_bfe_u32 v5, v4, 16, 1
	v_add3_u32 v64, v4, v5, s19
                                        ; implicit-def: $vgpr4
; %bb.472:                              ;   in Loop: Header=BB356_243 Depth=1
	s_andn2_saveexec_b64 s[10:11], s[0:1]
; %bb.473:                              ;   in Loop: Header=BB356_243 Depth=1
	v_or_b32_e32 v5, 0x10000, v4
	v_cmp_eq_u32_sdwa s[0:1], v4, v17 src0_sel:WORD_0 src1_sel:DWORD
	s_nop 1
	v_cndmask_b32_e64 v64, v5, v4, s[0:1]
; %bb.474:                              ;   in Loop: Header=BB356_243 Depth=1
	s_or_b64 exec, exec, s[10:11]
	global_load_dwordx2 v[4:5], v[2:3], off offset:1536
	s_waitcnt vmcnt(0)
	v_and_b32_e32 v65, 0xff, v4
	v_cvt_f32_fp8_sdwa v65, v65 src0_sel:BYTE_0
	s_nop 0
	v_mul_f32_e32 v66, s21, v65
	v_and_b32_e32 v65, 0x7f800000, v66
	v_cmp_ne_u32_e64 s[0:1], s18, v65
                                        ; implicit-def: $vgpr65
	s_and_saveexec_b64 s[10:11], s[0:1]
	s_xor_b64 s[0:1], exec, s[10:11]
; %bb.475:                              ;   in Loop: Header=BB356_243 Depth=1
	v_bfe_u32 v65, v66, 16, 1
	v_add3_u32 v65, v66, v65, s19
                                        ; implicit-def: $vgpr66
; %bb.476:                              ;   in Loop: Header=BB356_243 Depth=1
	s_andn2_saveexec_b64 s[10:11], s[0:1]
; %bb.477:                              ;   in Loop: Header=BB356_243 Depth=1
	v_or_b32_e32 v65, 0x10000, v66
	v_cmp_eq_u32_sdwa s[0:1], v66, v17 src0_sel:WORD_0 src1_sel:DWORD
	s_nop 1
	v_cndmask_b32_e64 v65, v65, v66, s[0:1]
; %bb.478:                              ;   in Loop: Header=BB356_243 Depth=1
	s_or_b64 exec, exec, s[10:11]
	v_bfe_u32 v66, v4, 8, 8
	v_cvt_f32_fp8_sdwa v66, v66 src0_sel:BYTE_0
	s_nop 0
	v_mul_f32_e32 v67, s21, v66
	v_and_b32_e32 v66, 0x7f800000, v67
	v_cmp_ne_u32_e64 s[0:1], s18, v66
                                        ; implicit-def: $vgpr66
	s_and_saveexec_b64 s[10:11], s[0:1]
	s_xor_b64 s[0:1], exec, s[10:11]
; %bb.479:                              ;   in Loop: Header=BB356_243 Depth=1
	v_bfe_u32 v66, v67, 16, 1
	v_add3_u32 v66, v67, v66, s19
                                        ; implicit-def: $vgpr67
; %bb.480:                              ;   in Loop: Header=BB356_243 Depth=1
	s_andn2_saveexec_b64 s[10:11], s[0:1]
; %bb.481:                              ;   in Loop: Header=BB356_243 Depth=1
	v_or_b32_e32 v66, 0x10000, v67
	v_cmp_eq_u32_sdwa s[0:1], v67, v17 src0_sel:WORD_0 src1_sel:DWORD
	s_nop 1
	v_cndmask_b32_e64 v66, v66, v67, s[0:1]
; %bb.482:                              ;   in Loop: Header=BB356_243 Depth=1
	s_or_b64 exec, exec, s[10:11]
	v_bfe_u32 v67, v4, 16, 8
	v_cvt_f32_fp8_sdwa v67, v67 src0_sel:BYTE_0
	s_nop 0
	v_mul_f32_e32 v68, s21, v67
	v_and_b32_e32 v67, 0x7f800000, v68
	v_cmp_ne_u32_e64 s[0:1], s18, v67
                                        ; implicit-def: $vgpr67
	s_and_saveexec_b64 s[10:11], s[0:1]
	s_xor_b64 s[0:1], exec, s[10:11]
; %bb.483:                              ;   in Loop: Header=BB356_243 Depth=1
	v_bfe_u32 v67, v68, 16, 1
	v_add3_u32 v67, v68, v67, s19
                                        ; implicit-def: $vgpr68
; %bb.484:                              ;   in Loop: Header=BB356_243 Depth=1
	s_andn2_saveexec_b64 s[10:11], s[0:1]
; %bb.485:                              ;   in Loop: Header=BB356_243 Depth=1
	v_or_b32_e32 v67, 0x10000, v68
	v_cmp_eq_u32_sdwa s[0:1], v68, v17 src0_sel:WORD_0 src1_sel:DWORD
	s_nop 1
	v_cndmask_b32_e64 v67, v67, v68, s[0:1]
; %bb.486:                              ;   in Loop: Header=BB356_243 Depth=1
	s_or_b64 exec, exec, s[10:11]
	v_lshrrev_b32_e32 v4, 24, v4
	v_cvt_f32_fp8_sdwa v4, v4 src0_sel:BYTE_0
	s_nop 0
	v_mul_f32_e32 v68, s21, v4
	v_and_b32_e32 v4, 0x7f800000, v68
	v_cmp_ne_u32_e64 s[0:1], s18, v4
                                        ; implicit-def: $vgpr4
	s_and_saveexec_b64 s[10:11], s[0:1]
	s_xor_b64 s[0:1], exec, s[10:11]
; %bb.487:                              ;   in Loop: Header=BB356_243 Depth=1
	v_bfe_u32 v4, v68, 16, 1
	v_add3_u32 v4, v68, v4, s19
                                        ; implicit-def: $vgpr68
; %bb.488:                              ;   in Loop: Header=BB356_243 Depth=1
	s_andn2_saveexec_b64 s[10:11], s[0:1]
; %bb.489:                              ;   in Loop: Header=BB356_243 Depth=1
	v_or_b32_e32 v4, 0x10000, v68
	v_cmp_eq_u32_sdwa s[0:1], v68, v17 src0_sel:WORD_0 src1_sel:DWORD
	s_nop 1
	v_cndmask_b32_e64 v4, v4, v68, s[0:1]
; %bb.490:                              ;   in Loop: Header=BB356_243 Depth=1
	s_or_b64 exec, exec, s[10:11]
	v_and_b32_e32 v68, 0xff, v5
	v_cvt_f32_fp8_sdwa v68, v68 src0_sel:BYTE_0
	s_nop 0
	v_mul_f32_e32 v69, s21, v68
	v_and_b32_e32 v68, 0x7f800000, v69
	v_cmp_ne_u32_e64 s[0:1], s18, v68
                                        ; implicit-def: $vgpr68
	s_and_saveexec_b64 s[10:11], s[0:1]
	s_xor_b64 s[0:1], exec, s[10:11]
; %bb.491:                              ;   in Loop: Header=BB356_243 Depth=1
	v_bfe_u32 v68, v69, 16, 1
	v_add3_u32 v68, v69, v68, s19
                                        ; implicit-def: $vgpr69
; %bb.492:                              ;   in Loop: Header=BB356_243 Depth=1
	s_andn2_saveexec_b64 s[10:11], s[0:1]
; %bb.493:                              ;   in Loop: Header=BB356_243 Depth=1
	v_or_b32_e32 v68, 0x10000, v69
	v_cmp_eq_u32_sdwa s[0:1], v69, v17 src0_sel:WORD_0 src1_sel:DWORD
	s_nop 1
	v_cndmask_b32_e64 v68, v68, v69, s[0:1]
; %bb.494:                              ;   in Loop: Header=BB356_243 Depth=1
	s_or_b64 exec, exec, s[10:11]
	v_bfe_u32 v69, v5, 8, 8
	v_cvt_f32_fp8_sdwa v69, v69 src0_sel:BYTE_0
	s_nop 0
	v_mul_f32_e32 v70, s21, v69
	v_and_b32_e32 v69, 0x7f800000, v70
	v_cmp_ne_u32_e64 s[0:1], s18, v69
                                        ; implicit-def: $vgpr69
	s_and_saveexec_b64 s[10:11], s[0:1]
	s_xor_b64 s[0:1], exec, s[10:11]
; %bb.495:                              ;   in Loop: Header=BB356_243 Depth=1
	v_bfe_u32 v69, v70, 16, 1
	v_add3_u32 v69, v70, v69, s19
                                        ; implicit-def: $vgpr70
; %bb.496:                              ;   in Loop: Header=BB356_243 Depth=1
	s_andn2_saveexec_b64 s[10:11], s[0:1]
; %bb.497:                              ;   in Loop: Header=BB356_243 Depth=1
	v_or_b32_e32 v69, 0x10000, v70
	v_cmp_eq_u32_sdwa s[0:1], v70, v17 src0_sel:WORD_0 src1_sel:DWORD
	s_nop 1
	v_cndmask_b32_e64 v69, v69, v70, s[0:1]
; %bb.498:                              ;   in Loop: Header=BB356_243 Depth=1
	s_or_b64 exec, exec, s[10:11]
	v_bfe_u32 v70, v5, 16, 8
	v_cvt_f32_fp8_sdwa v70, v70 src0_sel:BYTE_0
	s_nop 0
	v_mul_f32_e32 v70, s21, v70
	v_and_b32_e32 v71, 0x7f800000, v70
	v_cmp_ne_u32_e64 s[0:1], s18, v71
                                        ; implicit-def: $vgpr71
	s_and_saveexec_b64 s[10:11], s[0:1]
	s_xor_b64 s[0:1], exec, s[10:11]
; %bb.499:                              ;   in Loop: Header=BB356_243 Depth=1
	v_bfe_u32 v71, v70, 16, 1
	v_add3_u32 v71, v70, v71, s19
                                        ; implicit-def: $vgpr70
; %bb.500:                              ;   in Loop: Header=BB356_243 Depth=1
	s_andn2_saveexec_b64 s[10:11], s[0:1]
; %bb.501:                              ;   in Loop: Header=BB356_243 Depth=1
	v_or_b32_e32 v71, 0x10000, v70
	v_cmp_eq_u32_sdwa s[0:1], v70, v17 src0_sel:WORD_0 src1_sel:DWORD
	s_nop 1
	v_cndmask_b32_e64 v71, v71, v70, s[0:1]
; %bb.502:                              ;   in Loop: Header=BB356_243 Depth=1
	s_or_b64 exec, exec, s[10:11]
	v_lshrrev_b32_e32 v5, 24, v5
	v_cvt_f32_fp8_sdwa v5, v5 src0_sel:BYTE_0
                                        ; implicit-def: $vgpr72
	s_nop 0
	v_mul_f32_e32 v5, s21, v5
	v_and_b32_e32 v70, 0x7f800000, v5
	v_cmp_ne_u32_e64 s[0:1], s18, v70
	s_and_saveexec_b64 s[10:11], s[0:1]
	s_xor_b64 s[0:1], exec, s[10:11]
; %bb.503:                              ;   in Loop: Header=BB356_243 Depth=1
	v_bfe_u32 v70, v5, 16, 1
	v_add3_u32 v72, v5, v70, s19
                                        ; implicit-def: $vgpr5
; %bb.504:                              ;   in Loop: Header=BB356_243 Depth=1
	s_andn2_saveexec_b64 s[10:11], s[0:1]
; %bb.505:                              ;   in Loop: Header=BB356_243 Depth=1
	v_or_b32_e32 v70, 0x10000, v5
	v_cmp_eq_u32_sdwa s[0:1], v5, v17 src0_sel:WORD_0 src1_sel:DWORD
	s_nop 1
	v_cndmask_b32_e64 v72, v70, v5, s[0:1]
; %bb.506:                              ;   in Loop: Header=BB356_243 Depth=1
	s_or_b64 exec, exec, s[10:11]
	v_lshrrev_b32_e32 v70, 16, v69
	v_lshrrev_b32_e32 v69, 16, v68
	;; [unrolled: 1-line block ×8, first 2 shown]
	s_and_saveexec_b64 s[10:11], vcc
	s_cbranch_execz .LBB356_508
; %bb.507:                              ;   in Loop: Header=BB356_243 Depth=1
	v_cmp_gt_i32_e64 s[0:1], s33, v33
	s_nop 1
	v_cndmask_b32_e64 v65, 0, v65, s[0:1]
	v_cmp_gt_i32_e64 s[0:1], s33, v40
	s_nop 1
	v_cndmask_b32_e64 v66, 0, v66, s[0:1]
	v_cmp_gt_i32_e64 s[0:1], s33, v39
	s_nop 1
	v_cndmask_b32_e64 v67, 0, v67, s[0:1]
	v_cmp_gt_i32_e64 s[0:1], s33, v38
	s_nop 1
	v_cndmask_b32_e64 v68, 0, v68, s[0:1]
	v_cmp_gt_i32_e64 s[0:1], s33, v37
	s_nop 1
	v_cndmask_b32_e64 v69, 0, v69, s[0:1]
	v_cmp_gt_i32_e64 s[0:1], s33, v36
	s_nop 1
	v_cndmask_b32_e64 v70, 0, v70, s[0:1]
	v_cmp_gt_i32_e64 s[0:1], s33, v35
	s_nop 1
	v_cndmask_b32_e64 v5, 0, v5, s[0:1]
	v_cmp_gt_i32_e64 s[0:1], s33, v34
	s_nop 1
	v_cndmask_b32_e64 v4, 0, v4, s[0:1]
.LBB356_508:                            ;   in Loop: Header=BB356_243 Depth=1
	s_or_b64 exec, exec, s[10:11]
	v_lshlrev_b32_e32 v65, 16, v65
	v_mul_f32_e32 v71, v41, v65
	v_and_b32_e32 v65, 0x7f800000, v71
	v_cmp_ne_u32_e64 s[0:1], s18, v65
                                        ; implicit-def: $vgpr65
	s_and_saveexec_b64 s[10:11], s[0:1]
	s_xor_b64 s[0:1], exec, s[10:11]
; %bb.509:                              ;   in Loop: Header=BB356_243 Depth=1
	v_bfe_u32 v65, v71, 16, 1
	v_add3_u32 v65, v71, v65, s19
                                        ; implicit-def: $vgpr71
; %bb.510:                              ;   in Loop: Header=BB356_243 Depth=1
	s_andn2_saveexec_b64 s[10:11], s[0:1]
; %bb.511:                              ;   in Loop: Header=BB356_243 Depth=1
	v_or_b32_e32 v65, 0x10000, v71
	v_cmp_eq_u32_sdwa s[0:1], v71, v17 src0_sel:WORD_0 src1_sel:DWORD
	s_nop 1
	v_cndmask_b32_e64 v65, v65, v71, s[0:1]
; %bb.512:                              ;   in Loop: Header=BB356_243 Depth=1
	s_or_b64 exec, exec, s[10:11]
	v_lshlrev_b32_e32 v66, 16, v66
	v_mul_f32_e32 v71, v42, v66
	v_and_b32_e32 v66, 0x7f800000, v71
	v_cmp_ne_u32_e64 s[0:1], s18, v66
                                        ; implicit-def: $vgpr66
	s_and_saveexec_b64 s[10:11], s[0:1]
	s_xor_b64 s[0:1], exec, s[10:11]
; %bb.513:                              ;   in Loop: Header=BB356_243 Depth=1
	v_bfe_u32 v66, v71, 16, 1
	v_add3_u32 v66, v71, v66, s19
                                        ; implicit-def: $vgpr71
; %bb.514:                              ;   in Loop: Header=BB356_243 Depth=1
	s_andn2_saveexec_b64 s[10:11], s[0:1]
; %bb.515:                              ;   in Loop: Header=BB356_243 Depth=1
	v_or_b32_e32 v66, 0x10000, v71
	v_cmp_eq_u32_sdwa s[0:1], v71, v17 src0_sel:WORD_0 src1_sel:DWORD
	s_nop 1
	v_cndmask_b32_e64 v66, v66, v71, s[0:1]
; %bb.516:                              ;   in Loop: Header=BB356_243 Depth=1
	s_or_b64 exec, exec, s[10:11]
	v_lshlrev_b32_e32 v67, 16, v67
	v_mul_f32_e32 v71, v43, v67
	v_and_b32_e32 v67, 0x7f800000, v71
	v_cmp_ne_u32_e64 s[0:1], s18, v67
                                        ; implicit-def: $vgpr67
	s_and_saveexec_b64 s[10:11], s[0:1]
	s_xor_b64 s[0:1], exec, s[10:11]
; %bb.517:                              ;   in Loop: Header=BB356_243 Depth=1
	v_bfe_u32 v67, v71, 16, 1
	v_add3_u32 v67, v71, v67, s19
                                        ; implicit-def: $vgpr71
; %bb.518:                              ;   in Loop: Header=BB356_243 Depth=1
	s_andn2_saveexec_b64 s[10:11], s[0:1]
; %bb.519:                              ;   in Loop: Header=BB356_243 Depth=1
	v_or_b32_e32 v67, 0x10000, v71
	v_cmp_eq_u32_sdwa s[0:1], v71, v17 src0_sel:WORD_0 src1_sel:DWORD
	s_nop 1
	v_cndmask_b32_e64 v67, v67, v71, s[0:1]
; %bb.520:                              ;   in Loop: Header=BB356_243 Depth=1
	s_or_b64 exec, exec, s[10:11]
	v_lshlrev_b32_e32 v68, 16, v68
	v_mul_f32_e32 v71, v44, v68
	v_and_b32_e32 v68, 0x7f800000, v71
	v_cmp_ne_u32_e64 s[0:1], s18, v68
                                        ; implicit-def: $vgpr68
	s_and_saveexec_b64 s[10:11], s[0:1]
	s_xor_b64 s[0:1], exec, s[10:11]
; %bb.521:                              ;   in Loop: Header=BB356_243 Depth=1
	v_bfe_u32 v68, v71, 16, 1
	v_add3_u32 v68, v71, v68, s19
                                        ; implicit-def: $vgpr71
; %bb.522:                              ;   in Loop: Header=BB356_243 Depth=1
	s_andn2_saveexec_b64 s[10:11], s[0:1]
; %bb.523:                              ;   in Loop: Header=BB356_243 Depth=1
	v_or_b32_e32 v68, 0x10000, v71
	v_cmp_eq_u32_sdwa s[0:1], v71, v17 src0_sel:WORD_0 src1_sel:DWORD
	s_nop 1
	v_cndmask_b32_e64 v68, v68, v71, s[0:1]
; %bb.524:                              ;   in Loop: Header=BB356_243 Depth=1
	s_or_b64 exec, exec, s[10:11]
	v_lshlrev_b32_e32 v69, 16, v69
	v_mul_f32_e32 v71, v45, v69
	v_and_b32_e32 v69, 0x7f800000, v71
	v_cmp_ne_u32_e64 s[0:1], s18, v69
                                        ; implicit-def: $vgpr69
	s_and_saveexec_b64 s[10:11], s[0:1]
	s_xor_b64 s[0:1], exec, s[10:11]
; %bb.525:                              ;   in Loop: Header=BB356_243 Depth=1
	v_bfe_u32 v69, v71, 16, 1
	v_add3_u32 v69, v71, v69, s19
                                        ; implicit-def: $vgpr71
; %bb.526:                              ;   in Loop: Header=BB356_243 Depth=1
	s_andn2_saveexec_b64 s[10:11], s[0:1]
; %bb.527:                              ;   in Loop: Header=BB356_243 Depth=1
	v_or_b32_e32 v69, 0x10000, v71
	v_cmp_eq_u32_sdwa s[0:1], v71, v17 src0_sel:WORD_0 src1_sel:DWORD
	s_nop 1
	v_cndmask_b32_e64 v69, v69, v71, s[0:1]
; %bb.528:                              ;   in Loop: Header=BB356_243 Depth=1
	s_or_b64 exec, exec, s[10:11]
	v_lshlrev_b32_e32 v70, 16, v70
	v_mul_f32_e32 v71, v46, v70
	v_and_b32_e32 v70, 0x7f800000, v71
	v_cmp_ne_u32_e64 s[0:1], s18, v70
                                        ; implicit-def: $vgpr70
	s_and_saveexec_b64 s[10:11], s[0:1]
	s_xor_b64 s[0:1], exec, s[10:11]
; %bb.529:                              ;   in Loop: Header=BB356_243 Depth=1
	v_bfe_u32 v70, v71, 16, 1
	v_add3_u32 v70, v71, v70, s19
                                        ; implicit-def: $vgpr71
; %bb.530:                              ;   in Loop: Header=BB356_243 Depth=1
	s_andn2_saveexec_b64 s[10:11], s[0:1]
; %bb.531:                              ;   in Loop: Header=BB356_243 Depth=1
	v_or_b32_e32 v70, 0x10000, v71
	v_cmp_eq_u32_sdwa s[0:1], v71, v17 src0_sel:WORD_0 src1_sel:DWORD
	s_nop 1
	v_cndmask_b32_e64 v70, v70, v71, s[0:1]
; %bb.532:                              ;   in Loop: Header=BB356_243 Depth=1
	s_or_b64 exec, exec, s[10:11]
	v_lshlrev_b32_e32 v5, 16, v5
	v_mul_f32_e32 v5, v47, v5
	v_and_b32_e32 v71, 0x7f800000, v5
	v_cmp_ne_u32_e64 s[0:1], s18, v71
                                        ; implicit-def: $vgpr71
	s_and_saveexec_b64 s[10:11], s[0:1]
	s_xor_b64 s[0:1], exec, s[10:11]
; %bb.533:                              ;   in Loop: Header=BB356_243 Depth=1
	v_bfe_u32 v71, v5, 16, 1
	v_add3_u32 v71, v5, v71, s19
                                        ; implicit-def: $vgpr5
; %bb.534:                              ;   in Loop: Header=BB356_243 Depth=1
	s_andn2_saveexec_b64 s[10:11], s[0:1]
; %bb.535:                              ;   in Loop: Header=BB356_243 Depth=1
	v_or_b32_e32 v71, 0x10000, v5
	v_cmp_eq_u32_sdwa s[0:1], v5, v17 src0_sel:WORD_0 src1_sel:DWORD
	s_nop 1
	v_cndmask_b32_e64 v71, v71, v5, s[0:1]
; %bb.536:                              ;   in Loop: Header=BB356_243 Depth=1
	s_or_b64 exec, exec, s[10:11]
	v_lshlrev_b32_e32 v4, 16, v4
	v_mul_f32_e32 v4, v48, v4
	v_and_b32_e32 v5, 0x7f800000, v4
	v_cmp_ne_u32_e64 s[0:1], s18, v5
                                        ; implicit-def: $vgpr72
	s_and_saveexec_b64 s[10:11], s[0:1]
	s_xor_b64 s[0:1], exec, s[10:11]
; %bb.537:                              ;   in Loop: Header=BB356_243 Depth=1
	v_bfe_u32 v5, v4, 16, 1
	v_add3_u32 v72, v4, v5, s19
                                        ; implicit-def: $vgpr4
; %bb.538:                              ;   in Loop: Header=BB356_243 Depth=1
	s_andn2_saveexec_b64 s[10:11], s[0:1]
; %bb.539:                              ;   in Loop: Header=BB356_243 Depth=1
	v_or_b32_e32 v5, 0x10000, v4
	v_cmp_eq_u32_sdwa s[0:1], v4, v17 src0_sel:WORD_0 src1_sel:DWORD
	s_nop 1
	v_cndmask_b32_e64 v72, v5, v4, s[0:1]
; %bb.540:                              ;   in Loop: Header=BB356_243 Depth=1
	s_or_b64 exec, exec, s[10:11]
	global_load_dwordx2 v[4:5], v[2:3], off offset:2048
	s_waitcnt vmcnt(0)
	v_and_b32_e32 v73, 0xff, v4
	v_cvt_f32_fp8_sdwa v73, v73 src0_sel:BYTE_0
	s_nop 0
	v_mul_f32_e32 v74, s21, v73
	v_and_b32_e32 v73, 0x7f800000, v74
	v_cmp_ne_u32_e64 s[0:1], s18, v73
                                        ; implicit-def: $vgpr73
	s_and_saveexec_b64 s[10:11], s[0:1]
	s_xor_b64 s[0:1], exec, s[10:11]
; %bb.541:                              ;   in Loop: Header=BB356_243 Depth=1
	v_bfe_u32 v73, v74, 16, 1
	v_add3_u32 v73, v74, v73, s19
                                        ; implicit-def: $vgpr74
; %bb.542:                              ;   in Loop: Header=BB356_243 Depth=1
	s_andn2_saveexec_b64 s[10:11], s[0:1]
; %bb.543:                              ;   in Loop: Header=BB356_243 Depth=1
	v_or_b32_e32 v73, 0x10000, v74
	v_cmp_eq_u32_sdwa s[0:1], v74, v17 src0_sel:WORD_0 src1_sel:DWORD
	s_nop 1
	v_cndmask_b32_e64 v73, v73, v74, s[0:1]
; %bb.544:                              ;   in Loop: Header=BB356_243 Depth=1
	s_or_b64 exec, exec, s[10:11]
	v_bfe_u32 v74, v4, 8, 8
	v_cvt_f32_fp8_sdwa v74, v74 src0_sel:BYTE_0
	s_nop 0
	v_mul_f32_e32 v75, s21, v74
	v_and_b32_e32 v74, 0x7f800000, v75
	v_cmp_ne_u32_e64 s[0:1], s18, v74
                                        ; implicit-def: $vgpr74
	s_and_saveexec_b64 s[10:11], s[0:1]
	s_xor_b64 s[0:1], exec, s[10:11]
; %bb.545:                              ;   in Loop: Header=BB356_243 Depth=1
	v_bfe_u32 v74, v75, 16, 1
	v_add3_u32 v74, v75, v74, s19
                                        ; implicit-def: $vgpr75
; %bb.546:                              ;   in Loop: Header=BB356_243 Depth=1
	s_andn2_saveexec_b64 s[10:11], s[0:1]
; %bb.547:                              ;   in Loop: Header=BB356_243 Depth=1
	v_or_b32_e32 v74, 0x10000, v75
	v_cmp_eq_u32_sdwa s[0:1], v75, v17 src0_sel:WORD_0 src1_sel:DWORD
	s_nop 1
	v_cndmask_b32_e64 v74, v74, v75, s[0:1]
; %bb.548:                              ;   in Loop: Header=BB356_243 Depth=1
	s_or_b64 exec, exec, s[10:11]
	v_bfe_u32 v75, v4, 16, 8
	v_cvt_f32_fp8_sdwa v75, v75 src0_sel:BYTE_0
	s_nop 0
	v_mul_f32_e32 v76, s21, v75
	v_and_b32_e32 v75, 0x7f800000, v76
	v_cmp_ne_u32_e64 s[0:1], s18, v75
                                        ; implicit-def: $vgpr75
	s_and_saveexec_b64 s[10:11], s[0:1]
	s_xor_b64 s[0:1], exec, s[10:11]
; %bb.549:                              ;   in Loop: Header=BB356_243 Depth=1
	v_bfe_u32 v75, v76, 16, 1
	v_add3_u32 v75, v76, v75, s19
                                        ; implicit-def: $vgpr76
; %bb.550:                              ;   in Loop: Header=BB356_243 Depth=1
	s_andn2_saveexec_b64 s[10:11], s[0:1]
; %bb.551:                              ;   in Loop: Header=BB356_243 Depth=1
	v_or_b32_e32 v75, 0x10000, v76
	v_cmp_eq_u32_sdwa s[0:1], v76, v17 src0_sel:WORD_0 src1_sel:DWORD
	s_nop 1
	v_cndmask_b32_e64 v75, v75, v76, s[0:1]
; %bb.552:                              ;   in Loop: Header=BB356_243 Depth=1
	s_or_b64 exec, exec, s[10:11]
	v_lshrrev_b32_e32 v4, 24, v4
	v_cvt_f32_fp8_sdwa v4, v4 src0_sel:BYTE_0
	s_nop 0
	v_mul_f32_e32 v76, s21, v4
	v_and_b32_e32 v4, 0x7f800000, v76
	v_cmp_ne_u32_e64 s[0:1], s18, v4
                                        ; implicit-def: $vgpr4
	s_and_saveexec_b64 s[10:11], s[0:1]
	s_xor_b64 s[0:1], exec, s[10:11]
; %bb.553:                              ;   in Loop: Header=BB356_243 Depth=1
	v_bfe_u32 v4, v76, 16, 1
	v_add3_u32 v4, v76, v4, s19
                                        ; implicit-def: $vgpr76
; %bb.554:                              ;   in Loop: Header=BB356_243 Depth=1
	s_andn2_saveexec_b64 s[10:11], s[0:1]
; %bb.555:                              ;   in Loop: Header=BB356_243 Depth=1
	v_or_b32_e32 v4, 0x10000, v76
	v_cmp_eq_u32_sdwa s[0:1], v76, v17 src0_sel:WORD_0 src1_sel:DWORD
	s_nop 1
	v_cndmask_b32_e64 v4, v4, v76, s[0:1]
; %bb.556:                              ;   in Loop: Header=BB356_243 Depth=1
	s_or_b64 exec, exec, s[10:11]
	v_and_b32_e32 v76, 0xff, v5
	v_cvt_f32_fp8_sdwa v76, v76 src0_sel:BYTE_0
	s_nop 0
	v_mul_f32_e32 v76, s21, v76
	v_and_b32_e32 v77, 0x7f800000, v76
	v_cmp_ne_u32_e64 s[0:1], s18, v77
                                        ; implicit-def: $vgpr77
	s_and_saveexec_b64 s[10:11], s[0:1]
	s_xor_b64 s[0:1], exec, s[10:11]
; %bb.557:                              ;   in Loop: Header=BB356_243 Depth=1
	v_bfe_u32 v77, v76, 16, 1
	v_add3_u32 v77, v76, v77, s19
                                        ; implicit-def: $vgpr76
; %bb.558:                              ;   in Loop: Header=BB356_243 Depth=1
	s_andn2_saveexec_b64 s[10:11], s[0:1]
; %bb.559:                              ;   in Loop: Header=BB356_243 Depth=1
	v_or_b32_e32 v77, 0x10000, v76
	v_cmp_eq_u32_sdwa s[0:1], v76, v17 src0_sel:WORD_0 src1_sel:DWORD
	s_nop 1
	v_cndmask_b32_e64 v77, v77, v76, s[0:1]
; %bb.560:                              ;   in Loop: Header=BB356_243 Depth=1
	s_or_b64 exec, exec, s[10:11]
	v_bfe_u32 v76, v5, 8, 8
	v_cvt_f32_fp8_sdwa v76, v76 src0_sel:BYTE_0
	s_nop 0
	v_mul_f32_e32 v78, s21, v76
	v_and_b32_e32 v76, 0x7f800000, v78
	v_cmp_ne_u32_e64 s[0:1], s18, v76
                                        ; implicit-def: $vgpr76
	s_and_saveexec_b64 s[10:11], s[0:1]
	s_xor_b64 s[0:1], exec, s[10:11]
; %bb.561:                              ;   in Loop: Header=BB356_243 Depth=1
	v_bfe_u32 v76, v78, 16, 1
	v_add3_u32 v76, v78, v76, s19
                                        ; implicit-def: $vgpr78
; %bb.562:                              ;   in Loop: Header=BB356_243 Depth=1
	s_andn2_saveexec_b64 s[10:11], s[0:1]
; %bb.563:                              ;   in Loop: Header=BB356_243 Depth=1
	v_or_b32_e32 v76, 0x10000, v78
	v_cmp_eq_u32_sdwa s[0:1], v78, v17 src0_sel:WORD_0 src1_sel:DWORD
	s_nop 1
	v_cndmask_b32_e64 v76, v76, v78, s[0:1]
; %bb.564:                              ;   in Loop: Header=BB356_243 Depth=1
	s_or_b64 exec, exec, s[10:11]
	v_bfe_u32 v78, v5, 16, 8
	v_cvt_f32_fp8_sdwa v78, v78 src0_sel:BYTE_0
	s_nop 0
	v_mul_f32_e32 v79, s21, v78
	v_and_b32_e32 v78, 0x7f800000, v79
	v_cmp_ne_u32_e64 s[0:1], s18, v78
                                        ; implicit-def: $vgpr78
	s_and_saveexec_b64 s[10:11], s[0:1]
	s_xor_b64 s[0:1], exec, s[10:11]
; %bb.565:                              ;   in Loop: Header=BB356_243 Depth=1
	v_bfe_u32 v78, v79, 16, 1
	v_add3_u32 v78, v79, v78, s19
                                        ; implicit-def: $vgpr79
; %bb.566:                              ;   in Loop: Header=BB356_243 Depth=1
	s_andn2_saveexec_b64 s[10:11], s[0:1]
; %bb.567:                              ;   in Loop: Header=BB356_243 Depth=1
	v_or_b32_e32 v78, 0x10000, v79
	v_cmp_eq_u32_sdwa s[0:1], v79, v17 src0_sel:WORD_0 src1_sel:DWORD
	s_nop 1
	v_cndmask_b32_e64 v78, v78, v79, s[0:1]
; %bb.568:                              ;   in Loop: Header=BB356_243 Depth=1
	s_or_b64 exec, exec, s[10:11]
	v_lshrrev_b32_e32 v5, 24, v5
	v_cvt_f32_fp8_sdwa v5, v5 src0_sel:BYTE_0
                                        ; implicit-def: $vgpr81
	s_nop 0
	v_mul_f32_e32 v5, s21, v5
	v_and_b32_e32 v79, 0x7f800000, v5
	v_cmp_ne_u32_e64 s[0:1], s18, v79
	s_and_saveexec_b64 s[10:11], s[0:1]
	s_xor_b64 s[0:1], exec, s[10:11]
; %bb.569:                              ;   in Loop: Header=BB356_243 Depth=1
	v_bfe_u32 v79, v5, 16, 1
	v_add3_u32 v81, v5, v79, s19
                                        ; implicit-def: $vgpr5
; %bb.570:                              ;   in Loop: Header=BB356_243 Depth=1
	s_andn2_saveexec_b64 s[10:11], s[0:1]
; %bb.571:                              ;   in Loop: Header=BB356_243 Depth=1
	v_or_b32_e32 v79, 0x10000, v5
	v_cmp_eq_u32_sdwa s[0:1], v5, v17 src0_sel:WORD_0 src1_sel:DWORD
	s_nop 1
	v_cndmask_b32_e64 v81, v79, v5, s[0:1]
; %bb.572:                              ;   in Loop: Header=BB356_243 Depth=1
	s_or_b64 exec, exec, s[10:11]
	v_lshrrev_b32_e32 v76, 16, v76
	v_lshrrev_b32_e32 v79, 16, v77
	;; [unrolled: 1-line block ×8, first 2 shown]
	s_and_saveexec_b64 s[10:11], vcc
	s_cbranch_execz .LBB356_574
; %bb.573:                              ;   in Loop: Header=BB356_243 Depth=1
	v_cmp_gt_i32_e64 s[0:1], s33, v33
	s_nop 1
	v_cndmask_b32_e64 v4, 0, v4, s[0:1]
	v_cmp_gt_i32_e64 s[0:1], s33, v40
	s_nop 1
	v_cndmask_b32_e64 v5, 0, v5, s[0:1]
	;; [unrolled: 3-line block ×8, first 2 shown]
.LBB356_574:                            ;   in Loop: Header=BB356_243 Depth=1
	s_or_b64 exec, exec, s[10:11]
	v_lshlrev_b32_e32 v4, 16, v4
	v_mul_f32_e32 v73, v41, v4
	v_and_b32_e32 v4, 0x7f800000, v73
	v_cmp_ne_u32_e64 s[0:1], s18, v4
                                        ; implicit-def: $vgpr4
	s_and_saveexec_b64 s[10:11], s[0:1]
	s_xor_b64 s[0:1], exec, s[10:11]
; %bb.575:                              ;   in Loop: Header=BB356_243 Depth=1
	v_bfe_u32 v4, v73, 16, 1
	v_add3_u32 v4, v73, v4, s19
                                        ; implicit-def: $vgpr73
; %bb.576:                              ;   in Loop: Header=BB356_243 Depth=1
	s_andn2_saveexec_b64 s[10:11], s[0:1]
; %bb.577:                              ;   in Loop: Header=BB356_243 Depth=1
	v_or_b32_e32 v4, 0x10000, v73
	v_cmp_eq_u32_sdwa s[0:1], v73, v17 src0_sel:WORD_0 src1_sel:DWORD
	s_nop 1
	v_cndmask_b32_e64 v4, v4, v73, s[0:1]
; %bb.578:                              ;   in Loop: Header=BB356_243 Depth=1
	s_or_b64 exec, exec, s[10:11]
	v_lshlrev_b32_e32 v5, 16, v5
	v_mul_f32_e32 v73, v42, v5
	v_and_b32_e32 v5, 0x7f800000, v73
	v_cmp_ne_u32_e64 s[0:1], s18, v5
                                        ; implicit-def: $vgpr5
	s_and_saveexec_b64 s[10:11], s[0:1]
	s_xor_b64 s[0:1], exec, s[10:11]
; %bb.579:                              ;   in Loop: Header=BB356_243 Depth=1
	v_bfe_u32 v5, v73, 16, 1
	v_add3_u32 v5, v73, v5, s19
                                        ; implicit-def: $vgpr73
; %bb.580:                              ;   in Loop: Header=BB356_243 Depth=1
	s_andn2_saveexec_b64 s[10:11], s[0:1]
; %bb.581:                              ;   in Loop: Header=BB356_243 Depth=1
	v_or_b32_e32 v5, 0x10000, v73
	v_cmp_eq_u32_sdwa s[0:1], v73, v17 src0_sel:WORD_0 src1_sel:DWORD
	s_nop 1
	v_cndmask_b32_e64 v5, v5, v73, s[0:1]
; %bb.582:                              ;   in Loop: Header=BB356_243 Depth=1
	s_or_b64 exec, exec, s[10:11]
	v_lshlrev_b32_e32 v73, 16, v75
	v_mul_f32_e32 v74, v43, v73
	v_and_b32_e32 v73, 0x7f800000, v74
	v_cmp_ne_u32_e64 s[0:1], s18, v73
                                        ; implicit-def: $vgpr73
	s_and_saveexec_b64 s[10:11], s[0:1]
	s_xor_b64 s[0:1], exec, s[10:11]
; %bb.583:                              ;   in Loop: Header=BB356_243 Depth=1
	v_bfe_u32 v73, v74, 16, 1
	v_add3_u32 v73, v74, v73, s19
                                        ; implicit-def: $vgpr74
; %bb.584:                              ;   in Loop: Header=BB356_243 Depth=1
	s_andn2_saveexec_b64 s[10:11], s[0:1]
; %bb.585:                              ;   in Loop: Header=BB356_243 Depth=1
	v_or_b32_e32 v73, 0x10000, v74
	v_cmp_eq_u32_sdwa s[0:1], v74, v17 src0_sel:WORD_0 src1_sel:DWORD
	s_nop 1
	v_cndmask_b32_e64 v73, v73, v74, s[0:1]
; %bb.586:                              ;   in Loop: Header=BB356_243 Depth=1
	s_or_b64 exec, exec, s[10:11]
	v_lshlrev_b32_e32 v74, 16, v80
	v_mul_f32_e32 v75, v44, v74
	v_and_b32_e32 v74, 0x7f800000, v75
	v_cmp_ne_u32_e64 s[0:1], s18, v74
                                        ; implicit-def: $vgpr74
	s_and_saveexec_b64 s[10:11], s[0:1]
	s_xor_b64 s[0:1], exec, s[10:11]
; %bb.587:                              ;   in Loop: Header=BB356_243 Depth=1
	v_bfe_u32 v74, v75, 16, 1
	v_add3_u32 v74, v75, v74, s19
                                        ; implicit-def: $vgpr75
; %bb.588:                              ;   in Loop: Header=BB356_243 Depth=1
	s_andn2_saveexec_b64 s[10:11], s[0:1]
; %bb.589:                              ;   in Loop: Header=BB356_243 Depth=1
	v_or_b32_e32 v74, 0x10000, v75
	v_cmp_eq_u32_sdwa s[0:1], v75, v17 src0_sel:WORD_0 src1_sel:DWORD
	s_nop 1
	v_cndmask_b32_e64 v74, v74, v75, s[0:1]
; %bb.590:                              ;   in Loop: Header=BB356_243 Depth=1
	s_or_b64 exec, exec, s[10:11]
	v_lshlrev_b32_e32 v75, 16, v79
	v_mul_f32_e32 v79, v45, v75
	v_and_b32_e32 v75, 0x7f800000, v79
	v_cmp_ne_u32_e64 s[0:1], s18, v75
                                        ; implicit-def: $vgpr75
	s_and_saveexec_b64 s[10:11], s[0:1]
	s_xor_b64 s[0:1], exec, s[10:11]
; %bb.591:                              ;   in Loop: Header=BB356_243 Depth=1
	v_bfe_u32 v75, v79, 16, 1
	v_add3_u32 v75, v79, v75, s19
                                        ; implicit-def: $vgpr79
; %bb.592:                              ;   in Loop: Header=BB356_243 Depth=1
	s_andn2_saveexec_b64 s[10:11], s[0:1]
; %bb.593:                              ;   in Loop: Header=BB356_243 Depth=1
	v_or_b32_e32 v75, 0x10000, v79
	v_cmp_eq_u32_sdwa s[0:1], v79, v17 src0_sel:WORD_0 src1_sel:DWORD
	s_nop 1
	v_cndmask_b32_e64 v75, v75, v79, s[0:1]
; %bb.594:                              ;   in Loop: Header=BB356_243 Depth=1
	s_or_b64 exec, exec, s[10:11]
	v_lshlrev_b32_e32 v76, 16, v76
	v_mul_f32_e32 v79, v46, v76
	v_and_b32_e32 v76, 0x7f800000, v79
	v_cmp_ne_u32_e64 s[0:1], s18, v76
                                        ; implicit-def: $vgpr76
	s_and_saveexec_b64 s[10:11], s[0:1]
	s_xor_b64 s[0:1], exec, s[10:11]
; %bb.595:                              ;   in Loop: Header=BB356_243 Depth=1
	v_bfe_u32 v76, v79, 16, 1
	v_add3_u32 v76, v79, v76, s19
                                        ; implicit-def: $vgpr79
; %bb.596:                              ;   in Loop: Header=BB356_243 Depth=1
	s_andn2_saveexec_b64 s[10:11], s[0:1]
; %bb.597:                              ;   in Loop: Header=BB356_243 Depth=1
	v_or_b32_e32 v76, 0x10000, v79
	v_cmp_eq_u32_sdwa s[0:1], v79, v17 src0_sel:WORD_0 src1_sel:DWORD
	s_nop 1
	v_cndmask_b32_e64 v76, v76, v79, s[0:1]
; %bb.598:                              ;   in Loop: Header=BB356_243 Depth=1
	s_or_b64 exec, exec, s[10:11]
	v_lshlrev_b32_e32 v77, 16, v77
	v_mul_f32_e32 v79, v47, v77
	v_and_b32_e32 v77, 0x7f800000, v79
	v_cmp_ne_u32_e64 s[0:1], s18, v77
                                        ; implicit-def: $vgpr77
	s_and_saveexec_b64 s[10:11], s[0:1]
	s_xor_b64 s[0:1], exec, s[10:11]
; %bb.599:                              ;   in Loop: Header=BB356_243 Depth=1
	v_bfe_u32 v77, v79, 16, 1
	v_add3_u32 v77, v79, v77, s19
                                        ; implicit-def: $vgpr79
; %bb.600:                              ;   in Loop: Header=BB356_243 Depth=1
	s_andn2_saveexec_b64 s[10:11], s[0:1]
; %bb.601:                              ;   in Loop: Header=BB356_243 Depth=1
	v_or_b32_e32 v77, 0x10000, v79
	v_cmp_eq_u32_sdwa s[0:1], v79, v17 src0_sel:WORD_0 src1_sel:DWORD
	s_nop 1
	v_cndmask_b32_e64 v77, v77, v79, s[0:1]
; %bb.602:                              ;   in Loop: Header=BB356_243 Depth=1
	s_or_b64 exec, exec, s[10:11]
	v_lshlrev_b32_e32 v78, 16, v78
	v_mul_f32_e32 v79, v48, v78
	v_and_b32_e32 v78, 0x7f800000, v79
	v_cmp_ne_u32_e64 s[0:1], s18, v78
                                        ; implicit-def: $vgpr78
	s_and_saveexec_b64 s[10:11], s[0:1]
	s_xor_b64 s[0:1], exec, s[10:11]
; %bb.603:                              ;   in Loop: Header=BB356_243 Depth=1
	v_bfe_u32 v78, v79, 16, 1
	v_add3_u32 v78, v79, v78, s19
                                        ; implicit-def: $vgpr79
; %bb.604:                              ;   in Loop: Header=BB356_243 Depth=1
	s_andn2_saveexec_b64 s[10:11], s[0:1]
; %bb.605:                              ;   in Loop: Header=BB356_243 Depth=1
	v_or_b32_e32 v78, 0x10000, v79
	v_cmp_eq_u32_sdwa s[0:1], v79, v17 src0_sel:WORD_0 src1_sel:DWORD
	s_nop 1
	v_cndmask_b32_e64 v78, v78, v79, s[0:1]
; %bb.606:                              ;   in Loop: Header=BB356_243 Depth=1
	s_or_b64 exec, exec, s[10:11]
	global_load_dwordx2 v[2:3], v[2:3], off offset:2560
	s_waitcnt vmcnt(0)
	v_and_b32_e32 v79, 0xff, v2
	v_cvt_f32_fp8_sdwa v79, v79 src0_sel:BYTE_0
	s_nop 0
	v_mul_f32_e32 v80, s21, v79
	v_and_b32_e32 v79, 0x7f800000, v80
	v_cmp_ne_u32_e64 s[0:1], s18, v79
                                        ; implicit-def: $vgpr79
	s_and_saveexec_b64 s[10:11], s[0:1]
	s_xor_b64 s[0:1], exec, s[10:11]
; %bb.607:                              ;   in Loop: Header=BB356_243 Depth=1
	v_bfe_u32 v79, v80, 16, 1
	v_add3_u32 v79, v80, v79, s19
                                        ; implicit-def: $vgpr80
; %bb.608:                              ;   in Loop: Header=BB356_243 Depth=1
	s_andn2_saveexec_b64 s[10:11], s[0:1]
; %bb.609:                              ;   in Loop: Header=BB356_243 Depth=1
	v_or_b32_e32 v79, 0x10000, v80
	v_cmp_eq_u32_sdwa s[0:1], v80, v17 src0_sel:WORD_0 src1_sel:DWORD
	s_nop 1
	v_cndmask_b32_e64 v79, v79, v80, s[0:1]
; %bb.610:                              ;   in Loop: Header=BB356_243 Depth=1
	s_or_b64 exec, exec, s[10:11]
	v_bfe_u32 v80, v2, 8, 8
	v_cvt_f32_fp8_sdwa v80, v80 src0_sel:BYTE_0
	s_nop 0
	v_mul_f32_e32 v81, s21, v80
	v_and_b32_e32 v80, 0x7f800000, v81
	v_cmp_ne_u32_e64 s[0:1], s18, v80
                                        ; implicit-def: $vgpr80
	s_and_saveexec_b64 s[10:11], s[0:1]
	s_xor_b64 s[0:1], exec, s[10:11]
; %bb.611:                              ;   in Loop: Header=BB356_243 Depth=1
	v_bfe_u32 v80, v81, 16, 1
	v_add3_u32 v80, v81, v80, s19
                                        ; implicit-def: $vgpr81
; %bb.612:                              ;   in Loop: Header=BB356_243 Depth=1
	s_andn2_saveexec_b64 s[10:11], s[0:1]
; %bb.613:                              ;   in Loop: Header=BB356_243 Depth=1
	v_or_b32_e32 v80, 0x10000, v81
	v_cmp_eq_u32_sdwa s[0:1], v81, v17 src0_sel:WORD_0 src1_sel:DWORD
	s_nop 1
	v_cndmask_b32_e64 v80, v80, v81, s[0:1]
; %bb.614:                              ;   in Loop: Header=BB356_243 Depth=1
	s_or_b64 exec, exec, s[10:11]
	v_bfe_u32 v81, v2, 16, 8
	v_cvt_f32_fp8_sdwa v81, v81 src0_sel:BYTE_0
	s_nop 0
	v_mul_f32_e32 v81, s21, v81
	v_and_b32_e32 v82, 0x7f800000, v81
	v_cmp_ne_u32_e64 s[0:1], s18, v82
                                        ; implicit-def: $vgpr82
	s_and_saveexec_b64 s[10:11], s[0:1]
	s_xor_b64 s[0:1], exec, s[10:11]
; %bb.615:                              ;   in Loop: Header=BB356_243 Depth=1
	v_bfe_u32 v82, v81, 16, 1
	v_add3_u32 v82, v81, v82, s19
                                        ; implicit-def: $vgpr81
; %bb.616:                              ;   in Loop: Header=BB356_243 Depth=1
	s_andn2_saveexec_b64 s[10:11], s[0:1]
; %bb.617:                              ;   in Loop: Header=BB356_243 Depth=1
	v_or_b32_e32 v82, 0x10000, v81
	v_cmp_eq_u32_sdwa s[0:1], v81, v17 src0_sel:WORD_0 src1_sel:DWORD
	s_nop 1
	v_cndmask_b32_e64 v82, v82, v81, s[0:1]
; %bb.618:                              ;   in Loop: Header=BB356_243 Depth=1
	s_or_b64 exec, exec, s[10:11]
	v_lshrrev_b32_e32 v2, 24, v2
	v_cvt_f32_fp8_sdwa v2, v2 src0_sel:BYTE_0
	s_nop 0
	v_mul_f32_e32 v81, s21, v2
	v_and_b32_e32 v2, 0x7f800000, v81
	v_cmp_ne_u32_e64 s[0:1], s18, v2
                                        ; implicit-def: $vgpr2
	s_and_saveexec_b64 s[10:11], s[0:1]
	s_xor_b64 s[0:1], exec, s[10:11]
; %bb.619:                              ;   in Loop: Header=BB356_243 Depth=1
	v_bfe_u32 v2, v81, 16, 1
	v_add3_u32 v2, v81, v2, s19
                                        ; implicit-def: $vgpr81
; %bb.620:                              ;   in Loop: Header=BB356_243 Depth=1
	s_andn2_saveexec_b64 s[10:11], s[0:1]
; %bb.621:                              ;   in Loop: Header=BB356_243 Depth=1
	v_or_b32_e32 v2, 0x10000, v81
	v_cmp_eq_u32_sdwa s[0:1], v81, v17 src0_sel:WORD_0 src1_sel:DWORD
	s_nop 1
	v_cndmask_b32_e64 v2, v2, v81, s[0:1]
; %bb.622:                              ;   in Loop: Header=BB356_243 Depth=1
	s_or_b64 exec, exec, s[10:11]
	v_and_b32_e32 v81, 0xff, v3
	v_cvt_f32_fp8_sdwa v81, v81 src0_sel:BYTE_0
	s_nop 0
	v_mul_f32_e32 v81, s21, v81
	v_and_b32_e32 v83, 0x7f800000, v81
	v_cmp_ne_u32_e64 s[0:1], s18, v83
                                        ; implicit-def: $vgpr83
	s_and_saveexec_b64 s[10:11], s[0:1]
	s_xor_b64 s[0:1], exec, s[10:11]
; %bb.623:                              ;   in Loop: Header=BB356_243 Depth=1
	v_bfe_u32 v83, v81, 16, 1
	v_add3_u32 v83, v81, v83, s19
                                        ; implicit-def: $vgpr81
; %bb.624:                              ;   in Loop: Header=BB356_243 Depth=1
	s_andn2_saveexec_b64 s[10:11], s[0:1]
; %bb.625:                              ;   in Loop: Header=BB356_243 Depth=1
	v_or_b32_e32 v83, 0x10000, v81
	v_cmp_eq_u32_sdwa s[0:1], v81, v17 src0_sel:WORD_0 src1_sel:DWORD
	s_nop 1
	v_cndmask_b32_e64 v83, v83, v81, s[0:1]
; %bb.626:                              ;   in Loop: Header=BB356_243 Depth=1
	s_or_b64 exec, exec, s[10:11]
	v_bfe_u32 v81, v3, 8, 8
	v_cvt_f32_fp8_sdwa v81, v81 src0_sel:BYTE_0
	s_nop 0
	v_mul_f32_e32 v84, s21, v81
	v_and_b32_e32 v81, 0x7f800000, v84
	v_cmp_ne_u32_e64 s[0:1], s18, v81
                                        ; implicit-def: $vgpr81
	s_and_saveexec_b64 s[10:11], s[0:1]
	s_xor_b64 s[0:1], exec, s[10:11]
; %bb.627:                              ;   in Loop: Header=BB356_243 Depth=1
	v_bfe_u32 v81, v84, 16, 1
	v_add3_u32 v81, v84, v81, s19
                                        ; implicit-def: $vgpr84
; %bb.628:                              ;   in Loop: Header=BB356_243 Depth=1
	s_andn2_saveexec_b64 s[10:11], s[0:1]
; %bb.629:                              ;   in Loop: Header=BB356_243 Depth=1
	v_or_b32_e32 v81, 0x10000, v84
	v_cmp_eq_u32_sdwa s[0:1], v84, v17 src0_sel:WORD_0 src1_sel:DWORD
	s_nop 1
	v_cndmask_b32_e64 v81, v81, v84, s[0:1]
; %bb.630:                              ;   in Loop: Header=BB356_243 Depth=1
	s_or_b64 exec, exec, s[10:11]
	v_bfe_u32 v84, v3, 16, 8
	v_cvt_f32_fp8_sdwa v84, v84 src0_sel:BYTE_0
	s_nop 0
	v_mul_f32_e32 v84, s21, v84
	v_and_b32_e32 v85, 0x7f800000, v84
	v_cmp_ne_u32_e64 s[0:1], s18, v85
                                        ; implicit-def: $vgpr85
	s_and_saveexec_b64 s[10:11], s[0:1]
	s_xor_b64 s[0:1], exec, s[10:11]
; %bb.631:                              ;   in Loop: Header=BB356_243 Depth=1
	v_bfe_u32 v85, v84, 16, 1
	v_add3_u32 v85, v84, v85, s19
                                        ; implicit-def: $vgpr84
; %bb.632:                              ;   in Loop: Header=BB356_243 Depth=1
	s_andn2_saveexec_b64 s[10:11], s[0:1]
; %bb.633:                              ;   in Loop: Header=BB356_243 Depth=1
	v_or_b32_e32 v85, 0x10000, v84
	v_cmp_eq_u32_sdwa s[0:1], v84, v17 src0_sel:WORD_0 src1_sel:DWORD
	s_nop 1
	v_cndmask_b32_e64 v85, v85, v84, s[0:1]
; %bb.634:                              ;   in Loop: Header=BB356_243 Depth=1
	s_or_b64 exec, exec, s[10:11]
	v_lshrrev_b32_e32 v3, 24, v3
	v_cvt_f32_fp8_sdwa v3, v3 src0_sel:BYTE_0
                                        ; implicit-def: $vgpr86
	s_nop 0
	v_mul_f32_e32 v3, s21, v3
	v_and_b32_e32 v84, 0x7f800000, v3
	v_cmp_ne_u32_e64 s[0:1], s18, v84
	s_and_saveexec_b64 s[10:11], s[0:1]
	s_xor_b64 s[0:1], exec, s[10:11]
; %bb.635:                              ;   in Loop: Header=BB356_243 Depth=1
	v_bfe_u32 v84, v3, 16, 1
	v_add3_u32 v86, v3, v84, s19
                                        ; implicit-def: $vgpr3
; %bb.636:                              ;   in Loop: Header=BB356_243 Depth=1
	s_andn2_saveexec_b64 s[10:11], s[0:1]
; %bb.637:                              ;   in Loop: Header=BB356_243 Depth=1
	v_or_b32_e32 v84, 0x10000, v3
	v_cmp_eq_u32_sdwa s[0:1], v3, v17 src0_sel:WORD_0 src1_sel:DWORD
	s_nop 1
	v_cndmask_b32_e64 v86, v84, v3, s[0:1]
; %bb.638:                              ;   in Loop: Header=BB356_243 Depth=1
	s_or_b64 exec, exec, s[10:11]
	v_lshrrev_b32_e32 v81, 16, v81
	v_lshrrev_b32_e32 v83, 16, v83
	;; [unrolled: 1-line block ×8, first 2 shown]
	s_and_saveexec_b64 s[0:1], vcc
	s_cbranch_execz .LBB356_640
; %bb.639:                              ;   in Loop: Header=BB356_243 Depth=1
	v_cmp_gt_i32_e32 vcc, s33, v33
	s_nop 1
	v_cndmask_b32_e32 v2, 0, v2, vcc
	v_cmp_gt_i32_e32 vcc, s33, v40
	s_nop 1
	v_cndmask_b32_e32 v3, 0, v3, vcc
	;; [unrolled: 3-line block ×8, first 2 shown]
.LBB356_640:                            ;   in Loop: Header=BB356_243 Depth=1
	s_or_b64 exec, exec, s[0:1]
	v_lshlrev_b32_e32 v2, 16, v2
	v_mul_f32_e32 v33, v41, v2
	v_and_b32_e32 v2, 0x7f800000, v33
	v_cmp_ne_u32_e32 vcc, s18, v2
                                        ; implicit-def: $vgpr2
	s_and_saveexec_b64 s[0:1], vcc
	s_xor_b64 s[0:1], exec, s[0:1]
; %bb.641:                              ;   in Loop: Header=BB356_243 Depth=1
	v_bfe_u32 v2, v33, 16, 1
	v_add3_u32 v2, v33, v2, s19
                                        ; implicit-def: $vgpr33
; %bb.642:                              ;   in Loop: Header=BB356_243 Depth=1
	s_andn2_saveexec_b64 s[0:1], s[0:1]
; %bb.643:                              ;   in Loop: Header=BB356_243 Depth=1
	v_or_b32_e32 v2, 0x10000, v33
	v_cmp_eq_u32_sdwa vcc, v33, v17 src0_sel:WORD_0 src1_sel:DWORD
	s_nop 1
	v_cndmask_b32_e32 v2, v2, v33, vcc
; %bb.644:                              ;   in Loop: Header=BB356_243 Depth=1
	s_or_b64 exec, exec, s[0:1]
	v_lshlrev_b32_e32 v3, 16, v3
	v_mul_f32_e32 v33, v42, v3
	v_and_b32_e32 v3, 0x7f800000, v33
	v_cmp_ne_u32_e32 vcc, s18, v3
                                        ; implicit-def: $vgpr3
	s_and_saveexec_b64 s[0:1], vcc
	s_xor_b64 s[0:1], exec, s[0:1]
; %bb.645:                              ;   in Loop: Header=BB356_243 Depth=1
	v_bfe_u32 v3, v33, 16, 1
	v_add3_u32 v3, v33, v3, s19
                                        ; implicit-def: $vgpr33
; %bb.646:                              ;   in Loop: Header=BB356_243 Depth=1
	s_andn2_saveexec_b64 s[0:1], s[0:1]
; %bb.647:                              ;   in Loop: Header=BB356_243 Depth=1
	v_or_b32_e32 v3, 0x10000, v33
	v_cmp_eq_u32_sdwa vcc, v33, v17 src0_sel:WORD_0 src1_sel:DWORD
	s_nop 1
	v_cndmask_b32_e32 v3, v3, v33, vcc
; %bb.648:                              ;   in Loop: Header=BB356_243 Depth=1
	s_or_b64 exec, exec, s[0:1]
	v_lshlrev_b32_e32 v33, 16, v82
	v_mul_f32_e32 v34, v43, v33
	v_and_b32_e32 v33, 0x7f800000, v34
	v_cmp_ne_u32_e32 vcc, s18, v33
                                        ; implicit-def: $vgpr33
	s_and_saveexec_b64 s[0:1], vcc
	s_xor_b64 s[0:1], exec, s[0:1]
; %bb.649:                              ;   in Loop: Header=BB356_243 Depth=1
	v_bfe_u32 v33, v34, 16, 1
	v_add3_u32 v33, v34, v33, s19
                                        ; implicit-def: $vgpr34
; %bb.650:                              ;   in Loop: Header=BB356_243 Depth=1
	s_andn2_saveexec_b64 s[0:1], s[0:1]
; %bb.651:                              ;   in Loop: Header=BB356_243 Depth=1
	v_or_b32_e32 v33, 0x10000, v34
	v_cmp_eq_u32_sdwa vcc, v34, v17 src0_sel:WORD_0 src1_sel:DWORD
	s_nop 1
	v_cndmask_b32_e32 v33, v33, v34, vcc
; %bb.652:                              ;   in Loop: Header=BB356_243 Depth=1
	s_or_b64 exec, exec, s[0:1]
	v_lshlrev_b32_e32 v34, 16, v84
	v_mul_f32_e32 v35, v44, v34
	v_and_b32_e32 v34, 0x7f800000, v35
	v_cmp_ne_u32_e32 vcc, s18, v34
                                        ; implicit-def: $vgpr34
	s_and_saveexec_b64 s[0:1], vcc
	s_xor_b64 s[0:1], exec, s[0:1]
; %bb.653:                              ;   in Loop: Header=BB356_243 Depth=1
	v_bfe_u32 v34, v35, 16, 1
	v_add3_u32 v34, v35, v34, s19
                                        ; implicit-def: $vgpr35
; %bb.654:                              ;   in Loop: Header=BB356_243 Depth=1
	s_andn2_saveexec_b64 s[0:1], s[0:1]
; %bb.655:                              ;   in Loop: Header=BB356_243 Depth=1
	v_or_b32_e32 v34, 0x10000, v35
	v_cmp_eq_u32_sdwa vcc, v35, v17 src0_sel:WORD_0 src1_sel:DWORD
	s_nop 1
	v_cndmask_b32_e32 v34, v34, v35, vcc
; %bb.656:                              ;   in Loop: Header=BB356_243 Depth=1
	s_or_b64 exec, exec, s[0:1]
	v_lshlrev_b32_e32 v35, 16, v83
	v_mul_f32_e32 v36, v45, v35
	v_and_b32_e32 v35, 0x7f800000, v36
	v_cmp_ne_u32_e32 vcc, s18, v35
                                        ; implicit-def: $vgpr35
	s_and_saveexec_b64 s[0:1], vcc
	s_xor_b64 s[0:1], exec, s[0:1]
; %bb.657:                              ;   in Loop: Header=BB356_243 Depth=1
	v_bfe_u32 v35, v36, 16, 1
	v_add3_u32 v35, v36, v35, s19
                                        ; implicit-def: $vgpr36
; %bb.658:                              ;   in Loop: Header=BB356_243 Depth=1
	s_andn2_saveexec_b64 s[0:1], s[0:1]
; %bb.659:                              ;   in Loop: Header=BB356_243 Depth=1
	v_or_b32_e32 v35, 0x10000, v36
	v_cmp_eq_u32_sdwa vcc, v36, v17 src0_sel:WORD_0 src1_sel:DWORD
	s_nop 1
	v_cndmask_b32_e32 v35, v35, v36, vcc
; %bb.660:                              ;   in Loop: Header=BB356_243 Depth=1
	s_or_b64 exec, exec, s[0:1]
	v_lshlrev_b32_e32 v36, 16, v81
	v_mul_f32_e32 v37, v46, v36
	v_and_b32_e32 v36, 0x7f800000, v37
	v_cmp_ne_u32_e32 vcc, s18, v36
                                        ; implicit-def: $vgpr36
	s_and_saveexec_b64 s[0:1], vcc
	s_xor_b64 s[0:1], exec, s[0:1]
; %bb.661:                              ;   in Loop: Header=BB356_243 Depth=1
	v_bfe_u32 v36, v37, 16, 1
	v_add3_u32 v36, v37, v36, s19
                                        ; implicit-def: $vgpr37
; %bb.662:                              ;   in Loop: Header=BB356_243 Depth=1
	s_andn2_saveexec_b64 s[0:1], s[0:1]
; %bb.663:                              ;   in Loop: Header=BB356_243 Depth=1
	v_or_b32_e32 v36, 0x10000, v37
	v_cmp_eq_u32_sdwa vcc, v37, v17 src0_sel:WORD_0 src1_sel:DWORD
	s_nop 1
	v_cndmask_b32_e32 v36, v36, v37, vcc
; %bb.664:                              ;   in Loop: Header=BB356_243 Depth=1
	s_or_b64 exec, exec, s[0:1]
	v_lshlrev_b32_e32 v37, 16, v80
	v_mul_f32_e32 v38, v47, v37
	v_and_b32_e32 v37, 0x7f800000, v38
	v_cmp_ne_u32_e32 vcc, s18, v37
                                        ; implicit-def: $vgpr37
	s_and_saveexec_b64 s[0:1], vcc
	s_xor_b64 s[0:1], exec, s[0:1]
; %bb.665:                              ;   in Loop: Header=BB356_243 Depth=1
	v_bfe_u32 v37, v38, 16, 1
	v_add3_u32 v37, v38, v37, s19
                                        ; implicit-def: $vgpr38
; %bb.666:                              ;   in Loop: Header=BB356_243 Depth=1
	s_andn2_saveexec_b64 s[0:1], s[0:1]
; %bb.667:                              ;   in Loop: Header=BB356_243 Depth=1
	v_or_b32_e32 v37, 0x10000, v38
	v_cmp_eq_u32_sdwa vcc, v38, v17 src0_sel:WORD_0 src1_sel:DWORD
	s_nop 1
	v_cndmask_b32_e32 v37, v37, v38, vcc
; %bb.668:                              ;   in Loop: Header=BB356_243 Depth=1
	s_or_b64 exec, exec, s[0:1]
	v_lshlrev_b32_e32 v38, 16, v79
	v_mul_f32_e32 v39, v48, v38
	v_and_b32_e32 v38, 0x7f800000, v39
	v_cmp_ne_u32_e32 vcc, s18, v38
                                        ; implicit-def: $vgpr38
	s_and_saveexec_b64 s[0:1], vcc
	s_xor_b64 s[0:1], exec, s[0:1]
; %bb.669:                              ;   in Loop: Header=BB356_243 Depth=1
	v_bfe_u32 v38, v39, 16, 1
	v_add3_u32 v38, v39, v38, s19
                                        ; implicit-def: $vgpr39
; %bb.670:                              ;   in Loop: Header=BB356_243 Depth=1
	s_andn2_saveexec_b64 s[0:1], s[0:1]
	s_cbranch_execz .LBB356_241
; %bb.671:                              ;   in Loop: Header=BB356_243 Depth=1
	v_or_b32_e32 v38, 0x10000, v39
	v_cmp_eq_u32_sdwa vcc, v39, v17 src0_sel:WORD_0 src1_sel:DWORD
	s_nop 1
	v_cndmask_b32_e32 v38, v38, v39, vcc
	s_branch .LBB356_241
.LBB356_672:
	s_or_b64 exec, exec, s[6:7]
.LBB356_673:
	s_or_b64 exec, exec, s[2:3]
	ds_bpermute_b32 v2, v23, v14
	ds_bpermute_b32 v3, v23, v15
	;; [unrolled: 1-line block ×6, first 2 shown]
	s_waitcnt lgkmcnt(4)
	v_pk_add_f32 v[2:3], v[14:15], v[2:3]
	ds_bpermute_b32 v8, v24, v2
	s_waitcnt lgkmcnt(3)
	v_pk_add_f32 v[4:5], v[12:13], v[4:5]
	ds_bpermute_b32 v9, v24, v3
	;; [unrolled: 3-line block ×3, first 2 shown]
	ds_bpermute_b32 v13, v24, v5
	ds_bpermute_b32 v14, v24, v10
	;; [unrolled: 1-line block ×3, first 2 shown]
	v_and_b32_e32 v1, 0x3c3, v0
	s_waitcnt lgkmcnt(4)
	v_pk_add_f32 v[6:7], v[2:3], v[8:9]
	s_waitcnt lgkmcnt(2)
	v_pk_add_f32 v[2:3], v[4:5], v[12:13]
	v_cmp_eq_u32_e32 vcc, 64, v1
	s_waitcnt lgkmcnt(0)
	v_pk_add_f32 v[4:5], v[10:11], v[14:15]
	s_barrier
	s_and_saveexec_b64 s[0:1], vcc
	s_cbranch_execz .LBB356_675
; %bb.674:
	v_add_u32_e32 v1, 0xd0, v22
	ds_write2_b32 v1, v6, v7 offset1:16
	ds_write2_b32 v1, v2, v3 offset0:32 offset1:48
	ds_write2_b32 v1, v4, v5 offset0:64 offset1:80
.LBB356_675:
	s_or_b64 exec, exec, s[0:1]
	v_cmp_gt_u32_e32 vcc, 64, v0
	s_waitcnt lgkmcnt(0)
	s_barrier
	s_and_saveexec_b64 s[2:3], vcc
	s_cbranch_execz .LBB356_684
; %bb.676:
	v_cmp_eq_u32_e64 s[0:1], 0, v25
	v_lshrrev_b32_e32 v1, 2, v0
	s_and_saveexec_b64 s[6:7], s[0:1]
	s_cbranch_execnz .LBB356_712
; %bb.677:
	s_or_b64 exec, exec, s[6:7]
	s_and_saveexec_b64 s[6:7], s[0:1]
	s_cbranch_execnz .LBB356_713
.LBB356_678:
	s_or_b64 exec, exec, s[6:7]
	s_and_saveexec_b64 s[6:7], s[0:1]
	s_cbranch_execnz .LBB356_714
.LBB356_679:
	s_or_b64 exec, exec, s[6:7]
	s_and_saveexec_b64 s[6:7], s[0:1]
	s_cbranch_execnz .LBB356_715
.LBB356_680:
	s_or_b64 exec, exec, s[6:7]
	s_and_saveexec_b64 s[6:7], s[0:1]
	s_cbranch_execnz .LBB356_716
.LBB356_681:
	s_or_b64 exec, exec, s[6:7]
	s_and_saveexec_b64 s[6:7], s[0:1]
	s_cbranch_execz .LBB356_683
.LBB356_682:
	v_mov_b32_e32 v8, 0xd0
	v_lshl_add_u32 v1, v1, 2, v8
	ds_read_b32 v1, v1 offset:320
	s_waitcnt lgkmcnt(0)
	v_add_f32_e32 v5, v5, v1
.LBB356_683:
	s_or_b64 exec, exec, s[6:7]
.LBB356_684:
	s_or_b64 exec, exec, s[2:3]
	s_barrier
	s_and_saveexec_b64 s[0:1], vcc
	s_cbranch_execz .LBB356_711
; %bb.685:
	v_cmp_eq_u32_e32 vcc, 0, v25
	s_and_b64 exec, exec, vcc
	s_cbranch_execz .LBB356_711
; %bb.686:
	s_mov_b32 s0, 0x7f800000
	v_and_b32_e32 v1, 0x7f800000, v6
	v_cmp_ne_u32_e32 vcc, s0, v1
                                        ; implicit-def: $vgpr8
	s_and_saveexec_b64 s[0:1], vcc
	s_xor_b64 s[0:1], exec, s[0:1]
; %bb.687:
	v_bfe_u32 v1, v6, 16, 1
	s_movk_i32 s2, 0x7fff
	v_add3_u32 v8, v6, v1, s2
; %bb.688:
	s_andn2_saveexec_b64 s[0:1], s[0:1]
; %bb.689:
	v_mov_b32_e32 v1, 0
	v_or_b32_e32 v8, 0x10000, v6
	v_cmp_eq_u32_sdwa vcc, v6, v1 src0_sel:WORD_0 src1_sel:DWORD
	s_nop 1
	v_cndmask_b32_e32 v8, v8, v6, vcc
; %bb.690:
	s_or_b64 exec, exec, s[0:1]
	s_mul_i32 s0, s16, s28
	s_mul_i32 s0, s0, s29
	s_mulk_i32 s0, 0x60
	s_ashr_i32 s1, s0, 31
	s_lshl_b64 s[0:1], s[0:1], 1
	s_add_u32 s2, s34, s0
	s_mul_i32 s0, s16, s30
	s_addc_u32 s3, s35, s1
	s_ashr_i32 s1, s0, 31
	s_lshl_b64 s[0:1], s[0:1], 1
	s_add_u32 s2, s2, s0
	s_mul_i32 s0, s4, 0x60
	s_addc_u32 s3, s3, s1
	s_ashr_i32 s1, s0, 31
	s_lshl_b64 s[0:1], s[0:1], 1
	s_add_u32 s0, s2, s0
	v_lshrrev_b32_e32 v0, 1, v0
	s_mov_b32 s2, 0x7f800000
	v_and_b32_e32 v6, 0x7f800000, v7
	s_addc_u32 s1, s3, s1
	v_and_b32_e32 v0, 0x1fe, v0
	v_mov_b32_e32 v1, 0
	v_cmp_ne_u32_e32 vcc, s2, v6
	global_store_short_d16_hi v0, v8, s[0:1]
                                        ; implicit-def: $vgpr6
	s_and_saveexec_b64 s[2:3], vcc
	s_xor_b64 s[2:3], exec, s[2:3]
; %bb.691:
	v_bfe_u32 v6, v7, 16, 1
	s_movk_i32 s4, 0x7fff
	v_add3_u32 v6, v7, v6, s4
; %bb.692:
	s_or_saveexec_b64 s[2:3], s[2:3]
	v_lshl_add_u64 v[8:9], s[0:1], 0, v[0:1]
	s_xor_b64 exec, exec, s[2:3]
; %bb.693:
	v_mov_b32_e32 v0, 0
	v_or_b32_e32 v1, 0x10000, v7
	v_cmp_eq_u32_sdwa vcc, v7, v0 src0_sel:WORD_0 src1_sel:DWORD
	s_nop 1
	v_cndmask_b32_e32 v6, v1, v7, vcc
; %bb.694:
	s_or_b64 exec, exec, s[2:3]
	s_mov_b32 s0, 0x7f800000
	v_and_b32_e32 v0, 0x7f800000, v2
	v_cmp_ne_u32_e32 vcc, s0, v0
	global_store_short_d16_hi v[8:9], v6, off offset:32
                                        ; implicit-def: $vgpr0
	s_and_saveexec_b64 s[0:1], vcc
	s_xor_b64 s[0:1], exec, s[0:1]
; %bb.695:
	v_bfe_u32 v0, v2, 16, 1
	s_movk_i32 s2, 0x7fff
	v_add3_u32 v0, v2, v0, s2
; %bb.696:
	s_andn2_saveexec_b64 s[0:1], s[0:1]
; %bb.697:
	v_mov_b32_e32 v0, 0
	v_or_b32_e32 v1, 0x10000, v2
	v_cmp_eq_u32_sdwa vcc, v2, v0 src0_sel:WORD_0 src1_sel:DWORD
	s_nop 1
	v_cndmask_b32_e32 v0, v1, v2, vcc
; %bb.698:
	s_or_b64 exec, exec, s[0:1]
	global_store_short_d16_hi v[8:9], v0, off offset:64
	s_mov_b32 s0, 0x7f800000
	v_and_b32_e32 v0, 0x7f800000, v3
	v_cmp_ne_u32_e32 vcc, s0, v0
                                        ; implicit-def: $vgpr0
	s_and_saveexec_b64 s[0:1], vcc
	s_xor_b64 s[0:1], exec, s[0:1]
; %bb.699:
	v_bfe_u32 v0, v3, 16, 1
	s_movk_i32 s2, 0x7fff
	v_add3_u32 v0, v3, v0, s2
; %bb.700:
	s_andn2_saveexec_b64 s[0:1], s[0:1]
; %bb.701:
	v_mov_b32_e32 v0, 0
	v_or_b32_e32 v1, 0x10000, v3
	v_cmp_eq_u32_sdwa vcc, v3, v0 src0_sel:WORD_0 src1_sel:DWORD
	s_nop 1
	v_cndmask_b32_e32 v0, v1, v3, vcc
; %bb.702:
	s_or_b64 exec, exec, s[0:1]
	global_store_short_d16_hi v[8:9], v0, off offset:96
	s_mov_b32 s0, 0x7f800000
	v_and_b32_e32 v0, 0x7f800000, v4
	v_cmp_ne_u32_e32 vcc, s0, v0
                                        ; implicit-def: $vgpr0
	s_and_saveexec_b64 s[0:1], vcc
	s_xor_b64 s[0:1], exec, s[0:1]
; %bb.703:
	v_bfe_u32 v0, v4, 16, 1
	s_movk_i32 s2, 0x7fff
	v_add3_u32 v0, v4, v0, s2
; %bb.704:
	s_andn2_saveexec_b64 s[0:1], s[0:1]
; %bb.705:
	v_mov_b32_e32 v0, 0
	v_or_b32_e32 v1, 0x10000, v4
	v_cmp_eq_u32_sdwa vcc, v4, v0 src0_sel:WORD_0 src1_sel:DWORD
	s_nop 1
	v_cndmask_b32_e32 v0, v1, v4, vcc
; %bb.706:
	s_or_b64 exec, exec, s[0:1]
	global_store_short_d16_hi v[8:9], v0, off offset:128
	s_mov_b32 s0, 0x7f800000
	v_and_b32_e32 v0, 0x7f800000, v5
	v_cmp_ne_u32_e32 vcc, s0, v0
                                        ; implicit-def: $vgpr6
	s_and_saveexec_b64 s[0:1], vcc
	s_xor_b64 s[0:1], exec, s[0:1]
; %bb.707:
	v_bfe_u32 v0, v5, 16, 1
	s_movk_i32 s2, 0x7fff
	v_add3_u32 v6, v5, v0, s2
                                        ; implicit-def: $vgpr0_vgpr1_vgpr2_vgpr3_vgpr4_vgpr5
; %bb.708:
	s_andn2_saveexec_b64 s[0:1], s[0:1]
; %bb.709:
	v_mov_b32_e32 v0, 0
	v_or_b32_e32 v1, 0x10000, v5
	v_cmp_eq_u32_sdwa vcc, v5, v0 src0_sel:WORD_0 src1_sel:DWORD
	s_nop 1
	v_cndmask_b32_e32 v6, v1, v5, vcc
; %bb.710:
	s_or_b64 exec, exec, s[0:1]
	global_store_short_d16_hi v[8:9], v6, off offset:160
.LBB356_711:
	s_endpgm
.LBB356_712:
	v_mov_b32_e32 v8, 0xd0
	v_lshl_add_u32 v8, v1, 2, v8
	ds_read_b32 v8, v8
	s_waitcnt lgkmcnt(0)
	v_add_f32_e32 v6, v6, v8
	s_or_b64 exec, exec, s[6:7]
	s_and_saveexec_b64 s[6:7], s[0:1]
	s_cbranch_execz .LBB356_678
.LBB356_713:
	v_mov_b32_e32 v8, 0xd0
	v_lshl_add_u32 v8, v1, 2, v8
	ds_read_b32 v8, v8 offset:64
	s_waitcnt lgkmcnt(0)
	v_add_f32_e32 v7, v7, v8
	s_or_b64 exec, exec, s[6:7]
	s_and_saveexec_b64 s[6:7], s[0:1]
	s_cbranch_execz .LBB356_679
.LBB356_714:
	v_mov_b32_e32 v8, 0xd0
	v_lshl_add_u32 v8, v1, 2, v8
	ds_read_b32 v8, v8 offset:128
	s_waitcnt lgkmcnt(0)
	v_add_f32_e32 v2, v2, v8
	s_or_b64 exec, exec, s[6:7]
	s_and_saveexec_b64 s[6:7], s[0:1]
	s_cbranch_execz .LBB356_680
.LBB356_715:
	v_mov_b32_e32 v8, 0xd0
	v_lshl_add_u32 v8, v1, 2, v8
	ds_read_b32 v8, v8 offset:192
	s_waitcnt lgkmcnt(0)
	v_add_f32_e32 v3, v3, v8
	s_or_b64 exec, exec, s[6:7]
	s_and_saveexec_b64 s[6:7], s[0:1]
	s_cbranch_execz .LBB356_681
.LBB356_716:
	v_mov_b32_e32 v8, 0xd0
	v_lshl_add_u32 v8, v1, 2, v8
	ds_read_b32 v8, v8 offset:256
	s_waitcnt lgkmcnt(0)
	v_add_f32_e32 v4, v4, v8
	s_or_b64 exec, exec, s[6:7]
	s_and_saveexec_b64 s[6:7], s[0:1]
	s_cbranch_execnz .LBB356_682
	s_branch .LBB356_683
	.section	.rodata,"a",@progbits
	.p2align	6, 0x0
	.amdhsa_kernel _ZN4vllm25paged_attention_v2_kernelI14__hip_bfloat16hLi96ELi32ELi128ELNS_18Fp8KVCacheDataTypeE1ELb1ELi512EEEvPfS3_PT_PKS4_PKT0_SA_ifPKiSC_iPKfiiiSE_SE_iiiii
		.amdhsa_group_segment_fixed_size 208
		.amdhsa_private_segment_fixed_size 0
		.amdhsa_kernarg_size 400
		.amdhsa_user_sgpr_count 2
		.amdhsa_user_sgpr_dispatch_ptr 0
		.amdhsa_user_sgpr_queue_ptr 0
		.amdhsa_user_sgpr_kernarg_segment_ptr 1
		.amdhsa_user_sgpr_dispatch_id 0
		.amdhsa_user_sgpr_kernarg_preload_length 0
		.amdhsa_user_sgpr_kernarg_preload_offset 0
		.amdhsa_user_sgpr_private_segment_size 0
		.amdhsa_uses_dynamic_stack 0
		.amdhsa_enable_private_segment 0
		.amdhsa_system_sgpr_workgroup_id_x 1
		.amdhsa_system_sgpr_workgroup_id_y 1
		.amdhsa_system_sgpr_workgroup_id_z 1
		.amdhsa_system_sgpr_workgroup_info 0
		.amdhsa_system_vgpr_workitem_id 0
		.amdhsa_next_free_vgpr 121
		.amdhsa_next_free_sgpr 59
		.amdhsa_accum_offset 124
		.amdhsa_reserve_vcc 1
		.amdhsa_float_round_mode_32 0
		.amdhsa_float_round_mode_16_64 0
		.amdhsa_float_denorm_mode_32 3
		.amdhsa_float_denorm_mode_16_64 3
		.amdhsa_dx10_clamp 1
		.amdhsa_ieee_mode 1
		.amdhsa_fp16_overflow 0
		.amdhsa_tg_split 0
		.amdhsa_exception_fp_ieee_invalid_op 0
		.amdhsa_exception_fp_denorm_src 0
		.amdhsa_exception_fp_ieee_div_zero 0
		.amdhsa_exception_fp_ieee_overflow 0
		.amdhsa_exception_fp_ieee_underflow 0
		.amdhsa_exception_fp_ieee_inexact 0
		.amdhsa_exception_int_div_zero 0
	.end_amdhsa_kernel
	.section	.text._ZN4vllm25paged_attention_v2_kernelI14__hip_bfloat16hLi96ELi32ELi128ELNS_18Fp8KVCacheDataTypeE1ELb1ELi512EEEvPfS3_PT_PKS4_PKT0_SA_ifPKiSC_iPKfiiiSE_SE_iiiii,"axG",@progbits,_ZN4vllm25paged_attention_v2_kernelI14__hip_bfloat16hLi96ELi32ELi128ELNS_18Fp8KVCacheDataTypeE1ELb1ELi512EEEvPfS3_PT_PKS4_PKT0_SA_ifPKiSC_iPKfiiiSE_SE_iiiii,comdat
.Lfunc_end356:
	.size	_ZN4vllm25paged_attention_v2_kernelI14__hip_bfloat16hLi96ELi32ELi128ELNS_18Fp8KVCacheDataTypeE1ELb1ELi512EEEvPfS3_PT_PKS4_PKT0_SA_ifPKiSC_iPKfiiiSE_SE_iiiii, .Lfunc_end356-_ZN4vllm25paged_attention_v2_kernelI14__hip_bfloat16hLi96ELi32ELi128ELNS_18Fp8KVCacheDataTypeE1ELb1ELi512EEEvPfS3_PT_PKS4_PKT0_SA_ifPKiSC_iPKfiiiSE_SE_iiiii
                                        ; -- End function
	.section	.AMDGPU.csdata,"",@progbits
; Kernel info:
; codeLenInByte = 21752
; NumSgprs: 65
; NumVgprs: 121
; NumAgprs: 0
; TotalNumVgprs: 121
; ScratchSize: 0
; MemoryBound: 0
; FloatMode: 240
; IeeeMode: 1
; LDSByteSize: 208 bytes/workgroup (compile time only)
; SGPRBlocks: 8
; VGPRBlocks: 15
; NumSGPRsForWavesPerEU: 65
; NumVGPRsForWavesPerEU: 121
; AccumOffset: 124
; Occupancy: 4
; WaveLimiterHint : 1
; COMPUTE_PGM_RSRC2:SCRATCH_EN: 0
; COMPUTE_PGM_RSRC2:USER_SGPR: 2
; COMPUTE_PGM_RSRC2:TRAP_HANDLER: 0
; COMPUTE_PGM_RSRC2:TGID_X_EN: 1
; COMPUTE_PGM_RSRC2:TGID_Y_EN: 1
; COMPUTE_PGM_RSRC2:TGID_Z_EN: 1
; COMPUTE_PGM_RSRC2:TIDIG_COMP_CNT: 0
; COMPUTE_PGM_RSRC3_GFX90A:ACCUM_OFFSET: 30
; COMPUTE_PGM_RSRC3_GFX90A:TG_SPLIT: 0
	.text
	.p2align	2                               ; -- Begin function _ZN4vllm22paged_attention_kernelI14__hip_bfloat16hLi112ELi32ELi128ELNS_18Fp8KVCacheDataTypeE1ELb1ELi512EEEvPfS3_PT_PKS4_PKT0_SA_ifPKiSC_iPKfiiiSE_SE_iiiii
	.type	_ZN4vllm22paged_attention_kernelI14__hip_bfloat16hLi112ELi32ELi128ELNS_18Fp8KVCacheDataTypeE1ELb1ELi512EEEvPfS3_PT_PKS4_PKT0_SA_ifPKiSC_iPKfiiiSE_SE_iiiii,@function
_ZN4vllm22paged_attention_kernelI14__hip_bfloat16hLi112ELi32ELi128ELNS_18Fp8KVCacheDataTypeE1ELb1ELi512EEEvPfS3_PT_PKS4_PKT0_SA_ifPKiSC_iPKfiiiSE_SE_iiiii: ; @_ZN4vllm22paged_attention_kernelI14__hip_bfloat16hLi112ELi32ELi128ELNS_18Fp8KVCacheDataTypeE1ELb1ELi512EEEvPfS3_PT_PKS4_PKT0_SA_ifPKiSC_iPKfiiiSE_SE_iiiii
; %bb.0:
	s_waitcnt vmcnt(0) expcnt(0) lgkmcnt(0)
	s_or_saveexec_b64 s[0:1], -1
	scratch_store_dword off, v63, s32 offset:352 ; 4-byte Folded Spill
	s_mov_b64 exec, s[0:1]
	scratch_store_dword off, v40, s32 offset:192 ; 4-byte Folded Spill
	scratch_store_dword off, v41, s32 offset:188 ; 4-byte Folded Spill
	;; [unrolled: 1-line block ×47, first 2 shown]
	v_writelane_b32 v63, s34, 0
	v_writelane_b32 v63, s35, 1
	;; [unrolled: 1-line block ×3, first 2 shown]
	s_nop 1
	v_writelane_b32 v63, s31, 3
	s_mov_b32 s16, s13
	s_ashr_i32 s17, s13, 31
	scratch_store_dwordx2 off, v[26:27], s32 offset:232 ; 8-byte Folded Spill
	scratch_store_dwordx2 off, v[22:23], s32 offset:216 ; 8-byte Folded Spill
	scratch_store_dword off, v13, s32 offset:256 ; 4-byte Folded Spill
	v_mov_b32_e32 v35, v3
	v_mov_b32_e32 v34, v2
	v_lshl_add_u64 v[2:3], s[16:17], 2, v[16:17]
	v_mov_b32_e32 v27, v1
	v_mov_b32_e32 v26, v0
	scratch_load_dword v0, off, s32 offset:4
	flat_load_dword v1, v[2:3]
	s_nop 0
	scratch_load_dword v2, off, s32
	v_accvgpr_write_b32 a35, v25
	s_mov_b32 s20, s15
	s_lshl_b32 s15, s14, 9
	v_accvgpr_write_b32 a34, v24
	v_mov_b32_e32 v33, v20
	v_mov_b32_e32 v32, v19
	;; [unrolled: 1-line block ×4, first 2 shown]
	s_waitcnt vmcnt(0) lgkmcnt(0)
	v_accvgpr_write_b32 a3, v1
	v_cmp_lt_i32_e32 vcc, s15, v1
	s_and_saveexec_b64 s[10:11], vcc
	s_cbranch_execz .LBB357_813
; %bb.1:
	v_sub_u32_e32 v1, 0, v12
	v_max_i32_e32 v1, v12, v1
	v_cvt_f32_u32_e32 v3, v1
	scratch_store_dwordx2 off, v[4:5], s32 offset:268 ; 8-byte Folded Spill
	s_load_dword s0, s[8:9], 0x10
	s_load_dword s2, s[8:9], 0x0
	v_sub_u32_e32 v5, 0, v1
	v_rcp_iflag_f32_e32 v3, v3
	s_waitcnt lgkmcnt(0)
	s_lshr_b32 s0, s0, 16
	s_cmp_lg_u32 s0, 0
	v_mul_f32_e32 v3, 0x4f7ffffe, v3
	v_cvt_u32_f32_e32 v3, v3
	s_cselect_b64 s[0:1], -1, 0
	s_cmp_lg_u64 s[0:1], 0
	s_addc_u32 s17, s2, 0
	v_mul_lo_u32 v5, v5, v3
	v_mul_hi_u32 v5, v3, v5
	s_abs_i32 s0, s17
	v_add_u32_e32 v3, v3, v5
	v_mul_hi_u32 v3, s0, v3
	v_mul_lo_u32 v5, v3, v1
	v_sub_u32_e32 v5, s0, v5
	v_add_u32_e32 v10, 1, v3
	v_cmp_ge_u32_e32 vcc, v5, v1
	v_xor_b32_e32 v4, s17, v12
	v_ashrrev_i32_e32 v4, 31, v4
	v_cndmask_b32_e32 v3, v3, v10, vcc
	v_sub_u32_e32 v10, v5, v1
	v_cndmask_b32_e32 v5, v5, v10, vcc
	v_add_u32_e32 v10, 1, v3
	v_cmp_ge_u32_e32 vcc, v5, v1
	s_abs_i32 s2, s12
	s_nop 0
	v_cndmask_b32_e32 v1, v3, v10, vcc
	v_xor_b32_e32 v1, v1, v4
	v_sub_u32_e32 v1, v1, v4
	v_sub_u32_e32 v3, 0, v1
	v_max_i32_e32 v3, v1, v3
	v_cvt_f32_u32_e32 v4, v3
	v_sub_u32_e32 v5, 0, v3
	v_cmp_ne_u64_e32 vcc, 0, v[32:33]
	v_rcp_iflag_f32_e32 v4, v4
	s_nop 0
	v_mul_f32_e32 v4, 0x4f7ffffe, v4
	v_cvt_u32_f32_e32 v4, v4
	v_mul_lo_u32 v5, v5, v4
	v_mul_hi_u32 v5, v4, v5
	v_add_u32_e32 v4, v4, v5
	v_mad_u64_u32 v[16:17], s[0:1], s2, v4, 0
	v_mov_b32_e32 v4, 0
	scratch_store_dword off, v4, s32 offset:252 ; 4-byte Folded Spill
	s_and_saveexec_b64 s[0:1], vcc
	s_cbranch_execz .LBB357_3
; %bb.2:
	s_ashr_i32 s13, s12, 31
	v_lshl_add_u64 v[4:5], s[12:13], 2, v[32:33]
	flat_load_dword v4, v[4:5]
	s_waitcnt vmcnt(0) lgkmcnt(0)
	scratch_store_dword off, v4, s32 offset:252 ; 4-byte Folded Spill
.LBB357_3:
	s_or_b64 exec, exec, s[0:1]
	v_and_b32_e32 v5, 0x3ff, v31
	s_ashr_i32 s3, s12, 31
	v_ashrrev_i32_e32 v4, 31, v1
	v_and_b32_e32 v1, 1, v5
	s_movk_i32 s4, 0x70
	s_mul_i32 s18, s12, 0x70
	v_cmp_gt_u32_e32 vcc, 28, v5
	v_lshlrev_b32_e32 v32, 3, v5
	scratch_store_dword off, v5, s32 offset:228 ; 4-byte Folded Spill
	s_and_saveexec_b64 s[0:1], vcc
	s_cbranch_execz .LBB357_5
; %bb.4:
	v_mul_lo_u32 v10, s16, v21
	v_ashrrev_i32_e32 v11, 31, v10
	v_lshl_add_u64 v[6:7], v[10:11], 1, v[6:7]
	s_ashr_i32 s19, s18, 31
	v_lshl_add_u64 v[6:7], s[18:19], 1, v[6:7]
	v_mov_b32_e32 v33, 0
	v_lshl_add_u64 v[6:7], v[6:7], 0, v[32:33]
	flat_load_dwordx2 v[6:7], v[6:7]
	s_nop 0
	scratch_load_dword v5, off, s32 offset:228 ; 4-byte Folded Reload
	s_waitcnt vmcnt(0)
	v_lshlrev_b32_e32 v5, 2, v5
	v_and_b32_e32 v5, 0xff8, v5
	v_mad_u32_u24 v5, v1, s4, v5
	s_waitcnt lgkmcnt(0)
	ds_write_b64 v5, v[6:7]
.LBB357_5:
	s_or_b64 exec, exec, s[0:1]
	v_mul_lo_u32 v5, v17, v3
	v_sub_u32_e32 v5, s2, v5
	v_add_u32_e32 v6, 1, v17
	v_cmp_ge_u32_e32 vcc, v5, v3
	v_sub_u32_e32 v7, v5, v3
	v_xor_b32_e32 v4, s3, v4
	v_cndmask_b32_e32 v6, v17, v6, vcc
	v_cndmask_b32_e32 v5, v5, v7, vcc
	v_add_u32_e32 v7, 1, v6
	v_cmp_ge_u32_e32 vcc, v5, v3
	v_sub_u32_e32 v5, 0, v2
	s_waitcnt lgkmcnt(0)
	v_cndmask_b32_e32 v3, v6, v7, vcc
	v_max_i32_e32 v7, v2, v5
	v_cvt_f32_u32_e32 v5, v7
	v_xor_b32_e32 v3, v3, v4
	v_sub_u32_e32 v6, v3, v4
	s_barrier
	v_rcp_iflag_f32_e32 v3, v5
	v_accvgpr_read_b32 v4, a3
	scratch_store_dword off, v7, s32 offset:196 ; 4-byte Folded Spill
	v_mul_f32_e32 v3, 0x4f7ffffe, v3
	v_cvt_u32_f32_e32 v5, v3
	v_sub_u32_e32 v7, 0, v7
	v_add_u32_e32 v4, -1, v4
	v_sub_u32_e32 v3, 0, v4
	v_mul_lo_u32 v7, v7, v5
	v_mul_hi_u32 v7, v5, v7
	v_max_i32_e32 v3, v4, v3
	v_add_u32_e32 v5, v5, v7
	v_mad_u64_u32 v[16:17], s[0:1], v3, v5, 0
	v_cmp_gt_i32_e32 vcc, 0, v0
	scratch_store_dword off, v5, s32 offset:208 ; 4-byte Folded Spill
                                        ; implicit-def: $agpr10
	s_and_saveexec_b64 s[0:1], vcc
	s_xor_b64 s[0:1], exec, s[0:1]
; %bb.6:
	v_mad_u64_u32 v[10:11], s[2:3], v28, v12, v[6:7]
	v_mul_lo_u32 v0, v10, v0
	v_sub_u32_e32 v0, 1, v0
	v_accvgpr_write_b32 a10, v0
                                        ; implicit-def: $vgpr28
                                        ; implicit-def: $vgpr0
; %bb.7:
	s_or_saveexec_b64 s[0:1], s[0:1]
	v_ashrrev_i32_e32 v4, 31, v4
	v_ashrrev_i32_e32 v2, 31, v2
	scratch_store_dword off, v2, s32 offset:200 ; 4-byte Folded Spill
	s_xor_b64 exec, exec, s[0:1]
; %bb.8:
	v_mul_lo_u32 v2, s17, v28
	v_add_u32_e32 v2, s12, v2
	v_mad_u64_u32 v[10:11], s[2:3], v2, v0, 1
	v_accvgpr_write_b32 a10, v10
; %bb.9:
	s_or_b64 exec, exec, s[0:1]
	s_load_dword s28, s[8:9], 0x14
	s_load_dword s13, s[8:9], 0x8
	scratch_load_dword v0, off, s32 offset:200 ; 4-byte Folded Reload
	scratch_load_dword v5, off, s32 offset:196 ; 4-byte Folded Reload
	s_lshl_b32 s19, s14, 4
	s_add_i32 s0, s19, 16
	v_mul_lo_u32 v36, s16, v18
	v_mul_lo_u32 v38, v6, v23
	v_ashrrev_i32_e32 v37, 31, v36
	v_mov_b32_e32 v13, 0xff7fffff
	v_ashrrev_i32_e32 v39, 31, v38
	v_sub_u32_e32 v23, 0, v30
	s_waitcnt vmcnt(1)
	v_xor_b32_e32 v0, v4, v0
	s_waitcnt vmcnt(0)
	v_mul_lo_u32 v2, v17, v5
	v_sub_u32_e32 v2, v3, v2
	v_add_u32_e32 v3, 1, v17
	v_cmp_ge_u32_e32 vcc, v2, v5
	v_sub_u32_e32 v4, v2, v5
	s_nop 0
	v_cndmask_b32_e32 v3, v17, v3, vcc
	v_cndmask_b32_e32 v2, v2, v4, vcc
	v_add_u32_e32 v4, 1, v3
	v_cmp_ge_u32_e32 vcc, v2, v5
	s_nop 1
	v_cndmask_b32_e32 v2, v3, v4, vcc
	v_xor_b32_e32 v2, v2, v0
	v_sub_u32_e32 v0, v2, v0
	v_accvgpr_read_b32 v2, a3
	v_add_u32_e32 v2, 31, v2
	v_ashrrev_i32_e32 v3, 31, v2
	v_lshrrev_b32_e32 v3, 27, v3
	v_add_u32_e32 v2, v2, v3
	v_ashrrev_i32_e32 v31, 5, v2
	scratch_load_dword v2, off, s32 offset:228 ; 4-byte Folded Reload
	v_min_i32_e32 v3, s0, v31
	scratch_store_dword off, v3, s32 offset:204 ; 4-byte Folded Spill
	v_sub_u32_e32 v0, v0, v29
	scratch_store_dword off, v0, s32 offset:212 ; 4-byte Folded Spill
	s_waitcnt vmcnt(2)
	v_lshrrev_b32_e32 v28, 6, v2
	v_or_b32_e32 v2, s19, v28
	v_cmp_lt_i32_e64 s[0:1], v2, v3
	v_ashrrev_i32_e32 v3, 31, v2
	v_accvgpr_write_b32 a13, v3
	v_lshl_add_u32 v0, v28, 5, s15
	v_accvgpr_write_b32 a12, v2
	scratch_store_dword off, v0, s32 offset:276 ; 4-byte Folded Spill
	v_mbcnt_lo_u32_b32 v0, -1, 0
	s_and_saveexec_b64 s[8:9], s[0:1]
	s_cbranch_execz .LBB357_243
; %bb.10:
	scratch_store_dword off, v31, s32 offset:280 ; 4-byte Folded Spill
	scratch_store_dwordx2 off, v[32:33], s32 offset:308 ; 8-byte Folded Spill
	scratch_store_dwordx2 off, v[34:35], s32 offset:316 ; 8-byte Folded Spill
	;; [unrolled: 1-line block ×4, first 2 shown]
	v_mov_b32_e32 v4, v0
	scratch_load_dword v0, off, s32 offset:228 ; 4-byte Folded Reload
	v_lshl_add_u64 v[2:3], v[8:9], 0, v[38:39]
	v_mov_b32_e32 v47, 0
	scratch_store_dwordx2 off, v[38:39], s32 offset:284 ; 8-byte Folded Spill
	v_cmp_eq_u32_e32 vcc, 0, v1
	v_mul_u32_u24_e32 v12, 0x70, v1
	s_ashr_i32 s21, s20, 31
	s_lshl_b64 s[4:5], s[20:21], 2
	s_getpc_b64 s[6:7]
	s_add_u32 s6, s6, llvm.amdgcn.dynlds.offset.table@rel32@lo+4
	s_addc_u32 s7, s7, llvm.amdgcn.dynlds.offset.table@rel32@hi+12
	s_add_u32 s22, s4, s6
	s_addc_u32 s23, s5, s7
	v_lshl_add_u32 v21, v28, 5, s15
	s_mov_b64 s[24:25], 0
	s_mov_b32 s29, 0x7f800000
	s_movk_i32 s30, 0x7fff
	v_mov_b32_e32 v13, 0xff7fffff
	s_waitcnt vmcnt(1)
	v_bfe_u32 v5, v0, 1, 5
	v_lshlrev_b32_e32 v46, 4, v5
	v_lshl_add_u64 v[2:3], v[2:3], 0, v[46:47]
	scratch_store_dwordx2 off, v[2:3], s32 offset:244 ; 8-byte Folded Spill
	scratch_store_dword off, v30, s32 offset:340 ; 4-byte Folded Spill
	scratch_store_dword off, v23, s32 offset:292 ; 4-byte Folded Spill
	v_lshlrev_b32_e32 v46, 2, v1
	scratch_load_dword v1, off, s32 offset:252 ; 4-byte Folded Reload
	v_max_i32_e32 v2, v30, v23
	v_cvt_f32_u32_e32 v0, v2
	scratch_store_dword off, v2, s32 offset:224 ; 4-byte Folded Spill
	s_load_dword s21, s[22:23], 0x0
	scratch_store_dwordx2 off, v[36:37], s32 offset:296 ; 8-byte Folded Spill
	v_rcp_iflag_f32_e32 v0, v0
	scratch_store_dwordx2 off, v[14:15], s32 offset:344 ; 8-byte Folded Spill
	scratch_store_dword off, v28, s32 offset:304 ; 4-byte Folded Spill
	scratch_store_dword off, v5, s32 offset:260 ; 4-byte Folded Spill
	v_mul_f32_e32 v0, 0x4f7ffffe, v0
	v_cvt_u32_f32_e32 v0, v0
	s_waitcnt vmcnt(5)
	v_cmp_neq_f32_e64 s[2:3], 0, v1
	v_sub_u32_e32 v1, 0, v2
	v_mul_lo_u32 v1, v1, v0
	v_mul_hi_u32 v1, v0, v1
	v_accvgpr_read_b32 v2, a12
	v_add_u32_e32 v0, v0, v1
	v_accvgpr_read_b32 v3, a13
	v_accvgpr_write_b32 a42, v0
	v_lshlrev_b64 v[0:1], 2, v[2:3]
	v_lshl_add_u64 v[0:1], v[36:37], 2, v[0:1]
	v_lshl_add_u64 v[58:59], v[14:15], 0, v[0:1]
	v_lshlrev_b32_e32 v0, 2, v5
	v_lshl_or_b32 v27, v28, 7, v0
	v_accvgpr_read_b32 v0, a3
	v_sub_u32_e32 v0, v5, v0
	v_add_u32_e32 v0, 1, v0
	scratch_store_dword off, v0, s32 offset:264 ; 4-byte Folded Spill
	v_mbcnt_hi_u32_b32 v0, -1, v4
	v_mov_b32_e32 v31, v2
	scratch_store_dword off, v0, s32 offset:240 ; 4-byte Folded Spill
	s_branch .LBB357_13
.LBB357_11:                             ;   in Loop: Header=BB357_13 Depth=1
	s_or_b64 exec, exec, s[26:27]
.LBB357_12:                             ;   in Loop: Header=BB357_13 Depth=1
	s_or_b64 exec, exec, s[6:7]
	scratch_load_dword v0, off, s32 offset:204 ; 4-byte Folded Reload
	v_add_u32_e32 v31, 2, v31
	v_lshl_add_u64 v[58:59], v[58:59], 0, 8
	v_add_u32_e32 v21, 64, v21
	v_add_u32_e32 v27, 0x100, v27
	s_waitcnt vmcnt(0)
	v_cmp_ge_i32_e64 s[4:5], v31, v0
	s_or_b64 s[24:25], s[4:5], s[24:25]
	s_andn2_b64 exec, exec, s[24:25]
	s_cbranch_execz .LBB357_242
.LBB357_13:                             ; =>This Inner Loop Header: Depth=1
	s_waitcnt lgkmcnt(0)
	scratch_load_dword v1, off, s32 offset:200 ; 4-byte Folded Reload
	scratch_load_dword v2, off, s32 offset:208 ; 4-byte Folded Reload
	;; [unrolled: 1-line block ×3, first 2 shown]
	v_ashrrev_i32_e32 v0, 31, v21
	s_waitcnt vmcnt(2)
	v_xor_b32_e32 v0, v0, v1
	v_sub_u32_e32 v1, 0, v21
	v_max_i32_e32 v1, v21, v1
	s_waitcnt vmcnt(1)
	v_mul_hi_u32 v2, v1, v2
	s_waitcnt vmcnt(0)
	v_mul_lo_u32 v3, v2, v4
	v_sub_u32_e32 v1, v1, v3
	v_add_u32_e32 v3, 1, v2
	v_cmp_ge_u32_e64 s[4:5], v1, v4
	s_nop 1
	v_cndmask_b32_e64 v2, v2, v3, s[4:5]
	v_sub_u32_e32 v3, v1, v4
	v_cndmask_b32_e64 v1, v1, v3, s[4:5]
	v_add_u32_e32 v3, 1, v2
	v_cmp_ge_u32_e64 s[4:5], v1, v4
	v_accvgpr_read_b32 v4, a42
	s_nop 0
	v_cndmask_b32_e64 v1, v2, v3, s[4:5]
	v_xor_b32_e32 v1, v1, v0
	v_sub_u32_e32 v0, v1, v0
	v_accvgpr_read_b32 v2, a10
	v_add_u32_e32 v1, v0, v2
	v_sub_u32_e32 v3, 0, v1
	v_ashrrev_i32_e32 v2, 31, v1
	v_max_i32_e32 v1, v1, v3
	v_mul_hi_u32 v3, v1, v4
	scratch_load_dword v4, off, s32 offset:224 ; 4-byte Folded Reload
	s_waitcnt vmcnt(0)
	v_mul_lo_u32 v3, v3, v4
	v_sub_u32_e32 v1, v1, v3
	v_sub_u32_e32 v3, v1, v4
	v_cmp_ge_u32_e64 s[4:5], v1, v4
	s_nop 1
	v_cndmask_b32_e64 v1, v1, v3, s[4:5]
	v_sub_u32_e32 v3, v1, v4
	v_cmp_ge_u32_e64 s[4:5], v1, v4
	s_nop 1
	v_cndmask_b32_e64 v1, v1, v3, s[4:5]
	v_xor_b32_e32 v1, v1, v2
	v_sub_u32_e32 v1, v1, v2
	v_cmp_ne_u32_e64 s[4:5], 0, v1
	scratch_load_dword v1, off, s32 offset:212 ; 4-byte Folded Reload
	s_waitcnt vmcnt(0)
	v_cmp_le_i32_e64 s[6:7], v0, v1
	s_and_b64 s[4:5], s[4:5], s[6:7]
	s_and_b64 s[26:27], vcc, s[4:5]
	s_and_saveexec_b64 s[6:7], s[26:27]
	s_cbranch_execz .LBB357_15
; %bb.14:                               ;   in Loop: Header=BB357_13 Depth=1
	s_waitcnt lgkmcnt(0)
	v_add_u32_e32 v0, s21, v27
	v_mov_b32_e32 v1, 0xff7fffff
	ds_write_b32 v0, v1
.LBB357_15:                             ;   in Loop: Header=BB357_13 Depth=1
	s_or_b64 exec, exec, s[6:7]
	s_xor_b64 s[4:5], s[4:5], -1
	s_and_saveexec_b64 s[6:7], s[4:5]
	s_cbranch_execz .LBB357_12
; %bb.16:                               ;   in Loop: Header=BB357_13 Depth=1
	flat_load_dword v0, v[58:59]
	scratch_load_dwordx2 v[2:3], off, s32 offset:216 ; 8-byte Folded Reload
	scratch_load_dwordx2 v[4:5], off, s32 offset:244 ; 8-byte Folded Reload
                                        ; implicit-def: $agpr47
	s_waitcnt vmcnt(0) lgkmcnt(0)
	v_mad_i64_i32 v[0:1], s[4:5], v0, v2, v[4:5]
	v_lshl_add_u64 v[60:61], v[0:1], 0, v[46:47]
	flat_load_dword v0, v[60:61]
	v_accvgpr_read_b32 v2, a34
	v_accvgpr_read_b32 v3, a35
	flat_load_dword v11, v[2:3]
	ds_read_b128 v[52:55], v12
	ds_read_b128 v[48:51], v12 offset:16
	ds_read_b128 v[36:39], v12 offset:32
	;; [unrolled: 1-line block ×5, first 2 shown]
	ds_read_b32 a45, v12 offset:96
	ds_read_u16 a46, v12 offset:100
	s_waitcnt vmcnt(0) lgkmcnt(0)
	v_and_b32_e32 v1, 0xff, v0
	v_cvt_f32_fp8_sdwa v1, v1 src0_sel:BYTE_0
	s_nop 0
	v_mul_f32_e32 v1, v11, v1
	v_and_b32_e32 v2, 0x7f800000, v1
	v_cmp_ne_u32_e64 s[4:5], s29, v2
	s_and_saveexec_b64 s[26:27], s[4:5]
	s_xor_b64 s[4:5], exec, s[26:27]
; %bb.17:                               ;   in Loop: Header=BB357_13 Depth=1
	v_bfe_u32 v2, v1, 16, 1
	v_add3_u32 v1, v1, v2, s30
	v_accvgpr_write_b32 a47, v1
                                        ; implicit-def: $vgpr1
; %bb.18:                               ;   in Loop: Header=BB357_13 Depth=1
	s_andn2_saveexec_b64 s[26:27], s[4:5]
; %bb.19:                               ;   in Loop: Header=BB357_13 Depth=1
	v_or_b32_e32 v2, 0x10000, v1
	v_cmp_eq_u32_sdwa s[4:5], v1, v47 src0_sel:WORD_0 src1_sel:DWORD
	s_nop 1
	v_cndmask_b32_e64 v1, v2, v1, s[4:5]
	v_accvgpr_write_b32 a47, v1
; %bb.20:                               ;   in Loop: Header=BB357_13 Depth=1
	s_or_b64 exec, exec, s[26:27]
	v_bfe_u32 v1, v0, 8, 8
	v_cvt_f32_fp8_sdwa v1, v1 src0_sel:BYTE_0
                                        ; implicit-def: $agpr52
	s_nop 0
	v_mul_f32_e32 v1, v11, v1
	v_and_b32_e32 v2, 0x7f800000, v1
	v_cmp_ne_u32_e64 s[4:5], s29, v2
	s_and_saveexec_b64 s[26:27], s[4:5]
	s_xor_b64 s[4:5], exec, s[26:27]
; %bb.21:                               ;   in Loop: Header=BB357_13 Depth=1
	v_bfe_u32 v2, v1, 16, 1
	v_add3_u32 v1, v1, v2, s30
	v_accvgpr_write_b32 a52, v1
                                        ; implicit-def: $vgpr1
; %bb.22:                               ;   in Loop: Header=BB357_13 Depth=1
	s_andn2_saveexec_b64 s[26:27], s[4:5]
; %bb.23:                               ;   in Loop: Header=BB357_13 Depth=1
	v_or_b32_e32 v2, 0x10000, v1
	v_cmp_eq_u32_sdwa s[4:5], v1, v47 src0_sel:WORD_0 src1_sel:DWORD
	s_nop 1
	v_cndmask_b32_e64 v1, v2, v1, s[4:5]
	v_accvgpr_write_b32 a52, v1
; %bb.24:                               ;   in Loop: Header=BB357_13 Depth=1
	s_or_b64 exec, exec, s[26:27]
	v_bfe_u32 v1, v0, 16, 8
	v_cvt_f32_fp8_sdwa v1, v1 src0_sel:BYTE_0
                                        ; implicit-def: $agpr53
	s_nop 0
	v_mul_f32_e32 v1, v11, v1
	v_and_b32_e32 v2, 0x7f800000, v1
	v_cmp_ne_u32_e64 s[4:5], s29, v2
	s_and_saveexec_b64 s[26:27], s[4:5]
	s_xor_b64 s[4:5], exec, s[26:27]
; %bb.25:                               ;   in Loop: Header=BB357_13 Depth=1
	v_bfe_u32 v2, v1, 16, 1
	v_add3_u32 v1, v1, v2, s30
	v_accvgpr_write_b32 a53, v1
                                        ; implicit-def: $vgpr1
; %bb.26:                               ;   in Loop: Header=BB357_13 Depth=1
	s_andn2_saveexec_b64 s[26:27], s[4:5]
; %bb.27:                               ;   in Loop: Header=BB357_13 Depth=1
	v_or_b32_e32 v2, 0x10000, v1
	v_cmp_eq_u32_sdwa s[4:5], v1, v47 src0_sel:WORD_0 src1_sel:DWORD
	s_nop 1
	v_cndmask_b32_e64 v1, v2, v1, s[4:5]
	v_accvgpr_write_b32 a53, v1
; %bb.28:                               ;   in Loop: Header=BB357_13 Depth=1
	s_or_b64 exec, exec, s[26:27]
	v_lshrrev_b32_e32 v0, 24, v0
	v_cvt_f32_fp8_sdwa v0, v0 src0_sel:BYTE_0
                                        ; implicit-def: $agpr54
	s_nop 0
	v_mul_f32_e32 v0, v11, v0
	v_and_b32_e32 v1, 0x7f800000, v0
	v_cmp_ne_u32_e64 s[4:5], s29, v1
	s_and_saveexec_b64 s[26:27], s[4:5]
	s_xor_b64 s[4:5], exec, s[26:27]
; %bb.29:                               ;   in Loop: Header=BB357_13 Depth=1
	v_bfe_u32 v1, v0, 16, 1
	v_add3_u32 v0, v0, v1, s30
	v_accvgpr_write_b32 a54, v0
                                        ; implicit-def: $vgpr0
; %bb.30:                               ;   in Loop: Header=BB357_13 Depth=1
	s_andn2_saveexec_b64 s[26:27], s[4:5]
; %bb.31:                               ;   in Loop: Header=BB357_13 Depth=1
	v_or_b32_e32 v1, 0x10000, v0
	v_cmp_eq_u32_sdwa s[4:5], v0, v47 src0_sel:WORD_0 src1_sel:DWORD
	s_nop 1
	v_cndmask_b32_e64 v0, v1, v0, s[4:5]
	v_accvgpr_write_b32 a54, v0
; %bb.32:                               ;   in Loop: Header=BB357_13 Depth=1
	s_or_b64 exec, exec, s[26:27]
	flat_load_dword v0, v[60:61] offset:8
                                        ; implicit-def: $agpr55
	s_waitcnt vmcnt(0) lgkmcnt(0)
	v_and_b32_e32 v1, 0xff, v0
	v_cvt_f32_fp8_sdwa v1, v1 src0_sel:BYTE_0
	s_nop 0
	v_mul_f32_e32 v1, v11, v1
	v_and_b32_e32 v2, 0x7f800000, v1
	v_cmp_ne_u32_e64 s[4:5], s29, v2
	s_and_saveexec_b64 s[26:27], s[4:5]
	s_xor_b64 s[4:5], exec, s[26:27]
; %bb.33:                               ;   in Loop: Header=BB357_13 Depth=1
	v_bfe_u32 v2, v1, 16, 1
	v_add3_u32 v1, v1, v2, s30
	v_accvgpr_write_b32 a55, v1
                                        ; implicit-def: $vgpr1
; %bb.34:                               ;   in Loop: Header=BB357_13 Depth=1
	s_andn2_saveexec_b64 s[26:27], s[4:5]
; %bb.35:                               ;   in Loop: Header=BB357_13 Depth=1
	v_or_b32_e32 v2, 0x10000, v1
	v_cmp_eq_u32_sdwa s[4:5], v1, v47 src0_sel:WORD_0 src1_sel:DWORD
	s_nop 1
	v_cndmask_b32_e64 v1, v2, v1, s[4:5]
	v_accvgpr_write_b32 a55, v1
; %bb.36:                               ;   in Loop: Header=BB357_13 Depth=1
	s_or_b64 exec, exec, s[26:27]
	v_bfe_u32 v1, v0, 8, 8
	v_cvt_f32_fp8_sdwa v1, v1 src0_sel:BYTE_0
                                        ; implicit-def: $agpr56
	s_nop 0
	v_mul_f32_e32 v1, v11, v1
	v_and_b32_e32 v2, 0x7f800000, v1
	v_cmp_ne_u32_e64 s[4:5], s29, v2
	s_and_saveexec_b64 s[26:27], s[4:5]
	s_xor_b64 s[4:5], exec, s[26:27]
; %bb.37:                               ;   in Loop: Header=BB357_13 Depth=1
	v_bfe_u32 v2, v1, 16, 1
	v_add3_u32 v1, v1, v2, s30
	v_accvgpr_write_b32 a56, v1
                                        ; implicit-def: $vgpr1
; %bb.38:                               ;   in Loop: Header=BB357_13 Depth=1
	s_andn2_saveexec_b64 s[26:27], s[4:5]
; %bb.39:                               ;   in Loop: Header=BB357_13 Depth=1
	v_or_b32_e32 v2, 0x10000, v1
	v_cmp_eq_u32_sdwa s[4:5], v1, v47 src0_sel:WORD_0 src1_sel:DWORD
	s_nop 1
	v_cndmask_b32_e64 v1, v2, v1, s[4:5]
	v_accvgpr_write_b32 a56, v1
; %bb.40:                               ;   in Loop: Header=BB357_13 Depth=1
	s_or_b64 exec, exec, s[26:27]
	v_bfe_u32 v1, v0, 16, 8
	v_cvt_f32_fp8_sdwa v1, v1 src0_sel:BYTE_0
                                        ; implicit-def: $agpr57
	s_nop 0
	v_mul_f32_e32 v1, v11, v1
	v_and_b32_e32 v2, 0x7f800000, v1
	v_cmp_ne_u32_e64 s[4:5], s29, v2
	s_and_saveexec_b64 s[26:27], s[4:5]
	s_xor_b64 s[4:5], exec, s[26:27]
; %bb.41:                               ;   in Loop: Header=BB357_13 Depth=1
	v_bfe_u32 v2, v1, 16, 1
	v_add3_u32 v1, v1, v2, s30
	v_accvgpr_write_b32 a57, v1
                                        ; implicit-def: $vgpr1
; %bb.42:                               ;   in Loop: Header=BB357_13 Depth=1
	s_andn2_saveexec_b64 s[26:27], s[4:5]
; %bb.43:                               ;   in Loop: Header=BB357_13 Depth=1
	v_or_b32_e32 v2, 0x10000, v1
	v_cmp_eq_u32_sdwa s[4:5], v1, v47 src0_sel:WORD_0 src1_sel:DWORD
	s_nop 1
	v_cndmask_b32_e64 v1, v2, v1, s[4:5]
	v_accvgpr_write_b32 a57, v1
; %bb.44:                               ;   in Loop: Header=BB357_13 Depth=1
	s_or_b64 exec, exec, s[26:27]
	v_lshrrev_b32_e32 v0, 24, v0
	v_cvt_f32_fp8_sdwa v0, v0 src0_sel:BYTE_0
                                        ; implicit-def: $agpr58
	s_nop 0
	v_mul_f32_e32 v0, v11, v0
	v_and_b32_e32 v1, 0x7f800000, v0
	v_cmp_ne_u32_e64 s[4:5], s29, v1
	s_and_saveexec_b64 s[26:27], s[4:5]
	s_xor_b64 s[4:5], exec, s[26:27]
; %bb.45:                               ;   in Loop: Header=BB357_13 Depth=1
	v_bfe_u32 v1, v0, 16, 1
	v_add3_u32 v0, v0, v1, s30
	v_accvgpr_write_b32 a58, v0
                                        ; implicit-def: $vgpr0
; %bb.46:                               ;   in Loop: Header=BB357_13 Depth=1
	s_andn2_saveexec_b64 s[26:27], s[4:5]
; %bb.47:                               ;   in Loop: Header=BB357_13 Depth=1
	v_or_b32_e32 v1, 0x10000, v0
	v_cmp_eq_u32_sdwa s[4:5], v0, v47 src0_sel:WORD_0 src1_sel:DWORD
	s_nop 1
	v_cndmask_b32_e64 v0, v1, v0, s[4:5]
	v_accvgpr_write_b32 a58, v0
; %bb.48:                               ;   in Loop: Header=BB357_13 Depth=1
	s_or_b64 exec, exec, s[26:27]
	flat_load_dword v0, v[60:61] offset:512
                                        ; implicit-def: $agpr59
	s_waitcnt vmcnt(0) lgkmcnt(0)
	v_and_b32_e32 v1, 0xff, v0
	v_cvt_f32_fp8_sdwa v1, v1 src0_sel:BYTE_0
	s_nop 0
	v_mul_f32_e32 v1, v11, v1
	v_and_b32_e32 v2, 0x7f800000, v1
	v_cmp_ne_u32_e64 s[4:5], s29, v2
	s_and_saveexec_b64 s[26:27], s[4:5]
	s_xor_b64 s[4:5], exec, s[26:27]
; %bb.49:                               ;   in Loop: Header=BB357_13 Depth=1
	v_bfe_u32 v2, v1, 16, 1
	v_add3_u32 v1, v1, v2, s30
	v_accvgpr_write_b32 a59, v1
                                        ; implicit-def: $vgpr1
; %bb.50:                               ;   in Loop: Header=BB357_13 Depth=1
	s_andn2_saveexec_b64 s[26:27], s[4:5]
; %bb.51:                               ;   in Loop: Header=BB357_13 Depth=1
	v_or_b32_e32 v2, 0x10000, v1
	v_cmp_eq_u32_sdwa s[4:5], v1, v47 src0_sel:WORD_0 src1_sel:DWORD
	s_nop 1
	v_cndmask_b32_e64 v1, v2, v1, s[4:5]
	v_accvgpr_write_b32 a59, v1
; %bb.52:                               ;   in Loop: Header=BB357_13 Depth=1
	s_or_b64 exec, exec, s[26:27]
	v_bfe_u32 v1, v0, 8, 8
	v_cvt_f32_fp8_sdwa v1, v1 src0_sel:BYTE_0
                                        ; implicit-def: $agpr60
	s_nop 0
	v_mul_f32_e32 v1, v11, v1
	v_and_b32_e32 v2, 0x7f800000, v1
	v_cmp_ne_u32_e64 s[4:5], s29, v2
	s_and_saveexec_b64 s[26:27], s[4:5]
	s_xor_b64 s[4:5], exec, s[26:27]
; %bb.53:                               ;   in Loop: Header=BB357_13 Depth=1
	v_bfe_u32 v2, v1, 16, 1
	v_add3_u32 v1, v1, v2, s30
	v_accvgpr_write_b32 a60, v1
                                        ; implicit-def: $vgpr1
; %bb.54:                               ;   in Loop: Header=BB357_13 Depth=1
	s_andn2_saveexec_b64 s[26:27], s[4:5]
; %bb.55:                               ;   in Loop: Header=BB357_13 Depth=1
	v_or_b32_e32 v2, 0x10000, v1
	v_cmp_eq_u32_sdwa s[4:5], v1, v47 src0_sel:WORD_0 src1_sel:DWORD
	s_nop 1
	v_cndmask_b32_e64 v1, v2, v1, s[4:5]
	v_accvgpr_write_b32 a60, v1
; %bb.56:                               ;   in Loop: Header=BB357_13 Depth=1
	s_or_b64 exec, exec, s[26:27]
	v_bfe_u32 v1, v0, 16, 8
	v_cvt_f32_fp8_sdwa v1, v1 src0_sel:BYTE_0
                                        ; implicit-def: $agpr61
	s_nop 0
	v_mul_f32_e32 v1, v11, v1
	v_and_b32_e32 v2, 0x7f800000, v1
	v_cmp_ne_u32_e64 s[4:5], s29, v2
	s_and_saveexec_b64 s[26:27], s[4:5]
	s_xor_b64 s[4:5], exec, s[26:27]
; %bb.57:                               ;   in Loop: Header=BB357_13 Depth=1
	v_bfe_u32 v2, v1, 16, 1
	v_add3_u32 v1, v1, v2, s30
	v_accvgpr_write_b32 a61, v1
                                        ; implicit-def: $vgpr1
; %bb.58:                               ;   in Loop: Header=BB357_13 Depth=1
	s_andn2_saveexec_b64 s[26:27], s[4:5]
; %bb.59:                               ;   in Loop: Header=BB357_13 Depth=1
	v_or_b32_e32 v2, 0x10000, v1
	v_cmp_eq_u32_sdwa s[4:5], v1, v47 src0_sel:WORD_0 src1_sel:DWORD
	s_nop 1
	v_cndmask_b32_e64 v1, v2, v1, s[4:5]
	v_accvgpr_write_b32 a61, v1
; %bb.60:                               ;   in Loop: Header=BB357_13 Depth=1
	s_or_b64 exec, exec, s[26:27]
	v_lshrrev_b32_e32 v0, 24, v0
	v_cvt_f32_fp8_sdwa v0, v0 src0_sel:BYTE_0
                                        ; implicit-def: $agpr62
	s_nop 0
	v_mul_f32_e32 v0, v11, v0
	v_and_b32_e32 v1, 0x7f800000, v0
	v_cmp_ne_u32_e64 s[4:5], s29, v1
	s_and_saveexec_b64 s[26:27], s[4:5]
	s_xor_b64 s[4:5], exec, s[26:27]
; %bb.61:                               ;   in Loop: Header=BB357_13 Depth=1
	v_bfe_u32 v1, v0, 16, 1
	v_add3_u32 v0, v0, v1, s30
	v_accvgpr_write_b32 a62, v0
                                        ; implicit-def: $vgpr0
; %bb.62:                               ;   in Loop: Header=BB357_13 Depth=1
	s_andn2_saveexec_b64 s[26:27], s[4:5]
; %bb.63:                               ;   in Loop: Header=BB357_13 Depth=1
	v_or_b32_e32 v1, 0x10000, v0
	v_cmp_eq_u32_sdwa s[4:5], v0, v47 src0_sel:WORD_0 src1_sel:DWORD
	s_nop 1
	v_cndmask_b32_e64 v0, v1, v0, s[4:5]
	v_accvgpr_write_b32 a62, v0
; %bb.64:                               ;   in Loop: Header=BB357_13 Depth=1
	s_or_b64 exec, exec, s[26:27]
	flat_load_dword v0, v[60:61] offset:520
                                        ; implicit-def: $agpr63
	s_waitcnt vmcnt(0) lgkmcnt(0)
	v_and_b32_e32 v1, 0xff, v0
	v_cvt_f32_fp8_sdwa v1, v1 src0_sel:BYTE_0
	s_nop 0
	v_mul_f32_e32 v1, v11, v1
	v_and_b32_e32 v2, 0x7f800000, v1
	v_cmp_ne_u32_e64 s[4:5], s29, v2
	s_and_saveexec_b64 s[26:27], s[4:5]
	s_xor_b64 s[4:5], exec, s[26:27]
; %bb.65:                               ;   in Loop: Header=BB357_13 Depth=1
	v_bfe_u32 v2, v1, 16, 1
	v_add3_u32 v1, v1, v2, s30
	v_accvgpr_write_b32 a63, v1
                                        ; implicit-def: $vgpr1
; %bb.66:                               ;   in Loop: Header=BB357_13 Depth=1
	s_andn2_saveexec_b64 s[26:27], s[4:5]
; %bb.67:                               ;   in Loop: Header=BB357_13 Depth=1
	v_or_b32_e32 v2, 0x10000, v1
	v_cmp_eq_u32_sdwa s[4:5], v1, v47 src0_sel:WORD_0 src1_sel:DWORD
	s_nop 1
	v_cndmask_b32_e64 v1, v2, v1, s[4:5]
	v_accvgpr_write_b32 a63, v1
; %bb.68:                               ;   in Loop: Header=BB357_13 Depth=1
	s_or_b64 exec, exec, s[26:27]
	v_bfe_u32 v1, v0, 8, 8
	v_cvt_f32_fp8_sdwa v1, v1 src0_sel:BYTE_0
                                        ; implicit-def: $agpr27
	s_nop 0
	v_mul_f32_e32 v1, v11, v1
	v_and_b32_e32 v2, 0x7f800000, v1
	v_cmp_ne_u32_e64 s[4:5], s29, v2
	s_and_saveexec_b64 s[26:27], s[4:5]
	s_xor_b64 s[4:5], exec, s[26:27]
; %bb.69:                               ;   in Loop: Header=BB357_13 Depth=1
	v_bfe_u32 v2, v1, 16, 1
	v_add3_u32 v1, v1, v2, s30
	v_accvgpr_write_b32 a27, v1
                                        ; implicit-def: $vgpr1
; %bb.70:                               ;   in Loop: Header=BB357_13 Depth=1
	s_andn2_saveexec_b64 s[26:27], s[4:5]
; %bb.71:                               ;   in Loop: Header=BB357_13 Depth=1
	v_or_b32_e32 v2, 0x10000, v1
	v_cmp_eq_u32_sdwa s[4:5], v1, v47 src0_sel:WORD_0 src1_sel:DWORD
	s_nop 1
	v_cndmask_b32_e64 v1, v2, v1, s[4:5]
	v_accvgpr_write_b32 a27, v1
; %bb.72:                               ;   in Loop: Header=BB357_13 Depth=1
	s_or_b64 exec, exec, s[26:27]
	v_bfe_u32 v1, v0, 16, 8
	v_cvt_f32_fp8_sdwa v1, v1 src0_sel:BYTE_0
                                        ; implicit-def: $agpr30
	s_nop 0
	v_mul_f32_e32 v1, v11, v1
	v_and_b32_e32 v2, 0x7f800000, v1
	v_cmp_ne_u32_e64 s[4:5], s29, v2
	s_and_saveexec_b64 s[26:27], s[4:5]
	s_xor_b64 s[4:5], exec, s[26:27]
; %bb.73:                               ;   in Loop: Header=BB357_13 Depth=1
	v_bfe_u32 v2, v1, 16, 1
	v_add3_u32 v1, v1, v2, s30
	v_accvgpr_write_b32 a30, v1
                                        ; implicit-def: $vgpr1
; %bb.74:                               ;   in Loop: Header=BB357_13 Depth=1
	s_andn2_saveexec_b64 s[26:27], s[4:5]
; %bb.75:                               ;   in Loop: Header=BB357_13 Depth=1
	v_or_b32_e32 v2, 0x10000, v1
	v_cmp_eq_u32_sdwa s[4:5], v1, v47 src0_sel:WORD_0 src1_sel:DWORD
	s_nop 1
	v_cndmask_b32_e64 v1, v2, v1, s[4:5]
	v_accvgpr_write_b32 a30, v1
; %bb.76:                               ;   in Loop: Header=BB357_13 Depth=1
	s_or_b64 exec, exec, s[26:27]
	v_lshrrev_b32_e32 v0, 24, v0
	v_cvt_f32_fp8_sdwa v0, v0 src0_sel:BYTE_0
                                        ; implicit-def: $agpr31
	s_nop 0
	v_mul_f32_e32 v0, v11, v0
	v_and_b32_e32 v1, 0x7f800000, v0
	v_cmp_ne_u32_e64 s[4:5], s29, v1
	s_and_saveexec_b64 s[26:27], s[4:5]
	s_xor_b64 s[4:5], exec, s[26:27]
; %bb.77:                               ;   in Loop: Header=BB357_13 Depth=1
	v_bfe_u32 v1, v0, 16, 1
	v_add3_u32 v0, v0, v1, s30
	v_accvgpr_write_b32 a31, v0
                                        ; implicit-def: $vgpr0
; %bb.78:                               ;   in Loop: Header=BB357_13 Depth=1
	s_andn2_saveexec_b64 s[26:27], s[4:5]
; %bb.79:                               ;   in Loop: Header=BB357_13 Depth=1
	v_or_b32_e32 v1, 0x10000, v0
	v_cmp_eq_u32_sdwa s[4:5], v0, v47 src0_sel:WORD_0 src1_sel:DWORD
	s_nop 1
	v_cndmask_b32_e64 v0, v1, v0, s[4:5]
	v_accvgpr_write_b32 a31, v0
; %bb.80:                               ;   in Loop: Header=BB357_13 Depth=1
	s_or_b64 exec, exec, s[26:27]
	flat_load_dword v0, v[60:61] offset:1024
                                        ; implicit-def: $agpr32
	s_waitcnt vmcnt(0) lgkmcnt(0)
	v_and_b32_e32 v1, 0xff, v0
	v_cvt_f32_fp8_sdwa v1, v1 src0_sel:BYTE_0
	s_nop 0
	v_mul_f32_e32 v1, v11, v1
	v_and_b32_e32 v2, 0x7f800000, v1
	v_cmp_ne_u32_e64 s[4:5], s29, v2
	s_and_saveexec_b64 s[26:27], s[4:5]
	s_xor_b64 s[4:5], exec, s[26:27]
; %bb.81:                               ;   in Loop: Header=BB357_13 Depth=1
	v_bfe_u32 v2, v1, 16, 1
	v_add3_u32 v1, v1, v2, s30
	v_accvgpr_write_b32 a32, v1
                                        ; implicit-def: $vgpr1
; %bb.82:                               ;   in Loop: Header=BB357_13 Depth=1
	s_andn2_saveexec_b64 s[26:27], s[4:5]
; %bb.83:                               ;   in Loop: Header=BB357_13 Depth=1
	v_or_b32_e32 v2, 0x10000, v1
	v_cmp_eq_u32_sdwa s[4:5], v1, v47 src0_sel:WORD_0 src1_sel:DWORD
	s_nop 1
	v_cndmask_b32_e64 v1, v2, v1, s[4:5]
	v_accvgpr_write_b32 a32, v1
; %bb.84:                               ;   in Loop: Header=BB357_13 Depth=1
	s_or_b64 exec, exec, s[26:27]
	v_bfe_u32 v1, v0, 8, 8
	v_cvt_f32_fp8_sdwa v1, v1 src0_sel:BYTE_0
                                        ; implicit-def: $agpr28
	s_nop 0
	v_mul_f32_e32 v1, v11, v1
	v_and_b32_e32 v2, 0x7f800000, v1
	v_cmp_ne_u32_e64 s[4:5], s29, v2
	s_and_saveexec_b64 s[26:27], s[4:5]
	s_xor_b64 s[4:5], exec, s[26:27]
; %bb.85:                               ;   in Loop: Header=BB357_13 Depth=1
	v_bfe_u32 v2, v1, 16, 1
	v_add3_u32 v1, v1, v2, s30
	v_accvgpr_write_b32 a28, v1
                                        ; implicit-def: $vgpr1
; %bb.86:                               ;   in Loop: Header=BB357_13 Depth=1
	s_andn2_saveexec_b64 s[26:27], s[4:5]
; %bb.87:                               ;   in Loop: Header=BB357_13 Depth=1
	v_or_b32_e32 v2, 0x10000, v1
	v_cmp_eq_u32_sdwa s[4:5], v1, v47 src0_sel:WORD_0 src1_sel:DWORD
	s_nop 1
	v_cndmask_b32_e64 v1, v2, v1, s[4:5]
	v_accvgpr_write_b32 a28, v1
; %bb.88:                               ;   in Loop: Header=BB357_13 Depth=1
	s_or_b64 exec, exec, s[26:27]
	v_bfe_u32 v1, v0, 16, 8
	v_cvt_f32_fp8_sdwa v1, v1 src0_sel:BYTE_0
                                        ; implicit-def: $agpr29
	s_nop 0
	v_mul_f32_e32 v1, v11, v1
	v_and_b32_e32 v2, 0x7f800000, v1
	v_cmp_ne_u32_e64 s[4:5], s29, v2
	s_and_saveexec_b64 s[26:27], s[4:5]
	s_xor_b64 s[4:5], exec, s[26:27]
; %bb.89:                               ;   in Loop: Header=BB357_13 Depth=1
	v_bfe_u32 v2, v1, 16, 1
	v_add3_u32 v1, v1, v2, s30
	v_accvgpr_write_b32 a29, v1
                                        ; implicit-def: $vgpr1
; %bb.90:                               ;   in Loop: Header=BB357_13 Depth=1
	s_andn2_saveexec_b64 s[26:27], s[4:5]
; %bb.91:                               ;   in Loop: Header=BB357_13 Depth=1
	v_or_b32_e32 v2, 0x10000, v1
	v_cmp_eq_u32_sdwa s[4:5], v1, v47 src0_sel:WORD_0 src1_sel:DWORD
	s_nop 1
	v_cndmask_b32_e64 v1, v2, v1, s[4:5]
	v_accvgpr_write_b32 a29, v1
; %bb.92:                               ;   in Loop: Header=BB357_13 Depth=1
	s_or_b64 exec, exec, s[26:27]
	v_lshrrev_b32_e32 v0, 24, v0
	v_cvt_f32_fp8_sdwa v0, v0 src0_sel:BYTE_0
                                        ; implicit-def: $agpr19
	s_nop 0
	v_mul_f32_e32 v0, v11, v0
	v_and_b32_e32 v1, 0x7f800000, v0
	v_cmp_ne_u32_e64 s[4:5], s29, v1
	s_and_saveexec_b64 s[26:27], s[4:5]
	s_xor_b64 s[4:5], exec, s[26:27]
; %bb.93:                               ;   in Loop: Header=BB357_13 Depth=1
	v_bfe_u32 v1, v0, 16, 1
	v_add3_u32 v0, v0, v1, s30
	v_accvgpr_write_b32 a19, v0
                                        ; implicit-def: $vgpr0
; %bb.94:                               ;   in Loop: Header=BB357_13 Depth=1
	s_andn2_saveexec_b64 s[26:27], s[4:5]
; %bb.95:                               ;   in Loop: Header=BB357_13 Depth=1
	v_or_b32_e32 v1, 0x10000, v0
	v_cmp_eq_u32_sdwa s[4:5], v0, v47 src0_sel:WORD_0 src1_sel:DWORD
	s_nop 1
	v_cndmask_b32_e64 v0, v1, v0, s[4:5]
	v_accvgpr_write_b32 a19, v0
; %bb.96:                               ;   in Loop: Header=BB357_13 Depth=1
	s_or_b64 exec, exec, s[26:27]
	flat_load_dword v0, v[60:61] offset:1032
                                        ; implicit-def: $agpr36
	s_waitcnt vmcnt(0) lgkmcnt(0)
	v_and_b32_e32 v1, 0xff, v0
	v_cvt_f32_fp8_sdwa v1, v1 src0_sel:BYTE_0
	s_nop 0
	v_mul_f32_e32 v1, v11, v1
	v_and_b32_e32 v2, 0x7f800000, v1
	v_cmp_ne_u32_e64 s[4:5], s29, v2
	s_and_saveexec_b64 s[26:27], s[4:5]
	s_xor_b64 s[4:5], exec, s[26:27]
; %bb.97:                               ;   in Loop: Header=BB357_13 Depth=1
	v_bfe_u32 v2, v1, 16, 1
	v_add3_u32 v1, v1, v2, s30
	v_accvgpr_write_b32 a36, v1
                                        ; implicit-def: $vgpr1
; %bb.98:                               ;   in Loop: Header=BB357_13 Depth=1
	s_andn2_saveexec_b64 s[26:27], s[4:5]
; %bb.99:                               ;   in Loop: Header=BB357_13 Depth=1
	v_or_b32_e32 v2, 0x10000, v1
	v_cmp_eq_u32_sdwa s[4:5], v1, v47 src0_sel:WORD_0 src1_sel:DWORD
	s_nop 1
	v_cndmask_b32_e64 v1, v2, v1, s[4:5]
	v_accvgpr_write_b32 a36, v1
; %bb.100:                              ;   in Loop: Header=BB357_13 Depth=1
	s_or_b64 exec, exec, s[26:27]
	v_bfe_u32 v1, v0, 8, 8
	v_cvt_f32_fp8_sdwa v1, v1 src0_sel:BYTE_0
                                        ; implicit-def: $agpr15
	s_nop 0
	v_mul_f32_e32 v1, v11, v1
	v_and_b32_e32 v2, 0x7f800000, v1
	v_cmp_ne_u32_e64 s[4:5], s29, v2
	s_and_saveexec_b64 s[26:27], s[4:5]
	s_xor_b64 s[4:5], exec, s[26:27]
; %bb.101:                              ;   in Loop: Header=BB357_13 Depth=1
	v_bfe_u32 v2, v1, 16, 1
	v_add3_u32 v1, v1, v2, s30
	v_accvgpr_write_b32 a15, v1
                                        ; implicit-def: $vgpr1
; %bb.102:                              ;   in Loop: Header=BB357_13 Depth=1
	s_andn2_saveexec_b64 s[26:27], s[4:5]
; %bb.103:                              ;   in Loop: Header=BB357_13 Depth=1
	v_or_b32_e32 v2, 0x10000, v1
	v_cmp_eq_u32_sdwa s[4:5], v1, v47 src0_sel:WORD_0 src1_sel:DWORD
	s_nop 1
	v_cndmask_b32_e64 v1, v2, v1, s[4:5]
	v_accvgpr_write_b32 a15, v1
; %bb.104:                              ;   in Loop: Header=BB357_13 Depth=1
	s_or_b64 exec, exec, s[26:27]
	v_bfe_u32 v1, v0, 16, 8
	v_cvt_f32_fp8_sdwa v1, v1 src0_sel:BYTE_0
                                        ; implicit-def: $agpr0
	s_nop 0
	v_mul_f32_e32 v1, v11, v1
	v_and_b32_e32 v2, 0x7f800000, v1
	v_cmp_ne_u32_e64 s[4:5], s29, v2
	s_and_saveexec_b64 s[26:27], s[4:5]
	s_xor_b64 s[4:5], exec, s[26:27]
; %bb.105:                              ;   in Loop: Header=BB357_13 Depth=1
	v_bfe_u32 v2, v1, 16, 1
	v_add3_u32 v1, v1, v2, s30
	v_accvgpr_write_b32 a0, v1
                                        ; implicit-def: $vgpr1
; %bb.106:                              ;   in Loop: Header=BB357_13 Depth=1
	s_andn2_saveexec_b64 s[26:27], s[4:5]
; %bb.107:                              ;   in Loop: Header=BB357_13 Depth=1
	v_or_b32_e32 v2, 0x10000, v1
	v_cmp_eq_u32_sdwa s[4:5], v1, v47 src0_sel:WORD_0 src1_sel:DWORD
	s_nop 1
	v_cndmask_b32_e64 v1, v2, v1, s[4:5]
	v_accvgpr_write_b32 a0, v1
; %bb.108:                              ;   in Loop: Header=BB357_13 Depth=1
	s_or_b64 exec, exec, s[26:27]
	v_lshrrev_b32_e32 v0, 24, v0
	v_cvt_f32_fp8_sdwa v0, v0 src0_sel:BYTE_0
                                        ; implicit-def: $agpr1
	s_nop 0
	v_mul_f32_e32 v0, v11, v0
	v_and_b32_e32 v1, 0x7f800000, v0
	v_cmp_ne_u32_e64 s[4:5], s29, v1
	s_and_saveexec_b64 s[26:27], s[4:5]
	s_xor_b64 s[4:5], exec, s[26:27]
; %bb.109:                              ;   in Loop: Header=BB357_13 Depth=1
	v_bfe_u32 v1, v0, 16, 1
	v_add3_u32 v0, v0, v1, s30
	v_accvgpr_write_b32 a1, v0
                                        ; implicit-def: $vgpr0
; %bb.110:                              ;   in Loop: Header=BB357_13 Depth=1
	s_andn2_saveexec_b64 s[26:27], s[4:5]
; %bb.111:                              ;   in Loop: Header=BB357_13 Depth=1
	v_or_b32_e32 v1, 0x10000, v0
	v_cmp_eq_u32_sdwa s[4:5], v0, v47 src0_sel:WORD_0 src1_sel:DWORD
	s_nop 1
	v_cndmask_b32_e64 v0, v1, v0, s[4:5]
	v_accvgpr_write_b32 a1, v0
; %bb.112:                              ;   in Loop: Header=BB357_13 Depth=1
	s_or_b64 exec, exec, s[26:27]
	flat_load_dword v0, v[60:61] offset:1536
                                        ; implicit-def: $agpr26
	s_waitcnt vmcnt(0) lgkmcnt(0)
	v_and_b32_e32 v1, 0xff, v0
	v_cvt_f32_fp8_sdwa v1, v1 src0_sel:BYTE_0
	s_nop 0
	v_mul_f32_e32 v1, v11, v1
	v_and_b32_e32 v2, 0x7f800000, v1
	v_cmp_ne_u32_e64 s[4:5], s29, v2
	s_and_saveexec_b64 s[26:27], s[4:5]
	s_xor_b64 s[4:5], exec, s[26:27]
; %bb.113:                              ;   in Loop: Header=BB357_13 Depth=1
	v_bfe_u32 v2, v1, 16, 1
	v_add3_u32 v1, v1, v2, s30
	v_accvgpr_write_b32 a26, v1
                                        ; implicit-def: $vgpr1
; %bb.114:                              ;   in Loop: Header=BB357_13 Depth=1
	s_andn2_saveexec_b64 s[26:27], s[4:5]
; %bb.115:                              ;   in Loop: Header=BB357_13 Depth=1
	v_or_b32_e32 v2, 0x10000, v1
	v_cmp_eq_u32_sdwa s[4:5], v1, v47 src0_sel:WORD_0 src1_sel:DWORD
	s_nop 1
	v_cndmask_b32_e64 v1, v2, v1, s[4:5]
	v_accvgpr_write_b32 a26, v1
; %bb.116:                              ;   in Loop: Header=BB357_13 Depth=1
	s_or_b64 exec, exec, s[26:27]
	v_bfe_u32 v1, v0, 8, 8
	v_cvt_f32_fp8_sdwa v1, v1 src0_sel:BYTE_0
                                        ; implicit-def: $agpr25
	s_nop 0
	v_mul_f32_e32 v1, v11, v1
	v_and_b32_e32 v2, 0x7f800000, v1
	v_cmp_ne_u32_e64 s[4:5], s29, v2
	s_and_saveexec_b64 s[26:27], s[4:5]
	s_xor_b64 s[4:5], exec, s[26:27]
; %bb.117:                              ;   in Loop: Header=BB357_13 Depth=1
	v_bfe_u32 v2, v1, 16, 1
	v_add3_u32 v1, v1, v2, s30
	v_accvgpr_write_b32 a25, v1
                                        ; implicit-def: $vgpr1
; %bb.118:                              ;   in Loop: Header=BB357_13 Depth=1
	s_andn2_saveexec_b64 s[26:27], s[4:5]
; %bb.119:                              ;   in Loop: Header=BB357_13 Depth=1
	v_or_b32_e32 v2, 0x10000, v1
	v_cmp_eq_u32_sdwa s[4:5], v1, v47 src0_sel:WORD_0 src1_sel:DWORD
	s_nop 1
	v_cndmask_b32_e64 v1, v2, v1, s[4:5]
	v_accvgpr_write_b32 a25, v1
; %bb.120:                              ;   in Loop: Header=BB357_13 Depth=1
	s_or_b64 exec, exec, s[26:27]
	v_bfe_u32 v1, v0, 16, 8
	v_cvt_f32_fp8_sdwa v1, v1 src0_sel:BYTE_0
                                        ; implicit-def: $agpr24
	s_nop 0
	v_mul_f32_e32 v1, v11, v1
	v_and_b32_e32 v2, 0x7f800000, v1
	v_cmp_ne_u32_e64 s[4:5], s29, v2
	s_and_saveexec_b64 s[26:27], s[4:5]
	s_xor_b64 s[4:5], exec, s[26:27]
; %bb.121:                              ;   in Loop: Header=BB357_13 Depth=1
	v_bfe_u32 v2, v1, 16, 1
	v_add3_u32 v1, v1, v2, s30
	v_accvgpr_write_b32 a24, v1
                                        ; implicit-def: $vgpr1
; %bb.122:                              ;   in Loop: Header=BB357_13 Depth=1
	s_andn2_saveexec_b64 s[26:27], s[4:5]
; %bb.123:                              ;   in Loop: Header=BB357_13 Depth=1
	v_or_b32_e32 v2, 0x10000, v1
	v_cmp_eq_u32_sdwa s[4:5], v1, v47 src0_sel:WORD_0 src1_sel:DWORD
	s_nop 1
	v_cndmask_b32_e64 v1, v2, v1, s[4:5]
	v_accvgpr_write_b32 a24, v1
; %bb.124:                              ;   in Loop: Header=BB357_13 Depth=1
	s_or_b64 exec, exec, s[26:27]
	v_lshrrev_b32_e32 v0, 24, v0
	v_cvt_f32_fp8_sdwa v0, v0 src0_sel:BYTE_0
                                        ; implicit-def: $agpr22
	s_nop 0
	v_mul_f32_e32 v0, v11, v0
	v_and_b32_e32 v1, 0x7f800000, v0
	v_cmp_ne_u32_e64 s[4:5], s29, v1
	s_and_saveexec_b64 s[26:27], s[4:5]
	s_xor_b64 s[4:5], exec, s[26:27]
; %bb.125:                              ;   in Loop: Header=BB357_13 Depth=1
	v_bfe_u32 v1, v0, 16, 1
	v_add3_u32 v0, v0, v1, s30
	v_accvgpr_write_b32 a22, v0
                                        ; implicit-def: $vgpr0
; %bb.126:                              ;   in Loop: Header=BB357_13 Depth=1
	s_andn2_saveexec_b64 s[26:27], s[4:5]
; %bb.127:                              ;   in Loop: Header=BB357_13 Depth=1
	v_or_b32_e32 v1, 0x10000, v0
	v_cmp_eq_u32_sdwa s[4:5], v0, v47 src0_sel:WORD_0 src1_sel:DWORD
	s_nop 1
	v_cndmask_b32_e64 v0, v1, v0, s[4:5]
	v_accvgpr_write_b32 a22, v0
; %bb.128:                              ;   in Loop: Header=BB357_13 Depth=1
	s_or_b64 exec, exec, s[26:27]
	flat_load_dword v0, v[60:61] offset:1544
                                        ; implicit-def: $agpr23
	s_waitcnt vmcnt(0) lgkmcnt(0)
	v_and_b32_e32 v1, 0xff, v0
	v_cvt_f32_fp8_sdwa v1, v1 src0_sel:BYTE_0
	s_nop 0
	v_mul_f32_e32 v1, v11, v1
	v_and_b32_e32 v2, 0x7f800000, v1
	v_cmp_ne_u32_e64 s[4:5], s29, v2
	s_and_saveexec_b64 s[26:27], s[4:5]
	s_xor_b64 s[4:5], exec, s[26:27]
; %bb.129:                              ;   in Loop: Header=BB357_13 Depth=1
	v_bfe_u32 v2, v1, 16, 1
	v_add3_u32 v1, v1, v2, s30
	v_accvgpr_write_b32 a23, v1
                                        ; implicit-def: $vgpr1
; %bb.130:                              ;   in Loop: Header=BB357_13 Depth=1
	s_andn2_saveexec_b64 s[26:27], s[4:5]
; %bb.131:                              ;   in Loop: Header=BB357_13 Depth=1
	v_or_b32_e32 v2, 0x10000, v1
	v_cmp_eq_u32_sdwa s[4:5], v1, v47 src0_sel:WORD_0 src1_sel:DWORD
	s_nop 1
	v_cndmask_b32_e64 v1, v2, v1, s[4:5]
	v_accvgpr_write_b32 a23, v1
; %bb.132:                              ;   in Loop: Header=BB357_13 Depth=1
	s_or_b64 exec, exec, s[26:27]
	v_bfe_u32 v1, v0, 8, 8
	v_cvt_f32_fp8_sdwa v1, v1 src0_sel:BYTE_0
                                        ; implicit-def: $agpr20
	s_nop 0
	v_mul_f32_e32 v1, v11, v1
	v_and_b32_e32 v2, 0x7f800000, v1
	v_cmp_ne_u32_e64 s[4:5], s29, v2
	s_and_saveexec_b64 s[26:27], s[4:5]
	s_xor_b64 s[4:5], exec, s[26:27]
; %bb.133:                              ;   in Loop: Header=BB357_13 Depth=1
	v_bfe_u32 v2, v1, 16, 1
	v_add3_u32 v1, v1, v2, s30
	v_accvgpr_write_b32 a20, v1
                                        ; implicit-def: $vgpr1
; %bb.134:                              ;   in Loop: Header=BB357_13 Depth=1
	s_andn2_saveexec_b64 s[26:27], s[4:5]
; %bb.135:                              ;   in Loop: Header=BB357_13 Depth=1
	v_or_b32_e32 v2, 0x10000, v1
	v_cmp_eq_u32_sdwa s[4:5], v1, v47 src0_sel:WORD_0 src1_sel:DWORD
	s_nop 1
	v_cndmask_b32_e64 v1, v2, v1, s[4:5]
	v_accvgpr_write_b32 a20, v1
; %bb.136:                              ;   in Loop: Header=BB357_13 Depth=1
	s_or_b64 exec, exec, s[26:27]
	v_bfe_u32 v1, v0, 16, 8
	v_cvt_f32_fp8_sdwa v1, v1 src0_sel:BYTE_0
                                        ; implicit-def: $agpr21
	s_nop 0
	v_mul_f32_e32 v1, v11, v1
	v_and_b32_e32 v2, 0x7f800000, v1
	v_cmp_ne_u32_e64 s[4:5], s29, v2
	s_and_saveexec_b64 s[26:27], s[4:5]
	s_xor_b64 s[4:5], exec, s[26:27]
; %bb.137:                              ;   in Loop: Header=BB357_13 Depth=1
	v_bfe_u32 v2, v1, 16, 1
	v_add3_u32 v1, v1, v2, s30
	v_accvgpr_write_b32 a21, v1
                                        ; implicit-def: $vgpr1
; %bb.138:                              ;   in Loop: Header=BB357_13 Depth=1
	s_andn2_saveexec_b64 s[26:27], s[4:5]
; %bb.139:                              ;   in Loop: Header=BB357_13 Depth=1
	v_or_b32_e32 v2, 0x10000, v1
	v_cmp_eq_u32_sdwa s[4:5], v1, v47 src0_sel:WORD_0 src1_sel:DWORD
	s_nop 1
	v_cndmask_b32_e64 v1, v2, v1, s[4:5]
	v_accvgpr_write_b32 a21, v1
; %bb.140:                              ;   in Loop: Header=BB357_13 Depth=1
	s_or_b64 exec, exec, s[26:27]
	v_lshrrev_b32_e32 v0, 24, v0
	v_cvt_f32_fp8_sdwa v0, v0 src0_sel:BYTE_0
                                        ; implicit-def: $agpr18
	s_nop 0
	v_mul_f32_e32 v0, v11, v0
	v_and_b32_e32 v1, 0x7f800000, v0
	v_cmp_ne_u32_e64 s[4:5], s29, v1
	s_and_saveexec_b64 s[26:27], s[4:5]
	s_xor_b64 s[4:5], exec, s[26:27]
; %bb.141:                              ;   in Loop: Header=BB357_13 Depth=1
	v_bfe_u32 v1, v0, 16, 1
	v_add3_u32 v0, v0, v1, s30
	v_accvgpr_write_b32 a18, v0
                                        ; implicit-def: $vgpr0
; %bb.142:                              ;   in Loop: Header=BB357_13 Depth=1
	s_andn2_saveexec_b64 s[26:27], s[4:5]
; %bb.143:                              ;   in Loop: Header=BB357_13 Depth=1
	v_or_b32_e32 v1, 0x10000, v0
	v_cmp_eq_u32_sdwa s[4:5], v0, v47 src0_sel:WORD_0 src1_sel:DWORD
	s_nop 1
	v_cndmask_b32_e64 v0, v1, v0, s[4:5]
	v_accvgpr_write_b32 a18, v0
; %bb.144:                              ;   in Loop: Header=BB357_13 Depth=1
	s_or_b64 exec, exec, s[26:27]
	flat_load_dword v0, v[60:61] offset:2048
                                        ; implicit-def: $agpr16
	s_waitcnt vmcnt(0) lgkmcnt(0)
	v_and_b32_e32 v1, 0xff, v0
	v_cvt_f32_fp8_sdwa v1, v1 src0_sel:BYTE_0
	s_nop 0
	v_mul_f32_e32 v1, v11, v1
	v_and_b32_e32 v2, 0x7f800000, v1
	v_cmp_ne_u32_e64 s[4:5], s29, v2
	s_and_saveexec_b64 s[26:27], s[4:5]
	s_xor_b64 s[4:5], exec, s[26:27]
; %bb.145:                              ;   in Loop: Header=BB357_13 Depth=1
	v_bfe_u32 v2, v1, 16, 1
	v_add3_u32 v1, v1, v2, s30
	v_accvgpr_write_b32 a16, v1
                                        ; implicit-def: $vgpr1
; %bb.146:                              ;   in Loop: Header=BB357_13 Depth=1
	s_andn2_saveexec_b64 s[26:27], s[4:5]
; %bb.147:                              ;   in Loop: Header=BB357_13 Depth=1
	v_or_b32_e32 v2, 0x10000, v1
	v_cmp_eq_u32_sdwa s[4:5], v1, v47 src0_sel:WORD_0 src1_sel:DWORD
	s_nop 1
	v_cndmask_b32_e64 v1, v2, v1, s[4:5]
	v_accvgpr_write_b32 a16, v1
; %bb.148:                              ;   in Loop: Header=BB357_13 Depth=1
	s_or_b64 exec, exec, s[26:27]
	v_bfe_u32 v1, v0, 8, 8
	v_cvt_f32_fp8_sdwa v1, v1 src0_sel:BYTE_0
                                        ; implicit-def: $agpr17
	s_nop 0
	v_mul_f32_e32 v1, v11, v1
	v_and_b32_e32 v2, 0x7f800000, v1
	v_cmp_ne_u32_e64 s[4:5], s29, v2
	s_and_saveexec_b64 s[26:27], s[4:5]
	s_xor_b64 s[4:5], exec, s[26:27]
; %bb.149:                              ;   in Loop: Header=BB357_13 Depth=1
	v_bfe_u32 v2, v1, 16, 1
	v_add3_u32 v1, v1, v2, s30
	v_accvgpr_write_b32 a17, v1
                                        ; implicit-def: $vgpr1
; %bb.150:                              ;   in Loop: Header=BB357_13 Depth=1
	s_andn2_saveexec_b64 s[26:27], s[4:5]
; %bb.151:                              ;   in Loop: Header=BB357_13 Depth=1
	v_or_b32_e32 v2, 0x10000, v1
	v_cmp_eq_u32_sdwa s[4:5], v1, v47 src0_sel:WORD_0 src1_sel:DWORD
	s_nop 1
	v_cndmask_b32_e64 v1, v2, v1, s[4:5]
	v_accvgpr_write_b32 a17, v1
; %bb.152:                              ;   in Loop: Header=BB357_13 Depth=1
	s_or_b64 exec, exec, s[26:27]
	v_bfe_u32 v1, v0, 16, 8
	v_cvt_f32_fp8_sdwa v1, v1 src0_sel:BYTE_0
                                        ; implicit-def: $agpr2
	s_nop 0
	v_mul_f32_e32 v1, v11, v1
	v_and_b32_e32 v2, 0x7f800000, v1
	v_cmp_ne_u32_e64 s[4:5], s29, v2
	s_and_saveexec_b64 s[26:27], s[4:5]
	s_xor_b64 s[4:5], exec, s[26:27]
; %bb.153:                              ;   in Loop: Header=BB357_13 Depth=1
	v_bfe_u32 v2, v1, 16, 1
	v_add3_u32 v1, v1, v2, s30
	v_accvgpr_write_b32 a2, v1
                                        ; implicit-def: $vgpr1
; %bb.154:                              ;   in Loop: Header=BB357_13 Depth=1
	s_andn2_saveexec_b64 s[26:27], s[4:5]
; %bb.155:                              ;   in Loop: Header=BB357_13 Depth=1
	v_or_b32_e32 v2, 0x10000, v1
	v_cmp_eq_u32_sdwa s[4:5], v1, v47 src0_sel:WORD_0 src1_sel:DWORD
	s_nop 1
	v_cndmask_b32_e64 v1, v2, v1, s[4:5]
	v_accvgpr_write_b32 a2, v1
; %bb.156:                              ;   in Loop: Header=BB357_13 Depth=1
	s_or_b64 exec, exec, s[26:27]
	v_lshrrev_b32_e32 v0, 24, v0
	v_cvt_f32_fp8_sdwa v0, v0 src0_sel:BYTE_0
                                        ; implicit-def: $agpr37
	s_nop 0
	v_mul_f32_e32 v0, v11, v0
	v_and_b32_e32 v1, 0x7f800000, v0
	v_cmp_ne_u32_e64 s[4:5], s29, v1
	s_and_saveexec_b64 s[26:27], s[4:5]
	s_xor_b64 s[4:5], exec, s[26:27]
; %bb.157:                              ;   in Loop: Header=BB357_13 Depth=1
	v_bfe_u32 v1, v0, 16, 1
	v_add3_u32 v0, v0, v1, s30
	v_accvgpr_write_b32 a37, v0
                                        ; implicit-def: $vgpr0
; %bb.158:                              ;   in Loop: Header=BB357_13 Depth=1
	s_andn2_saveexec_b64 s[26:27], s[4:5]
; %bb.159:                              ;   in Loop: Header=BB357_13 Depth=1
	v_or_b32_e32 v1, 0x10000, v0
	v_cmp_eq_u32_sdwa s[4:5], v0, v47 src0_sel:WORD_0 src1_sel:DWORD
	s_nop 1
	v_cndmask_b32_e64 v0, v1, v0, s[4:5]
	v_accvgpr_write_b32 a37, v0
; %bb.160:                              ;   in Loop: Header=BB357_13 Depth=1
	s_or_b64 exec, exec, s[26:27]
	flat_load_dword v0, v[60:61] offset:2056
                                        ; implicit-def: $agpr43
	s_waitcnt vmcnt(0) lgkmcnt(0)
	v_and_b32_e32 v1, 0xff, v0
	v_cvt_f32_fp8_sdwa v1, v1 src0_sel:BYTE_0
	s_nop 0
	v_mul_f32_e32 v1, v11, v1
	v_and_b32_e32 v2, 0x7f800000, v1
	v_cmp_ne_u32_e64 s[4:5], s29, v2
	s_and_saveexec_b64 s[26:27], s[4:5]
	s_xor_b64 s[4:5], exec, s[26:27]
; %bb.161:                              ;   in Loop: Header=BB357_13 Depth=1
	v_bfe_u32 v2, v1, 16, 1
	v_add3_u32 v1, v1, v2, s30
	v_accvgpr_write_b32 a43, v1
                                        ; implicit-def: $vgpr1
; %bb.162:                              ;   in Loop: Header=BB357_13 Depth=1
	s_andn2_saveexec_b64 s[26:27], s[4:5]
; %bb.163:                              ;   in Loop: Header=BB357_13 Depth=1
	v_or_b32_e32 v2, 0x10000, v1
	v_cmp_eq_u32_sdwa s[4:5], v1, v47 src0_sel:WORD_0 src1_sel:DWORD
	s_nop 1
	v_cndmask_b32_e64 v1, v2, v1, s[4:5]
	v_accvgpr_write_b32 a43, v1
; %bb.164:                              ;   in Loop: Header=BB357_13 Depth=1
	s_or_b64 exec, exec, s[26:27]
	v_bfe_u32 v1, v0, 8, 8
	v_cvt_f32_fp8_sdwa v1, v1 src0_sel:BYTE_0
                                        ; implicit-def: $agpr4
	s_nop 0
	v_mul_f32_e32 v1, v11, v1
	v_and_b32_e32 v2, 0x7f800000, v1
	v_cmp_ne_u32_e64 s[4:5], s29, v2
	s_and_saveexec_b64 s[26:27], s[4:5]
	s_xor_b64 s[4:5], exec, s[26:27]
; %bb.165:                              ;   in Loop: Header=BB357_13 Depth=1
	v_bfe_u32 v2, v1, 16, 1
	v_add3_u32 v1, v1, v2, s30
	v_accvgpr_write_b32 a4, v1
                                        ; implicit-def: $vgpr1
; %bb.166:                              ;   in Loop: Header=BB357_13 Depth=1
	s_andn2_saveexec_b64 s[26:27], s[4:5]
; %bb.167:                              ;   in Loop: Header=BB357_13 Depth=1
	v_or_b32_e32 v2, 0x10000, v1
	v_cmp_eq_u32_sdwa s[4:5], v1, v47 src0_sel:WORD_0 src1_sel:DWORD
	s_nop 1
	v_cndmask_b32_e64 v1, v2, v1, s[4:5]
	v_accvgpr_write_b32 a4, v1
; %bb.168:                              ;   in Loop: Header=BB357_13 Depth=1
	s_or_b64 exec, exec, s[26:27]
	v_bfe_u32 v1, v0, 16, 8
	v_cvt_f32_fp8_sdwa v1, v1 src0_sel:BYTE_0
                                        ; implicit-def: $agpr5
	s_nop 0
	v_mul_f32_e32 v1, v11, v1
	v_and_b32_e32 v2, 0x7f800000, v1
	v_cmp_ne_u32_e64 s[4:5], s29, v2
	s_and_saveexec_b64 s[26:27], s[4:5]
	s_xor_b64 s[4:5], exec, s[26:27]
; %bb.169:                              ;   in Loop: Header=BB357_13 Depth=1
	v_bfe_u32 v2, v1, 16, 1
	v_add3_u32 v1, v1, v2, s30
	v_accvgpr_write_b32 a5, v1
                                        ; implicit-def: $vgpr1
; %bb.170:                              ;   in Loop: Header=BB357_13 Depth=1
	s_andn2_saveexec_b64 s[26:27], s[4:5]
; %bb.171:                              ;   in Loop: Header=BB357_13 Depth=1
	v_or_b32_e32 v2, 0x10000, v1
	v_cmp_eq_u32_sdwa s[4:5], v1, v47 src0_sel:WORD_0 src1_sel:DWORD
	s_nop 1
	v_cndmask_b32_e64 v1, v2, v1, s[4:5]
	v_accvgpr_write_b32 a5, v1
; %bb.172:                              ;   in Loop: Header=BB357_13 Depth=1
	s_or_b64 exec, exec, s[26:27]
	v_lshrrev_b32_e32 v0, 24, v0
	v_cvt_f32_fp8_sdwa v0, v0 src0_sel:BYTE_0
                                        ; implicit-def: $agpr44
	s_nop 0
	v_mul_f32_e32 v0, v11, v0
	v_and_b32_e32 v1, 0x7f800000, v0
	v_cmp_ne_u32_e64 s[4:5], s29, v1
	s_and_saveexec_b64 s[26:27], s[4:5]
	s_xor_b64 s[4:5], exec, s[26:27]
; %bb.173:                              ;   in Loop: Header=BB357_13 Depth=1
	v_bfe_u32 v1, v0, 16, 1
	v_add3_u32 v0, v0, v1, s30
	v_accvgpr_write_b32 a44, v0
                                        ; implicit-def: $vgpr0
; %bb.174:                              ;   in Loop: Header=BB357_13 Depth=1
	s_andn2_saveexec_b64 s[26:27], s[4:5]
; %bb.175:                              ;   in Loop: Header=BB357_13 Depth=1
	v_or_b32_e32 v1, 0x10000, v0
	v_cmp_eq_u32_sdwa s[4:5], v0, v47 src0_sel:WORD_0 src1_sel:DWORD
	s_nop 1
	v_cndmask_b32_e64 v0, v1, v0, s[4:5]
	v_accvgpr_write_b32 a44, v0
; %bb.176:                              ;   in Loop: Header=BB357_13 Depth=1
	s_or_b64 exec, exec, s[26:27]
	flat_load_dword v0, v[60:61] offset:2560
                                        ; implicit-def: $agpr8
	s_waitcnt vmcnt(0) lgkmcnt(0)
	v_and_b32_e32 v1, 0xff, v0
	v_cvt_f32_fp8_sdwa v1, v1 src0_sel:BYTE_0
	s_nop 0
	v_mul_f32_e32 v1, v11, v1
	v_and_b32_e32 v2, 0x7f800000, v1
	v_cmp_ne_u32_e64 s[4:5], s29, v2
	s_and_saveexec_b64 s[26:27], s[4:5]
	s_xor_b64 s[4:5], exec, s[26:27]
; %bb.177:                              ;   in Loop: Header=BB357_13 Depth=1
	v_bfe_u32 v2, v1, 16, 1
	v_add3_u32 v1, v1, v2, s30
	v_accvgpr_write_b32 a8, v1
                                        ; implicit-def: $vgpr1
; %bb.178:                              ;   in Loop: Header=BB357_13 Depth=1
	s_andn2_saveexec_b64 s[26:27], s[4:5]
; %bb.179:                              ;   in Loop: Header=BB357_13 Depth=1
	v_or_b32_e32 v2, 0x10000, v1
	v_cmp_eq_u32_sdwa s[4:5], v1, v47 src0_sel:WORD_0 src1_sel:DWORD
	s_nop 1
	v_cndmask_b32_e64 v1, v2, v1, s[4:5]
	v_accvgpr_write_b32 a8, v1
; %bb.180:                              ;   in Loop: Header=BB357_13 Depth=1
	s_or_b64 exec, exec, s[26:27]
	v_bfe_u32 v1, v0, 8, 8
	v_cvt_f32_fp8_sdwa v1, v1 src0_sel:BYTE_0
                                        ; implicit-def: $agpr14
	s_nop 0
	v_mul_f32_e32 v1, v11, v1
	v_and_b32_e32 v2, 0x7f800000, v1
	v_cmp_ne_u32_e64 s[4:5], s29, v2
	s_and_saveexec_b64 s[26:27], s[4:5]
	s_xor_b64 s[4:5], exec, s[26:27]
; %bb.181:                              ;   in Loop: Header=BB357_13 Depth=1
	v_bfe_u32 v2, v1, 16, 1
	v_add3_u32 v1, v1, v2, s30
	v_accvgpr_write_b32 a14, v1
                                        ; implicit-def: $vgpr1
; %bb.182:                              ;   in Loop: Header=BB357_13 Depth=1
	s_andn2_saveexec_b64 s[26:27], s[4:5]
; %bb.183:                              ;   in Loop: Header=BB357_13 Depth=1
	v_or_b32_e32 v2, 0x10000, v1
	v_cmp_eq_u32_sdwa s[4:5], v1, v47 src0_sel:WORD_0 src1_sel:DWORD
	s_nop 1
	v_cndmask_b32_e64 v1, v2, v1, s[4:5]
	v_accvgpr_write_b32 a14, v1
; %bb.184:                              ;   in Loop: Header=BB357_13 Depth=1
	s_or_b64 exec, exec, s[26:27]
	v_bfe_u32 v1, v0, 16, 8
	v_cvt_f32_fp8_sdwa v1, v1 src0_sel:BYTE_0
                                        ; implicit-def: $agpr33
	s_nop 0
	v_mul_f32_e32 v1, v11, v1
	v_and_b32_e32 v2, 0x7f800000, v1
	v_cmp_ne_u32_e64 s[4:5], s29, v2
	s_and_saveexec_b64 s[26:27], s[4:5]
	s_xor_b64 s[4:5], exec, s[26:27]
; %bb.185:                              ;   in Loop: Header=BB357_13 Depth=1
	v_bfe_u32 v2, v1, 16, 1
	v_add3_u32 v1, v1, v2, s30
	v_accvgpr_write_b32 a33, v1
                                        ; implicit-def: $vgpr1
; %bb.186:                              ;   in Loop: Header=BB357_13 Depth=1
	s_andn2_saveexec_b64 s[26:27], s[4:5]
; %bb.187:                              ;   in Loop: Header=BB357_13 Depth=1
	v_or_b32_e32 v2, 0x10000, v1
	v_cmp_eq_u32_sdwa s[4:5], v1, v47 src0_sel:WORD_0 src1_sel:DWORD
	s_nop 1
	v_cndmask_b32_e64 v1, v2, v1, s[4:5]
	v_accvgpr_write_b32 a33, v1
; %bb.188:                              ;   in Loop: Header=BB357_13 Depth=1
	s_or_b64 exec, exec, s[26:27]
	v_lshrrev_b32_e32 v0, 24, v0
	v_cvt_f32_fp8_sdwa v0, v0 src0_sel:BYTE_0
                                        ; implicit-def: $agpr7
	s_nop 0
	v_mul_f32_e32 v0, v11, v0
	v_and_b32_e32 v1, 0x7f800000, v0
	v_cmp_ne_u32_e64 s[4:5], s29, v1
	s_and_saveexec_b64 s[26:27], s[4:5]
	s_xor_b64 s[4:5], exec, s[26:27]
; %bb.189:                              ;   in Loop: Header=BB357_13 Depth=1
	v_bfe_u32 v1, v0, 16, 1
	v_add3_u32 v0, v0, v1, s30
	v_accvgpr_write_b32 a7, v0
                                        ; implicit-def: $vgpr0
; %bb.190:                              ;   in Loop: Header=BB357_13 Depth=1
	s_andn2_saveexec_b64 s[26:27], s[4:5]
; %bb.191:                              ;   in Loop: Header=BB357_13 Depth=1
	v_or_b32_e32 v1, 0x10000, v0
	v_cmp_eq_u32_sdwa s[4:5], v0, v47 src0_sel:WORD_0 src1_sel:DWORD
	s_nop 1
	v_cndmask_b32_e64 v0, v1, v0, s[4:5]
	v_accvgpr_write_b32 a7, v0
; %bb.192:                              ;   in Loop: Header=BB357_13 Depth=1
	s_or_b64 exec, exec, s[26:27]
	flat_load_dword v0, v[60:61] offset:2568
                                        ; implicit-def: $agpr9
	s_waitcnt vmcnt(0) lgkmcnt(0)
	v_and_b32_e32 v1, 0xff, v0
	v_cvt_f32_fp8_sdwa v1, v1 src0_sel:BYTE_0
	s_nop 0
	v_mul_f32_e32 v1, v11, v1
	v_and_b32_e32 v2, 0x7f800000, v1
	v_cmp_ne_u32_e64 s[4:5], s29, v2
	s_and_saveexec_b64 s[26:27], s[4:5]
	s_xor_b64 s[4:5], exec, s[26:27]
; %bb.193:                              ;   in Loop: Header=BB357_13 Depth=1
	v_bfe_u32 v2, v1, 16, 1
	v_add3_u32 v1, v1, v2, s30
	v_accvgpr_write_b32 a9, v1
                                        ; implicit-def: $vgpr1
; %bb.194:                              ;   in Loop: Header=BB357_13 Depth=1
	s_andn2_saveexec_b64 s[26:27], s[4:5]
; %bb.195:                              ;   in Loop: Header=BB357_13 Depth=1
	v_or_b32_e32 v2, 0x10000, v1
	v_cmp_eq_u32_sdwa s[4:5], v1, v47 src0_sel:WORD_0 src1_sel:DWORD
	s_nop 1
	v_cndmask_b32_e64 v1, v2, v1, s[4:5]
	v_accvgpr_write_b32 a9, v1
; %bb.196:                              ;   in Loop: Header=BB357_13 Depth=1
	s_or_b64 exec, exec, s[26:27]
	v_bfe_u32 v1, v0, 8, 8
	v_cvt_f32_fp8_sdwa v1, v1 src0_sel:BYTE_0
                                        ; implicit-def: $agpr11
	s_nop 0
	v_mul_f32_e32 v1, v11, v1
	v_and_b32_e32 v2, 0x7f800000, v1
	v_cmp_ne_u32_e64 s[4:5], s29, v2
	s_and_saveexec_b64 s[26:27], s[4:5]
	s_xor_b64 s[4:5], exec, s[26:27]
; %bb.197:                              ;   in Loop: Header=BB357_13 Depth=1
	v_bfe_u32 v2, v1, 16, 1
	v_add3_u32 v1, v1, v2, s30
	v_accvgpr_write_b32 a11, v1
                                        ; implicit-def: $vgpr1
; %bb.198:                              ;   in Loop: Header=BB357_13 Depth=1
	s_andn2_saveexec_b64 s[26:27], s[4:5]
; %bb.199:                              ;   in Loop: Header=BB357_13 Depth=1
	v_or_b32_e32 v2, 0x10000, v1
	v_cmp_eq_u32_sdwa s[4:5], v1, v47 src0_sel:WORD_0 src1_sel:DWORD
	s_nop 1
	v_cndmask_b32_e64 v1, v2, v1, s[4:5]
	v_accvgpr_write_b32 a11, v1
; %bb.200:                              ;   in Loop: Header=BB357_13 Depth=1
	s_or_b64 exec, exec, s[26:27]
	v_bfe_u32 v1, v0, 16, 8
	v_cvt_f32_fp8_sdwa v1, v1 src0_sel:BYTE_0
                                        ; implicit-def: $agpr6
	s_nop 0
	v_mul_f32_e32 v1, v11, v1
	v_and_b32_e32 v2, 0x7f800000, v1
	v_cmp_ne_u32_e64 s[4:5], s29, v2
	s_and_saveexec_b64 s[26:27], s[4:5]
	s_xor_b64 s[4:5], exec, s[26:27]
; %bb.201:                              ;   in Loop: Header=BB357_13 Depth=1
	v_bfe_u32 v2, v1, 16, 1
	v_add3_u32 v1, v1, v2, s30
	v_accvgpr_write_b32 a6, v1
                                        ; implicit-def: $vgpr1
; %bb.202:                              ;   in Loop: Header=BB357_13 Depth=1
	s_andn2_saveexec_b64 s[26:27], s[4:5]
; %bb.203:                              ;   in Loop: Header=BB357_13 Depth=1
	v_or_b32_e32 v2, 0x10000, v1
	v_cmp_eq_u32_sdwa s[4:5], v1, v47 src0_sel:WORD_0 src1_sel:DWORD
	s_nop 1
	v_cndmask_b32_e64 v1, v2, v1, s[4:5]
	v_accvgpr_write_b32 a6, v1
; %bb.204:                              ;   in Loop: Header=BB357_13 Depth=1
	s_or_b64 exec, exec, s[26:27]
	v_lshrrev_b32_e32 v0, 24, v0
	v_cvt_f32_fp8_sdwa v0, v0 src0_sel:BYTE_0
                                        ; implicit-def: $agpr40
	s_nop 0
	v_mul_f32_e32 v0, v11, v0
	v_and_b32_e32 v1, 0x7f800000, v0
	v_cmp_ne_u32_e64 s[4:5], s29, v1
	s_and_saveexec_b64 s[26:27], s[4:5]
	s_xor_b64 s[4:5], exec, s[26:27]
; %bb.205:                              ;   in Loop: Header=BB357_13 Depth=1
	v_bfe_u32 v1, v0, 16, 1
	v_add3_u32 v0, v0, v1, s30
	v_accvgpr_write_b32 a40, v0
                                        ; implicit-def: $vgpr0
; %bb.206:                              ;   in Loop: Header=BB357_13 Depth=1
	s_andn2_saveexec_b64 s[26:27], s[4:5]
; %bb.207:                              ;   in Loop: Header=BB357_13 Depth=1
	v_or_b32_e32 v1, 0x10000, v0
	v_cmp_eq_u32_sdwa s[4:5], v0, v47 src0_sel:WORD_0 src1_sel:DWORD
	s_nop 1
	v_cndmask_b32_e64 v0, v1, v0, s[4:5]
	v_accvgpr_write_b32 a40, v0
; %bb.208:                              ;   in Loop: Header=BB357_13 Depth=1
	s_or_b64 exec, exec, s[26:27]
	flat_load_dword v0, v[60:61] offset:3072
                                        ; implicit-def: $agpr38
	s_waitcnt vmcnt(0) lgkmcnt(0)
	v_and_b32_e32 v1, 0xff, v0
	v_cvt_f32_fp8_sdwa v1, v1 src0_sel:BYTE_0
	s_nop 0
	v_mul_f32_e32 v1, v11, v1
	v_and_b32_e32 v2, 0x7f800000, v1
	v_cmp_ne_u32_e64 s[4:5], s29, v2
	s_and_saveexec_b64 s[26:27], s[4:5]
	s_xor_b64 s[4:5], exec, s[26:27]
; %bb.209:                              ;   in Loop: Header=BB357_13 Depth=1
	v_bfe_u32 v2, v1, 16, 1
	v_add3_u32 v1, v1, v2, s30
	v_accvgpr_write_b32 a38, v1
                                        ; implicit-def: $vgpr1
; %bb.210:                              ;   in Loop: Header=BB357_13 Depth=1
	s_andn2_saveexec_b64 s[26:27], s[4:5]
; %bb.211:                              ;   in Loop: Header=BB357_13 Depth=1
	v_or_b32_e32 v2, 0x10000, v1
	v_cmp_eq_u32_sdwa s[4:5], v1, v47 src0_sel:WORD_0 src1_sel:DWORD
	s_nop 1
	v_cndmask_b32_e64 v1, v2, v1, s[4:5]
	v_accvgpr_write_b32 a38, v1
; %bb.212:                              ;   in Loop: Header=BB357_13 Depth=1
	s_or_b64 exec, exec, s[26:27]
	v_bfe_u32 v1, v0, 8, 8
	v_cvt_f32_fp8_sdwa v1, v1 src0_sel:BYTE_0
                                        ; implicit-def: $vgpr19
	s_nop 0
	v_mul_f32_e32 v2, v11, v1
	v_and_b32_e32 v1, 0x7f800000, v2
	v_cmp_ne_u32_e64 s[4:5], s29, v1
	s_and_saveexec_b64 s[26:27], s[4:5]
	s_xor_b64 s[4:5], exec, s[26:27]
; %bb.213:                              ;   in Loop: Header=BB357_13 Depth=1
	v_bfe_u32 v1, v2, 16, 1
	v_add3_u32 v19, v2, v1, s30
                                        ; implicit-def: $vgpr2
; %bb.214:                              ;   in Loop: Header=BB357_13 Depth=1
	s_andn2_saveexec_b64 s[26:27], s[4:5]
; %bb.215:                              ;   in Loop: Header=BB357_13 Depth=1
	v_or_b32_e32 v1, 0x10000, v2
	v_cmp_eq_u32_sdwa s[4:5], v2, v47 src0_sel:WORD_0 src1_sel:DWORD
	s_nop 1
	v_cndmask_b32_e64 v19, v1, v2, s[4:5]
; %bb.216:                              ;   in Loop: Header=BB357_13 Depth=1
	s_or_b64 exec, exec, s[26:27]
	v_bfe_u32 v2, v0, 16, 8
	v_cvt_f32_fp8_sdwa v2, v2 src0_sel:BYTE_0
                                        ; implicit-def: $vgpr20
	s_nop 0
	v_mul_f32_e32 v2, v11, v2
	v_and_b32_e32 v3, 0x7f800000, v2
	v_cmp_ne_u32_e64 s[4:5], s29, v3
	s_and_saveexec_b64 s[26:27], s[4:5]
	s_xor_b64 s[4:5], exec, s[26:27]
; %bb.217:                              ;   in Loop: Header=BB357_13 Depth=1
	v_bfe_u32 v3, v2, 16, 1
	v_add3_u32 v20, v2, v3, s30
                                        ; implicit-def: $vgpr2
; %bb.218:                              ;   in Loop: Header=BB357_13 Depth=1
	s_andn2_saveexec_b64 s[26:27], s[4:5]
; %bb.219:                              ;   in Loop: Header=BB357_13 Depth=1
	v_or_b32_e32 v3, 0x10000, v2
	v_cmp_eq_u32_sdwa s[4:5], v2, v47 src0_sel:WORD_0 src1_sel:DWORD
	s_nop 1
	v_cndmask_b32_e64 v20, v3, v2, s[4:5]
; %bb.220:                              ;   in Loop: Header=BB357_13 Depth=1
	s_or_b64 exec, exec, s[26:27]
	v_lshrrev_b32_e32 v0, 24, v0
	v_cvt_f32_fp8_sdwa v0, v0 src0_sel:BYTE_0
                                        ; implicit-def: $vgpr41
	s_nop 0
	v_mul_f32_e32 v0, v11, v0
	v_and_b32_e32 v2, 0x7f800000, v0
	v_cmp_ne_u32_e64 s[4:5], s29, v2
	s_and_saveexec_b64 s[26:27], s[4:5]
	s_xor_b64 s[4:5], exec, s[26:27]
; %bb.221:                              ;   in Loop: Header=BB357_13 Depth=1
	v_bfe_u32 v2, v0, 16, 1
	v_add3_u32 v41, v0, v2, s30
                                        ; implicit-def: $vgpr0
; %bb.222:                              ;   in Loop: Header=BB357_13 Depth=1
	s_andn2_saveexec_b64 s[26:27], s[4:5]
; %bb.223:                              ;   in Loop: Header=BB357_13 Depth=1
	v_or_b32_e32 v2, 0x10000, v0
	v_cmp_eq_u32_sdwa s[4:5], v0, v47 src0_sel:WORD_0 src1_sel:DWORD
	s_nop 1
	v_cndmask_b32_e64 v41, v2, v0, s[4:5]
; %bb.224:                              ;   in Loop: Header=BB357_13 Depth=1
	s_or_b64 exec, exec, s[26:27]
	flat_load_dword v2, v[60:61] offset:3080
                                        ; implicit-def: $vgpr60
	s_waitcnt vmcnt(0) lgkmcnt(0)
	v_and_b32_e32 v0, 0xff, v2
	v_cvt_f32_fp8_sdwa v0, v0 src0_sel:BYTE_0
	s_nop 0
	v_mul_f32_e32 v0, v11, v0
	v_and_b32_e32 v3, 0x7f800000, v0
	v_cmp_ne_u32_e64 s[4:5], s29, v3
	s_and_saveexec_b64 s[26:27], s[4:5]
	s_xor_b64 s[4:5], exec, s[26:27]
; %bb.225:                              ;   in Loop: Header=BB357_13 Depth=1
	v_bfe_u32 v3, v0, 16, 1
	v_add3_u32 v60, v0, v3, s30
                                        ; implicit-def: $vgpr0
; %bb.226:                              ;   in Loop: Header=BB357_13 Depth=1
	s_andn2_saveexec_b64 s[26:27], s[4:5]
; %bb.227:                              ;   in Loop: Header=BB357_13 Depth=1
	v_or_b32_e32 v3, 0x10000, v0
	v_cmp_eq_u32_sdwa s[4:5], v0, v47 src0_sel:WORD_0 src1_sel:DWORD
	s_nop 1
	v_cndmask_b32_e64 v60, v3, v0, s[4:5]
; %bb.228:                              ;   in Loop: Header=BB357_13 Depth=1
	s_or_b64 exec, exec, s[26:27]
	v_bfe_u32 v0, v2, 8, 8
	v_cvt_f32_fp8_sdwa v0, v0 src0_sel:BYTE_0
	s_nop 0
	v_mul_f32_e32 v3, v11, v0
	v_and_b32_e32 v0, 0x7f800000, v3
	v_cmp_ne_u32_e64 s[4:5], s29, v0
                                        ; implicit-def: $vgpr0
	s_and_saveexec_b64 s[26:27], s[4:5]
	s_xor_b64 s[4:5], exec, s[26:27]
; %bb.229:                              ;   in Loop: Header=BB357_13 Depth=1
	v_bfe_u32 v0, v3, 16, 1
	v_add3_u32 v0, v3, v0, s30
                                        ; implicit-def: $vgpr3
; %bb.230:                              ;   in Loop: Header=BB357_13 Depth=1
	s_andn2_saveexec_b64 s[26:27], s[4:5]
; %bb.231:                              ;   in Loop: Header=BB357_13 Depth=1
	v_or_b32_e32 v0, 0x10000, v3
	v_cmp_eq_u32_sdwa s[4:5], v3, v47 src0_sel:WORD_0 src1_sel:DWORD
	s_nop 1
	v_cndmask_b32_e64 v0, v0, v3, s[4:5]
; %bb.232:                              ;   in Loop: Header=BB357_13 Depth=1
	s_or_b64 exec, exec, s[26:27]
	v_bfe_u32 v3, v2, 16, 8
	v_cvt_f32_fp8_sdwa v3, v3 src0_sel:BYTE_0
                                        ; implicit-def: $vgpr61
	s_nop 0
	v_mul_f32_e32 v3, v11, v3
	v_and_b32_e32 v15, 0x7f800000, v3
	v_cmp_ne_u32_e64 s[4:5], s29, v15
	s_and_saveexec_b64 s[26:27], s[4:5]
	s_xor_b64 s[4:5], exec, s[26:27]
; %bb.233:                              ;   in Loop: Header=BB357_13 Depth=1
	v_bfe_u32 v15, v3, 16, 1
	v_add3_u32 v61, v3, v15, s30
                                        ; implicit-def: $vgpr3
; %bb.234:                              ;   in Loop: Header=BB357_13 Depth=1
	s_andn2_saveexec_b64 s[26:27], s[4:5]
; %bb.235:                              ;   in Loop: Header=BB357_13 Depth=1
	v_or_b32_e32 v15, 0x10000, v3
	v_cmp_eq_u32_sdwa s[4:5], v3, v47 src0_sel:WORD_0 src1_sel:DWORD
	s_nop 1
	v_cndmask_b32_e64 v61, v15, v3, s[4:5]
; %bb.236:                              ;   in Loop: Header=BB357_13 Depth=1
	s_or_b64 exec, exec, s[26:27]
	v_lshrrev_b32_e32 v2, 24, v2
	v_cvt_f32_fp8_sdwa v2, v2 src0_sel:BYTE_0
	s_nop 0
	v_mul_f32_e32 v2, v11, v2
	v_and_b32_e32 v3, 0x7f800000, v2
	v_cmp_ne_u32_e64 s[4:5], s29, v3
                                        ; implicit-def: $vgpr11
	s_and_saveexec_b64 s[26:27], s[4:5]
	s_xor_b64 s[4:5], exec, s[26:27]
; %bb.237:                              ;   in Loop: Header=BB357_13 Depth=1
	v_bfe_u32 v3, v2, 16, 1
	v_add3_u32 v11, v2, v3, s30
                                        ; implicit-def: $vgpr2
; %bb.238:                              ;   in Loop: Header=BB357_13 Depth=1
	s_or_saveexec_b64 s[26:27], s[4:5]
	v_accvgpr_write_b32 a41, v12
	s_xor_b64 exec, exec, s[26:27]
; %bb.239:                              ;   in Loop: Header=BB357_13 Depth=1
	v_or_b32_e32 v3, 0x10000, v2
	v_cmp_eq_u32_sdwa s[4:5], v2, v47 src0_sel:WORD_0 src1_sel:DWORD
	s_nop 1
	v_cndmask_b32_e64 v11, v3, v2, s[4:5]
; %bb.240:                              ;   in Loop: Header=BB357_13 Depth=1
	s_or_b64 exec, exec, s[26:27]
	v_lshlrev_b32_e32 v2, 16, v52
	v_and_b32_e32 v23, 0xffff0000, v52
	v_lshlrev_b32_e32 v56, 16, v48
	v_lshlrev_b32_e32 v57, 16, v49
	;; [unrolled: 1-line block ×3, first 2 shown]
	v_and_b32_e32 v42, 0xffff0000, v48
	v_and_b32_e32 v25, 0xffff0000, v49
	;; [unrolled: 1-line block ×3, first 2 shown]
	v_lshlrev_b32_e32 v45, 16, v36
	v_lshlrev_b32_e32 v22, 16, v37
	;; [unrolled: 1-line block ×3, first 2 shown]
	v_and_b32_e32 v62, 0xffff0000, v36
	v_and_b32_e32 v26, 0xffff0000, v37
	;; [unrolled: 1-line block ×3, first 2 shown]
	v_lshlrev_b32_e32 v15, 16, v33
	v_and_b32_e32 v3, 0xffff0000, v33
	v_lshlrev_b32_e32 v50, 16, v6
	v_lshlrev_b32_e32 v48, 16, v7
	;; [unrolled: 1-line block ×4, first 2 shown]
	v_and_b32_e32 v52, 0xffff0000, v6
	v_and_b32_e32 v49, 0xffff0000, v7
	;; [unrolled: 1-line block ×4, first 2 shown]
	v_accvgpr_read_b32 v6, a48
	v_accvgpr_read_b32 v8, a50
	v_lshlrev_b32_e32 v14, 16, v53
	v_and_b32_e32 v18, 0xffff0000, v53
	v_lshlrev_b32_e32 v5, 16, v51
	v_and_b32_e32 v24, 0xffff0000, v51
	;; [unrolled: 2-line block ×4, first 2 shown]
	v_accvgpr_read_b32 v9, a51
	v_lshlrev_b32_e32 v35, 16, v6
	v_and_b32_e32 v38, 0xffff0000, v6
	v_and_b32_e32 v6, 0xffff0000, v8
	v_lshlrev_b32_e32 v28, 16, v54
	v_lshlrev_b32_e32 v29, 16, v55
	v_and_b32_e32 v43, 0xffff0000, v54
	v_and_b32_e32 v12, 0xffff0000, v55
	v_lshlrev_b32_e32 v54, 16, v34
	v_and_b32_e32 v55, 0xffff0000, v34
	v_accvgpr_read_b32 v7, a49
	v_lshlrev_b32_e32 v34, 16, v8
	v_accvgpr_write_b32 a50, v6
	v_and_b32_e32 v6, 0xffff0000, v9
	v_accvgpr_write_b32 a49, v34
	v_lshlrev_b32_e32 v34, 16, v9
	v_accvgpr_write_b32 a48, v6
	v_accvgpr_read_b32 v6, a55
	v_lshlrev_b32_e32 v16, 16, v32
	v_and_b32_e32 v17, 0xffff0000, v32
	v_lshlrev_b32_e32 v32, 16, v7
	v_accvgpr_write_b32 a39, v34
	v_and_b32_e32 v34, 0xffff0000, v7
	v_and_b32_e32 v6, 0xffff0000, v6
	v_accvgpr_read_b32 v7, a47
	v_mul_f32_e32 v6, v28, v6
	v_and_b32_e32 v7, 0xffff0000, v7
	v_fmac_f32_e32 v6, v2, v7
	v_accvgpr_read_b32 v2, a56
	v_and_b32_e32 v2, 0xffff0000, v2
	v_mul_f32_e32 v7, v43, v2
	v_accvgpr_read_b32 v2, a52
	v_and_b32_e32 v2, 0xffff0000, v2
	v_fmac_f32_e32 v7, v23, v2
	v_accvgpr_read_b32 v2, a57
	v_and_b32_e32 v2, 0xffff0000, v2
	v_mul_f32_e32 v8, v29, v2
	v_accvgpr_read_b32 v2, a53
	;; [unrolled: 6-line block ×3, first 2 shown]
	v_and_b32_e32 v2, 0xffff0000, v2
	v_fmac_f32_e32 v9, v18, v2
	v_accvgpr_read_b32 v2, a59
	v_and_b32_e32 v2, 0xffff0000, v2
	v_fmac_f32_e32 v6, v56, v2
	v_accvgpr_read_b32 v2, a60
	;; [unrolled: 3-line block ×3, first 2 shown]
	v_and_b32_e32 v2, 0xffff0000, v2
	v_fmac_f32_e32 v8, v57, v2
	scratch_load_dword v57, off, s32 offset:240 ; 4-byte Folded Reload
	v_accvgpr_read_b32 v2, a62
	v_and_b32_e32 v2, 0xffff0000, v2
	v_fmac_f32_e32 v9, v25, v2
	v_accvgpr_read_b32 v2, a63
	v_and_b32_e32 v2, 0xffff0000, v2
	v_fmac_f32_e32 v6, v40, v2
	;; [unrolled: 3-line block ×13, first 2 shown]
	v_accvgpr_read_b32 v1, a26
	v_and_b32_e32 v1, 0xffff0000, v1
	v_accvgpr_read_b32 v5, a9
	v_fmac_f32_e32 v6, v16, v1
	v_accvgpr_read_b32 v1, a25
	v_and_b32_e32 v22, 0xffff0000, v5
	v_accvgpr_read_b32 v5, a33
	v_accvgpr_read_b32 v42, a23
	v_and_b32_e32 v1, 0xffff0000, v1
	v_and_b32_e32 v2, 0xffff0000, v20
	v_and_b32_e32 v20, 0xffff0000, v41
	v_and_b32_e32 v41, 0xffff0000, v5
	v_accvgpr_read_b32 v5, a7
	v_accvgpr_read_b32 v18, a16
	;; [unrolled: 1-line block ×3, first 2 shown]
	v_and_b32_e32 v42, 0xffff0000, v42
	v_fmac_f32_e32 v7, v17, v1
	v_accvgpr_read_b32 v4, a38
	v_and_b32_e32 v24, 0xffff0000, v5
	v_accvgpr_read_b32 v5, a14
	v_accvgpr_read_b32 v12, a44
	;; [unrolled: 1-line block ×4, first 2 shown]
	v_and_b32_e32 v18, 0xffff0000, v18
	v_and_b32_e32 v29, 0xffff0000, v29
	v_accvgpr_read_b32 v43, a24
	v_fmac_f32_e32 v6, v54, v42
	v_and_b32_e32 v1, 0xffff0000, v19
	v_and_b32_e32 v10, 0xffff0000, v4
	v_accvgpr_read_b32 v4, a6
	v_and_b32_e32 v44, 0xffff0000, v5
	v_accvgpr_read_b32 v5, a8
	;; [unrolled: 2-line block ×3, first 2 shown]
	v_and_b32_e32 v19, 0xffff0000, v14
	v_and_b32_e32 v17, 0xffff0000, v17
	v_accvgpr_read_b32 v23, a21
	v_and_b32_e32 v43, 0xffff0000, v43
	v_accvgpr_read_b32 v45, a22
	v_fmac_f32_e32 v7, v55, v29
	v_fmac_f32_e32 v6, v50, v18
	v_and_b32_e32 v30, 0xffff0000, v4
	v_accvgpr_read_b32 v4, a40
	v_and_b32_e32 v25, 0xffff0000, v5
	v_and_b32_e32 v12, 0xffff0000, v12
	v_accvgpr_read_b32 v14, a2
	v_and_b32_e32 v23, 0xffff0000, v23
	v_accvgpr_read_b32 v28, a18
	v_and_b32_e32 v45, 0xffff0000, v45
	v_fmac_f32_e32 v8, v15, v43
	v_fmac_f32_e32 v7, v52, v17
	;; [unrolled: 1-line block ×3, first 2 shown]
	v_and_b32_e32 v26, 0xffff0000, v4
	v_accvgpr_read_b32 v4, a11
	v_accvgpr_read_b32 v5, a5
	v_and_b32_e32 v14, 0xffff0000, v14
	v_accvgpr_read_b32 v16, a37
	v_and_b32_e32 v28, 0xffff0000, v28
	v_fmac_f32_e32 v9, v3, v45
	v_fmac_f32_e32 v8, v53, v23
	;; [unrolled: 1-line block ×4, first 2 shown]
	v_accvgpr_read_b32 v3, a49
	v_and_b32_e32 v4, 0xffff0000, v4
	v_and_b32_e32 v5, 0xffff0000, v5
	v_and_b32_e32 v16, 0xffff0000, v16
	v_fmac_f32_e32 v9, v51, v28
	v_fmac_f32_e32 v8, v48, v14
	;; [unrolled: 1-line block ×4, first 2 shown]
	v_accvgpr_read_b32 v3, a50
	v_accvgpr_read_b32 v12, a41
	v_fmac_f32_e32 v9, v49, v16
	v_fmac_f32_e32 v8, v33, v5
	;; [unrolled: 1-line block ×3, first 2 shown]
	ds_read_b64 v[4:5], v12 offset:102
	s_waitcnt vmcnt(0)
	v_and_b32_e32 v43, 64, v57
	v_fmac_f32_e32 v9, v36, v40
	v_fmac_f32_e32 v8, v32, v41
	v_accvgpr_read_b32 v3, a39
	v_xor_b32_e32 v15, 1, v57
	v_add_u32_e32 v43, 64, v43
	v_fmac_f32_e32 v9, v34, v24
	v_fmac_f32_e32 v8, v3, v30
	v_accvgpr_read_b32 v3, a48
	v_cmp_lt_i32_e64 s[4:5], v15, v43
	v_accvgpr_read_b32 v62, a45
	v_fmac_f32_e32 v9, v3, v26
	ds_read_u16 v3, v12 offset:110
	v_accvgpr_read_b32 v56, a46
	v_cndmask_b32_e64 v15, v57, v15, s[4:5]
	v_and_b32_e32 v57, 0xffff0000, v61
	v_and_b32_e32 v61, 0xffff0000, v62
	v_lshlrev_b32_e32 v43, 16, v62
	v_lshlrev_b32_e32 v56, 16, v56
	v_fmac_f32_e32 v7, v61, v1
	s_waitcnt lgkmcnt(1)
	v_lshlrev_b32_e32 v1, 16, v4
	v_and_b32_e32 v0, 0xffff0000, v0
	v_and_b32_e32 v60, 0xffff0000, v60
	v_fmac_f32_e32 v6, v43, v10
	v_fmac_f32_e32 v8, v56, v2
	;; [unrolled: 1-line block ×3, first 2 shown]
	v_and_b32_e32 v1, 0xffff0000, v4
	v_lshlrev_b32_e32 v2, 16, v5
	v_fmac_f32_e32 v6, v1, v60
	v_fmac_f32_e32 v7, v2, v0
	v_and_b32_e32 v0, 0xffff0000, v5
	v_and_b32_e32 v11, 0xffff0000, v11
	s_waitcnt lgkmcnt(0)
	v_lshlrev_b32_e32 v1, 16, v3
	v_fmac_f32_e32 v8, v0, v57
	v_add_f32_e32 v0, v6, v7
	v_fmac_f32_e32 v9, v1, v11
	v_add_f32_e32 v0, v0, v8
	v_lshlrev_b32_e32 v15, 2, v15
	v_add_f32_e32 v0, v9, v0
	ds_bpermute_b32 v1, v15, v0
	s_and_saveexec_b64 s[26:27], vcc
	s_cbranch_execz .LBB357_11
; %bb.241:                              ;   in Loop: Header=BB357_13 Depth=1
	scratch_load_dword v2, off, s32 offset:264 ; 4-byte Folded Reload
	scratch_load_dword v3, off, s32 offset:260 ; 4-byte Folded Reload
	;; [unrolled: 1-line block ×3, first 2 shown]
	s_waitcnt lgkmcnt(0)
	v_add_f32_e32 v0, v0, v1
	scratch_load_dword v1, off, s32 offset:256 ; 4-byte Folded Reload
	s_load_dword s4, s[22:23], 0x0
	s_waitcnt vmcnt(3)
	v_add_u32_e32 v2, v2, v21
	v_cvt_f32_i32_e32 v2, v2
	s_waitcnt vmcnt(2)
	v_add_u32_e32 v3, v3, v21
	s_waitcnt vmcnt(1)
	v_mul_f32_e32 v2, v4, v2
	v_cndmask_b32_e64 v2, 0, v2, s[2:3]
	s_waitcnt vmcnt(0)
	v_fmac_f32_e32 v2, v0, v1
	v_accvgpr_read_b32 v0, a3
	s_waitcnt lgkmcnt(0)
	v_add_u32_e32 v4, s4, v27
	v_cmp_lt_i32_e64 s[4:5], v3, v0
	s_nop 1
	v_cndmask_b32_e64 v0, 0, v2, s[4:5]
	ds_write_b32 v4, v0
	v_max_f32_e32 v0, v13, v13
	v_max_f32_e32 v0, v0, v2
	v_cndmask_b32_e64 v13, v13, v0, s[4:5]
	s_branch .LBB357_11
.LBB357_242:
	s_or_b64 exec, exec, s[24:25]
	scratch_load_dwordx2 v[14:15], off, s32 offset:344 ; 8-byte Folded Reload
	scratch_load_dword v30, off, s32 offset:340 ; 4-byte Folded Reload
	scratch_load_dwordx2 v[24:25], off, s32 offset:332 ; 8-byte Folded Reload
	scratch_load_dwordx2 v[26:27], off, s32 offset:324 ; 8-byte Folded Reload
	;; [unrolled: 1-line block ×5, first 2 shown]
	scratch_load_dword v28, off, s32 offset:304 ; 4-byte Folded Reload
	scratch_load_dword v31, off, s32 offset:280 ; 4-byte Folded Reload
	scratch_load_dwordx2 v[38:39], off, s32 offset:284 ; 8-byte Folded Reload
	scratch_load_dword v23, off, s32 offset:292 ; 4-byte Folded Reload
	v_mbcnt_lo_u32_b32 v0, -1, 0
.LBB357_243:
	s_or_b64 exec, exec, s[8:9]
	scratch_load_dword v5, off, s32 offset:228 ; 4-byte Folded Reload
	v_mbcnt_hi_u32_b32 v0, -1, v0
	s_waitcnt lgkmcnt(0)
	v_and_b32_e32 v1, 64, v0
	v_add_u32_e32 v1, 64, v1
	v_xor_b32_e32 v2, 32, v0
	v_cmp_lt_i32_e32 vcc, v2, v1
	v_xor_b32_e32 v6, 16, v0
	v_max_f32_e32 v4, v13, v13
	v_cndmask_b32_e32 v2, v0, v2, vcc
	v_lshlrev_b32_e32 v2, 2, v2
	ds_bpermute_b32 v3, v2, v13
	v_cmp_lt_i32_e32 vcc, v6, v1
	v_xor_b32_e32 v7, 8, v0
	v_xor_b32_e32 v8, 4, v0
	;; [unrolled: 1-line block ×3, first 2 shown]
	s_waitcnt lgkmcnt(0)
	v_max_f32_e32 v3, v3, v3
	v_max_f32_e32 v4, v4, v3
	v_cndmask_b32_e32 v3, v0, v6, vcc
	v_lshlrev_b32_e32 v3, 2, v3
	ds_bpermute_b32 v6, v3, v4
	v_cmp_lt_i32_e32 vcc, v7, v1
	s_lshr_b32 s24, s28, 16
	s_waitcnt lgkmcnt(0)
	v_max_f32_e32 v6, v6, v6
	v_max_f32_e32 v6, v4, v6
	v_cndmask_b32_e32 v4, v0, v7, vcc
	v_lshlrev_b32_e32 v4, 2, v4
	ds_bpermute_b32 v7, v4, v6
	v_cmp_lt_i32_e32 vcc, v8, v1
	s_waitcnt lgkmcnt(0)
	v_max_f32_e32 v7, v7, v7
	v_max_f32_e32 v7, v6, v7
	v_cndmask_b32_e32 v6, v0, v8, vcc
	v_lshlrev_b32_e32 v6, 2, v6
	ds_bpermute_b32 v8, v6, v7
	v_cmp_lt_i32_e32 vcc, v9, v1
	s_waitcnt lgkmcnt(0)
	v_max_f32_e32 v8, v8, v8
	v_max_f32_e32 v8, v7, v8
	v_cndmask_b32_e32 v7, v0, v9, vcc
	v_lshlrev_b32_e32 v20, 2, v7
	ds_bpermute_b32 v9, v20, v8
	s_waitcnt vmcnt(4)
	v_lshlrev_b32_e32 v7, 2, v28
	s_waitcnt vmcnt(0)
	v_and_b32_e32 v62, 63, v5
	v_cmp_eq_u32_e32 vcc, 0, v62
	s_and_saveexec_b64 s[2:3], vcc
	s_cbranch_execz .LBB357_245
; %bb.244:
	s_waitcnt lgkmcnt(0)
	v_max_f32_e32 v5, v9, v9
	v_max_f32_e32 v8, v8, v8
	v_max_f32_e32 v5, v8, v5
	ds_write_b32 v7, v5 offset:224
.LBB357_245:
	s_or_b64 exec, exec, s[2:3]
	v_cmp_gt_u32_e64 s[2:3], 2, v62
	s_waitcnt lgkmcnt(0)
	v_mov_b32_e32 v9, 0xff7fffff
	v_lshlrev_b32_e32 v8, 2, v62
	s_barrier
	s_and_saveexec_b64 s[4:5], s[2:3]
	s_cbranch_execz .LBB357_247
; %bb.246:
	ds_read_b32 v9, v8 offset:224
.LBB357_247:
	s_or_b64 exec, exec, s[4:5]
	v_xor_b32_e32 v5, 1, v0
	v_cmp_lt_i32_e64 s[4:5], v5, v1
	v_mov_b32_e32 v11, 0
	s_nop 0
	v_cndmask_b32_e64 v1, v0, v5, s[4:5]
	scratch_load_dword v5, off, s32 offset:204 ; 4-byte Folded Reload
	v_lshlrev_b32_e32 v21, 2, v1
	s_waitcnt lgkmcnt(0)
	ds_bpermute_b32 v1, v21, v9
	v_max_f32_e32 v9, v9, v9
	v_lshlrev_b32_e32 v0, 2, v0
	v_and_b32_e32 v10, 0x100, v0
	s_waitcnt lgkmcnt(0)
	v_max_f32_e32 v1, v1, v1
	v_max_f32_e32 v1, v9, v1
	ds_bpermute_b32 v0, v10, v1
	v_accvgpr_read_b32 v1, a3
	s_waitcnt vmcnt(0)
	v_subrev_u32_e32 v5, s19, v5
	v_lshl_add_u32 v5, v5, 5, s15
	v_min_i32_e32 v9, v5, v1
	scratch_load_dword v5, off, s32 offset:228 ; 4-byte Folded Reload
	v_subrev_u32_e32 v1, s15, v9
	s_waitcnt vmcnt(0)
	v_cmp_lt_i32_e64 s[4:5], v5, v1
	s_and_saveexec_b64 s[8:9], s[4:5]
	s_cbranch_execz .LBB357_251
; %bb.248:
	scratch_load_dword v13, off, s32 offset:228 ; 4-byte Folded Reload
	s_ashr_i32 s21, s20, 31
	s_lshl_b64 s[6:7], s[20:21], 2
	s_getpc_b64 s[22:23]
	s_add_u32 s22, s22, llvm.amdgcn.dynlds.offset.table@rel32@lo+4
	s_addc_u32 s23, s23, llvm.amdgcn.dynlds.offset.table@rel32@hi+12
	s_add_u32 s6, s6, s22
	s_addc_u32 s7, s7, s23
	s_load_dword s6, s[6:7], 0x0
	s_mov_b64 s[22:23], 0
	v_mov_b32_e32 v11, 0
	s_waitcnt vmcnt(0) lgkmcnt(0)
	v_lshl_add_u32 v12, v13, 2, s6
.LBB357_249:                            ; =>This Inner Loop Header: Depth=1
	ds_read_b32 v5, v12
	v_add_u32_e32 v13, 0x80, v13
	v_cmp_ge_i32_e64 s[6:7], v13, v1
	s_or_b64 s[22:23], s[6:7], s[22:23]
	s_waitcnt lgkmcnt(0)
	v_sub_f32_e32 v5, v5, v0
	v_mul_f32_e32 v5, 0x3fb8aa3b, v5
	v_exp_f32_e32 v5, v5
	ds_write_b32 v12, v5
	v_add_f32_e32 v11, v11, v5
	v_add_u32_e32 v12, 0x200, v12
	s_andn2_b64 exec, exec, s[22:23]
	s_cbranch_execnz .LBB357_249
; %bb.250:
	s_or_b64 exec, exec, s[22:23]
.LBB357_251:
	s_or_b64 exec, exec, s[8:9]
	ds_bpermute_b32 v2, v2, v11
	s_waitcnt lgkmcnt(0)
	v_add_f32_e32 v2, v11, v2
	ds_bpermute_b32 v3, v3, v2
	s_waitcnt lgkmcnt(0)
	v_add_f32_e32 v2, v2, v3
	;; [unrolled: 3-line block ×6, first 2 shown]
	s_and_saveexec_b64 s[6:7], vcc
	s_cbranch_execz .LBB357_253
; %bb.252:
	ds_write_b32 v7, v2 offset:232
.LBB357_253:
	s_or_b64 exec, exec, s[6:7]
	s_waitcnt lgkmcnt(0)
	s_barrier
	s_and_saveexec_b64 s[6:7], s[2:3]
	s_cbranch_execz .LBB357_255
; %bb.254:
	ds_read_b32 v2, v8 offset:232
.LBB357_255:
	s_or_b64 exec, exec, s[6:7]
	s_waitcnt lgkmcnt(0)
	ds_bpermute_b32 v3, v21, v2
	s_waitcnt lgkmcnt(0)
	v_add_f32_e32 v2, v2, v3
	ds_bpermute_b32 v2, v10, v2
	s_and_saveexec_b64 s[2:3], s[4:5]
	s_cbranch_execz .LBB357_268
; %bb.256:
	s_waitcnt lgkmcnt(0)
	v_add_f32_e32 v3, 0x358637bd, v2
	v_div_scale_f32 v4, s[4:5], v3, v3, 1.0
	v_rcp_f32_e32 v5, v4
	v_div_scale_f32 v6, vcc, 1.0, v3, 1.0
	s_movk_i32 s4, 0x7f
	v_fma_f32 v7, -v4, v5, 1.0
	v_fmac_f32_e32 v5, v7, v5
	v_mul_f32_e32 v7, v6, v5
	v_fma_f32 v8, -v4, v7, v6
	v_fmac_f32_e32 v7, v8, v5
	v_fma_f32 v4, -v4, v7, v6
	v_div_fmas_f32 v4, v4, v5, v7
	scratch_load_dword v5, off, s32 offset:228 ; 4-byte Folded Reload
	v_div_fixup_f32 v6, v4, v3, 1.0
	s_mov_b64 s[6:7], -1
	s_waitcnt vmcnt(0)
	v_xad_u32 v3, v5, -1, v9
	v_subrev_u32_e32 v4, s15, v3
	v_cmp_lt_u32_e32 vcc, s4, v4
	v_mov_b32_e32 v3, v5
	s_and_saveexec_b64 s[4:5], vcc
	s_cbranch_execz .LBB357_265
; %bb.257:
	v_lshrrev_b32_e32 v3, 7, v4
	v_add_u32_e32 v5, -1, v3
	v_lshrrev_b32_e32 v4, 1, v5
	v_mov_b32_e32 v7, v6
	v_add_u32_e32 v4, 1, v4
	v_cmp_lt_u32_e32 vcc, 13, v5
	v_mov_b32_e32 v10, 0
	s_and_saveexec_b64 s[6:7], vcc
	s_cbranch_execz .LBB357_261
; %bb.258:
	scratch_load_dword v5, off, s32 offset:228 ; 4-byte Folded Reload
	s_ashr_i32 s21, s20, 31
	s_lshl_b64 s[8:9], s[20:21], 2
	s_getpc_b64 s[22:23]
	s_add_u32 s22, s22, llvm.amdgcn.dynlds.offset.table@rel32@lo+4
	s_addc_u32 s23, s23, llvm.amdgcn.dynlds.offset.table@rel32@hi+12
	s_add_u32 s8, s8, s22
	s_addc_u32 s9, s9, s23
	s_load_dword s8, s[8:9], 0x0
	v_and_b32_e32 v8, -8, v4
	s_mov_b32 s15, 0
	s_waitcnt vmcnt(0) lgkmcnt(0)
	v_lshl_add_u32 v9, v5, 2, s8
	s_mov_b64 s[8:9], 0
.LBB357_259:                            ; =>This Inner Loop Header: Depth=1
	ds_read2st64_b32 v[10:11], v9 offset1:2
	ds_read2st64_b32 v[12:13], v9 offset0:4 offset1:6
	ds_read2st64_b32 v[18:19], v9 offset0:8 offset1:10
	;; [unrolled: 1-line block ×3, first 2 shown]
	v_add_u32_e32 v8, -8, v8
	s_waitcnt lgkmcnt(3)
	v_pk_mul_f32 v[10:11], v[6:7], v[10:11]
	s_waitcnt lgkmcnt(2)
	v_pk_mul_f32 v[12:13], v[6:7], v[12:13]
	ds_write2st64_b32 v9, v10, v11 offset1:2
	ds_write2st64_b32 v9, v12, v13 offset0:4 offset1:6
	ds_read2st64_b32 v[12:13], v9 offset0:16 offset1:18
	s_waitcnt lgkmcnt(4)
	v_pk_mul_f32 v[10:11], v[6:7], v[18:19]
	ds_write2st64_b32 v9, v10, v11 offset0:8 offset1:10
	s_waitcnt lgkmcnt(4)
	v_pk_mul_f32 v[10:11], v[6:7], v[16:17]
	ds_write2st64_b32 v9, v10, v11 offset0:12 offset1:14
	ds_read2st64_b32 v[10:11], v9 offset0:20 offset1:22
	s_waitcnt lgkmcnt(3)
	v_pk_mul_f32 v[12:13], v[6:7], v[12:13]
	ds_read2st64_b32 v[16:17], v9 offset0:24 offset1:26
	ds_write2st64_b32 v9, v12, v13 offset0:16 offset1:18
	ds_read2st64_b32 v[12:13], v9 offset0:28 offset1:30
	s_waitcnt lgkmcnt(3)
	v_pk_mul_f32 v[10:11], v[6:7], v[10:11]
	ds_write2st64_b32 v9, v10, v11 offset0:20 offset1:22
	s_waitcnt lgkmcnt(3)
	v_pk_mul_f32 v[10:11], v[6:7], v[16:17]
	ds_write2st64_b32 v9, v10, v11 offset0:24 offset1:26
	s_waitcnt lgkmcnt(2)
	v_pk_mul_f32 v[10:11], v[6:7], v[12:13]
	s_add_i32 s15, s15, 16
	v_cmp_eq_u32_e32 vcc, 0, v8
	ds_write2st64_b32 v9, v10, v11 offset0:28 offset1:30
	v_add_u32_e32 v9, 0x2000, v9
	s_or_b64 s[8:9], vcc, s[8:9]
	v_mov_b32_e32 v10, s15
	s_andn2_b64 exec, exec, s[8:9]
	s_cbranch_execnz .LBB357_259
; %bb.260:
	s_or_b64 exec, exec, s[8:9]
.LBB357_261:
	s_or_b64 exec, exec, s[6:7]
	v_and_b32_e32 v4, 7, v4
	v_cmp_ne_u32_e32 vcc, 0, v4
	s_and_saveexec_b64 s[6:7], vcc
	s_cbranch_execz .LBB357_264
; %bb.262:
	scratch_load_dword v8, off, s32 offset:228 ; 4-byte Folded Reload
	s_ashr_i32 s21, s20, 31
	s_lshl_b64 s[8:9], s[20:21], 2
	s_getpc_b64 s[22:23]
	s_add_u32 s22, s22, llvm.amdgcn.dynlds.offset.table@rel32@lo+4
	s_addc_u32 s23, s23, llvm.amdgcn.dynlds.offset.table@rel32@hi+12
	s_add_u32 s8, s8, s22
	s_addc_u32 s9, s9, s23
	s_load_dword s8, s[8:9], 0x0
	v_lshlrev_b32_e32 v5, 9, v10
	s_waitcnt vmcnt(0)
	v_lshlrev_b32_e32 v8, 2, v8
	s_waitcnt lgkmcnt(0)
	v_add3_u32 v8, v5, v8, s8
	s_mov_b64 s[8:9], 0
.LBB357_263:                            ; =>This Inner Loop Header: Depth=1
	ds_read2st64_b32 v[10:11], v8 offset1:2
	v_add_u32_e32 v4, -1, v4
	v_cmp_eq_u32_e32 vcc, 0, v4
	s_or_b64 s[8:9], vcc, s[8:9]
	s_waitcnt lgkmcnt(0)
	v_pk_mul_f32 v[10:11], v[6:7], v[10:11]
	ds_write2st64_b32 v8, v10, v11 offset1:2
	v_add_u32_e32 v8, 0x400, v8
	s_andn2_b64 exec, exec, s[8:9]
	s_cbranch_execnz .LBB357_263
.LBB357_264:
	s_or_b64 exec, exec, s[6:7]
	v_add_u32_e32 v4, 1, v3
	scratch_load_dword v3, off, s32 offset:228 ; 4-byte Folded Reload
	v_and_b32_e32 v5, 0x3fffffe, v4
	v_cmp_ne_u32_e32 vcc, v4, v5
	s_orn2_b64 s[6:7], vcc, exec
	s_waitcnt vmcnt(0)
	v_lshl_add_u32 v3, v5, 7, v3
.LBB357_265:
	s_or_b64 exec, exec, s[4:5]
	s_and_b64 exec, exec, s[6:7]
	s_cbranch_execz .LBB357_268
; %bb.266:
	s_ashr_i32 s21, s20, 31
	s_lshl_b64 s[4:5], s[20:21], 2
	s_getpc_b64 s[6:7]
	s_add_u32 s6, s6, llvm.amdgcn.dynlds.offset.table@rel32@lo+4
	s_addc_u32 s7, s7, llvm.amdgcn.dynlds.offset.table@rel32@hi+12
	s_add_u32 s4, s4, s6
	s_addc_u32 s5, s5, s7
	s_load_dword s4, s[4:5], 0x0
	s_waitcnt lgkmcnt(0)
	v_lshl_add_u32 v4, v3, 2, s4
	s_mov_b64 s[4:5], 0
.LBB357_267:                            ; =>This Inner Loop Header: Depth=1
	ds_read_b32 v5, v4
	v_add_u32_e32 v3, 0x80, v3
	v_cmp_ge_i32_e32 vcc, v3, v1
	s_or_b64 s[4:5], vcc, s[4:5]
	s_waitcnt lgkmcnt(0)
	v_mul_f32_e32 v5, v6, v5
	ds_write_b32 v4, v5
	v_add_u32_e32 v4, 0x200, v4
	s_andn2_b64 exec, exec, s[4:5]
	s_cbranch_execnz .LBB357_267
.LBB357_268:
	s_or_b64 exec, exec, s[2:3]
	s_waitcnt lgkmcnt(0)
	s_barrier
	scratch_load_dword v1, off, s32 offset:228 ; 4-byte Folded Reload
	v_cmp_ne_u16_e64 s[2:3], s24, 0
	s_cmp_lg_u64 s[2:3], 0
	s_addc_u32 s19, s13, 0
	s_waitcnt vmcnt(0)
	v_cmp_eq_u32_e32 vcc, 0, v1
	s_and_saveexec_b64 s[2:3], vcc
	s_cbranch_execz .LBB357_270
; %bb.269:
	s_mul_i32 s4, s19, s16
	s_mul_i32 s4, s4, s17
	;; [unrolled: 1-line block ×3, first 2 shown]
	s_ashr_i32 s5, s4, 31
	s_ashr_i32 s7, s6, 31
	;; [unrolled: 1-line block ×3, first 2 shown]
	s_lshl_b64 s[4:5], s[4:5], 2
	s_lshl_b64 s[6:7], s[6:7], 2
	s_lshl_b64 s[8:9], s[14:15], 2
	s_add_u32 s6, s8, s6
	s_addc_u32 s7, s9, s7
	s_add_u32 s4, s6, s4
	s_addc_u32 s5, s7, s5
	v_lshl_add_u64 v[6:7], s[4:5], 0, v[34:35]
	flat_store_dword v[6:7], v0
	v_lshl_add_u64 v[0:1], s[4:5], 0, v[26:27]
	flat_store_dword v[0:1], v2
.LBB357_270:
	s_or_b64 exec, exec, s[2:3]
	scratch_load_dword v0, off, s32 offset:228 ; 4-byte Folded Reload
	s_ashr_i32 s21, s20, 31
	s_lshl_b64 s[2:3], s[20:21], 2
	s_getpc_b64 s[4:5]
	s_add_u32 s4, s4, llvm.amdgcn.dynlds.offset.table@rel32@lo+4
	s_addc_u32 s5, s5, llvm.amdgcn.dynlds.offset.table@rel32@hi+12
	s_add_u32 s2, s2, s4
	s_addc_u32 s3, s3, s5
	v_mov_b32_e32 v9, 0
	v_mov_b32_e32 v13, 0
	;; [unrolled: 1-line block ×7, first 2 shown]
	s_waitcnt vmcnt(0)
	v_and_b32_e32 v22, 3, v0
	s_and_saveexec_b64 s[4:5], s[0:1]
	s_cbranch_execz .LBB357_770
; %bb.271:
	v_max_i32_e32 v30, v30, v23
	v_cvt_f32_u32_e32 v2, v30
	v_and_b32_e32 v0, 24, v32
	v_accvgpr_write_b32 a19, v0
	v_lshl_add_u64 v[0:1], v[24:25], 0, v[38:39]
	v_rcp_iflag_f32_e32 v2, v2
	v_and_b32_e32 v10, 0x1f8, v32
	v_mov_b32_e32 v11, 0
	v_lshl_add_u64 v[0:1], v[0:1], 0, v[10:11]
	v_mul_f32_e32 v2, 0x4f7ffffe, v2
	v_cvt_u32_f32_e32 v4, v2
	v_add_u32_e32 v3, -1, v31
	v_sub_u32_e32 v5, 0, v30
	v_accvgpr_write_b32 a23, v1
	v_accvgpr_write_b32 a20, v3
	v_accvgpr_read_b32 v2, a12
	v_accvgpr_write_b32 a22, v0
	v_mul_lo_u32 v0, v5, v4
	v_accvgpr_read_b32 v3, a13
	v_mul_hi_u32 v0, v4, v0
	v_lshlrev_b64 v[2:3], 2, v[2:3]
	v_add_u32_e32 v0, v4, v0
	v_accvgpr_write_b32 a24, v0
	v_lshl_add_u64 v[0:1], v[36:37], 2, v[2:3]
	v_lshl_add_u64 v[14:15], v[14:15], 0, v[0:1]
	scratch_load_dword v1, off, s32 offset:276 ; 4-byte Folded Reload
	s_load_dword s0, s[2:3], 0x0
	v_lshlrev_b32_e32 v0, 5, v22
	v_lshl_or_b32 v0, v28, 7, v0
	v_accvgpr_write_b32 a17, v21
	v_accvgpr_write_b32 a16, v20
	;; [unrolled: 1-line block ×3, first 2 shown]
	s_waitcnt lgkmcnt(0)
	v_add_u32_e32 v29, s0, v0
	s_mov_b64 s[6:7], 0
	s_mov_b32 s15, 0x7f800000
	s_movk_i32 s20, 0x7fff
	v_mov_b32_e32 v18, 0
	v_mov_b32_e32 v19, 0
	;; [unrolled: 1-line block ×7, first 2 shown]
	s_branch .LBB357_274
.LBB357_272:                            ;   in Loop: Header=BB357_274 Depth=1
	s_or_b64 exec, exec, s[0:1]
	v_and_b32_e32 v25, 0xffff0000, v53
	v_and_b32_e32 v24, 0xffff0000, v3
	;; [unrolled: 1-line block ×4, first 2 shown]
	v_pk_add_f32 v[2:3], v[2:3], v[24:25]
	v_and_b32_e32 v25, 0xffff0000, v44
	v_and_b32_e32 v24, 0xffff0000, v55
	;; [unrolled: 1-line block ×4, first 2 shown]
	v_pk_add_f32 v[24:25], v[32:33], v[24:25]
	v_add_f32_e32 v2, v2, v3
	v_add_f32_e32 v2, v2, v24
	;; [unrolled: 1-line block ×4, first 2 shown]
	v_and_b32_e32 v2, 0xffff0000, v36
	v_and_b32_e32 v25, 0xffff0000, v37
	;; [unrolled: 1-line block ×8, first 2 shown]
	v_pk_add_f32 v[32:33], v[36:37], v[32:33]
	v_pk_add_f32 v[2:3], v[24:25], v[2:3]
	v_add_f32_e32 v5, v32, v33
	v_add_f32_e32 v2, v5, v2
	;; [unrolled: 1-line block ×3, first 2 shown]
	v_and_b32_e32 v23, 0xffff0000, v35
	v_and_b32_e32 v22, 0xffff0000, v22
	;; [unrolled: 1-line block ×4, first 2 shown]
	v_add_f32_e32 v12, v12, v2
	v_and_b32_e32 v3, 0xffff0000, v20
	v_and_b32_e32 v2, 0xffff0000, v9
	v_and_b32_e32 v9, 0xffff0000, v39
	v_and_b32_e32 v8, 0xffff0000, v8
	v_pk_add_f32 v[6:7], v[6:7], v[22:23]
	v_pk_add_f32 v[2:3], v[8:9], v[2:3]
	v_add_f32_e32 v5, v6, v7
	v_add_f32_e32 v2, v5, v2
	v_accvgpr_read_b32 v5, a47
	v_and_b32_e32 v8, 0xffff0000, v5
	v_accvgpr_read_b32 v5, a46
	v_add_f32_e32 v2, v2, v3
	v_and_b32_e32 v3, 0xffff0000, v21
	v_and_b32_e32 v9, 0xffff0000, v27
	;; [unrolled: 1-line block ×4, first 2 shown]
	v_add_f32_e32 v17, v17, v2
	v_and_b32_e32 v2, 0xffff0000, v42
	v_and_b32_e32 v7, 0xffff0000, v43
	;; [unrolled: 1-line block ×3, first 2 shown]
	v_pk_add_f32 v[8:9], v[20:21], v[8:9]
	v_pk_add_f32 v[2:3], v[6:7], v[2:3]
	v_add_f32_e32 v5, v8, v9
	v_add_f32_e32 v2, v5, v2
	v_accvgpr_read_b32 v5, a44
	v_and_b32_e32 v7, 0xffff0000, v5
	v_accvgpr_read_b32 v5, a42
	v_and_b32_e32 v6, 0xffff0000, v5
	;; [unrolled: 2-line block ×3, first 2 shown]
	v_accvgpr_read_b32 v5, a39
	v_add_f32_e32 v2, v2, v3
	v_and_b32_e32 v8, 0xffff0000, v5
	v_accvgpr_read_b32 v5, a40
	v_add_f32_e32 v16, v16, v2
	v_accvgpr_read_b32 v2, a45
	v_and_b32_e32 v21, 0xffff0000, v5
	v_accvgpr_read_b32 v5, a38
	v_and_b32_e32 v3, 0xffff0000, v2
	;; [unrolled: 2-line block ×3, first 2 shown]
	v_and_b32_e32 v2, 0xffff0000, v2
	v_pk_add_f32 v[8:9], v[20:21], v[8:9]
	v_pk_add_f32 v[2:3], v[6:7], v[2:3]
	v_add_f32_e32 v5, v8, v9
	v_add_f32_e32 v2, v5, v2
	v_accvgpr_read_b32 v5, a29
	v_and_b32_e32 v7, 0xffff0000, v5
	v_accvgpr_read_b32 v5, a27
	v_and_b32_e32 v6, 0xffff0000, v5
	v_accvgpr_read_b32 v5, a26
	v_add_f32_e32 v2, v2, v3
	v_and_b32_e32 v9, 0xffff0000, v5
	v_accvgpr_read_b32 v5, a21
	v_add_f32_e32 v19, v19, v2
	v_accvgpr_read_b32 v2, a30
	v_and_b32_e32 v8, 0xffff0000, v5
	v_accvgpr_read_b32 v5, a25
	v_and_b32_e32 v3, 0xffff0000, v2
	v_accvgpr_read_b32 v2, a28
	v_and_b32_e32 v21, 0xffff0000, v5
	v_and_b32_e32 v20, 0xffff0000, v28
	v_and_b32_e32 v2, 0xffff0000, v2
	v_pk_add_f32 v[8:9], v[20:21], v[8:9]
	v_pk_add_f32 v[2:3], v[6:7], v[2:3]
	v_add_f32_e32 v5, v8, v9
	v_add_f32_e32 v2, v5, v2
	v_add_f32_e32 v2, v2, v3
	v_and_b32_e32 v9, 0xffff0000, v51
	v_and_b32_e32 v8, 0xffff0000, v1
	;; [unrolled: 1-line block ×4, first 2 shown]
	v_add_f32_e32 v18, v18, v2
	v_and_b32_e32 v3, 0xffff0000, v10
	v_and_b32_e32 v2, 0xffff0000, v47
	v_and_b32_e32 v7, 0xffff0000, v4
	v_and_b32_e32 v6, 0xffff0000, v46
	v_pk_add_f32 v[0:1], v[0:1], v[8:9]
	v_pk_add_f32 v[2:3], v[6:7], v[2:3]
	v_add_f32_e32 v0, v0, v1
	v_add_f32_e32 v0, v0, v2
	;; [unrolled: 1-line block ×3, first 2 shown]
	v_accvgpr_read_b32 v9, a15
	v_add_f32_e32 v9, v9, v0
.LBB357_273:                            ;   in Loop: Header=BB357_274 Depth=1
	s_or_b64 exec, exec, s[8:9]
	scratch_load_dword v0, off, s32 offset:204 ; 4-byte Folded Reload
	v_accvgpr_read_b32 v2, a12
	v_add_u32_e32 v2, 2, v2
	v_accvgpr_read_b32 v1, a13
	v_lshl_add_u64 v[14:15], v[14:15], 0, 8
	v_add_u32_e32 v1, 64, v1
	v_accvgpr_write_b32 a12, v2
	v_add_u32_e32 v29, 0x100, v29
	s_waitcnt vmcnt(0)
	v_cmp_ge_i32_e32 vcc, v2, v0
	s_or_b64 s[6:7], vcc, s[6:7]
	s_andn2_b64 exec, exec, s[6:7]
	s_cbranch_execz .LBB357_769
.LBB357_274:                            ; =>This Inner Loop Header: Depth=1
	s_waitcnt vmcnt(0)
	v_ashrrev_i32_e32 v0, 31, v1
	v_mov_b32_e32 v2, v1
	scratch_load_dword v1, off, s32 offset:200 ; 4-byte Folded Reload
	scratch_load_dword v4, off, s32 offset:196 ; 4-byte Folded Reload
	v_accvgpr_write_b32 a13, v2
	s_waitcnt vmcnt(1)
	v_xor_b32_e32 v0, v0, v1
	v_sub_u32_e32 v1, 0, v2
	v_max_i32_e32 v1, v2, v1
	scratch_load_dword v2, off, s32 offset:208 ; 4-byte Folded Reload
	s_waitcnt vmcnt(0)
	v_mul_hi_u32 v2, v1, v2
	v_mul_lo_u32 v3, v2, v4
	v_sub_u32_e32 v1, v1, v3
	v_add_u32_e32 v3, 1, v2
	v_cmp_ge_u32_e32 vcc, v1, v4
	s_nop 1
	v_cndmask_b32_e32 v2, v2, v3, vcc
	v_sub_u32_e32 v3, v1, v4
	v_cndmask_b32_e32 v1, v1, v3, vcc
	v_add_u32_e32 v3, 1, v2
	v_cmp_ge_u32_e32 vcc, v1, v4
	v_accvgpr_read_b32 v4, a24
	s_nop 0
	v_cndmask_b32_e32 v1, v2, v3, vcc
	v_xor_b32_e32 v1, v1, v0
	v_sub_u32_e32 v0, v1, v0
	v_accvgpr_read_b32 v2, a10
	v_add_u32_e32 v1, v0, v2
	v_sub_u32_e32 v3, 0, v1
	v_ashrrev_i32_e32 v2, 31, v1
	v_max_i32_e32 v1, v1, v3
	v_mul_hi_u32 v3, v1, v4
	v_mul_lo_u32 v3, v3, v30
	v_sub_u32_e32 v1, v1, v3
	v_sub_u32_e32 v3, v1, v30
	v_cmp_ge_u32_e32 vcc, v1, v30
	s_nop 1
	v_cndmask_b32_e32 v1, v1, v3, vcc
	v_sub_u32_e32 v3, v1, v30
	v_cmp_ge_u32_e32 vcc, v1, v30
	s_nop 1
	v_cndmask_b32_e32 v1, v1, v3, vcc
	v_xor_b32_e32 v1, v1, v2
	v_sub_u32_e32 v1, v1, v2
	v_cmp_eq_u32_e32 vcc, 0, v1
	scratch_load_dword v1, off, s32 offset:212 ; 4-byte Folded Reload
	s_waitcnt vmcnt(0)
	v_cmp_gt_i32_e64 s[0:1], v0, v1
	s_or_b64 s[0:1], vcc, s[0:1]
	s_and_saveexec_b64 s[8:9], s[0:1]
	s_cbranch_execz .LBB357_273
; %bb.275:                              ;   in Loop: Header=BB357_274 Depth=1
	flat_load_dword v23, v[14:15]
	v_accvgpr_write_b32 a15, v9
	ds_read2_b64 v[6:9], v29 offset1:1
	ds_read2_b64 v[0:3], v29 offset0:2 offset1:3
                                        ; implicit-def: $vgpr22
	s_waitcnt lgkmcnt(0)
	v_and_b32_e32 v4, 0x7f800000, v6
	v_cmp_ne_u32_e32 vcc, s15, v4
	s_and_saveexec_b64 s[0:1], vcc
	s_xor_b64 s[0:1], exec, s[0:1]
; %bb.276:                              ;   in Loop: Header=BB357_274 Depth=1
	v_bfe_u32 v4, v6, 16, 1
	v_add3_u32 v22, v6, v4, s20
; %bb.277:                              ;   in Loop: Header=BB357_274 Depth=1
	s_andn2_saveexec_b64 s[0:1], s[0:1]
; %bb.278:                              ;   in Loop: Header=BB357_274 Depth=1
	v_or_b32_e32 v4, 0x10000, v6
	v_cmp_eq_u32_sdwa vcc, v6, v11 src0_sel:WORD_0 src1_sel:DWORD
	s_nop 1
	v_cndmask_b32_e32 v22, v4, v6, vcc
; %bb.279:                              ;   in Loop: Header=BB357_274 Depth=1
	s_or_b64 exec, exec, s[0:1]
	v_and_b32_e32 v4, 0x7f800000, v7
	v_cmp_ne_u32_e32 vcc, s15, v4
                                        ; implicit-def: $vgpr21
	s_and_saveexec_b64 s[0:1], vcc
	s_xor_b64 s[0:1], exec, s[0:1]
; %bb.280:                              ;   in Loop: Header=BB357_274 Depth=1
	v_bfe_u32 v4, v7, 16, 1
	v_add3_u32 v21, v7, v4, s20
; %bb.281:                              ;   in Loop: Header=BB357_274 Depth=1
	s_andn2_saveexec_b64 s[0:1], s[0:1]
; %bb.282:                              ;   in Loop: Header=BB357_274 Depth=1
	v_or_b32_e32 v4, 0x10000, v7
	v_cmp_eq_u32_sdwa vcc, v7, v11 src0_sel:WORD_0 src1_sel:DWORD
	s_nop 1
	v_cndmask_b32_e32 v21, v4, v7, vcc
; %bb.283:                              ;   in Loop: Header=BB357_274 Depth=1
	s_or_b64 exec, exec, s[0:1]
	v_and_b32_e32 v4, 0x7f800000, v8
	v_cmp_ne_u32_e32 vcc, s15, v4
                                        ; implicit-def: $vgpr20
	s_and_saveexec_b64 s[0:1], vcc
	s_xor_b64 s[0:1], exec, s[0:1]
; %bb.284:                              ;   in Loop: Header=BB357_274 Depth=1
	v_bfe_u32 v4, v8, 16, 1
	v_add3_u32 v20, v8, v4, s20
; %bb.285:                              ;   in Loop: Header=BB357_274 Depth=1
	s_andn2_saveexec_b64 s[0:1], s[0:1]
; %bb.286:                              ;   in Loop: Header=BB357_274 Depth=1
	v_or_b32_e32 v4, 0x10000, v8
	v_cmp_eq_u32_sdwa vcc, v8, v11 src0_sel:WORD_0 src1_sel:DWORD
	s_nop 1
	v_cndmask_b32_e32 v20, v4, v8, vcc
; %bb.287:                              ;   in Loop: Header=BB357_274 Depth=1
	s_or_b64 exec, exec, s[0:1]
	v_and_b32_e32 v4, 0x7f800000, v9
	v_cmp_ne_u32_e32 vcc, s15, v4
                                        ; implicit-def: $vgpr10
	s_and_saveexec_b64 s[0:1], vcc
	s_xor_b64 s[0:1], exec, s[0:1]
; %bb.288:                              ;   in Loop: Header=BB357_274 Depth=1
	v_bfe_u32 v4, v9, 16, 1
	v_add3_u32 v10, v9, v4, s20
                                        ; implicit-def: $vgpr6_vgpr7_vgpr8_vgpr9
; %bb.289:                              ;   in Loop: Header=BB357_274 Depth=1
	s_andn2_saveexec_b64 s[0:1], s[0:1]
; %bb.290:                              ;   in Loop: Header=BB357_274 Depth=1
	v_or_b32_e32 v4, 0x10000, v9
	v_cmp_eq_u32_sdwa vcc, v9, v11 src0_sel:WORD_0 src1_sel:DWORD
	s_nop 1
	v_cndmask_b32_e32 v10, v4, v9, vcc
; %bb.291:                              ;   in Loop: Header=BB357_274 Depth=1
	s_or_b64 exec, exec, s[0:1]
	v_and_b32_e32 v4, 0x7f800000, v0
	v_cmp_ne_u32_e32 vcc, s15, v4
                                        ; implicit-def: $vgpr8
	s_and_saveexec_b64 s[0:1], vcc
	s_xor_b64 s[0:1], exec, s[0:1]
; %bb.292:                              ;   in Loop: Header=BB357_274 Depth=1
	v_bfe_u32 v4, v0, 16, 1
	v_add3_u32 v8, v0, v4, s20
; %bb.293:                              ;   in Loop: Header=BB357_274 Depth=1
	s_andn2_saveexec_b64 s[0:1], s[0:1]
; %bb.294:                              ;   in Loop: Header=BB357_274 Depth=1
	v_or_b32_e32 v4, 0x10000, v0
	v_cmp_eq_u32_sdwa vcc, v0, v11 src0_sel:WORD_0 src1_sel:DWORD
	s_nop 1
	v_cndmask_b32_e32 v8, v4, v0, vcc
; %bb.295:                              ;   in Loop: Header=BB357_274 Depth=1
	s_or_b64 exec, exec, s[0:1]
	v_and_b32_e32 v0, 0x7f800000, v1
	v_cmp_ne_u32_e32 vcc, s15, v0
                                        ; implicit-def: $vgpr7
	s_and_saveexec_b64 s[0:1], vcc
	s_xor_b64 s[0:1], exec, s[0:1]
; %bb.296:                              ;   in Loop: Header=BB357_274 Depth=1
	v_bfe_u32 v0, v1, 16, 1
	v_add3_u32 v7, v1, v0, s20
; %bb.297:                              ;   in Loop: Header=BB357_274 Depth=1
	s_andn2_saveexec_b64 s[0:1], s[0:1]
; %bb.298:                              ;   in Loop: Header=BB357_274 Depth=1
	v_or_b32_e32 v0, 0x10000, v1
	v_cmp_eq_u32_sdwa vcc, v1, v11 src0_sel:WORD_0 src1_sel:DWORD
	s_nop 1
	v_cndmask_b32_e32 v7, v0, v1, vcc
; %bb.299:                              ;   in Loop: Header=BB357_274 Depth=1
	s_or_b64 exec, exec, s[0:1]
	v_and_b32_e32 v0, 0x7f800000, v2
	v_cmp_ne_u32_e32 vcc, s15, v0
                                        ; implicit-def: $vgpr6
	s_and_saveexec_b64 s[0:1], vcc
	s_xor_b64 s[0:1], exec, s[0:1]
; %bb.300:                              ;   in Loop: Header=BB357_274 Depth=1
	v_bfe_u32 v0, v2, 16, 1
	v_add3_u32 v6, v2, v0, s20
; %bb.301:                              ;   in Loop: Header=BB357_274 Depth=1
	s_andn2_saveexec_b64 s[0:1], s[0:1]
; %bb.302:                              ;   in Loop: Header=BB357_274 Depth=1
	v_or_b32_e32 v0, 0x10000, v2
	v_cmp_eq_u32_sdwa vcc, v2, v11 src0_sel:WORD_0 src1_sel:DWORD
	s_nop 1
	v_cndmask_b32_e32 v6, v0, v2, vcc
; %bb.303:                              ;   in Loop: Header=BB357_274 Depth=1
	s_or_b64 exec, exec, s[0:1]
	v_and_b32_e32 v0, 0x7f800000, v3
	v_cmp_ne_u32_e32 vcc, s15, v0
                                        ; implicit-def: $vgpr4
	s_and_saveexec_b64 s[0:1], vcc
	s_xor_b64 s[0:1], exec, s[0:1]
; %bb.304:                              ;   in Loop: Header=BB357_274 Depth=1
	v_bfe_u32 v0, v3, 16, 1
	v_add3_u32 v4, v3, v0, s20
                                        ; implicit-def: $vgpr0_vgpr1_vgpr2_vgpr3
; %bb.305:                              ;   in Loop: Header=BB357_274 Depth=1
	s_andn2_saveexec_b64 s[0:1], s[0:1]
; %bb.306:                              ;   in Loop: Header=BB357_274 Depth=1
	v_or_b32_e32 v0, 0x10000, v3
	v_cmp_eq_u32_sdwa vcc, v3, v11 src0_sel:WORD_0 src1_sel:DWORD
	s_nop 1
	v_cndmask_b32_e32 v4, v0, v3, vcc
; %bb.307:                              ;   in Loop: Header=BB357_274 Depth=1
	s_or_b64 exec, exec, s[0:1]
	scratch_load_dwordx2 v[0:1], off, s32 offset:216 ; 8-byte Folded Reload
	v_accvgpr_read_b32 v2, a22
	v_accvgpr_read_b32 v3, a23
                                        ; implicit-def: $vgpr9
	s_waitcnt vmcnt(0)
	v_mad_i64_i32 v[0:1], s[0:1], v23, v0, v[2:3]
	flat_load_dwordx2 v[2:3], v[0:1]
	scratch_load_dwordx2 v[24:25], off, s32 offset:232 ; 8-byte Folded Reload
	s_waitcnt vmcnt(0) lgkmcnt(0)
	v_and_b32_e32 v5, 0xff, v2
	flat_load_dword v38, v[24:25]
	v_cvt_f32_fp8_sdwa v5, v5 src0_sel:BYTE_0
	s_waitcnt vmcnt(0) lgkmcnt(0)
	v_mul_f32_e32 v23, v38, v5
	v_and_b32_e32 v5, 0x7f800000, v23
	v_cmp_ne_u32_e32 vcc, s15, v5
	s_and_saveexec_b64 s[0:1], vcc
	s_xor_b64 s[0:1], exec, s[0:1]
; %bb.308:                              ;   in Loop: Header=BB357_274 Depth=1
	v_bfe_u32 v5, v23, 16, 1
	v_add3_u32 v9, v23, v5, s20
                                        ; implicit-def: $vgpr23
; %bb.309:                              ;   in Loop: Header=BB357_274 Depth=1
	s_andn2_saveexec_b64 s[0:1], s[0:1]
; %bb.310:                              ;   in Loop: Header=BB357_274 Depth=1
	v_or_b32_e32 v5, 0x10000, v23
	v_cmp_eq_u32_sdwa vcc, v23, v11 src0_sel:WORD_0 src1_sel:DWORD
	s_nop 1
	v_cndmask_b32_e32 v9, v5, v23, vcc
; %bb.311:                              ;   in Loop: Header=BB357_274 Depth=1
	s_or_b64 exec, exec, s[0:1]
	v_bfe_u32 v5, v2, 8, 8
	v_cvt_f32_fp8_sdwa v5, v5 src0_sel:BYTE_0
                                        ; implicit-def: $vgpr23
	s_nop 0
	v_mul_f32_e32 v24, v38, v5
	v_and_b32_e32 v5, 0x7f800000, v24
	v_cmp_ne_u32_e32 vcc, s15, v5
	s_and_saveexec_b64 s[0:1], vcc
	s_xor_b64 s[0:1], exec, s[0:1]
; %bb.312:                              ;   in Loop: Header=BB357_274 Depth=1
	v_bfe_u32 v5, v24, 16, 1
	v_add3_u32 v23, v24, v5, s20
                                        ; implicit-def: $vgpr24
; %bb.313:                              ;   in Loop: Header=BB357_274 Depth=1
	s_andn2_saveexec_b64 s[0:1], s[0:1]
; %bb.314:                              ;   in Loop: Header=BB357_274 Depth=1
	v_or_b32_e32 v5, 0x10000, v24
	v_cmp_eq_u32_sdwa vcc, v24, v11 src0_sel:WORD_0 src1_sel:DWORD
	s_nop 1
	v_cndmask_b32_e32 v23, v5, v24, vcc
; %bb.315:                              ;   in Loop: Header=BB357_274 Depth=1
	s_or_b64 exec, exec, s[0:1]
	v_bfe_u32 v5, v2, 16, 8
	v_cvt_f32_fp8_sdwa v5, v5 src0_sel:BYTE_0
                                        ; implicit-def: $vgpr25
	s_nop 0
	v_mul_f32_e32 v24, v38, v5
	v_and_b32_e32 v5, 0x7f800000, v24
	v_cmp_ne_u32_e32 vcc, s15, v5
	s_and_saveexec_b64 s[0:1], vcc
	s_xor_b64 s[0:1], exec, s[0:1]
; %bb.316:                              ;   in Loop: Header=BB357_274 Depth=1
	v_bfe_u32 v5, v24, 16, 1
	v_add3_u32 v25, v24, v5, s20
                                        ; implicit-def: $vgpr24
; %bb.317:                              ;   in Loop: Header=BB357_274 Depth=1
	s_andn2_saveexec_b64 s[0:1], s[0:1]
; %bb.318:                              ;   in Loop: Header=BB357_274 Depth=1
	v_or_b32_e32 v5, 0x10000, v24
	v_cmp_eq_u32_sdwa vcc, v24, v11 src0_sel:WORD_0 src1_sel:DWORD
	s_nop 1
	v_cndmask_b32_e32 v25, v5, v24, vcc
; %bb.319:                              ;   in Loop: Header=BB357_274 Depth=1
	s_or_b64 exec, exec, s[0:1]
	v_lshrrev_b32_e32 v2, 24, v2
	v_cvt_f32_fp8_sdwa v2, v2 src0_sel:BYTE_0
	s_nop 0
	v_mul_f32_e32 v24, v38, v2
	v_and_b32_e32 v2, 0x7f800000, v24
	v_cmp_ne_u32_e32 vcc, s15, v2
                                        ; implicit-def: $vgpr2
	s_and_saveexec_b64 s[0:1], vcc
	s_xor_b64 s[0:1], exec, s[0:1]
; %bb.320:                              ;   in Loop: Header=BB357_274 Depth=1
	v_bfe_u32 v2, v24, 16, 1
	v_add3_u32 v2, v24, v2, s20
                                        ; implicit-def: $vgpr24
; %bb.321:                              ;   in Loop: Header=BB357_274 Depth=1
	s_andn2_saveexec_b64 s[0:1], s[0:1]
; %bb.322:                              ;   in Loop: Header=BB357_274 Depth=1
	v_or_b32_e32 v2, 0x10000, v24
	v_cmp_eq_u32_sdwa vcc, v24, v11 src0_sel:WORD_0 src1_sel:DWORD
	s_nop 1
	v_cndmask_b32_e32 v2, v2, v24, vcc
; %bb.323:                              ;   in Loop: Header=BB357_274 Depth=1
	s_or_b64 exec, exec, s[0:1]
	v_and_b32_e32 v5, 0xff, v3
	v_cvt_f32_fp8_sdwa v5, v5 src0_sel:BYTE_0
                                        ; implicit-def: $vgpr26
	s_nop 0
	v_mul_f32_e32 v24, v38, v5
	v_and_b32_e32 v5, 0x7f800000, v24
	v_cmp_ne_u32_e32 vcc, s15, v5
	s_and_saveexec_b64 s[0:1], vcc
	s_xor_b64 s[0:1], exec, s[0:1]
; %bb.324:                              ;   in Loop: Header=BB357_274 Depth=1
	v_bfe_u32 v5, v24, 16, 1
	v_add3_u32 v26, v24, v5, s20
                                        ; implicit-def: $vgpr24
; %bb.325:                              ;   in Loop: Header=BB357_274 Depth=1
	s_andn2_saveexec_b64 s[0:1], s[0:1]
; %bb.326:                              ;   in Loop: Header=BB357_274 Depth=1
	v_or_b32_e32 v5, 0x10000, v24
	v_cmp_eq_u32_sdwa vcc, v24, v11 src0_sel:WORD_0 src1_sel:DWORD
	s_nop 1
	v_cndmask_b32_e32 v26, v5, v24, vcc
; %bb.327:                              ;   in Loop: Header=BB357_274 Depth=1
	s_or_b64 exec, exec, s[0:1]
	v_bfe_u32 v5, v3, 8, 8
	v_cvt_f32_fp8_sdwa v5, v5 src0_sel:BYTE_0
                                        ; implicit-def: $vgpr24
	s_nop 0
	v_mul_f32_e32 v27, v38, v5
	v_and_b32_e32 v5, 0x7f800000, v27
	v_cmp_ne_u32_e32 vcc, s15, v5
	s_and_saveexec_b64 s[0:1], vcc
	s_xor_b64 s[0:1], exec, s[0:1]
; %bb.328:                              ;   in Loop: Header=BB357_274 Depth=1
	v_bfe_u32 v5, v27, 16, 1
	v_add3_u32 v24, v27, v5, s20
                                        ; implicit-def: $vgpr27
; %bb.329:                              ;   in Loop: Header=BB357_274 Depth=1
	s_andn2_saveexec_b64 s[0:1], s[0:1]
; %bb.330:                              ;   in Loop: Header=BB357_274 Depth=1
	v_or_b32_e32 v5, 0x10000, v27
	v_cmp_eq_u32_sdwa vcc, v27, v11 src0_sel:WORD_0 src1_sel:DWORD
	s_nop 1
	v_cndmask_b32_e32 v24, v5, v27, vcc
; %bb.331:                              ;   in Loop: Header=BB357_274 Depth=1
	s_or_b64 exec, exec, s[0:1]
	v_bfe_u32 v5, v3, 16, 8
	v_cvt_f32_fp8_sdwa v5, v5 src0_sel:BYTE_0
                                        ; implicit-def: $vgpr31
	s_nop 0
	v_mul_f32_e32 v27, v38, v5
	v_and_b32_e32 v5, 0x7f800000, v27
	v_cmp_ne_u32_e32 vcc, s15, v5
	s_and_saveexec_b64 s[0:1], vcc
	s_xor_b64 s[0:1], exec, s[0:1]
; %bb.332:                              ;   in Loop: Header=BB357_274 Depth=1
	v_bfe_u32 v5, v27, 16, 1
	v_add3_u32 v31, v27, v5, s20
                                        ; implicit-def: $vgpr27
; %bb.333:                              ;   in Loop: Header=BB357_274 Depth=1
	s_andn2_saveexec_b64 s[0:1], s[0:1]
; %bb.334:                              ;   in Loop: Header=BB357_274 Depth=1
	v_or_b32_e32 v5, 0x10000, v27
	v_cmp_eq_u32_sdwa vcc, v27, v11 src0_sel:WORD_0 src1_sel:DWORD
	s_nop 1
	v_cndmask_b32_e32 v31, v5, v27, vcc
; %bb.335:                              ;   in Loop: Header=BB357_274 Depth=1
	s_or_b64 exec, exec, s[0:1]
	v_lshrrev_b32_e32 v3, 24, v3
	v_cvt_f32_fp8_sdwa v3, v3 src0_sel:BYTE_0
                                        ; implicit-def: $vgpr32
	s_nop 0
	v_mul_f32_e32 v3, v38, v3
	v_and_b32_e32 v5, 0x7f800000, v3
	v_cmp_ne_u32_e32 vcc, s15, v5
	s_and_saveexec_b64 s[0:1], vcc
	s_xor_b64 s[0:1], exec, s[0:1]
; %bb.336:                              ;   in Loop: Header=BB357_274 Depth=1
	v_bfe_u32 v5, v3, 16, 1
	v_add3_u32 v32, v3, v5, s20
                                        ; implicit-def: $vgpr3
; %bb.337:                              ;   in Loop: Header=BB357_274 Depth=1
	s_andn2_saveexec_b64 s[0:1], s[0:1]
; %bb.338:                              ;   in Loop: Header=BB357_274 Depth=1
	v_or_b32_e32 v5, 0x10000, v3
	v_cmp_eq_u32_sdwa vcc, v3, v11 src0_sel:WORD_0 src1_sel:DWORD
	s_nop 1
	v_cndmask_b32_e32 v32, v5, v3, vcc
; %bb.339:                              ;   in Loop: Header=BB357_274 Depth=1
	s_or_b64 exec, exec, s[0:1]
	v_accvgpr_read_b32 v28, a12
	v_accvgpr_read_b32 v3, a20
	v_cmp_eq_u32_e32 vcc, v3, v28
	v_accvgpr_read_b32 v3, a13
	v_accvgpr_read_b32 v5, a19
	v_add_u32_e32 v51, v5, v3
	v_add_u32_e32 v5, 1, v51
	v_accvgpr_write_b32 a37, v5
	v_add_u32_e32 v5, 2, v51
	v_accvgpr_write_b32 a36, v5
	;; [unrolled: 2-line block ×6, first 2 shown]
	v_add_u32_e32 v5, 7, v51
	v_lshrrev_b32_e32 v24, 16, v24
	v_lshrrev_b32_e32 v26, 16, v26
	;; [unrolled: 1-line block ×8, first 2 shown]
	v_accvgpr_write_b32 a31, v5
	s_and_saveexec_b64 s[12:13], vcc
	s_cbranch_execz .LBB357_341
; %bb.340:                              ;   in Loop: Header=BB357_274 Depth=1
	v_accvgpr_read_b32 v5, a3
	v_cmp_lt_i32_e64 s[0:1], v51, v5
	v_accvgpr_read_b32 v28, a37
	s_nop 0
	v_cndmask_b32_e64 v9, 0, v9, s[0:1]
	v_cmp_lt_i32_e64 s[0:1], v28, v5
	v_accvgpr_read_b32 v28, a36
	s_nop 0
	v_cndmask_b32_e64 v23, 0, v23, s[0:1]
	;; [unrolled: 4-line block ×7, first 2 shown]
	v_cmp_lt_i32_e64 s[0:1], v28, v5
	s_nop 1
	v_cndmask_b32_e64 v2, 0, v2, s[0:1]
.LBB357_341:                            ;   in Loop: Header=BB357_274 Depth=1
	s_or_b64 exec, exec, s[12:13]
	v_and_b32_e32 v46, 0xffff0000, v22
	v_lshlrev_b32_e32 v5, 16, v9
	v_mul_f32_e32 v9, v46, v5
	v_and_b32_e32 v5, 0x7f800000, v9
	v_cmp_ne_u32_e64 s[0:1], s15, v5
                                        ; implicit-def: $vgpr28
	s_and_saveexec_b64 s[12:13], s[0:1]
	s_xor_b64 s[0:1], exec, s[12:13]
; %bb.342:                              ;   in Loop: Header=BB357_274 Depth=1
	v_bfe_u32 v5, v9, 16, 1
	v_add3_u32 v28, v9, v5, s20
                                        ; implicit-def: $vgpr9
; %bb.343:                              ;   in Loop: Header=BB357_274 Depth=1
	s_andn2_saveexec_b64 s[12:13], s[0:1]
; %bb.344:                              ;   in Loop: Header=BB357_274 Depth=1
	v_or_b32_e32 v5, 0x10000, v9
	v_cmp_eq_u32_sdwa s[0:1], v9, v11 src0_sel:WORD_0 src1_sel:DWORD
	s_nop 1
	v_cndmask_b32_e64 v28, v5, v9, s[0:1]
; %bb.345:                              ;   in Loop: Header=BB357_274 Depth=1
	s_or_b64 exec, exec, s[12:13]
	v_and_b32_e32 v47, 0xffff0000, v21
	v_lshlrev_b32_e32 v5, 16, v23
	v_mul_f32_e32 v9, v47, v5
	v_and_b32_e32 v5, 0x7f800000, v9
	v_cmp_ne_u32_e64 s[0:1], s15, v5
                                        ; implicit-def: $agpr21
	s_and_saveexec_b64 s[12:13], s[0:1]
	s_xor_b64 s[0:1], exec, s[12:13]
; %bb.346:                              ;   in Loop: Header=BB357_274 Depth=1
	v_bfe_u32 v5, v9, 16, 1
	v_add3_u32 v5, v9, v5, s20
	v_accvgpr_write_b32 a21, v5
                                        ; implicit-def: $vgpr9
; %bb.347:                              ;   in Loop: Header=BB357_274 Depth=1
	s_andn2_saveexec_b64 s[12:13], s[0:1]
; %bb.348:                              ;   in Loop: Header=BB357_274 Depth=1
	v_or_b32_e32 v5, 0x10000, v9
	v_cmp_eq_u32_sdwa s[0:1], v9, v11 src0_sel:WORD_0 src1_sel:DWORD
	s_nop 1
	v_cndmask_b32_e64 v5, v5, v9, s[0:1]
	v_accvgpr_write_b32 a21, v5
; %bb.349:                              ;   in Loop: Header=BB357_274 Depth=1
	s_or_b64 exec, exec, s[12:13]
	v_and_b32_e32 v56, 0xffff0000, v20
	v_lshlrev_b32_e32 v5, 16, v25
	v_mul_f32_e32 v9, v56, v5
	v_and_b32_e32 v5, 0x7f800000, v9
	v_cmp_ne_u32_e64 s[0:1], s15, v5
                                        ; implicit-def: $agpr25
	s_and_saveexec_b64 s[12:13], s[0:1]
	s_xor_b64 s[0:1], exec, s[12:13]
; %bb.350:                              ;   in Loop: Header=BB357_274 Depth=1
	v_bfe_u32 v5, v9, 16, 1
	v_add3_u32 v5, v9, v5, s20
	v_accvgpr_write_b32 a25, v5
                                        ; implicit-def: $vgpr9
; %bb.351:                              ;   in Loop: Header=BB357_274 Depth=1
	s_andn2_saveexec_b64 s[12:13], s[0:1]
; %bb.352:                              ;   in Loop: Header=BB357_274 Depth=1
	v_or_b32_e32 v5, 0x10000, v9
	v_cmp_eq_u32_sdwa s[0:1], v9, v11 src0_sel:WORD_0 src1_sel:DWORD
	s_nop 1
	v_cndmask_b32_e64 v5, v5, v9, s[0:1]
	v_accvgpr_write_b32 a25, v5
; %bb.353:                              ;   in Loop: Header=BB357_274 Depth=1
	s_or_b64 exec, exec, s[12:13]
	v_and_b32_e32 v57, 0xffff0000, v10
	v_lshlrev_b32_e32 v5, 16, v27
	v_mul_f32_e32 v9, v57, v5
	v_and_b32_e32 v5, 0x7f800000, v9
	v_cmp_ne_u32_e64 s[0:1], s15, v5
                                        ; implicit-def: $agpr26
	s_and_saveexec_b64 s[12:13], s[0:1]
	s_xor_b64 s[0:1], exec, s[12:13]
; %bb.354:                              ;   in Loop: Header=BB357_274 Depth=1
	v_bfe_u32 v5, v9, 16, 1
	v_add3_u32 v5, v9, v5, s20
	v_accvgpr_write_b32 a26, v5
                                        ; implicit-def: $vgpr9
; %bb.355:                              ;   in Loop: Header=BB357_274 Depth=1
	s_andn2_saveexec_b64 s[12:13], s[0:1]
; %bb.356:                              ;   in Loop: Header=BB357_274 Depth=1
	v_or_b32_e32 v5, 0x10000, v9
	v_cmp_eq_u32_sdwa s[0:1], v9, v11 src0_sel:WORD_0 src1_sel:DWORD
	s_nop 1
	v_cndmask_b32_e64 v5, v5, v9, s[0:1]
	v_accvgpr_write_b32 a26, v5
; %bb.357:                              ;   in Loop: Header=BB357_274 Depth=1
	s_or_b64 exec, exec, s[12:13]
	v_and_b32_e32 v58, 0xffff0000, v8
	v_lshlrev_b32_e32 v5, 16, v26
	v_mul_f32_e32 v8, v58, v5
	v_and_b32_e32 v5, 0x7f800000, v8
	v_cmp_ne_u32_e64 s[0:1], s15, v5
                                        ; implicit-def: $agpr27
	s_and_saveexec_b64 s[12:13], s[0:1]
	s_xor_b64 s[0:1], exec, s[12:13]
; %bb.358:                              ;   in Loop: Header=BB357_274 Depth=1
	v_bfe_u32 v5, v8, 16, 1
	v_add3_u32 v5, v8, v5, s20
	v_accvgpr_write_b32 a27, v5
                                        ; implicit-def: $vgpr8
; %bb.359:                              ;   in Loop: Header=BB357_274 Depth=1
	s_andn2_saveexec_b64 s[12:13], s[0:1]
; %bb.360:                              ;   in Loop: Header=BB357_274 Depth=1
	v_or_b32_e32 v5, 0x10000, v8
	v_cmp_eq_u32_sdwa s[0:1], v8, v11 src0_sel:WORD_0 src1_sel:DWORD
	s_nop 1
	v_cndmask_b32_e64 v5, v5, v8, s[0:1]
	v_accvgpr_write_b32 a27, v5
; %bb.361:                              ;   in Loop: Header=BB357_274 Depth=1
	s_or_b64 exec, exec, s[12:13]
	v_and_b32_e32 v59, 0xffff0000, v7
	v_lshlrev_b32_e32 v5, 16, v24
	v_mul_f32_e32 v7, v59, v5
	v_and_b32_e32 v5, 0x7f800000, v7
	v_cmp_ne_u32_e64 s[0:1], s15, v5
                                        ; implicit-def: $agpr28
	s_and_saveexec_b64 s[12:13], s[0:1]
	s_xor_b64 s[0:1], exec, s[12:13]
; %bb.362:                              ;   in Loop: Header=BB357_274 Depth=1
	v_bfe_u32 v5, v7, 16, 1
	v_add3_u32 v5, v7, v5, s20
	v_accvgpr_write_b32 a28, v5
                                        ; implicit-def: $vgpr7
; %bb.363:                              ;   in Loop: Header=BB357_274 Depth=1
	s_andn2_saveexec_b64 s[12:13], s[0:1]
; %bb.364:                              ;   in Loop: Header=BB357_274 Depth=1
	v_or_b32_e32 v5, 0x10000, v7
	v_cmp_eq_u32_sdwa s[0:1], v7, v11 src0_sel:WORD_0 src1_sel:DWORD
	s_nop 1
	v_cndmask_b32_e64 v5, v5, v7, s[0:1]
	v_accvgpr_write_b32 a28, v5
; %bb.365:                              ;   in Loop: Header=BB357_274 Depth=1
	s_or_b64 exec, exec, s[12:13]
	v_and_b32_e32 v60, 0xffff0000, v6
	v_lshlrev_b32_e32 v3, 16, v3
	v_mul_f32_e32 v3, v60, v3
	v_and_b32_e32 v5, 0x7f800000, v3
	v_cmp_ne_u32_e64 s[0:1], s15, v5
                                        ; implicit-def: $agpr29
	s_and_saveexec_b64 s[12:13], s[0:1]
	s_xor_b64 s[0:1], exec, s[12:13]
; %bb.366:                              ;   in Loop: Header=BB357_274 Depth=1
	v_bfe_u32 v5, v3, 16, 1
	v_add3_u32 v3, v3, v5, s20
	v_accvgpr_write_b32 a29, v3
                                        ; implicit-def: $vgpr3
; %bb.367:                              ;   in Loop: Header=BB357_274 Depth=1
	s_andn2_saveexec_b64 s[12:13], s[0:1]
; %bb.368:                              ;   in Loop: Header=BB357_274 Depth=1
	v_or_b32_e32 v5, 0x10000, v3
	v_cmp_eq_u32_sdwa s[0:1], v3, v11 src0_sel:WORD_0 src1_sel:DWORD
	s_nop 1
	v_cndmask_b32_e64 v3, v5, v3, s[0:1]
	v_accvgpr_write_b32 a29, v3
; %bb.369:                              ;   in Loop: Header=BB357_274 Depth=1
	s_or_b64 exec, exec, s[12:13]
	v_and_b32_e32 v61, 0xffff0000, v4
	v_lshlrev_b32_e32 v2, 16, v2
	v_mul_f32_e32 v2, v61, v2
	v_and_b32_e32 v3, 0x7f800000, v2
	v_cmp_ne_u32_e64 s[0:1], s15, v3
                                        ; implicit-def: $agpr30
	s_and_saveexec_b64 s[12:13], s[0:1]
	s_xor_b64 s[0:1], exec, s[12:13]
; %bb.370:                              ;   in Loop: Header=BB357_274 Depth=1
	v_bfe_u32 v3, v2, 16, 1
	v_add3_u32 v2, v2, v3, s20
	v_accvgpr_write_b32 a30, v2
                                        ; implicit-def: $vgpr2
; %bb.371:                              ;   in Loop: Header=BB357_274 Depth=1
	s_andn2_saveexec_b64 s[12:13], s[0:1]
; %bb.372:                              ;   in Loop: Header=BB357_274 Depth=1
	v_or_b32_e32 v3, 0x10000, v2
	v_cmp_eq_u32_sdwa s[0:1], v2, v11 src0_sel:WORD_0 src1_sel:DWORD
	s_nop 1
	v_cndmask_b32_e64 v2, v3, v2, s[0:1]
	v_accvgpr_write_b32 a30, v2
; %bb.373:                              ;   in Loop: Header=BB357_274 Depth=1
	s_or_b64 exec, exec, s[12:13]
	flat_load_dwordx2 v[2:3], v[0:1] offset:512
	s_waitcnt vmcnt(0) lgkmcnt(0)
	v_and_b32_e32 v4, 0xff, v2
	v_cvt_f32_fp8_sdwa v4, v4 src0_sel:BYTE_0
	s_nop 0
	v_mul_f32_e32 v6, v38, v4
	v_and_b32_e32 v4, 0x7f800000, v6
	v_cmp_ne_u32_e64 s[0:1], s15, v4
                                        ; implicit-def: $vgpr4
	s_and_saveexec_b64 s[12:13], s[0:1]
	s_xor_b64 s[0:1], exec, s[12:13]
; %bb.374:                              ;   in Loop: Header=BB357_274 Depth=1
	v_bfe_u32 v4, v6, 16, 1
	v_add3_u32 v4, v6, v4, s20
                                        ; implicit-def: $vgpr6
; %bb.375:                              ;   in Loop: Header=BB357_274 Depth=1
	s_andn2_saveexec_b64 s[12:13], s[0:1]
; %bb.376:                              ;   in Loop: Header=BB357_274 Depth=1
	v_or_b32_e32 v4, 0x10000, v6
	v_cmp_eq_u32_sdwa s[0:1], v6, v11 src0_sel:WORD_0 src1_sel:DWORD
	s_nop 1
	v_cndmask_b32_e64 v4, v4, v6, s[0:1]
; %bb.377:                              ;   in Loop: Header=BB357_274 Depth=1
	s_or_b64 exec, exec, s[12:13]
	v_bfe_u32 v5, v2, 8, 8
	v_cvt_f32_fp8_sdwa v5, v5 src0_sel:BYTE_0
                                        ; implicit-def: $vgpr6
	s_nop 0
	v_mul_f32_e32 v7, v38, v5
	v_and_b32_e32 v5, 0x7f800000, v7
	v_cmp_ne_u32_e64 s[0:1], s15, v5
	s_and_saveexec_b64 s[12:13], s[0:1]
	s_xor_b64 s[0:1], exec, s[12:13]
; %bb.378:                              ;   in Loop: Header=BB357_274 Depth=1
	v_bfe_u32 v5, v7, 16, 1
	v_add3_u32 v6, v7, v5, s20
                                        ; implicit-def: $vgpr7
; %bb.379:                              ;   in Loop: Header=BB357_274 Depth=1
	s_andn2_saveexec_b64 s[12:13], s[0:1]
; %bb.380:                              ;   in Loop: Header=BB357_274 Depth=1
	v_or_b32_e32 v5, 0x10000, v7
	v_cmp_eq_u32_sdwa s[0:1], v7, v11 src0_sel:WORD_0 src1_sel:DWORD
	s_nop 1
	v_cndmask_b32_e64 v6, v5, v7, s[0:1]
; %bb.381:                              ;   in Loop: Header=BB357_274 Depth=1
	s_or_b64 exec, exec, s[12:13]
	v_bfe_u32 v5, v2, 16, 8
	v_cvt_f32_fp8_sdwa v5, v5 src0_sel:BYTE_0
                                        ; implicit-def: $vgpr8
	s_nop 0
	v_mul_f32_e32 v7, v38, v5
	v_and_b32_e32 v5, 0x7f800000, v7
	v_cmp_ne_u32_e64 s[0:1], s15, v5
	s_and_saveexec_b64 s[12:13], s[0:1]
	s_xor_b64 s[0:1], exec, s[12:13]
; %bb.382:                              ;   in Loop: Header=BB357_274 Depth=1
	v_bfe_u32 v5, v7, 16, 1
	v_add3_u32 v8, v7, v5, s20
                                        ; implicit-def: $vgpr7
; %bb.383:                              ;   in Loop: Header=BB357_274 Depth=1
	s_andn2_saveexec_b64 s[12:13], s[0:1]
; %bb.384:                              ;   in Loop: Header=BB357_274 Depth=1
	v_or_b32_e32 v5, 0x10000, v7
	v_cmp_eq_u32_sdwa s[0:1], v7, v11 src0_sel:WORD_0 src1_sel:DWORD
	s_nop 1
	v_cndmask_b32_e64 v8, v5, v7, s[0:1]
; %bb.385:                              ;   in Loop: Header=BB357_274 Depth=1
	s_or_b64 exec, exec, s[12:13]
	v_lshrrev_b32_e32 v2, 24, v2
	v_cvt_f32_fp8_sdwa v2, v2 src0_sel:BYTE_0
	s_nop 0
	v_mul_f32_e32 v7, v38, v2
	v_and_b32_e32 v2, 0x7f800000, v7
	v_cmp_ne_u32_e64 s[0:1], s15, v2
                                        ; implicit-def: $vgpr2
	s_and_saveexec_b64 s[12:13], s[0:1]
	s_xor_b64 s[0:1], exec, s[12:13]
; %bb.386:                              ;   in Loop: Header=BB357_274 Depth=1
	v_bfe_u32 v2, v7, 16, 1
	v_add3_u32 v2, v7, v2, s20
                                        ; implicit-def: $vgpr7
; %bb.387:                              ;   in Loop: Header=BB357_274 Depth=1
	s_andn2_saveexec_b64 s[12:13], s[0:1]
; %bb.388:                              ;   in Loop: Header=BB357_274 Depth=1
	v_or_b32_e32 v2, 0x10000, v7
	v_cmp_eq_u32_sdwa s[0:1], v7, v11 src0_sel:WORD_0 src1_sel:DWORD
	s_nop 1
	v_cndmask_b32_e64 v2, v2, v7, s[0:1]
; %bb.389:                              ;   in Loop: Header=BB357_274 Depth=1
	s_or_b64 exec, exec, s[12:13]
	v_and_b32_e32 v5, 0xff, v3
	v_cvt_f32_fp8_sdwa v5, v5 src0_sel:BYTE_0
                                        ; implicit-def: $vgpr9
	s_nop 0
	v_mul_f32_e32 v7, v38, v5
	v_and_b32_e32 v5, 0x7f800000, v7
	v_cmp_ne_u32_e64 s[0:1], s15, v5
	s_and_saveexec_b64 s[12:13], s[0:1]
	s_xor_b64 s[0:1], exec, s[12:13]
; %bb.390:                              ;   in Loop: Header=BB357_274 Depth=1
	v_bfe_u32 v5, v7, 16, 1
	v_add3_u32 v9, v7, v5, s20
                                        ; implicit-def: $vgpr7
; %bb.391:                              ;   in Loop: Header=BB357_274 Depth=1
	s_andn2_saveexec_b64 s[12:13], s[0:1]
; %bb.392:                              ;   in Loop: Header=BB357_274 Depth=1
	v_or_b32_e32 v5, 0x10000, v7
	v_cmp_eq_u32_sdwa s[0:1], v7, v11 src0_sel:WORD_0 src1_sel:DWORD
	s_nop 1
	v_cndmask_b32_e64 v9, v5, v7, s[0:1]
; %bb.393:                              ;   in Loop: Header=BB357_274 Depth=1
	s_or_b64 exec, exec, s[12:13]
	v_bfe_u32 v5, v3, 8, 8
	v_cvt_f32_fp8_sdwa v5, v5 src0_sel:BYTE_0
                                        ; implicit-def: $vgpr7
	s_nop 0
	v_mul_f32_e32 v10, v38, v5
	v_and_b32_e32 v5, 0x7f800000, v10
	v_cmp_ne_u32_e64 s[0:1], s15, v5
	s_and_saveexec_b64 s[12:13], s[0:1]
	s_xor_b64 s[0:1], exec, s[12:13]
; %bb.394:                              ;   in Loop: Header=BB357_274 Depth=1
	v_bfe_u32 v5, v10, 16, 1
	v_add3_u32 v7, v10, v5, s20
                                        ; implicit-def: $vgpr10
; %bb.395:                              ;   in Loop: Header=BB357_274 Depth=1
	s_andn2_saveexec_b64 s[12:13], s[0:1]
; %bb.396:                              ;   in Loop: Header=BB357_274 Depth=1
	v_or_b32_e32 v5, 0x10000, v10
	v_cmp_eq_u32_sdwa s[0:1], v10, v11 src0_sel:WORD_0 src1_sel:DWORD
	s_nop 1
	v_cndmask_b32_e64 v7, v5, v10, s[0:1]
; %bb.397:                              ;   in Loop: Header=BB357_274 Depth=1
	s_or_b64 exec, exec, s[12:13]
	v_bfe_u32 v5, v3, 16, 8
	v_cvt_f32_fp8_sdwa v5, v5 src0_sel:BYTE_0
                                        ; implicit-def: $vgpr20
	s_nop 0
	v_mul_f32_e32 v10, v38, v5
	v_and_b32_e32 v5, 0x7f800000, v10
	v_cmp_ne_u32_e64 s[0:1], s15, v5
	s_and_saveexec_b64 s[12:13], s[0:1]
	s_xor_b64 s[0:1], exec, s[12:13]
; %bb.398:                              ;   in Loop: Header=BB357_274 Depth=1
	v_bfe_u32 v5, v10, 16, 1
	v_add3_u32 v20, v10, v5, s20
                                        ; implicit-def: $vgpr10
; %bb.399:                              ;   in Loop: Header=BB357_274 Depth=1
	s_andn2_saveexec_b64 s[12:13], s[0:1]
; %bb.400:                              ;   in Loop: Header=BB357_274 Depth=1
	v_or_b32_e32 v5, 0x10000, v10
	v_cmp_eq_u32_sdwa s[0:1], v10, v11 src0_sel:WORD_0 src1_sel:DWORD
	s_nop 1
	v_cndmask_b32_e64 v20, v5, v10, s[0:1]
; %bb.401:                              ;   in Loop: Header=BB357_274 Depth=1
	s_or_b64 exec, exec, s[12:13]
	v_lshrrev_b32_e32 v3, 24, v3
	v_cvt_f32_fp8_sdwa v3, v3 src0_sel:BYTE_0
                                        ; implicit-def: $vgpr21
	s_nop 0
	v_mul_f32_e32 v3, v38, v3
	v_and_b32_e32 v5, 0x7f800000, v3
	v_cmp_ne_u32_e64 s[0:1], s15, v5
	s_and_saveexec_b64 s[12:13], s[0:1]
	s_xor_b64 s[0:1], exec, s[12:13]
; %bb.402:                              ;   in Loop: Header=BB357_274 Depth=1
	v_bfe_u32 v5, v3, 16, 1
	v_add3_u32 v21, v3, v5, s20
                                        ; implicit-def: $vgpr3
; %bb.403:                              ;   in Loop: Header=BB357_274 Depth=1
	s_andn2_saveexec_b64 s[12:13], s[0:1]
; %bb.404:                              ;   in Loop: Header=BB357_274 Depth=1
	v_or_b32_e32 v5, 0x10000, v3
	v_cmp_eq_u32_sdwa s[0:1], v3, v11 src0_sel:WORD_0 src1_sel:DWORD
	s_nop 1
	v_cndmask_b32_e64 v21, v5, v3, s[0:1]
; %bb.405:                              ;   in Loop: Header=BB357_274 Depth=1
	s_or_b64 exec, exec, s[12:13]
	v_lshrrev_b32_e32 v7, 16, v7
	v_lshrrev_b32_e32 v9, 16, v9
	;; [unrolled: 1-line block ×8, first 2 shown]
	s_and_saveexec_b64 s[12:13], vcc
	s_cbranch_execz .LBB357_407
; %bb.406:                              ;   in Loop: Header=BB357_274 Depth=1
	v_accvgpr_read_b32 v5, a3
	v_cmp_lt_i32_e64 s[0:1], v51, v5
	v_accvgpr_read_b32 v20, a37
	s_nop 0
	v_cndmask_b32_e64 v4, 0, v4, s[0:1]
	v_cmp_lt_i32_e64 s[0:1], v20, v5
	v_accvgpr_read_b32 v20, a36
	s_nop 0
	v_cndmask_b32_e64 v6, 0, v6, s[0:1]
	;; [unrolled: 4-line block ×7, first 2 shown]
	v_cmp_lt_i32_e64 s[0:1], v20, v5
	s_nop 1
	v_cndmask_b32_e64 v2, 0, v2, s[0:1]
.LBB357_407:                            ;   in Loop: Header=BB357_274 Depth=1
	s_or_b64 exec, exec, s[12:13]
	v_lshlrev_b32_e32 v4, 16, v4
	v_mul_f32_e32 v4, v46, v4
	v_and_b32_e32 v5, 0x7f800000, v4
	v_cmp_ne_u32_e64 s[0:1], s15, v5
                                        ; implicit-def: $agpr38
	s_and_saveexec_b64 s[12:13], s[0:1]
	s_xor_b64 s[0:1], exec, s[12:13]
; %bb.408:                              ;   in Loop: Header=BB357_274 Depth=1
	v_bfe_u32 v5, v4, 16, 1
	v_add3_u32 v4, v4, v5, s20
	v_accvgpr_write_b32 a38, v4
                                        ; implicit-def: $vgpr4
; %bb.409:                              ;   in Loop: Header=BB357_274 Depth=1
	s_andn2_saveexec_b64 s[12:13], s[0:1]
; %bb.410:                              ;   in Loop: Header=BB357_274 Depth=1
	v_or_b32_e32 v5, 0x10000, v4
	v_cmp_eq_u32_sdwa s[0:1], v4, v11 src0_sel:WORD_0 src1_sel:DWORD
	s_nop 1
	v_cndmask_b32_e64 v4, v5, v4, s[0:1]
	v_accvgpr_write_b32 a38, v4
; %bb.411:                              ;   in Loop: Header=BB357_274 Depth=1
	s_or_b64 exec, exec, s[12:13]
	v_lshlrev_b32_e32 v4, 16, v6
	v_mul_f32_e32 v4, v47, v4
	v_and_b32_e32 v5, 0x7f800000, v4
	v_cmp_ne_u32_e64 s[0:1], s15, v5
                                        ; implicit-def: $agpr39
	s_and_saveexec_b64 s[12:13], s[0:1]
	s_xor_b64 s[0:1], exec, s[12:13]
; %bb.412:                              ;   in Loop: Header=BB357_274 Depth=1
	v_bfe_u32 v5, v4, 16, 1
	v_add3_u32 v4, v4, v5, s20
	v_accvgpr_write_b32 a39, v4
                                        ; implicit-def: $vgpr4
; %bb.413:                              ;   in Loop: Header=BB357_274 Depth=1
	s_andn2_saveexec_b64 s[12:13], s[0:1]
; %bb.414:                              ;   in Loop: Header=BB357_274 Depth=1
	v_or_b32_e32 v5, 0x10000, v4
	v_cmp_eq_u32_sdwa s[0:1], v4, v11 src0_sel:WORD_0 src1_sel:DWORD
	s_nop 1
	v_cndmask_b32_e64 v4, v5, v4, s[0:1]
	v_accvgpr_write_b32 a39, v4
; %bb.415:                              ;   in Loop: Header=BB357_274 Depth=1
	s_or_b64 exec, exec, s[12:13]
	v_lshlrev_b32_e32 v4, 16, v8
	v_mul_f32_e32 v4, v56, v4
	v_and_b32_e32 v5, 0x7f800000, v4
	v_cmp_ne_u32_e64 s[0:1], s15, v5
                                        ; implicit-def: $agpr40
	s_and_saveexec_b64 s[12:13], s[0:1]
	s_xor_b64 s[0:1], exec, s[12:13]
; %bb.416:                              ;   in Loop: Header=BB357_274 Depth=1
	v_bfe_u32 v5, v4, 16, 1
	v_add3_u32 v4, v4, v5, s20
	v_accvgpr_write_b32 a40, v4
                                        ; implicit-def: $vgpr4
; %bb.417:                              ;   in Loop: Header=BB357_274 Depth=1
	s_andn2_saveexec_b64 s[12:13], s[0:1]
; %bb.418:                              ;   in Loop: Header=BB357_274 Depth=1
	v_or_b32_e32 v5, 0x10000, v4
	v_cmp_eq_u32_sdwa s[0:1], v4, v11 src0_sel:WORD_0 src1_sel:DWORD
	s_nop 1
	v_cndmask_b32_e64 v4, v5, v4, s[0:1]
	v_accvgpr_write_b32 a40, v4
; %bb.419:                              ;   in Loop: Header=BB357_274 Depth=1
	s_or_b64 exec, exec, s[12:13]
	v_lshlrev_b32_e32 v4, 16, v10
	v_mul_f32_e32 v4, v57, v4
	v_and_b32_e32 v5, 0x7f800000, v4
	v_cmp_ne_u32_e64 s[0:1], s15, v5
                                        ; implicit-def: $agpr41
	s_and_saveexec_b64 s[12:13], s[0:1]
	s_xor_b64 s[0:1], exec, s[12:13]
; %bb.420:                              ;   in Loop: Header=BB357_274 Depth=1
	v_bfe_u32 v5, v4, 16, 1
	v_add3_u32 v4, v4, v5, s20
	v_accvgpr_write_b32 a41, v4
                                        ; implicit-def: $vgpr4
; %bb.421:                              ;   in Loop: Header=BB357_274 Depth=1
	s_andn2_saveexec_b64 s[12:13], s[0:1]
; %bb.422:                              ;   in Loop: Header=BB357_274 Depth=1
	v_or_b32_e32 v5, 0x10000, v4
	v_cmp_eq_u32_sdwa s[0:1], v4, v11 src0_sel:WORD_0 src1_sel:DWORD
	s_nop 1
	v_cndmask_b32_e64 v4, v5, v4, s[0:1]
	v_accvgpr_write_b32 a41, v4
; %bb.423:                              ;   in Loop: Header=BB357_274 Depth=1
	s_or_b64 exec, exec, s[12:13]
	v_lshlrev_b32_e32 v4, 16, v9
	v_mul_f32_e32 v4, v58, v4
	v_and_b32_e32 v5, 0x7f800000, v4
	v_cmp_ne_u32_e64 s[0:1], s15, v5
                                        ; implicit-def: $agpr42
	s_and_saveexec_b64 s[12:13], s[0:1]
	s_xor_b64 s[0:1], exec, s[12:13]
; %bb.424:                              ;   in Loop: Header=BB357_274 Depth=1
	v_bfe_u32 v5, v4, 16, 1
	v_add3_u32 v4, v4, v5, s20
	v_accvgpr_write_b32 a42, v4
                                        ; implicit-def: $vgpr4
; %bb.425:                              ;   in Loop: Header=BB357_274 Depth=1
	s_andn2_saveexec_b64 s[12:13], s[0:1]
; %bb.426:                              ;   in Loop: Header=BB357_274 Depth=1
	v_or_b32_e32 v5, 0x10000, v4
	v_cmp_eq_u32_sdwa s[0:1], v4, v11 src0_sel:WORD_0 src1_sel:DWORD
	s_nop 1
	v_cndmask_b32_e64 v4, v5, v4, s[0:1]
	v_accvgpr_write_b32 a42, v4
; %bb.427:                              ;   in Loop: Header=BB357_274 Depth=1
	s_or_b64 exec, exec, s[12:13]
	v_lshlrev_b32_e32 v4, 16, v7
	v_mul_f32_e32 v4, v59, v4
	v_and_b32_e32 v5, 0x7f800000, v4
	v_cmp_ne_u32_e64 s[0:1], s15, v5
                                        ; implicit-def: $agpr43
	s_and_saveexec_b64 s[12:13], s[0:1]
	s_xor_b64 s[0:1], exec, s[12:13]
; %bb.428:                              ;   in Loop: Header=BB357_274 Depth=1
	v_bfe_u32 v5, v4, 16, 1
	v_add3_u32 v4, v4, v5, s20
	v_accvgpr_write_b32 a43, v4
                                        ; implicit-def: $vgpr4
; %bb.429:                              ;   in Loop: Header=BB357_274 Depth=1
	s_andn2_saveexec_b64 s[12:13], s[0:1]
; %bb.430:                              ;   in Loop: Header=BB357_274 Depth=1
	v_or_b32_e32 v5, 0x10000, v4
	v_cmp_eq_u32_sdwa s[0:1], v4, v11 src0_sel:WORD_0 src1_sel:DWORD
	s_nop 1
	v_cndmask_b32_e64 v4, v5, v4, s[0:1]
	v_accvgpr_write_b32 a43, v4
; %bb.431:                              ;   in Loop: Header=BB357_274 Depth=1
	s_or_b64 exec, exec, s[12:13]
	v_lshlrev_b32_e32 v3, 16, v3
	v_mul_f32_e32 v3, v60, v3
	v_and_b32_e32 v4, 0x7f800000, v3
	v_cmp_ne_u32_e64 s[0:1], s15, v4
                                        ; implicit-def: $agpr44
	s_and_saveexec_b64 s[12:13], s[0:1]
	s_xor_b64 s[0:1], exec, s[12:13]
; %bb.432:                              ;   in Loop: Header=BB357_274 Depth=1
	v_bfe_u32 v4, v3, 16, 1
	v_add3_u32 v3, v3, v4, s20
	v_accvgpr_write_b32 a44, v3
                                        ; implicit-def: $vgpr3
; %bb.433:                              ;   in Loop: Header=BB357_274 Depth=1
	s_andn2_saveexec_b64 s[12:13], s[0:1]
; %bb.434:                              ;   in Loop: Header=BB357_274 Depth=1
	v_or_b32_e32 v4, 0x10000, v3
	v_cmp_eq_u32_sdwa s[0:1], v3, v11 src0_sel:WORD_0 src1_sel:DWORD
	s_nop 1
	v_cndmask_b32_e64 v3, v4, v3, s[0:1]
	v_accvgpr_write_b32 a44, v3
; %bb.435:                              ;   in Loop: Header=BB357_274 Depth=1
	s_or_b64 exec, exec, s[12:13]
	v_lshlrev_b32_e32 v2, 16, v2
	v_mul_f32_e32 v2, v61, v2
	v_and_b32_e32 v3, 0x7f800000, v2
	v_cmp_ne_u32_e64 s[0:1], s15, v3
                                        ; implicit-def: $agpr45
	s_and_saveexec_b64 s[12:13], s[0:1]
	s_xor_b64 s[0:1], exec, s[12:13]
; %bb.436:                              ;   in Loop: Header=BB357_274 Depth=1
	v_bfe_u32 v3, v2, 16, 1
	v_add3_u32 v2, v2, v3, s20
	v_accvgpr_write_b32 a45, v2
                                        ; implicit-def: $vgpr2
; %bb.437:                              ;   in Loop: Header=BB357_274 Depth=1
	s_andn2_saveexec_b64 s[12:13], s[0:1]
; %bb.438:                              ;   in Loop: Header=BB357_274 Depth=1
	v_or_b32_e32 v3, 0x10000, v2
	v_cmp_eq_u32_sdwa s[0:1], v2, v11 src0_sel:WORD_0 src1_sel:DWORD
	s_nop 1
	v_cndmask_b32_e64 v2, v3, v2, s[0:1]
	v_accvgpr_write_b32 a45, v2
; %bb.439:                              ;   in Loop: Header=BB357_274 Depth=1
	s_or_b64 exec, exec, s[12:13]
	flat_load_dwordx2 v[2:3], v[0:1] offset:1024
                                        ; implicit-def: $vgpr6
	s_waitcnt vmcnt(0) lgkmcnt(0)
	v_and_b32_e32 v4, 0xff, v2
	v_cvt_f32_fp8_sdwa v4, v4 src0_sel:BYTE_0
	s_nop 0
	v_mul_f32_e32 v4, v38, v4
	v_and_b32_e32 v5, 0x7f800000, v4
	v_cmp_ne_u32_e64 s[0:1], s15, v5
	s_and_saveexec_b64 s[12:13], s[0:1]
	s_xor_b64 s[0:1], exec, s[12:13]
; %bb.440:                              ;   in Loop: Header=BB357_274 Depth=1
	v_bfe_u32 v5, v4, 16, 1
	v_add3_u32 v6, v4, v5, s20
                                        ; implicit-def: $vgpr4
; %bb.441:                              ;   in Loop: Header=BB357_274 Depth=1
	s_andn2_saveexec_b64 s[12:13], s[0:1]
; %bb.442:                              ;   in Loop: Header=BB357_274 Depth=1
	v_or_b32_e32 v5, 0x10000, v4
	v_cmp_eq_u32_sdwa s[0:1], v4, v11 src0_sel:WORD_0 src1_sel:DWORD
	s_nop 1
	v_cndmask_b32_e64 v6, v5, v4, s[0:1]
; %bb.443:                              ;   in Loop: Header=BB357_274 Depth=1
	s_or_b64 exec, exec, s[12:13]
	v_bfe_u32 v4, v2, 8, 8
	v_cvt_f32_fp8_sdwa v4, v4 src0_sel:BYTE_0
	s_nop 0
	v_mul_f32_e32 v7, v38, v4
	v_and_b32_e32 v4, 0x7f800000, v7
	v_cmp_ne_u32_e64 s[0:1], s15, v4
                                        ; implicit-def: $vgpr4
	s_and_saveexec_b64 s[12:13], s[0:1]
	s_xor_b64 s[0:1], exec, s[12:13]
; %bb.444:                              ;   in Loop: Header=BB357_274 Depth=1
	v_bfe_u32 v4, v7, 16, 1
	v_add3_u32 v4, v7, v4, s20
                                        ; implicit-def: $vgpr7
; %bb.445:                              ;   in Loop: Header=BB357_274 Depth=1
	s_andn2_saveexec_b64 s[12:13], s[0:1]
; %bb.446:                              ;   in Loop: Header=BB357_274 Depth=1
	v_or_b32_e32 v4, 0x10000, v7
	v_cmp_eq_u32_sdwa s[0:1], v7, v11 src0_sel:WORD_0 src1_sel:DWORD
	s_nop 1
	v_cndmask_b32_e64 v4, v4, v7, s[0:1]
; %bb.447:                              ;   in Loop: Header=BB357_274 Depth=1
	s_or_b64 exec, exec, s[12:13]
	v_bfe_u32 v5, v2, 16, 8
	v_cvt_f32_fp8_sdwa v5, v5 src0_sel:BYTE_0
                                        ; implicit-def: $vgpr8
	s_nop 0
	v_mul_f32_e32 v7, v38, v5
	v_and_b32_e32 v5, 0x7f800000, v7
	v_cmp_ne_u32_e64 s[0:1], s15, v5
	s_and_saveexec_b64 s[12:13], s[0:1]
	s_xor_b64 s[0:1], exec, s[12:13]
; %bb.448:                              ;   in Loop: Header=BB357_274 Depth=1
	v_bfe_u32 v5, v7, 16, 1
	v_add3_u32 v8, v7, v5, s20
                                        ; implicit-def: $vgpr7
; %bb.449:                              ;   in Loop: Header=BB357_274 Depth=1
	s_andn2_saveexec_b64 s[12:13], s[0:1]
; %bb.450:                              ;   in Loop: Header=BB357_274 Depth=1
	v_or_b32_e32 v5, 0x10000, v7
	v_cmp_eq_u32_sdwa s[0:1], v7, v11 src0_sel:WORD_0 src1_sel:DWORD
	s_nop 1
	v_cndmask_b32_e64 v8, v5, v7, s[0:1]
; %bb.451:                              ;   in Loop: Header=BB357_274 Depth=1
	s_or_b64 exec, exec, s[12:13]
	v_lshrrev_b32_e32 v2, 24, v2
	v_cvt_f32_fp8_sdwa v2, v2 src0_sel:BYTE_0
	s_nop 0
	v_mul_f32_e32 v7, v38, v2
	v_and_b32_e32 v2, 0x7f800000, v7
	v_cmp_ne_u32_e64 s[0:1], s15, v2
                                        ; implicit-def: $vgpr2
	s_and_saveexec_b64 s[12:13], s[0:1]
	s_xor_b64 s[0:1], exec, s[12:13]
; %bb.452:                              ;   in Loop: Header=BB357_274 Depth=1
	v_bfe_u32 v2, v7, 16, 1
	v_add3_u32 v2, v7, v2, s20
                                        ; implicit-def: $vgpr7
; %bb.453:                              ;   in Loop: Header=BB357_274 Depth=1
	s_andn2_saveexec_b64 s[12:13], s[0:1]
; %bb.454:                              ;   in Loop: Header=BB357_274 Depth=1
	v_or_b32_e32 v2, 0x10000, v7
	v_cmp_eq_u32_sdwa s[0:1], v7, v11 src0_sel:WORD_0 src1_sel:DWORD
	s_nop 1
	v_cndmask_b32_e64 v2, v2, v7, s[0:1]
; %bb.455:                              ;   in Loop: Header=BB357_274 Depth=1
	s_or_b64 exec, exec, s[12:13]
	v_and_b32_e32 v5, 0xff, v3
	v_cvt_f32_fp8_sdwa v5, v5 src0_sel:BYTE_0
                                        ; implicit-def: $vgpr9
	s_nop 0
	v_mul_f32_e32 v7, v38, v5
	v_and_b32_e32 v5, 0x7f800000, v7
	v_cmp_ne_u32_e64 s[0:1], s15, v5
	s_and_saveexec_b64 s[12:13], s[0:1]
	s_xor_b64 s[0:1], exec, s[12:13]
; %bb.456:                              ;   in Loop: Header=BB357_274 Depth=1
	v_bfe_u32 v5, v7, 16, 1
	v_add3_u32 v9, v7, v5, s20
                                        ; implicit-def: $vgpr7
; %bb.457:                              ;   in Loop: Header=BB357_274 Depth=1
	s_andn2_saveexec_b64 s[12:13], s[0:1]
; %bb.458:                              ;   in Loop: Header=BB357_274 Depth=1
	v_or_b32_e32 v5, 0x10000, v7
	v_cmp_eq_u32_sdwa s[0:1], v7, v11 src0_sel:WORD_0 src1_sel:DWORD
	s_nop 1
	v_cndmask_b32_e64 v9, v5, v7, s[0:1]
; %bb.459:                              ;   in Loop: Header=BB357_274 Depth=1
	s_or_b64 exec, exec, s[12:13]
	v_bfe_u32 v5, v3, 8, 8
	v_cvt_f32_fp8_sdwa v5, v5 src0_sel:BYTE_0
                                        ; implicit-def: $vgpr7
	s_nop 0
	v_mul_f32_e32 v10, v38, v5
	v_and_b32_e32 v5, 0x7f800000, v10
	v_cmp_ne_u32_e64 s[0:1], s15, v5
	s_and_saveexec_b64 s[12:13], s[0:1]
	s_xor_b64 s[0:1], exec, s[12:13]
; %bb.460:                              ;   in Loop: Header=BB357_274 Depth=1
	v_bfe_u32 v5, v10, 16, 1
	v_add3_u32 v7, v10, v5, s20
                                        ; implicit-def: $vgpr10
; %bb.461:                              ;   in Loop: Header=BB357_274 Depth=1
	s_andn2_saveexec_b64 s[12:13], s[0:1]
; %bb.462:                              ;   in Loop: Header=BB357_274 Depth=1
	v_or_b32_e32 v5, 0x10000, v10
	v_cmp_eq_u32_sdwa s[0:1], v10, v11 src0_sel:WORD_0 src1_sel:DWORD
	s_nop 1
	v_cndmask_b32_e64 v7, v5, v10, s[0:1]
; %bb.463:                              ;   in Loop: Header=BB357_274 Depth=1
	s_or_b64 exec, exec, s[12:13]
	v_bfe_u32 v5, v3, 16, 8
	v_cvt_f32_fp8_sdwa v5, v5 src0_sel:BYTE_0
                                        ; implicit-def: $vgpr20
	s_nop 0
	v_mul_f32_e32 v10, v38, v5
	v_and_b32_e32 v5, 0x7f800000, v10
	v_cmp_ne_u32_e64 s[0:1], s15, v5
	s_and_saveexec_b64 s[12:13], s[0:1]
	s_xor_b64 s[0:1], exec, s[12:13]
; %bb.464:                              ;   in Loop: Header=BB357_274 Depth=1
	v_bfe_u32 v5, v10, 16, 1
	v_add3_u32 v20, v10, v5, s20
                                        ; implicit-def: $vgpr10
; %bb.465:                              ;   in Loop: Header=BB357_274 Depth=1
	s_andn2_saveexec_b64 s[12:13], s[0:1]
; %bb.466:                              ;   in Loop: Header=BB357_274 Depth=1
	v_or_b32_e32 v5, 0x10000, v10
	v_cmp_eq_u32_sdwa s[0:1], v10, v11 src0_sel:WORD_0 src1_sel:DWORD
	s_nop 1
	v_cndmask_b32_e64 v20, v5, v10, s[0:1]
; %bb.467:                              ;   in Loop: Header=BB357_274 Depth=1
	s_or_b64 exec, exec, s[12:13]
	v_lshrrev_b32_e32 v3, 24, v3
	v_cvt_f32_fp8_sdwa v3, v3 src0_sel:BYTE_0
                                        ; implicit-def: $vgpr21
	s_nop 0
	v_mul_f32_e32 v3, v38, v3
	v_and_b32_e32 v5, 0x7f800000, v3
	v_cmp_ne_u32_e64 s[0:1], s15, v5
	s_and_saveexec_b64 s[12:13], s[0:1]
	s_xor_b64 s[0:1], exec, s[12:13]
; %bb.468:                              ;   in Loop: Header=BB357_274 Depth=1
	v_bfe_u32 v5, v3, 16, 1
	v_add3_u32 v21, v3, v5, s20
                                        ; implicit-def: $vgpr3
; %bb.469:                              ;   in Loop: Header=BB357_274 Depth=1
	s_andn2_saveexec_b64 s[12:13], s[0:1]
; %bb.470:                              ;   in Loop: Header=BB357_274 Depth=1
	v_or_b32_e32 v5, 0x10000, v3
	v_cmp_eq_u32_sdwa s[0:1], v3, v11 src0_sel:WORD_0 src1_sel:DWORD
	s_nop 1
	v_cndmask_b32_e64 v21, v5, v3, s[0:1]
; %bb.471:                              ;   in Loop: Header=BB357_274 Depth=1
	s_or_b64 exec, exec, s[12:13]
	v_lshrrev_b32_e32 v7, 16, v7
	v_lshrrev_b32_e32 v9, 16, v9
	v_lshrrev_b32_e32 v10, 16, v2
	v_lshrrev_b32_e32 v8, 16, v8
	v_lshrrev_b32_e32 v4, 16, v4
	v_lshrrev_b32_e32 v6, 16, v6
	v_lshrrev_b32_e32 v3, 16, v20
	v_lshrrev_b32_e32 v2, 16, v21
	s_and_saveexec_b64 s[12:13], vcc
	s_cbranch_execz .LBB357_473
; %bb.472:                              ;   in Loop: Header=BB357_274 Depth=1
	v_accvgpr_read_b32 v5, a3
	v_cmp_lt_i32_e64 s[0:1], v51, v5
	v_accvgpr_read_b32 v20, a37
	s_nop 0
	v_cndmask_b32_e64 v6, 0, v6, s[0:1]
	v_cmp_lt_i32_e64 s[0:1], v20, v5
	v_accvgpr_read_b32 v20, a36
	s_nop 0
	v_cndmask_b32_e64 v4, 0, v4, s[0:1]
	;; [unrolled: 4-line block ×7, first 2 shown]
	v_cmp_lt_i32_e64 s[0:1], v20, v5
	s_nop 1
	v_cndmask_b32_e64 v2, 0, v2, s[0:1]
.LBB357_473:                            ;   in Loop: Header=BB357_274 Depth=1
	s_or_b64 exec, exec, s[12:13]
	v_lshlrev_b32_e32 v5, 16, v6
	v_mul_f32_e32 v6, v46, v5
	v_and_b32_e32 v5, 0x7f800000, v6
	v_cmp_ne_u32_e64 s[0:1], s15, v5
                                        ; implicit-def: $agpr46
	s_and_saveexec_b64 s[12:13], s[0:1]
	s_xor_b64 s[0:1], exec, s[12:13]
; %bb.474:                              ;   in Loop: Header=BB357_274 Depth=1
	v_bfe_u32 v5, v6, 16, 1
	v_add3_u32 v5, v6, v5, s20
	v_accvgpr_write_b32 a46, v5
                                        ; implicit-def: $vgpr6
; %bb.475:                              ;   in Loop: Header=BB357_274 Depth=1
	s_andn2_saveexec_b64 s[12:13], s[0:1]
; %bb.476:                              ;   in Loop: Header=BB357_274 Depth=1
	v_or_b32_e32 v5, 0x10000, v6
	v_cmp_eq_u32_sdwa s[0:1], v6, v11 src0_sel:WORD_0 src1_sel:DWORD
	s_nop 1
	v_cndmask_b32_e64 v5, v5, v6, s[0:1]
	v_accvgpr_write_b32 a46, v5
; %bb.477:                              ;   in Loop: Header=BB357_274 Depth=1
	s_or_b64 exec, exec, s[12:13]
	v_lshlrev_b32_e32 v4, 16, v4
	v_mul_f32_e32 v4, v47, v4
	v_and_b32_e32 v5, 0x7f800000, v4
	v_cmp_ne_u32_e64 s[0:1], s15, v5
                                        ; implicit-def: $agpr47
	s_and_saveexec_b64 s[12:13], s[0:1]
	s_xor_b64 s[0:1], exec, s[12:13]
; %bb.478:                              ;   in Loop: Header=BB357_274 Depth=1
	v_bfe_u32 v5, v4, 16, 1
	v_add3_u32 v4, v4, v5, s20
	v_accvgpr_write_b32 a47, v4
                                        ; implicit-def: $vgpr4
; %bb.479:                              ;   in Loop: Header=BB357_274 Depth=1
	s_andn2_saveexec_b64 s[12:13], s[0:1]
; %bb.480:                              ;   in Loop: Header=BB357_274 Depth=1
	v_or_b32_e32 v5, 0x10000, v4
	v_cmp_eq_u32_sdwa s[0:1], v4, v11 src0_sel:WORD_0 src1_sel:DWORD
	s_nop 1
	v_cndmask_b32_e64 v4, v5, v4, s[0:1]
	v_accvgpr_write_b32 a47, v4
; %bb.481:                              ;   in Loop: Header=BB357_274 Depth=1
	s_or_b64 exec, exec, s[12:13]
	v_lshlrev_b32_e32 v4, 16, v8
	v_mul_f32_e32 v4, v56, v4
	v_and_b32_e32 v5, 0x7f800000, v4
	v_cmp_ne_u32_e64 s[0:1], s15, v5
                                        ; implicit-def: $vgpr26
	s_and_saveexec_b64 s[12:13], s[0:1]
	s_xor_b64 s[0:1], exec, s[12:13]
; %bb.482:                              ;   in Loop: Header=BB357_274 Depth=1
	v_bfe_u32 v5, v4, 16, 1
	v_add3_u32 v26, v4, v5, s20
                                        ; implicit-def: $vgpr4
; %bb.483:                              ;   in Loop: Header=BB357_274 Depth=1
	s_andn2_saveexec_b64 s[12:13], s[0:1]
; %bb.484:                              ;   in Loop: Header=BB357_274 Depth=1
	v_or_b32_e32 v5, 0x10000, v4
	v_cmp_eq_u32_sdwa s[0:1], v4, v11 src0_sel:WORD_0 src1_sel:DWORD
	s_nop 1
	v_cndmask_b32_e64 v26, v5, v4, s[0:1]
; %bb.485:                              ;   in Loop: Header=BB357_274 Depth=1
	s_or_b64 exec, exec, s[12:13]
	v_lshlrev_b32_e32 v4, 16, v10
	v_mul_f32_e32 v4, v57, v4
	v_and_b32_e32 v5, 0x7f800000, v4
	v_cmp_ne_u32_e64 s[0:1], s15, v5
                                        ; implicit-def: $vgpr27
	s_and_saveexec_b64 s[12:13], s[0:1]
	s_xor_b64 s[0:1], exec, s[12:13]
; %bb.486:                              ;   in Loop: Header=BB357_274 Depth=1
	v_bfe_u32 v5, v4, 16, 1
	v_add3_u32 v27, v4, v5, s20
                                        ; implicit-def: $vgpr4
; %bb.487:                              ;   in Loop: Header=BB357_274 Depth=1
	s_andn2_saveexec_b64 s[12:13], s[0:1]
; %bb.488:                              ;   in Loop: Header=BB357_274 Depth=1
	v_or_b32_e32 v5, 0x10000, v4
	v_cmp_eq_u32_sdwa s[0:1], v4, v11 src0_sel:WORD_0 src1_sel:DWORD
	s_nop 1
	v_cndmask_b32_e64 v27, v5, v4, s[0:1]
; %bb.489:                              ;   in Loop: Header=BB357_274 Depth=1
	s_or_b64 exec, exec, s[12:13]
	v_lshlrev_b32_e32 v4, 16, v9
	v_mul_f32_e32 v4, v58, v4
	v_and_b32_e32 v5, 0x7f800000, v4
	v_cmp_ne_u32_e64 s[0:1], s15, v5
                                        ; implicit-def: $vgpr31
	s_and_saveexec_b64 s[12:13], s[0:1]
	s_xor_b64 s[0:1], exec, s[12:13]
; %bb.490:                              ;   in Loop: Header=BB357_274 Depth=1
	v_bfe_u32 v5, v4, 16, 1
	v_add3_u32 v31, v4, v5, s20
                                        ; implicit-def: $vgpr4
; %bb.491:                              ;   in Loop: Header=BB357_274 Depth=1
	s_andn2_saveexec_b64 s[12:13], s[0:1]
; %bb.492:                              ;   in Loop: Header=BB357_274 Depth=1
	v_or_b32_e32 v5, 0x10000, v4
	v_cmp_eq_u32_sdwa s[0:1], v4, v11 src0_sel:WORD_0 src1_sel:DWORD
	s_nop 1
	v_cndmask_b32_e64 v31, v5, v4, s[0:1]
; %bb.493:                              ;   in Loop: Header=BB357_274 Depth=1
	s_or_b64 exec, exec, s[12:13]
	v_lshlrev_b32_e32 v4, 16, v7
	v_mul_f32_e32 v4, v59, v4
	v_and_b32_e32 v5, 0x7f800000, v4
	v_cmp_ne_u32_e64 s[0:1], s15, v5
                                        ; implicit-def: $vgpr42
	s_and_saveexec_b64 s[12:13], s[0:1]
	s_xor_b64 s[0:1], exec, s[12:13]
; %bb.494:                              ;   in Loop: Header=BB357_274 Depth=1
	v_bfe_u32 v5, v4, 16, 1
	v_add3_u32 v42, v4, v5, s20
                                        ; implicit-def: $vgpr4
; %bb.495:                              ;   in Loop: Header=BB357_274 Depth=1
	s_andn2_saveexec_b64 s[12:13], s[0:1]
; %bb.496:                              ;   in Loop: Header=BB357_274 Depth=1
	v_or_b32_e32 v5, 0x10000, v4
	v_cmp_eq_u32_sdwa s[0:1], v4, v11 src0_sel:WORD_0 src1_sel:DWORD
	s_nop 1
	v_cndmask_b32_e64 v42, v5, v4, s[0:1]
; %bb.497:                              ;   in Loop: Header=BB357_274 Depth=1
	s_or_b64 exec, exec, s[12:13]
	v_lshlrev_b32_e32 v3, 16, v3
	v_mul_f32_e32 v3, v60, v3
	v_and_b32_e32 v4, 0x7f800000, v3
	v_cmp_ne_u32_e64 s[0:1], s15, v4
                                        ; implicit-def: $vgpr43
	s_and_saveexec_b64 s[12:13], s[0:1]
	s_xor_b64 s[0:1], exec, s[12:13]
; %bb.498:                              ;   in Loop: Header=BB357_274 Depth=1
	v_bfe_u32 v4, v3, 16, 1
	v_add3_u32 v43, v3, v4, s20
                                        ; implicit-def: $vgpr3
; %bb.499:                              ;   in Loop: Header=BB357_274 Depth=1
	s_andn2_saveexec_b64 s[12:13], s[0:1]
; %bb.500:                              ;   in Loop: Header=BB357_274 Depth=1
	v_or_b32_e32 v4, 0x10000, v3
	v_cmp_eq_u32_sdwa s[0:1], v3, v11 src0_sel:WORD_0 src1_sel:DWORD
	s_nop 1
	v_cndmask_b32_e64 v43, v4, v3, s[0:1]
; %bb.501:                              ;   in Loop: Header=BB357_274 Depth=1
	s_or_b64 exec, exec, s[12:13]
	v_lshlrev_b32_e32 v2, 16, v2
	v_mul_f32_e32 v2, v61, v2
	v_and_b32_e32 v3, 0x7f800000, v2
	v_cmp_ne_u32_e64 s[0:1], s15, v3
                                        ; implicit-def: $vgpr21
	s_and_saveexec_b64 s[12:13], s[0:1]
	s_xor_b64 s[0:1], exec, s[12:13]
; %bb.502:                              ;   in Loop: Header=BB357_274 Depth=1
	v_bfe_u32 v3, v2, 16, 1
	v_add3_u32 v21, v2, v3, s20
                                        ; implicit-def: $vgpr2
; %bb.503:                              ;   in Loop: Header=BB357_274 Depth=1
	s_andn2_saveexec_b64 s[12:13], s[0:1]
; %bb.504:                              ;   in Loop: Header=BB357_274 Depth=1
	v_or_b32_e32 v3, 0x10000, v2
	v_cmp_eq_u32_sdwa s[0:1], v2, v11 src0_sel:WORD_0 src1_sel:DWORD
	s_nop 1
	v_cndmask_b32_e64 v21, v3, v2, s[0:1]
; %bb.505:                              ;   in Loop: Header=BB357_274 Depth=1
	s_or_b64 exec, exec, s[12:13]
	flat_load_dwordx2 v[2:3], v[0:1] offset:1536
                                        ; implicit-def: $vgpr6
	s_waitcnt vmcnt(0) lgkmcnt(0)
	v_and_b32_e32 v4, 0xff, v2
	v_cvt_f32_fp8_sdwa v4, v4 src0_sel:BYTE_0
	s_nop 0
	v_mul_f32_e32 v4, v38, v4
	v_and_b32_e32 v5, 0x7f800000, v4
	v_cmp_ne_u32_e64 s[0:1], s15, v5
	s_and_saveexec_b64 s[12:13], s[0:1]
	s_xor_b64 s[0:1], exec, s[12:13]
; %bb.506:                              ;   in Loop: Header=BB357_274 Depth=1
	v_bfe_u32 v5, v4, 16, 1
	v_add3_u32 v6, v4, v5, s20
                                        ; implicit-def: $vgpr4
; %bb.507:                              ;   in Loop: Header=BB357_274 Depth=1
	s_andn2_saveexec_b64 s[12:13], s[0:1]
; %bb.508:                              ;   in Loop: Header=BB357_274 Depth=1
	v_or_b32_e32 v5, 0x10000, v4
	v_cmp_eq_u32_sdwa s[0:1], v4, v11 src0_sel:WORD_0 src1_sel:DWORD
	s_nop 1
	v_cndmask_b32_e64 v6, v5, v4, s[0:1]
; %bb.509:                              ;   in Loop: Header=BB357_274 Depth=1
	s_or_b64 exec, exec, s[12:13]
	v_bfe_u32 v4, v2, 8, 8
	v_cvt_f32_fp8_sdwa v4, v4 src0_sel:BYTE_0
	s_nop 0
	v_mul_f32_e32 v7, v38, v4
	v_and_b32_e32 v4, 0x7f800000, v7
	v_cmp_ne_u32_e64 s[0:1], s15, v4
                                        ; implicit-def: $vgpr4
	s_and_saveexec_b64 s[12:13], s[0:1]
	s_xor_b64 s[0:1], exec, s[12:13]
; %bb.510:                              ;   in Loop: Header=BB357_274 Depth=1
	v_bfe_u32 v4, v7, 16, 1
	v_add3_u32 v4, v7, v4, s20
                                        ; implicit-def: $vgpr7
; %bb.511:                              ;   in Loop: Header=BB357_274 Depth=1
	s_andn2_saveexec_b64 s[12:13], s[0:1]
; %bb.512:                              ;   in Loop: Header=BB357_274 Depth=1
	v_or_b32_e32 v4, 0x10000, v7
	v_cmp_eq_u32_sdwa s[0:1], v7, v11 src0_sel:WORD_0 src1_sel:DWORD
	s_nop 1
	v_cndmask_b32_e64 v4, v4, v7, s[0:1]
; %bb.513:                              ;   in Loop: Header=BB357_274 Depth=1
	s_or_b64 exec, exec, s[12:13]
	v_bfe_u32 v5, v2, 16, 8
	v_cvt_f32_fp8_sdwa v5, v5 src0_sel:BYTE_0
                                        ; implicit-def: $vgpr7
	s_nop 0
	v_mul_f32_e32 v8, v38, v5
	v_and_b32_e32 v5, 0x7f800000, v8
	v_cmp_ne_u32_e64 s[0:1], s15, v5
	s_and_saveexec_b64 s[12:13], s[0:1]
	s_xor_b64 s[0:1], exec, s[12:13]
; %bb.514:                              ;   in Loop: Header=BB357_274 Depth=1
	v_bfe_u32 v5, v8, 16, 1
	v_add3_u32 v7, v8, v5, s20
                                        ; implicit-def: $vgpr8
; %bb.515:                              ;   in Loop: Header=BB357_274 Depth=1
	s_andn2_saveexec_b64 s[12:13], s[0:1]
; %bb.516:                              ;   in Loop: Header=BB357_274 Depth=1
	v_or_b32_e32 v5, 0x10000, v8
	v_cmp_eq_u32_sdwa s[0:1], v8, v11 src0_sel:WORD_0 src1_sel:DWORD
	s_nop 1
	v_cndmask_b32_e64 v7, v5, v8, s[0:1]
; %bb.517:                              ;   in Loop: Header=BB357_274 Depth=1
	s_or_b64 exec, exec, s[12:13]
	v_lshrrev_b32_e32 v2, 24, v2
	v_cvt_f32_fp8_sdwa v2, v2 src0_sel:BYTE_0
	s_nop 0
	v_mul_f32_e32 v8, v38, v2
	v_and_b32_e32 v2, 0x7f800000, v8
	v_cmp_ne_u32_e64 s[0:1], s15, v2
                                        ; implicit-def: $vgpr2
	s_and_saveexec_b64 s[12:13], s[0:1]
	s_xor_b64 s[0:1], exec, s[12:13]
; %bb.518:                              ;   in Loop: Header=BB357_274 Depth=1
	v_bfe_u32 v2, v8, 16, 1
	v_add3_u32 v2, v8, v2, s20
                                        ; implicit-def: $vgpr8
; %bb.519:                              ;   in Loop: Header=BB357_274 Depth=1
	s_andn2_saveexec_b64 s[12:13], s[0:1]
; %bb.520:                              ;   in Loop: Header=BB357_274 Depth=1
	v_or_b32_e32 v2, 0x10000, v8
	v_cmp_eq_u32_sdwa s[0:1], v8, v11 src0_sel:WORD_0 src1_sel:DWORD
	s_nop 1
	v_cndmask_b32_e64 v2, v2, v8, s[0:1]
; %bb.521:                              ;   in Loop: Header=BB357_274 Depth=1
	s_or_b64 exec, exec, s[12:13]
	v_and_b32_e32 v5, 0xff, v3
	v_cvt_f32_fp8_sdwa v5, v5 src0_sel:BYTE_0
                                        ; implicit-def: $vgpr8
	s_nop 0
	v_mul_f32_e32 v9, v38, v5
	v_and_b32_e32 v5, 0x7f800000, v9
	v_cmp_ne_u32_e64 s[0:1], s15, v5
	s_and_saveexec_b64 s[12:13], s[0:1]
	s_xor_b64 s[0:1], exec, s[12:13]
; %bb.522:                              ;   in Loop: Header=BB357_274 Depth=1
	v_bfe_u32 v5, v9, 16, 1
	v_add3_u32 v8, v9, v5, s20
                                        ; implicit-def: $vgpr9
; %bb.523:                              ;   in Loop: Header=BB357_274 Depth=1
	s_andn2_saveexec_b64 s[12:13], s[0:1]
; %bb.524:                              ;   in Loop: Header=BB357_274 Depth=1
	v_or_b32_e32 v5, 0x10000, v9
	v_cmp_eq_u32_sdwa s[0:1], v9, v11 src0_sel:WORD_0 src1_sel:DWORD
	s_nop 1
	v_cndmask_b32_e64 v8, v5, v9, s[0:1]
; %bb.525:                              ;   in Loop: Header=BB357_274 Depth=1
	s_or_b64 exec, exec, s[12:13]
	v_bfe_u32 v5, v3, 8, 8
	v_cvt_f32_fp8_sdwa v5, v5 src0_sel:BYTE_0
                                        ; implicit-def: $vgpr9
	s_nop 0
	v_mul_f32_e32 v10, v38, v5
	v_and_b32_e32 v5, 0x7f800000, v10
	v_cmp_ne_u32_e64 s[0:1], s15, v5
	s_and_saveexec_b64 s[12:13], s[0:1]
	s_xor_b64 s[0:1], exec, s[12:13]
; %bb.526:                              ;   in Loop: Header=BB357_274 Depth=1
	v_bfe_u32 v5, v10, 16, 1
	v_add3_u32 v9, v10, v5, s20
                                        ; implicit-def: $vgpr10
; %bb.527:                              ;   in Loop: Header=BB357_274 Depth=1
	s_andn2_saveexec_b64 s[12:13], s[0:1]
; %bb.528:                              ;   in Loop: Header=BB357_274 Depth=1
	v_or_b32_e32 v5, 0x10000, v10
	v_cmp_eq_u32_sdwa s[0:1], v10, v11 src0_sel:WORD_0 src1_sel:DWORD
	s_nop 1
	v_cndmask_b32_e64 v9, v5, v10, s[0:1]
; %bb.529:                              ;   in Loop: Header=BB357_274 Depth=1
	s_or_b64 exec, exec, s[12:13]
	v_bfe_u32 v5, v3, 16, 8
	v_cvt_f32_fp8_sdwa v5, v5 src0_sel:BYTE_0
                                        ; implicit-def: $vgpr20
	s_nop 0
	v_mul_f32_e32 v10, v38, v5
	v_and_b32_e32 v5, 0x7f800000, v10
	v_cmp_ne_u32_e64 s[0:1], s15, v5
	s_and_saveexec_b64 s[12:13], s[0:1]
	s_xor_b64 s[0:1], exec, s[12:13]
; %bb.530:                              ;   in Loop: Header=BB357_274 Depth=1
	v_bfe_u32 v5, v10, 16, 1
	v_add3_u32 v20, v10, v5, s20
                                        ; implicit-def: $vgpr10
; %bb.531:                              ;   in Loop: Header=BB357_274 Depth=1
	s_andn2_saveexec_b64 s[12:13], s[0:1]
; %bb.532:                              ;   in Loop: Header=BB357_274 Depth=1
	v_or_b32_e32 v5, 0x10000, v10
	v_cmp_eq_u32_sdwa s[0:1], v10, v11 src0_sel:WORD_0 src1_sel:DWORD
	s_nop 1
	v_cndmask_b32_e64 v20, v5, v10, s[0:1]
; %bb.533:                              ;   in Loop: Header=BB357_274 Depth=1
	s_or_b64 exec, exec, s[12:13]
	v_lshrrev_b32_e32 v3, 24, v3
	v_cvt_f32_fp8_sdwa v3, v3 src0_sel:BYTE_0
                                        ; implicit-def: $vgpr22
	s_nop 0
	v_mul_f32_e32 v3, v38, v3
	v_and_b32_e32 v5, 0x7f800000, v3
	v_cmp_ne_u32_e64 s[0:1], s15, v5
	s_and_saveexec_b64 s[12:13], s[0:1]
	s_xor_b64 s[0:1], exec, s[12:13]
; %bb.534:                              ;   in Loop: Header=BB357_274 Depth=1
	v_bfe_u32 v5, v3, 16, 1
	v_add3_u32 v22, v3, v5, s20
                                        ; implicit-def: $vgpr3
; %bb.535:                              ;   in Loop: Header=BB357_274 Depth=1
	s_andn2_saveexec_b64 s[12:13], s[0:1]
; %bb.536:                              ;   in Loop: Header=BB357_274 Depth=1
	v_or_b32_e32 v5, 0x10000, v3
	v_cmp_eq_u32_sdwa s[0:1], v3, v11 src0_sel:WORD_0 src1_sel:DWORD
	s_nop 1
	v_cndmask_b32_e64 v22, v5, v3, s[0:1]
; %bb.537:                              ;   in Loop: Header=BB357_274 Depth=1
	s_or_b64 exec, exec, s[12:13]
	v_lshrrev_b32_e32 v9, 16, v9
	v_lshrrev_b32_e32 v8, 16, v8
	v_lshrrev_b32_e32 v10, 16, v2
	v_lshrrev_b32_e32 v7, 16, v7
	v_lshrrev_b32_e32 v4, 16, v4
	v_lshrrev_b32_e32 v6, 16, v6
	v_lshrrev_b32_e32 v3, 16, v20
	v_lshrrev_b32_e32 v2, 16, v22
	s_and_saveexec_b64 s[12:13], vcc
	s_cbranch_execz .LBB357_539
; %bb.538:                              ;   in Loop: Header=BB357_274 Depth=1
	v_accvgpr_read_b32 v5, a3
	v_cmp_lt_i32_e64 s[0:1], v51, v5
	v_accvgpr_read_b32 v20, a37
	s_nop 0
	v_cndmask_b32_e64 v6, 0, v6, s[0:1]
	v_cmp_lt_i32_e64 s[0:1], v20, v5
	v_accvgpr_read_b32 v20, a36
	s_nop 0
	v_cndmask_b32_e64 v4, 0, v4, s[0:1]
	;; [unrolled: 4-line block ×7, first 2 shown]
	v_cmp_lt_i32_e64 s[0:1], v20, v5
	s_nop 1
	v_cndmask_b32_e64 v2, 0, v2, s[0:1]
.LBB357_539:                            ;   in Loop: Header=BB357_274 Depth=1
	s_or_b64 exec, exec, s[12:13]
	v_lshlrev_b32_e32 v5, 16, v6
	v_mul_f32_e32 v20, v46, v5
	v_and_b32_e32 v5, 0x7f800000, v20
	v_cmp_ne_u32_e64 s[0:1], s15, v5
                                        ; implicit-def: $vgpr6
	s_and_saveexec_b64 s[12:13], s[0:1]
	s_xor_b64 s[0:1], exec, s[12:13]
; %bb.540:                              ;   in Loop: Header=BB357_274 Depth=1
	v_bfe_u32 v5, v20, 16, 1
	v_add3_u32 v6, v20, v5, s20
                                        ; implicit-def: $vgpr20
; %bb.541:                              ;   in Loop: Header=BB357_274 Depth=1
	s_andn2_saveexec_b64 s[12:13], s[0:1]
; %bb.542:                              ;   in Loop: Header=BB357_274 Depth=1
	v_or_b32_e32 v5, 0x10000, v20
	v_cmp_eq_u32_sdwa s[0:1], v20, v11 src0_sel:WORD_0 src1_sel:DWORD
	s_nop 1
	v_cndmask_b32_e64 v6, v5, v20, s[0:1]
; %bb.543:                              ;   in Loop: Header=BB357_274 Depth=1
	s_or_b64 exec, exec, s[12:13]
	v_lshlrev_b32_e32 v4, 16, v4
	v_mul_f32_e32 v4, v47, v4
	v_and_b32_e32 v5, 0x7f800000, v4
	v_cmp_ne_u32_e64 s[0:1], s15, v5
                                        ; implicit-def: $vgpr22
	s_and_saveexec_b64 s[12:13], s[0:1]
	s_xor_b64 s[0:1], exec, s[12:13]
; %bb.544:                              ;   in Loop: Header=BB357_274 Depth=1
	v_bfe_u32 v5, v4, 16, 1
	v_add3_u32 v22, v4, v5, s20
                                        ; implicit-def: $vgpr4
; %bb.545:                              ;   in Loop: Header=BB357_274 Depth=1
	s_andn2_saveexec_b64 s[12:13], s[0:1]
; %bb.546:                              ;   in Loop: Header=BB357_274 Depth=1
	v_or_b32_e32 v5, 0x10000, v4
	v_cmp_eq_u32_sdwa s[0:1], v4, v11 src0_sel:WORD_0 src1_sel:DWORD
	s_nop 1
	v_cndmask_b32_e64 v22, v5, v4, s[0:1]
; %bb.547:                              ;   in Loop: Header=BB357_274 Depth=1
	s_or_b64 exec, exec, s[12:13]
	v_lshlrev_b32_e32 v4, 16, v7
	v_mul_f32_e32 v4, v56, v4
	v_and_b32_e32 v5, 0x7f800000, v4
	v_cmp_ne_u32_e64 s[0:1], s15, v5
                                        ; implicit-def: $vgpr7
	s_and_saveexec_b64 s[12:13], s[0:1]
	s_xor_b64 s[0:1], exec, s[12:13]
; %bb.548:                              ;   in Loop: Header=BB357_274 Depth=1
	v_bfe_u32 v5, v4, 16, 1
	v_add3_u32 v7, v4, v5, s20
                                        ; implicit-def: $vgpr4
; %bb.549:                              ;   in Loop: Header=BB357_274 Depth=1
	s_andn2_saveexec_b64 s[12:13], s[0:1]
; %bb.550:                              ;   in Loop: Header=BB357_274 Depth=1
	v_or_b32_e32 v5, 0x10000, v4
	v_cmp_eq_u32_sdwa s[0:1], v4, v11 src0_sel:WORD_0 src1_sel:DWORD
	s_nop 1
	v_cndmask_b32_e64 v7, v5, v4, s[0:1]
; %bb.551:                              ;   in Loop: Header=BB357_274 Depth=1
	s_or_b64 exec, exec, s[12:13]
	v_lshlrev_b32_e32 v4, 16, v10
	v_mul_f32_e32 v4, v57, v4
	v_and_b32_e32 v5, 0x7f800000, v4
	v_cmp_ne_u32_e64 s[0:1], s15, v5
                                        ; implicit-def: $vgpr35
	s_and_saveexec_b64 s[12:13], s[0:1]
	s_xor_b64 s[0:1], exec, s[12:13]
; %bb.552:                              ;   in Loop: Header=BB357_274 Depth=1
	v_bfe_u32 v5, v4, 16, 1
	v_add3_u32 v35, v4, v5, s20
                                        ; implicit-def: $vgpr4
; %bb.553:                              ;   in Loop: Header=BB357_274 Depth=1
	s_andn2_saveexec_b64 s[12:13], s[0:1]
; %bb.554:                              ;   in Loop: Header=BB357_274 Depth=1
	v_or_b32_e32 v5, 0x10000, v4
	v_cmp_eq_u32_sdwa s[0:1], v4, v11 src0_sel:WORD_0 src1_sel:DWORD
	s_nop 1
	v_cndmask_b32_e64 v35, v5, v4, s[0:1]
; %bb.555:                              ;   in Loop: Header=BB357_274 Depth=1
	s_or_b64 exec, exec, s[12:13]
	v_lshlrev_b32_e32 v4, 16, v8
	v_mul_f32_e32 v4, v58, v4
	v_and_b32_e32 v5, 0x7f800000, v4
	v_cmp_ne_u32_e64 s[0:1], s15, v5
                                        ; implicit-def: $vgpr8
	s_and_saveexec_b64 s[12:13], s[0:1]
	s_xor_b64 s[0:1], exec, s[12:13]
; %bb.556:                              ;   in Loop: Header=BB357_274 Depth=1
	v_bfe_u32 v5, v4, 16, 1
	v_add3_u32 v8, v4, v5, s20
                                        ; implicit-def: $vgpr4
; %bb.557:                              ;   in Loop: Header=BB357_274 Depth=1
	s_andn2_saveexec_b64 s[12:13], s[0:1]
; %bb.558:                              ;   in Loop: Header=BB357_274 Depth=1
	v_or_b32_e32 v5, 0x10000, v4
	v_cmp_eq_u32_sdwa s[0:1], v4, v11 src0_sel:WORD_0 src1_sel:DWORD
	s_nop 1
	v_cndmask_b32_e64 v8, v5, v4, s[0:1]
; %bb.559:                              ;   in Loop: Header=BB357_274 Depth=1
	s_or_b64 exec, exec, s[12:13]
	v_lshlrev_b32_e32 v4, 16, v9
	v_mul_f32_e32 v4, v59, v4
	v_and_b32_e32 v5, 0x7f800000, v4
	v_cmp_ne_u32_e64 s[0:1], s15, v5
                                        ; implicit-def: $vgpr9
	s_and_saveexec_b64 s[12:13], s[0:1]
	s_xor_b64 s[0:1], exec, s[12:13]
; %bb.560:                              ;   in Loop: Header=BB357_274 Depth=1
	v_bfe_u32 v5, v4, 16, 1
	v_add3_u32 v9, v4, v5, s20
                                        ; implicit-def: $vgpr4
; %bb.561:                              ;   in Loop: Header=BB357_274 Depth=1
	s_andn2_saveexec_b64 s[12:13], s[0:1]
; %bb.562:                              ;   in Loop: Header=BB357_274 Depth=1
	v_or_b32_e32 v5, 0x10000, v4
	v_cmp_eq_u32_sdwa s[0:1], v4, v11 src0_sel:WORD_0 src1_sel:DWORD
	s_nop 1
	v_cndmask_b32_e64 v9, v5, v4, s[0:1]
; %bb.563:                              ;   in Loop: Header=BB357_274 Depth=1
	s_or_b64 exec, exec, s[12:13]
	v_lshlrev_b32_e32 v3, 16, v3
	v_mul_f32_e32 v3, v60, v3
	v_and_b32_e32 v4, 0x7f800000, v3
	v_cmp_ne_u32_e64 s[0:1], s15, v4
                                        ; implicit-def: $vgpr39
	s_and_saveexec_b64 s[12:13], s[0:1]
	s_xor_b64 s[0:1], exec, s[12:13]
; %bb.564:                              ;   in Loop: Header=BB357_274 Depth=1
	v_bfe_u32 v4, v3, 16, 1
	v_add3_u32 v39, v3, v4, s20
                                        ; implicit-def: $vgpr3
; %bb.565:                              ;   in Loop: Header=BB357_274 Depth=1
	s_andn2_saveexec_b64 s[12:13], s[0:1]
; %bb.566:                              ;   in Loop: Header=BB357_274 Depth=1
	v_or_b32_e32 v4, 0x10000, v3
	v_cmp_eq_u32_sdwa s[0:1], v3, v11 src0_sel:WORD_0 src1_sel:DWORD
	s_nop 1
	v_cndmask_b32_e64 v39, v4, v3, s[0:1]
; %bb.567:                              ;   in Loop: Header=BB357_274 Depth=1
	s_or_b64 exec, exec, s[12:13]
	v_lshlrev_b32_e32 v2, 16, v2
	v_mul_f32_e32 v2, v61, v2
	v_and_b32_e32 v3, 0x7f800000, v2
	v_cmp_ne_u32_e64 s[0:1], s15, v3
                                        ; implicit-def: $vgpr20
	s_and_saveexec_b64 s[12:13], s[0:1]
	s_xor_b64 s[0:1], exec, s[12:13]
; %bb.568:                              ;   in Loop: Header=BB357_274 Depth=1
	v_bfe_u32 v3, v2, 16, 1
	v_add3_u32 v20, v2, v3, s20
                                        ; implicit-def: $vgpr2
; %bb.569:                              ;   in Loop: Header=BB357_274 Depth=1
	s_andn2_saveexec_b64 s[12:13], s[0:1]
; %bb.570:                              ;   in Loop: Header=BB357_274 Depth=1
	v_or_b32_e32 v3, 0x10000, v2
	v_cmp_eq_u32_sdwa s[0:1], v2, v11 src0_sel:WORD_0 src1_sel:DWORD
	s_nop 1
	v_cndmask_b32_e64 v20, v3, v2, s[0:1]
; %bb.571:                              ;   in Loop: Header=BB357_274 Depth=1
	s_or_b64 exec, exec, s[12:13]
	flat_load_dwordx2 v[2:3], v[0:1] offset:2048
                                        ; implicit-def: $vgpr23
	s_waitcnt vmcnt(0) lgkmcnt(0)
	v_and_b32_e32 v4, 0xff, v2
	v_cvt_f32_fp8_sdwa v4, v4 src0_sel:BYTE_0
	s_nop 0
	v_mul_f32_e32 v4, v38, v4
	v_and_b32_e32 v5, 0x7f800000, v4
	v_cmp_ne_u32_e64 s[0:1], s15, v5
	s_and_saveexec_b64 s[12:13], s[0:1]
	s_xor_b64 s[0:1], exec, s[12:13]
; %bb.572:                              ;   in Loop: Header=BB357_274 Depth=1
	v_bfe_u32 v5, v4, 16, 1
	v_add3_u32 v23, v4, v5, s20
                                        ; implicit-def: $vgpr4
; %bb.573:                              ;   in Loop: Header=BB357_274 Depth=1
	s_andn2_saveexec_b64 s[12:13], s[0:1]
; %bb.574:                              ;   in Loop: Header=BB357_274 Depth=1
	v_or_b32_e32 v5, 0x10000, v4
	v_cmp_eq_u32_sdwa s[0:1], v4, v11 src0_sel:WORD_0 src1_sel:DWORD
	s_nop 1
	v_cndmask_b32_e64 v23, v5, v4, s[0:1]
; %bb.575:                              ;   in Loop: Header=BB357_274 Depth=1
	s_or_b64 exec, exec, s[12:13]
	v_bfe_u32 v4, v2, 8, 8
	v_cvt_f32_fp8_sdwa v4, v4 src0_sel:BYTE_0
	s_nop 0
	v_mul_f32_e32 v10, v38, v4
	v_and_b32_e32 v4, 0x7f800000, v10
	v_cmp_ne_u32_e64 s[0:1], s15, v4
                                        ; implicit-def: $vgpr4
	s_and_saveexec_b64 s[12:13], s[0:1]
	s_xor_b64 s[0:1], exec, s[12:13]
; %bb.576:                              ;   in Loop: Header=BB357_274 Depth=1
	v_bfe_u32 v4, v10, 16, 1
	v_add3_u32 v4, v10, v4, s20
                                        ; implicit-def: $vgpr10
; %bb.577:                              ;   in Loop: Header=BB357_274 Depth=1
	s_andn2_saveexec_b64 s[12:13], s[0:1]
; %bb.578:                              ;   in Loop: Header=BB357_274 Depth=1
	v_or_b32_e32 v4, 0x10000, v10
	v_cmp_eq_u32_sdwa s[0:1], v10, v11 src0_sel:WORD_0 src1_sel:DWORD
	s_nop 1
	v_cndmask_b32_e64 v4, v4, v10, s[0:1]
; %bb.579:                              ;   in Loop: Header=BB357_274 Depth=1
	s_or_b64 exec, exec, s[12:13]
	v_bfe_u32 v5, v2, 16, 8
	v_cvt_f32_fp8_sdwa v5, v5 src0_sel:BYTE_0
                                        ; implicit-def: $vgpr32
	s_nop 0
	v_mul_f32_e32 v10, v38, v5
	v_and_b32_e32 v5, 0x7f800000, v10
	v_cmp_ne_u32_e64 s[0:1], s15, v5
	s_and_saveexec_b64 s[12:13], s[0:1]
	s_xor_b64 s[0:1], exec, s[12:13]
; %bb.580:                              ;   in Loop: Header=BB357_274 Depth=1
	v_bfe_u32 v5, v10, 16, 1
	v_add3_u32 v32, v10, v5, s20
                                        ; implicit-def: $vgpr10
; %bb.581:                              ;   in Loop: Header=BB357_274 Depth=1
	s_andn2_saveexec_b64 s[12:13], s[0:1]
; %bb.582:                              ;   in Loop: Header=BB357_274 Depth=1
	v_or_b32_e32 v5, 0x10000, v10
	v_cmp_eq_u32_sdwa s[0:1], v10, v11 src0_sel:WORD_0 src1_sel:DWORD
	s_nop 1
	v_cndmask_b32_e64 v32, v5, v10, s[0:1]
; %bb.583:                              ;   in Loop: Header=BB357_274 Depth=1
	s_or_b64 exec, exec, s[12:13]
	v_lshrrev_b32_e32 v2, 24, v2
	v_cvt_f32_fp8_sdwa v2, v2 src0_sel:BYTE_0
	s_nop 0
	v_mul_f32_e32 v10, v38, v2
	v_and_b32_e32 v2, 0x7f800000, v10
	v_cmp_ne_u32_e64 s[0:1], s15, v2
                                        ; implicit-def: $vgpr2
	s_and_saveexec_b64 s[12:13], s[0:1]
	s_xor_b64 s[0:1], exec, s[12:13]
; %bb.584:                              ;   in Loop: Header=BB357_274 Depth=1
	v_bfe_u32 v2, v10, 16, 1
	v_add3_u32 v2, v10, v2, s20
                                        ; implicit-def: $vgpr10
; %bb.585:                              ;   in Loop: Header=BB357_274 Depth=1
	s_andn2_saveexec_b64 s[12:13], s[0:1]
; %bb.586:                              ;   in Loop: Header=BB357_274 Depth=1
	v_or_b32_e32 v2, 0x10000, v10
	v_cmp_eq_u32_sdwa s[0:1], v10, v11 src0_sel:WORD_0 src1_sel:DWORD
	s_nop 1
	v_cndmask_b32_e64 v2, v2, v10, s[0:1]
; %bb.587:                              ;   in Loop: Header=BB357_274 Depth=1
	s_or_b64 exec, exec, s[12:13]
	v_and_b32_e32 v5, 0xff, v3
	v_cvt_f32_fp8_sdwa v5, v5 src0_sel:BYTE_0
                                        ; implicit-def: $vgpr10
	s_nop 0
	v_mul_f32_e32 v24, v38, v5
	v_and_b32_e32 v5, 0x7f800000, v24
	v_cmp_ne_u32_e64 s[0:1], s15, v5
	s_and_saveexec_b64 s[12:13], s[0:1]
	s_xor_b64 s[0:1], exec, s[12:13]
; %bb.588:                              ;   in Loop: Header=BB357_274 Depth=1
	v_bfe_u32 v5, v24, 16, 1
	v_add3_u32 v10, v24, v5, s20
                                        ; implicit-def: $vgpr24
; %bb.589:                              ;   in Loop: Header=BB357_274 Depth=1
	s_andn2_saveexec_b64 s[12:13], s[0:1]
; %bb.590:                              ;   in Loop: Header=BB357_274 Depth=1
	v_or_b32_e32 v5, 0x10000, v24
	v_cmp_eq_u32_sdwa s[0:1], v24, v11 src0_sel:WORD_0 src1_sel:DWORD
	s_nop 1
	v_cndmask_b32_e64 v10, v5, v24, s[0:1]
; %bb.591:                              ;   in Loop: Header=BB357_274 Depth=1
	s_or_b64 exec, exec, s[12:13]
	v_bfe_u32 v5, v3, 8, 8
	v_cvt_f32_fp8_sdwa v5, v5 src0_sel:BYTE_0
                                        ; implicit-def: $vgpr24
	s_nop 0
	v_mul_f32_e32 v25, v38, v5
	v_and_b32_e32 v5, 0x7f800000, v25
	v_cmp_ne_u32_e64 s[0:1], s15, v5
	s_and_saveexec_b64 s[12:13], s[0:1]
	s_xor_b64 s[0:1], exec, s[12:13]
; %bb.592:                              ;   in Loop: Header=BB357_274 Depth=1
	v_bfe_u32 v5, v25, 16, 1
	v_add3_u32 v24, v25, v5, s20
                                        ; implicit-def: $vgpr25
; %bb.593:                              ;   in Loop: Header=BB357_274 Depth=1
	s_andn2_saveexec_b64 s[12:13], s[0:1]
; %bb.594:                              ;   in Loop: Header=BB357_274 Depth=1
	v_or_b32_e32 v5, 0x10000, v25
	v_cmp_eq_u32_sdwa s[0:1], v25, v11 src0_sel:WORD_0 src1_sel:DWORD
	s_nop 1
	v_cndmask_b32_e64 v24, v5, v25, s[0:1]
; %bb.595:                              ;   in Loop: Header=BB357_274 Depth=1
	s_or_b64 exec, exec, s[12:13]
	v_bfe_u32 v5, v3, 16, 8
	v_cvt_f32_fp8_sdwa v5, v5 src0_sel:BYTE_0
                                        ; implicit-def: $vgpr34
	s_nop 0
	v_mul_f32_e32 v25, v38, v5
	v_and_b32_e32 v5, 0x7f800000, v25
	v_cmp_ne_u32_e64 s[0:1], s15, v5
	s_and_saveexec_b64 s[12:13], s[0:1]
	s_xor_b64 s[0:1], exec, s[12:13]
; %bb.596:                              ;   in Loop: Header=BB357_274 Depth=1
	v_bfe_u32 v5, v25, 16, 1
	v_add3_u32 v34, v25, v5, s20
                                        ; implicit-def: $vgpr25
; %bb.597:                              ;   in Loop: Header=BB357_274 Depth=1
	s_andn2_saveexec_b64 s[12:13], s[0:1]
; %bb.598:                              ;   in Loop: Header=BB357_274 Depth=1
	v_or_b32_e32 v5, 0x10000, v25
	v_cmp_eq_u32_sdwa s[0:1], v25, v11 src0_sel:WORD_0 src1_sel:DWORD
	s_nop 1
	v_cndmask_b32_e64 v34, v5, v25, s[0:1]
; %bb.599:                              ;   in Loop: Header=BB357_274 Depth=1
	s_or_b64 exec, exec, s[12:13]
	v_lshrrev_b32_e32 v3, 24, v3
	v_cvt_f32_fp8_sdwa v3, v3 src0_sel:BYTE_0
                                        ; implicit-def: $vgpr25
	s_nop 0
	v_mul_f32_e32 v3, v38, v3
	v_and_b32_e32 v5, 0x7f800000, v3
	v_cmp_ne_u32_e64 s[0:1], s15, v5
	s_and_saveexec_b64 s[12:13], s[0:1]
	s_xor_b64 s[0:1], exec, s[12:13]
; %bb.600:                              ;   in Loop: Header=BB357_274 Depth=1
	v_bfe_u32 v5, v3, 16, 1
	v_add3_u32 v25, v3, v5, s20
                                        ; implicit-def: $vgpr3
; %bb.601:                              ;   in Loop: Header=BB357_274 Depth=1
	s_andn2_saveexec_b64 s[12:13], s[0:1]
; %bb.602:                              ;   in Loop: Header=BB357_274 Depth=1
	v_or_b32_e32 v5, 0x10000, v3
	v_cmp_eq_u32_sdwa s[0:1], v3, v11 src0_sel:WORD_0 src1_sel:DWORD
	s_nop 1
	v_cndmask_b32_e64 v25, v5, v3, s[0:1]
; %bb.603:                              ;   in Loop: Header=BB357_274 Depth=1
	s_or_b64 exec, exec, s[12:13]
	v_lshrrev_b32_e32 v36, 16, v24
	v_lshrrev_b32_e32 v33, 16, v10
	;; [unrolled: 1-line block ×8, first 2 shown]
	s_and_saveexec_b64 s[12:13], vcc
	s_cbranch_execz .LBB357_605
; %bb.604:                              ;   in Loop: Header=BB357_274 Depth=1
	v_accvgpr_read_b32 v5, a3
	v_cmp_lt_i32_e64 s[0:1], v51, v5
	v_accvgpr_read_b32 v25, a37
	s_nop 0
	v_cndmask_b32_e64 v23, 0, v23, s[0:1]
	v_cmp_lt_i32_e64 s[0:1], v25, v5
	v_accvgpr_read_b32 v25, a36
	s_nop 0
	v_cndmask_b32_e64 v4, 0, v4, s[0:1]
	;; [unrolled: 4-line block ×7, first 2 shown]
	v_cmp_lt_i32_e64 s[0:1], v25, v5
	s_nop 1
	v_cndmask_b32_e64 v2, 0, v2, s[0:1]
.LBB357_605:                            ;   in Loop: Header=BB357_274 Depth=1
	s_or_b64 exec, exec, s[12:13]
	v_lshlrev_b32_e32 v5, 16, v23
	v_mul_f32_e32 v23, v46, v5
	v_and_b32_e32 v5, 0x7f800000, v23
	v_cmp_ne_u32_e64 s[0:1], s15, v5
                                        ; implicit-def: $vgpr48
	s_and_saveexec_b64 s[12:13], s[0:1]
	s_xor_b64 s[0:1], exec, s[12:13]
; %bb.606:                              ;   in Loop: Header=BB357_274 Depth=1
	v_bfe_u32 v5, v23, 16, 1
	v_add3_u32 v48, v23, v5, s20
                                        ; implicit-def: $vgpr23
; %bb.607:                              ;   in Loop: Header=BB357_274 Depth=1
	s_andn2_saveexec_b64 s[12:13], s[0:1]
; %bb.608:                              ;   in Loop: Header=BB357_274 Depth=1
	v_or_b32_e32 v5, 0x10000, v23
	v_cmp_eq_u32_sdwa s[0:1], v23, v11 src0_sel:WORD_0 src1_sel:DWORD
	s_nop 1
	v_cndmask_b32_e64 v48, v5, v23, s[0:1]
; %bb.609:                              ;   in Loop: Header=BB357_274 Depth=1
	s_or_b64 exec, exec, s[12:13]
	v_lshlrev_b32_e32 v4, 16, v4
	v_mul_f32_e32 v4, v47, v4
	v_and_b32_e32 v5, 0x7f800000, v4
	v_cmp_ne_u32_e64 s[0:1], s15, v5
                                        ; implicit-def: $vgpr49
	s_and_saveexec_b64 s[12:13], s[0:1]
	s_xor_b64 s[0:1], exec, s[12:13]
; %bb.610:                              ;   in Loop: Header=BB357_274 Depth=1
	v_bfe_u32 v5, v4, 16, 1
	v_add3_u32 v49, v4, v5, s20
                                        ; implicit-def: $vgpr4
; %bb.611:                              ;   in Loop: Header=BB357_274 Depth=1
	s_andn2_saveexec_b64 s[12:13], s[0:1]
; %bb.612:                              ;   in Loop: Header=BB357_274 Depth=1
	v_or_b32_e32 v5, 0x10000, v4
	v_cmp_eq_u32_sdwa s[0:1], v4, v11 src0_sel:WORD_0 src1_sel:DWORD
	s_nop 1
	v_cndmask_b32_e64 v49, v5, v4, s[0:1]
; %bb.613:                              ;   in Loop: Header=BB357_274 Depth=1
	s_or_b64 exec, exec, s[12:13]
	v_lshlrev_b32_e32 v4, 16, v24
	v_mul_f32_e32 v4, v56, v4
	v_and_b32_e32 v5, 0x7f800000, v4
	v_cmp_ne_u32_e64 s[0:1], s15, v5
                                        ; implicit-def: $vgpr50
	s_and_saveexec_b64 s[12:13], s[0:1]
	s_xor_b64 s[0:1], exec, s[12:13]
; %bb.614:                              ;   in Loop: Header=BB357_274 Depth=1
	v_bfe_u32 v5, v4, 16, 1
	v_add3_u32 v50, v4, v5, s20
                                        ; implicit-def: $vgpr4
; %bb.615:                              ;   in Loop: Header=BB357_274 Depth=1
	s_andn2_saveexec_b64 s[12:13], s[0:1]
; %bb.616:                              ;   in Loop: Header=BB357_274 Depth=1
	v_or_b32_e32 v5, 0x10000, v4
	v_cmp_eq_u32_sdwa s[0:1], v4, v11 src0_sel:WORD_0 src1_sel:DWORD
	s_nop 1
	v_cndmask_b32_e64 v50, v5, v4, s[0:1]
; %bb.617:                              ;   in Loop: Header=BB357_274 Depth=1
	s_or_b64 exec, exec, s[12:13]
	v_lshlrev_b32_e32 v4, 16, v10
	v_mul_f32_e32 v4, v57, v4
	v_and_b32_e32 v5, 0x7f800000, v4
	v_cmp_ne_u32_e64 s[0:1], s15, v5
                                        ; implicit-def: $vgpr34
	s_and_saveexec_b64 s[12:13], s[0:1]
	s_xor_b64 s[0:1], exec, s[12:13]
; %bb.618:                              ;   in Loop: Header=BB357_274 Depth=1
	v_bfe_u32 v5, v4, 16, 1
	v_add3_u32 v34, v4, v5, s20
                                        ; implicit-def: $vgpr4
; %bb.619:                              ;   in Loop: Header=BB357_274 Depth=1
	s_andn2_saveexec_b64 s[12:13], s[0:1]
; %bb.620:                              ;   in Loop: Header=BB357_274 Depth=1
	v_or_b32_e32 v5, 0x10000, v4
	v_cmp_eq_u32_sdwa s[0:1], v4, v11 src0_sel:WORD_0 src1_sel:DWORD
	s_nop 1
	v_cndmask_b32_e64 v34, v5, v4, s[0:1]
; %bb.621:                              ;   in Loop: Header=BB357_274 Depth=1
	s_or_b64 exec, exec, s[12:13]
	v_lshlrev_b32_e32 v4, 16, v33
	v_mul_f32_e32 v4, v58, v4
	v_and_b32_e32 v5, 0x7f800000, v4
	v_cmp_ne_u32_e64 s[0:1], s15, v5
                                        ; implicit-def: $vgpr23
	s_and_saveexec_b64 s[12:13], s[0:1]
	s_xor_b64 s[0:1], exec, s[12:13]
; %bb.622:                              ;   in Loop: Header=BB357_274 Depth=1
	v_bfe_u32 v5, v4, 16, 1
	v_add3_u32 v23, v4, v5, s20
                                        ; implicit-def: $vgpr4
; %bb.623:                              ;   in Loop: Header=BB357_274 Depth=1
	s_andn2_saveexec_b64 s[12:13], s[0:1]
; %bb.624:                              ;   in Loop: Header=BB357_274 Depth=1
	v_or_b32_e32 v5, 0x10000, v4
	v_cmp_eq_u32_sdwa s[0:1], v4, v11 src0_sel:WORD_0 src1_sel:DWORD
	s_nop 1
	v_cndmask_b32_e64 v23, v5, v4, s[0:1]
; %bb.625:                              ;   in Loop: Header=BB357_274 Depth=1
	s_or_b64 exec, exec, s[12:13]
	v_lshlrev_b32_e32 v4, 16, v36
	v_mul_f32_e32 v4, v59, v4
	v_and_b32_e32 v5, 0x7f800000, v4
	v_cmp_ne_u32_e64 s[0:1], s15, v5
                                        ; implicit-def: $vgpr36
	s_and_saveexec_b64 s[12:13], s[0:1]
	s_xor_b64 s[0:1], exec, s[12:13]
; %bb.626:                              ;   in Loop: Header=BB357_274 Depth=1
	v_bfe_u32 v5, v4, 16, 1
	v_add3_u32 v36, v4, v5, s20
                                        ; implicit-def: $vgpr4
; %bb.627:                              ;   in Loop: Header=BB357_274 Depth=1
	s_andn2_saveexec_b64 s[12:13], s[0:1]
; %bb.628:                              ;   in Loop: Header=BB357_274 Depth=1
	v_or_b32_e32 v5, 0x10000, v4
	v_cmp_eq_u32_sdwa s[0:1], v4, v11 src0_sel:WORD_0 src1_sel:DWORD
	s_nop 1
	v_cndmask_b32_e64 v36, v5, v4, s[0:1]
; %bb.629:                              ;   in Loop: Header=BB357_274 Depth=1
	s_or_b64 exec, exec, s[12:13]
	v_lshlrev_b32_e32 v3, 16, v3
	v_mul_f32_e32 v3, v60, v3
	v_and_b32_e32 v4, 0x7f800000, v3
	v_cmp_ne_u32_e64 s[0:1], s15, v4
                                        ; implicit-def: $vgpr37
	s_and_saveexec_b64 s[12:13], s[0:1]
	s_xor_b64 s[0:1], exec, s[12:13]
; %bb.630:                              ;   in Loop: Header=BB357_274 Depth=1
	v_bfe_u32 v4, v3, 16, 1
	v_add3_u32 v37, v3, v4, s20
                                        ; implicit-def: $vgpr3
; %bb.631:                              ;   in Loop: Header=BB357_274 Depth=1
	s_andn2_saveexec_b64 s[12:13], s[0:1]
; %bb.632:                              ;   in Loop: Header=BB357_274 Depth=1
	v_or_b32_e32 v4, 0x10000, v3
	v_cmp_eq_u32_sdwa s[0:1], v3, v11 src0_sel:WORD_0 src1_sel:DWORD
	s_nop 1
	v_cndmask_b32_e64 v37, v4, v3, s[0:1]
; %bb.633:                              ;   in Loop: Header=BB357_274 Depth=1
	s_or_b64 exec, exec, s[12:13]
	v_lshlrev_b32_e32 v2, 16, v2
	v_mul_f32_e32 v2, v61, v2
	v_and_b32_e32 v3, 0x7f800000, v2
	v_cmp_ne_u32_e64 s[0:1], s15, v3
                                        ; implicit-def: $vgpr52
	s_and_saveexec_b64 s[12:13], s[0:1]
	s_xor_b64 s[0:1], exec, s[12:13]
; %bb.634:                              ;   in Loop: Header=BB357_274 Depth=1
	v_bfe_u32 v3, v2, 16, 1
	v_add3_u32 v52, v2, v3, s20
                                        ; implicit-def: $vgpr2
; %bb.635:                              ;   in Loop: Header=BB357_274 Depth=1
	s_andn2_saveexec_b64 s[12:13], s[0:1]
; %bb.636:                              ;   in Loop: Header=BB357_274 Depth=1
	v_or_b32_e32 v3, 0x10000, v2
	v_cmp_eq_u32_sdwa s[0:1], v2, v11 src0_sel:WORD_0 src1_sel:DWORD
	s_nop 1
	v_cndmask_b32_e64 v52, v3, v2, s[0:1]
; %bb.637:                              ;   in Loop: Header=BB357_274 Depth=1
	s_or_b64 exec, exec, s[12:13]
	flat_load_dwordx2 v[2:3], v[0:1] offset:2560
                                        ; implicit-def: $vgpr53
	s_waitcnt vmcnt(0) lgkmcnt(0)
	v_and_b32_e32 v4, 0xff, v2
	v_cvt_f32_fp8_sdwa v4, v4 src0_sel:BYTE_0
	s_nop 0
	v_mul_f32_e32 v4, v38, v4
	v_and_b32_e32 v5, 0x7f800000, v4
	v_cmp_ne_u32_e64 s[0:1], s15, v5
	s_and_saveexec_b64 s[12:13], s[0:1]
	s_xor_b64 s[0:1], exec, s[12:13]
; %bb.638:                              ;   in Loop: Header=BB357_274 Depth=1
	v_bfe_u32 v5, v4, 16, 1
	v_add3_u32 v53, v4, v5, s20
                                        ; implicit-def: $vgpr4
; %bb.639:                              ;   in Loop: Header=BB357_274 Depth=1
	s_andn2_saveexec_b64 s[12:13], s[0:1]
; %bb.640:                              ;   in Loop: Header=BB357_274 Depth=1
	v_or_b32_e32 v5, 0x10000, v4
	v_cmp_eq_u32_sdwa s[0:1], v4, v11 src0_sel:WORD_0 src1_sel:DWORD
	s_nop 1
	v_cndmask_b32_e64 v53, v5, v4, s[0:1]
; %bb.641:                              ;   in Loop: Header=BB357_274 Depth=1
	s_or_b64 exec, exec, s[12:13]
	v_bfe_u32 v4, v2, 8, 8
	v_cvt_f32_fp8_sdwa v4, v4 src0_sel:BYTE_0
	s_nop 0
	v_mul_f32_e32 v10, v38, v4
	v_and_b32_e32 v4, 0x7f800000, v10
	v_cmp_ne_u32_e64 s[0:1], s15, v4
                                        ; implicit-def: $vgpr4
	s_and_saveexec_b64 s[12:13], s[0:1]
	s_xor_b64 s[0:1], exec, s[12:13]
; %bb.642:                              ;   in Loop: Header=BB357_274 Depth=1
	v_bfe_u32 v4, v10, 16, 1
	v_add3_u32 v4, v10, v4, s20
                                        ; implicit-def: $vgpr10
; %bb.643:                              ;   in Loop: Header=BB357_274 Depth=1
	s_andn2_saveexec_b64 s[12:13], s[0:1]
; %bb.644:                              ;   in Loop: Header=BB357_274 Depth=1
	v_or_b32_e32 v4, 0x10000, v10
	v_cmp_eq_u32_sdwa s[0:1], v10, v11 src0_sel:WORD_0 src1_sel:DWORD
	s_nop 1
	v_cndmask_b32_e64 v4, v4, v10, s[0:1]
; %bb.645:                              ;   in Loop: Header=BB357_274 Depth=1
	s_or_b64 exec, exec, s[12:13]
	v_bfe_u32 v5, v2, 16, 8
	v_cvt_f32_fp8_sdwa v5, v5 src0_sel:BYTE_0
                                        ; implicit-def: $vgpr32
	s_nop 0
	v_mul_f32_e32 v10, v38, v5
	v_and_b32_e32 v5, 0x7f800000, v10
	v_cmp_ne_u32_e64 s[0:1], s15, v5
	s_and_saveexec_b64 s[12:13], s[0:1]
	s_xor_b64 s[0:1], exec, s[12:13]
; %bb.646:                              ;   in Loop: Header=BB357_274 Depth=1
	v_bfe_u32 v5, v10, 16, 1
	v_add3_u32 v32, v10, v5, s20
                                        ; implicit-def: $vgpr10
; %bb.647:                              ;   in Loop: Header=BB357_274 Depth=1
	s_andn2_saveexec_b64 s[12:13], s[0:1]
; %bb.648:                              ;   in Loop: Header=BB357_274 Depth=1
	v_or_b32_e32 v5, 0x10000, v10
	v_cmp_eq_u32_sdwa s[0:1], v10, v11 src0_sel:WORD_0 src1_sel:DWORD
	s_nop 1
	v_cndmask_b32_e64 v32, v5, v10, s[0:1]
; %bb.649:                              ;   in Loop: Header=BB357_274 Depth=1
	s_or_b64 exec, exec, s[12:13]
	v_lshrrev_b32_e32 v2, 24, v2
	v_cvt_f32_fp8_sdwa v2, v2 src0_sel:BYTE_0
	s_nop 0
	v_mul_f32_e32 v10, v38, v2
	v_and_b32_e32 v2, 0x7f800000, v10
	v_cmp_ne_u32_e64 s[0:1], s15, v2
                                        ; implicit-def: $vgpr2
	s_and_saveexec_b64 s[12:13], s[0:1]
	s_xor_b64 s[0:1], exec, s[12:13]
; %bb.650:                              ;   in Loop: Header=BB357_274 Depth=1
	v_bfe_u32 v2, v10, 16, 1
	v_add3_u32 v2, v10, v2, s20
                                        ; implicit-def: $vgpr10
; %bb.651:                              ;   in Loop: Header=BB357_274 Depth=1
	s_andn2_saveexec_b64 s[12:13], s[0:1]
; %bb.652:                              ;   in Loop: Header=BB357_274 Depth=1
	v_or_b32_e32 v2, 0x10000, v10
	v_cmp_eq_u32_sdwa s[0:1], v10, v11 src0_sel:WORD_0 src1_sel:DWORD
	s_nop 1
	v_cndmask_b32_e64 v2, v2, v10, s[0:1]
; %bb.653:                              ;   in Loop: Header=BB357_274 Depth=1
	s_or_b64 exec, exec, s[12:13]
	v_and_b32_e32 v5, 0xff, v3
	v_cvt_f32_fp8_sdwa v5, v5 src0_sel:BYTE_0
                                        ; implicit-def: $vgpr10
	s_nop 0
	v_mul_f32_e32 v24, v38, v5
	v_and_b32_e32 v5, 0x7f800000, v24
	v_cmp_ne_u32_e64 s[0:1], s15, v5
	s_and_saveexec_b64 s[12:13], s[0:1]
	s_xor_b64 s[0:1], exec, s[12:13]
; %bb.654:                              ;   in Loop: Header=BB357_274 Depth=1
	v_bfe_u32 v5, v24, 16, 1
	v_add3_u32 v10, v24, v5, s20
                                        ; implicit-def: $vgpr24
; %bb.655:                              ;   in Loop: Header=BB357_274 Depth=1
	s_andn2_saveexec_b64 s[12:13], s[0:1]
; %bb.656:                              ;   in Loop: Header=BB357_274 Depth=1
	v_or_b32_e32 v5, 0x10000, v24
	v_cmp_eq_u32_sdwa s[0:1], v24, v11 src0_sel:WORD_0 src1_sel:DWORD
	s_nop 1
	v_cndmask_b32_e64 v10, v5, v24, s[0:1]
; %bb.657:                              ;   in Loop: Header=BB357_274 Depth=1
	s_or_b64 exec, exec, s[12:13]
	v_bfe_u32 v5, v3, 8, 8
	v_cvt_f32_fp8_sdwa v5, v5 src0_sel:BYTE_0
                                        ; implicit-def: $vgpr24
	s_nop 0
	v_mul_f32_e32 v25, v38, v5
	v_and_b32_e32 v5, 0x7f800000, v25
	v_cmp_ne_u32_e64 s[0:1], s15, v5
	s_and_saveexec_b64 s[12:13], s[0:1]
	s_xor_b64 s[0:1], exec, s[12:13]
; %bb.658:                              ;   in Loop: Header=BB357_274 Depth=1
	v_bfe_u32 v5, v25, 16, 1
	v_add3_u32 v24, v25, v5, s20
                                        ; implicit-def: $vgpr25
; %bb.659:                              ;   in Loop: Header=BB357_274 Depth=1
	s_andn2_saveexec_b64 s[12:13], s[0:1]
; %bb.660:                              ;   in Loop: Header=BB357_274 Depth=1
	v_or_b32_e32 v5, 0x10000, v25
	v_cmp_eq_u32_sdwa s[0:1], v25, v11 src0_sel:WORD_0 src1_sel:DWORD
	s_nop 1
	v_cndmask_b32_e64 v24, v5, v25, s[0:1]
; %bb.661:                              ;   in Loop: Header=BB357_274 Depth=1
	s_or_b64 exec, exec, s[12:13]
	v_bfe_u32 v5, v3, 16, 8
	v_cvt_f32_fp8_sdwa v5, v5 src0_sel:BYTE_0
                                        ; implicit-def: $vgpr54
	s_nop 0
	v_mul_f32_e32 v25, v38, v5
	v_and_b32_e32 v5, 0x7f800000, v25
	v_cmp_ne_u32_e64 s[0:1], s15, v5
	s_and_saveexec_b64 s[12:13], s[0:1]
	s_xor_b64 s[0:1], exec, s[12:13]
; %bb.662:                              ;   in Loop: Header=BB357_274 Depth=1
	v_bfe_u32 v5, v25, 16, 1
	v_add3_u32 v54, v25, v5, s20
                                        ; implicit-def: $vgpr25
; %bb.663:                              ;   in Loop: Header=BB357_274 Depth=1
	s_andn2_saveexec_b64 s[12:13], s[0:1]
; %bb.664:                              ;   in Loop: Header=BB357_274 Depth=1
	v_or_b32_e32 v5, 0x10000, v25
	v_cmp_eq_u32_sdwa s[0:1], v25, v11 src0_sel:WORD_0 src1_sel:DWORD
	s_nop 1
	v_cndmask_b32_e64 v54, v5, v25, s[0:1]
; %bb.665:                              ;   in Loop: Header=BB357_274 Depth=1
	s_or_b64 exec, exec, s[12:13]
	v_lshrrev_b32_e32 v3, 24, v3
	v_cvt_f32_fp8_sdwa v3, v3 src0_sel:BYTE_0
                                        ; implicit-def: $vgpr25
	s_nop 0
	v_mul_f32_e32 v3, v38, v3
	v_and_b32_e32 v5, 0x7f800000, v3
	v_cmp_ne_u32_e64 s[0:1], s15, v5
	s_and_saveexec_b64 s[12:13], s[0:1]
	s_xor_b64 s[0:1], exec, s[12:13]
; %bb.666:                              ;   in Loop: Header=BB357_274 Depth=1
	v_bfe_u32 v5, v3, 16, 1
	v_add3_u32 v25, v3, v5, s20
                                        ; implicit-def: $vgpr3
; %bb.667:                              ;   in Loop: Header=BB357_274 Depth=1
	s_andn2_saveexec_b64 s[12:13], s[0:1]
; %bb.668:                              ;   in Loop: Header=BB357_274 Depth=1
	v_or_b32_e32 v5, 0x10000, v3
	v_cmp_eq_u32_sdwa s[0:1], v3, v11 src0_sel:WORD_0 src1_sel:DWORD
	s_nop 1
	v_cndmask_b32_e64 v25, v5, v3, s[0:1]
; %bb.669:                              ;   in Loop: Header=BB357_274 Depth=1
	s_or_b64 exec, exec, s[12:13]
	v_lshrrev_b32_e32 v55, 16, v24
	v_lshrrev_b32_e32 v33, 16, v10
	;; [unrolled: 1-line block ×8, first 2 shown]
	s_and_saveexec_b64 s[12:13], vcc
	s_cbranch_execz .LBB357_671
; %bb.670:                              ;   in Loop: Header=BB357_274 Depth=1
	v_accvgpr_read_b32 v4, a3
	v_cmp_lt_i32_e64 s[0:1], v51, v4
	v_accvgpr_read_b32 v5, a37
	s_nop 0
	v_cndmask_b32_e64 v2, 0, v2, s[0:1]
	v_cmp_lt_i32_e64 s[0:1], v5, v4
	v_accvgpr_read_b32 v5, a36
	s_nop 0
	v_cndmask_b32_e64 v3, 0, v3, s[0:1]
	;; [unrolled: 4-line block ×7, first 2 shown]
	v_cmp_lt_i32_e64 s[0:1], v5, v4
	s_nop 1
	v_cndmask_b32_e64 v44, 0, v44, s[0:1]
.LBB357_671:                            ;   in Loop: Header=BB357_274 Depth=1
	s_or_b64 exec, exec, s[12:13]
	v_lshlrev_b32_e32 v2, 16, v2
	v_mul_f32_e32 v4, v46, v2
	v_and_b32_e32 v2, 0x7f800000, v4
	v_cmp_ne_u32_e64 s[0:1], s15, v2
                                        ; implicit-def: $vgpr2
	s_and_saveexec_b64 s[12:13], s[0:1]
	s_xor_b64 s[0:1], exec, s[12:13]
; %bb.672:                              ;   in Loop: Header=BB357_274 Depth=1
	v_bfe_u32 v2, v4, 16, 1
	v_add3_u32 v2, v4, v2, s20
                                        ; implicit-def: $vgpr4
; %bb.673:                              ;   in Loop: Header=BB357_274 Depth=1
	s_andn2_saveexec_b64 s[12:13], s[0:1]
; %bb.674:                              ;   in Loop: Header=BB357_274 Depth=1
	v_or_b32_e32 v2, 0x10000, v4
	v_cmp_eq_u32_sdwa s[0:1], v4, v11 src0_sel:WORD_0 src1_sel:DWORD
	s_nop 1
	v_cndmask_b32_e64 v2, v2, v4, s[0:1]
; %bb.675:                              ;   in Loop: Header=BB357_274 Depth=1
	s_or_b64 exec, exec, s[12:13]
	v_lshlrev_b32_e32 v3, 16, v3
	v_mul_f32_e32 v4, v47, v3
	v_and_b32_e32 v3, 0x7f800000, v4
	v_cmp_ne_u32_e64 s[0:1], s15, v3
                                        ; implicit-def: $vgpr3
	s_and_saveexec_b64 s[12:13], s[0:1]
	s_xor_b64 s[0:1], exec, s[12:13]
; %bb.676:                              ;   in Loop: Header=BB357_274 Depth=1
	v_bfe_u32 v3, v4, 16, 1
	v_add3_u32 v3, v4, v3, s20
                                        ; implicit-def: $vgpr4
; %bb.677:                              ;   in Loop: Header=BB357_274 Depth=1
	s_andn2_saveexec_b64 s[12:13], s[0:1]
; %bb.678:                              ;   in Loop: Header=BB357_274 Depth=1
	v_or_b32_e32 v3, 0x10000, v4
	v_cmp_eq_u32_sdwa s[0:1], v4, v11 src0_sel:WORD_0 src1_sel:DWORD
	s_nop 1
	v_cndmask_b32_e64 v3, v3, v4, s[0:1]
; %bb.679:                              ;   in Loop: Header=BB357_274 Depth=1
	s_or_b64 exec, exec, s[12:13]
	v_lshlrev_b32_e32 v4, 16, v24
	v_mul_f32_e32 v4, v56, v4
	v_and_b32_e32 v5, 0x7f800000, v4
	v_cmp_ne_u32_e64 s[0:1], s15, v5
                                        ; implicit-def: $vgpr41
	s_and_saveexec_b64 s[12:13], s[0:1]
	s_xor_b64 s[0:1], exec, s[12:13]
; %bb.680:                              ;   in Loop: Header=BB357_274 Depth=1
	v_bfe_u32 v5, v4, 16, 1
	v_add3_u32 v41, v4, v5, s20
                                        ; implicit-def: $vgpr4
; %bb.681:                              ;   in Loop: Header=BB357_274 Depth=1
	s_andn2_saveexec_b64 s[12:13], s[0:1]
; %bb.682:                              ;   in Loop: Header=BB357_274 Depth=1
	v_or_b32_e32 v5, 0x10000, v4
	v_cmp_eq_u32_sdwa s[0:1], v4, v11 src0_sel:WORD_0 src1_sel:DWORD
	s_nop 1
	v_cndmask_b32_e64 v41, v5, v4, s[0:1]
; %bb.683:                              ;   in Loop: Header=BB357_274 Depth=1
	s_or_b64 exec, exec, s[12:13]
	v_lshlrev_b32_e32 v4, 16, v10
	v_mul_f32_e32 v4, v57, v4
	v_and_b32_e32 v5, 0x7f800000, v4
	v_cmp_ne_u32_e64 s[0:1], s15, v5
                                        ; implicit-def: $vgpr53
	s_and_saveexec_b64 s[12:13], s[0:1]
	s_xor_b64 s[0:1], exec, s[12:13]
; %bb.684:                              ;   in Loop: Header=BB357_274 Depth=1
	v_bfe_u32 v5, v4, 16, 1
	v_add3_u32 v53, v4, v5, s20
                                        ; implicit-def: $vgpr4
; %bb.685:                              ;   in Loop: Header=BB357_274 Depth=1
	s_andn2_saveexec_b64 s[12:13], s[0:1]
; %bb.686:                              ;   in Loop: Header=BB357_274 Depth=1
	v_or_b32_e32 v5, 0x10000, v4
	v_cmp_eq_u32_sdwa s[0:1], v4, v11 src0_sel:WORD_0 src1_sel:DWORD
	s_nop 1
	v_cndmask_b32_e64 v53, v5, v4, s[0:1]
; %bb.687:                              ;   in Loop: Header=BB357_274 Depth=1
	s_or_b64 exec, exec, s[12:13]
	v_lshlrev_b32_e32 v4, 16, v33
	v_mul_f32_e32 v4, v58, v4
	v_and_b32_e32 v5, 0x7f800000, v4
	v_cmp_ne_u32_e64 s[0:1], s15, v5
                                        ; implicit-def: $vgpr54
	s_and_saveexec_b64 s[12:13], s[0:1]
	s_xor_b64 s[0:1], exec, s[12:13]
; %bb.688:                              ;   in Loop: Header=BB357_274 Depth=1
	v_bfe_u32 v5, v4, 16, 1
	v_add3_u32 v54, v4, v5, s20
                                        ; implicit-def: $vgpr4
; %bb.689:                              ;   in Loop: Header=BB357_274 Depth=1
	s_andn2_saveexec_b64 s[12:13], s[0:1]
; %bb.690:                              ;   in Loop: Header=BB357_274 Depth=1
	v_or_b32_e32 v5, 0x10000, v4
	v_cmp_eq_u32_sdwa s[0:1], v4, v11 src0_sel:WORD_0 src1_sel:DWORD
	s_nop 1
	v_cndmask_b32_e64 v54, v5, v4, s[0:1]
; %bb.691:                              ;   in Loop: Header=BB357_274 Depth=1
	s_or_b64 exec, exec, s[12:13]
	v_lshlrev_b32_e32 v4, 16, v55
	v_mul_f32_e32 v4, v59, v4
	v_and_b32_e32 v5, 0x7f800000, v4
	v_cmp_ne_u32_e64 s[0:1], s15, v5
                                        ; implicit-def: $vgpr55
	s_and_saveexec_b64 s[12:13], s[0:1]
	s_xor_b64 s[0:1], exec, s[12:13]
; %bb.692:                              ;   in Loop: Header=BB357_274 Depth=1
	v_bfe_u32 v5, v4, 16, 1
	v_add3_u32 v55, v4, v5, s20
                                        ; implicit-def: $vgpr4
; %bb.693:                              ;   in Loop: Header=BB357_274 Depth=1
	s_andn2_saveexec_b64 s[12:13], s[0:1]
; %bb.694:                              ;   in Loop: Header=BB357_274 Depth=1
	v_or_b32_e32 v5, 0x10000, v4
	v_cmp_eq_u32_sdwa s[0:1], v4, v11 src0_sel:WORD_0 src1_sel:DWORD
	s_nop 1
	v_cndmask_b32_e64 v55, v5, v4, s[0:1]
; %bb.695:                              ;   in Loop: Header=BB357_274 Depth=1
	s_or_b64 exec, exec, s[12:13]
	v_lshlrev_b32_e32 v4, 16, v40
	v_mul_f32_e32 v4, v60, v4
	v_and_b32_e32 v5, 0x7f800000, v4
	v_cmp_ne_u32_e64 s[0:1], s15, v5
                                        ; implicit-def: $vgpr40
	s_and_saveexec_b64 s[12:13], s[0:1]
	s_xor_b64 s[0:1], exec, s[12:13]
; %bb.696:                              ;   in Loop: Header=BB357_274 Depth=1
	v_bfe_u32 v5, v4, 16, 1
	v_add3_u32 v40, v4, v5, s20
                                        ; implicit-def: $vgpr4
; %bb.697:                              ;   in Loop: Header=BB357_274 Depth=1
	s_andn2_saveexec_b64 s[12:13], s[0:1]
; %bb.698:                              ;   in Loop: Header=BB357_274 Depth=1
	v_or_b32_e32 v5, 0x10000, v4
	v_cmp_eq_u32_sdwa s[0:1], v4, v11 src0_sel:WORD_0 src1_sel:DWORD
	s_nop 1
	v_cndmask_b32_e64 v40, v5, v4, s[0:1]
; %bb.699:                              ;   in Loop: Header=BB357_274 Depth=1
	s_or_b64 exec, exec, s[12:13]
	v_lshlrev_b32_e32 v4, 16, v44
	v_mul_f32_e32 v4, v61, v4
	v_and_b32_e32 v5, 0x7f800000, v4
	v_cmp_ne_u32_e64 s[0:1], s15, v5
                                        ; implicit-def: $vgpr44
	s_and_saveexec_b64 s[12:13], s[0:1]
	s_xor_b64 s[0:1], exec, s[12:13]
; %bb.700:                              ;   in Loop: Header=BB357_274 Depth=1
	v_bfe_u32 v5, v4, 16, 1
	v_add3_u32 v44, v4, v5, s20
                                        ; implicit-def: $vgpr4
; %bb.701:                              ;   in Loop: Header=BB357_274 Depth=1
	s_andn2_saveexec_b64 s[12:13], s[0:1]
; %bb.702:                              ;   in Loop: Header=BB357_274 Depth=1
	v_or_b32_e32 v5, 0x10000, v4
	v_cmp_eq_u32_sdwa s[0:1], v4, v11 src0_sel:WORD_0 src1_sel:DWORD
	s_nop 1
	v_cndmask_b32_e64 v44, v5, v4, s[0:1]
; %bb.703:                              ;   in Loop: Header=BB357_274 Depth=1
	s_or_b64 exec, exec, s[12:13]
	flat_load_dwordx2 v[0:1], v[0:1] offset:3072
                                        ; implicit-def: $vgpr45
	s_waitcnt vmcnt(0) lgkmcnt(0)
	v_and_b32_e32 v4, 0xff, v0
	v_cvt_f32_fp8_sdwa v4, v4 src0_sel:BYTE_0
	s_nop 0
	v_mul_f32_e32 v4, v38, v4
	v_and_b32_e32 v5, 0x7f800000, v4
	v_cmp_ne_u32_e64 s[0:1], s15, v5
	s_and_saveexec_b64 s[12:13], s[0:1]
	s_xor_b64 s[0:1], exec, s[12:13]
; %bb.704:                              ;   in Loop: Header=BB357_274 Depth=1
	v_bfe_u32 v5, v4, 16, 1
	v_add3_u32 v45, v4, v5, s20
                                        ; implicit-def: $vgpr4
; %bb.705:                              ;   in Loop: Header=BB357_274 Depth=1
	s_andn2_saveexec_b64 s[12:13], s[0:1]
; %bb.706:                              ;   in Loop: Header=BB357_274 Depth=1
	v_or_b32_e32 v5, 0x10000, v4
	v_cmp_eq_u32_sdwa s[0:1], v4, v11 src0_sel:WORD_0 src1_sel:DWORD
	s_nop 1
	v_cndmask_b32_e64 v45, v5, v4, s[0:1]
; %bb.707:                              ;   in Loop: Header=BB357_274 Depth=1
	s_or_b64 exec, exec, s[12:13]
	v_bfe_u32 v4, v0, 8, 8
	v_cvt_f32_fp8_sdwa v4, v4 src0_sel:BYTE_0
	s_nop 0
	v_mul_f32_e32 v10, v38, v4
	v_and_b32_e32 v4, 0x7f800000, v10
	v_cmp_ne_u32_e64 s[0:1], s15, v4
                                        ; implicit-def: $vgpr4
	s_and_saveexec_b64 s[12:13], s[0:1]
	s_xor_b64 s[0:1], exec, s[12:13]
; %bb.708:                              ;   in Loop: Header=BB357_274 Depth=1
	v_bfe_u32 v4, v10, 16, 1
	v_add3_u32 v4, v10, v4, s20
                                        ; implicit-def: $vgpr10
; %bb.709:                              ;   in Loop: Header=BB357_274 Depth=1
	s_andn2_saveexec_b64 s[12:13], s[0:1]
; %bb.710:                              ;   in Loop: Header=BB357_274 Depth=1
	v_or_b32_e32 v4, 0x10000, v10
	v_cmp_eq_u32_sdwa s[0:1], v10, v11 src0_sel:WORD_0 src1_sel:DWORD
	s_nop 1
	v_cndmask_b32_e64 v4, v4, v10, s[0:1]
; %bb.711:                              ;   in Loop: Header=BB357_274 Depth=1
	s_or_b64 exec, exec, s[12:13]
	v_bfe_u32 v5, v0, 16, 8
	v_cvt_f32_fp8_sdwa v5, v5 src0_sel:BYTE_0
                                        ; implicit-def: $vgpr33
	s_nop 0
	v_mul_f32_e32 v10, v38, v5
	v_and_b32_e32 v5, 0x7f800000, v10
	v_cmp_ne_u32_e64 s[0:1], s15, v5
	s_and_saveexec_b64 s[12:13], s[0:1]
	s_xor_b64 s[0:1], exec, s[12:13]
; %bb.712:                              ;   in Loop: Header=BB357_274 Depth=1
	v_bfe_u32 v5, v10, 16, 1
	v_add3_u32 v33, v10, v5, s20
                                        ; implicit-def: $vgpr10
; %bb.713:                              ;   in Loop: Header=BB357_274 Depth=1
	s_andn2_saveexec_b64 s[12:13], s[0:1]
; %bb.714:                              ;   in Loop: Header=BB357_274 Depth=1
	v_or_b32_e32 v5, 0x10000, v10
	v_cmp_eq_u32_sdwa s[0:1], v10, v11 src0_sel:WORD_0 src1_sel:DWORD
	s_nop 1
	v_cndmask_b32_e64 v33, v5, v10, s[0:1]
; %bb.715:                              ;   in Loop: Header=BB357_274 Depth=1
	s_or_b64 exec, exec, s[12:13]
	v_lshrrev_b32_e32 v0, 24, v0
	v_cvt_f32_fp8_sdwa v0, v0 src0_sel:BYTE_0
	s_nop 0
	v_mul_f32_e32 v10, v38, v0
	v_and_b32_e32 v0, 0x7f800000, v10
	v_cmp_ne_u32_e64 s[0:1], s15, v0
                                        ; implicit-def: $vgpr0
	s_and_saveexec_b64 s[12:13], s[0:1]
	s_xor_b64 s[0:1], exec, s[12:13]
; %bb.716:                              ;   in Loop: Header=BB357_274 Depth=1
	v_bfe_u32 v0, v10, 16, 1
	v_add3_u32 v0, v10, v0, s20
                                        ; implicit-def: $vgpr10
; %bb.717:                              ;   in Loop: Header=BB357_274 Depth=1
	s_andn2_saveexec_b64 s[12:13], s[0:1]
; %bb.718:                              ;   in Loop: Header=BB357_274 Depth=1
	v_or_b32_e32 v0, 0x10000, v10
	v_cmp_eq_u32_sdwa s[0:1], v10, v11 src0_sel:WORD_0 src1_sel:DWORD
	s_nop 1
	v_cndmask_b32_e64 v0, v0, v10, s[0:1]
; %bb.719:                              ;   in Loop: Header=BB357_274 Depth=1
	s_or_b64 exec, exec, s[12:13]
	v_and_b32_e32 v5, 0xff, v1
	v_cvt_f32_fp8_sdwa v5, v5 src0_sel:BYTE_0
                                        ; implicit-def: $vgpr10
	s_nop 0
	v_mul_f32_e32 v24, v38, v5
	v_and_b32_e32 v5, 0x7f800000, v24
	v_cmp_ne_u32_e64 s[0:1], s15, v5
	s_and_saveexec_b64 s[12:13], s[0:1]
	s_xor_b64 s[0:1], exec, s[12:13]
; %bb.720:                              ;   in Loop: Header=BB357_274 Depth=1
	v_bfe_u32 v5, v24, 16, 1
	v_add3_u32 v10, v24, v5, s20
                                        ; implicit-def: $vgpr24
; %bb.721:                              ;   in Loop: Header=BB357_274 Depth=1
	s_andn2_saveexec_b64 s[12:13], s[0:1]
; %bb.722:                              ;   in Loop: Header=BB357_274 Depth=1
	v_or_b32_e32 v5, 0x10000, v24
	v_cmp_eq_u32_sdwa s[0:1], v24, v11 src0_sel:WORD_0 src1_sel:DWORD
	s_nop 1
	v_cndmask_b32_e64 v10, v5, v24, s[0:1]
; %bb.723:                              ;   in Loop: Header=BB357_274 Depth=1
	s_or_b64 exec, exec, s[12:13]
	v_bfe_u32 v5, v1, 8, 8
	v_cvt_f32_fp8_sdwa v5, v5 src0_sel:BYTE_0
                                        ; implicit-def: $vgpr24
	s_nop 0
	v_mul_f32_e32 v25, v38, v5
	v_and_b32_e32 v5, 0x7f800000, v25
	v_cmp_ne_u32_e64 s[0:1], s15, v5
	s_and_saveexec_b64 s[12:13], s[0:1]
	s_xor_b64 s[0:1], exec, s[12:13]
; %bb.724:                              ;   in Loop: Header=BB357_274 Depth=1
	v_bfe_u32 v5, v25, 16, 1
	v_add3_u32 v24, v25, v5, s20
                                        ; implicit-def: $vgpr25
; %bb.725:                              ;   in Loop: Header=BB357_274 Depth=1
	s_andn2_saveexec_b64 s[12:13], s[0:1]
; %bb.726:                              ;   in Loop: Header=BB357_274 Depth=1
	v_or_b32_e32 v5, 0x10000, v25
	v_cmp_eq_u32_sdwa s[0:1], v25, v11 src0_sel:WORD_0 src1_sel:DWORD
	s_nop 1
	v_cndmask_b32_e64 v24, v5, v25, s[0:1]
; %bb.727:                              ;   in Loop: Header=BB357_274 Depth=1
	s_or_b64 exec, exec, s[12:13]
	v_bfe_u32 v5, v1, 16, 8
	v_cvt_f32_fp8_sdwa v5, v5 src0_sel:BYTE_0
                                        ; implicit-def: $vgpr25
	s_nop 0
	v_mul_f32_e32 v32, v38, v5
	v_and_b32_e32 v5, 0x7f800000, v32
	v_cmp_ne_u32_e64 s[0:1], s15, v5
	s_and_saveexec_b64 s[12:13], s[0:1]
	s_xor_b64 s[0:1], exec, s[12:13]
; %bb.728:                              ;   in Loop: Header=BB357_274 Depth=1
	v_bfe_u32 v5, v32, 16, 1
	v_add3_u32 v25, v32, v5, s20
                                        ; implicit-def: $vgpr32
; %bb.729:                              ;   in Loop: Header=BB357_274 Depth=1
	s_andn2_saveexec_b64 s[12:13], s[0:1]
; %bb.730:                              ;   in Loop: Header=BB357_274 Depth=1
	v_or_b32_e32 v5, 0x10000, v32
	v_cmp_eq_u32_sdwa s[0:1], v32, v11 src0_sel:WORD_0 src1_sel:DWORD
	s_nop 1
	v_cndmask_b32_e64 v25, v5, v32, s[0:1]
; %bb.731:                              ;   in Loop: Header=BB357_274 Depth=1
	s_or_b64 exec, exec, s[12:13]
	v_lshrrev_b32_e32 v1, 24, v1
	v_cvt_f32_fp8_sdwa v1, v1 src0_sel:BYTE_0
	s_nop 0
	v_mul_f32_e32 v1, v38, v1
	v_and_b32_e32 v5, 0x7f800000, v1
	v_cmp_ne_u32_e64 s[0:1], s15, v5
                                        ; implicit-def: $vgpr38
	s_and_saveexec_b64 s[12:13], s[0:1]
	s_xor_b64 s[0:1], exec, s[12:13]
; %bb.732:                              ;   in Loop: Header=BB357_274 Depth=1
	v_bfe_u32 v5, v1, 16, 1
	v_add3_u32 v38, v1, v5, s20
                                        ; implicit-def: $vgpr1
; %bb.733:                              ;   in Loop: Header=BB357_274 Depth=1
	s_andn2_saveexec_b64 s[12:13], s[0:1]
; %bb.734:                              ;   in Loop: Header=BB357_274 Depth=1
	v_or_b32_e32 v5, 0x10000, v1
	v_cmp_eq_u32_sdwa s[0:1], v1, v11 src0_sel:WORD_0 src1_sel:DWORD
	s_nop 1
	v_cndmask_b32_e64 v38, v5, v1, s[0:1]
; %bb.735:                              ;   in Loop: Header=BB357_274 Depth=1
	s_or_b64 exec, exec, s[12:13]
	v_lshrrev_b32_e32 v32, 16, v24
	v_lshrrev_b32_e32 v10, 16, v10
	v_lshrrev_b32_e32 v24, 16, v0
	v_lshrrev_b32_e32 v33, 16, v33
	v_lshrrev_b32_e32 v1, 16, v4
	v_lshrrev_b32_e32 v0, 16, v45
	v_lshrrev_b32_e32 v4, 16, v25
	v_lshrrev_b32_e32 v45, 16, v38
	s_and_saveexec_b64 s[0:1], vcc
	s_cbranch_execz .LBB357_737
; %bb.736:                              ;   in Loop: Header=BB357_274 Depth=1
	v_accvgpr_read_b32 v5, a3
	v_cmp_lt_i32_e32 vcc, v51, v5
	v_accvgpr_read_b32 v25, a37
	s_nop 0
	v_cndmask_b32_e32 v0, 0, v0, vcc
	v_cmp_lt_i32_e32 vcc, v25, v5
	v_accvgpr_read_b32 v25, a36
	s_nop 0
	v_cndmask_b32_e32 v1, 0, v1, vcc
	;; [unrolled: 4-line block ×7, first 2 shown]
	v_cmp_lt_i32_e32 vcc, v25, v5
	s_nop 1
	v_cndmask_b32_e32 v45, 0, v45, vcc
.LBB357_737:                            ;   in Loop: Header=BB357_274 Depth=1
	s_or_b64 exec, exec, s[0:1]
	v_lshlrev_b32_e32 v0, 16, v0
	v_mul_f32_e32 v25, v46, v0
	v_and_b32_e32 v0, 0x7f800000, v25
	v_cmp_ne_u32_e32 vcc, s15, v0
                                        ; implicit-def: $vgpr0
	s_and_saveexec_b64 s[0:1], vcc
	s_xor_b64 s[0:1], exec, s[0:1]
; %bb.738:                              ;   in Loop: Header=BB357_274 Depth=1
	v_bfe_u32 v0, v25, 16, 1
	v_add3_u32 v0, v25, v0, s20
                                        ; implicit-def: $vgpr25
; %bb.739:                              ;   in Loop: Header=BB357_274 Depth=1
	s_andn2_saveexec_b64 s[0:1], s[0:1]
; %bb.740:                              ;   in Loop: Header=BB357_274 Depth=1
	v_or_b32_e32 v0, 0x10000, v25
	v_cmp_eq_u32_sdwa vcc, v25, v11 src0_sel:WORD_0 src1_sel:DWORD
	s_nop 1
	v_cndmask_b32_e32 v0, v0, v25, vcc
; %bb.741:                              ;   in Loop: Header=BB357_274 Depth=1
	s_or_b64 exec, exec, s[0:1]
	v_lshlrev_b32_e32 v1, 16, v1
	v_mul_f32_e32 v25, v47, v1
	v_and_b32_e32 v1, 0x7f800000, v25
	v_cmp_ne_u32_e32 vcc, s15, v1
                                        ; implicit-def: $vgpr1
	s_and_saveexec_b64 s[0:1], vcc
	s_xor_b64 s[0:1], exec, s[0:1]
; %bb.742:                              ;   in Loop: Header=BB357_274 Depth=1
	v_bfe_u32 v1, v25, 16, 1
	v_add3_u32 v1, v25, v1, s20
                                        ; implicit-def: $vgpr25
; %bb.743:                              ;   in Loop: Header=BB357_274 Depth=1
	s_andn2_saveexec_b64 s[0:1], s[0:1]
; %bb.744:                              ;   in Loop: Header=BB357_274 Depth=1
	v_or_b32_e32 v1, 0x10000, v25
	v_cmp_eq_u32_sdwa vcc, v25, v11 src0_sel:WORD_0 src1_sel:DWORD
	s_nop 1
	v_cndmask_b32_e32 v1, v1, v25, vcc
; %bb.745:                              ;   in Loop: Header=BB357_274 Depth=1
	s_or_b64 exec, exec, s[0:1]
	v_lshlrev_b32_e32 v5, 16, v33
	v_mul_f32_e32 v25, v56, v5
	v_and_b32_e32 v5, 0x7f800000, v25
	v_cmp_ne_u32_e32 vcc, s15, v5
                                        ; implicit-def: $vgpr38
	s_and_saveexec_b64 s[0:1], vcc
	s_xor_b64 s[0:1], exec, s[0:1]
; %bb.746:                              ;   in Loop: Header=BB357_274 Depth=1
	v_bfe_u32 v5, v25, 16, 1
	v_add3_u32 v38, v25, v5, s20
                                        ; implicit-def: $vgpr25
; %bb.747:                              ;   in Loop: Header=BB357_274 Depth=1
	s_andn2_saveexec_b64 s[0:1], s[0:1]
; %bb.748:                              ;   in Loop: Header=BB357_274 Depth=1
	v_or_b32_e32 v5, 0x10000, v25
	v_cmp_eq_u32_sdwa vcc, v25, v11 src0_sel:WORD_0 src1_sel:DWORD
	s_nop 1
	v_cndmask_b32_e32 v38, v5, v25, vcc
; %bb.749:                              ;   in Loop: Header=BB357_274 Depth=1
	s_or_b64 exec, exec, s[0:1]
	v_lshlrev_b32_e32 v5, 16, v24
	v_mul_f32_e32 v24, v57, v5
	v_and_b32_e32 v5, 0x7f800000, v24
	v_cmp_ne_u32_e32 vcc, s15, v5
                                        ; implicit-def: $vgpr51
	s_and_saveexec_b64 s[0:1], vcc
	s_xor_b64 s[0:1], exec, s[0:1]
; %bb.750:                              ;   in Loop: Header=BB357_274 Depth=1
	v_bfe_u32 v5, v24, 16, 1
	v_add3_u32 v51, v24, v5, s20
                                        ; implicit-def: $vgpr24
; %bb.751:                              ;   in Loop: Header=BB357_274 Depth=1
	s_andn2_saveexec_b64 s[0:1], s[0:1]
; %bb.752:                              ;   in Loop: Header=BB357_274 Depth=1
	v_or_b32_e32 v5, 0x10000, v24
	v_cmp_eq_u32_sdwa vcc, v24, v11 src0_sel:WORD_0 src1_sel:DWORD
	s_nop 1
	v_cndmask_b32_e32 v51, v5, v24, vcc
; %bb.753:                              ;   in Loop: Header=BB357_274 Depth=1
	s_or_b64 exec, exec, s[0:1]
	v_lshlrev_b32_e32 v5, 16, v10
	v_mul_f32_e32 v10, v58, v5
	v_and_b32_e32 v5, 0x7f800000, v10
	v_cmp_ne_u32_e32 vcc, s15, v5
                                        ; implicit-def: $vgpr46
	s_and_saveexec_b64 s[0:1], vcc
	s_xor_b64 s[0:1], exec, s[0:1]
; %bb.754:                              ;   in Loop: Header=BB357_274 Depth=1
	v_bfe_u32 v5, v10, 16, 1
	v_add3_u32 v46, v10, v5, s20
                                        ; implicit-def: $vgpr10
; %bb.755:                              ;   in Loop: Header=BB357_274 Depth=1
	s_andn2_saveexec_b64 s[0:1], s[0:1]
; %bb.756:                              ;   in Loop: Header=BB357_274 Depth=1
	v_or_b32_e32 v5, 0x10000, v10
	v_cmp_eq_u32_sdwa vcc, v10, v11 src0_sel:WORD_0 src1_sel:DWORD
	s_nop 1
	v_cndmask_b32_e32 v46, v5, v10, vcc
; %bb.757:                              ;   in Loop: Header=BB357_274 Depth=1
	s_or_b64 exec, exec, s[0:1]
	v_lshlrev_b32_e32 v5, 16, v32
	v_mul_f32_e32 v10, v59, v5
	v_and_b32_e32 v5, 0x7f800000, v10
	v_cmp_ne_u32_e32 vcc, s15, v5
                                        ; implicit-def: $vgpr47
	s_and_saveexec_b64 s[0:1], vcc
	s_xor_b64 s[0:1], exec, s[0:1]
; %bb.758:                              ;   in Loop: Header=BB357_274 Depth=1
	v_bfe_u32 v5, v10, 16, 1
	v_add3_u32 v47, v10, v5, s20
                                        ; implicit-def: $vgpr10
; %bb.759:                              ;   in Loop: Header=BB357_274 Depth=1
	s_andn2_saveexec_b64 s[0:1], s[0:1]
; %bb.760:                              ;   in Loop: Header=BB357_274 Depth=1
	v_or_b32_e32 v5, 0x10000, v10
	v_cmp_eq_u32_sdwa vcc, v10, v11 src0_sel:WORD_0 src1_sel:DWORD
	s_nop 1
	v_cndmask_b32_e32 v47, v5, v10, vcc
; %bb.761:                              ;   in Loop: Header=BB357_274 Depth=1
	s_or_b64 exec, exec, s[0:1]
	v_lshlrev_b32_e32 v4, 16, v4
	v_mul_f32_e32 v10, v60, v4
	v_and_b32_e32 v4, 0x7f800000, v10
	v_cmp_ne_u32_e32 vcc, s15, v4
                                        ; implicit-def: $vgpr4
	s_and_saveexec_b64 s[0:1], vcc
	s_xor_b64 s[0:1], exec, s[0:1]
; %bb.762:                              ;   in Loop: Header=BB357_274 Depth=1
	v_bfe_u32 v4, v10, 16, 1
	v_add3_u32 v4, v10, v4, s20
                                        ; implicit-def: $vgpr10
; %bb.763:                              ;   in Loop: Header=BB357_274 Depth=1
	s_andn2_saveexec_b64 s[0:1], s[0:1]
; %bb.764:                              ;   in Loop: Header=BB357_274 Depth=1
	v_or_b32_e32 v4, 0x10000, v10
	v_cmp_eq_u32_sdwa vcc, v10, v11 src0_sel:WORD_0 src1_sel:DWORD
	s_nop 1
	v_cndmask_b32_e32 v4, v4, v10, vcc
; %bb.765:                              ;   in Loop: Header=BB357_274 Depth=1
	s_or_b64 exec, exec, s[0:1]
	v_lshlrev_b32_e32 v5, 16, v45
	v_mul_f32_e32 v24, v61, v5
	v_and_b32_e32 v5, 0x7f800000, v24
	v_cmp_ne_u32_e32 vcc, s15, v5
                                        ; implicit-def: $vgpr10
	s_and_saveexec_b64 s[0:1], vcc
	s_xor_b64 s[0:1], exec, s[0:1]
; %bb.766:                              ;   in Loop: Header=BB357_274 Depth=1
	v_bfe_u32 v5, v24, 16, 1
	v_add3_u32 v10, v24, v5, s20
                                        ; implicit-def: $vgpr24
; %bb.767:                              ;   in Loop: Header=BB357_274 Depth=1
	s_andn2_saveexec_b64 s[0:1], s[0:1]
	s_cbranch_execz .LBB357_272
; %bb.768:                              ;   in Loop: Header=BB357_274 Depth=1
	v_or_b32_e32 v5, 0x10000, v24
	v_cmp_eq_u32_sdwa vcc, v24, v11 src0_sel:WORD_0 src1_sel:DWORD
	s_nop 1
	v_cndmask_b32_e32 v10, v5, v24, vcc
	s_branch .LBB357_272
.LBB357_769:
	s_or_b64 exec, exec, s[6:7]
	v_accvgpr_read_b32 v20, a16
	v_accvgpr_read_b32 v21, a17
	;; [unrolled: 1-line block ×3, first 2 shown]
.LBB357_770:
	s_or_b64 exec, exec, s[4:5]
	ds_bpermute_b32 v0, v20, v18
	ds_bpermute_b32 v1, v20, v19
	;; [unrolled: 1-line block ×3, first 2 shown]
	s_waitcnt lgkmcnt(0)
	s_barrier
	v_pk_add_f32 v[0:1], v[18:19], v[0:1]
	ds_bpermute_b32 v4, v21, v0
	ds_bpermute_b32 v5, v21, v1
	v_add_f32_e32 v14, v9, v8
	ds_bpermute_b32 v2, v20, v16
	ds_bpermute_b32 v3, v20, v17
	;; [unrolled: 1-line block ×3, first 2 shown]
	s_waitcnt lgkmcnt(3)
	v_pk_add_f32 v[8:9], v[0:1], v[4:5]
	scratch_load_dword v4, off, s32 offset:228 ; 4-byte Folded Reload
	ds_bpermute_b32 v7, v20, v13
	s_waitcnt lgkmcnt(2)
	v_pk_add_f32 v[2:3], v[16:17], v[2:3]
	ds_bpermute_b32 v10, v21, v2
	ds_bpermute_b32 v11, v21, v3
	;; [unrolled: 1-line block ×3, first 2 shown]
	s_waitcnt lgkmcnt(3)
	v_pk_add_f32 v[6:7], v[12:13], v[6:7]
	ds_bpermute_b32 v12, v21, v6
	ds_bpermute_b32 v13, v21, v7
	s_waitcnt lgkmcnt(3)
	v_pk_add_f32 v[2:3], v[2:3], v[10:11]
	s_waitcnt lgkmcnt(0)
	v_pk_add_f32 v[0:1], v[6:7], v[12:13]
	v_add_f32_e32 v6, v14, v15
	s_waitcnt vmcnt(0)
	v_and_b32_e32 v4, 0x3c3, v4
	v_cmp_eq_u32_e32 vcc, 64, v4
	s_and_saveexec_b64 s[0:1], vcc
	s_cbranch_execz .LBB357_772
; %bb.771:
	s_load_dword s4, s[2:3], 0x0
	s_waitcnt lgkmcnt(0)
	v_add_u32_e32 v4, s4, v62
	ds_write2_b32 v4, v8, v9 offset1:16
	ds_write2_b32 v4, v2, v3 offset0:32 offset1:48
	ds_write2_b32 v4, v0, v1 offset0:64 offset1:80
	ds_write_b32 v4, v6 offset:384
.LBB357_772:
	s_or_b64 exec, exec, s[0:1]
	s_waitcnt lgkmcnt(0)
	s_barrier
	scratch_load_dword v4, off, s32 offset:228 ; 4-byte Folded Reload
	s_waitcnt vmcnt(0)
	v_cmp_gt_u32_e32 vcc, 64, v4
	s_mov_b64 s[4:5], exec
	scratch_load_dwordx2 v[10:11], off, s32 offset:268 ; 8-byte Folded Reload
	s_and_b64 s[0:1], s[4:5], vcc
	s_mov_b64 exec, s[0:1]
	s_cbranch_execz .LBB357_782
; %bb.773:
	scratch_load_dword v4, off, s32 offset:228 ; 4-byte Folded Reload
	v_cmp_eq_u32_e64 s[0:1], 0, v22
	s_waitcnt vmcnt(0)
	v_lshrrev_b32_e32 v4, 2, v4
	s_and_saveexec_b64 s[6:7], s[0:1]
	s_cbranch_execnz .LBB357_814
; %bb.774:
	s_or_b64 exec, exec, s[6:7]
	s_and_saveexec_b64 s[6:7], s[0:1]
	s_cbranch_execnz .LBB357_815
.LBB357_775:
	s_or_b64 exec, exec, s[6:7]
	s_and_saveexec_b64 s[6:7], s[0:1]
	s_cbranch_execnz .LBB357_816
.LBB357_776:
	s_or_b64 exec, exec, s[6:7]
	s_and_saveexec_b64 s[6:7], s[0:1]
	s_cbranch_execnz .LBB357_817
.LBB357_777:
	s_or_b64 exec, exec, s[6:7]
	s_and_saveexec_b64 s[6:7], s[0:1]
	s_cbranch_execnz .LBB357_818
.LBB357_778:
	s_or_b64 exec, exec, s[6:7]
	s_and_saveexec_b64 s[6:7], s[0:1]
	s_cbranch_execnz .LBB357_819
.LBB357_779:
	s_or_b64 exec, exec, s[6:7]
	s_and_saveexec_b64 s[6:7], s[0:1]
	s_cbranch_execz .LBB357_781
.LBB357_780:
	s_load_dword s0, s[2:3], 0x0
	s_waitcnt lgkmcnt(0)
	v_lshl_add_u32 v4, v4, 2, s0
	ds_read_b32 v4, v4 offset:384
	s_waitcnt lgkmcnt(0)
	v_add_f32_e32 v6, v6, v4
.LBB357_781:
	s_or_b64 exec, exec, s[6:7]
.LBB357_782:
	s_or_b64 exec, exec, s[4:5]
	s_barrier
	s_and_b64 exec, exec, vcc
	s_cbranch_execz .LBB357_813
; %bb.783:
	v_cmp_eq_u32_e32 vcc, 0, v22
	s_and_b64 exec, exec, vcc
	s_cbranch_execz .LBB357_813
; %bb.784:
	s_mov_b32 s0, 0x7f800000
	v_and_b32_e32 v4, 0x7f800000, v8
	v_cmp_ne_u32_e32 vcc, s0, v4
                                        ; implicit-def: $vgpr4
	s_and_saveexec_b64 s[0:1], vcc
	s_xor_b64 s[0:1], exec, s[0:1]
; %bb.785:
	v_bfe_u32 v4, v8, 16, 1
	s_movk_i32 s2, 0x7fff
	v_add3_u32 v4, v8, v4, s2
; %bb.786:
	s_andn2_saveexec_b64 s[0:1], s[0:1]
; %bb.787:
	v_mov_b32_e32 v4, 0
	v_or_b32_e32 v5, 0x10000, v8
	v_cmp_eq_u32_sdwa vcc, v8, v4 src0_sel:WORD_0 src1_sel:DWORD
	s_nop 1
	v_cndmask_b32_e32 v4, v5, v8, vcc
; %bb.788:
	s_or_b64 exec, exec, s[0:1]
	scratch_load_dword v5, off, s32 offset:228 ; 4-byte Folded Reload
	s_mul_i32 s0, s19, s16
	s_mul_i32 s0, s0, s17
	s_mulk_i32 s0, 0x70
	s_mul_i32 s2, s18, s19
	s_mul_i32 s4, s14, 0x70
	s_ashr_i32 s1, s0, 31
	s_ashr_i32 s3, s2, 31
	;; [unrolled: 1-line block ×3, first 2 shown]
	s_lshl_b64 s[0:1], s[0:1], 1
	s_lshl_b64 s[2:3], s[2:3], 1
	;; [unrolled: 1-line block ×3, first 2 shown]
	s_add_u32 s2, s4, s2
	s_addc_u32 s3, s5, s3
	s_add_u32 s0, s2, s0
	s_addc_u32 s1, s3, s1
	s_waitcnt vmcnt(1)
	v_lshl_add_u64 v[10:11], s[0:1], 0, v[10:11]
	v_mov_b32_e32 v13, 0
	s_mov_b32 s0, 0x7f800000
	s_waitcnt vmcnt(0)
	v_lshrrev_b32_e32 v5, 1, v5
	v_and_b32_e32 v12, 0x1fe, v5
	v_lshl_add_u64 v[10:11], v[10:11], 0, v[12:13]
	flat_store_short_d16_hi v[10:11], v4
	v_and_b32_e32 v4, 0x7f800000, v9
	v_cmp_ne_u32_e32 vcc, s0, v4
                                        ; implicit-def: $vgpr4
	s_and_saveexec_b64 s[0:1], vcc
	s_xor_b64 s[0:1], exec, s[0:1]
; %bb.789:
	v_bfe_u32 v4, v9, 16, 1
	s_movk_i32 s2, 0x7fff
	v_add3_u32 v4, v9, v4, s2
; %bb.790:
	s_andn2_saveexec_b64 s[0:1], s[0:1]
; %bb.791:
	v_mov_b32_e32 v4, 0
	v_or_b32_e32 v5, 0x10000, v9
	v_cmp_eq_u32_sdwa vcc, v9, v4 src0_sel:WORD_0 src1_sel:DWORD
	s_nop 1
	v_cndmask_b32_e32 v4, v5, v9, vcc
; %bb.792:
	s_or_b64 exec, exec, s[0:1]
	flat_store_short_d16_hi v[10:11], v4 offset:32
	s_mov_b32 s0, 0x7f800000
	v_and_b32_e32 v4, 0x7f800000, v2
	v_cmp_ne_u32_e32 vcc, s0, v4
                                        ; implicit-def: $vgpr4
	s_and_saveexec_b64 s[0:1], vcc
	s_xor_b64 s[0:1], exec, s[0:1]
; %bb.793:
	v_bfe_u32 v4, v2, 16, 1
	s_movk_i32 s2, 0x7fff
	v_add3_u32 v4, v2, v4, s2
; %bb.794:
	s_andn2_saveexec_b64 s[0:1], s[0:1]
; %bb.795:
	v_mov_b32_e32 v4, 0
	v_or_b32_e32 v5, 0x10000, v2
	v_cmp_eq_u32_sdwa vcc, v2, v4 src0_sel:WORD_0 src1_sel:DWORD
	s_nop 1
	v_cndmask_b32_e32 v4, v5, v2, vcc
; %bb.796:
	s_or_b64 exec, exec, s[0:1]
	s_mov_b32 s0, 0x7f800000
	v_and_b32_e32 v2, 0x7f800000, v3
	v_cmp_ne_u32_e32 vcc, s0, v2
	flat_store_short_d16_hi v[10:11], v4 offset:64
                                        ; implicit-def: $vgpr2
	s_and_saveexec_b64 s[0:1], vcc
	s_xor_b64 s[0:1], exec, s[0:1]
; %bb.797:
	v_bfe_u32 v2, v3, 16, 1
	s_movk_i32 s2, 0x7fff
	v_add3_u32 v2, v3, v2, s2
; %bb.798:
	s_andn2_saveexec_b64 s[0:1], s[0:1]
; %bb.799:
	v_mov_b32_e32 v2, 0
	v_or_b32_e32 v4, 0x10000, v3
	v_cmp_eq_u32_sdwa vcc, v3, v2 src0_sel:WORD_0 src1_sel:DWORD
	s_nop 1
	v_cndmask_b32_e32 v2, v4, v3, vcc
; %bb.800:
	s_or_b64 exec, exec, s[0:1]
	flat_store_short_d16_hi v[10:11], v2 offset:96
	s_mov_b32 s0, 0x7f800000
	v_and_b32_e32 v2, 0x7f800000, v0
	v_cmp_ne_u32_e32 vcc, s0, v2
                                        ; implicit-def: $vgpr2
	s_and_saveexec_b64 s[0:1], vcc
	s_xor_b64 s[0:1], exec, s[0:1]
; %bb.801:
	v_bfe_u32 v2, v0, 16, 1
	s_movk_i32 s2, 0x7fff
	v_add3_u32 v2, v0, v2, s2
; %bb.802:
	s_andn2_saveexec_b64 s[0:1], s[0:1]
; %bb.803:
	v_mov_b32_e32 v2, 0
	v_or_b32_e32 v3, 0x10000, v0
	v_cmp_eq_u32_sdwa vcc, v0, v2 src0_sel:WORD_0 src1_sel:DWORD
	s_nop 1
	v_cndmask_b32_e32 v2, v3, v0, vcc
; %bb.804:
	s_or_b64 exec, exec, s[0:1]
	s_mov_b32 s0, 0x7f800000
	v_and_b32_e32 v0, 0x7f800000, v1
	v_cmp_ne_u32_e32 vcc, s0, v0
	flat_store_short_d16_hi v[10:11], v2 offset:128
                                        ; implicit-def: $vgpr0
	s_and_saveexec_b64 s[0:1], vcc
	s_xor_b64 s[0:1], exec, s[0:1]
; %bb.805:
	v_bfe_u32 v0, v1, 16, 1
	s_movk_i32 s2, 0x7fff
	v_add3_u32 v0, v1, v0, s2
; %bb.806:
	s_andn2_saveexec_b64 s[0:1], s[0:1]
; %bb.807:
	v_mov_b32_e32 v0, 0
	v_or_b32_e32 v2, 0x10000, v1
	v_cmp_eq_u32_sdwa vcc, v1, v0 src0_sel:WORD_0 src1_sel:DWORD
	s_nop 1
	v_cndmask_b32_e32 v0, v2, v1, vcc
; %bb.808:
	s_or_b64 exec, exec, s[0:1]
	flat_store_short_d16_hi v[10:11], v0 offset:160
	s_mov_b32 s0, 0x7f800000
	v_and_b32_e32 v0, 0x7f800000, v6
	v_cmp_ne_u32_e32 vcc, s0, v0
                                        ; implicit-def: $vgpr7
	s_and_saveexec_b64 s[0:1], vcc
	s_xor_b64 s[0:1], exec, s[0:1]
; %bb.809:
	v_bfe_u32 v0, v6, 16, 1
	s_movk_i32 s2, 0x7fff
	v_add3_u32 v7, v6, v0, s2
                                        ; implicit-def: $vgpr0_vgpr1_vgpr2_vgpr3_vgpr4_vgpr5_vgpr6
; %bb.810:
	s_andn2_saveexec_b64 s[0:1], s[0:1]
; %bb.811:
	v_mov_b32_e32 v0, 0
	v_or_b32_e32 v1, 0x10000, v6
	v_cmp_eq_u32_sdwa vcc, v6, v0 src0_sel:WORD_0 src1_sel:DWORD
	s_nop 1
	v_cndmask_b32_e32 v7, v1, v6, vcc
; %bb.812:
	s_or_b64 exec, exec, s[0:1]
	flat_store_short_d16_hi v[10:11], v7 offset:192
.LBB357_813:
	s_or_b64 exec, exec, s[10:11]
	scratch_load_dword a63, off, s32 offset:8 ; 4-byte Folded Reload
	scratch_load_dword a62, off, s32 offset:12 ; 4-byte Folded Reload
	;; [unrolled: 1-line block ×47, first 2 shown]
	v_readlane_b32 s30, v63, 2
	v_readlane_b32 s31, v63, 3
	;; [unrolled: 1-line block ×4, first 2 shown]
	s_or_saveexec_b64 s[0:1], -1
	scratch_load_dword v63, off, s32 offset:352 ; 4-byte Folded Reload
	s_mov_b64 exec, s[0:1]
	s_waitcnt vmcnt(0) lgkmcnt(0)
	s_setpc_b64 s[30:31]
.LBB357_814:
	s_load_dword s8, s[2:3], 0x0
	s_waitcnt lgkmcnt(0)
	v_lshl_add_u32 v5, v4, 2, s8
	ds_read_b32 v5, v5
	s_waitcnt lgkmcnt(0)
	v_add_f32_e32 v8, v8, v5
	s_or_b64 exec, exec, s[6:7]
	s_and_saveexec_b64 s[6:7], s[0:1]
	s_cbranch_execz .LBB357_775
.LBB357_815:
	s_load_dword s8, s[2:3], 0x0
	s_waitcnt lgkmcnt(0)
	v_lshl_add_u32 v5, v4, 2, s8
	ds_read_b32 v5, v5 offset:64
	s_waitcnt lgkmcnt(0)
	v_add_f32_e32 v9, v9, v5
	s_or_b64 exec, exec, s[6:7]
	s_and_saveexec_b64 s[6:7], s[0:1]
	s_cbranch_execz .LBB357_776
.LBB357_816:
	s_load_dword s8, s[2:3], 0x0
	s_waitcnt lgkmcnt(0)
	v_lshl_add_u32 v5, v4, 2, s8
	ds_read_b32 v5, v5 offset:128
	s_waitcnt lgkmcnt(0)
	v_add_f32_e32 v2, v2, v5
	s_or_b64 exec, exec, s[6:7]
	s_and_saveexec_b64 s[6:7], s[0:1]
	s_cbranch_execz .LBB357_777
.LBB357_817:
	s_load_dword s8, s[2:3], 0x0
	s_waitcnt lgkmcnt(0)
	v_lshl_add_u32 v5, v4, 2, s8
	ds_read_b32 v5, v5 offset:192
	s_waitcnt lgkmcnt(0)
	v_add_f32_e32 v3, v3, v5
	s_or_b64 exec, exec, s[6:7]
	s_and_saveexec_b64 s[6:7], s[0:1]
	s_cbranch_execz .LBB357_778
.LBB357_818:
	s_load_dword s8, s[2:3], 0x0
	s_waitcnt lgkmcnt(0)
	v_lshl_add_u32 v5, v4, 2, s8
	ds_read_b32 v5, v5 offset:256
	s_waitcnt lgkmcnt(0)
	v_add_f32_e32 v0, v0, v5
	s_or_b64 exec, exec, s[6:7]
	s_and_saveexec_b64 s[6:7], s[0:1]
	s_cbranch_execz .LBB357_779
.LBB357_819:
	s_load_dword s8, s[2:3], 0x0
	s_waitcnt lgkmcnt(0)
	v_lshl_add_u32 v5, v4, 2, s8
	ds_read_b32 v5, v5 offset:320
	s_waitcnt lgkmcnt(0)
	v_add_f32_e32 v1, v1, v5
	s_or_b64 exec, exec, s[6:7]
	s_and_saveexec_b64 s[6:7], s[0:1]
	s_cbranch_execnz .LBB357_780
	s_branch .LBB357_781
.Lfunc_end357:
	.size	_ZN4vllm22paged_attention_kernelI14__hip_bfloat16hLi112ELi32ELi128ELNS_18Fp8KVCacheDataTypeE1ELb1ELi512EEEvPfS3_PT_PKS4_PKT0_SA_ifPKiSC_iPKfiiiSE_SE_iiiii, .Lfunc_end357-_ZN4vllm22paged_attention_kernelI14__hip_bfloat16hLi112ELi32ELi128ELNS_18Fp8KVCacheDataTypeE1ELb1ELi512EEEvPfS3_PT_PKS4_PKT0_SA_ifPKiSC_iPKfiiiSE_SE_iiiii
                                        ; -- End function
	.section	.AMDGPU.csdata,"",@progbits
; Function info:
; codeLenInByte = 29348
; NumSgprs: 42
; NumVgprs: 64
; NumAgprs: 64
; TotalNumVgprs: 128
; ScratchSize: 360
; MemoryBound: 0
	.section	.text._ZN4vllm25paged_attention_v2_kernelI14__hip_bfloat16hLi112ELi32ELi128ELNS_18Fp8KVCacheDataTypeE1ELb1ELi512EEEvPfS3_PT_PKS4_PKT0_SA_ifPKiSC_iPKfiiiSE_SE_iiiii,"axG",@progbits,_ZN4vllm25paged_attention_v2_kernelI14__hip_bfloat16hLi112ELi32ELi128ELNS_18Fp8KVCacheDataTypeE1ELb1ELi512EEEvPfS3_PT_PKS4_PKT0_SA_ifPKiSC_iPKfiiiSE_SE_iiiii,comdat
	.protected	_ZN4vllm25paged_attention_v2_kernelI14__hip_bfloat16hLi112ELi32ELi128ELNS_18Fp8KVCacheDataTypeE1ELb1ELi512EEEvPfS3_PT_PKS4_PKT0_SA_ifPKiSC_iPKfiiiSE_SE_iiiii ; -- Begin function _ZN4vllm25paged_attention_v2_kernelI14__hip_bfloat16hLi112ELi32ELi128ELNS_18Fp8KVCacheDataTypeE1ELb1ELi512EEEvPfS3_PT_PKS4_PKT0_SA_ifPKiSC_iPKfiiiSE_SE_iiiii
	.globl	_ZN4vllm25paged_attention_v2_kernelI14__hip_bfloat16hLi112ELi32ELi128ELNS_18Fp8KVCacheDataTypeE1ELb1ELi512EEEvPfS3_PT_PKS4_PKT0_SA_ifPKiSC_iPKfiiiSE_SE_iiiii
	.p2align	8
	.type	_ZN4vllm25paged_attention_v2_kernelI14__hip_bfloat16hLi112ELi32ELi128ELNS_18Fp8KVCacheDataTypeE1ELb1ELi512EEEvPfS3_PT_PKS4_PKT0_SA_ifPKiSC_iPKfiiiSE_SE_iiiii,@function
_ZN4vllm25paged_attention_v2_kernelI14__hip_bfloat16hLi112ELi32ELi128ELNS_18Fp8KVCacheDataTypeE1ELb1ELi512EEEvPfS3_PT_PKS4_PKT0_SA_ifPKiSC_iPKfiiiSE_SE_iiiii: ; @_ZN4vllm25paged_attention_v2_kernelI14__hip_bfloat16hLi112ELi32ELi128ELNS_18Fp8KVCacheDataTypeE1ELb1ELi512EEEvPfS3_PT_PKS4_PKT0_SA_ifPKiSC_iPKfiiiSE_SE_iiiii
; %bb.0:
	s_load_dwordx8 s[24:31], s[0:1], 0x0
	s_load_dwordx8 s[16:23], s[0:1], 0x20
	s_load_dwordx2 s[6:7], s[0:1], 0x40
	s_load_dwordx4 s[44:47], s[0:1], 0x78
	s_load_dword s5, s[0:1], 0x88
	s_load_dwordx2 s[10:11], s[0:1], 0x50
	s_load_dword s33, s[0:1], 0x48
	s_load_dwordx8 s[36:43], s[0:1], 0x58
	s_mov_b32 s32, 0
	s_waitcnt lgkmcnt(0)
	v_mov_b32_e32 v2, s47
	v_mov_b32_e32 v3, s5
	s_add_u32 s8, s0, 0x90
	scratch_store_dwordx2 off, v[2:3], s32
	s_addc_u32 s9, s1, 0
	s_mov_b32 s12, s2
	s_mov_b32 s13, s3
	;; [unrolled: 1-line block ×4, first 2 shown]
	v_mov_b32_e32 v31, v0
	v_mov_b32_e32 v0, s24
	v_mov_b32_e32 v1, s25
	v_mov_b32_e32 v2, s26
	v_mov_b32_e32 v3, s27
	v_mov_b32_e32 v4, s28
	v_mov_b32_e32 v5, s29
	v_mov_b32_e32 v6, s30
	v_mov_b32_e32 v7, s31
	v_mov_b32_e32 v8, s16
	v_mov_b32_e32 v9, s17
	v_mov_b32_e32 v10, s18
	v_mov_b32_e32 v11, s19
	v_mov_b32_e32 v12, s20
	v_mov_b32_e32 v13, s21
	v_mov_b32_e32 v14, s22
	v_mov_b32_e32 v15, s23
	v_mov_b32_e32 v16, s6
	v_mov_b32_e32 v17, s7
	v_mov_b32_e32 v18, s33
	v_mov_b32_e32 v19, s10
	v_mov_b32_e32 v20, s11
	v_mov_b32_e32 v21, s36
	v_mov_b32_e32 v22, s37
	v_mov_b32_e32 v23, s38
	v_mov_b32_e32 v24, s40
	v_mov_b32_e32 v25, s41
	v_mov_b32_e32 v26, s42
	v_mov_b32_e32 v27, s43
	v_mov_b32_e32 v28, s44
	v_mov_b32_e32 v29, s45
	v_mov_b32_e32 v30, s46
	s_getpc_b64 s[0:1]
	s_add_u32 s0, s0, _ZN4vllm22paged_attention_kernelI14__hip_bfloat16hLi112ELi32ELi128ELNS_18Fp8KVCacheDataTypeE1ELb1ELi512EEEvPfS3_PT_PKS4_PKT0_SA_ifPKiSC_iPKfiiiSE_SE_iiiii@rel32@lo+4
	s_addc_u32 s1, s1, _ZN4vllm22paged_attention_kernelI14__hip_bfloat16hLi112ELi32ELi128ELNS_18Fp8KVCacheDataTypeE1ELb1ELi512EEEvPfS3_PT_PKS4_PKT0_SA_ifPKiSC_iPKfiiiSE_SE_iiiii@rel32@hi+12
	s_swappc_b64 s[30:31], s[0:1]
	s_endpgm
	.section	.rodata,"a",@progbits
	.p2align	6, 0x0
	.amdhsa_kernel _ZN4vllm25paged_attention_v2_kernelI14__hip_bfloat16hLi112ELi32ELi128ELNS_18Fp8KVCacheDataTypeE1ELb1ELi512EEEvPfS3_PT_PKS4_PKT0_SA_ifPKiSC_iPKfiiiSE_SE_iiiii
		.amdhsa_group_segment_fixed_size 240
		.amdhsa_private_segment_fixed_size 360
		.amdhsa_kernarg_size 400
		.amdhsa_user_sgpr_count 2
		.amdhsa_user_sgpr_dispatch_ptr 0
		.amdhsa_user_sgpr_queue_ptr 0
		.amdhsa_user_sgpr_kernarg_segment_ptr 1
		.amdhsa_user_sgpr_dispatch_id 0
		.amdhsa_user_sgpr_kernarg_preload_length 0
		.amdhsa_user_sgpr_kernarg_preload_offset 0
		.amdhsa_user_sgpr_private_segment_size 0
		.amdhsa_uses_dynamic_stack 0
		.amdhsa_enable_private_segment 1
		.amdhsa_system_sgpr_workgroup_id_x 1
		.amdhsa_system_sgpr_workgroup_id_y 1
		.amdhsa_system_sgpr_workgroup_id_z 1
		.amdhsa_system_sgpr_workgroup_info 0
		.amdhsa_system_vgpr_workitem_id 0
		.amdhsa_next_free_vgpr 128
		.amdhsa_next_free_sgpr 48
		.amdhsa_accum_offset 64
		.amdhsa_reserve_vcc 1
		.amdhsa_float_round_mode_32 0
		.amdhsa_float_round_mode_16_64 0
		.amdhsa_float_denorm_mode_32 3
		.amdhsa_float_denorm_mode_16_64 3
		.amdhsa_dx10_clamp 1
		.amdhsa_ieee_mode 1
		.amdhsa_fp16_overflow 0
		.amdhsa_tg_split 0
		.amdhsa_exception_fp_ieee_invalid_op 0
		.amdhsa_exception_fp_denorm_src 0
		.amdhsa_exception_fp_ieee_div_zero 0
		.amdhsa_exception_fp_ieee_overflow 0
		.amdhsa_exception_fp_ieee_underflow 0
		.amdhsa_exception_fp_ieee_inexact 0
		.amdhsa_exception_int_div_zero 0
	.end_amdhsa_kernel
	.section	.text._ZN4vllm25paged_attention_v2_kernelI14__hip_bfloat16hLi112ELi32ELi128ELNS_18Fp8KVCacheDataTypeE1ELb1ELi512EEEvPfS3_PT_PKS4_PKT0_SA_ifPKiSC_iPKfiiiSE_SE_iiiii,"axG",@progbits,_ZN4vllm25paged_attention_v2_kernelI14__hip_bfloat16hLi112ELi32ELi128ELNS_18Fp8KVCacheDataTypeE1ELb1ELi512EEEvPfS3_PT_PKS4_PKT0_SA_ifPKiSC_iPKfiiiSE_SE_iiiii,comdat
.Lfunc_end358:
	.size	_ZN4vllm25paged_attention_v2_kernelI14__hip_bfloat16hLi112ELi32ELi128ELNS_18Fp8KVCacheDataTypeE1ELb1ELi512EEEvPfS3_PT_PKS4_PKT0_SA_ifPKiSC_iPKfiiiSE_SE_iiiii, .Lfunc_end358-_ZN4vllm25paged_attention_v2_kernelI14__hip_bfloat16hLi112ELi32ELi128ELNS_18Fp8KVCacheDataTypeE1ELb1ELi512EEEvPfS3_PT_PKS4_PKT0_SA_ifPKiSC_iPKfiiiSE_SE_iiiii
                                        ; -- End function
	.section	.AMDGPU.csdata,"",@progbits
; Kernel info:
; codeLenInByte = 272
; NumSgprs: 54
; NumVgprs: 64
; NumAgprs: 64
; TotalNumVgprs: 128
; ScratchSize: 360
; MemoryBound: 0
; FloatMode: 240
; IeeeMode: 1
; LDSByteSize: 240 bytes/workgroup (compile time only)
; SGPRBlocks: 6
; VGPRBlocks: 15
; NumSGPRsForWavesPerEU: 54
; NumVGPRsForWavesPerEU: 128
; AccumOffset: 64
; Occupancy: 4
; WaveLimiterHint : 1
; COMPUTE_PGM_RSRC2:SCRATCH_EN: 1
; COMPUTE_PGM_RSRC2:USER_SGPR: 2
; COMPUTE_PGM_RSRC2:TRAP_HANDLER: 0
; COMPUTE_PGM_RSRC2:TGID_X_EN: 1
; COMPUTE_PGM_RSRC2:TGID_Y_EN: 1
; COMPUTE_PGM_RSRC2:TGID_Z_EN: 1
; COMPUTE_PGM_RSRC2:TIDIG_COMP_CNT: 0
; COMPUTE_PGM_RSRC3_GFX90A:ACCUM_OFFSET: 15
; COMPUTE_PGM_RSRC3_GFX90A:TG_SPLIT: 0
	.text
	.p2align	2                               ; -- Begin function _ZN4vllm22paged_attention_kernelI14__hip_bfloat16hLi120ELi32ELi128ELNS_18Fp8KVCacheDataTypeE1ELb1ELi512EEEvPfS3_PT_PKS4_PKT0_SA_ifPKiSC_iPKfiiiSE_SE_iiiii
	.type	_ZN4vllm22paged_attention_kernelI14__hip_bfloat16hLi120ELi32ELi128ELNS_18Fp8KVCacheDataTypeE1ELb1ELi512EEEvPfS3_PT_PKS4_PKT0_SA_ifPKiSC_iPKfiiiSE_SE_iiiii,@function
_ZN4vllm22paged_attention_kernelI14__hip_bfloat16hLi120ELi32ELi128ELNS_18Fp8KVCacheDataTypeE1ELb1ELi512EEEvPfS3_PT_PKS4_PKT0_SA_ifPKiSC_iPKfiiiSE_SE_iiiii: ; @_ZN4vllm22paged_attention_kernelI14__hip_bfloat16hLi120ELi32ELi128ELNS_18Fp8KVCacheDataTypeE1ELb1ELi512EEEvPfS3_PT_PKS4_PKT0_SA_ifPKiSC_iPKfiiiSE_SE_iiiii
; %bb.0:
	s_waitcnt vmcnt(0) expcnt(0) lgkmcnt(0)
	s_or_saveexec_b64 s[0:1], -1
	scratch_store_dword off, v63, s32 offset:372 ; 4-byte Folded Spill
	s_mov_b64 exec, s[0:1]
	scratch_store_dword off, v40, s32 offset:192 ; 4-byte Folded Spill
	scratch_store_dword off, v41, s32 offset:188 ; 4-byte Folded Spill
	;; [unrolled: 1-line block ×47, first 2 shown]
	v_writelane_b32 v63, s34, 0
	v_writelane_b32 v63, s35, 1
	v_writelane_b32 v63, s30, 2
	s_nop 1
	v_writelane_b32 v63, s31, 3
	s_mov_b32 s20, s13
	s_ashr_i32 s21, s13, 31
	scratch_store_dwordx2 off, v[26:27], s32 offset:224 ; 8-byte Folded Spill
	scratch_store_dwordx2 off, v[24:25], s32 offset:244 ; 8-byte Folded Spill
	scratch_store_dwordx2 off, v[22:23], s32 offset:232 ; 8-byte Folded Spill
	scratch_store_dword off, v13, s32 offset:272 ; 4-byte Folded Spill
	v_mov_b32_e32 v27, v3
	v_mov_b32_e32 v26, v2
	v_lshl_add_u64 v[2:3], s[20:21], 2, v[16:17]
	v_mov_b32_e32 v25, v1
	v_mov_b32_e32 v24, v0
	scratch_load_dword v0, off, s32 offset:4
	flat_load_dword v1, v[2:3]
	s_nop 0
	scratch_load_dword v2, off, s32
	s_lshl_b32 s21, s14, 9
	v_mov_b32_e32 v33, v20
	v_mov_b32_e32 v32, v19
	;; [unrolled: 1-line block ×4, first 2 shown]
	s_waitcnt vmcnt(0) lgkmcnt(0)
	v_accvgpr_write_b32 a3, v1
	v_cmp_lt_i32_e32 vcc, s21, v1
	s_and_saveexec_b64 s[10:11], vcc
	s_cbranch_execz .LBB359_908
; %bb.1:
	v_sub_u32_e32 v1, 0, v12
	v_max_i32_e32 v1, v12, v1
	v_cvt_f32_u32_e32 v3, v1
	scratch_store_dwordx2 off, v[4:5], s32 offset:284 ; 8-byte Folded Spill
	s_load_dword s0, s[8:9], 0x10
	s_load_dword s2, s[8:9], 0x0
	v_sub_u32_e32 v5, 0, v1
	v_rcp_iflag_f32_e32 v3, v3
	s_mov_b32 s18, s15
	s_waitcnt lgkmcnt(0)
	s_lshr_b32 s0, s0, 16
	s_cmp_lg_u32 s0, 0
	v_mul_f32_e32 v3, 0x4f7ffffe, v3
	v_cvt_u32_f32_e32 v3, v3
	s_cselect_b64 s[0:1], -1, 0
	s_cmp_lg_u64 s[0:1], 0
	s_addc_u32 s15, s2, 0
	v_mul_lo_u32 v5, v5, v3
	v_mul_hi_u32 v5, v3, v5
	s_abs_i32 s0, s15
	v_add_u32_e32 v3, v3, v5
	v_mul_hi_u32 v3, s0, v3
	v_mul_lo_u32 v5, v3, v1
	v_sub_u32_e32 v5, s0, v5
	v_add_u32_e32 v10, 1, v3
	v_cmp_ge_u32_e32 vcc, v5, v1
	v_xor_b32_e32 v4, s15, v12
	v_ashrrev_i32_e32 v4, 31, v4
	v_cndmask_b32_e32 v3, v3, v10, vcc
	v_sub_u32_e32 v10, v5, v1
	v_cndmask_b32_e32 v5, v5, v10, vcc
	v_add_u32_e32 v10, 1, v3
	v_cmp_ge_u32_e32 vcc, v5, v1
	s_abs_i32 s2, s12
	s_nop 0
	v_cndmask_b32_e32 v1, v3, v10, vcc
	v_xor_b32_e32 v1, v1, v4
	v_sub_u32_e32 v1, v1, v4
	v_sub_u32_e32 v3, 0, v1
	v_max_i32_e32 v3, v1, v3
	v_cvt_f32_u32_e32 v4, v3
	v_sub_u32_e32 v5, 0, v3
	v_cmp_ne_u64_e32 vcc, 0, v[32:33]
	v_rcp_iflag_f32_e32 v4, v4
	s_nop 0
	v_mul_f32_e32 v4, 0x4f7ffffe, v4
	v_cvt_u32_f32_e32 v4, v4
	v_mul_lo_u32 v5, v5, v4
	v_mul_hi_u32 v5, v4, v5
	v_add_u32_e32 v4, v4, v5
	v_mad_u64_u32 v[16:17], s[0:1], s2, v4, 0
	v_mov_b32_e32 v4, 0
	scratch_store_dword off, v4, s32 offset:268 ; 4-byte Folded Spill
	s_and_saveexec_b64 s[0:1], vcc
	s_cbranch_execz .LBB359_3
; %bb.2:
	s_ashr_i32 s13, s12, 31
	v_lshl_add_u64 v[4:5], s[12:13], 2, v[32:33]
	flat_load_dword v4, v[4:5]
	s_waitcnt vmcnt(0) lgkmcnt(0)
	scratch_store_dword off, v4, s32 offset:268 ; 4-byte Folded Spill
.LBB359_3:
	s_or_b64 exec, exec, s[0:1]
	v_and_b32_e32 v20, 0x3ff, v31
	s_ashr_i32 s3, s12, 31
	v_ashrrev_i32_e32 v4, 31, v1
	v_and_b32_e32 v1, 1, v20
	s_movk_i32 s4, 0x78
	s_mul_i32 s16, s12, 0x78
	v_cmp_gt_u32_e32 vcc, 30, v20
	v_lshlrev_b32_e32 v32, 3, v20
	s_and_saveexec_b64 s[0:1], vcc
	s_cbranch_execz .LBB359_5
; %bb.4:
	v_mul_lo_u32 v10, s20, v21
	v_ashrrev_i32_e32 v11, 31, v10
	v_lshl_add_u64 v[6:7], v[10:11], 1, v[6:7]
	s_ashr_i32 s17, s16, 31
	v_lshl_add_u64 v[6:7], s[16:17], 1, v[6:7]
	v_mov_b32_e32 v33, 0
	v_lshl_add_u64 v[6:7], v[6:7], 0, v[32:33]
	flat_load_dwordx2 v[6:7], v[6:7]
	v_lshlrev_b32_e32 v5, 2, v20
	v_and_b32_e32 v5, 0xff8, v5
	v_mad_u32_u24 v5, v1, s4, v5
	s_waitcnt vmcnt(0) lgkmcnt(0)
	ds_write_b64 v5, v[6:7]
.LBB359_5:
	s_or_b64 exec, exec, s[0:1]
	v_mul_lo_u32 v5, v17, v3
	v_sub_u32_e32 v5, s2, v5
	v_add_u32_e32 v6, 1, v17
	v_cmp_ge_u32_e32 vcc, v5, v3
	v_sub_u32_e32 v7, v5, v3
	v_xor_b32_e32 v4, s3, v4
	v_cndmask_b32_e32 v6, v17, v6, vcc
	v_cndmask_b32_e32 v5, v5, v7, vcc
	v_add_u32_e32 v7, 1, v6
	v_cmp_ge_u32_e32 vcc, v5, v3
	v_sub_u32_e32 v5, 0, v2
	s_waitcnt lgkmcnt(0)
	v_cndmask_b32_e32 v3, v6, v7, vcc
	v_max_i32_e32 v7, v2, v5
	v_cvt_f32_u32_e32 v5, v7
	v_xor_b32_e32 v3, v3, v4
	v_sub_u32_e32 v6, v3, v4
	s_barrier
	v_rcp_iflag_f32_e32 v3, v5
	v_accvgpr_read_b32 v4, a3
	scratch_store_dword off, v7, s32 offset:196 ; 4-byte Folded Spill
	v_mul_f32_e32 v3, 0x4f7ffffe, v3
	v_cvt_u32_f32_e32 v5, v3
	v_sub_u32_e32 v7, 0, v7
	v_add_u32_e32 v4, -1, v4
	v_sub_u32_e32 v3, 0, v4
	v_mul_lo_u32 v7, v7, v5
	v_mul_hi_u32 v7, v5, v7
	v_max_i32_e32 v3, v4, v3
	v_add_u32_e32 v5, v5, v7
	v_mad_u64_u32 v[16:17], s[0:1], v3, v5, 0
	v_cmp_gt_i32_e32 vcc, 0, v0
	scratch_store_dword off, v5, s32 offset:216 ; 4-byte Folded Spill
                                        ; implicit-def: $vgpr10
	scratch_store_dwordx2 off, v[10:11], s32 offset:208 ; 8-byte Folded Spill
	s_and_saveexec_b64 s[0:1], vcc
	s_xor_b64 s[0:1], exec, s[0:1]
	s_cbranch_execz .LBB359_7
; %bb.6:
	v_mad_u64_u32 v[10:11], s[2:3], v28, v12, v[6:7]
	v_mul_lo_u32 v0, v10, v0
	v_sub_u32_e32 v0, 1, v0
	scratch_store_dwordx2 off, v[0:1], s32 offset:208 ; 8-byte Folded Spill
                                        ; implicit-def: $vgpr28
                                        ; implicit-def: $vgpr0
.LBB359_7:
	s_or_saveexec_b64 s[0:1], s[0:1]
	v_ashrrev_i32_e32 v4, 31, v4
	v_ashrrev_i32_e32 v2, 31, v2
	scratch_store_dword off, v2, s32 offset:200 ; 4-byte Folded Spill
	s_xor_b64 exec, exec, s[0:1]
	s_cbranch_execz .LBB359_9
; %bb.8:
	v_mul_lo_u32 v2, s15, v28
	v_add_u32_e32 v2, s12, v2
	v_mad_u64_u32 v[10:11], s[2:3], v2, v0, 1
	scratch_store_dwordx2 off, v[10:11], s32 offset:208 ; 8-byte Folded Spill
.LBB359_9:
	s_or_b64 exec, exec, s[0:1]
	s_load_dword s28, s[8:9], 0x14
	s_load_dword s13, s[8:9], 0x8
	scratch_load_dword v0, off, s32 offset:200 ; 4-byte Folded Reload
	scratch_load_dword v5, off, s32 offset:196 ; 4-byte Folded Reload
	s_lshl_b32 s17, s14, 4
	v_lshrrev_b32_e32 v28, 6, v20
	s_add_i32 s0, s17, 16
	v_mul_lo_u32 v36, s20, v18
	v_mul_lo_u32 v38, v6, v23
	v_ashrrev_i32_e32 v37, 31, v36
	v_mov_b32_e32 v7, 0xff7fffff
	v_ashrrev_i32_e32 v39, 31, v38
	s_waitcnt vmcnt(1)
	v_xor_b32_e32 v0, v4, v0
	s_waitcnt vmcnt(0)
	v_mul_lo_u32 v2, v17, v5
	v_sub_u32_e32 v2, v3, v2
	v_add_u32_e32 v3, 1, v17
	v_cmp_ge_u32_e32 vcc, v2, v5
	v_sub_u32_e32 v4, v2, v5
	s_nop 0
	v_cndmask_b32_e32 v3, v17, v3, vcc
	v_cndmask_b32_e32 v2, v2, v4, vcc
	v_add_u32_e32 v4, 1, v3
	v_cmp_ge_u32_e32 vcc, v2, v5
	s_nop 1
	v_cndmask_b32_e32 v2, v3, v4, vcc
	v_xor_b32_e32 v2, v2, v0
	v_sub_u32_e32 v0, v2, v0
	v_accvgpr_read_b32 v2, a3
	v_add_u32_e32 v2, 31, v2
	v_ashrrev_i32_e32 v3, 31, v2
	v_lshrrev_b32_e32 v3, 27, v3
	v_add_u32_e32 v2, v2, v3
	v_or_b32_e32 v4, s17, v28
	v_ashrrev_i32_e32 v31, 5, v2
	v_ashrrev_i32_e32 v5, 31, v4
	v_min_i32_e32 v2, s0, v31
	v_sub_u32_e32 v0, v0, v29
	v_accvgpr_write_b32 a13, v5
	v_cmp_lt_i32_e64 s[0:1], v4, v2
	scratch_store_dword off, v0, s32 offset:220 ; 4-byte Folded Spill
	v_accvgpr_write_b32 a12, v4
	v_sub_u32_e32 v29, 0, v30
	v_lshl_add_u32 v0, v28, 5, s21
	v_mbcnt_lo_u32_b32 v4, -1, 0
	scratch_store_dword off, v2, s32 offset:204 ; 4-byte Folded Spill
	scratch_store_dword off, v0, s32 offset:292 ; 4-byte Folded Spill
	s_and_saveexec_b64 s[8:9], s[0:1]
	s_cbranch_execz .LBB359_259
; %bb.10:
	v_bfe_u32 v5, v20, 1, 5
	v_lshl_add_u64 v[2:3], v[8:9], 0, v[38:39]
	v_lshlrev_b32_e32 v46, 4, v5
	v_mov_b32_e32 v47, 0
	v_lshl_add_u64 v[2:3], v[2:3], 0, v[46:47]
	scratch_store_dword off, v31, s32 offset:296 ; 4-byte Folded Spill
	scratch_store_dwordx2 off, v[32:33], s32 offset:328 ; 8-byte Folded Spill
	scratch_store_dwordx2 off, v[26:27], s32 offset:344 ; 8-byte Folded Spill
	;; [unrolled: 1-line block ×4, first 2 shown]
	scratch_store_dword off, v20, s32 offset:308 ; 4-byte Folded Spill
	scratch_store_dwordx2 off, v[38:39], s32 offset:300 ; 8-byte Folded Spill
	scratch_store_dwordx2 off, v[2:3], s32 offset:260 ; 8-byte Folded Spill
	scratch_store_dword off, v30, s32 offset:360 ; 4-byte Folded Spill
	scratch_store_dword off, v29, s32 offset:312 ; 4-byte Folded Spill
	v_cmp_eq_u32_e32 vcc, 0, v1
	v_lshlrev_b32_e32 v46, 2, v1
	v_mul_u32_u24_e32 v12, 0x78, v1
	scratch_load_dword v1, off, s32 offset:268 ; 4-byte Folded Reload
	v_max_i32_e32 v2, v30, v29
	v_cvt_f32_u32_e32 v0, v2
	s_ashr_i32 s19, s18, 31
	scratch_store_dword off, v2, s32 offset:240 ; 4-byte Folded Spill
	s_lshl_b64 s[4:5], s[18:19], 2
	v_rcp_iflag_f32_e32 v0, v0
	s_getpc_b64 s[6:7]
	s_add_u32 s6, s6, llvm.amdgcn.dynlds.offset.table@rel32@lo+4
	s_addc_u32 s7, s7, llvm.amdgcn.dynlds.offset.table@rel32@hi+12
	s_add_u32 s22, s4, s6
	s_addc_u32 s23, s5, s7
	v_mul_f32_e32 v0, 0x4f7ffffe, v0
	v_cvt_u32_f32_e32 v0, v0
	s_load_dword s19, s[22:23], 0x0
	v_lshl_add_u32 v62, v28, 5, s21
	s_mov_b64 s[24:25], 0
	s_mov_b32 s29, 0x7f800000
	s_movk_i32 s30, 0x7fff
	scratch_store_dwordx2 off, v[36:37], s32 offset:316 ; 8-byte Folded Spill
	scratch_store_dwordx2 off, v[14:15], s32 offset:364 ; 8-byte Folded Spill
	scratch_store_dword off, v28, s32 offset:324 ; 4-byte Folded Spill
	scratch_store_dword off, v5, s32 offset:276 ; 4-byte Folded Spill
	s_waitcnt vmcnt(5)
	v_cmp_neq_f32_e64 s[2:3], 0, v1
	v_sub_u32_e32 v1, 0, v2
	v_mul_lo_u32 v1, v1, v0
	v_mul_hi_u32 v1, v0, v1
	v_accvgpr_read_b32 v2, a12
	v_add_u32_e32 v0, v0, v1
	v_accvgpr_read_b32 v3, a13
	v_accvgpr_write_b32 a42, v0
	v_lshlrev_b64 v[0:1], 2, v[2:3]
	v_lshl_add_u64 v[0:1], v[36:37], 2, v[0:1]
	v_lshl_add_u64 v[58:59], v[14:15], 0, v[0:1]
	v_lshlrev_b32_e32 v0, 2, v5
	v_lshl_or_b32 v31, v28, 7, v0
	v_accvgpr_read_b32 v0, a3
	v_sub_u32_e32 v0, v5, v0
	v_add_u32_e32 v0, 1, v0
	scratch_store_dword off, v0, s32 offset:280 ; 4-byte Folded Spill
	v_mbcnt_hi_u32_b32 v0, -1, v4
	scratch_store_dword off, v0, s32 offset:256 ; 4-byte Folded Spill
	v_mov_b32_e32 v0, 0xff7fffff
	v_mov_b32_e32 v40, v2
	scratch_store_dword off, v0, s32 offset:252 ; 4-byte Folded Spill
	s_branch .LBB359_13
.LBB359_11:                             ;   in Loop: Header=BB359_13 Depth=1
	s_or_b64 exec, exec, s[26:27]
.LBB359_12:                             ;   in Loop: Header=BB359_13 Depth=1
	s_or_b64 exec, exec, s[6:7]
	scratch_load_dword v0, off, s32 offset:204 ; 4-byte Folded Reload
	v_add_u32_e32 v40, 2, v40
	v_lshl_add_u64 v[58:59], v[58:59], 0, 8
	v_add_u32_e32 v62, 64, v62
	v_add_u32_e32 v31, 0x100, v31
	s_waitcnt vmcnt(0)
	v_cmp_ge_i32_e64 s[4:5], v40, v0
	s_or_b64 s[24:25], s[4:5], s[24:25]
	s_andn2_b64 exec, exec, s[24:25]
	s_cbranch_execz .LBB359_258
.LBB359_13:                             ; =>This Inner Loop Header: Depth=1
	s_waitcnt lgkmcnt(0)
	scratch_load_dword v1, off, s32 offset:200 ; 4-byte Folded Reload
	scratch_load_dword v2, off, s32 offset:216 ; 4-byte Folded Reload
	;; [unrolled: 1-line block ×3, first 2 shown]
	v_ashrrev_i32_e32 v0, 31, v62
	s_waitcnt vmcnt(2)
	v_xor_b32_e32 v0, v0, v1
	v_sub_u32_e32 v1, 0, v62
	v_max_i32_e32 v1, v62, v1
	s_waitcnt vmcnt(1)
	v_mul_hi_u32 v2, v1, v2
	s_waitcnt vmcnt(0)
	v_mul_lo_u32 v3, v2, v4
	v_sub_u32_e32 v1, v1, v3
	v_add_u32_e32 v3, 1, v2
	v_cmp_ge_u32_e64 s[4:5], v1, v4
	s_nop 1
	v_cndmask_b32_e64 v2, v2, v3, s[4:5]
	v_sub_u32_e32 v3, v1, v4
	v_cndmask_b32_e64 v1, v1, v3, s[4:5]
	v_add_u32_e32 v3, 1, v2
	v_cmp_ge_u32_e64 s[4:5], v1, v4
	v_accvgpr_read_b32 v4, a42
	s_nop 0
	v_cndmask_b32_e64 v1, v2, v3, s[4:5]
	scratch_load_dwordx2 v[2:3], off, s32 offset:208 ; 8-byte Folded Reload
	v_xor_b32_e32 v1, v1, v0
	v_sub_u32_e32 v0, v1, v0
	s_waitcnt vmcnt(0)
	v_add_u32_e32 v1, v0, v2
	v_sub_u32_e32 v3, 0, v1
	v_ashrrev_i32_e32 v2, 31, v1
	v_max_i32_e32 v1, v1, v3
	v_mul_hi_u32 v3, v1, v4
	scratch_load_dword v4, off, s32 offset:240 ; 4-byte Folded Reload
	s_waitcnt vmcnt(0)
	v_mul_lo_u32 v3, v3, v4
	v_sub_u32_e32 v1, v1, v3
	v_sub_u32_e32 v3, v1, v4
	v_cmp_ge_u32_e64 s[4:5], v1, v4
	s_nop 1
	v_cndmask_b32_e64 v1, v1, v3, s[4:5]
	v_sub_u32_e32 v3, v1, v4
	v_cmp_ge_u32_e64 s[4:5], v1, v4
	s_nop 1
	v_cndmask_b32_e64 v1, v1, v3, s[4:5]
	v_xor_b32_e32 v1, v1, v2
	v_sub_u32_e32 v1, v1, v2
	v_cmp_ne_u32_e64 s[4:5], 0, v1
	scratch_load_dword v1, off, s32 offset:220 ; 4-byte Folded Reload
	s_waitcnt vmcnt(0)
	v_cmp_le_i32_e64 s[6:7], v0, v1
	s_and_b64 s[4:5], s[4:5], s[6:7]
	s_and_b64 s[26:27], vcc, s[4:5]
	s_and_saveexec_b64 s[6:7], s[26:27]
	s_cbranch_execz .LBB359_15
; %bb.14:                               ;   in Loop: Header=BB359_13 Depth=1
	s_waitcnt lgkmcnt(0)
	v_add_u32_e32 v0, s19, v31
	v_mov_b32_e32 v1, 0xff7fffff
	ds_write_b32 v0, v1
.LBB359_15:                             ;   in Loop: Header=BB359_13 Depth=1
	s_or_b64 exec, exec, s[6:7]
	s_xor_b64 s[4:5], s[4:5], -1
	s_and_saveexec_b64 s[6:7], s[4:5]
	s_cbranch_execz .LBB359_12
; %bb.16:                               ;   in Loop: Header=BB359_13 Depth=1
	flat_load_dword v0, v[58:59]
	scratch_load_dwordx2 v[2:3], off, s32 offset:232 ; 8-byte Folded Reload
	scratch_load_dwordx2 v[4:5], off, s32 offset:260 ; 8-byte Folded Reload
                                        ; implicit-def: $agpr47
	s_waitcnt vmcnt(0) lgkmcnt(0)
	v_mad_i64_i32 v[0:1], s[4:5], v0, v2, v[4:5]
	v_lshl_add_u64 v[60:61], v[0:1], 0, v[46:47]
	flat_load_dword v0, v[60:61]
	scratch_load_dwordx2 v[2:3], off, s32 offset:244 ; 8-byte Folded Reload
	s_waitcnt vmcnt(0) lgkmcnt(0)
	v_and_b32_e32 v1, 0xff, v0
	flat_load_dword v10, v[2:3]
	ds_read2_b64 v[52:55], v12 offset1:1
	ds_read2_b64 v[48:51], v12 offset0:2 offset1:3
	ds_read2_b64 v[36:39], v12 offset0:4 offset1:5
	;; [unrolled: 1-line block ×5, first 2 shown]
	v_cvt_f32_fp8_sdwa v1, v1 src0_sel:BYTE_0
	ds_read_b32 a45, v12 offset:96
	ds_read_u16 a46, v12 offset:100
	s_waitcnt vmcnt(0) lgkmcnt(0)
	v_mul_f32_e32 v1, v10, v1
	v_and_b32_e32 v2, 0x7f800000, v1
	v_cmp_ne_u32_e64 s[4:5], s29, v2
	s_and_saveexec_b64 s[26:27], s[4:5]
	s_xor_b64 s[4:5], exec, s[26:27]
; %bb.17:                               ;   in Loop: Header=BB359_13 Depth=1
	v_bfe_u32 v2, v1, 16, 1
	v_add3_u32 v1, v1, v2, s30
	v_accvgpr_write_b32 a47, v1
                                        ; implicit-def: $vgpr1
; %bb.18:                               ;   in Loop: Header=BB359_13 Depth=1
	s_andn2_saveexec_b64 s[26:27], s[4:5]
; %bb.19:                               ;   in Loop: Header=BB359_13 Depth=1
	v_or_b32_e32 v2, 0x10000, v1
	v_cmp_eq_u32_sdwa s[4:5], v1, v47 src0_sel:WORD_0 src1_sel:DWORD
	s_nop 1
	v_cndmask_b32_e64 v1, v2, v1, s[4:5]
	v_accvgpr_write_b32 a47, v1
; %bb.20:                               ;   in Loop: Header=BB359_13 Depth=1
	s_or_b64 exec, exec, s[26:27]
	v_bfe_u32 v1, v0, 8, 8
	v_cvt_f32_fp8_sdwa v1, v1 src0_sel:BYTE_0
                                        ; implicit-def: $agpr52
	s_nop 0
	v_mul_f32_e32 v1, v10, v1
	v_and_b32_e32 v2, 0x7f800000, v1
	v_cmp_ne_u32_e64 s[4:5], s29, v2
	s_and_saveexec_b64 s[26:27], s[4:5]
	s_xor_b64 s[4:5], exec, s[26:27]
; %bb.21:                               ;   in Loop: Header=BB359_13 Depth=1
	v_bfe_u32 v2, v1, 16, 1
	v_add3_u32 v1, v1, v2, s30
	v_accvgpr_write_b32 a52, v1
                                        ; implicit-def: $vgpr1
; %bb.22:                               ;   in Loop: Header=BB359_13 Depth=1
	s_andn2_saveexec_b64 s[26:27], s[4:5]
; %bb.23:                               ;   in Loop: Header=BB359_13 Depth=1
	v_or_b32_e32 v2, 0x10000, v1
	v_cmp_eq_u32_sdwa s[4:5], v1, v47 src0_sel:WORD_0 src1_sel:DWORD
	s_nop 1
	v_cndmask_b32_e64 v1, v2, v1, s[4:5]
	v_accvgpr_write_b32 a52, v1
; %bb.24:                               ;   in Loop: Header=BB359_13 Depth=1
	s_or_b64 exec, exec, s[26:27]
	v_bfe_u32 v1, v0, 16, 8
	v_cvt_f32_fp8_sdwa v1, v1 src0_sel:BYTE_0
                                        ; implicit-def: $agpr53
	s_nop 0
	v_mul_f32_e32 v1, v10, v1
	v_and_b32_e32 v2, 0x7f800000, v1
	v_cmp_ne_u32_e64 s[4:5], s29, v2
	s_and_saveexec_b64 s[26:27], s[4:5]
	s_xor_b64 s[4:5], exec, s[26:27]
; %bb.25:                               ;   in Loop: Header=BB359_13 Depth=1
	v_bfe_u32 v2, v1, 16, 1
	v_add3_u32 v1, v1, v2, s30
	v_accvgpr_write_b32 a53, v1
                                        ; implicit-def: $vgpr1
; %bb.26:                               ;   in Loop: Header=BB359_13 Depth=1
	s_andn2_saveexec_b64 s[26:27], s[4:5]
; %bb.27:                               ;   in Loop: Header=BB359_13 Depth=1
	v_or_b32_e32 v2, 0x10000, v1
	v_cmp_eq_u32_sdwa s[4:5], v1, v47 src0_sel:WORD_0 src1_sel:DWORD
	s_nop 1
	v_cndmask_b32_e64 v1, v2, v1, s[4:5]
	v_accvgpr_write_b32 a53, v1
; %bb.28:                               ;   in Loop: Header=BB359_13 Depth=1
	s_or_b64 exec, exec, s[26:27]
	v_lshrrev_b32_e32 v0, 24, v0
	v_cvt_f32_fp8_sdwa v0, v0 src0_sel:BYTE_0
                                        ; implicit-def: $agpr54
	s_nop 0
	v_mul_f32_e32 v0, v10, v0
	v_and_b32_e32 v1, 0x7f800000, v0
	v_cmp_ne_u32_e64 s[4:5], s29, v1
	s_and_saveexec_b64 s[26:27], s[4:5]
	s_xor_b64 s[4:5], exec, s[26:27]
; %bb.29:                               ;   in Loop: Header=BB359_13 Depth=1
	v_bfe_u32 v1, v0, 16, 1
	v_add3_u32 v0, v0, v1, s30
	v_accvgpr_write_b32 a54, v0
                                        ; implicit-def: $vgpr0
; %bb.30:                               ;   in Loop: Header=BB359_13 Depth=1
	s_andn2_saveexec_b64 s[26:27], s[4:5]
; %bb.31:                               ;   in Loop: Header=BB359_13 Depth=1
	v_or_b32_e32 v1, 0x10000, v0
	v_cmp_eq_u32_sdwa s[4:5], v0, v47 src0_sel:WORD_0 src1_sel:DWORD
	s_nop 1
	v_cndmask_b32_e64 v0, v1, v0, s[4:5]
	v_accvgpr_write_b32 a54, v0
; %bb.32:                               ;   in Loop: Header=BB359_13 Depth=1
	s_or_b64 exec, exec, s[26:27]
	flat_load_dword v0, v[60:61] offset:8
                                        ; implicit-def: $agpr55
	s_waitcnt vmcnt(0) lgkmcnt(0)
	v_and_b32_e32 v1, 0xff, v0
	v_cvt_f32_fp8_sdwa v1, v1 src0_sel:BYTE_0
	s_nop 0
	v_mul_f32_e32 v1, v10, v1
	v_and_b32_e32 v2, 0x7f800000, v1
	v_cmp_ne_u32_e64 s[4:5], s29, v2
	s_and_saveexec_b64 s[26:27], s[4:5]
	s_xor_b64 s[4:5], exec, s[26:27]
; %bb.33:                               ;   in Loop: Header=BB359_13 Depth=1
	v_bfe_u32 v2, v1, 16, 1
	v_add3_u32 v1, v1, v2, s30
	v_accvgpr_write_b32 a55, v1
                                        ; implicit-def: $vgpr1
; %bb.34:                               ;   in Loop: Header=BB359_13 Depth=1
	s_andn2_saveexec_b64 s[26:27], s[4:5]
; %bb.35:                               ;   in Loop: Header=BB359_13 Depth=1
	v_or_b32_e32 v2, 0x10000, v1
	v_cmp_eq_u32_sdwa s[4:5], v1, v47 src0_sel:WORD_0 src1_sel:DWORD
	s_nop 1
	v_cndmask_b32_e64 v1, v2, v1, s[4:5]
	v_accvgpr_write_b32 a55, v1
; %bb.36:                               ;   in Loop: Header=BB359_13 Depth=1
	s_or_b64 exec, exec, s[26:27]
	v_bfe_u32 v1, v0, 8, 8
	v_cvt_f32_fp8_sdwa v1, v1 src0_sel:BYTE_0
                                        ; implicit-def: $agpr56
	s_nop 0
	v_mul_f32_e32 v1, v10, v1
	v_and_b32_e32 v2, 0x7f800000, v1
	v_cmp_ne_u32_e64 s[4:5], s29, v2
	s_and_saveexec_b64 s[26:27], s[4:5]
	s_xor_b64 s[4:5], exec, s[26:27]
; %bb.37:                               ;   in Loop: Header=BB359_13 Depth=1
	v_bfe_u32 v2, v1, 16, 1
	v_add3_u32 v1, v1, v2, s30
	v_accvgpr_write_b32 a56, v1
                                        ; implicit-def: $vgpr1
; %bb.38:                               ;   in Loop: Header=BB359_13 Depth=1
	s_andn2_saveexec_b64 s[26:27], s[4:5]
; %bb.39:                               ;   in Loop: Header=BB359_13 Depth=1
	v_or_b32_e32 v2, 0x10000, v1
	v_cmp_eq_u32_sdwa s[4:5], v1, v47 src0_sel:WORD_0 src1_sel:DWORD
	s_nop 1
	v_cndmask_b32_e64 v1, v2, v1, s[4:5]
	v_accvgpr_write_b32 a56, v1
; %bb.40:                               ;   in Loop: Header=BB359_13 Depth=1
	s_or_b64 exec, exec, s[26:27]
	v_bfe_u32 v1, v0, 16, 8
	v_cvt_f32_fp8_sdwa v1, v1 src0_sel:BYTE_0
                                        ; implicit-def: $agpr57
	s_nop 0
	v_mul_f32_e32 v1, v10, v1
	v_and_b32_e32 v2, 0x7f800000, v1
	v_cmp_ne_u32_e64 s[4:5], s29, v2
	s_and_saveexec_b64 s[26:27], s[4:5]
	s_xor_b64 s[4:5], exec, s[26:27]
; %bb.41:                               ;   in Loop: Header=BB359_13 Depth=1
	v_bfe_u32 v2, v1, 16, 1
	v_add3_u32 v1, v1, v2, s30
	v_accvgpr_write_b32 a57, v1
                                        ; implicit-def: $vgpr1
; %bb.42:                               ;   in Loop: Header=BB359_13 Depth=1
	s_andn2_saveexec_b64 s[26:27], s[4:5]
; %bb.43:                               ;   in Loop: Header=BB359_13 Depth=1
	v_or_b32_e32 v2, 0x10000, v1
	v_cmp_eq_u32_sdwa s[4:5], v1, v47 src0_sel:WORD_0 src1_sel:DWORD
	s_nop 1
	v_cndmask_b32_e64 v1, v2, v1, s[4:5]
	v_accvgpr_write_b32 a57, v1
; %bb.44:                               ;   in Loop: Header=BB359_13 Depth=1
	s_or_b64 exec, exec, s[26:27]
	v_lshrrev_b32_e32 v0, 24, v0
	v_cvt_f32_fp8_sdwa v0, v0 src0_sel:BYTE_0
                                        ; implicit-def: $agpr58
	s_nop 0
	v_mul_f32_e32 v0, v10, v0
	v_and_b32_e32 v1, 0x7f800000, v0
	v_cmp_ne_u32_e64 s[4:5], s29, v1
	s_and_saveexec_b64 s[26:27], s[4:5]
	s_xor_b64 s[4:5], exec, s[26:27]
; %bb.45:                               ;   in Loop: Header=BB359_13 Depth=1
	v_bfe_u32 v1, v0, 16, 1
	v_add3_u32 v0, v0, v1, s30
	v_accvgpr_write_b32 a58, v0
                                        ; implicit-def: $vgpr0
; %bb.46:                               ;   in Loop: Header=BB359_13 Depth=1
	s_andn2_saveexec_b64 s[26:27], s[4:5]
; %bb.47:                               ;   in Loop: Header=BB359_13 Depth=1
	v_or_b32_e32 v1, 0x10000, v0
	v_cmp_eq_u32_sdwa s[4:5], v0, v47 src0_sel:WORD_0 src1_sel:DWORD
	s_nop 1
	v_cndmask_b32_e64 v0, v1, v0, s[4:5]
	v_accvgpr_write_b32 a58, v0
; %bb.48:                               ;   in Loop: Header=BB359_13 Depth=1
	s_or_b64 exec, exec, s[26:27]
	flat_load_dword v0, v[60:61] offset:512
                                        ; implicit-def: $agpr59
	s_waitcnt vmcnt(0) lgkmcnt(0)
	v_and_b32_e32 v1, 0xff, v0
	v_cvt_f32_fp8_sdwa v1, v1 src0_sel:BYTE_0
	s_nop 0
	v_mul_f32_e32 v1, v10, v1
	v_and_b32_e32 v2, 0x7f800000, v1
	v_cmp_ne_u32_e64 s[4:5], s29, v2
	s_and_saveexec_b64 s[26:27], s[4:5]
	s_xor_b64 s[4:5], exec, s[26:27]
; %bb.49:                               ;   in Loop: Header=BB359_13 Depth=1
	v_bfe_u32 v2, v1, 16, 1
	v_add3_u32 v1, v1, v2, s30
	v_accvgpr_write_b32 a59, v1
                                        ; implicit-def: $vgpr1
; %bb.50:                               ;   in Loop: Header=BB359_13 Depth=1
	s_andn2_saveexec_b64 s[26:27], s[4:5]
; %bb.51:                               ;   in Loop: Header=BB359_13 Depth=1
	v_or_b32_e32 v2, 0x10000, v1
	v_cmp_eq_u32_sdwa s[4:5], v1, v47 src0_sel:WORD_0 src1_sel:DWORD
	s_nop 1
	v_cndmask_b32_e64 v1, v2, v1, s[4:5]
	v_accvgpr_write_b32 a59, v1
; %bb.52:                               ;   in Loop: Header=BB359_13 Depth=1
	s_or_b64 exec, exec, s[26:27]
	v_bfe_u32 v1, v0, 8, 8
	v_cvt_f32_fp8_sdwa v1, v1 src0_sel:BYTE_0
                                        ; implicit-def: $agpr60
	s_nop 0
	v_mul_f32_e32 v1, v10, v1
	v_and_b32_e32 v2, 0x7f800000, v1
	v_cmp_ne_u32_e64 s[4:5], s29, v2
	s_and_saveexec_b64 s[26:27], s[4:5]
	s_xor_b64 s[4:5], exec, s[26:27]
; %bb.53:                               ;   in Loop: Header=BB359_13 Depth=1
	v_bfe_u32 v2, v1, 16, 1
	v_add3_u32 v1, v1, v2, s30
	v_accvgpr_write_b32 a60, v1
                                        ; implicit-def: $vgpr1
; %bb.54:                               ;   in Loop: Header=BB359_13 Depth=1
	s_andn2_saveexec_b64 s[26:27], s[4:5]
; %bb.55:                               ;   in Loop: Header=BB359_13 Depth=1
	v_or_b32_e32 v2, 0x10000, v1
	v_cmp_eq_u32_sdwa s[4:5], v1, v47 src0_sel:WORD_0 src1_sel:DWORD
	s_nop 1
	v_cndmask_b32_e64 v1, v2, v1, s[4:5]
	v_accvgpr_write_b32 a60, v1
; %bb.56:                               ;   in Loop: Header=BB359_13 Depth=1
	s_or_b64 exec, exec, s[26:27]
	v_bfe_u32 v1, v0, 16, 8
	v_cvt_f32_fp8_sdwa v1, v1 src0_sel:BYTE_0
                                        ; implicit-def: $agpr61
	s_nop 0
	v_mul_f32_e32 v1, v10, v1
	v_and_b32_e32 v2, 0x7f800000, v1
	v_cmp_ne_u32_e64 s[4:5], s29, v2
	s_and_saveexec_b64 s[26:27], s[4:5]
	s_xor_b64 s[4:5], exec, s[26:27]
; %bb.57:                               ;   in Loop: Header=BB359_13 Depth=1
	v_bfe_u32 v2, v1, 16, 1
	v_add3_u32 v1, v1, v2, s30
	v_accvgpr_write_b32 a61, v1
                                        ; implicit-def: $vgpr1
; %bb.58:                               ;   in Loop: Header=BB359_13 Depth=1
	s_andn2_saveexec_b64 s[26:27], s[4:5]
; %bb.59:                               ;   in Loop: Header=BB359_13 Depth=1
	v_or_b32_e32 v2, 0x10000, v1
	v_cmp_eq_u32_sdwa s[4:5], v1, v47 src0_sel:WORD_0 src1_sel:DWORD
	s_nop 1
	v_cndmask_b32_e64 v1, v2, v1, s[4:5]
	v_accvgpr_write_b32 a61, v1
; %bb.60:                               ;   in Loop: Header=BB359_13 Depth=1
	s_or_b64 exec, exec, s[26:27]
	v_lshrrev_b32_e32 v0, 24, v0
	v_cvt_f32_fp8_sdwa v0, v0 src0_sel:BYTE_0
                                        ; implicit-def: $agpr62
	s_nop 0
	v_mul_f32_e32 v0, v10, v0
	v_and_b32_e32 v1, 0x7f800000, v0
	v_cmp_ne_u32_e64 s[4:5], s29, v1
	s_and_saveexec_b64 s[26:27], s[4:5]
	s_xor_b64 s[4:5], exec, s[26:27]
; %bb.61:                               ;   in Loop: Header=BB359_13 Depth=1
	v_bfe_u32 v1, v0, 16, 1
	v_add3_u32 v0, v0, v1, s30
	v_accvgpr_write_b32 a62, v0
                                        ; implicit-def: $vgpr0
; %bb.62:                               ;   in Loop: Header=BB359_13 Depth=1
	s_andn2_saveexec_b64 s[26:27], s[4:5]
; %bb.63:                               ;   in Loop: Header=BB359_13 Depth=1
	v_or_b32_e32 v1, 0x10000, v0
	v_cmp_eq_u32_sdwa s[4:5], v0, v47 src0_sel:WORD_0 src1_sel:DWORD
	s_nop 1
	v_cndmask_b32_e64 v0, v1, v0, s[4:5]
	v_accvgpr_write_b32 a62, v0
; %bb.64:                               ;   in Loop: Header=BB359_13 Depth=1
	s_or_b64 exec, exec, s[26:27]
	flat_load_dword v0, v[60:61] offset:520
                                        ; implicit-def: $agpr63
	s_waitcnt vmcnt(0) lgkmcnt(0)
	v_and_b32_e32 v1, 0xff, v0
	v_cvt_f32_fp8_sdwa v1, v1 src0_sel:BYTE_0
	s_nop 0
	v_mul_f32_e32 v1, v10, v1
	v_and_b32_e32 v2, 0x7f800000, v1
	v_cmp_ne_u32_e64 s[4:5], s29, v2
	s_and_saveexec_b64 s[26:27], s[4:5]
	s_xor_b64 s[4:5], exec, s[26:27]
; %bb.65:                               ;   in Loop: Header=BB359_13 Depth=1
	v_bfe_u32 v2, v1, 16, 1
	v_add3_u32 v1, v1, v2, s30
	v_accvgpr_write_b32 a63, v1
                                        ; implicit-def: $vgpr1
; %bb.66:                               ;   in Loop: Header=BB359_13 Depth=1
	s_andn2_saveexec_b64 s[26:27], s[4:5]
; %bb.67:                               ;   in Loop: Header=BB359_13 Depth=1
	v_or_b32_e32 v2, 0x10000, v1
	v_cmp_eq_u32_sdwa s[4:5], v1, v47 src0_sel:WORD_0 src1_sel:DWORD
	s_nop 1
	v_cndmask_b32_e64 v1, v2, v1, s[4:5]
	v_accvgpr_write_b32 a63, v1
; %bb.68:                               ;   in Loop: Header=BB359_13 Depth=1
	s_or_b64 exec, exec, s[26:27]
	v_bfe_u32 v1, v0, 8, 8
	v_cvt_f32_fp8_sdwa v1, v1 src0_sel:BYTE_0
                                        ; implicit-def: $agpr27
	s_nop 0
	v_mul_f32_e32 v1, v10, v1
	v_and_b32_e32 v2, 0x7f800000, v1
	v_cmp_ne_u32_e64 s[4:5], s29, v2
	s_and_saveexec_b64 s[26:27], s[4:5]
	s_xor_b64 s[4:5], exec, s[26:27]
; %bb.69:                               ;   in Loop: Header=BB359_13 Depth=1
	v_bfe_u32 v2, v1, 16, 1
	v_add3_u32 v1, v1, v2, s30
	v_accvgpr_write_b32 a27, v1
                                        ; implicit-def: $vgpr1
; %bb.70:                               ;   in Loop: Header=BB359_13 Depth=1
	s_andn2_saveexec_b64 s[26:27], s[4:5]
; %bb.71:                               ;   in Loop: Header=BB359_13 Depth=1
	v_or_b32_e32 v2, 0x10000, v1
	v_cmp_eq_u32_sdwa s[4:5], v1, v47 src0_sel:WORD_0 src1_sel:DWORD
	s_nop 1
	v_cndmask_b32_e64 v1, v2, v1, s[4:5]
	v_accvgpr_write_b32 a27, v1
; %bb.72:                               ;   in Loop: Header=BB359_13 Depth=1
	s_or_b64 exec, exec, s[26:27]
	v_bfe_u32 v1, v0, 16, 8
	v_cvt_f32_fp8_sdwa v1, v1 src0_sel:BYTE_0
                                        ; implicit-def: $agpr32
	s_nop 0
	v_mul_f32_e32 v1, v10, v1
	v_and_b32_e32 v2, 0x7f800000, v1
	v_cmp_ne_u32_e64 s[4:5], s29, v2
	s_and_saveexec_b64 s[26:27], s[4:5]
	s_xor_b64 s[4:5], exec, s[26:27]
; %bb.73:                               ;   in Loop: Header=BB359_13 Depth=1
	v_bfe_u32 v2, v1, 16, 1
	v_add3_u32 v1, v1, v2, s30
	v_accvgpr_write_b32 a32, v1
                                        ; implicit-def: $vgpr1
; %bb.74:                               ;   in Loop: Header=BB359_13 Depth=1
	s_andn2_saveexec_b64 s[26:27], s[4:5]
; %bb.75:                               ;   in Loop: Header=BB359_13 Depth=1
	v_or_b32_e32 v2, 0x10000, v1
	v_cmp_eq_u32_sdwa s[4:5], v1, v47 src0_sel:WORD_0 src1_sel:DWORD
	s_nop 1
	v_cndmask_b32_e64 v1, v2, v1, s[4:5]
	v_accvgpr_write_b32 a32, v1
; %bb.76:                               ;   in Loop: Header=BB359_13 Depth=1
	s_or_b64 exec, exec, s[26:27]
	v_lshrrev_b32_e32 v0, 24, v0
	v_cvt_f32_fp8_sdwa v0, v0 src0_sel:BYTE_0
                                        ; implicit-def: $agpr33
	s_nop 0
	v_mul_f32_e32 v0, v10, v0
	v_and_b32_e32 v1, 0x7f800000, v0
	v_cmp_ne_u32_e64 s[4:5], s29, v1
	s_and_saveexec_b64 s[26:27], s[4:5]
	s_xor_b64 s[4:5], exec, s[26:27]
; %bb.77:                               ;   in Loop: Header=BB359_13 Depth=1
	v_bfe_u32 v1, v0, 16, 1
	v_add3_u32 v0, v0, v1, s30
	v_accvgpr_write_b32 a33, v0
                                        ; implicit-def: $vgpr0
; %bb.78:                               ;   in Loop: Header=BB359_13 Depth=1
	s_andn2_saveexec_b64 s[26:27], s[4:5]
; %bb.79:                               ;   in Loop: Header=BB359_13 Depth=1
	v_or_b32_e32 v1, 0x10000, v0
	v_cmp_eq_u32_sdwa s[4:5], v0, v47 src0_sel:WORD_0 src1_sel:DWORD
	s_nop 1
	v_cndmask_b32_e64 v0, v1, v0, s[4:5]
	v_accvgpr_write_b32 a33, v0
; %bb.80:                               ;   in Loop: Header=BB359_13 Depth=1
	s_or_b64 exec, exec, s[26:27]
	flat_load_dword v0, v[60:61] offset:1024
                                        ; implicit-def: $agpr2
	s_waitcnt vmcnt(0) lgkmcnt(0)
	v_and_b32_e32 v1, 0xff, v0
	v_cvt_f32_fp8_sdwa v1, v1 src0_sel:BYTE_0
	s_nop 0
	v_mul_f32_e32 v1, v10, v1
	v_and_b32_e32 v2, 0x7f800000, v1
	v_cmp_ne_u32_e64 s[4:5], s29, v2
	s_and_saveexec_b64 s[26:27], s[4:5]
	s_xor_b64 s[4:5], exec, s[26:27]
; %bb.81:                               ;   in Loop: Header=BB359_13 Depth=1
	v_bfe_u32 v2, v1, 16, 1
	v_add3_u32 v1, v1, v2, s30
	v_accvgpr_write_b32 a2, v1
                                        ; implicit-def: $vgpr1
; %bb.82:                               ;   in Loop: Header=BB359_13 Depth=1
	s_andn2_saveexec_b64 s[26:27], s[4:5]
; %bb.83:                               ;   in Loop: Header=BB359_13 Depth=1
	v_or_b32_e32 v2, 0x10000, v1
	v_cmp_eq_u32_sdwa s[4:5], v1, v47 src0_sel:WORD_0 src1_sel:DWORD
	s_nop 1
	v_cndmask_b32_e64 v1, v2, v1, s[4:5]
	v_accvgpr_write_b32 a2, v1
; %bb.84:                               ;   in Loop: Header=BB359_13 Depth=1
	s_or_b64 exec, exec, s[26:27]
	v_bfe_u32 v1, v0, 8, 8
	v_cvt_f32_fp8_sdwa v1, v1 src0_sel:BYTE_0
                                        ; implicit-def: $agpr30
	s_nop 0
	v_mul_f32_e32 v1, v10, v1
	v_and_b32_e32 v2, 0x7f800000, v1
	v_cmp_ne_u32_e64 s[4:5], s29, v2
	s_and_saveexec_b64 s[26:27], s[4:5]
	s_xor_b64 s[4:5], exec, s[26:27]
; %bb.85:                               ;   in Loop: Header=BB359_13 Depth=1
	v_bfe_u32 v2, v1, 16, 1
	v_add3_u32 v1, v1, v2, s30
	v_accvgpr_write_b32 a30, v1
                                        ; implicit-def: $vgpr1
; %bb.86:                               ;   in Loop: Header=BB359_13 Depth=1
	s_andn2_saveexec_b64 s[26:27], s[4:5]
; %bb.87:                               ;   in Loop: Header=BB359_13 Depth=1
	v_or_b32_e32 v2, 0x10000, v1
	v_cmp_eq_u32_sdwa s[4:5], v1, v47 src0_sel:WORD_0 src1_sel:DWORD
	s_nop 1
	v_cndmask_b32_e64 v1, v2, v1, s[4:5]
	v_accvgpr_write_b32 a30, v1
; %bb.88:                               ;   in Loop: Header=BB359_13 Depth=1
	s_or_b64 exec, exec, s[26:27]
	v_bfe_u32 v1, v0, 16, 8
	v_cvt_f32_fp8_sdwa v1, v1 src0_sel:BYTE_0
                                        ; implicit-def: $agpr28
	s_nop 0
	v_mul_f32_e32 v1, v10, v1
	v_and_b32_e32 v2, 0x7f800000, v1
	v_cmp_ne_u32_e64 s[4:5], s29, v2
	s_and_saveexec_b64 s[26:27], s[4:5]
	s_xor_b64 s[4:5], exec, s[26:27]
; %bb.89:                               ;   in Loop: Header=BB359_13 Depth=1
	v_bfe_u32 v2, v1, 16, 1
	v_add3_u32 v1, v1, v2, s30
	v_accvgpr_write_b32 a28, v1
                                        ; implicit-def: $vgpr1
; %bb.90:                               ;   in Loop: Header=BB359_13 Depth=1
	s_andn2_saveexec_b64 s[26:27], s[4:5]
; %bb.91:                               ;   in Loop: Header=BB359_13 Depth=1
	v_or_b32_e32 v2, 0x10000, v1
	v_cmp_eq_u32_sdwa s[4:5], v1, v47 src0_sel:WORD_0 src1_sel:DWORD
	s_nop 1
	v_cndmask_b32_e64 v1, v2, v1, s[4:5]
	v_accvgpr_write_b32 a28, v1
; %bb.92:                               ;   in Loop: Header=BB359_13 Depth=1
	s_or_b64 exec, exec, s[26:27]
	v_lshrrev_b32_e32 v0, 24, v0
	v_cvt_f32_fp8_sdwa v0, v0 src0_sel:BYTE_0
                                        ; implicit-def: $agpr29
	s_nop 0
	v_mul_f32_e32 v0, v10, v0
	v_and_b32_e32 v1, 0x7f800000, v0
	v_cmp_ne_u32_e64 s[4:5], s29, v1
	s_and_saveexec_b64 s[26:27], s[4:5]
	s_xor_b64 s[4:5], exec, s[26:27]
; %bb.93:                               ;   in Loop: Header=BB359_13 Depth=1
	v_bfe_u32 v1, v0, 16, 1
	v_add3_u32 v0, v0, v1, s30
	v_accvgpr_write_b32 a29, v0
                                        ; implicit-def: $vgpr0
; %bb.94:                               ;   in Loop: Header=BB359_13 Depth=1
	s_andn2_saveexec_b64 s[26:27], s[4:5]
; %bb.95:                               ;   in Loop: Header=BB359_13 Depth=1
	v_or_b32_e32 v1, 0x10000, v0
	v_cmp_eq_u32_sdwa s[4:5], v0, v47 src0_sel:WORD_0 src1_sel:DWORD
	s_nop 1
	v_cndmask_b32_e64 v0, v1, v0, s[4:5]
	v_accvgpr_write_b32 a29, v0
; %bb.96:                               ;   in Loop: Header=BB359_13 Depth=1
	s_or_b64 exec, exec, s[26:27]
	flat_load_dword v0, v[60:61] offset:1032
                                        ; implicit-def: $agpr19
	s_waitcnt vmcnt(0) lgkmcnt(0)
	v_and_b32_e32 v1, 0xff, v0
	v_cvt_f32_fp8_sdwa v1, v1 src0_sel:BYTE_0
	s_nop 0
	v_mul_f32_e32 v1, v10, v1
	v_and_b32_e32 v2, 0x7f800000, v1
	v_cmp_ne_u32_e64 s[4:5], s29, v2
	s_and_saveexec_b64 s[26:27], s[4:5]
	s_xor_b64 s[4:5], exec, s[26:27]
; %bb.97:                               ;   in Loop: Header=BB359_13 Depth=1
	v_bfe_u32 v2, v1, 16, 1
	v_add3_u32 v1, v1, v2, s30
	v_accvgpr_write_b32 a19, v1
                                        ; implicit-def: $vgpr1
; %bb.98:                               ;   in Loop: Header=BB359_13 Depth=1
	s_andn2_saveexec_b64 s[26:27], s[4:5]
; %bb.99:                               ;   in Loop: Header=BB359_13 Depth=1
	v_or_b32_e32 v2, 0x10000, v1
	v_cmp_eq_u32_sdwa s[4:5], v1, v47 src0_sel:WORD_0 src1_sel:DWORD
	s_nop 1
	v_cndmask_b32_e64 v1, v2, v1, s[4:5]
	v_accvgpr_write_b32 a19, v1
; %bb.100:                              ;   in Loop: Header=BB359_13 Depth=1
	s_or_b64 exec, exec, s[26:27]
	v_bfe_u32 v1, v0, 8, 8
	v_cvt_f32_fp8_sdwa v1, v1 src0_sel:BYTE_0
                                        ; implicit-def: $agpr36
	s_nop 0
	v_mul_f32_e32 v1, v10, v1
	v_and_b32_e32 v2, 0x7f800000, v1
	v_cmp_ne_u32_e64 s[4:5], s29, v2
	s_and_saveexec_b64 s[26:27], s[4:5]
	s_xor_b64 s[4:5], exec, s[26:27]
; %bb.101:                              ;   in Loop: Header=BB359_13 Depth=1
	v_bfe_u32 v2, v1, 16, 1
	v_add3_u32 v1, v1, v2, s30
	v_accvgpr_write_b32 a36, v1
                                        ; implicit-def: $vgpr1
; %bb.102:                              ;   in Loop: Header=BB359_13 Depth=1
	s_andn2_saveexec_b64 s[26:27], s[4:5]
; %bb.103:                              ;   in Loop: Header=BB359_13 Depth=1
	v_or_b32_e32 v2, 0x10000, v1
	v_cmp_eq_u32_sdwa s[4:5], v1, v47 src0_sel:WORD_0 src1_sel:DWORD
	s_nop 1
	v_cndmask_b32_e64 v1, v2, v1, s[4:5]
	v_accvgpr_write_b32 a36, v1
; %bb.104:                              ;   in Loop: Header=BB359_13 Depth=1
	s_or_b64 exec, exec, s[26:27]
	v_bfe_u32 v1, v0, 16, 8
	v_cvt_f32_fp8_sdwa v1, v1 src0_sel:BYTE_0
                                        ; implicit-def: $agpr0
	s_nop 0
	v_mul_f32_e32 v1, v10, v1
	v_and_b32_e32 v2, 0x7f800000, v1
	v_cmp_ne_u32_e64 s[4:5], s29, v2
	s_and_saveexec_b64 s[26:27], s[4:5]
	s_xor_b64 s[4:5], exec, s[26:27]
; %bb.105:                              ;   in Loop: Header=BB359_13 Depth=1
	v_bfe_u32 v2, v1, 16, 1
	v_add3_u32 v1, v1, v2, s30
	v_accvgpr_write_b32 a0, v1
                                        ; implicit-def: $vgpr1
; %bb.106:                              ;   in Loop: Header=BB359_13 Depth=1
	s_andn2_saveexec_b64 s[26:27], s[4:5]
; %bb.107:                              ;   in Loop: Header=BB359_13 Depth=1
	v_or_b32_e32 v2, 0x10000, v1
	v_cmp_eq_u32_sdwa s[4:5], v1, v47 src0_sel:WORD_0 src1_sel:DWORD
	s_nop 1
	v_cndmask_b32_e64 v1, v2, v1, s[4:5]
	v_accvgpr_write_b32 a0, v1
; %bb.108:                              ;   in Loop: Header=BB359_13 Depth=1
	s_or_b64 exec, exec, s[26:27]
	v_lshrrev_b32_e32 v0, 24, v0
	v_cvt_f32_fp8_sdwa v0, v0 src0_sel:BYTE_0
                                        ; implicit-def: $agpr1
	s_nop 0
	v_mul_f32_e32 v0, v10, v0
	v_and_b32_e32 v1, 0x7f800000, v0
	v_cmp_ne_u32_e64 s[4:5], s29, v1
	s_and_saveexec_b64 s[26:27], s[4:5]
	s_xor_b64 s[4:5], exec, s[26:27]
; %bb.109:                              ;   in Loop: Header=BB359_13 Depth=1
	v_bfe_u32 v1, v0, 16, 1
	v_add3_u32 v0, v0, v1, s30
	v_accvgpr_write_b32 a1, v0
                                        ; implicit-def: $vgpr0
; %bb.110:                              ;   in Loop: Header=BB359_13 Depth=1
	s_andn2_saveexec_b64 s[26:27], s[4:5]
; %bb.111:                              ;   in Loop: Header=BB359_13 Depth=1
	v_or_b32_e32 v1, 0x10000, v0
	v_cmp_eq_u32_sdwa s[4:5], v0, v47 src0_sel:WORD_0 src1_sel:DWORD
	s_nop 1
	v_cndmask_b32_e64 v0, v1, v0, s[4:5]
	v_accvgpr_write_b32 a1, v0
; %bb.112:                              ;   in Loop: Header=BB359_13 Depth=1
	s_or_b64 exec, exec, s[26:27]
	flat_load_dword v0, v[60:61] offset:1536
                                        ; implicit-def: $agpr15
	s_waitcnt vmcnt(0) lgkmcnt(0)
	v_and_b32_e32 v1, 0xff, v0
	v_cvt_f32_fp8_sdwa v1, v1 src0_sel:BYTE_0
	s_nop 0
	v_mul_f32_e32 v1, v10, v1
	v_and_b32_e32 v2, 0x7f800000, v1
	v_cmp_ne_u32_e64 s[4:5], s29, v2
	s_and_saveexec_b64 s[26:27], s[4:5]
	s_xor_b64 s[4:5], exec, s[26:27]
; %bb.113:                              ;   in Loop: Header=BB359_13 Depth=1
	v_bfe_u32 v2, v1, 16, 1
	v_add3_u32 v1, v1, v2, s30
	v_accvgpr_write_b32 a15, v1
                                        ; implicit-def: $vgpr1
; %bb.114:                              ;   in Loop: Header=BB359_13 Depth=1
	s_andn2_saveexec_b64 s[26:27], s[4:5]
; %bb.115:                              ;   in Loop: Header=BB359_13 Depth=1
	v_or_b32_e32 v2, 0x10000, v1
	v_cmp_eq_u32_sdwa s[4:5], v1, v47 src0_sel:WORD_0 src1_sel:DWORD
	s_nop 1
	v_cndmask_b32_e64 v1, v2, v1, s[4:5]
	v_accvgpr_write_b32 a15, v1
; %bb.116:                              ;   in Loop: Header=BB359_13 Depth=1
	s_or_b64 exec, exec, s[26:27]
	v_bfe_u32 v1, v0, 8, 8
	v_cvt_f32_fp8_sdwa v1, v1 src0_sel:BYTE_0
                                        ; implicit-def: $agpr26
	s_nop 0
	v_mul_f32_e32 v1, v10, v1
	v_and_b32_e32 v2, 0x7f800000, v1
	v_cmp_ne_u32_e64 s[4:5], s29, v2
	s_and_saveexec_b64 s[26:27], s[4:5]
	s_xor_b64 s[4:5], exec, s[26:27]
; %bb.117:                              ;   in Loop: Header=BB359_13 Depth=1
	v_bfe_u32 v2, v1, 16, 1
	v_add3_u32 v1, v1, v2, s30
	v_accvgpr_write_b32 a26, v1
                                        ; implicit-def: $vgpr1
; %bb.118:                              ;   in Loop: Header=BB359_13 Depth=1
	s_andn2_saveexec_b64 s[26:27], s[4:5]
; %bb.119:                              ;   in Loop: Header=BB359_13 Depth=1
	v_or_b32_e32 v2, 0x10000, v1
	v_cmp_eq_u32_sdwa s[4:5], v1, v47 src0_sel:WORD_0 src1_sel:DWORD
	s_nop 1
	v_cndmask_b32_e64 v1, v2, v1, s[4:5]
	v_accvgpr_write_b32 a26, v1
; %bb.120:                              ;   in Loop: Header=BB359_13 Depth=1
	s_or_b64 exec, exec, s[26:27]
	v_bfe_u32 v1, v0, 16, 8
	v_cvt_f32_fp8_sdwa v1, v1 src0_sel:BYTE_0
                                        ; implicit-def: $agpr22
	s_nop 0
	v_mul_f32_e32 v1, v10, v1
	v_and_b32_e32 v2, 0x7f800000, v1
	v_cmp_ne_u32_e64 s[4:5], s29, v2
	s_and_saveexec_b64 s[26:27], s[4:5]
	s_xor_b64 s[4:5], exec, s[26:27]
; %bb.121:                              ;   in Loop: Header=BB359_13 Depth=1
	v_bfe_u32 v2, v1, 16, 1
	v_add3_u32 v1, v1, v2, s30
	v_accvgpr_write_b32 a22, v1
                                        ; implicit-def: $vgpr1
; %bb.122:                              ;   in Loop: Header=BB359_13 Depth=1
	s_andn2_saveexec_b64 s[26:27], s[4:5]
; %bb.123:                              ;   in Loop: Header=BB359_13 Depth=1
	v_or_b32_e32 v2, 0x10000, v1
	v_cmp_eq_u32_sdwa s[4:5], v1, v47 src0_sel:WORD_0 src1_sel:DWORD
	s_nop 1
	v_cndmask_b32_e64 v1, v2, v1, s[4:5]
	v_accvgpr_write_b32 a22, v1
; %bb.124:                              ;   in Loop: Header=BB359_13 Depth=1
	s_or_b64 exec, exec, s[26:27]
	v_lshrrev_b32_e32 v0, 24, v0
	v_cvt_f32_fp8_sdwa v0, v0 src0_sel:BYTE_0
                                        ; implicit-def: $agpr24
	s_nop 0
	v_mul_f32_e32 v0, v10, v0
	v_and_b32_e32 v1, 0x7f800000, v0
	v_cmp_ne_u32_e64 s[4:5], s29, v1
	s_and_saveexec_b64 s[26:27], s[4:5]
	s_xor_b64 s[4:5], exec, s[26:27]
; %bb.125:                              ;   in Loop: Header=BB359_13 Depth=1
	v_bfe_u32 v1, v0, 16, 1
	v_add3_u32 v0, v0, v1, s30
	v_accvgpr_write_b32 a24, v0
                                        ; implicit-def: $vgpr0
; %bb.126:                              ;   in Loop: Header=BB359_13 Depth=1
	s_andn2_saveexec_b64 s[26:27], s[4:5]
; %bb.127:                              ;   in Loop: Header=BB359_13 Depth=1
	v_or_b32_e32 v1, 0x10000, v0
	v_cmp_eq_u32_sdwa s[4:5], v0, v47 src0_sel:WORD_0 src1_sel:DWORD
	s_nop 1
	v_cndmask_b32_e64 v0, v1, v0, s[4:5]
	v_accvgpr_write_b32 a24, v0
; %bb.128:                              ;   in Loop: Header=BB359_13 Depth=1
	s_or_b64 exec, exec, s[26:27]
	flat_load_dword v0, v[60:61] offset:1544
                                        ; implicit-def: $agpr23
	s_waitcnt vmcnt(0) lgkmcnt(0)
	v_and_b32_e32 v1, 0xff, v0
	v_cvt_f32_fp8_sdwa v1, v1 src0_sel:BYTE_0
	s_nop 0
	v_mul_f32_e32 v1, v10, v1
	v_and_b32_e32 v2, 0x7f800000, v1
	v_cmp_ne_u32_e64 s[4:5], s29, v2
	s_and_saveexec_b64 s[26:27], s[4:5]
	s_xor_b64 s[4:5], exec, s[26:27]
; %bb.129:                              ;   in Loop: Header=BB359_13 Depth=1
	v_bfe_u32 v2, v1, 16, 1
	v_add3_u32 v1, v1, v2, s30
	v_accvgpr_write_b32 a23, v1
                                        ; implicit-def: $vgpr1
; %bb.130:                              ;   in Loop: Header=BB359_13 Depth=1
	s_andn2_saveexec_b64 s[26:27], s[4:5]
; %bb.131:                              ;   in Loop: Header=BB359_13 Depth=1
	v_or_b32_e32 v2, 0x10000, v1
	v_cmp_eq_u32_sdwa s[4:5], v1, v47 src0_sel:WORD_0 src1_sel:DWORD
	s_nop 1
	v_cndmask_b32_e64 v1, v2, v1, s[4:5]
	v_accvgpr_write_b32 a23, v1
; %bb.132:                              ;   in Loop: Header=BB359_13 Depth=1
	s_or_b64 exec, exec, s[26:27]
	v_bfe_u32 v1, v0, 8, 8
	v_cvt_f32_fp8_sdwa v1, v1 src0_sel:BYTE_0
                                        ; implicit-def: $agpr25
	s_nop 0
	v_mul_f32_e32 v1, v10, v1
	v_and_b32_e32 v2, 0x7f800000, v1
	v_cmp_ne_u32_e64 s[4:5], s29, v2
	s_and_saveexec_b64 s[26:27], s[4:5]
	s_xor_b64 s[4:5], exec, s[26:27]
; %bb.133:                              ;   in Loop: Header=BB359_13 Depth=1
	v_bfe_u32 v2, v1, 16, 1
	v_add3_u32 v1, v1, v2, s30
	v_accvgpr_write_b32 a25, v1
                                        ; implicit-def: $vgpr1
; %bb.134:                              ;   in Loop: Header=BB359_13 Depth=1
	s_andn2_saveexec_b64 s[26:27], s[4:5]
; %bb.135:                              ;   in Loop: Header=BB359_13 Depth=1
	v_or_b32_e32 v2, 0x10000, v1
	v_cmp_eq_u32_sdwa s[4:5], v1, v47 src0_sel:WORD_0 src1_sel:DWORD
	s_nop 1
	v_cndmask_b32_e64 v1, v2, v1, s[4:5]
	v_accvgpr_write_b32 a25, v1
; %bb.136:                              ;   in Loop: Header=BB359_13 Depth=1
	s_or_b64 exec, exec, s[26:27]
	v_bfe_u32 v1, v0, 16, 8
	v_cvt_f32_fp8_sdwa v1, v1 src0_sel:BYTE_0
                                        ; implicit-def: $agpr20
	s_nop 0
	v_mul_f32_e32 v1, v10, v1
	v_and_b32_e32 v2, 0x7f800000, v1
	v_cmp_ne_u32_e64 s[4:5], s29, v2
	s_and_saveexec_b64 s[26:27], s[4:5]
	s_xor_b64 s[4:5], exec, s[26:27]
; %bb.137:                              ;   in Loop: Header=BB359_13 Depth=1
	v_bfe_u32 v2, v1, 16, 1
	v_add3_u32 v1, v1, v2, s30
	v_accvgpr_write_b32 a20, v1
                                        ; implicit-def: $vgpr1
; %bb.138:                              ;   in Loop: Header=BB359_13 Depth=1
	s_andn2_saveexec_b64 s[26:27], s[4:5]
; %bb.139:                              ;   in Loop: Header=BB359_13 Depth=1
	v_or_b32_e32 v2, 0x10000, v1
	v_cmp_eq_u32_sdwa s[4:5], v1, v47 src0_sel:WORD_0 src1_sel:DWORD
	s_nop 1
	v_cndmask_b32_e64 v1, v2, v1, s[4:5]
	v_accvgpr_write_b32 a20, v1
; %bb.140:                              ;   in Loop: Header=BB359_13 Depth=1
	s_or_b64 exec, exec, s[26:27]
	v_lshrrev_b32_e32 v0, 24, v0
	v_cvt_f32_fp8_sdwa v0, v0 src0_sel:BYTE_0
                                        ; implicit-def: $agpr21
	s_nop 0
	v_mul_f32_e32 v0, v10, v0
	v_and_b32_e32 v1, 0x7f800000, v0
	v_cmp_ne_u32_e64 s[4:5], s29, v1
	s_and_saveexec_b64 s[26:27], s[4:5]
	s_xor_b64 s[4:5], exec, s[26:27]
; %bb.141:                              ;   in Loop: Header=BB359_13 Depth=1
	v_bfe_u32 v1, v0, 16, 1
	v_add3_u32 v0, v0, v1, s30
	v_accvgpr_write_b32 a21, v0
                                        ; implicit-def: $vgpr0
; %bb.142:                              ;   in Loop: Header=BB359_13 Depth=1
	s_andn2_saveexec_b64 s[26:27], s[4:5]
; %bb.143:                              ;   in Loop: Header=BB359_13 Depth=1
	v_or_b32_e32 v1, 0x10000, v0
	v_cmp_eq_u32_sdwa s[4:5], v0, v47 src0_sel:WORD_0 src1_sel:DWORD
	s_nop 1
	v_cndmask_b32_e64 v0, v1, v0, s[4:5]
	v_accvgpr_write_b32 a21, v0
; %bb.144:                              ;   in Loop: Header=BB359_13 Depth=1
	s_or_b64 exec, exec, s[26:27]
	flat_load_dword v0, v[60:61] offset:2048
                                        ; implicit-def: $agpr18
	s_waitcnt vmcnt(0) lgkmcnt(0)
	v_and_b32_e32 v1, 0xff, v0
	v_cvt_f32_fp8_sdwa v1, v1 src0_sel:BYTE_0
	s_nop 0
	v_mul_f32_e32 v1, v10, v1
	v_and_b32_e32 v2, 0x7f800000, v1
	v_cmp_ne_u32_e64 s[4:5], s29, v2
	s_and_saveexec_b64 s[26:27], s[4:5]
	s_xor_b64 s[4:5], exec, s[26:27]
; %bb.145:                              ;   in Loop: Header=BB359_13 Depth=1
	v_bfe_u32 v2, v1, 16, 1
	v_add3_u32 v1, v1, v2, s30
	v_accvgpr_write_b32 a18, v1
                                        ; implicit-def: $vgpr1
; %bb.146:                              ;   in Loop: Header=BB359_13 Depth=1
	s_andn2_saveexec_b64 s[26:27], s[4:5]
; %bb.147:                              ;   in Loop: Header=BB359_13 Depth=1
	v_or_b32_e32 v2, 0x10000, v1
	v_cmp_eq_u32_sdwa s[4:5], v1, v47 src0_sel:WORD_0 src1_sel:DWORD
	s_nop 1
	v_cndmask_b32_e64 v1, v2, v1, s[4:5]
	v_accvgpr_write_b32 a18, v1
; %bb.148:                              ;   in Loop: Header=BB359_13 Depth=1
	s_or_b64 exec, exec, s[26:27]
	v_bfe_u32 v1, v0, 8, 8
	v_cvt_f32_fp8_sdwa v1, v1 src0_sel:BYTE_0
                                        ; implicit-def: $agpr16
	s_nop 0
	v_mul_f32_e32 v1, v10, v1
	v_and_b32_e32 v2, 0x7f800000, v1
	v_cmp_ne_u32_e64 s[4:5], s29, v2
	s_and_saveexec_b64 s[26:27], s[4:5]
	s_xor_b64 s[4:5], exec, s[26:27]
; %bb.149:                              ;   in Loop: Header=BB359_13 Depth=1
	v_bfe_u32 v2, v1, 16, 1
	v_add3_u32 v1, v1, v2, s30
	v_accvgpr_write_b32 a16, v1
                                        ; implicit-def: $vgpr1
; %bb.150:                              ;   in Loop: Header=BB359_13 Depth=1
	s_andn2_saveexec_b64 s[26:27], s[4:5]
; %bb.151:                              ;   in Loop: Header=BB359_13 Depth=1
	v_or_b32_e32 v2, 0x10000, v1
	v_cmp_eq_u32_sdwa s[4:5], v1, v47 src0_sel:WORD_0 src1_sel:DWORD
	s_nop 1
	v_cndmask_b32_e64 v1, v2, v1, s[4:5]
	v_accvgpr_write_b32 a16, v1
; %bb.152:                              ;   in Loop: Header=BB359_13 Depth=1
	s_or_b64 exec, exec, s[26:27]
	v_bfe_u32 v1, v0, 16, 8
	v_cvt_f32_fp8_sdwa v1, v1 src0_sel:BYTE_0
                                        ; implicit-def: $agpr17
	s_nop 0
	v_mul_f32_e32 v1, v10, v1
	v_and_b32_e32 v2, 0x7f800000, v1
	v_cmp_ne_u32_e64 s[4:5], s29, v2
	s_and_saveexec_b64 s[26:27], s[4:5]
	s_xor_b64 s[4:5], exec, s[26:27]
; %bb.153:                              ;   in Loop: Header=BB359_13 Depth=1
	v_bfe_u32 v2, v1, 16, 1
	v_add3_u32 v1, v1, v2, s30
	v_accvgpr_write_b32 a17, v1
                                        ; implicit-def: $vgpr1
; %bb.154:                              ;   in Loop: Header=BB359_13 Depth=1
	s_andn2_saveexec_b64 s[26:27], s[4:5]
; %bb.155:                              ;   in Loop: Header=BB359_13 Depth=1
	v_or_b32_e32 v2, 0x10000, v1
	v_cmp_eq_u32_sdwa s[4:5], v1, v47 src0_sel:WORD_0 src1_sel:DWORD
	s_nop 1
	v_cndmask_b32_e64 v1, v2, v1, s[4:5]
	v_accvgpr_write_b32 a17, v1
; %bb.156:                              ;   in Loop: Header=BB359_13 Depth=1
	s_or_b64 exec, exec, s[26:27]
	v_lshrrev_b32_e32 v0, 24, v0
	v_cvt_f32_fp8_sdwa v0, v0 src0_sel:BYTE_0
                                        ; implicit-def: $agpr37
	s_nop 0
	v_mul_f32_e32 v0, v10, v0
	v_and_b32_e32 v1, 0x7f800000, v0
	v_cmp_ne_u32_e64 s[4:5], s29, v1
	s_and_saveexec_b64 s[26:27], s[4:5]
	s_xor_b64 s[4:5], exec, s[26:27]
; %bb.157:                              ;   in Loop: Header=BB359_13 Depth=1
	v_bfe_u32 v1, v0, 16, 1
	v_add3_u32 v0, v0, v1, s30
	v_accvgpr_write_b32 a37, v0
                                        ; implicit-def: $vgpr0
; %bb.158:                              ;   in Loop: Header=BB359_13 Depth=1
	s_andn2_saveexec_b64 s[26:27], s[4:5]
; %bb.159:                              ;   in Loop: Header=BB359_13 Depth=1
	v_or_b32_e32 v1, 0x10000, v0
	v_cmp_eq_u32_sdwa s[4:5], v0, v47 src0_sel:WORD_0 src1_sel:DWORD
	s_nop 1
	v_cndmask_b32_e64 v0, v1, v0, s[4:5]
	v_accvgpr_write_b32 a37, v0
; %bb.160:                              ;   in Loop: Header=BB359_13 Depth=1
	s_or_b64 exec, exec, s[26:27]
	flat_load_dword v0, v[60:61] offset:2056
                                        ; implicit-def: $agpr43
	s_waitcnt vmcnt(0) lgkmcnt(0)
	v_and_b32_e32 v1, 0xff, v0
	v_cvt_f32_fp8_sdwa v1, v1 src0_sel:BYTE_0
	s_nop 0
	v_mul_f32_e32 v1, v10, v1
	v_and_b32_e32 v2, 0x7f800000, v1
	v_cmp_ne_u32_e64 s[4:5], s29, v2
	s_and_saveexec_b64 s[26:27], s[4:5]
	s_xor_b64 s[4:5], exec, s[26:27]
; %bb.161:                              ;   in Loop: Header=BB359_13 Depth=1
	v_bfe_u32 v2, v1, 16, 1
	v_add3_u32 v1, v1, v2, s30
	v_accvgpr_write_b32 a43, v1
                                        ; implicit-def: $vgpr1
; %bb.162:                              ;   in Loop: Header=BB359_13 Depth=1
	s_andn2_saveexec_b64 s[26:27], s[4:5]
; %bb.163:                              ;   in Loop: Header=BB359_13 Depth=1
	v_or_b32_e32 v2, 0x10000, v1
	v_cmp_eq_u32_sdwa s[4:5], v1, v47 src0_sel:WORD_0 src1_sel:DWORD
	s_nop 1
	v_cndmask_b32_e64 v1, v2, v1, s[4:5]
	v_accvgpr_write_b32 a43, v1
; %bb.164:                              ;   in Loop: Header=BB359_13 Depth=1
	s_or_b64 exec, exec, s[26:27]
	v_bfe_u32 v1, v0, 8, 8
	v_cvt_f32_fp8_sdwa v1, v1 src0_sel:BYTE_0
                                        ; implicit-def: $agpr44
	s_nop 0
	v_mul_f32_e32 v1, v10, v1
	v_and_b32_e32 v2, 0x7f800000, v1
	v_cmp_ne_u32_e64 s[4:5], s29, v2
	s_and_saveexec_b64 s[26:27], s[4:5]
	s_xor_b64 s[4:5], exec, s[26:27]
; %bb.165:                              ;   in Loop: Header=BB359_13 Depth=1
	v_bfe_u32 v2, v1, 16, 1
	v_add3_u32 v1, v1, v2, s30
	v_accvgpr_write_b32 a44, v1
                                        ; implicit-def: $vgpr1
; %bb.166:                              ;   in Loop: Header=BB359_13 Depth=1
	s_andn2_saveexec_b64 s[26:27], s[4:5]
; %bb.167:                              ;   in Loop: Header=BB359_13 Depth=1
	v_or_b32_e32 v2, 0x10000, v1
	v_cmp_eq_u32_sdwa s[4:5], v1, v47 src0_sel:WORD_0 src1_sel:DWORD
	s_nop 1
	v_cndmask_b32_e64 v1, v2, v1, s[4:5]
	v_accvgpr_write_b32 a44, v1
; %bb.168:                              ;   in Loop: Header=BB359_13 Depth=1
	s_or_b64 exec, exec, s[26:27]
	v_bfe_u32 v1, v0, 16, 8
	v_cvt_f32_fp8_sdwa v1, v1 src0_sel:BYTE_0
                                        ; implicit-def: $agpr8
	s_nop 0
	v_mul_f32_e32 v1, v10, v1
	v_and_b32_e32 v2, 0x7f800000, v1
	v_cmp_ne_u32_e64 s[4:5], s29, v2
	s_and_saveexec_b64 s[26:27], s[4:5]
	s_xor_b64 s[4:5], exec, s[26:27]
; %bb.169:                              ;   in Loop: Header=BB359_13 Depth=1
	v_bfe_u32 v2, v1, 16, 1
	v_add3_u32 v1, v1, v2, s30
	v_accvgpr_write_b32 a8, v1
                                        ; implicit-def: $vgpr1
; %bb.170:                              ;   in Loop: Header=BB359_13 Depth=1
	s_andn2_saveexec_b64 s[26:27], s[4:5]
; %bb.171:                              ;   in Loop: Header=BB359_13 Depth=1
	v_or_b32_e32 v2, 0x10000, v1
	v_cmp_eq_u32_sdwa s[4:5], v1, v47 src0_sel:WORD_0 src1_sel:DWORD
	s_nop 1
	v_cndmask_b32_e64 v1, v2, v1, s[4:5]
	v_accvgpr_write_b32 a8, v1
; %bb.172:                              ;   in Loop: Header=BB359_13 Depth=1
	s_or_b64 exec, exec, s[26:27]
	v_lshrrev_b32_e32 v0, 24, v0
	v_cvt_f32_fp8_sdwa v0, v0 src0_sel:BYTE_0
                                        ; implicit-def: $agpr14
	s_nop 0
	v_mul_f32_e32 v0, v10, v0
	v_and_b32_e32 v1, 0x7f800000, v0
	v_cmp_ne_u32_e64 s[4:5], s29, v1
	s_and_saveexec_b64 s[26:27], s[4:5]
	s_xor_b64 s[4:5], exec, s[26:27]
; %bb.173:                              ;   in Loop: Header=BB359_13 Depth=1
	v_bfe_u32 v1, v0, 16, 1
	v_add3_u32 v0, v0, v1, s30
	v_accvgpr_write_b32 a14, v0
                                        ; implicit-def: $vgpr0
; %bb.174:                              ;   in Loop: Header=BB359_13 Depth=1
	s_andn2_saveexec_b64 s[26:27], s[4:5]
; %bb.175:                              ;   in Loop: Header=BB359_13 Depth=1
	v_or_b32_e32 v1, 0x10000, v0
	v_cmp_eq_u32_sdwa s[4:5], v0, v47 src0_sel:WORD_0 src1_sel:DWORD
	s_nop 1
	v_cndmask_b32_e64 v0, v1, v0, s[4:5]
	v_accvgpr_write_b32 a14, v0
; %bb.176:                              ;   in Loop: Header=BB359_13 Depth=1
	s_or_b64 exec, exec, s[26:27]
	flat_load_dword v0, v[60:61] offset:2560
                                        ; implicit-def: $agpr7
	s_waitcnt vmcnt(0) lgkmcnt(0)
	v_and_b32_e32 v1, 0xff, v0
	v_cvt_f32_fp8_sdwa v1, v1 src0_sel:BYTE_0
	s_nop 0
	v_mul_f32_e32 v1, v10, v1
	v_and_b32_e32 v2, 0x7f800000, v1
	v_cmp_ne_u32_e64 s[4:5], s29, v2
	s_and_saveexec_b64 s[26:27], s[4:5]
	s_xor_b64 s[4:5], exec, s[26:27]
; %bb.177:                              ;   in Loop: Header=BB359_13 Depth=1
	v_bfe_u32 v2, v1, 16, 1
	v_add3_u32 v1, v1, v2, s30
	v_accvgpr_write_b32 a7, v1
                                        ; implicit-def: $vgpr1
; %bb.178:                              ;   in Loop: Header=BB359_13 Depth=1
	s_andn2_saveexec_b64 s[26:27], s[4:5]
; %bb.179:                              ;   in Loop: Header=BB359_13 Depth=1
	v_or_b32_e32 v2, 0x10000, v1
	v_cmp_eq_u32_sdwa s[4:5], v1, v47 src0_sel:WORD_0 src1_sel:DWORD
	s_nop 1
	v_cndmask_b32_e64 v1, v2, v1, s[4:5]
	v_accvgpr_write_b32 a7, v1
; %bb.180:                              ;   in Loop: Header=BB359_13 Depth=1
	s_or_b64 exec, exec, s[26:27]
	v_bfe_u32 v1, v0, 8, 8
	v_cvt_f32_fp8_sdwa v1, v1 src0_sel:BYTE_0
                                        ; implicit-def: $agpr9
	s_nop 0
	v_mul_f32_e32 v1, v10, v1
	v_and_b32_e32 v2, 0x7f800000, v1
	v_cmp_ne_u32_e64 s[4:5], s29, v2
	s_and_saveexec_b64 s[26:27], s[4:5]
	s_xor_b64 s[4:5], exec, s[26:27]
; %bb.181:                              ;   in Loop: Header=BB359_13 Depth=1
	v_bfe_u32 v2, v1, 16, 1
	v_add3_u32 v1, v1, v2, s30
	v_accvgpr_write_b32 a9, v1
                                        ; implicit-def: $vgpr1
; %bb.182:                              ;   in Loop: Header=BB359_13 Depth=1
	s_andn2_saveexec_b64 s[26:27], s[4:5]
; %bb.183:                              ;   in Loop: Header=BB359_13 Depth=1
	v_or_b32_e32 v2, 0x10000, v1
	v_cmp_eq_u32_sdwa s[4:5], v1, v47 src0_sel:WORD_0 src1_sel:DWORD
	s_nop 1
	v_cndmask_b32_e64 v1, v2, v1, s[4:5]
	v_accvgpr_write_b32 a9, v1
; %bb.184:                              ;   in Loop: Header=BB359_13 Depth=1
	s_or_b64 exec, exec, s[26:27]
	v_bfe_u32 v1, v0, 16, 8
	v_cvt_f32_fp8_sdwa v1, v1 src0_sel:BYTE_0
                                        ; implicit-def: $agpr11
	s_nop 0
	v_mul_f32_e32 v1, v10, v1
	v_and_b32_e32 v2, 0x7f800000, v1
	v_cmp_ne_u32_e64 s[4:5], s29, v2
	s_and_saveexec_b64 s[26:27], s[4:5]
	s_xor_b64 s[4:5], exec, s[26:27]
; %bb.185:                              ;   in Loop: Header=BB359_13 Depth=1
	v_bfe_u32 v2, v1, 16, 1
	v_add3_u32 v1, v1, v2, s30
	v_accvgpr_write_b32 a11, v1
                                        ; implicit-def: $vgpr1
; %bb.186:                              ;   in Loop: Header=BB359_13 Depth=1
	s_andn2_saveexec_b64 s[26:27], s[4:5]
; %bb.187:                              ;   in Loop: Header=BB359_13 Depth=1
	v_or_b32_e32 v2, 0x10000, v1
	v_cmp_eq_u32_sdwa s[4:5], v1, v47 src0_sel:WORD_0 src1_sel:DWORD
	s_nop 1
	v_cndmask_b32_e64 v1, v2, v1, s[4:5]
	v_accvgpr_write_b32 a11, v1
; %bb.188:                              ;   in Loop: Header=BB359_13 Depth=1
	s_or_b64 exec, exec, s[26:27]
	v_lshrrev_b32_e32 v0, 24, v0
	v_cvt_f32_fp8_sdwa v0, v0 src0_sel:BYTE_0
                                        ; implicit-def: $agpr4
	s_nop 0
	v_mul_f32_e32 v0, v10, v0
	v_and_b32_e32 v1, 0x7f800000, v0
	v_cmp_ne_u32_e64 s[4:5], s29, v1
	s_and_saveexec_b64 s[26:27], s[4:5]
	s_xor_b64 s[4:5], exec, s[26:27]
; %bb.189:                              ;   in Loop: Header=BB359_13 Depth=1
	v_bfe_u32 v1, v0, 16, 1
	v_add3_u32 v0, v0, v1, s30
	v_accvgpr_write_b32 a4, v0
                                        ; implicit-def: $vgpr0
; %bb.190:                              ;   in Loop: Header=BB359_13 Depth=1
	s_andn2_saveexec_b64 s[26:27], s[4:5]
; %bb.191:                              ;   in Loop: Header=BB359_13 Depth=1
	v_or_b32_e32 v1, 0x10000, v0
	v_cmp_eq_u32_sdwa s[4:5], v0, v47 src0_sel:WORD_0 src1_sel:DWORD
	s_nop 1
	v_cndmask_b32_e64 v0, v1, v0, s[4:5]
	v_accvgpr_write_b32 a4, v0
; %bb.192:                              ;   in Loop: Header=BB359_13 Depth=1
	s_or_b64 exec, exec, s[26:27]
	flat_load_dword v0, v[60:61] offset:2568
                                        ; implicit-def: $agpr5
	s_waitcnt vmcnt(0) lgkmcnt(0)
	v_and_b32_e32 v1, 0xff, v0
	v_cvt_f32_fp8_sdwa v1, v1 src0_sel:BYTE_0
	s_nop 0
	v_mul_f32_e32 v1, v10, v1
	v_and_b32_e32 v2, 0x7f800000, v1
	v_cmp_ne_u32_e64 s[4:5], s29, v2
	s_and_saveexec_b64 s[26:27], s[4:5]
	s_xor_b64 s[4:5], exec, s[26:27]
; %bb.193:                              ;   in Loop: Header=BB359_13 Depth=1
	v_bfe_u32 v2, v1, 16, 1
	v_add3_u32 v1, v1, v2, s30
	v_accvgpr_write_b32 a5, v1
                                        ; implicit-def: $vgpr1
; %bb.194:                              ;   in Loop: Header=BB359_13 Depth=1
	s_andn2_saveexec_b64 s[26:27], s[4:5]
; %bb.195:                              ;   in Loop: Header=BB359_13 Depth=1
	v_or_b32_e32 v2, 0x10000, v1
	v_cmp_eq_u32_sdwa s[4:5], v1, v47 src0_sel:WORD_0 src1_sel:DWORD
	s_nop 1
	v_cndmask_b32_e64 v1, v2, v1, s[4:5]
	v_accvgpr_write_b32 a5, v1
; %bb.196:                              ;   in Loop: Header=BB359_13 Depth=1
	s_or_b64 exec, exec, s[26:27]
	v_bfe_u32 v1, v0, 8, 8
	v_cvt_f32_fp8_sdwa v1, v1 src0_sel:BYTE_0
                                        ; implicit-def: $agpr6
	s_nop 0
	v_mul_f32_e32 v1, v10, v1
	v_and_b32_e32 v2, 0x7f800000, v1
	v_cmp_ne_u32_e64 s[4:5], s29, v2
	s_and_saveexec_b64 s[26:27], s[4:5]
	s_xor_b64 s[4:5], exec, s[26:27]
; %bb.197:                              ;   in Loop: Header=BB359_13 Depth=1
	v_bfe_u32 v2, v1, 16, 1
	v_add3_u32 v1, v1, v2, s30
	v_accvgpr_write_b32 a6, v1
                                        ; implicit-def: $vgpr1
; %bb.198:                              ;   in Loop: Header=BB359_13 Depth=1
	s_andn2_saveexec_b64 s[26:27], s[4:5]
; %bb.199:                              ;   in Loop: Header=BB359_13 Depth=1
	v_or_b32_e32 v2, 0x10000, v1
	v_cmp_eq_u32_sdwa s[4:5], v1, v47 src0_sel:WORD_0 src1_sel:DWORD
	s_nop 1
	v_cndmask_b32_e64 v1, v2, v1, s[4:5]
	v_accvgpr_write_b32 a6, v1
; %bb.200:                              ;   in Loop: Header=BB359_13 Depth=1
	s_or_b64 exec, exec, s[26:27]
	v_bfe_u32 v1, v0, 16, 8
	v_cvt_f32_fp8_sdwa v1, v1 src0_sel:BYTE_0
                                        ; implicit-def: $agpr31
	s_nop 0
	v_mul_f32_e32 v1, v10, v1
	v_and_b32_e32 v2, 0x7f800000, v1
	v_cmp_ne_u32_e64 s[4:5], s29, v2
	s_and_saveexec_b64 s[26:27], s[4:5]
	s_xor_b64 s[4:5], exec, s[26:27]
; %bb.201:                              ;   in Loop: Header=BB359_13 Depth=1
	v_bfe_u32 v2, v1, 16, 1
	v_add3_u32 v1, v1, v2, s30
	v_accvgpr_write_b32 a31, v1
                                        ; implicit-def: $vgpr1
; %bb.202:                              ;   in Loop: Header=BB359_13 Depth=1
	s_andn2_saveexec_b64 s[26:27], s[4:5]
; %bb.203:                              ;   in Loop: Header=BB359_13 Depth=1
	v_or_b32_e32 v2, 0x10000, v1
	v_cmp_eq_u32_sdwa s[4:5], v1, v47 src0_sel:WORD_0 src1_sel:DWORD
	s_nop 1
	v_cndmask_b32_e64 v1, v2, v1, s[4:5]
	v_accvgpr_write_b32 a31, v1
; %bb.204:                              ;   in Loop: Header=BB359_13 Depth=1
	s_or_b64 exec, exec, s[26:27]
	v_lshrrev_b32_e32 v0, 24, v0
	v_cvt_f32_fp8_sdwa v0, v0 src0_sel:BYTE_0
                                        ; implicit-def: $agpr40
	s_nop 0
	v_mul_f32_e32 v0, v10, v0
	v_and_b32_e32 v1, 0x7f800000, v0
	v_cmp_ne_u32_e64 s[4:5], s29, v1
	s_and_saveexec_b64 s[26:27], s[4:5]
	s_xor_b64 s[4:5], exec, s[26:27]
; %bb.205:                              ;   in Loop: Header=BB359_13 Depth=1
	v_bfe_u32 v1, v0, 16, 1
	v_add3_u32 v0, v0, v1, s30
	v_accvgpr_write_b32 a40, v0
                                        ; implicit-def: $vgpr0
; %bb.206:                              ;   in Loop: Header=BB359_13 Depth=1
	s_andn2_saveexec_b64 s[26:27], s[4:5]
; %bb.207:                              ;   in Loop: Header=BB359_13 Depth=1
	v_or_b32_e32 v1, 0x10000, v0
	v_cmp_eq_u32_sdwa s[4:5], v0, v47 src0_sel:WORD_0 src1_sel:DWORD
	s_nop 1
	v_cndmask_b32_e64 v0, v1, v0, s[4:5]
	v_accvgpr_write_b32 a40, v0
; %bb.208:                              ;   in Loop: Header=BB359_13 Depth=1
	s_or_b64 exec, exec, s[26:27]
	flat_load_dword v0, v[60:61] offset:3072
                                        ; implicit-def: $agpr38
	s_waitcnt vmcnt(0) lgkmcnt(0)
	v_and_b32_e32 v1, 0xff, v0
	v_cvt_f32_fp8_sdwa v1, v1 src0_sel:BYTE_0
	s_nop 0
	v_mul_f32_e32 v1, v10, v1
	v_and_b32_e32 v2, 0x7f800000, v1
	v_cmp_ne_u32_e64 s[4:5], s29, v2
	s_and_saveexec_b64 s[26:27], s[4:5]
	s_xor_b64 s[4:5], exec, s[26:27]
; %bb.209:                              ;   in Loop: Header=BB359_13 Depth=1
	v_bfe_u32 v2, v1, 16, 1
	v_add3_u32 v1, v1, v2, s30
	v_accvgpr_write_b32 a38, v1
                                        ; implicit-def: $vgpr1
; %bb.210:                              ;   in Loop: Header=BB359_13 Depth=1
	s_andn2_saveexec_b64 s[26:27], s[4:5]
; %bb.211:                              ;   in Loop: Header=BB359_13 Depth=1
	v_or_b32_e32 v2, 0x10000, v1
	v_cmp_eq_u32_sdwa s[4:5], v1, v47 src0_sel:WORD_0 src1_sel:DWORD
	s_nop 1
	v_cndmask_b32_e64 v1, v2, v1, s[4:5]
	v_accvgpr_write_b32 a38, v1
; %bb.212:                              ;   in Loop: Header=BB359_13 Depth=1
	s_or_b64 exec, exec, s[26:27]
	v_bfe_u32 v1, v0, 8, 8
	v_cvt_f32_fp8_sdwa v1, v1 src0_sel:BYTE_0
                                        ; implicit-def: $agpr39
	s_nop 0
	v_mul_f32_e32 v1, v10, v1
	v_and_b32_e32 v2, 0x7f800000, v1
	v_cmp_ne_u32_e64 s[4:5], s29, v2
	s_and_saveexec_b64 s[26:27], s[4:5]
	s_xor_b64 s[4:5], exec, s[26:27]
; %bb.213:                              ;   in Loop: Header=BB359_13 Depth=1
	v_bfe_u32 v2, v1, 16, 1
	v_add3_u32 v1, v1, v2, s30
	v_accvgpr_write_b32 a39, v1
                                        ; implicit-def: $vgpr1
; %bb.214:                              ;   in Loop: Header=BB359_13 Depth=1
	s_andn2_saveexec_b64 s[26:27], s[4:5]
; %bb.215:                              ;   in Loop: Header=BB359_13 Depth=1
	v_or_b32_e32 v2, 0x10000, v1
	v_cmp_eq_u32_sdwa s[4:5], v1, v47 src0_sel:WORD_0 src1_sel:DWORD
	s_nop 1
	v_cndmask_b32_e64 v1, v2, v1, s[4:5]
	v_accvgpr_write_b32 a39, v1
; %bb.216:                              ;   in Loop: Header=BB359_13 Depth=1
	s_or_b64 exec, exec, s[26:27]
	v_bfe_u32 v1, v0, 16, 8
	v_cvt_f32_fp8_sdwa v1, v1 src0_sel:BYTE_0
                                        ; implicit-def: $agpr34
	s_nop 0
	v_mul_f32_e32 v2, v10, v1
	v_and_b32_e32 v1, 0x7f800000, v2
	v_cmp_ne_u32_e64 s[4:5], s29, v1
	s_and_saveexec_b64 s[26:27], s[4:5]
	s_xor_b64 s[4:5], exec, s[26:27]
; %bb.217:                              ;   in Loop: Header=BB359_13 Depth=1
	v_bfe_u32 v1, v2, 16, 1
	v_add3_u32 v1, v2, v1, s30
	v_accvgpr_write_b32 a34, v1
                                        ; implicit-def: $vgpr2
; %bb.218:                              ;   in Loop: Header=BB359_13 Depth=1
	s_andn2_saveexec_b64 s[26:27], s[4:5]
; %bb.219:                              ;   in Loop: Header=BB359_13 Depth=1
	v_or_b32_e32 v1, 0x10000, v2
	v_cmp_eq_u32_sdwa s[4:5], v2, v47 src0_sel:WORD_0 src1_sel:DWORD
	s_nop 1
	v_cndmask_b32_e64 v1, v1, v2, s[4:5]
	v_accvgpr_write_b32 a34, v1
; %bb.220:                              ;   in Loop: Header=BB359_13 Depth=1
	s_or_b64 exec, exec, s[26:27]
	v_lshrrev_b32_e32 v0, 24, v0
	v_cvt_f32_fp8_sdwa v0, v0 src0_sel:BYTE_0
                                        ; implicit-def: $agpr35
	s_nop 0
	v_mul_f32_e32 v0, v10, v0
	v_and_b32_e32 v2, 0x7f800000, v0
	v_cmp_ne_u32_e64 s[4:5], s29, v2
	s_and_saveexec_b64 s[26:27], s[4:5]
	s_xor_b64 s[4:5], exec, s[26:27]
; %bb.221:                              ;   in Loop: Header=BB359_13 Depth=1
	v_bfe_u32 v2, v0, 16, 1
	v_add3_u32 v0, v0, v2, s30
	v_accvgpr_write_b32 a35, v0
                                        ; implicit-def: $vgpr0
; %bb.222:                              ;   in Loop: Header=BB359_13 Depth=1
	s_andn2_saveexec_b64 s[26:27], s[4:5]
; %bb.223:                              ;   in Loop: Header=BB359_13 Depth=1
	v_or_b32_e32 v2, 0x10000, v0
	v_cmp_eq_u32_sdwa s[4:5], v0, v47 src0_sel:WORD_0 src1_sel:DWORD
	s_nop 1
	v_cndmask_b32_e64 v0, v2, v0, s[4:5]
	v_accvgpr_write_b32 a35, v0
; %bb.224:                              ;   in Loop: Header=BB359_13 Depth=1
	s_or_b64 exec, exec, s[26:27]
	flat_load_dword v13, v[60:61] offset:3080
                                        ; implicit-def: $agpr10
	s_waitcnt vmcnt(0) lgkmcnt(0)
	v_and_b32_e32 v0, 0xff, v13
	v_cvt_f32_fp8_sdwa v0, v0 src0_sel:BYTE_0
	s_nop 0
	v_mul_f32_e32 v2, v10, v0
	v_and_b32_e32 v0, 0x7f800000, v2
	v_cmp_ne_u32_e64 s[4:5], s29, v0
	s_and_saveexec_b64 s[26:27], s[4:5]
	s_xor_b64 s[4:5], exec, s[26:27]
; %bb.225:                              ;   in Loop: Header=BB359_13 Depth=1
	v_bfe_u32 v0, v2, 16, 1
	v_add3_u32 v0, v2, v0, s30
	v_accvgpr_write_b32 a10, v0
                                        ; implicit-def: $vgpr2
; %bb.226:                              ;   in Loop: Header=BB359_13 Depth=1
	s_andn2_saveexec_b64 s[26:27], s[4:5]
; %bb.227:                              ;   in Loop: Header=BB359_13 Depth=1
	v_or_b32_e32 v0, 0x10000, v2
	v_cmp_eq_u32_sdwa s[4:5], v2, v47 src0_sel:WORD_0 src1_sel:DWORD
	s_nop 1
	v_cndmask_b32_e64 v0, v0, v2, s[4:5]
	v_accvgpr_write_b32 a10, v0
; %bb.228:                              ;   in Loop: Header=BB359_13 Depth=1
	s_or_b64 exec, exec, s[26:27]
	v_bfe_u32 v2, v13, 8, 8
	v_cvt_f32_fp8_sdwa v2, v2 src0_sel:BYTE_0
                                        ; implicit-def: $vgpr18
	s_nop 0
	v_mul_f32_e32 v2, v10, v2
	v_and_b32_e32 v3, 0x7f800000, v2
	v_cmp_ne_u32_e64 s[4:5], s29, v3
	s_and_saveexec_b64 s[26:27], s[4:5]
	s_xor_b64 s[4:5], exec, s[26:27]
; %bb.229:                              ;   in Loop: Header=BB359_13 Depth=1
	v_bfe_u32 v3, v2, 16, 1
	v_add3_u32 v18, v2, v3, s30
                                        ; implicit-def: $vgpr2
; %bb.230:                              ;   in Loop: Header=BB359_13 Depth=1
	s_andn2_saveexec_b64 s[26:27], s[4:5]
; %bb.231:                              ;   in Loop: Header=BB359_13 Depth=1
	v_or_b32_e32 v3, 0x10000, v2
	v_cmp_eq_u32_sdwa s[4:5], v2, v47 src0_sel:WORD_0 src1_sel:DWORD
	s_nop 1
	v_cndmask_b32_e64 v18, v3, v2, s[4:5]
; %bb.232:                              ;   in Loop: Header=BB359_13 Depth=1
	s_or_b64 exec, exec, s[26:27]
	v_bfe_u32 v2, v13, 16, 8
	v_cvt_f32_fp8_sdwa v2, v2 src0_sel:BYTE_0
	s_nop 0
	v_mul_f32_e32 v14, v10, v2
	v_and_b32_e32 v2, 0x7f800000, v14
	v_cmp_ne_u32_e64 s[4:5], s29, v2
                                        ; implicit-def: $vgpr2
	s_and_saveexec_b64 s[26:27], s[4:5]
	s_xor_b64 s[4:5], exec, s[26:27]
; %bb.233:                              ;   in Loop: Header=BB359_13 Depth=1
	v_bfe_u32 v2, v14, 16, 1
	v_add3_u32 v2, v14, v2, s30
                                        ; implicit-def: $vgpr14
; %bb.234:                              ;   in Loop: Header=BB359_13 Depth=1
	s_andn2_saveexec_b64 s[26:27], s[4:5]
; %bb.235:                              ;   in Loop: Header=BB359_13 Depth=1
	v_or_b32_e32 v2, 0x10000, v14
	v_cmp_eq_u32_sdwa s[4:5], v14, v47 src0_sel:WORD_0 src1_sel:DWORD
	s_nop 1
	v_cndmask_b32_e64 v2, v2, v14, s[4:5]
; %bb.236:                              ;   in Loop: Header=BB359_13 Depth=1
	s_or_b64 exec, exec, s[26:27]
	v_lshrrev_b32_e32 v13, 24, v13
	v_cvt_f32_fp8_sdwa v13, v13 src0_sel:BYTE_0
                                        ; implicit-def: $vgpr15
	s_nop 0
	v_mul_f32_e32 v13, v10, v13
	v_and_b32_e32 v14, 0x7f800000, v13
	v_cmp_ne_u32_e64 s[4:5], s29, v14
	s_and_saveexec_b64 s[26:27], s[4:5]
	s_xor_b64 s[4:5], exec, s[26:27]
; %bb.237:                              ;   in Loop: Header=BB359_13 Depth=1
	v_bfe_u32 v14, v13, 16, 1
	v_add3_u32 v15, v13, v14, s30
                                        ; implicit-def: $vgpr13
; %bb.238:                              ;   in Loop: Header=BB359_13 Depth=1
	s_andn2_saveexec_b64 s[26:27], s[4:5]
; %bb.239:                              ;   in Loop: Header=BB359_13 Depth=1
	v_or_b32_e32 v14, 0x10000, v13
	v_cmp_eq_u32_sdwa s[4:5], v13, v47 src0_sel:WORD_0 src1_sel:DWORD
	s_nop 1
	v_cndmask_b32_e64 v15, v14, v13, s[4:5]
; %bb.240:                              ;   in Loop: Header=BB359_13 Depth=1
	s_or_b64 exec, exec, s[26:27]
	flat_load_dword v13, v[60:61] offset:3584
                                        ; implicit-def: $vgpr60
	s_waitcnt vmcnt(0) lgkmcnt(0)
	v_and_b32_e32 v14, 0xff, v13
	v_cvt_f32_fp8_sdwa v14, v14 src0_sel:BYTE_0
	s_nop 0
	v_mul_f32_e32 v14, v10, v14
	v_and_b32_e32 v28, 0x7f800000, v14
	v_cmp_ne_u32_e64 s[4:5], s29, v28
	s_and_saveexec_b64 s[26:27], s[4:5]
	s_xor_b64 s[4:5], exec, s[26:27]
; %bb.241:                              ;   in Loop: Header=BB359_13 Depth=1
	v_bfe_u32 v28, v14, 16, 1
	v_add3_u32 v60, v14, v28, s30
                                        ; implicit-def: $vgpr14
; %bb.242:                              ;   in Loop: Header=BB359_13 Depth=1
	s_andn2_saveexec_b64 s[26:27], s[4:5]
; %bb.243:                              ;   in Loop: Header=BB359_13 Depth=1
	v_or_b32_e32 v28, 0x10000, v14
	v_cmp_eq_u32_sdwa s[4:5], v14, v47 src0_sel:WORD_0 src1_sel:DWORD
	s_nop 1
	v_cndmask_b32_e64 v60, v28, v14, s[4:5]
; %bb.244:                              ;   in Loop: Header=BB359_13 Depth=1
	s_or_b64 exec, exec, s[26:27]
	v_bfe_u32 v14, v13, 8, 8
	v_cvt_f32_fp8_sdwa v14, v14 src0_sel:BYTE_0
	s_nop 0
	v_mul_f32_e32 v61, v10, v14
	v_and_b32_e32 v14, 0x7f800000, v61
	v_cmp_ne_u32_e64 s[4:5], s29, v14
                                        ; implicit-def: $vgpr14
	s_and_saveexec_b64 s[26:27], s[4:5]
	s_xor_b64 s[4:5], exec, s[26:27]
; %bb.245:                              ;   in Loop: Header=BB359_13 Depth=1
	v_bfe_u32 v14, v61, 16, 1
	v_add3_u32 v14, v61, v14, s30
                                        ; implicit-def: $vgpr61
; %bb.246:                              ;   in Loop: Header=BB359_13 Depth=1
	s_andn2_saveexec_b64 s[26:27], s[4:5]
; %bb.247:                              ;   in Loop: Header=BB359_13 Depth=1
	v_or_b32_e32 v14, 0x10000, v61
	v_cmp_eq_u32_sdwa s[4:5], v61, v47 src0_sel:WORD_0 src1_sel:DWORD
	s_nop 1
	v_cndmask_b32_e64 v14, v14, v61, s[4:5]
; %bb.248:                              ;   in Loop: Header=BB359_13 Depth=1
	s_or_b64 exec, exec, s[26:27]
	v_bfe_u32 v28, v13, 16, 8
	v_cvt_f32_fp8_sdwa v28, v28 src0_sel:BYTE_0
                                        ; implicit-def: $vgpr61
	s_nop 0
	v_mul_f32_e32 v28, v10, v28
	v_and_b32_e32 v29, 0x7f800000, v28
	v_cmp_ne_u32_e64 s[4:5], s29, v29
	s_and_saveexec_b64 s[26:27], s[4:5]
	s_xor_b64 s[4:5], exec, s[26:27]
; %bb.249:                              ;   in Loop: Header=BB359_13 Depth=1
	v_bfe_u32 v29, v28, 16, 1
	v_add3_u32 v61, v28, v29, s30
                                        ; implicit-def: $vgpr28
; %bb.250:                              ;   in Loop: Header=BB359_13 Depth=1
	s_andn2_saveexec_b64 s[26:27], s[4:5]
; %bb.251:                              ;   in Loop: Header=BB359_13 Depth=1
	v_or_b32_e32 v29, 0x10000, v28
	v_cmp_eq_u32_sdwa s[4:5], v28, v47 src0_sel:WORD_0 src1_sel:DWORD
	s_nop 1
	v_cndmask_b32_e64 v61, v29, v28, s[4:5]
; %bb.252:                              ;   in Loop: Header=BB359_13 Depth=1
	s_or_b64 exec, exec, s[26:27]
	v_lshrrev_b32_e32 v13, 24, v13
	v_cvt_f32_fp8_sdwa v13, v13 src0_sel:BYTE_0
	s_nop 0
	v_mul_f32_e32 v13, v10, v13
	v_and_b32_e32 v10, 0x7f800000, v13
	v_cmp_ne_u32_e64 s[4:5], s29, v10
                                        ; implicit-def: $vgpr10
	s_and_saveexec_b64 s[26:27], s[4:5]
	s_xor_b64 s[4:5], exec, s[26:27]
; %bb.253:                              ;   in Loop: Header=BB359_13 Depth=1
	v_bfe_u32 v10, v13, 16, 1
	v_add3_u32 v10, v13, v10, s30
                                        ; implicit-def: $vgpr13
; %bb.254:                              ;   in Loop: Header=BB359_13 Depth=1
	s_or_saveexec_b64 s[26:27], s[4:5]
	v_accvgpr_write_b32 a41, v12
	s_xor_b64 exec, exec, s[26:27]
; %bb.255:                              ;   in Loop: Header=BB359_13 Depth=1
	v_or_b32_e32 v10, 0x10000, v13
	v_cmp_eq_u32_sdwa s[4:5], v13, v47 src0_sel:WORD_0 src1_sel:DWORD
	s_nop 1
	v_cndmask_b32_e64 v10, v10, v13, s[4:5]
; %bb.256:                              ;   in Loop: Header=BB359_13 Depth=1
	s_or_b64 exec, exec, s[26:27]
	v_lshlrev_b32_e32 v5, 16, v48
	v_lshlrev_b32_e32 v22, 16, v49
	;; [unrolled: 1-line block ×4, first 2 shown]
	v_and_b32_e32 v24, 0xffff0000, v48
	v_and_b32_e32 v21, 0xffff0000, v49
	;; [unrolled: 1-line block ×4, first 2 shown]
	v_lshlrev_b32_e32 v4, 16, v36
	v_lshlrev_b32_e32 v30, 16, v37
	;; [unrolled: 1-line block ×3, first 2 shown]
	v_and_b32_e32 v11, 0xffff0000, v36
	v_and_b32_e32 v1, 0xffff0000, v37
	;; [unrolled: 1-line block ×3, first 2 shown]
	v_lshlrev_b32_e32 v3, 16, v33
	v_and_b32_e32 v17, 0xffff0000, v33
	v_lshlrev_b32_e32 v51, 16, v6
	v_lshlrev_b32_e32 v48, 16, v7
	;; [unrolled: 1-line block ×4, first 2 shown]
	v_and_b32_e32 v50, 0xffff0000, v6
	v_and_b32_e32 v49, 0xffff0000, v7
	;; [unrolled: 1-line block ×4, first 2 shown]
	v_accvgpr_read_b32 v6, a48
	v_accvgpr_read_b32 v9, a51
	v_lshlrev_b32_e32 v28, 16, v52
	v_lshlrev_b32_e32 v29, 16, v53
	v_and_b32_e32 v27, 0xffff0000, v52
	v_and_b32_e32 v26, 0xffff0000, v53
	v_lshlrev_b32_e32 v43, 16, v38
	v_and_b32_e32 v42, 0xffff0000, v38
	v_lshlrev_b32_e32 v52, 16, v35
	v_and_b32_e32 v53, 0xffff0000, v35
	v_lshlrev_b32_e32 v35, 16, v6
	v_and_b32_e32 v38, 0xffff0000, v6
	v_and_b32_e32 v6, 0xffff0000, v9
	v_accvgpr_read_b32 v7, a49
	v_accvgpr_read_b32 v8, a50
	v_accvgpr_write_b32 a49, v6
	v_accvgpr_read_b32 v6, a55
	v_lshlrev_b32_e32 v12, 16, v54
	v_lshlrev_b32_e32 v56, 16, v55
	v_and_b32_e32 v57, 0xffff0000, v55
	v_lshlrev_b32_e32 v0, 16, v32
	v_lshlrev_b32_e32 v13, 16, v34
	v_and_b32_e32 v16, 0xffff0000, v32
	v_and_b32_e32 v55, 0xffff0000, v34
	v_lshlrev_b32_e32 v32, 16, v7
	v_and_b32_e32 v34, 0xffff0000, v7
	v_and_b32_e32 v6, 0xffff0000, v6
	v_accvgpr_read_b32 v7, a47
	v_lshlrev_b32_e32 v19, 16, v8
	v_mul_f32_e32 v6, v12, v6
	v_and_b32_e32 v7, 0xffff0000, v7
	v_accvgpr_write_b32 a50, v19
	v_lshlrev_b32_e32 v19, 16, v9
	v_fmac_f32_e32 v6, v28, v7
	v_accvgpr_read_b32 v7, a56
	v_and_b32_e32 v54, 0xffff0000, v54
	v_accvgpr_write_b32 a48, v19
	v_and_b32_e32 v19, 0xffff0000, v8
	v_and_b32_e32 v7, 0xffff0000, v7
	v_accvgpr_read_b32 v8, a52
	v_mul_f32_e32 v7, v54, v7
	v_and_b32_e32 v8, 0xffff0000, v8
	v_fmac_f32_e32 v7, v27, v8
	v_accvgpr_read_b32 v8, a57
	v_and_b32_e32 v8, 0xffff0000, v8
	v_mul_f32_e32 v8, v56, v8
	scratch_load_dword v56, off, s32 offset:256 ; 4-byte Folded Reload
	v_accvgpr_read_b32 v9, a53
	v_and_b32_e32 v9, 0xffff0000, v9
	v_fmac_f32_e32 v8, v29, v9
	v_accvgpr_read_b32 v9, a58
	v_and_b32_e32 v9, 0xffff0000, v9
	v_accvgpr_read_b32 v12, a54
	v_mul_f32_e32 v9, v57, v9
	v_and_b32_e32 v12, 0xffff0000, v12
	v_fmac_f32_e32 v9, v26, v12
	v_accvgpr_read_b32 v12, a59
	v_and_b32_e32 v12, 0xffff0000, v12
	v_fmac_f32_e32 v6, v5, v12
	v_accvgpr_read_b32 v5, a60
	;; [unrolled: 3-line block ×17, first 2 shown]
	v_accvgpr_read_b32 v5, a5
	v_and_b32_e32 v1, 0xffff0000, v1
	v_and_b32_e32 v43, 0xffff0000, v5
	v_accvgpr_read_b32 v5, a11
	v_fmac_f32_e32 v6, v0, v1
	v_accvgpr_read_b32 v0, a26
	v_and_b32_e32 v45, 0xffff0000, v5
	v_accvgpr_read_b32 v5, a4
	v_and_b32_e32 v0, 0xffff0000, v0
	v_and_b32_e32 v21, 0xffff0000, v5
	v_accvgpr_read_b32 v5, a9
	v_fmac_f32_e32 v7, v16, v0
	v_accvgpr_read_b32 v0, a22
	v_and_b32_e32 v24, 0xffff0000, v5
	;; [unrolled: 7-line block ×3, first 2 shown]
	v_accvgpr_read_b32 v5, a14
	v_and_b32_e32 v0, 0xffff0000, v0
	v_and_b32_e32 v16, 0xffff0000, v5
	v_accvgpr_read_b32 v5, a44
	v_fmac_f32_e32 v9, v17, v0
	v_and_b32_e32 v17, 0xffff0000, v5
	v_accvgpr_read_b32 v5, a43
	v_and_b32_e32 v3, 0xffff0000, v18
	v_and_b32_e32 v18, 0xffff0000, v5
	v_accvgpr_read_b32 v5, a17
	v_and_b32_e32 v22, 0xffff0000, v5
	v_accvgpr_read_b32 v5, a37
	;; [unrolled: 2-line block ×8, first 2 shown]
	v_and_b32_e32 v5, 0xffff0000, v5
	v_fmac_f32_e32 v6, v13, v5
	v_fmac_f32_e32 v8, v52, v28
	;; [unrolled: 1-line block ×3, first 2 shown]
	v_accvgpr_read_b32 v4, a39
	v_fmac_f32_e32 v9, v53, v29
	v_fmac_f32_e32 v8, v48, v22
	;; [unrolled: 1-line block ×3, first 2 shown]
	v_and_b32_e32 v11, 0xffff0000, v4
	v_accvgpr_read_b32 v4, a38
	v_fmac_f32_e32 v9, v49, v23
	v_fmac_f32_e32 v8, v33, v12
	;; [unrolled: 1-line block ×3, first 2 shown]
	v_accvgpr_read_b32 v12, a50
	v_and_b32_e32 v20, 0xffff0000, v4
	v_accvgpr_read_b32 v4, a31
	v_fmac_f32_e32 v7, v55, v42
	v_fmac_f32_e32 v9, v36, v16
	;; [unrolled: 1-line block ×3, first 2 shown]
	v_accvgpr_read_b32 v12, a41
	v_and_b32_e32 v41, 0xffff0000, v4
	v_accvgpr_read_b32 v4, a40
	v_fmac_f32_e32 v7, v50, v26
	v_fmac_f32_e32 v8, v32, v45
	;; [unrolled: 1-line block ×3, first 2 shown]
	ds_read_b128 v[32:35], v12 offset:102
	v_and_b32_e32 v30, 0xffff0000, v4
	v_accvgpr_read_b32 v4, a6
	v_fmac_f32_e32 v7, v39, v17
	v_and_b32_e32 v4, 0xffff0000, v4
	s_waitcnt vmcnt(0)
	v_and_b32_e32 v13, 64, v56
	v_fmac_f32_e32 v7, v38, v24
	v_accvgpr_read_b32 v1, a34
	v_xor_b32_e32 v5, 1, v56
	v_add_u32_e32 v13, 64, v13
	v_accvgpr_read_b32 v57, a45
	v_fmac_f32_e32 v7, v19, v4
	v_accvgpr_read_b32 v4, a48
	v_and_b32_e32 v54, 0xffff0000, v60
	v_and_b32_e32 v60, 0xffff0000, v2
	;; [unrolled: 1-line block ×4, first 2 shown]
	v_accvgpr_read_b32 v1, a35
	v_cmp_lt_i32_e64 s[4:5], v5, v13
	v_lshlrev_b32_e32 v13, 16, v57
	v_and_b32_e32 v57, 0xffff0000, v57
	v_fmac_f32_e32 v8, v4, v41
	v_accvgpr_read_b32 v4, a49
	v_accvgpr_read_b32 v0, a10
	v_and_b32_e32 v1, 0xffff0000, v1
	v_accvgpr_read_b32 v44, a46
	v_fmac_f32_e32 v9, v4, v30
	ds_read_u16 v4, v12 offset:118
	v_fmac_f32_e32 v7, v57, v11
	s_waitcnt lgkmcnt(1)
	v_lshlrev_b32_e32 v11, 16, v32
	v_and_b32_e32 v0, 0xffff0000, v0
	v_lshlrev_b32_e32 v44, 16, v44
	v_fmac_f32_e32 v6, v13, v20
	v_fmac_f32_e32 v9, v11, v1
	v_and_b32_e32 v1, 0xffff0000, v32
	v_fmac_f32_e32 v8, v44, v15
	v_lshlrev_b32_e32 v11, 16, v33
	v_fmac_f32_e32 v6, v1, v0
	v_and_b32_e32 v0, 0xffff0000, v33
	v_lshlrev_b32_e32 v1, 16, v34
	v_and_b32_e32 v14, 0xffff0000, v14
	v_fmac_f32_e32 v7, v11, v3
	v_fmac_f32_e32 v8, v0, v60
	;; [unrolled: 1-line block ×3, first 2 shown]
	v_and_b32_e32 v0, 0xffff0000, v34
	v_lshlrev_b32_e32 v1, 16, v35
	v_cndmask_b32_e64 v5, v56, v5, s[4:5]
	v_and_b32_e32 v56, 0xffff0000, v61
	v_fmac_f32_e32 v6, v0, v54
	v_fmac_f32_e32 v7, v1, v14
	v_and_b32_e32 v0, 0xffff0000, v35
	v_and_b32_e32 v10, 0xffff0000, v10
	s_waitcnt lgkmcnt(0)
	v_lshlrev_b32_e32 v1, 16, v4
	v_fmac_f32_e32 v8, v0, v56
	v_add_f32_e32 v0, v6, v7
	v_fmac_f32_e32 v9, v1, v10
	v_add_f32_e32 v0, v0, v8
	v_lshlrev_b32_e32 v5, 2, v5
	v_add_f32_e32 v0, v9, v0
	ds_bpermute_b32 v1, v5, v0
	s_and_saveexec_b64 s[26:27], vcc
	s_cbranch_execz .LBB359_11
; %bb.257:                              ;   in Loop: Header=BB359_13 Depth=1
	scratch_load_dword v2, off, s32 offset:280 ; 4-byte Folded Reload
	scratch_load_dword v4, off, s32 offset:268 ; 4-byte Folded Reload
	s_waitcnt lgkmcnt(0)
	v_add_f32_e32 v0, v0, v1
	scratch_load_dword v1, off, s32 offset:272 ; 4-byte Folded Reload
	scratch_load_dword v3, off, s32 offset:276 ; 4-byte Folded Reload
	s_load_dword s4, s[22:23], 0x0
	s_waitcnt vmcnt(3)
	v_add_u32_e32 v2, v2, v62
	v_cvt_f32_i32_e32 v2, v2
	s_waitcnt vmcnt(2)
	v_mul_f32_e32 v2, v4, v2
	v_cndmask_b32_e64 v2, 0, v2, s[2:3]
	s_waitcnt vmcnt(1)
	v_fmac_f32_e32 v2, v0, v1
	scratch_load_dword v1, off, s32 offset:252 ; 4-byte Folded Reload
	s_waitcnt vmcnt(1)
	v_add_u32_e32 v3, v3, v62
	v_accvgpr_read_b32 v0, a3
	s_waitcnt lgkmcnt(0)
	v_add_u32_e32 v4, s4, v31
	v_cmp_lt_i32_e64 s[4:5], v3, v0
	s_nop 1
	v_cndmask_b32_e64 v0, 0, v2, s[4:5]
	ds_write_b32 v4, v0
	s_waitcnt vmcnt(0)
	v_max_f32_e32 v0, v1, v1
	v_max_f32_e32 v0, v0, v2
	v_cndmask_b32_e64 v1, v1, v0, s[4:5]
	scratch_store_dword off, v1, s32 offset:252 ; 4-byte Folded Spill
	s_branch .LBB359_11
.LBB359_258:
	s_or_b64 exec, exec, s[24:25]
	scratch_load_dword v20, off, s32 offset:308 ; 4-byte Folded Reload
	scratch_load_dwordx2 v[14:15], off, s32 offset:364 ; 8-byte Folded Reload
	scratch_load_dword v30, off, s32 offset:360 ; 4-byte Folded Reload
	scratch_load_dwordx2 v[34:35], off, s32 offset:352 ; 8-byte Folded Reload
	scratch_load_dwordx2 v[24:25], off, s32 offset:336 ; 8-byte Folded Reload
	;; [unrolled: 1-line block ×5, first 2 shown]
	scratch_load_dword v28, off, s32 offset:324 ; 4-byte Folded Reload
	scratch_load_dword v31, off, s32 offset:296 ; 4-byte Folded Reload
	;; [unrolled: 1-line block ×3, first 2 shown]
	scratch_load_dwordx2 v[38:39], off, s32 offset:300 ; 8-byte Folded Reload
	scratch_load_dword v7, off, s32 offset:252 ; 4-byte Folded Reload
	v_mbcnt_lo_u32_b32 v4, -1, 0
.LBB359_259:
	s_or_b64 exec, exec, s[8:9]
	s_waitcnt lgkmcnt(0)
	v_mbcnt_hi_u32_b32 v1, -1, v4
	v_and_b32_e32 v0, 64, v1
	v_add_u32_e32 v2, 64, v0
	v_xor_b32_e32 v0, 32, v1
	v_cmp_lt_i32_e32 vcc, v0, v2
	v_xor_b32_e32 v5, 16, v1
	s_waitcnt vmcnt(0)
	v_max_f32_e32 v4, v7, v7
	v_cndmask_b32_e32 v0, v1, v0, vcc
	v_lshlrev_b32_e32 v3, 2, v0
	ds_bpermute_b32 v0, v3, v7
	v_cmp_lt_i32_e32 vcc, v5, v2
	v_xor_b32_e32 v6, 8, v1
	v_xor_b32_e32 v7, 4, v1
	;; [unrolled: 1-line block ×3, first 2 shown]
	s_waitcnt lgkmcnt(0)
	v_max_f32_e32 v0, v0, v0
	v_max_f32_e32 v0, v4, v0
	v_cndmask_b32_e32 v4, v1, v5, vcc
	v_lshlrev_b32_e32 v4, 2, v4
	ds_bpermute_b32 v5, v4, v0
	v_cmp_lt_i32_e32 vcc, v6, v2
	s_lshr_b32 s24, s28, 16
	s_waitcnt lgkmcnt(0)
	v_max_f32_e32 v5, v5, v5
	v_max_f32_e32 v0, v0, v5
	v_cndmask_b32_e32 v5, v1, v6, vcc
	v_lshlrev_b32_e32 v5, 2, v5
	ds_bpermute_b32 v6, v5, v0
	v_cmp_lt_i32_e32 vcc, v7, v2
	s_waitcnt lgkmcnt(0)
	v_max_f32_e32 v6, v6, v6
	v_max_f32_e32 v0, v0, v6
	v_cndmask_b32_e32 v6, v1, v7, vcc
	v_lshlrev_b32_e32 v6, 2, v6
	ds_bpermute_b32 v7, v6, v0
	v_cmp_lt_i32_e32 vcc, v9, v2
	s_waitcnt lgkmcnt(0)
	v_max_f32_e32 v7, v7, v7
	v_max_f32_e32 v8, v0, v7
	v_cndmask_b32_e32 v0, v1, v9, vcc
	v_lshlrev_b32_e32 v42, 2, v0
	ds_bpermute_b32 v9, v42, v8
	v_and_b32_e32 v0, 63, v20
	v_cmp_eq_u32_e32 vcc, 0, v0
	v_lshlrev_b32_e32 v7, 2, v28
	s_and_saveexec_b64 s[2:3], vcc
	s_cbranch_execz .LBB359_261
; %bb.260:
	s_waitcnt lgkmcnt(0)
	v_max_f32_e32 v9, v9, v9
	v_max_f32_e32 v8, v8, v8
	;; [unrolled: 1-line block ×3, first 2 shown]
	ds_write_b32 v7, v8 offset:240
.LBB359_261:
	s_or_b64 exec, exec, s[2:3]
	v_cmp_gt_u32_e64 s[2:3], 2, v0
	s_waitcnt lgkmcnt(0)
	v_mov_b32_e32 v9, 0xff7fffff
	v_lshlrev_b32_e32 v8, 2, v0
	s_barrier
	s_and_saveexec_b64 s[4:5], s[2:3]
	s_cbranch_execz .LBB359_263
; %bb.262:
	ds_read_b32 v9, v8 offset:240
.LBB359_263:
	s_or_b64 exec, exec, s[4:5]
	v_xor_b32_e32 v10, 1, v1
	v_cmp_lt_i32_e64 s[4:5], v10, v2
	s_nop 1
	v_cndmask_b32_e64 v2, v1, v10, s[4:5]
	scratch_load_dword v10, off, s32 offset:204 ; 4-byte Folded Reload
	v_lshlrev_b32_e32 v21, 2, v2
	s_waitcnt lgkmcnt(0)
	ds_bpermute_b32 v2, v21, v9
	v_max_f32_e32 v9, v9, v9
	v_lshlrev_b32_e32 v1, 2, v1
	s_waitcnt lgkmcnt(0)
	v_max_f32_e32 v2, v2, v2
	v_max_f32_e32 v2, v9, v2
	s_waitcnt vmcnt(0)
	v_subrev_u32_e32 v10, s17, v10
	v_lshl_add_u32 v11, v10, 5, s21
	v_and_b32_e32 v10, 0x100, v1
	ds_bpermute_b32 v1, v10, v2
	v_accvgpr_read_b32 v2, a3
	v_min_i32_e32 v9, v11, v2
	v_subrev_u32_e32 v2, s21, v9
	v_cmp_lt_i32_e64 s[4:5], v20, v2
	v_mov_b32_e32 v11, 0
	s_and_saveexec_b64 s[8:9], s[4:5]
	s_cbranch_execz .LBB359_267
; %bb.264:
	s_ashr_i32 s19, s18, 31
	s_lshl_b64 s[6:7], s[18:19], 2
	s_getpc_b64 s[22:23]
	s_add_u32 s22, s22, llvm.amdgcn.dynlds.offset.table@rel32@lo+4
	s_addc_u32 s23, s23, llvm.amdgcn.dynlds.offset.table@rel32@hi+12
	s_add_u32 s6, s6, s22
	s_addc_u32 s7, s7, s23
	s_load_dword s6, s[6:7], 0x0
	s_mov_b64 s[22:23], 0
	v_mov_b32_e32 v11, 0
	v_mov_b32_e32 v13, v20
	s_waitcnt lgkmcnt(0)
	v_lshl_add_u32 v12, v20, 2, s6
.LBB359_265:                            ; =>This Inner Loop Header: Depth=1
	ds_read_b32 v16, v12
	v_add_u32_e32 v13, 0x80, v13
	v_cmp_ge_i32_e64 s[6:7], v13, v2
	s_or_b64 s[22:23], s[6:7], s[22:23]
	s_waitcnt lgkmcnt(0)
	v_sub_f32_e32 v16, v16, v1
	v_mul_f32_e32 v16, 0x3fb8aa3b, v16
	v_exp_f32_e32 v16, v16
	ds_write_b32 v12, v16
	v_add_f32_e32 v11, v11, v16
	v_add_u32_e32 v12, 0x200, v12
	s_andn2_b64 exec, exec, s[22:23]
	s_cbranch_execnz .LBB359_265
; %bb.266:
	s_or_b64 exec, exec, s[22:23]
.LBB359_267:
	s_or_b64 exec, exec, s[8:9]
	ds_bpermute_b32 v3, v3, v11
	s_waitcnt lgkmcnt(0)
	v_add_f32_e32 v3, v11, v3
	ds_bpermute_b32 v4, v4, v3
	s_waitcnt lgkmcnt(0)
	v_add_f32_e32 v3, v3, v4
	;; [unrolled: 3-line block ×6, first 2 shown]
	s_and_saveexec_b64 s[6:7], vcc
	s_cbranch_execz .LBB359_269
; %bb.268:
	ds_write_b32 v7, v3 offset:248
.LBB359_269:
	s_or_b64 exec, exec, s[6:7]
	s_waitcnt lgkmcnt(0)
	s_barrier
	s_and_saveexec_b64 s[6:7], s[2:3]
	s_cbranch_execz .LBB359_271
; %bb.270:
	ds_read_b32 v3, v8 offset:248
.LBB359_271:
	s_or_b64 exec, exec, s[6:7]
	s_waitcnt lgkmcnt(0)
	ds_bpermute_b32 v4, v21, v3
	s_waitcnt lgkmcnt(0)
	v_add_f32_e32 v3, v3, v4
	ds_bpermute_b32 v3, v10, v3
	s_and_saveexec_b64 s[2:3], s[4:5]
	s_cbranch_execz .LBB359_284
; %bb.272:
	s_waitcnt lgkmcnt(0)
	v_add_f32_e32 v4, 0x358637bd, v3
	v_div_scale_f32 v5, s[4:5], v4, v4, 1.0
	v_rcp_f32_e32 v6, v5
	v_div_scale_f32 v7, vcc, 1.0, v4, 1.0
	s_movk_i32 s4, 0x7f
	v_fma_f32 v8, -v5, v6, 1.0
	v_fmac_f32_e32 v6, v8, v6
	v_mul_f32_e32 v8, v7, v6
	v_fma_f32 v10, -v5, v8, v7
	v_fmac_f32_e32 v8, v10, v6
	v_fma_f32 v5, -v5, v8, v7
	v_div_fmas_f32 v5, v5, v6, v8
	v_div_fixup_f32 v6, v5, v4, 1.0
	v_xad_u32 v4, v20, -1, v9
	v_subrev_u32_e32 v5, s21, v4
	v_cmp_lt_u32_e32 vcc, s4, v5
	s_mov_b64 s[6:7], -1
	v_mov_b32_e32 v4, v20
	s_and_saveexec_b64 s[4:5], vcc
	s_cbranch_execz .LBB359_281
; %bb.273:
	v_lshrrev_b32_e32 v4, 7, v5
	v_add_u32_e32 v8, -1, v4
	v_lshrrev_b32_e32 v5, 1, v8
	v_mov_b32_e32 v7, v6
	v_add_u32_e32 v5, 1, v5
	v_cmp_lt_u32_e32 vcc, 13, v8
	v_mov_b32_e32 v10, 0
	s_and_saveexec_b64 s[6:7], vcc
	s_cbranch_execz .LBB359_277
; %bb.274:
	s_ashr_i32 s19, s18, 31
	s_lshl_b64 s[8:9], s[18:19], 2
	s_getpc_b64 s[22:23]
	s_add_u32 s22, s22, llvm.amdgcn.dynlds.offset.table@rel32@lo+4
	s_addc_u32 s23, s23, llvm.amdgcn.dynlds.offset.table@rel32@hi+12
	s_add_u32 s8, s8, s22
	s_addc_u32 s9, s9, s23
	s_load_dword s8, s[8:9], 0x0
	v_and_b32_e32 v8, -8, v5
	s_mov_b32 s17, 0
	s_waitcnt lgkmcnt(0)
	v_lshl_add_u32 v9, v20, 2, s8
	s_mov_b64 s[8:9], 0
.LBB359_275:                            ; =>This Inner Loop Header: Depth=1
	ds_read2st64_b32 v[10:11], v9 offset1:2
	ds_read2st64_b32 v[12:13], v9 offset0:4 offset1:6
	ds_read2st64_b32 v[18:19], v9 offset0:8 offset1:10
	;; [unrolled: 1-line block ×3, first 2 shown]
	v_add_u32_e32 v8, -8, v8
	s_waitcnt lgkmcnt(3)
	v_pk_mul_f32 v[10:11], v[6:7], v[10:11]
	s_waitcnt lgkmcnt(2)
	v_pk_mul_f32 v[12:13], v[6:7], v[12:13]
	ds_write2st64_b32 v9, v10, v11 offset1:2
	ds_write2st64_b32 v9, v12, v13 offset0:4 offset1:6
	ds_read2st64_b32 v[12:13], v9 offset0:16 offset1:18
	s_waitcnt lgkmcnt(4)
	v_pk_mul_f32 v[10:11], v[6:7], v[18:19]
	ds_write2st64_b32 v9, v10, v11 offset0:8 offset1:10
	s_waitcnt lgkmcnt(4)
	v_pk_mul_f32 v[10:11], v[6:7], v[16:17]
	ds_write2st64_b32 v9, v10, v11 offset0:12 offset1:14
	ds_read2st64_b32 v[10:11], v9 offset0:20 offset1:22
	s_waitcnt lgkmcnt(3)
	v_pk_mul_f32 v[12:13], v[6:7], v[12:13]
	ds_read2st64_b32 v[16:17], v9 offset0:24 offset1:26
	ds_write2st64_b32 v9, v12, v13 offset0:16 offset1:18
	ds_read2st64_b32 v[12:13], v9 offset0:28 offset1:30
	s_waitcnt lgkmcnt(3)
	v_pk_mul_f32 v[10:11], v[6:7], v[10:11]
	ds_write2st64_b32 v9, v10, v11 offset0:20 offset1:22
	s_waitcnt lgkmcnt(3)
	v_pk_mul_f32 v[10:11], v[6:7], v[16:17]
	ds_write2st64_b32 v9, v10, v11 offset0:24 offset1:26
	s_waitcnt lgkmcnt(2)
	v_pk_mul_f32 v[10:11], v[6:7], v[12:13]
	s_add_i32 s17, s17, 16
	v_cmp_eq_u32_e32 vcc, 0, v8
	ds_write2st64_b32 v9, v10, v11 offset0:28 offset1:30
	v_add_u32_e32 v9, 0x2000, v9
	s_or_b64 s[8:9], vcc, s[8:9]
	v_mov_b32_e32 v10, s17
	s_andn2_b64 exec, exec, s[8:9]
	s_cbranch_execnz .LBB359_275
; %bb.276:
	s_or_b64 exec, exec, s[8:9]
.LBB359_277:
	s_or_b64 exec, exec, s[6:7]
	v_and_b32_e32 v5, 7, v5
	v_cmp_ne_u32_e32 vcc, 0, v5
	s_and_saveexec_b64 s[6:7], vcc
	s_cbranch_execz .LBB359_280
; %bb.278:
	s_ashr_i32 s19, s18, 31
	s_lshl_b64 s[8:9], s[18:19], 2
	s_getpc_b64 s[22:23]
	s_add_u32 s22, s22, llvm.amdgcn.dynlds.offset.table@rel32@lo+4
	s_addc_u32 s23, s23, llvm.amdgcn.dynlds.offset.table@rel32@hi+12
	s_add_u32 s8, s8, s22
	s_addc_u32 s9, s9, s23
	s_load_dword s8, s[8:9], 0x0
	v_lshlrev_b32_e32 v8, 9, v10
	v_lshlrev_b32_e32 v9, 2, v20
	s_waitcnt lgkmcnt(0)
	v_add3_u32 v8, v8, v9, s8
	s_mov_b64 s[8:9], 0
.LBB359_279:                            ; =>This Inner Loop Header: Depth=1
	ds_read2st64_b32 v[10:11], v8 offset1:2
	v_add_u32_e32 v5, -1, v5
	v_cmp_eq_u32_e32 vcc, 0, v5
	s_or_b64 s[8:9], vcc, s[8:9]
	s_waitcnt lgkmcnt(0)
	v_pk_mul_f32 v[10:11], v[6:7], v[10:11]
	ds_write2st64_b32 v8, v10, v11 offset1:2
	v_add_u32_e32 v8, 0x400, v8
	s_andn2_b64 exec, exec, s[8:9]
	s_cbranch_execnz .LBB359_279
.LBB359_280:
	s_or_b64 exec, exec, s[6:7]
	v_add_u32_e32 v5, 1, v4
	v_and_b32_e32 v7, 0x3fffffe, v5
	v_cmp_ne_u32_e32 vcc, v5, v7
	v_lshl_add_u32 v4, v7, 7, v20
	s_orn2_b64 s[6:7], vcc, exec
.LBB359_281:
	s_or_b64 exec, exec, s[4:5]
	s_and_b64 exec, exec, s[6:7]
	s_cbranch_execz .LBB359_284
; %bb.282:
	s_ashr_i32 s19, s18, 31
	s_lshl_b64 s[4:5], s[18:19], 2
	s_getpc_b64 s[6:7]
	s_add_u32 s6, s6, llvm.amdgcn.dynlds.offset.table@rel32@lo+4
	s_addc_u32 s7, s7, llvm.amdgcn.dynlds.offset.table@rel32@hi+12
	s_add_u32 s4, s4, s6
	s_addc_u32 s5, s5, s7
	s_load_dword s4, s[4:5], 0x0
	s_waitcnt lgkmcnt(0)
	v_lshl_add_u32 v5, v4, 2, s4
	s_mov_b64 s[4:5], 0
.LBB359_283:                            ; =>This Inner Loop Header: Depth=1
	ds_read_b32 v7, v5
	v_add_u32_e32 v4, 0x80, v4
	v_cmp_ge_i32_e32 vcc, v4, v2
	s_or_b64 s[4:5], vcc, s[4:5]
	s_waitcnt lgkmcnt(0)
	v_mul_f32_e32 v7, v6, v7
	ds_write_b32 v5, v7
	v_add_u32_e32 v5, 0x200, v5
	s_andn2_b64 exec, exec, s[4:5]
	s_cbranch_execnz .LBB359_283
.LBB359_284:
	s_or_b64 exec, exec, s[2:3]
	v_cmp_ne_u16_e64 s[2:3], s24, 0
	s_cmp_lg_u64 s[2:3], 0
	s_addc_u32 s17, s13, 0
	s_mul_i32 s2, s17, s20
	v_cmp_eq_u32_e32 vcc, 0, v20
	s_mul_i32 s4, s2, s15
	s_waitcnt lgkmcnt(0)
	s_barrier
	s_and_saveexec_b64 s[2:3], vcc
	s_cbranch_execz .LBB359_286
; %bb.285:
	s_mul_i32 s8, s17, s12
	s_ashr_i32 s5, s4, 31
	s_ashr_i32 s9, s8, 31
	s_ashr_i32 s15, s14, 31
	s_lshl_b64 s[6:7], s[4:5], 2
	s_lshl_b64 s[8:9], s[8:9], 2
	;; [unrolled: 1-line block ×3, first 2 shown]
	s_add_u32 s5, s12, s8
	s_addc_u32 s8, s13, s9
	s_add_u32 s6, s5, s6
	s_addc_u32 s7, s8, s7
	v_lshl_add_u64 v[4:5], s[6:7], 0, v[26:27]
	flat_store_dword v[4:5], v1
	v_lshl_add_u64 v[4:5], s[6:7], 0, v[24:25]
	flat_store_dword v[4:5], v3
.LBB359_286:
	s_or_b64 exec, exec, s[2:3]
	s_ashr_i32 s19, s18, 31
	s_lshl_b64 s[2:3], s[18:19], 2
	s_getpc_b64 s[6:7]
	s_add_u32 s6, s6, llvm.amdgcn.dynlds.offset.table@rel32@lo+4
	s_addc_u32 s7, s7, llvm.amdgcn.dynlds.offset.table@rel32@hi+12
	s_add_u32 s6, s2, s6
	s_addc_u32 s7, s3, s7
	v_mov_b32_e32 v27, 0
	v_lshrrev_b32_e32 v23, 2, v0
	v_and_b32_e32 v22, 3, v20
	v_mov_b32_e32 v26, 0
	v_mov_b32_e32 v17, 0
	v_mov_b32_e32 v16, 0
	v_mov_b32_e32 v19, 0
	v_mov_b32_e32 v18, 0
	v_mov_b32_e32 v25, 0
	v_mov_b32_e32 v24, 0
	s_and_saveexec_b64 s[8:9], s[0:1]
	s_cbranch_execz .LBB359_854
; %bb.287:
	v_lshl_add_u64 v[0:1], v[34:35], 0, v[38:39]
	v_accvgpr_write_b32 a23, v1
	v_max_i32_e32 v48, v30, v29
	v_accvgpr_write_b32 a22, v0
	v_cvt_f32_u32_e32 v0, v48
	v_add_u32_e32 v1, -1, v31
	v_and_b32_e32 v2, 24, v32
	v_accvgpr_write_b32 a24, v1
	v_rcp_iflag_f32_e32 v0, v0
	v_or_b32_e32 v1, 0x70, v23
	s_movk_i32 s1, 0x78
	v_lshl_or_b32 v30, v23, 5, v2
	v_mul_f32_e32 v0, 0x4f7ffffe, v0
	v_cvt_u32_f32_e32 v0, v0
	v_cmp_gt_u32_e32 vcc, s1, v1
	v_accvgpr_write_b32 a19, v2
	v_lshl_or_b32 v2, v1, 5, v2
	v_sub_u32_e32 v1, 0, v48
	v_mul_lo_u32 v1, v1, v0
	v_mul_hi_u32 v1, v0, v1
	v_add_u32_e32 v0, v0, v1
	v_accvgpr_write_b32 a28, v0
	v_accvgpr_read_b32 v0, a12
	s_load_dword s0, s[6:7], 0x0
	v_accvgpr_read_b32 v1, a13
	v_lshlrev_b64 v[0:1], 2, v[0:1]
	v_lshl_add_u64 v[0:1], v[36:37], 2, v[0:1]
	v_mov_b32_e32 v31, 0
	v_lshl_add_u64 v[14:15], v[14:15], 0, v[0:1]
	v_lshlrev_b32_e32 v0, 5, v22
	v_lshl_or_b32 v0, v28, 7, v0
	v_mov_b32_e32 v1, v31
	s_waitcnt lgkmcnt(0)
	v_add_u32_e32 v29, s0, v0
	v_mov_b32_e32 v0, v31
	v_accvgpr_write_b32 a21, v1
	v_accvgpr_write_b32 a20, v0
	scratch_load_dword v1, off, s32 offset:292 ; 4-byte Folded Reload
	v_mov_b32_e32 v3, v31
	v_accvgpr_write_b32 a27, v3
	v_accvgpr_write_b32 a16, v21
	;; [unrolled: 1-line block ×6, first 2 shown]
	s_mov_b64 s[12:13], 0
	s_mov_b32 s5, 0x7f800000
	s_movk_i32 s15, 0x7fff
	v_mov_b32_e32 v24, v31
	v_mov_b32_e32 v25, v31
	;; [unrolled: 1-line block ×6, first 2 shown]
	s_branch .LBB359_291
.LBB359_288:                            ;   in Loop: Header=BB359_291 Depth=1
	s_or_b64 exec, exec, s[2:3]
	v_and_b32_e32 v46, 0xffff0000, v12
	v_and_b32_e32 v13, 0xffff0000, v13
	;; [unrolled: 1-line block ×8, first 2 shown]
	v_pk_add_f32 v[0:1], v[56:57], v[12:13]
	v_pk_add_f32 v[12:13], v[46:47], v[44:45]
	v_add_f32_e32 v0, v0, v1
	v_add_f32_e32 v0, v0, v12
	;; [unrolled: 1-line block ×3, first 2 shown]
	v_accvgpr_read_b32 v12, a20
	v_accvgpr_read_b32 v13, a21
	v_add_f32_e32 v13, v13, v0
	v_accvgpr_write_b32 a21, v13
	v_accvgpr_write_b32 a20, v12
.LBB359_289:                            ;   in Loop: Header=BB359_291 Depth=1
	s_or_b64 exec, exec, s[20:21]
	v_accvgpr_read_b32 v0, a25
	v_accvgpr_read_b32 v5, a15
	v_and_b32_e32 v1, 0xffff0000, v0
	v_and_b32_e32 v0, 0xffff0000, v28
	;; [unrolled: 1-line block ×4, first 2 shown]
	v_accvgpr_read_b32 v5, a32
	v_pk_add_f32 v[0:1], v[12:13], v[0:1]
	v_and_b32_e32 v13, 0xffff0000, v5
	v_accvgpr_read_b32 v5, a30
	v_and_b32_e32 v12, 0xffff0000, v5
	v_accvgpr_read_b32 v5, a31
	;; [unrolled: 2-line block ×3, first 2 shown]
	v_and_b32_e32 v44, 0xffff0000, v5
	v_pk_add_f32 v[12:13], v[44:45], v[12:13]
	v_add_f32_e32 v0, v0, v1
	v_add_f32_e32 v0, v0, v12
	v_accvgpr_read_b32 v5, a39
	v_add_f32_e32 v0, v0, v13
	v_and_b32_e32 v13, 0xffff0000, v5
	v_accvgpr_read_b32 v5, a37
	v_and_b32_e32 v12, 0xffff0000, v5
	v_accvgpr_read_b32 v5, a36
	;; [unrolled: 2-line block ×4, first 2 shown]
	v_add_f32_e32 v24, v24, v0
	v_accvgpr_read_b32 v0, a40
	v_and_b32_e32 v47, 0xffff0000, v5
	v_accvgpr_read_b32 v5, a33
	v_and_b32_e32 v1, 0xffff0000, v0
	;; [unrolled: 2-line block ×3, first 2 shown]
	v_and_b32_e32 v0, 0xffff0000, v0
	v_pk_add_f32 v[44:45], v[46:47], v[44:45]
	v_pk_add_f32 v[0:1], v[12:13], v[0:1]
	v_add_f32_e32 v5, v44, v45
	v_add_f32_e32 v0, v5, v0
	v_accvgpr_read_b32 v5, a47
	v_and_b32_e32 v13, 0xffff0000, v5
	v_accvgpr_read_b32 v5, a45
	v_and_b32_e32 v12, 0xffff0000, v5
	;; [unrolled: 2-line block ×3, first 2 shown]
	v_accvgpr_read_b32 v5, a42
	v_add_f32_e32 v0, v0, v1
	v_and_b32_e32 v44, 0xffff0000, v5
	v_accvgpr_read_b32 v5, a43
	v_add_f32_e32 v25, v25, v0
	v_accvgpr_read_b32 v0, a48
	v_and_b32_e32 v47, 0xffff0000, v5
	v_accvgpr_read_b32 v5, a41
	v_and_b32_e32 v1, 0xffff0000, v0
	;; [unrolled: 2-line block ×3, first 2 shown]
	v_and_b32_e32 v0, 0xffff0000, v0
	v_pk_add_f32 v[44:45], v[46:47], v[44:45]
	v_pk_add_f32 v[0:1], v[12:13], v[0:1]
	v_add_f32_e32 v5, v44, v45
	v_add_f32_e32 v0, v5, v0
	v_accvgpr_read_b32 v5, a52
	v_and_b32_e32 v13, 0xffff0000, v5
	v_accvgpr_read_b32 v5, a50
	v_and_b32_e32 v12, 0xffff0000, v5
	v_accvgpr_read_b32 v5, a51
	v_add_f32_e32 v0, v0, v1
	v_and_b32_e32 v1, 0xffff0000, v51
	v_and_b32_e32 v51, 0xffff0000, v5
	v_accvgpr_read_b32 v5, a49
	v_add_f32_e32 v18, v18, v0
	v_and_b32_e32 v0, 0xffff0000, v9
	v_and_b32_e32 v9, 0xffff0000, v50
	v_and_b32_e32 v50, 0xffff0000, v5
	v_and_b32_e32 v8, 0xffff0000, v26
	v_pk_add_f32 v[12:13], v[50:51], v[12:13]
	v_pk_add_f32 v[0:1], v[8:9], v[0:1]
	v_add_f32_e32 v5, v12, v13
	v_add_f32_e32 v0, v5, v0
	;; [unrolled: 1-line block ×4, first 2 shown]
	v_and_b32_e32 v0, 0xffff0000, v20
	v_and_b32_e32 v13, 0xffff0000, v54
	;; [unrolled: 1-line block ×8, first 2 shown]
	v_pk_add_f32 v[12:13], v[20:21], v[12:13]
	v_pk_add_f32 v[0:1], v[8:9], v[0:1]
	v_add_f32_e32 v5, v12, v13
	v_add_f32_e32 v0, v5, v0
	;; [unrolled: 1-line block ×3, first 2 shown]
	v_and_b32_e32 v9, 0xffff0000, v38
	v_and_b32_e32 v8, 0xffff0000, v7
	v_and_b32_e32 v7, 0xffff0000, v37
	v_and_b32_e32 v6, 0xffff0000, v6
	v_add_f32_e32 v16, v16, v0
	v_and_b32_e32 v1, 0xffff0000, v41
	v_and_b32_e32 v0, 0xffff0000, v4
	;; [unrolled: 1-line block ×4, first 2 shown]
	v_pk_add_f32 v[6:7], v[6:7], v[8:9]
	v_pk_add_f32 v[0:1], v[4:5], v[0:1]
	v_add_f32_e32 v4, v6, v7
	v_add_f32_e32 v0, v4, v0
	;; [unrolled: 1-line block ×3, first 2 shown]
	v_and_b32_e32 v7, 0xffff0000, v32
	v_and_b32_e32 v6, 0xffff0000, v3
	;; [unrolled: 1-line block ×4, first 2 shown]
	v_add_f32_e32 v17, v17, v0
	v_and_b32_e32 v1, 0xffff0000, v11
	v_and_b32_e32 v0, 0xffff0000, v34
	v_and_b32_e32 v5, 0xffff0000, v10
	v_and_b32_e32 v4, 0xffff0000, v33
	v_pk_add_f32 v[2:3], v[2:3], v[6:7]
	v_pk_add_f32 v[0:1], v[4:5], v[0:1]
	v_add_f32_e32 v2, v2, v3
	v_add_f32_e32 v0, v2, v0
	v_accvgpr_read_b32 v2, a20
	v_add_f32_e32 v0, v0, v1
	v_accvgpr_read_b32 v3, a21
	v_add_f32_e32 v2, v2, v0
	v_accvgpr_write_b32 a21, v3
	v_accvgpr_write_b32 a20, v2
.LBB359_290:                            ;   in Loop: Header=BB359_291 Depth=1
	s_or_b64 exec, exec, s[18:19]
	scratch_load_dword v0, off, s32 offset:204 ; 4-byte Folded Reload
	v_accvgpr_read_b32 v2, a12
	v_add_u32_e32 v2, 2, v2
	v_accvgpr_read_b32 v1, a13
	v_lshl_add_u64 v[14:15], v[14:15], 0, 8
	v_add_u32_e32 v1, 64, v1
	v_accvgpr_write_b32 a12, v2
	v_add_u32_e32 v29, 0x100, v29
	s_waitcnt vmcnt(0)
	v_cmp_ge_i32_e64 s[0:1], v2, v0
	s_or_b64 s[12:13], s[0:1], s[12:13]
	s_andn2_b64 exec, exec, s[12:13]
	s_cbranch_execz .LBB359_853
.LBB359_291:                            ; =>This Inner Loop Header: Depth=1
	s_waitcnt vmcnt(0)
	v_ashrrev_i32_e32 v0, 31, v1
	v_mov_b32_e32 v2, v1
	scratch_load_dword v1, off, s32 offset:200 ; 4-byte Folded Reload
	scratch_load_dword v4, off, s32 offset:196 ; 4-byte Folded Reload
	v_accvgpr_write_b32 a13, v2
	s_waitcnt vmcnt(1)
	v_xor_b32_e32 v0, v0, v1
	v_sub_u32_e32 v1, 0, v2
	v_max_i32_e32 v1, v2, v1
	scratch_load_dword v2, off, s32 offset:216 ; 4-byte Folded Reload
	s_waitcnt vmcnt(0)
	v_mul_hi_u32 v2, v1, v2
	v_mul_lo_u32 v3, v2, v4
	v_sub_u32_e32 v1, v1, v3
	v_add_u32_e32 v3, 1, v2
	v_cmp_ge_u32_e64 s[0:1], v1, v4
	s_nop 1
	v_cndmask_b32_e64 v2, v2, v3, s[0:1]
	v_sub_u32_e32 v3, v1, v4
	v_cndmask_b32_e64 v1, v1, v3, s[0:1]
	v_add_u32_e32 v3, 1, v2
	v_cmp_ge_u32_e64 s[0:1], v1, v4
	v_accvgpr_read_b32 v4, a28
	s_nop 0
	v_cndmask_b32_e64 v1, v2, v3, s[0:1]
	scratch_load_dwordx2 v[2:3], off, s32 offset:208 ; 8-byte Folded Reload
	v_xor_b32_e32 v1, v1, v0
	v_sub_u32_e32 v0, v1, v0
	s_waitcnt vmcnt(0)
	v_add_u32_e32 v1, v0, v2
	v_sub_u32_e32 v3, 0, v1
	v_ashrrev_i32_e32 v2, 31, v1
	v_max_i32_e32 v1, v1, v3
	v_mul_hi_u32 v3, v1, v4
	v_mul_lo_u32 v3, v3, v48
	v_sub_u32_e32 v1, v1, v3
	v_sub_u32_e32 v3, v1, v48
	v_cmp_ge_u32_e64 s[0:1], v1, v48
	s_nop 1
	v_cndmask_b32_e64 v1, v1, v3, s[0:1]
	v_sub_u32_e32 v3, v1, v48
	v_cmp_ge_u32_e64 s[0:1], v1, v48
	s_nop 1
	v_cndmask_b32_e64 v1, v1, v3, s[0:1]
	v_xor_b32_e32 v1, v1, v2
	v_sub_u32_e32 v1, v1, v2
	v_cmp_eq_u32_e64 s[0:1], 0, v1
	scratch_load_dword v1, off, s32 offset:220 ; 4-byte Folded Reload
	s_waitcnt vmcnt(0)
	v_cmp_gt_i32_e64 s[2:3], v0, v1
	s_or_b64 s[0:1], s[0:1], s[2:3]
	s_and_saveexec_b64 s[18:19], s[0:1]
	s_cbranch_execz .LBB359_290
; %bb.292:                              ;   in Loop: Header=BB359_291 Depth=1
	flat_load_dword v22, v[14:15]
	ds_read2_b64 v[6:9], v29 offset1:1
	ds_read2_b64 v[0:3], v29 offset0:2 offset1:3
                                        ; implicit-def: $vgpr21
	s_waitcnt lgkmcnt(0)
	v_and_b32_e32 v4, 0x7f800000, v6
	v_cmp_ne_u32_e64 s[0:1], s5, v4
	s_and_saveexec_b64 s[2:3], s[0:1]
	s_xor_b64 s[0:1], exec, s[2:3]
; %bb.293:                              ;   in Loop: Header=BB359_291 Depth=1
	v_bfe_u32 v4, v6, 16, 1
	v_add3_u32 v21, v6, v4, s15
; %bb.294:                              ;   in Loop: Header=BB359_291 Depth=1
	s_andn2_saveexec_b64 s[2:3], s[0:1]
; %bb.295:                              ;   in Loop: Header=BB359_291 Depth=1
	v_or_b32_e32 v4, 0x10000, v6
	v_cmp_eq_u32_sdwa s[0:1], v6, v31 src0_sel:WORD_0 src1_sel:DWORD
	s_nop 1
	v_cndmask_b32_e64 v21, v4, v6, s[0:1]
; %bb.296:                              ;   in Loop: Header=BB359_291 Depth=1
	s_or_b64 exec, exec, s[2:3]
	v_and_b32_e32 v4, 0x7f800000, v7
	v_cmp_ne_u32_e64 s[0:1], s5, v4
                                        ; implicit-def: $vgpr20
	s_and_saveexec_b64 s[2:3], s[0:1]
	s_xor_b64 s[0:1], exec, s[2:3]
; %bb.297:                              ;   in Loop: Header=BB359_291 Depth=1
	v_bfe_u32 v4, v7, 16, 1
	v_add3_u32 v20, v7, v4, s15
; %bb.298:                              ;   in Loop: Header=BB359_291 Depth=1
	s_andn2_saveexec_b64 s[2:3], s[0:1]
; %bb.299:                              ;   in Loop: Header=BB359_291 Depth=1
	v_or_b32_e32 v4, 0x10000, v7
	v_cmp_eq_u32_sdwa s[0:1], v7, v31 src0_sel:WORD_0 src1_sel:DWORD
	s_nop 1
	v_cndmask_b32_e64 v20, v4, v7, s[0:1]
; %bb.300:                              ;   in Loop: Header=BB359_291 Depth=1
	s_or_b64 exec, exec, s[2:3]
	v_and_b32_e32 v4, 0x7f800000, v8
	v_cmp_ne_u32_e64 s[0:1], s5, v4
                                        ; implicit-def: $vgpr11
	s_and_saveexec_b64 s[2:3], s[0:1]
	s_xor_b64 s[0:1], exec, s[2:3]
; %bb.301:                              ;   in Loop: Header=BB359_291 Depth=1
	v_bfe_u32 v4, v8, 16, 1
	v_add3_u32 v11, v8, v4, s15
; %bb.302:                              ;   in Loop: Header=BB359_291 Depth=1
	s_andn2_saveexec_b64 s[2:3], s[0:1]
; %bb.303:                              ;   in Loop: Header=BB359_291 Depth=1
	v_or_b32_e32 v4, 0x10000, v8
	v_cmp_eq_u32_sdwa s[0:1], v8, v31 src0_sel:WORD_0 src1_sel:DWORD
	s_nop 1
	v_cndmask_b32_e64 v11, v4, v8, s[0:1]
; %bb.304:                              ;   in Loop: Header=BB359_291 Depth=1
	s_or_b64 exec, exec, s[2:3]
	v_and_b32_e32 v4, 0x7f800000, v9
	v_cmp_ne_u32_e64 s[0:1], s5, v4
                                        ; implicit-def: $vgpr10
	s_and_saveexec_b64 s[2:3], s[0:1]
	s_xor_b64 s[0:1], exec, s[2:3]
; %bb.305:                              ;   in Loop: Header=BB359_291 Depth=1
	v_bfe_u32 v4, v9, 16, 1
	v_add3_u32 v10, v9, v4, s15
                                        ; implicit-def: $vgpr6_vgpr7_vgpr8_vgpr9
; %bb.306:                              ;   in Loop: Header=BB359_291 Depth=1
	s_andn2_saveexec_b64 s[2:3], s[0:1]
; %bb.307:                              ;   in Loop: Header=BB359_291 Depth=1
	v_or_b32_e32 v4, 0x10000, v9
	v_cmp_eq_u32_sdwa s[0:1], v9, v31 src0_sel:WORD_0 src1_sel:DWORD
	s_nop 1
	v_cndmask_b32_e64 v10, v4, v9, s[0:1]
; %bb.308:                              ;   in Loop: Header=BB359_291 Depth=1
	s_or_b64 exec, exec, s[2:3]
	v_and_b32_e32 v4, 0x7f800000, v0
	v_cmp_ne_u32_e64 s[0:1], s5, v4
                                        ; implicit-def: $vgpr9
	s_and_saveexec_b64 s[2:3], s[0:1]
	s_xor_b64 s[0:1], exec, s[2:3]
; %bb.309:                              ;   in Loop: Header=BB359_291 Depth=1
	v_bfe_u32 v4, v0, 16, 1
	v_add3_u32 v9, v0, v4, s15
; %bb.310:                              ;   in Loop: Header=BB359_291 Depth=1
	s_andn2_saveexec_b64 s[2:3], s[0:1]
; %bb.311:                              ;   in Loop: Header=BB359_291 Depth=1
	v_or_b32_e32 v4, 0x10000, v0
	v_cmp_eq_u32_sdwa s[0:1], v0, v31 src0_sel:WORD_0 src1_sel:DWORD
	s_nop 1
	v_cndmask_b32_e64 v9, v4, v0, s[0:1]
; %bb.312:                              ;   in Loop: Header=BB359_291 Depth=1
	s_or_b64 exec, exec, s[2:3]
	v_and_b32_e32 v0, 0x7f800000, v1
	v_cmp_ne_u32_e64 s[0:1], s5, v0
                                        ; implicit-def: $vgpr8
	s_and_saveexec_b64 s[2:3], s[0:1]
	s_xor_b64 s[0:1], exec, s[2:3]
; %bb.313:                              ;   in Loop: Header=BB359_291 Depth=1
	v_bfe_u32 v0, v1, 16, 1
	v_add3_u32 v8, v1, v0, s15
; %bb.314:                              ;   in Loop: Header=BB359_291 Depth=1
	s_andn2_saveexec_b64 s[2:3], s[0:1]
; %bb.315:                              ;   in Loop: Header=BB359_291 Depth=1
	v_or_b32_e32 v0, 0x10000, v1
	v_cmp_eq_u32_sdwa s[0:1], v1, v31 src0_sel:WORD_0 src1_sel:DWORD
	s_nop 1
	v_cndmask_b32_e64 v8, v0, v1, s[0:1]
; %bb.316:                              ;   in Loop: Header=BB359_291 Depth=1
	s_or_b64 exec, exec, s[2:3]
	v_and_b32_e32 v0, 0x7f800000, v2
	v_cmp_ne_u32_e64 s[0:1], s5, v0
                                        ; implicit-def: $vgpr5
	s_and_saveexec_b64 s[2:3], s[0:1]
	s_xor_b64 s[0:1], exec, s[2:3]
; %bb.317:                              ;   in Loop: Header=BB359_291 Depth=1
	v_bfe_u32 v0, v2, 16, 1
	v_add3_u32 v5, v2, v0, s15
; %bb.318:                              ;   in Loop: Header=BB359_291 Depth=1
	s_andn2_saveexec_b64 s[2:3], s[0:1]
; %bb.319:                              ;   in Loop: Header=BB359_291 Depth=1
	v_or_b32_e32 v0, 0x10000, v2
	v_cmp_eq_u32_sdwa s[0:1], v2, v31 src0_sel:WORD_0 src1_sel:DWORD
	s_nop 1
	v_cndmask_b32_e64 v5, v0, v2, s[0:1]
; %bb.320:                              ;   in Loop: Header=BB359_291 Depth=1
	s_or_b64 exec, exec, s[2:3]
	v_and_b32_e32 v0, 0x7f800000, v3
	v_cmp_ne_u32_e64 s[0:1], s5, v0
                                        ; implicit-def: $vgpr4
	s_and_saveexec_b64 s[2:3], s[0:1]
	s_xor_b64 s[0:1], exec, s[2:3]
; %bb.321:                              ;   in Loop: Header=BB359_291 Depth=1
	v_bfe_u32 v0, v3, 16, 1
	v_add3_u32 v4, v3, v0, s15
                                        ; implicit-def: $vgpr0_vgpr1_vgpr2_vgpr3
; %bb.322:                              ;   in Loop: Header=BB359_291 Depth=1
	s_andn2_saveexec_b64 s[2:3], s[0:1]
; %bb.323:                              ;   in Loop: Header=BB359_291 Depth=1
	v_or_b32_e32 v0, 0x10000, v3
	v_cmp_eq_u32_sdwa s[0:1], v3, v31 src0_sel:WORD_0 src1_sel:DWORD
	s_nop 1
	v_cndmask_b32_e64 v4, v0, v3, s[0:1]
; %bb.324:                              ;   in Loop: Header=BB359_291 Depth=1
	s_or_b64 exec, exec, s[2:3]
	scratch_load_dwordx2 v[0:1], off, s32 offset:232 ; 8-byte Folded Reload
	v_accvgpr_read_b32 v2, a22
	v_accvgpr_read_b32 v3, a23
	s_waitcnt vmcnt(0)
	v_mad_i64_i32 v[0:1], s[0:1], v22, v0, v[2:3]
	v_lshl_add_u64 v[2:3], v[0:1], 0, v[30:31]
	flat_load_dwordx2 v[6:7], v[2:3]
	scratch_load_dwordx2 v[12:13], off, s32 offset:224 ; 8-byte Folded Reload
                                        ; implicit-def: $vgpr22
	s_waitcnt vmcnt(0)
	flat_load_dword v27, v[12:13]
	s_waitcnt lgkmcnt(0)
	v_and_b32_e32 v12, 0xff, v6
	v_cvt_f32_fp8_sdwa v12, v12 src0_sel:BYTE_0
	s_waitcnt vmcnt(0)
	v_mul_f32_e32 v12, v27, v12
	v_and_b32_e32 v13, 0x7f800000, v12
	v_cmp_ne_u32_e64 s[0:1], s5, v13
	s_and_saveexec_b64 s[2:3], s[0:1]
	s_xor_b64 s[0:1], exec, s[2:3]
; %bb.325:                              ;   in Loop: Header=BB359_291 Depth=1
	v_bfe_u32 v13, v12, 16, 1
	v_add3_u32 v22, v12, v13, s15
                                        ; implicit-def: $vgpr12
; %bb.326:                              ;   in Loop: Header=BB359_291 Depth=1
	s_andn2_saveexec_b64 s[2:3], s[0:1]
; %bb.327:                              ;   in Loop: Header=BB359_291 Depth=1
	v_or_b32_e32 v13, 0x10000, v12
	v_cmp_eq_u32_sdwa s[0:1], v12, v31 src0_sel:WORD_0 src1_sel:DWORD
	s_nop 1
	v_cndmask_b32_e64 v22, v13, v12, s[0:1]
; %bb.328:                              ;   in Loop: Header=BB359_291 Depth=1
	s_or_b64 exec, exec, s[2:3]
	v_bfe_u32 v12, v6, 8, 8
	v_cvt_f32_fp8_sdwa v12, v12 src0_sel:BYTE_0
                                        ; implicit-def: $vgpr26
	s_nop 0
	v_mul_f32_e32 v12, v27, v12
	v_and_b32_e32 v13, 0x7f800000, v12
	v_cmp_ne_u32_e64 s[0:1], s5, v13
	s_and_saveexec_b64 s[2:3], s[0:1]
	s_xor_b64 s[0:1], exec, s[2:3]
; %bb.329:                              ;   in Loop: Header=BB359_291 Depth=1
	v_bfe_u32 v13, v12, 16, 1
	v_add3_u32 v26, v12, v13, s15
                                        ; implicit-def: $vgpr12
; %bb.330:                              ;   in Loop: Header=BB359_291 Depth=1
	s_andn2_saveexec_b64 s[2:3], s[0:1]
; %bb.331:                              ;   in Loop: Header=BB359_291 Depth=1
	v_or_b32_e32 v13, 0x10000, v12
	v_cmp_eq_u32_sdwa s[0:1], v12, v31 src0_sel:WORD_0 src1_sel:DWORD
	s_nop 1
	v_cndmask_b32_e64 v26, v13, v12, s[0:1]
; %bb.332:                              ;   in Loop: Header=BB359_291 Depth=1
	s_or_b64 exec, exec, s[2:3]
	v_bfe_u32 v12, v6, 16, 8
	v_cvt_f32_fp8_sdwa v12, v12 src0_sel:BYTE_0
                                        ; implicit-def: $vgpr33
	s_nop 0
	v_mul_f32_e32 v12, v27, v12
	v_and_b32_e32 v13, 0x7f800000, v12
	v_cmp_ne_u32_e64 s[0:1], s5, v13
	s_and_saveexec_b64 s[2:3], s[0:1]
	s_xor_b64 s[0:1], exec, s[2:3]
; %bb.333:                              ;   in Loop: Header=BB359_291 Depth=1
	v_bfe_u32 v13, v12, 16, 1
	v_add3_u32 v33, v12, v13, s15
                                        ; implicit-def: $vgpr12
; %bb.334:                              ;   in Loop: Header=BB359_291 Depth=1
	s_andn2_saveexec_b64 s[2:3], s[0:1]
; %bb.335:                              ;   in Loop: Header=BB359_291 Depth=1
	v_or_b32_e32 v13, 0x10000, v12
	v_cmp_eq_u32_sdwa s[0:1], v12, v31 src0_sel:WORD_0 src1_sel:DWORD
	s_nop 1
	v_cndmask_b32_e64 v33, v13, v12, s[0:1]
; %bb.336:                              ;   in Loop: Header=BB359_291 Depth=1
	s_or_b64 exec, exec, s[2:3]
	v_lshrrev_b32_e32 v6, 24, v6
	v_cvt_f32_fp8_sdwa v6, v6 src0_sel:BYTE_0
	s_nop 0
	v_mul_f32_e32 v12, v27, v6
	v_and_b32_e32 v6, 0x7f800000, v12
	v_cmp_ne_u32_e64 s[0:1], s5, v6
                                        ; implicit-def: $vgpr6
	s_and_saveexec_b64 s[2:3], s[0:1]
	s_xor_b64 s[0:1], exec, s[2:3]
; %bb.337:                              ;   in Loop: Header=BB359_291 Depth=1
	v_bfe_u32 v6, v12, 16, 1
	v_add3_u32 v6, v12, v6, s15
                                        ; implicit-def: $vgpr12
; %bb.338:                              ;   in Loop: Header=BB359_291 Depth=1
	s_andn2_saveexec_b64 s[2:3], s[0:1]
; %bb.339:                              ;   in Loop: Header=BB359_291 Depth=1
	v_or_b32_e32 v6, 0x10000, v12
	v_cmp_eq_u32_sdwa s[0:1], v12, v31 src0_sel:WORD_0 src1_sel:DWORD
	s_nop 1
	v_cndmask_b32_e64 v6, v6, v12, s[0:1]
; %bb.340:                              ;   in Loop: Header=BB359_291 Depth=1
	s_or_b64 exec, exec, s[2:3]
	v_and_b32_e32 v12, 0xff, v7
	v_cvt_f32_fp8_sdwa v12, v12 src0_sel:BYTE_0
	s_nop 0
	v_mul_f32_e32 v13, v27, v12
	v_and_b32_e32 v12, 0x7f800000, v13
	v_cmp_ne_u32_e64 s[0:1], s5, v12
                                        ; implicit-def: $vgpr12
	s_and_saveexec_b64 s[2:3], s[0:1]
	s_xor_b64 s[0:1], exec, s[2:3]
; %bb.341:                              ;   in Loop: Header=BB359_291 Depth=1
	v_bfe_u32 v12, v13, 16, 1
	v_add3_u32 v12, v13, v12, s15
                                        ; implicit-def: $vgpr13
; %bb.342:                              ;   in Loop: Header=BB359_291 Depth=1
	s_andn2_saveexec_b64 s[2:3], s[0:1]
; %bb.343:                              ;   in Loop: Header=BB359_291 Depth=1
	v_or_b32_e32 v12, 0x10000, v13
	v_cmp_eq_u32_sdwa s[0:1], v13, v31 src0_sel:WORD_0 src1_sel:DWORD
	s_nop 1
	v_cndmask_b32_e64 v12, v12, v13, s[0:1]
; %bb.344:                              ;   in Loop: Header=BB359_291 Depth=1
	s_or_b64 exec, exec, s[2:3]
	v_bfe_u32 v13, v7, 8, 8
	v_cvt_f32_fp8_sdwa v13, v13 src0_sel:BYTE_0
	s_nop 0
	v_mul_f32_e32 v28, v27, v13
	v_and_b32_e32 v13, 0x7f800000, v28
	v_cmp_ne_u32_e64 s[0:1], s5, v13
                                        ; implicit-def: $vgpr13
	s_and_saveexec_b64 s[2:3], s[0:1]
	s_xor_b64 s[0:1], exec, s[2:3]
; %bb.345:                              ;   in Loop: Header=BB359_291 Depth=1
	v_bfe_u32 v13, v28, 16, 1
	v_add3_u32 v13, v28, v13, s15
                                        ; implicit-def: $vgpr28
; %bb.346:                              ;   in Loop: Header=BB359_291 Depth=1
	s_andn2_saveexec_b64 s[2:3], s[0:1]
; %bb.347:                              ;   in Loop: Header=BB359_291 Depth=1
	v_or_b32_e32 v13, 0x10000, v28
	v_cmp_eq_u32_sdwa s[0:1], v28, v31 src0_sel:WORD_0 src1_sel:DWORD
	s_nop 1
	v_cndmask_b32_e64 v13, v13, v28, s[0:1]
; %bb.348:                              ;   in Loop: Header=BB359_291 Depth=1
	s_or_b64 exec, exec, s[2:3]
	v_bfe_u32 v23, v7, 16, 8
	v_cvt_f32_fp8_sdwa v23, v23 src0_sel:BYTE_0
                                        ; implicit-def: $vgpr35
	s_nop 0
	v_mul_f32_e32 v28, v27, v23
	v_and_b32_e32 v23, 0x7f800000, v28
	v_cmp_ne_u32_e64 s[0:1], s5, v23
	s_and_saveexec_b64 s[2:3], s[0:1]
	s_xor_b64 s[0:1], exec, s[2:3]
; %bb.349:                              ;   in Loop: Header=BB359_291 Depth=1
	v_bfe_u32 v23, v28, 16, 1
	v_add3_u32 v35, v28, v23, s15
                                        ; implicit-def: $vgpr28
; %bb.350:                              ;   in Loop: Header=BB359_291 Depth=1
	s_andn2_saveexec_b64 s[2:3], s[0:1]
; %bb.351:                              ;   in Loop: Header=BB359_291 Depth=1
	v_or_b32_e32 v23, 0x10000, v28
	v_cmp_eq_u32_sdwa s[0:1], v28, v31 src0_sel:WORD_0 src1_sel:DWORD
	s_nop 1
	v_cndmask_b32_e64 v35, v23, v28, s[0:1]
; %bb.352:                              ;   in Loop: Header=BB359_291 Depth=1
	s_or_b64 exec, exec, s[2:3]
	v_lshrrev_b32_e32 v7, 24, v7
	v_cvt_f32_fp8_sdwa v7, v7 src0_sel:BYTE_0
                                        ; implicit-def: $vgpr36
	s_nop 0
	v_mul_f32_e32 v7, v27, v7
	v_and_b32_e32 v23, 0x7f800000, v7
	v_cmp_ne_u32_e64 s[0:1], s5, v23
	s_and_saveexec_b64 s[2:3], s[0:1]
	s_xor_b64 s[0:1], exec, s[2:3]
; %bb.353:                              ;   in Loop: Header=BB359_291 Depth=1
	v_bfe_u32 v23, v7, 16, 1
	v_add3_u32 v36, v7, v23, s15
                                        ; implicit-def: $vgpr7
; %bb.354:                              ;   in Loop: Header=BB359_291 Depth=1
	s_andn2_saveexec_b64 s[2:3], s[0:1]
; %bb.355:                              ;   in Loop: Header=BB359_291 Depth=1
	v_or_b32_e32 v23, 0x10000, v7
	v_cmp_eq_u32_sdwa s[0:1], v7, v31 src0_sel:WORD_0 src1_sel:DWORD
	s_nop 1
	v_cndmask_b32_e64 v36, v23, v7, s[0:1]
; %bb.356:                              ;   in Loop: Header=BB359_291 Depth=1
	s_or_b64 exec, exec, s[2:3]
	v_accvgpr_read_b32 v28, a12
	v_accvgpr_read_b32 v7, a24
	v_cmp_eq_u32_e64 s[0:1], v7, v28
	v_accvgpr_read_b32 v7, a13
	v_accvgpr_read_b32 v23, a19
	v_add_u32_e32 v40, v23, v7
	v_lshrrev_b32_e32 v32, 16, v13
	v_lshrrev_b32_e32 v34, 16, v12
	;; [unrolled: 1-line block ×8, first 2 shown]
	s_and_saveexec_b64 s[20:21], s[0:1]
	s_cbranch_execz .LBB359_358
; %bb.357:                              ;   in Loop: Header=BB359_291 Depth=1
	v_accvgpr_read_b32 v28, a3
	v_cmp_lt_i32_e64 s[2:3], v40, v28
	v_add_u32_e32 v23, 1, v40
	s_nop 0
	v_cndmask_b32_e64 v22, 0, v22, s[2:3]
	v_cmp_lt_i32_e64 s[2:3], v23, v28
	v_add_u32_e32 v23, 2, v40
	s_nop 0
	v_cndmask_b32_e64 v26, 0, v26, s[2:3]
	;; [unrolled: 4-line block ×7, first 2 shown]
	v_cmp_lt_i32_e64 s[2:3], v23, v28
	s_nop 1
	v_cndmask_b32_e64 v6, 0, v6, s[2:3]
.LBB359_358:                            ;   in Loop: Header=BB359_291 Depth=1
	s_or_b64 exec, exec, s[20:21]
	v_and_b32_e32 v44, 0xffff0000, v21
	v_lshlrev_b32_e32 v21, 16, v22
	v_mul_f32_e32 v21, v44, v21
	v_and_b32_e32 v22, 0x7f800000, v21
	v_cmp_ne_u32_e64 s[2:3], s5, v22
                                        ; implicit-def: $vgpr23
	s_and_saveexec_b64 s[20:21], s[2:3]
	s_xor_b64 s[2:3], exec, s[20:21]
; %bb.359:                              ;   in Loop: Header=BB359_291 Depth=1
	v_bfe_u32 v22, v21, 16, 1
	v_add3_u32 v23, v21, v22, s15
                                        ; implicit-def: $vgpr21
; %bb.360:                              ;   in Loop: Header=BB359_291 Depth=1
	s_andn2_saveexec_b64 s[20:21], s[2:3]
; %bb.361:                              ;   in Loop: Header=BB359_291 Depth=1
	v_or_b32_e32 v22, 0x10000, v21
	v_cmp_eq_u32_sdwa s[2:3], v21, v31 src0_sel:WORD_0 src1_sel:DWORD
	s_nop 1
	v_cndmask_b32_e64 v23, v22, v21, s[2:3]
; %bb.362:                              ;   in Loop: Header=BB359_291 Depth=1
	s_or_b64 exec, exec, s[20:21]
	v_and_b32_e32 v45, 0xffff0000, v20
	v_lshlrev_b32_e32 v20, 16, v26
	v_mul_f32_e32 v20, v45, v20
	v_and_b32_e32 v21, 0x7f800000, v20
	v_cmp_ne_u32_e64 s[2:3], s5, v21
                                        ; implicit-def: $vgpr28
	s_and_saveexec_b64 s[20:21], s[2:3]
	s_xor_b64 s[2:3], exec, s[20:21]
; %bb.363:                              ;   in Loop: Header=BB359_291 Depth=1
	v_bfe_u32 v21, v20, 16, 1
	v_add3_u32 v28, v20, v21, s15
                                        ; implicit-def: $vgpr20
; %bb.364:                              ;   in Loop: Header=BB359_291 Depth=1
	s_andn2_saveexec_b64 s[20:21], s[2:3]
; %bb.365:                              ;   in Loop: Header=BB359_291 Depth=1
	v_or_b32_e32 v21, 0x10000, v20
	v_cmp_eq_u32_sdwa s[2:3], v20, v31 src0_sel:WORD_0 src1_sel:DWORD
	s_nop 1
	v_cndmask_b32_e64 v28, v21, v20, s[2:3]
; %bb.366:                              ;   in Loop: Header=BB359_291 Depth=1
	s_or_b64 exec, exec, s[20:21]
	v_and_b32_e32 v46, 0xffff0000, v11
	v_lshlrev_b32_e32 v11, 16, v13
	v_mul_f32_e32 v11, v46, v11
	v_and_b32_e32 v13, 0x7f800000, v11
	v_cmp_ne_u32_e64 s[2:3], s5, v13
                                        ; implicit-def: $agpr15
	s_and_saveexec_b64 s[20:21], s[2:3]
	s_xor_b64 s[2:3], exec, s[20:21]
; %bb.367:                              ;   in Loop: Header=BB359_291 Depth=1
	v_bfe_u32 v13, v11, 16, 1
	v_add3_u32 v11, v11, v13, s15
	v_accvgpr_write_b32 a15, v11
                                        ; implicit-def: $vgpr11
; %bb.368:                              ;   in Loop: Header=BB359_291 Depth=1
	s_andn2_saveexec_b64 s[20:21], s[2:3]
; %bb.369:                              ;   in Loop: Header=BB359_291 Depth=1
	v_or_b32_e32 v13, 0x10000, v11
	v_cmp_eq_u32_sdwa s[2:3], v11, v31 src0_sel:WORD_0 src1_sel:DWORD
	s_nop 1
	v_cndmask_b32_e64 v11, v13, v11, s[2:3]
	v_accvgpr_write_b32 a15, v11
; %bb.370:                              ;   in Loop: Header=BB359_291 Depth=1
	s_or_b64 exec, exec, s[20:21]
	v_and_b32_e32 v47, 0xffff0000, v10
	v_lshlrev_b32_e32 v10, 16, v12
	v_mul_f32_e32 v10, v47, v10
	v_and_b32_e32 v11, 0x7f800000, v10
	v_cmp_ne_u32_e64 s[2:3], s5, v11
                                        ; implicit-def: $agpr25
	s_and_saveexec_b64 s[20:21], s[2:3]
	s_xor_b64 s[2:3], exec, s[20:21]
; %bb.371:                              ;   in Loop: Header=BB359_291 Depth=1
	v_bfe_u32 v11, v10, 16, 1
	v_add3_u32 v10, v10, v11, s15
	v_accvgpr_write_b32 a25, v10
                                        ; implicit-def: $vgpr10
; %bb.372:                              ;   in Loop: Header=BB359_291 Depth=1
	s_andn2_saveexec_b64 s[20:21], s[2:3]
; %bb.373:                              ;   in Loop: Header=BB359_291 Depth=1
	v_or_b32_e32 v11, 0x10000, v10
	v_cmp_eq_u32_sdwa s[2:3], v10, v31 src0_sel:WORD_0 src1_sel:DWORD
	s_nop 1
	v_cndmask_b32_e64 v10, v11, v10, s[2:3]
	v_accvgpr_write_b32 a25, v10
; %bb.374:                              ;   in Loop: Header=BB359_291 Depth=1
	s_or_b64 exec, exec, s[20:21]
	v_and_b32_e32 v56, 0xffff0000, v9
	v_lshlrev_b32_e32 v9, 16, v34
	v_mul_f32_e32 v9, v56, v9
	v_and_b32_e32 v10, 0x7f800000, v9
	v_cmp_ne_u32_e64 s[2:3], s5, v10
                                        ; implicit-def: $agpr29
	s_and_saveexec_b64 s[20:21], s[2:3]
	s_xor_b64 s[2:3], exec, s[20:21]
; %bb.375:                              ;   in Loop: Header=BB359_291 Depth=1
	v_bfe_u32 v10, v9, 16, 1
	v_add3_u32 v9, v9, v10, s15
	v_accvgpr_write_b32 a29, v9
                                        ; implicit-def: $vgpr9
; %bb.376:                              ;   in Loop: Header=BB359_291 Depth=1
	s_andn2_saveexec_b64 s[20:21], s[2:3]
; %bb.377:                              ;   in Loop: Header=BB359_291 Depth=1
	v_or_b32_e32 v10, 0x10000, v9
	v_cmp_eq_u32_sdwa s[2:3], v9, v31 src0_sel:WORD_0 src1_sel:DWORD
	s_nop 1
	v_cndmask_b32_e64 v9, v10, v9, s[2:3]
	v_accvgpr_write_b32 a29, v9
; %bb.378:                              ;   in Loop: Header=BB359_291 Depth=1
	s_or_b64 exec, exec, s[20:21]
	v_and_b32_e32 v57, 0xffff0000, v8
	v_lshlrev_b32_e32 v8, 16, v32
	v_mul_f32_e32 v8, v57, v8
	v_and_b32_e32 v9, 0x7f800000, v8
	v_cmp_ne_u32_e64 s[2:3], s5, v9
                                        ; implicit-def: $agpr30
	s_and_saveexec_b64 s[20:21], s[2:3]
	s_xor_b64 s[2:3], exec, s[20:21]
; %bb.379:                              ;   in Loop: Header=BB359_291 Depth=1
	v_bfe_u32 v9, v8, 16, 1
	v_add3_u32 v8, v8, v9, s15
	v_accvgpr_write_b32 a30, v8
                                        ; implicit-def: $vgpr8
; %bb.380:                              ;   in Loop: Header=BB359_291 Depth=1
	s_andn2_saveexec_b64 s[20:21], s[2:3]
; %bb.381:                              ;   in Loop: Header=BB359_291 Depth=1
	v_or_b32_e32 v9, 0x10000, v8
	v_cmp_eq_u32_sdwa s[2:3], v8, v31 src0_sel:WORD_0 src1_sel:DWORD
	s_nop 1
	v_cndmask_b32_e64 v8, v9, v8, s[2:3]
	v_accvgpr_write_b32 a30, v8
; %bb.382:                              ;   in Loop: Header=BB359_291 Depth=1
	s_or_b64 exec, exec, s[20:21]
	v_and_b32_e32 v58, 0xffff0000, v5
	v_lshlrev_b32_e32 v5, 16, v7
	v_mul_f32_e32 v5, v58, v5
	v_and_b32_e32 v7, 0x7f800000, v5
	v_cmp_ne_u32_e64 s[2:3], s5, v7
                                        ; implicit-def: $agpr31
	s_and_saveexec_b64 s[20:21], s[2:3]
	s_xor_b64 s[2:3], exec, s[20:21]
; %bb.383:                              ;   in Loop: Header=BB359_291 Depth=1
	v_bfe_u32 v7, v5, 16, 1
	v_add3_u32 v5, v5, v7, s15
	v_accvgpr_write_b32 a31, v5
                                        ; implicit-def: $vgpr5
; %bb.384:                              ;   in Loop: Header=BB359_291 Depth=1
	s_andn2_saveexec_b64 s[20:21], s[2:3]
; %bb.385:                              ;   in Loop: Header=BB359_291 Depth=1
	v_or_b32_e32 v7, 0x10000, v5
	v_cmp_eq_u32_sdwa s[2:3], v5, v31 src0_sel:WORD_0 src1_sel:DWORD
	s_nop 1
	v_cndmask_b32_e64 v5, v7, v5, s[2:3]
	v_accvgpr_write_b32 a31, v5
; %bb.386:                              ;   in Loop: Header=BB359_291 Depth=1
	s_or_b64 exec, exec, s[20:21]
	v_and_b32_e32 v59, 0xffff0000, v4
	v_lshlrev_b32_e32 v4, 16, v6
	v_mul_f32_e32 v4, v59, v4
	v_and_b32_e32 v5, 0x7f800000, v4
	v_cmp_ne_u32_e64 s[2:3], s5, v5
                                        ; implicit-def: $agpr32
	s_and_saveexec_b64 s[20:21], s[2:3]
	s_xor_b64 s[2:3], exec, s[20:21]
; %bb.387:                              ;   in Loop: Header=BB359_291 Depth=1
	v_bfe_u32 v5, v4, 16, 1
	v_add3_u32 v4, v4, v5, s15
	v_accvgpr_write_b32 a32, v4
                                        ; implicit-def: $vgpr4
; %bb.388:                              ;   in Loop: Header=BB359_291 Depth=1
	s_andn2_saveexec_b64 s[20:21], s[2:3]
; %bb.389:                              ;   in Loop: Header=BB359_291 Depth=1
	v_or_b32_e32 v5, 0x10000, v4
	v_cmp_eq_u32_sdwa s[2:3], v4, v31 src0_sel:WORD_0 src1_sel:DWORD
	s_nop 1
	v_cndmask_b32_e64 v4, v5, v4, s[2:3]
	v_accvgpr_write_b32 a32, v4
; %bb.390:                              ;   in Loop: Header=BB359_291 Depth=1
	s_or_b64 exec, exec, s[20:21]
	flat_load_dwordx2 v[6:7], v[2:3] offset:512
	s_waitcnt vmcnt(0) lgkmcnt(0)
	v_and_b32_e32 v4, 0xff, v6
	v_cvt_f32_fp8_sdwa v4, v4 src0_sel:BYTE_0
	s_nop 0
	v_mul_f32_e32 v5, v27, v4
	v_and_b32_e32 v4, 0x7f800000, v5
	v_cmp_ne_u32_e64 s[2:3], s5, v4
                                        ; implicit-def: $vgpr4
	s_and_saveexec_b64 s[20:21], s[2:3]
	s_xor_b64 s[2:3], exec, s[20:21]
; %bb.391:                              ;   in Loop: Header=BB359_291 Depth=1
	v_bfe_u32 v4, v5, 16, 1
	v_add3_u32 v4, v5, v4, s15
                                        ; implicit-def: $vgpr5
; %bb.392:                              ;   in Loop: Header=BB359_291 Depth=1
	s_andn2_saveexec_b64 s[20:21], s[2:3]
; %bb.393:                              ;   in Loop: Header=BB359_291 Depth=1
	v_or_b32_e32 v4, 0x10000, v5
	v_cmp_eq_u32_sdwa s[2:3], v5, v31 src0_sel:WORD_0 src1_sel:DWORD
	s_nop 1
	v_cndmask_b32_e64 v4, v4, v5, s[2:3]
; %bb.394:                              ;   in Loop: Header=BB359_291 Depth=1
	s_or_b64 exec, exec, s[20:21]
	v_bfe_u32 v5, v6, 8, 8
	v_cvt_f32_fp8_sdwa v5, v5 src0_sel:BYTE_0
	s_nop 0
	v_mul_f32_e32 v8, v27, v5
	v_and_b32_e32 v5, 0x7f800000, v8
	v_cmp_ne_u32_e64 s[2:3], s5, v5
                                        ; implicit-def: $vgpr5
	s_and_saveexec_b64 s[20:21], s[2:3]
	s_xor_b64 s[2:3], exec, s[20:21]
; %bb.395:                              ;   in Loop: Header=BB359_291 Depth=1
	v_bfe_u32 v5, v8, 16, 1
	v_add3_u32 v5, v8, v5, s15
                                        ; implicit-def: $vgpr8
; %bb.396:                              ;   in Loop: Header=BB359_291 Depth=1
	s_andn2_saveexec_b64 s[20:21], s[2:3]
; %bb.397:                              ;   in Loop: Header=BB359_291 Depth=1
	v_or_b32_e32 v5, 0x10000, v8
	v_cmp_eq_u32_sdwa s[2:3], v8, v31 src0_sel:WORD_0 src1_sel:DWORD
	s_nop 1
	v_cndmask_b32_e64 v5, v5, v8, s[2:3]
; %bb.398:                              ;   in Loop: Header=BB359_291 Depth=1
	s_or_b64 exec, exec, s[20:21]
	v_bfe_u32 v8, v6, 16, 8
	v_cvt_f32_fp8_sdwa v8, v8 src0_sel:BYTE_0
	s_nop 0
	v_mul_f32_e32 v9, v27, v8
	v_and_b32_e32 v8, 0x7f800000, v9
	v_cmp_ne_u32_e64 s[2:3], s5, v8
                                        ; implicit-def: $vgpr8
	s_and_saveexec_b64 s[20:21], s[2:3]
	s_xor_b64 s[2:3], exec, s[20:21]
; %bb.399:                              ;   in Loop: Header=BB359_291 Depth=1
	v_bfe_u32 v8, v9, 16, 1
	v_add3_u32 v8, v9, v8, s15
                                        ; implicit-def: $vgpr9
; %bb.400:                              ;   in Loop: Header=BB359_291 Depth=1
	s_andn2_saveexec_b64 s[20:21], s[2:3]
; %bb.401:                              ;   in Loop: Header=BB359_291 Depth=1
	v_or_b32_e32 v8, 0x10000, v9
	v_cmp_eq_u32_sdwa s[2:3], v9, v31 src0_sel:WORD_0 src1_sel:DWORD
	s_nop 1
	v_cndmask_b32_e64 v8, v8, v9, s[2:3]
; %bb.402:                              ;   in Loop: Header=BB359_291 Depth=1
	s_or_b64 exec, exec, s[20:21]
	v_lshrrev_b32_e32 v6, 24, v6
	v_cvt_f32_fp8_sdwa v6, v6 src0_sel:BYTE_0
	s_nop 0
	v_mul_f32_e32 v6, v27, v6
	v_and_b32_e32 v9, 0x7f800000, v6
	v_cmp_ne_u32_e64 s[2:3], s5, v9
                                        ; implicit-def: $vgpr9
	s_and_saveexec_b64 s[20:21], s[2:3]
	s_xor_b64 s[2:3], exec, s[20:21]
; %bb.403:                              ;   in Loop: Header=BB359_291 Depth=1
	v_bfe_u32 v9, v6, 16, 1
	v_add3_u32 v9, v6, v9, s15
                                        ; implicit-def: $vgpr6
; %bb.404:                              ;   in Loop: Header=BB359_291 Depth=1
	s_andn2_saveexec_b64 s[20:21], s[2:3]
; %bb.405:                              ;   in Loop: Header=BB359_291 Depth=1
	v_or_b32_e32 v9, 0x10000, v6
	v_cmp_eq_u32_sdwa s[2:3], v6, v31 src0_sel:WORD_0 src1_sel:DWORD
	s_nop 1
	v_cndmask_b32_e64 v9, v9, v6, s[2:3]
; %bb.406:                              ;   in Loop: Header=BB359_291 Depth=1
	s_or_b64 exec, exec, s[20:21]
	v_and_b32_e32 v6, 0xff, v7
	v_cvt_f32_fp8_sdwa v6, v6 src0_sel:BYTE_0
	s_nop 0
	v_mul_f32_e32 v6, v27, v6
	v_and_b32_e32 v10, 0x7f800000, v6
	v_cmp_ne_u32_e64 s[2:3], s5, v10
                                        ; implicit-def: $vgpr10
	s_and_saveexec_b64 s[20:21], s[2:3]
	s_xor_b64 s[2:3], exec, s[20:21]
; %bb.407:                              ;   in Loop: Header=BB359_291 Depth=1
	v_bfe_u32 v10, v6, 16, 1
	v_add3_u32 v10, v6, v10, s15
                                        ; implicit-def: $vgpr6
; %bb.408:                              ;   in Loop: Header=BB359_291 Depth=1
	s_andn2_saveexec_b64 s[20:21], s[2:3]
; %bb.409:                              ;   in Loop: Header=BB359_291 Depth=1
	v_or_b32_e32 v10, 0x10000, v6
	v_cmp_eq_u32_sdwa s[2:3], v6, v31 src0_sel:WORD_0 src1_sel:DWORD
	s_nop 1
	v_cndmask_b32_e64 v10, v10, v6, s[2:3]
; %bb.410:                              ;   in Loop: Header=BB359_291 Depth=1
	s_or_b64 exec, exec, s[20:21]
	v_bfe_u32 v6, v7, 8, 8
	v_cvt_f32_fp8_sdwa v6, v6 src0_sel:BYTE_0
	s_nop 0
	v_mul_f32_e32 v11, v27, v6
	v_and_b32_e32 v6, 0x7f800000, v11
	v_cmp_ne_u32_e64 s[2:3], s5, v6
                                        ; implicit-def: $vgpr6
	s_and_saveexec_b64 s[20:21], s[2:3]
	s_xor_b64 s[2:3], exec, s[20:21]
; %bb.411:                              ;   in Loop: Header=BB359_291 Depth=1
	v_bfe_u32 v6, v11, 16, 1
	v_add3_u32 v6, v11, v6, s15
                                        ; implicit-def: $vgpr11
; %bb.412:                              ;   in Loop: Header=BB359_291 Depth=1
	s_andn2_saveexec_b64 s[20:21], s[2:3]
; %bb.413:                              ;   in Loop: Header=BB359_291 Depth=1
	v_or_b32_e32 v6, 0x10000, v11
	v_cmp_eq_u32_sdwa s[2:3], v11, v31 src0_sel:WORD_0 src1_sel:DWORD
	s_nop 1
	v_cndmask_b32_e64 v6, v6, v11, s[2:3]
; %bb.414:                              ;   in Loop: Header=BB359_291 Depth=1
	s_or_b64 exec, exec, s[20:21]
	v_bfe_u32 v11, v7, 16, 8
	v_cvt_f32_fp8_sdwa v11, v11 src0_sel:BYTE_0
	s_nop 0
	v_mul_f32_e32 v12, v27, v11
	v_and_b32_e32 v11, 0x7f800000, v12
	v_cmp_ne_u32_e64 s[2:3], s5, v11
                                        ; implicit-def: $vgpr11
	s_and_saveexec_b64 s[20:21], s[2:3]
	s_xor_b64 s[2:3], exec, s[20:21]
; %bb.415:                              ;   in Loop: Header=BB359_291 Depth=1
	v_bfe_u32 v11, v12, 16, 1
	v_add3_u32 v11, v12, v11, s15
                                        ; implicit-def: $vgpr12
; %bb.416:                              ;   in Loop: Header=BB359_291 Depth=1
	s_andn2_saveexec_b64 s[20:21], s[2:3]
; %bb.417:                              ;   in Loop: Header=BB359_291 Depth=1
	v_or_b32_e32 v11, 0x10000, v12
	v_cmp_eq_u32_sdwa s[2:3], v12, v31 src0_sel:WORD_0 src1_sel:DWORD
	s_nop 1
	v_cndmask_b32_e64 v11, v11, v12, s[2:3]
; %bb.418:                              ;   in Loop: Header=BB359_291 Depth=1
	s_or_b64 exec, exec, s[20:21]
	v_lshrrev_b32_e32 v7, 24, v7
	v_cvt_f32_fp8_sdwa v7, v7 src0_sel:BYTE_0
                                        ; implicit-def: $vgpr13
	s_nop 0
	v_mul_f32_e32 v7, v27, v7
	v_and_b32_e32 v12, 0x7f800000, v7
	v_cmp_ne_u32_e64 s[2:3], s5, v12
	s_and_saveexec_b64 s[20:21], s[2:3]
	s_xor_b64 s[2:3], exec, s[20:21]
; %bb.419:                              ;   in Loop: Header=BB359_291 Depth=1
	v_bfe_u32 v12, v7, 16, 1
	v_add3_u32 v13, v7, v12, s15
                                        ; implicit-def: $vgpr7
; %bb.420:                              ;   in Loop: Header=BB359_291 Depth=1
	s_andn2_saveexec_b64 s[20:21], s[2:3]
; %bb.421:                              ;   in Loop: Header=BB359_291 Depth=1
	v_or_b32_e32 v12, 0x10000, v7
	v_cmp_eq_u32_sdwa s[2:3], v7, v31 src0_sel:WORD_0 src1_sel:DWORD
	s_nop 1
	v_cndmask_b32_e64 v13, v12, v7, s[2:3]
; %bb.422:                              ;   in Loop: Header=BB359_291 Depth=1
	s_or_b64 exec, exec, s[20:21]
	v_lshrrev_b32_e32 v6, 16, v6
	v_lshrrev_b32_e32 v7, 16, v10
	;; [unrolled: 1-line block ×8, first 2 shown]
	s_and_saveexec_b64 s[20:21], s[0:1]
	s_cbranch_execz .LBB359_424
; %bb.423:                              ;   in Loop: Header=BB359_291 Depth=1
	v_accvgpr_read_b32 v13, a3
	v_cmp_lt_i32_e64 s[2:3], v40, v13
	v_add_u32_e32 v11, 1, v40
	s_nop 0
	v_cndmask_b32_e64 v12, 0, v12, s[2:3]
	v_cmp_lt_i32_e64 s[2:3], v11, v13
	v_add_u32_e32 v11, 2, v40
	s_nop 0
	v_cndmask_b32_e64 v10, 0, v10, s[2:3]
	;; [unrolled: 4-line block ×7, first 2 shown]
	v_cmp_lt_i32_e64 s[2:3], v11, v13
	s_nop 1
	v_cndmask_b32_e64 v4, 0, v4, s[2:3]
.LBB359_424:                            ;   in Loop: Header=BB359_291 Depth=1
	s_or_b64 exec, exec, s[20:21]
	v_lshlrev_b32_e32 v11, 16, v12
	v_mul_f32_e32 v11, v44, v11
	v_and_b32_e32 v12, 0x7f800000, v11
	v_cmp_ne_u32_e64 s[2:3], s5, v12
                                        ; implicit-def: $agpr33
	s_and_saveexec_b64 s[20:21], s[2:3]
	s_xor_b64 s[2:3], exec, s[20:21]
; %bb.425:                              ;   in Loop: Header=BB359_291 Depth=1
	v_bfe_u32 v12, v11, 16, 1
	v_add3_u32 v11, v11, v12, s15
	v_accvgpr_write_b32 a33, v11
                                        ; implicit-def: $vgpr11
; %bb.426:                              ;   in Loop: Header=BB359_291 Depth=1
	s_andn2_saveexec_b64 s[20:21], s[2:3]
; %bb.427:                              ;   in Loop: Header=BB359_291 Depth=1
	v_or_b32_e32 v12, 0x10000, v11
	v_cmp_eq_u32_sdwa s[2:3], v11, v31 src0_sel:WORD_0 src1_sel:DWORD
	s_nop 1
	v_cndmask_b32_e64 v11, v12, v11, s[2:3]
	v_accvgpr_write_b32 a33, v11
; %bb.428:                              ;   in Loop: Header=BB359_291 Depth=1
	s_or_b64 exec, exec, s[20:21]
	v_lshlrev_b32_e32 v10, 16, v10
	v_mul_f32_e32 v10, v45, v10
	v_and_b32_e32 v11, 0x7f800000, v10
	v_cmp_ne_u32_e64 s[2:3], s5, v11
                                        ; implicit-def: $agpr34
	s_and_saveexec_b64 s[20:21], s[2:3]
	s_xor_b64 s[2:3], exec, s[20:21]
; %bb.429:                              ;   in Loop: Header=BB359_291 Depth=1
	v_bfe_u32 v11, v10, 16, 1
	v_add3_u32 v10, v10, v11, s15
	v_accvgpr_write_b32 a34, v10
                                        ; implicit-def: $vgpr10
; %bb.430:                              ;   in Loop: Header=BB359_291 Depth=1
	s_andn2_saveexec_b64 s[20:21], s[2:3]
; %bb.431:                              ;   in Loop: Header=BB359_291 Depth=1
	v_or_b32_e32 v11, 0x10000, v10
	v_cmp_eq_u32_sdwa s[2:3], v10, v31 src0_sel:WORD_0 src1_sel:DWORD
	s_nop 1
	v_cndmask_b32_e64 v10, v11, v10, s[2:3]
	v_accvgpr_write_b32 a34, v10
; %bb.432:                              ;   in Loop: Header=BB359_291 Depth=1
	s_or_b64 exec, exec, s[20:21]
	v_lshlrev_b32_e32 v8, 16, v8
	v_mul_f32_e32 v8, v46, v8
	v_and_b32_e32 v10, 0x7f800000, v8
	v_cmp_ne_u32_e64 s[2:3], s5, v10
                                        ; implicit-def: $agpr35
	s_and_saveexec_b64 s[20:21], s[2:3]
	s_xor_b64 s[2:3], exec, s[20:21]
; %bb.433:                              ;   in Loop: Header=BB359_291 Depth=1
	v_bfe_u32 v10, v8, 16, 1
	v_add3_u32 v8, v8, v10, s15
	v_accvgpr_write_b32 a35, v8
                                        ; implicit-def: $vgpr8
; %bb.434:                              ;   in Loop: Header=BB359_291 Depth=1
	s_andn2_saveexec_b64 s[20:21], s[2:3]
; %bb.435:                              ;   in Loop: Header=BB359_291 Depth=1
	v_or_b32_e32 v10, 0x10000, v8
	v_cmp_eq_u32_sdwa s[2:3], v8, v31 src0_sel:WORD_0 src1_sel:DWORD
	s_nop 1
	v_cndmask_b32_e64 v8, v10, v8, s[2:3]
	v_accvgpr_write_b32 a35, v8
; %bb.436:                              ;   in Loop: Header=BB359_291 Depth=1
	s_or_b64 exec, exec, s[20:21]
	v_lshlrev_b32_e32 v8, 16, v9
	v_mul_f32_e32 v8, v47, v8
	v_and_b32_e32 v9, 0x7f800000, v8
	v_cmp_ne_u32_e64 s[2:3], s5, v9
                                        ; implicit-def: $agpr36
	s_and_saveexec_b64 s[20:21], s[2:3]
	s_xor_b64 s[2:3], exec, s[20:21]
; %bb.437:                              ;   in Loop: Header=BB359_291 Depth=1
	v_bfe_u32 v9, v8, 16, 1
	v_add3_u32 v8, v8, v9, s15
	v_accvgpr_write_b32 a36, v8
                                        ; implicit-def: $vgpr8
; %bb.438:                              ;   in Loop: Header=BB359_291 Depth=1
	s_andn2_saveexec_b64 s[20:21], s[2:3]
; %bb.439:                              ;   in Loop: Header=BB359_291 Depth=1
	v_or_b32_e32 v9, 0x10000, v8
	v_cmp_eq_u32_sdwa s[2:3], v8, v31 src0_sel:WORD_0 src1_sel:DWORD
	s_nop 1
	v_cndmask_b32_e64 v8, v9, v8, s[2:3]
	v_accvgpr_write_b32 a36, v8
; %bb.440:                              ;   in Loop: Header=BB359_291 Depth=1
	s_or_b64 exec, exec, s[20:21]
	v_lshlrev_b32_e32 v7, 16, v7
	v_mul_f32_e32 v7, v56, v7
	v_and_b32_e32 v8, 0x7f800000, v7
	v_cmp_ne_u32_e64 s[2:3], s5, v8
                                        ; implicit-def: $agpr37
	s_and_saveexec_b64 s[20:21], s[2:3]
	s_xor_b64 s[2:3], exec, s[20:21]
; %bb.441:                              ;   in Loop: Header=BB359_291 Depth=1
	v_bfe_u32 v8, v7, 16, 1
	v_add3_u32 v7, v7, v8, s15
	v_accvgpr_write_b32 a37, v7
                                        ; implicit-def: $vgpr7
; %bb.442:                              ;   in Loop: Header=BB359_291 Depth=1
	s_andn2_saveexec_b64 s[20:21], s[2:3]
; %bb.443:                              ;   in Loop: Header=BB359_291 Depth=1
	v_or_b32_e32 v8, 0x10000, v7
	v_cmp_eq_u32_sdwa s[2:3], v7, v31 src0_sel:WORD_0 src1_sel:DWORD
	s_nop 1
	v_cndmask_b32_e64 v7, v8, v7, s[2:3]
	v_accvgpr_write_b32 a37, v7
; %bb.444:                              ;   in Loop: Header=BB359_291 Depth=1
	s_or_b64 exec, exec, s[20:21]
	v_lshlrev_b32_e32 v6, 16, v6
	v_mul_f32_e32 v6, v57, v6
	v_and_b32_e32 v7, 0x7f800000, v6
	v_cmp_ne_u32_e64 s[2:3], s5, v7
                                        ; implicit-def: $agpr38
	s_and_saveexec_b64 s[20:21], s[2:3]
	s_xor_b64 s[2:3], exec, s[20:21]
; %bb.445:                              ;   in Loop: Header=BB359_291 Depth=1
	v_bfe_u32 v7, v6, 16, 1
	v_add3_u32 v6, v6, v7, s15
	v_accvgpr_write_b32 a38, v6
                                        ; implicit-def: $vgpr6
; %bb.446:                              ;   in Loop: Header=BB359_291 Depth=1
	s_andn2_saveexec_b64 s[20:21], s[2:3]
; %bb.447:                              ;   in Loop: Header=BB359_291 Depth=1
	v_or_b32_e32 v7, 0x10000, v6
	v_cmp_eq_u32_sdwa s[2:3], v6, v31 src0_sel:WORD_0 src1_sel:DWORD
	s_nop 1
	v_cndmask_b32_e64 v6, v7, v6, s[2:3]
	v_accvgpr_write_b32 a38, v6
; %bb.448:                              ;   in Loop: Header=BB359_291 Depth=1
	s_or_b64 exec, exec, s[20:21]
	v_lshlrev_b32_e32 v5, 16, v5
	v_mul_f32_e32 v5, v58, v5
	v_and_b32_e32 v6, 0x7f800000, v5
	v_cmp_ne_u32_e64 s[2:3], s5, v6
                                        ; implicit-def: $agpr39
	s_and_saveexec_b64 s[20:21], s[2:3]
	s_xor_b64 s[2:3], exec, s[20:21]
; %bb.449:                              ;   in Loop: Header=BB359_291 Depth=1
	v_bfe_u32 v6, v5, 16, 1
	v_add3_u32 v5, v5, v6, s15
	v_accvgpr_write_b32 a39, v5
                                        ; implicit-def: $vgpr5
; %bb.450:                              ;   in Loop: Header=BB359_291 Depth=1
	s_andn2_saveexec_b64 s[20:21], s[2:3]
; %bb.451:                              ;   in Loop: Header=BB359_291 Depth=1
	v_or_b32_e32 v6, 0x10000, v5
	v_cmp_eq_u32_sdwa s[2:3], v5, v31 src0_sel:WORD_0 src1_sel:DWORD
	s_nop 1
	v_cndmask_b32_e64 v5, v6, v5, s[2:3]
	v_accvgpr_write_b32 a39, v5
; %bb.452:                              ;   in Loop: Header=BB359_291 Depth=1
	s_or_b64 exec, exec, s[20:21]
	v_lshlrev_b32_e32 v4, 16, v4
	v_mul_f32_e32 v4, v59, v4
	v_and_b32_e32 v5, 0x7f800000, v4
	v_cmp_ne_u32_e64 s[2:3], s5, v5
                                        ; implicit-def: $agpr40
	s_and_saveexec_b64 s[20:21], s[2:3]
	s_xor_b64 s[2:3], exec, s[20:21]
; %bb.453:                              ;   in Loop: Header=BB359_291 Depth=1
	v_bfe_u32 v5, v4, 16, 1
	v_add3_u32 v4, v4, v5, s15
	v_accvgpr_write_b32 a40, v4
                                        ; implicit-def: $vgpr4
; %bb.454:                              ;   in Loop: Header=BB359_291 Depth=1
	s_andn2_saveexec_b64 s[20:21], s[2:3]
; %bb.455:                              ;   in Loop: Header=BB359_291 Depth=1
	v_or_b32_e32 v5, 0x10000, v4
	v_cmp_eq_u32_sdwa s[2:3], v4, v31 src0_sel:WORD_0 src1_sel:DWORD
	s_nop 1
	v_cndmask_b32_e64 v4, v5, v4, s[2:3]
	v_accvgpr_write_b32 a40, v4
; %bb.456:                              ;   in Loop: Header=BB359_291 Depth=1
	s_or_b64 exec, exec, s[20:21]
	flat_load_dwordx2 v[6:7], v[2:3] offset:1024
	s_waitcnt vmcnt(0) lgkmcnt(0)
	v_and_b32_e32 v4, 0xff, v6
	v_cvt_f32_fp8_sdwa v4, v4 src0_sel:BYTE_0
	s_nop 0
	v_mul_f32_e32 v5, v27, v4
	v_and_b32_e32 v4, 0x7f800000, v5
	v_cmp_ne_u32_e64 s[2:3], s5, v4
                                        ; implicit-def: $vgpr4
	s_and_saveexec_b64 s[20:21], s[2:3]
	s_xor_b64 s[2:3], exec, s[20:21]
; %bb.457:                              ;   in Loop: Header=BB359_291 Depth=1
	v_bfe_u32 v4, v5, 16, 1
	v_add3_u32 v4, v5, v4, s15
                                        ; implicit-def: $vgpr5
; %bb.458:                              ;   in Loop: Header=BB359_291 Depth=1
	s_andn2_saveexec_b64 s[20:21], s[2:3]
; %bb.459:                              ;   in Loop: Header=BB359_291 Depth=1
	v_or_b32_e32 v4, 0x10000, v5
	v_cmp_eq_u32_sdwa s[2:3], v5, v31 src0_sel:WORD_0 src1_sel:DWORD
	s_nop 1
	v_cndmask_b32_e64 v4, v4, v5, s[2:3]
; %bb.460:                              ;   in Loop: Header=BB359_291 Depth=1
	s_or_b64 exec, exec, s[20:21]
	v_bfe_u32 v5, v6, 8, 8
	v_cvt_f32_fp8_sdwa v5, v5 src0_sel:BYTE_0
	s_nop 0
	v_mul_f32_e32 v8, v27, v5
	v_and_b32_e32 v5, 0x7f800000, v8
	v_cmp_ne_u32_e64 s[2:3], s5, v5
                                        ; implicit-def: $vgpr5
	s_and_saveexec_b64 s[20:21], s[2:3]
	s_xor_b64 s[2:3], exec, s[20:21]
; %bb.461:                              ;   in Loop: Header=BB359_291 Depth=1
	v_bfe_u32 v5, v8, 16, 1
	v_add3_u32 v5, v8, v5, s15
                                        ; implicit-def: $vgpr8
; %bb.462:                              ;   in Loop: Header=BB359_291 Depth=1
	s_andn2_saveexec_b64 s[20:21], s[2:3]
; %bb.463:                              ;   in Loop: Header=BB359_291 Depth=1
	v_or_b32_e32 v5, 0x10000, v8
	v_cmp_eq_u32_sdwa s[2:3], v8, v31 src0_sel:WORD_0 src1_sel:DWORD
	s_nop 1
	v_cndmask_b32_e64 v5, v5, v8, s[2:3]
; %bb.464:                              ;   in Loop: Header=BB359_291 Depth=1
	s_or_b64 exec, exec, s[20:21]
	v_bfe_u32 v8, v6, 16, 8
	v_cvt_f32_fp8_sdwa v8, v8 src0_sel:BYTE_0
	s_nop 0
	v_mul_f32_e32 v9, v27, v8
	v_and_b32_e32 v8, 0x7f800000, v9
	v_cmp_ne_u32_e64 s[2:3], s5, v8
                                        ; implicit-def: $vgpr8
	s_and_saveexec_b64 s[20:21], s[2:3]
	s_xor_b64 s[2:3], exec, s[20:21]
; %bb.465:                              ;   in Loop: Header=BB359_291 Depth=1
	v_bfe_u32 v8, v9, 16, 1
	v_add3_u32 v8, v9, v8, s15
                                        ; implicit-def: $vgpr9
; %bb.466:                              ;   in Loop: Header=BB359_291 Depth=1
	s_andn2_saveexec_b64 s[20:21], s[2:3]
; %bb.467:                              ;   in Loop: Header=BB359_291 Depth=1
	v_or_b32_e32 v8, 0x10000, v9
	v_cmp_eq_u32_sdwa s[2:3], v9, v31 src0_sel:WORD_0 src1_sel:DWORD
	s_nop 1
	v_cndmask_b32_e64 v8, v8, v9, s[2:3]
; %bb.468:                              ;   in Loop: Header=BB359_291 Depth=1
	s_or_b64 exec, exec, s[20:21]
	v_lshrrev_b32_e32 v6, 24, v6
	v_cvt_f32_fp8_sdwa v6, v6 src0_sel:BYTE_0
	s_nop 0
	v_mul_f32_e32 v6, v27, v6
	v_and_b32_e32 v9, 0x7f800000, v6
	v_cmp_ne_u32_e64 s[2:3], s5, v9
                                        ; implicit-def: $vgpr9
	s_and_saveexec_b64 s[20:21], s[2:3]
	s_xor_b64 s[2:3], exec, s[20:21]
; %bb.469:                              ;   in Loop: Header=BB359_291 Depth=1
	v_bfe_u32 v9, v6, 16, 1
	v_add3_u32 v9, v6, v9, s15
                                        ; implicit-def: $vgpr6
; %bb.470:                              ;   in Loop: Header=BB359_291 Depth=1
	s_andn2_saveexec_b64 s[20:21], s[2:3]
; %bb.471:                              ;   in Loop: Header=BB359_291 Depth=1
	v_or_b32_e32 v9, 0x10000, v6
	v_cmp_eq_u32_sdwa s[2:3], v6, v31 src0_sel:WORD_0 src1_sel:DWORD
	s_nop 1
	v_cndmask_b32_e64 v9, v9, v6, s[2:3]
; %bb.472:                              ;   in Loop: Header=BB359_291 Depth=1
	s_or_b64 exec, exec, s[20:21]
	v_and_b32_e32 v6, 0xff, v7
	v_cvt_f32_fp8_sdwa v6, v6 src0_sel:BYTE_0
	s_nop 0
	v_mul_f32_e32 v6, v27, v6
	v_and_b32_e32 v10, 0x7f800000, v6
	v_cmp_ne_u32_e64 s[2:3], s5, v10
                                        ; implicit-def: $vgpr10
	s_and_saveexec_b64 s[20:21], s[2:3]
	s_xor_b64 s[2:3], exec, s[20:21]
; %bb.473:                              ;   in Loop: Header=BB359_291 Depth=1
	v_bfe_u32 v10, v6, 16, 1
	v_add3_u32 v10, v6, v10, s15
                                        ; implicit-def: $vgpr6
; %bb.474:                              ;   in Loop: Header=BB359_291 Depth=1
	s_andn2_saveexec_b64 s[20:21], s[2:3]
; %bb.475:                              ;   in Loop: Header=BB359_291 Depth=1
	v_or_b32_e32 v10, 0x10000, v6
	v_cmp_eq_u32_sdwa s[2:3], v6, v31 src0_sel:WORD_0 src1_sel:DWORD
	s_nop 1
	v_cndmask_b32_e64 v10, v10, v6, s[2:3]
; %bb.476:                              ;   in Loop: Header=BB359_291 Depth=1
	s_or_b64 exec, exec, s[20:21]
	v_bfe_u32 v6, v7, 8, 8
	v_cvt_f32_fp8_sdwa v6, v6 src0_sel:BYTE_0
	s_nop 0
	v_mul_f32_e32 v11, v27, v6
	v_and_b32_e32 v6, 0x7f800000, v11
	v_cmp_ne_u32_e64 s[2:3], s5, v6
                                        ; implicit-def: $vgpr6
	s_and_saveexec_b64 s[20:21], s[2:3]
	s_xor_b64 s[2:3], exec, s[20:21]
; %bb.477:                              ;   in Loop: Header=BB359_291 Depth=1
	v_bfe_u32 v6, v11, 16, 1
	v_add3_u32 v6, v11, v6, s15
                                        ; implicit-def: $vgpr11
; %bb.478:                              ;   in Loop: Header=BB359_291 Depth=1
	s_andn2_saveexec_b64 s[20:21], s[2:3]
; %bb.479:                              ;   in Loop: Header=BB359_291 Depth=1
	v_or_b32_e32 v6, 0x10000, v11
	v_cmp_eq_u32_sdwa s[2:3], v11, v31 src0_sel:WORD_0 src1_sel:DWORD
	s_nop 1
	v_cndmask_b32_e64 v6, v6, v11, s[2:3]
; %bb.480:                              ;   in Loop: Header=BB359_291 Depth=1
	s_or_b64 exec, exec, s[20:21]
	v_bfe_u32 v11, v7, 16, 8
	v_cvt_f32_fp8_sdwa v11, v11 src0_sel:BYTE_0
	s_nop 0
	v_mul_f32_e32 v12, v27, v11
	v_and_b32_e32 v11, 0x7f800000, v12
	v_cmp_ne_u32_e64 s[2:3], s5, v11
                                        ; implicit-def: $vgpr11
	s_and_saveexec_b64 s[20:21], s[2:3]
	s_xor_b64 s[2:3], exec, s[20:21]
; %bb.481:                              ;   in Loop: Header=BB359_291 Depth=1
	v_bfe_u32 v11, v12, 16, 1
	v_add3_u32 v11, v12, v11, s15
                                        ; implicit-def: $vgpr12
; %bb.482:                              ;   in Loop: Header=BB359_291 Depth=1
	s_andn2_saveexec_b64 s[20:21], s[2:3]
; %bb.483:                              ;   in Loop: Header=BB359_291 Depth=1
	v_or_b32_e32 v11, 0x10000, v12
	v_cmp_eq_u32_sdwa s[2:3], v12, v31 src0_sel:WORD_0 src1_sel:DWORD
	s_nop 1
	v_cndmask_b32_e64 v11, v11, v12, s[2:3]
; %bb.484:                              ;   in Loop: Header=BB359_291 Depth=1
	s_or_b64 exec, exec, s[20:21]
	v_lshrrev_b32_e32 v7, 24, v7
	v_cvt_f32_fp8_sdwa v7, v7 src0_sel:BYTE_0
                                        ; implicit-def: $vgpr13
	s_nop 0
	v_mul_f32_e32 v7, v27, v7
	v_and_b32_e32 v12, 0x7f800000, v7
	v_cmp_ne_u32_e64 s[2:3], s5, v12
	s_and_saveexec_b64 s[20:21], s[2:3]
	s_xor_b64 s[2:3], exec, s[20:21]
; %bb.485:                              ;   in Loop: Header=BB359_291 Depth=1
	v_bfe_u32 v12, v7, 16, 1
	v_add3_u32 v13, v7, v12, s15
                                        ; implicit-def: $vgpr7
; %bb.486:                              ;   in Loop: Header=BB359_291 Depth=1
	s_andn2_saveexec_b64 s[20:21], s[2:3]
; %bb.487:                              ;   in Loop: Header=BB359_291 Depth=1
	v_or_b32_e32 v12, 0x10000, v7
	v_cmp_eq_u32_sdwa s[2:3], v7, v31 src0_sel:WORD_0 src1_sel:DWORD
	s_nop 1
	v_cndmask_b32_e64 v13, v12, v7, s[2:3]
; %bb.488:                              ;   in Loop: Header=BB359_291 Depth=1
	s_or_b64 exec, exec, s[20:21]
	v_lshrrev_b32_e32 v6, 16, v6
	v_lshrrev_b32_e32 v7, 16, v10
	v_lshrrev_b32_e32 v9, 16, v9
	v_lshrrev_b32_e32 v8, 16, v8
	v_lshrrev_b32_e32 v10, 16, v5
	v_lshrrev_b32_e32 v12, 16, v4
	v_lshrrev_b32_e32 v5, 16, v11
	v_lshrrev_b32_e32 v4, 16, v13
	s_and_saveexec_b64 s[20:21], s[0:1]
	s_cbranch_execz .LBB359_490
; %bb.489:                              ;   in Loop: Header=BB359_291 Depth=1
	v_accvgpr_read_b32 v13, a3
	v_cmp_lt_i32_e64 s[2:3], v40, v13
	v_add_u32_e32 v11, 1, v40
	s_nop 0
	v_cndmask_b32_e64 v12, 0, v12, s[2:3]
	v_cmp_lt_i32_e64 s[2:3], v11, v13
	v_add_u32_e32 v11, 2, v40
	s_nop 0
	v_cndmask_b32_e64 v10, 0, v10, s[2:3]
	;; [unrolled: 4-line block ×7, first 2 shown]
	v_cmp_lt_i32_e64 s[2:3], v11, v13
	s_nop 1
	v_cndmask_b32_e64 v4, 0, v4, s[2:3]
.LBB359_490:                            ;   in Loop: Header=BB359_291 Depth=1
	s_or_b64 exec, exec, s[20:21]
	v_lshlrev_b32_e32 v11, 16, v12
	v_mul_f32_e32 v11, v44, v11
	v_and_b32_e32 v12, 0x7f800000, v11
	v_cmp_ne_u32_e64 s[2:3], s5, v12
                                        ; implicit-def: $agpr41
	s_and_saveexec_b64 s[20:21], s[2:3]
	s_xor_b64 s[2:3], exec, s[20:21]
; %bb.491:                              ;   in Loop: Header=BB359_291 Depth=1
	v_bfe_u32 v12, v11, 16, 1
	v_add3_u32 v11, v11, v12, s15
	v_accvgpr_write_b32 a41, v11
                                        ; implicit-def: $vgpr11
; %bb.492:                              ;   in Loop: Header=BB359_291 Depth=1
	s_andn2_saveexec_b64 s[20:21], s[2:3]
; %bb.493:                              ;   in Loop: Header=BB359_291 Depth=1
	v_or_b32_e32 v12, 0x10000, v11
	v_cmp_eq_u32_sdwa s[2:3], v11, v31 src0_sel:WORD_0 src1_sel:DWORD
	s_nop 1
	v_cndmask_b32_e64 v11, v12, v11, s[2:3]
	v_accvgpr_write_b32 a41, v11
; %bb.494:                              ;   in Loop: Header=BB359_291 Depth=1
	s_or_b64 exec, exec, s[20:21]
	v_lshlrev_b32_e32 v10, 16, v10
	v_mul_f32_e32 v10, v45, v10
	v_and_b32_e32 v11, 0x7f800000, v10
	v_cmp_ne_u32_e64 s[2:3], s5, v11
                                        ; implicit-def: $agpr42
	s_and_saveexec_b64 s[20:21], s[2:3]
	s_xor_b64 s[2:3], exec, s[20:21]
; %bb.495:                              ;   in Loop: Header=BB359_291 Depth=1
	v_bfe_u32 v11, v10, 16, 1
	v_add3_u32 v10, v10, v11, s15
	v_accvgpr_write_b32 a42, v10
                                        ; implicit-def: $vgpr10
; %bb.496:                              ;   in Loop: Header=BB359_291 Depth=1
	s_andn2_saveexec_b64 s[20:21], s[2:3]
; %bb.497:                              ;   in Loop: Header=BB359_291 Depth=1
	v_or_b32_e32 v11, 0x10000, v10
	v_cmp_eq_u32_sdwa s[2:3], v10, v31 src0_sel:WORD_0 src1_sel:DWORD
	s_nop 1
	v_cndmask_b32_e64 v10, v11, v10, s[2:3]
	v_accvgpr_write_b32 a42, v10
; %bb.498:                              ;   in Loop: Header=BB359_291 Depth=1
	s_or_b64 exec, exec, s[20:21]
	v_lshlrev_b32_e32 v8, 16, v8
	v_mul_f32_e32 v8, v46, v8
	v_and_b32_e32 v10, 0x7f800000, v8
	v_cmp_ne_u32_e64 s[2:3], s5, v10
                                        ; implicit-def: $agpr43
	s_and_saveexec_b64 s[20:21], s[2:3]
	s_xor_b64 s[2:3], exec, s[20:21]
; %bb.499:                              ;   in Loop: Header=BB359_291 Depth=1
	v_bfe_u32 v10, v8, 16, 1
	v_add3_u32 v8, v8, v10, s15
	v_accvgpr_write_b32 a43, v8
                                        ; implicit-def: $vgpr8
; %bb.500:                              ;   in Loop: Header=BB359_291 Depth=1
	s_andn2_saveexec_b64 s[20:21], s[2:3]
; %bb.501:                              ;   in Loop: Header=BB359_291 Depth=1
	v_or_b32_e32 v10, 0x10000, v8
	v_cmp_eq_u32_sdwa s[2:3], v8, v31 src0_sel:WORD_0 src1_sel:DWORD
	s_nop 1
	v_cndmask_b32_e64 v8, v10, v8, s[2:3]
	v_accvgpr_write_b32 a43, v8
; %bb.502:                              ;   in Loop: Header=BB359_291 Depth=1
	s_or_b64 exec, exec, s[20:21]
	v_lshlrev_b32_e32 v8, 16, v9
	v_mul_f32_e32 v8, v47, v8
	v_and_b32_e32 v9, 0x7f800000, v8
	v_cmp_ne_u32_e64 s[2:3], s5, v9
                                        ; implicit-def: $agpr44
	s_and_saveexec_b64 s[20:21], s[2:3]
	s_xor_b64 s[2:3], exec, s[20:21]
; %bb.503:                              ;   in Loop: Header=BB359_291 Depth=1
	v_bfe_u32 v9, v8, 16, 1
	v_add3_u32 v8, v8, v9, s15
	v_accvgpr_write_b32 a44, v8
                                        ; implicit-def: $vgpr8
; %bb.504:                              ;   in Loop: Header=BB359_291 Depth=1
	s_andn2_saveexec_b64 s[20:21], s[2:3]
; %bb.505:                              ;   in Loop: Header=BB359_291 Depth=1
	v_or_b32_e32 v9, 0x10000, v8
	v_cmp_eq_u32_sdwa s[2:3], v8, v31 src0_sel:WORD_0 src1_sel:DWORD
	s_nop 1
	v_cndmask_b32_e64 v8, v9, v8, s[2:3]
	v_accvgpr_write_b32 a44, v8
; %bb.506:                              ;   in Loop: Header=BB359_291 Depth=1
	s_or_b64 exec, exec, s[20:21]
	v_lshlrev_b32_e32 v7, 16, v7
	v_mul_f32_e32 v7, v56, v7
	v_and_b32_e32 v8, 0x7f800000, v7
	v_cmp_ne_u32_e64 s[2:3], s5, v8
                                        ; implicit-def: $agpr45
	s_and_saveexec_b64 s[20:21], s[2:3]
	s_xor_b64 s[2:3], exec, s[20:21]
; %bb.507:                              ;   in Loop: Header=BB359_291 Depth=1
	v_bfe_u32 v8, v7, 16, 1
	v_add3_u32 v7, v7, v8, s15
	v_accvgpr_write_b32 a45, v7
                                        ; implicit-def: $vgpr7
; %bb.508:                              ;   in Loop: Header=BB359_291 Depth=1
	s_andn2_saveexec_b64 s[20:21], s[2:3]
; %bb.509:                              ;   in Loop: Header=BB359_291 Depth=1
	v_or_b32_e32 v8, 0x10000, v7
	v_cmp_eq_u32_sdwa s[2:3], v7, v31 src0_sel:WORD_0 src1_sel:DWORD
	s_nop 1
	v_cndmask_b32_e64 v7, v8, v7, s[2:3]
	v_accvgpr_write_b32 a45, v7
; %bb.510:                              ;   in Loop: Header=BB359_291 Depth=1
	s_or_b64 exec, exec, s[20:21]
	v_lshlrev_b32_e32 v6, 16, v6
	v_mul_f32_e32 v6, v57, v6
	v_and_b32_e32 v7, 0x7f800000, v6
	v_cmp_ne_u32_e64 s[2:3], s5, v7
                                        ; implicit-def: $agpr46
	s_and_saveexec_b64 s[20:21], s[2:3]
	s_xor_b64 s[2:3], exec, s[20:21]
; %bb.511:                              ;   in Loop: Header=BB359_291 Depth=1
	v_bfe_u32 v7, v6, 16, 1
	v_add3_u32 v6, v6, v7, s15
	v_accvgpr_write_b32 a46, v6
                                        ; implicit-def: $vgpr6
; %bb.512:                              ;   in Loop: Header=BB359_291 Depth=1
	s_andn2_saveexec_b64 s[20:21], s[2:3]
; %bb.513:                              ;   in Loop: Header=BB359_291 Depth=1
	v_or_b32_e32 v7, 0x10000, v6
	v_cmp_eq_u32_sdwa s[2:3], v6, v31 src0_sel:WORD_0 src1_sel:DWORD
	s_nop 1
	v_cndmask_b32_e64 v6, v7, v6, s[2:3]
	v_accvgpr_write_b32 a46, v6
; %bb.514:                              ;   in Loop: Header=BB359_291 Depth=1
	s_or_b64 exec, exec, s[20:21]
	v_lshlrev_b32_e32 v5, 16, v5
	v_mul_f32_e32 v5, v58, v5
	v_and_b32_e32 v6, 0x7f800000, v5
	v_cmp_ne_u32_e64 s[2:3], s5, v6
                                        ; implicit-def: $agpr47
	s_and_saveexec_b64 s[20:21], s[2:3]
	s_xor_b64 s[2:3], exec, s[20:21]
; %bb.515:                              ;   in Loop: Header=BB359_291 Depth=1
	v_bfe_u32 v6, v5, 16, 1
	v_add3_u32 v5, v5, v6, s15
	v_accvgpr_write_b32 a47, v5
                                        ; implicit-def: $vgpr5
; %bb.516:                              ;   in Loop: Header=BB359_291 Depth=1
	s_andn2_saveexec_b64 s[20:21], s[2:3]
; %bb.517:                              ;   in Loop: Header=BB359_291 Depth=1
	v_or_b32_e32 v6, 0x10000, v5
	v_cmp_eq_u32_sdwa s[2:3], v5, v31 src0_sel:WORD_0 src1_sel:DWORD
	s_nop 1
	v_cndmask_b32_e64 v5, v6, v5, s[2:3]
	v_accvgpr_write_b32 a47, v5
; %bb.518:                              ;   in Loop: Header=BB359_291 Depth=1
	s_or_b64 exec, exec, s[20:21]
	v_lshlrev_b32_e32 v4, 16, v4
	v_mul_f32_e32 v4, v59, v4
	v_and_b32_e32 v5, 0x7f800000, v4
	v_cmp_ne_u32_e64 s[2:3], s5, v5
                                        ; implicit-def: $agpr48
	s_and_saveexec_b64 s[20:21], s[2:3]
	s_xor_b64 s[2:3], exec, s[20:21]
; %bb.519:                              ;   in Loop: Header=BB359_291 Depth=1
	v_bfe_u32 v5, v4, 16, 1
	v_add3_u32 v4, v4, v5, s15
	v_accvgpr_write_b32 a48, v4
                                        ; implicit-def: $vgpr4
; %bb.520:                              ;   in Loop: Header=BB359_291 Depth=1
	s_andn2_saveexec_b64 s[20:21], s[2:3]
; %bb.521:                              ;   in Loop: Header=BB359_291 Depth=1
	v_or_b32_e32 v5, 0x10000, v4
	v_cmp_eq_u32_sdwa s[2:3], v4, v31 src0_sel:WORD_0 src1_sel:DWORD
	s_nop 1
	v_cndmask_b32_e64 v4, v5, v4, s[2:3]
	v_accvgpr_write_b32 a48, v4
; %bb.522:                              ;   in Loop: Header=BB359_291 Depth=1
	s_or_b64 exec, exec, s[20:21]
	flat_load_dwordx2 v[6:7], v[2:3] offset:1536
	s_waitcnt vmcnt(0) lgkmcnt(0)
	v_and_b32_e32 v4, 0xff, v6
	v_cvt_f32_fp8_sdwa v4, v4 src0_sel:BYTE_0
	s_nop 0
	v_mul_f32_e32 v5, v27, v4
	v_and_b32_e32 v4, 0x7f800000, v5
	v_cmp_ne_u32_e64 s[2:3], s5, v4
                                        ; implicit-def: $vgpr4
	s_and_saveexec_b64 s[20:21], s[2:3]
	s_xor_b64 s[2:3], exec, s[20:21]
; %bb.523:                              ;   in Loop: Header=BB359_291 Depth=1
	v_bfe_u32 v4, v5, 16, 1
	v_add3_u32 v4, v5, v4, s15
                                        ; implicit-def: $vgpr5
; %bb.524:                              ;   in Loop: Header=BB359_291 Depth=1
	s_andn2_saveexec_b64 s[20:21], s[2:3]
; %bb.525:                              ;   in Loop: Header=BB359_291 Depth=1
	v_or_b32_e32 v4, 0x10000, v5
	v_cmp_eq_u32_sdwa s[2:3], v5, v31 src0_sel:WORD_0 src1_sel:DWORD
	s_nop 1
	v_cndmask_b32_e64 v4, v4, v5, s[2:3]
; %bb.526:                              ;   in Loop: Header=BB359_291 Depth=1
	s_or_b64 exec, exec, s[20:21]
	v_bfe_u32 v5, v6, 8, 8
	v_cvt_f32_fp8_sdwa v5, v5 src0_sel:BYTE_0
	s_nop 0
	v_mul_f32_e32 v8, v27, v5
	v_and_b32_e32 v5, 0x7f800000, v8
	v_cmp_ne_u32_e64 s[2:3], s5, v5
                                        ; implicit-def: $vgpr5
	s_and_saveexec_b64 s[20:21], s[2:3]
	s_xor_b64 s[2:3], exec, s[20:21]
; %bb.527:                              ;   in Loop: Header=BB359_291 Depth=1
	v_bfe_u32 v5, v8, 16, 1
	v_add3_u32 v5, v8, v5, s15
                                        ; implicit-def: $vgpr8
; %bb.528:                              ;   in Loop: Header=BB359_291 Depth=1
	s_andn2_saveexec_b64 s[20:21], s[2:3]
; %bb.529:                              ;   in Loop: Header=BB359_291 Depth=1
	v_or_b32_e32 v5, 0x10000, v8
	v_cmp_eq_u32_sdwa s[2:3], v8, v31 src0_sel:WORD_0 src1_sel:DWORD
	s_nop 1
	v_cndmask_b32_e64 v5, v5, v8, s[2:3]
; %bb.530:                              ;   in Loop: Header=BB359_291 Depth=1
	s_or_b64 exec, exec, s[20:21]
	v_bfe_u32 v8, v6, 16, 8
	v_cvt_f32_fp8_sdwa v8, v8 src0_sel:BYTE_0
	s_nop 0
	v_mul_f32_e32 v9, v27, v8
	v_and_b32_e32 v8, 0x7f800000, v9
	v_cmp_ne_u32_e64 s[2:3], s5, v8
                                        ; implicit-def: $vgpr8
	s_and_saveexec_b64 s[20:21], s[2:3]
	s_xor_b64 s[2:3], exec, s[20:21]
; %bb.531:                              ;   in Loop: Header=BB359_291 Depth=1
	v_bfe_u32 v8, v9, 16, 1
	v_add3_u32 v8, v9, v8, s15
                                        ; implicit-def: $vgpr9
; %bb.532:                              ;   in Loop: Header=BB359_291 Depth=1
	s_andn2_saveexec_b64 s[20:21], s[2:3]
; %bb.533:                              ;   in Loop: Header=BB359_291 Depth=1
	v_or_b32_e32 v8, 0x10000, v9
	v_cmp_eq_u32_sdwa s[2:3], v9, v31 src0_sel:WORD_0 src1_sel:DWORD
	s_nop 1
	v_cndmask_b32_e64 v8, v8, v9, s[2:3]
; %bb.534:                              ;   in Loop: Header=BB359_291 Depth=1
	s_or_b64 exec, exec, s[20:21]
	v_lshrrev_b32_e32 v6, 24, v6
	v_cvt_f32_fp8_sdwa v6, v6 src0_sel:BYTE_0
	s_nop 0
	v_mul_f32_e32 v9, v27, v6
	v_and_b32_e32 v6, 0x7f800000, v9
	v_cmp_ne_u32_e64 s[2:3], s5, v6
                                        ; implicit-def: $vgpr6
	s_and_saveexec_b64 s[20:21], s[2:3]
	s_xor_b64 s[2:3], exec, s[20:21]
; %bb.535:                              ;   in Loop: Header=BB359_291 Depth=1
	v_bfe_u32 v6, v9, 16, 1
	v_add3_u32 v6, v9, v6, s15
                                        ; implicit-def: $vgpr9
; %bb.536:                              ;   in Loop: Header=BB359_291 Depth=1
	s_andn2_saveexec_b64 s[20:21], s[2:3]
; %bb.537:                              ;   in Loop: Header=BB359_291 Depth=1
	v_or_b32_e32 v6, 0x10000, v9
	v_cmp_eq_u32_sdwa s[2:3], v9, v31 src0_sel:WORD_0 src1_sel:DWORD
	s_nop 1
	v_cndmask_b32_e64 v6, v6, v9, s[2:3]
; %bb.538:                              ;   in Loop: Header=BB359_291 Depth=1
	s_or_b64 exec, exec, s[20:21]
	v_and_b32_e32 v9, 0xff, v7
	v_cvt_f32_fp8_sdwa v9, v9 src0_sel:BYTE_0
	s_nop 0
	v_mul_f32_e32 v10, v27, v9
	v_and_b32_e32 v9, 0x7f800000, v10
	v_cmp_ne_u32_e64 s[2:3], s5, v9
                                        ; implicit-def: $vgpr9
	s_and_saveexec_b64 s[20:21], s[2:3]
	s_xor_b64 s[2:3], exec, s[20:21]
; %bb.539:                              ;   in Loop: Header=BB359_291 Depth=1
	v_bfe_u32 v9, v10, 16, 1
	v_add3_u32 v9, v10, v9, s15
                                        ; implicit-def: $vgpr10
; %bb.540:                              ;   in Loop: Header=BB359_291 Depth=1
	s_andn2_saveexec_b64 s[20:21], s[2:3]
; %bb.541:                              ;   in Loop: Header=BB359_291 Depth=1
	v_or_b32_e32 v9, 0x10000, v10
	v_cmp_eq_u32_sdwa s[2:3], v10, v31 src0_sel:WORD_0 src1_sel:DWORD
	s_nop 1
	v_cndmask_b32_e64 v9, v9, v10, s[2:3]
; %bb.542:                              ;   in Loop: Header=BB359_291 Depth=1
	s_or_b64 exec, exec, s[20:21]
	v_bfe_u32 v10, v7, 8, 8
	v_cvt_f32_fp8_sdwa v10, v10 src0_sel:BYTE_0
	s_nop 0
	v_mul_f32_e32 v11, v27, v10
	v_and_b32_e32 v10, 0x7f800000, v11
	v_cmp_ne_u32_e64 s[2:3], s5, v10
                                        ; implicit-def: $vgpr10
	s_and_saveexec_b64 s[20:21], s[2:3]
	s_xor_b64 s[2:3], exec, s[20:21]
; %bb.543:                              ;   in Loop: Header=BB359_291 Depth=1
	v_bfe_u32 v10, v11, 16, 1
	v_add3_u32 v10, v11, v10, s15
                                        ; implicit-def: $vgpr11
; %bb.544:                              ;   in Loop: Header=BB359_291 Depth=1
	s_andn2_saveexec_b64 s[20:21], s[2:3]
; %bb.545:                              ;   in Loop: Header=BB359_291 Depth=1
	v_or_b32_e32 v10, 0x10000, v11
	v_cmp_eq_u32_sdwa s[2:3], v11, v31 src0_sel:WORD_0 src1_sel:DWORD
	s_nop 1
	v_cndmask_b32_e64 v10, v10, v11, s[2:3]
; %bb.546:                              ;   in Loop: Header=BB359_291 Depth=1
	s_or_b64 exec, exec, s[20:21]
	v_bfe_u32 v11, v7, 16, 8
	v_cvt_f32_fp8_sdwa v11, v11 src0_sel:BYTE_0
	s_nop 0
	v_mul_f32_e32 v12, v27, v11
	v_and_b32_e32 v11, 0x7f800000, v12
	v_cmp_ne_u32_e64 s[2:3], s5, v11
                                        ; implicit-def: $vgpr11
	s_and_saveexec_b64 s[20:21], s[2:3]
	s_xor_b64 s[2:3], exec, s[20:21]
; %bb.547:                              ;   in Loop: Header=BB359_291 Depth=1
	v_bfe_u32 v11, v12, 16, 1
	v_add3_u32 v11, v12, v11, s15
                                        ; implicit-def: $vgpr12
; %bb.548:                              ;   in Loop: Header=BB359_291 Depth=1
	s_andn2_saveexec_b64 s[20:21], s[2:3]
; %bb.549:                              ;   in Loop: Header=BB359_291 Depth=1
	v_or_b32_e32 v11, 0x10000, v12
	v_cmp_eq_u32_sdwa s[2:3], v12, v31 src0_sel:WORD_0 src1_sel:DWORD
	s_nop 1
	v_cndmask_b32_e64 v11, v11, v12, s[2:3]
; %bb.550:                              ;   in Loop: Header=BB359_291 Depth=1
	s_or_b64 exec, exec, s[20:21]
	v_lshrrev_b32_e32 v7, 24, v7
	v_cvt_f32_fp8_sdwa v7, v7 src0_sel:BYTE_0
                                        ; implicit-def: $vgpr13
	s_nop 0
	v_mul_f32_e32 v7, v27, v7
	v_and_b32_e32 v12, 0x7f800000, v7
	v_cmp_ne_u32_e64 s[2:3], s5, v12
	s_and_saveexec_b64 s[20:21], s[2:3]
	s_xor_b64 s[2:3], exec, s[20:21]
; %bb.551:                              ;   in Loop: Header=BB359_291 Depth=1
	v_bfe_u32 v12, v7, 16, 1
	v_add3_u32 v13, v7, v12, s15
                                        ; implicit-def: $vgpr7
; %bb.552:                              ;   in Loop: Header=BB359_291 Depth=1
	s_andn2_saveexec_b64 s[20:21], s[2:3]
; %bb.553:                              ;   in Loop: Header=BB359_291 Depth=1
	v_or_b32_e32 v12, 0x10000, v7
	v_cmp_eq_u32_sdwa s[2:3], v7, v31 src0_sel:WORD_0 src1_sel:DWORD
	s_nop 1
	v_cndmask_b32_e64 v13, v12, v7, s[2:3]
; %bb.554:                              ;   in Loop: Header=BB359_291 Depth=1
	s_or_b64 exec, exec, s[20:21]
	v_lshrrev_b32_e32 v7, 16, v10
	v_lshrrev_b32_e32 v9, 16, v9
	v_lshrrev_b32_e32 v10, 16, v6
	v_lshrrev_b32_e32 v8, 16, v8
	v_lshrrev_b32_e32 v5, 16, v5
	v_lshrrev_b32_e32 v12, 16, v4
	v_lshrrev_b32_e32 v6, 16, v11
	v_lshrrev_b32_e32 v4, 16, v13
	s_and_saveexec_b64 s[20:21], s[0:1]
	s_cbranch_execz .LBB359_556
; %bb.555:                              ;   in Loop: Header=BB359_291 Depth=1
	v_accvgpr_read_b32 v13, a3
	v_cmp_lt_i32_e64 s[2:3], v40, v13
	v_add_u32_e32 v11, 1, v40
	s_nop 0
	v_cndmask_b32_e64 v12, 0, v12, s[2:3]
	v_cmp_lt_i32_e64 s[2:3], v11, v13
	v_add_u32_e32 v11, 2, v40
	s_nop 0
	v_cndmask_b32_e64 v5, 0, v5, s[2:3]
	;; [unrolled: 4-line block ×7, first 2 shown]
	v_cmp_lt_i32_e64 s[2:3], v11, v13
	s_nop 1
	v_cndmask_b32_e64 v4, 0, v4, s[2:3]
.LBB359_556:                            ;   in Loop: Header=BB359_291 Depth=1
	s_or_b64 exec, exec, s[20:21]
	v_lshlrev_b32_e32 v11, 16, v12
	v_mul_f32_e32 v11, v44, v11
	v_and_b32_e32 v12, 0x7f800000, v11
	v_cmp_ne_u32_e64 s[2:3], s5, v12
                                        ; implicit-def: $agpr49
	s_and_saveexec_b64 s[20:21], s[2:3]
	s_xor_b64 s[2:3], exec, s[20:21]
; %bb.557:                              ;   in Loop: Header=BB359_291 Depth=1
	v_bfe_u32 v12, v11, 16, 1
	v_add3_u32 v11, v11, v12, s15
	v_accvgpr_write_b32 a49, v11
                                        ; implicit-def: $vgpr11
; %bb.558:                              ;   in Loop: Header=BB359_291 Depth=1
	s_andn2_saveexec_b64 s[20:21], s[2:3]
; %bb.559:                              ;   in Loop: Header=BB359_291 Depth=1
	v_or_b32_e32 v12, 0x10000, v11
	v_cmp_eq_u32_sdwa s[2:3], v11, v31 src0_sel:WORD_0 src1_sel:DWORD
	s_nop 1
	v_cndmask_b32_e64 v11, v12, v11, s[2:3]
	v_accvgpr_write_b32 a49, v11
; %bb.560:                              ;   in Loop: Header=BB359_291 Depth=1
	s_or_b64 exec, exec, s[20:21]
	v_lshlrev_b32_e32 v5, 16, v5
	v_mul_f32_e32 v5, v45, v5
	v_and_b32_e32 v11, 0x7f800000, v5
	v_cmp_ne_u32_e64 s[2:3], s5, v11
                                        ; implicit-def: $agpr50
	s_and_saveexec_b64 s[20:21], s[2:3]
	s_xor_b64 s[2:3], exec, s[20:21]
; %bb.561:                              ;   in Loop: Header=BB359_291 Depth=1
	v_bfe_u32 v11, v5, 16, 1
	v_add3_u32 v5, v5, v11, s15
	v_accvgpr_write_b32 a50, v5
                                        ; implicit-def: $vgpr5
; %bb.562:                              ;   in Loop: Header=BB359_291 Depth=1
	s_andn2_saveexec_b64 s[20:21], s[2:3]
; %bb.563:                              ;   in Loop: Header=BB359_291 Depth=1
	v_or_b32_e32 v11, 0x10000, v5
	v_cmp_eq_u32_sdwa s[2:3], v5, v31 src0_sel:WORD_0 src1_sel:DWORD
	s_nop 1
	v_cndmask_b32_e64 v5, v11, v5, s[2:3]
	v_accvgpr_write_b32 a50, v5
; %bb.564:                              ;   in Loop: Header=BB359_291 Depth=1
	s_or_b64 exec, exec, s[20:21]
	v_lshlrev_b32_e32 v5, 16, v8
	v_mul_f32_e32 v5, v46, v5
	v_and_b32_e32 v8, 0x7f800000, v5
	v_cmp_ne_u32_e64 s[2:3], s5, v8
                                        ; implicit-def: $agpr51
	s_and_saveexec_b64 s[20:21], s[2:3]
	s_xor_b64 s[2:3], exec, s[20:21]
; %bb.565:                              ;   in Loop: Header=BB359_291 Depth=1
	v_bfe_u32 v8, v5, 16, 1
	v_add3_u32 v5, v5, v8, s15
	v_accvgpr_write_b32 a51, v5
                                        ; implicit-def: $vgpr5
; %bb.566:                              ;   in Loop: Header=BB359_291 Depth=1
	s_andn2_saveexec_b64 s[20:21], s[2:3]
; %bb.567:                              ;   in Loop: Header=BB359_291 Depth=1
	v_or_b32_e32 v8, 0x10000, v5
	v_cmp_eq_u32_sdwa s[2:3], v5, v31 src0_sel:WORD_0 src1_sel:DWORD
	s_nop 1
	v_cndmask_b32_e64 v5, v8, v5, s[2:3]
	v_accvgpr_write_b32 a51, v5
; %bb.568:                              ;   in Loop: Header=BB359_291 Depth=1
	s_or_b64 exec, exec, s[20:21]
	v_lshlrev_b32_e32 v5, 16, v10
	v_mul_f32_e32 v5, v47, v5
	v_and_b32_e32 v8, 0x7f800000, v5
	v_cmp_ne_u32_e64 s[2:3], s5, v8
                                        ; implicit-def: $agpr52
	s_and_saveexec_b64 s[20:21], s[2:3]
	s_xor_b64 s[2:3], exec, s[20:21]
; %bb.569:                              ;   in Loop: Header=BB359_291 Depth=1
	v_bfe_u32 v8, v5, 16, 1
	v_add3_u32 v5, v5, v8, s15
	v_accvgpr_write_b32 a52, v5
                                        ; implicit-def: $vgpr5
; %bb.570:                              ;   in Loop: Header=BB359_291 Depth=1
	s_andn2_saveexec_b64 s[20:21], s[2:3]
; %bb.571:                              ;   in Loop: Header=BB359_291 Depth=1
	v_or_b32_e32 v8, 0x10000, v5
	v_cmp_eq_u32_sdwa s[2:3], v5, v31 src0_sel:WORD_0 src1_sel:DWORD
	s_nop 1
	v_cndmask_b32_e64 v5, v8, v5, s[2:3]
	v_accvgpr_write_b32 a52, v5
; %bb.572:                              ;   in Loop: Header=BB359_291 Depth=1
	s_or_b64 exec, exec, s[20:21]
	v_lshlrev_b32_e32 v5, 16, v9
	v_mul_f32_e32 v5, v56, v5
	v_and_b32_e32 v8, 0x7f800000, v5
	v_cmp_ne_u32_e64 s[2:3], s5, v8
                                        ; implicit-def: $vgpr26
	s_and_saveexec_b64 s[20:21], s[2:3]
	s_xor_b64 s[2:3], exec, s[20:21]
; %bb.573:                              ;   in Loop: Header=BB359_291 Depth=1
	v_bfe_u32 v8, v5, 16, 1
	v_add3_u32 v26, v5, v8, s15
                                        ; implicit-def: $vgpr5
; %bb.574:                              ;   in Loop: Header=BB359_291 Depth=1
	s_andn2_saveexec_b64 s[20:21], s[2:3]
; %bb.575:                              ;   in Loop: Header=BB359_291 Depth=1
	v_or_b32_e32 v8, 0x10000, v5
	v_cmp_eq_u32_sdwa s[2:3], v5, v31 src0_sel:WORD_0 src1_sel:DWORD
	s_nop 1
	v_cndmask_b32_e64 v26, v8, v5, s[2:3]
; %bb.576:                              ;   in Loop: Header=BB359_291 Depth=1
	s_or_b64 exec, exec, s[20:21]
	v_lshlrev_b32_e32 v5, 16, v7
	v_mul_f32_e32 v5, v57, v5
	v_and_b32_e32 v7, 0x7f800000, v5
	v_cmp_ne_u32_e64 s[2:3], s5, v7
                                        ; implicit-def: $vgpr9
	s_and_saveexec_b64 s[20:21], s[2:3]
	s_xor_b64 s[2:3], exec, s[20:21]
; %bb.577:                              ;   in Loop: Header=BB359_291 Depth=1
	v_bfe_u32 v7, v5, 16, 1
	v_add3_u32 v9, v5, v7, s15
                                        ; implicit-def: $vgpr5
; %bb.578:                              ;   in Loop: Header=BB359_291 Depth=1
	s_andn2_saveexec_b64 s[20:21], s[2:3]
; %bb.579:                              ;   in Loop: Header=BB359_291 Depth=1
	v_or_b32_e32 v7, 0x10000, v5
	v_cmp_eq_u32_sdwa s[2:3], v5, v31 src0_sel:WORD_0 src1_sel:DWORD
	s_nop 1
	v_cndmask_b32_e64 v9, v7, v5, s[2:3]
; %bb.580:                              ;   in Loop: Header=BB359_291 Depth=1
	s_or_b64 exec, exec, s[20:21]
	v_lshlrev_b32_e32 v5, 16, v6
	v_mul_f32_e32 v5, v58, v5
	v_and_b32_e32 v6, 0x7f800000, v5
	v_cmp_ne_u32_e64 s[2:3], s5, v6
                                        ; implicit-def: $vgpr50
	s_and_saveexec_b64 s[20:21], s[2:3]
	s_xor_b64 s[2:3], exec, s[20:21]
; %bb.581:                              ;   in Loop: Header=BB359_291 Depth=1
	v_bfe_u32 v6, v5, 16, 1
	v_add3_u32 v50, v5, v6, s15
                                        ; implicit-def: $vgpr5
; %bb.582:                              ;   in Loop: Header=BB359_291 Depth=1
	s_andn2_saveexec_b64 s[20:21], s[2:3]
; %bb.583:                              ;   in Loop: Header=BB359_291 Depth=1
	v_or_b32_e32 v6, 0x10000, v5
	v_cmp_eq_u32_sdwa s[2:3], v5, v31 src0_sel:WORD_0 src1_sel:DWORD
	s_nop 1
	v_cndmask_b32_e64 v50, v6, v5, s[2:3]
; %bb.584:                              ;   in Loop: Header=BB359_291 Depth=1
	s_or_b64 exec, exec, s[20:21]
	v_lshlrev_b32_e32 v4, 16, v4
	v_mul_f32_e32 v4, v59, v4
	v_and_b32_e32 v5, 0x7f800000, v4
	v_cmp_ne_u32_e64 s[2:3], s5, v5
                                        ; implicit-def: $vgpr51
	s_and_saveexec_b64 s[20:21], s[2:3]
	s_xor_b64 s[2:3], exec, s[20:21]
; %bb.585:                              ;   in Loop: Header=BB359_291 Depth=1
	v_bfe_u32 v5, v4, 16, 1
	v_add3_u32 v51, v4, v5, s15
                                        ; implicit-def: $vgpr4
; %bb.586:                              ;   in Loop: Header=BB359_291 Depth=1
	s_andn2_saveexec_b64 s[20:21], s[2:3]
; %bb.587:                              ;   in Loop: Header=BB359_291 Depth=1
	v_or_b32_e32 v5, 0x10000, v4
	v_cmp_eq_u32_sdwa s[2:3], v4, v31 src0_sel:WORD_0 src1_sel:DWORD
	s_nop 1
	v_cndmask_b32_e64 v51, v5, v4, s[2:3]
; %bb.588:                              ;   in Loop: Header=BB359_291 Depth=1
	s_or_b64 exec, exec, s[20:21]
	flat_load_dwordx2 v[6:7], v[2:3] offset:2048
	s_waitcnt vmcnt(0) lgkmcnt(0)
	v_and_b32_e32 v4, 0xff, v6
	v_cvt_f32_fp8_sdwa v4, v4 src0_sel:BYTE_0
	s_nop 0
	v_mul_f32_e32 v5, v27, v4
	v_and_b32_e32 v4, 0x7f800000, v5
	v_cmp_ne_u32_e64 s[2:3], s5, v4
                                        ; implicit-def: $vgpr4
	s_and_saveexec_b64 s[20:21], s[2:3]
	s_xor_b64 s[2:3], exec, s[20:21]
; %bb.589:                              ;   in Loop: Header=BB359_291 Depth=1
	v_bfe_u32 v4, v5, 16, 1
	v_add3_u32 v4, v5, v4, s15
                                        ; implicit-def: $vgpr5
; %bb.590:                              ;   in Loop: Header=BB359_291 Depth=1
	s_andn2_saveexec_b64 s[20:21], s[2:3]
; %bb.591:                              ;   in Loop: Header=BB359_291 Depth=1
	v_or_b32_e32 v4, 0x10000, v5
	v_cmp_eq_u32_sdwa s[2:3], v5, v31 src0_sel:WORD_0 src1_sel:DWORD
	s_nop 1
	v_cndmask_b32_e64 v4, v4, v5, s[2:3]
; %bb.592:                              ;   in Loop: Header=BB359_291 Depth=1
	s_or_b64 exec, exec, s[20:21]
	v_bfe_u32 v5, v6, 8, 8
	v_cvt_f32_fp8_sdwa v5, v5 src0_sel:BYTE_0
                                        ; implicit-def: $vgpr10
	s_nop 0
	v_mul_f32_e32 v5, v27, v5
	v_and_b32_e32 v8, 0x7f800000, v5
	v_cmp_ne_u32_e64 s[2:3], s5, v8
	s_and_saveexec_b64 s[20:21], s[2:3]
	s_xor_b64 s[2:3], exec, s[20:21]
; %bb.593:                              ;   in Loop: Header=BB359_291 Depth=1
	v_bfe_u32 v8, v5, 16, 1
	v_add3_u32 v10, v5, v8, s15
                                        ; implicit-def: $vgpr5
; %bb.594:                              ;   in Loop: Header=BB359_291 Depth=1
	s_andn2_saveexec_b64 s[20:21], s[2:3]
; %bb.595:                              ;   in Loop: Header=BB359_291 Depth=1
	v_or_b32_e32 v8, 0x10000, v5
	v_cmp_eq_u32_sdwa s[2:3], v5, v31 src0_sel:WORD_0 src1_sel:DWORD
	s_nop 1
	v_cndmask_b32_e64 v10, v8, v5, s[2:3]
; %bb.596:                              ;   in Loop: Header=BB359_291 Depth=1
	s_or_b64 exec, exec, s[20:21]
	v_bfe_u32 v5, v6, 16, 8
	v_cvt_f32_fp8_sdwa v5, v5 src0_sel:BYTE_0
                                        ; implicit-def: $vgpr11
	s_nop 0
	v_mul_f32_e32 v5, v27, v5
	v_and_b32_e32 v8, 0x7f800000, v5
	v_cmp_ne_u32_e64 s[2:3], s5, v8
	s_and_saveexec_b64 s[20:21], s[2:3]
	s_xor_b64 s[2:3], exec, s[20:21]
; %bb.597:                              ;   in Loop: Header=BB359_291 Depth=1
	v_bfe_u32 v8, v5, 16, 1
	v_add3_u32 v11, v5, v8, s15
                                        ; implicit-def: $vgpr5
; %bb.598:                              ;   in Loop: Header=BB359_291 Depth=1
	s_andn2_saveexec_b64 s[20:21], s[2:3]
; %bb.599:                              ;   in Loop: Header=BB359_291 Depth=1
	v_or_b32_e32 v8, 0x10000, v5
	v_cmp_eq_u32_sdwa s[2:3], v5, v31 src0_sel:WORD_0 src1_sel:DWORD
	s_nop 1
	v_cndmask_b32_e64 v11, v8, v5, s[2:3]
; %bb.600:                              ;   in Loop: Header=BB359_291 Depth=1
	s_or_b64 exec, exec, s[20:21]
	v_lshrrev_b32_e32 v5, 24, v6
	v_cvt_f32_fp8_sdwa v5, v5 src0_sel:BYTE_0
	s_nop 0
	v_mul_f32_e32 v5, v27, v5
	v_and_b32_e32 v6, 0x7f800000, v5
	v_cmp_ne_u32_e64 s[2:3], s5, v6
                                        ; implicit-def: $vgpr6
	s_and_saveexec_b64 s[20:21], s[2:3]
	s_xor_b64 s[2:3], exec, s[20:21]
; %bb.601:                              ;   in Loop: Header=BB359_291 Depth=1
	v_bfe_u32 v6, v5, 16, 1
	v_add3_u32 v6, v5, v6, s15
                                        ; implicit-def: $vgpr5
; %bb.602:                              ;   in Loop: Header=BB359_291 Depth=1
	s_andn2_saveexec_b64 s[20:21], s[2:3]
; %bb.603:                              ;   in Loop: Header=BB359_291 Depth=1
	v_or_b32_e32 v6, 0x10000, v5
	v_cmp_eq_u32_sdwa s[2:3], v5, v31 src0_sel:WORD_0 src1_sel:DWORD
	s_nop 1
	v_cndmask_b32_e64 v6, v6, v5, s[2:3]
; %bb.604:                              ;   in Loop: Header=BB359_291 Depth=1
	s_or_b64 exec, exec, s[20:21]
	v_and_b32_e32 v5, 0xff, v7
	v_cvt_f32_fp8_sdwa v5, v5 src0_sel:BYTE_0
	s_nop 0
	v_mul_f32_e32 v8, v27, v5
	v_and_b32_e32 v5, 0x7f800000, v8
	v_cmp_ne_u32_e64 s[2:3], s5, v5
                                        ; implicit-def: $vgpr5
	s_and_saveexec_b64 s[20:21], s[2:3]
	s_xor_b64 s[2:3], exec, s[20:21]
; %bb.605:                              ;   in Loop: Header=BB359_291 Depth=1
	v_bfe_u32 v5, v8, 16, 1
	v_add3_u32 v5, v8, v5, s15
                                        ; implicit-def: $vgpr8
; %bb.606:                              ;   in Loop: Header=BB359_291 Depth=1
	s_andn2_saveexec_b64 s[20:21], s[2:3]
; %bb.607:                              ;   in Loop: Header=BB359_291 Depth=1
	v_or_b32_e32 v5, 0x10000, v8
	v_cmp_eq_u32_sdwa s[2:3], v8, v31 src0_sel:WORD_0 src1_sel:DWORD
	s_nop 1
	v_cndmask_b32_e64 v5, v5, v8, s[2:3]
; %bb.608:                              ;   in Loop: Header=BB359_291 Depth=1
	s_or_b64 exec, exec, s[20:21]
	v_bfe_u32 v8, v7, 8, 8
	v_cvt_f32_fp8_sdwa v8, v8 src0_sel:BYTE_0
	s_nop 0
	v_mul_f32_e32 v8, v27, v8
	v_and_b32_e32 v12, 0x7f800000, v8
	v_cmp_ne_u32_e64 s[2:3], s5, v12
                                        ; implicit-def: $vgpr12
	s_and_saveexec_b64 s[20:21], s[2:3]
	s_xor_b64 s[2:3], exec, s[20:21]
; %bb.609:                              ;   in Loop: Header=BB359_291 Depth=1
	v_bfe_u32 v12, v8, 16, 1
	v_add3_u32 v12, v8, v12, s15
                                        ; implicit-def: $vgpr8
; %bb.610:                              ;   in Loop: Header=BB359_291 Depth=1
	s_andn2_saveexec_b64 s[20:21], s[2:3]
; %bb.611:                              ;   in Loop: Header=BB359_291 Depth=1
	v_or_b32_e32 v12, 0x10000, v8
	v_cmp_eq_u32_sdwa s[2:3], v8, v31 src0_sel:WORD_0 src1_sel:DWORD
	s_nop 1
	v_cndmask_b32_e64 v12, v12, v8, s[2:3]
; %bb.612:                              ;   in Loop: Header=BB359_291 Depth=1
	s_or_b64 exec, exec, s[20:21]
	v_bfe_u32 v8, v7, 16, 8
	v_cvt_f32_fp8_sdwa v8, v8 src0_sel:BYTE_0
	s_nop 0
	v_mul_f32_e32 v8, v27, v8
	v_and_b32_e32 v13, 0x7f800000, v8
	v_cmp_ne_u32_e64 s[2:3], s5, v13
                                        ; implicit-def: $vgpr13
	s_and_saveexec_b64 s[20:21], s[2:3]
	s_xor_b64 s[2:3], exec, s[20:21]
; %bb.613:                              ;   in Loop: Header=BB359_291 Depth=1
	v_bfe_u32 v13, v8, 16, 1
	v_add3_u32 v13, v8, v13, s15
                                        ; implicit-def: $vgpr8
; %bb.614:                              ;   in Loop: Header=BB359_291 Depth=1
	s_andn2_saveexec_b64 s[20:21], s[2:3]
; %bb.615:                              ;   in Loop: Header=BB359_291 Depth=1
	v_or_b32_e32 v13, 0x10000, v8
	v_cmp_eq_u32_sdwa s[2:3], v8, v31 src0_sel:WORD_0 src1_sel:DWORD
	s_nop 1
	v_cndmask_b32_e64 v13, v13, v8, s[2:3]
; %bb.616:                              ;   in Loop: Header=BB359_291 Depth=1
	s_or_b64 exec, exec, s[20:21]
	v_lshrrev_b32_e32 v7, 24, v7
	v_cvt_f32_fp8_sdwa v7, v7 src0_sel:BYTE_0
                                        ; implicit-def: $vgpr20
	s_nop 0
	v_mul_f32_e32 v7, v27, v7
	v_and_b32_e32 v8, 0x7f800000, v7
	v_cmp_ne_u32_e64 s[2:3], s5, v8
	s_and_saveexec_b64 s[20:21], s[2:3]
	s_xor_b64 s[2:3], exec, s[20:21]
; %bb.617:                              ;   in Loop: Header=BB359_291 Depth=1
	v_bfe_u32 v8, v7, 16, 1
	v_add3_u32 v20, v7, v8, s15
                                        ; implicit-def: $vgpr7
; %bb.618:                              ;   in Loop: Header=BB359_291 Depth=1
	s_andn2_saveexec_b64 s[20:21], s[2:3]
; %bb.619:                              ;   in Loop: Header=BB359_291 Depth=1
	v_or_b32_e32 v8, 0x10000, v7
	v_cmp_eq_u32_sdwa s[2:3], v7, v31 src0_sel:WORD_0 src1_sel:DWORD
	s_nop 1
	v_cndmask_b32_e64 v20, v8, v7, s[2:3]
; %bb.620:                              ;   in Loop: Header=BB359_291 Depth=1
	s_or_b64 exec, exec, s[20:21]
	v_lshrrev_b32_e32 v7, 16, v12
	v_lshrrev_b32_e32 v5, 16, v5
	;; [unrolled: 1-line block ×8, first 2 shown]
	s_and_saveexec_b64 s[20:21], s[0:1]
	s_cbranch_execz .LBB359_622
; %bb.621:                              ;   in Loop: Header=BB359_291 Depth=1
	v_accvgpr_read_b32 v20, a3
	v_cmp_lt_i32_e64 s[2:3], v40, v20
	v_add_u32_e32 v13, 1, v40
	s_nop 0
	v_cndmask_b32_e64 v8, 0, v8, s[2:3]
	v_cmp_lt_i32_e64 s[2:3], v13, v20
	v_add_u32_e32 v13, 2, v40
	s_nop 0
	v_cndmask_b32_e64 v10, 0, v10, s[2:3]
	;; [unrolled: 4-line block ×7, first 2 shown]
	v_cmp_lt_i32_e64 s[2:3], v13, v20
	s_nop 1
	v_cndmask_b32_e64 v4, 0, v4, s[2:3]
.LBB359_622:                            ;   in Loop: Header=BB359_291 Depth=1
	s_or_b64 exec, exec, s[20:21]
	v_lshlrev_b32_e32 v8, 16, v8
	v_mul_f32_e32 v8, v44, v8
	v_and_b32_e32 v13, 0x7f800000, v8
	v_cmp_ne_u32_e64 s[2:3], s5, v13
                                        ; implicit-def: $vgpr27
	s_and_saveexec_b64 s[20:21], s[2:3]
	s_xor_b64 s[2:3], exec, s[20:21]
; %bb.623:                              ;   in Loop: Header=BB359_291 Depth=1
	v_bfe_u32 v13, v8, 16, 1
	v_add3_u32 v27, v8, v13, s15
                                        ; implicit-def: $vgpr8
; %bb.624:                              ;   in Loop: Header=BB359_291 Depth=1
	s_andn2_saveexec_b64 s[20:21], s[2:3]
; %bb.625:                              ;   in Loop: Header=BB359_291 Depth=1
	v_or_b32_e32 v13, 0x10000, v8
	v_cmp_eq_u32_sdwa s[2:3], v8, v31 src0_sel:WORD_0 src1_sel:DWORD
	s_nop 1
	v_cndmask_b32_e64 v27, v13, v8, s[2:3]
; %bb.626:                              ;   in Loop: Header=BB359_291 Depth=1
	s_or_b64 exec, exec, s[20:21]
	v_lshlrev_b32_e32 v8, 16, v10
	v_mul_f32_e32 v8, v45, v8
	v_and_b32_e32 v10, 0x7f800000, v8
	v_cmp_ne_u32_e64 s[2:3], s5, v10
                                        ; implicit-def: $vgpr52
	s_and_saveexec_b64 s[20:21], s[2:3]
	s_xor_b64 s[2:3], exec, s[20:21]
; %bb.627:                              ;   in Loop: Header=BB359_291 Depth=1
	v_bfe_u32 v10, v8, 16, 1
	v_add3_u32 v52, v8, v10, s15
                                        ; implicit-def: $vgpr8
; %bb.628:                              ;   in Loop: Header=BB359_291 Depth=1
	s_andn2_saveexec_b64 s[20:21], s[2:3]
; %bb.629:                              ;   in Loop: Header=BB359_291 Depth=1
	v_or_b32_e32 v10, 0x10000, v8
	v_cmp_eq_u32_sdwa s[2:3], v8, v31 src0_sel:WORD_0 src1_sel:DWORD
	s_nop 1
	v_cndmask_b32_e64 v52, v10, v8, s[2:3]
; %bb.630:                              ;   in Loop: Header=BB359_291 Depth=1
	s_or_b64 exec, exec, s[20:21]
	v_lshlrev_b32_e32 v8, 16, v11
	v_mul_f32_e32 v8, v46, v8
	v_and_b32_e32 v10, 0x7f800000, v8
	v_cmp_ne_u32_e64 s[2:3], s5, v10
                                        ; implicit-def: $vgpr53
	s_and_saveexec_b64 s[20:21], s[2:3]
	s_xor_b64 s[2:3], exec, s[20:21]
; %bb.631:                              ;   in Loop: Header=BB359_291 Depth=1
	v_bfe_u32 v10, v8, 16, 1
	v_add3_u32 v53, v8, v10, s15
                                        ; implicit-def: $vgpr8
; %bb.632:                              ;   in Loop: Header=BB359_291 Depth=1
	s_andn2_saveexec_b64 s[20:21], s[2:3]
; %bb.633:                              ;   in Loop: Header=BB359_291 Depth=1
	v_or_b32_e32 v10, 0x10000, v8
	v_cmp_eq_u32_sdwa s[2:3], v8, v31 src0_sel:WORD_0 src1_sel:DWORD
	s_nop 1
	v_cndmask_b32_e64 v53, v10, v8, s[2:3]
; %bb.634:                              ;   in Loop: Header=BB359_291 Depth=1
	s_or_b64 exec, exec, s[20:21]
	v_lshlrev_b32_e32 v8, 16, v12
	v_mul_f32_e32 v8, v47, v8
	v_and_b32_e32 v10, 0x7f800000, v8
	v_cmp_ne_u32_e64 s[2:3], s5, v10
                                        ; implicit-def: $vgpr54
	s_and_saveexec_b64 s[20:21], s[2:3]
	s_xor_b64 s[2:3], exec, s[20:21]
; %bb.635:                              ;   in Loop: Header=BB359_291 Depth=1
	v_bfe_u32 v10, v8, 16, 1
	v_add3_u32 v54, v8, v10, s15
                                        ; implicit-def: $vgpr8
; %bb.636:                              ;   in Loop: Header=BB359_291 Depth=1
	s_andn2_saveexec_b64 s[20:21], s[2:3]
; %bb.637:                              ;   in Loop: Header=BB359_291 Depth=1
	v_or_b32_e32 v10, 0x10000, v8
	v_cmp_eq_u32_sdwa s[2:3], v8, v31 src0_sel:WORD_0 src1_sel:DWORD
	s_nop 1
	v_cndmask_b32_e64 v54, v10, v8, s[2:3]
; %bb.638:                              ;   in Loop: Header=BB359_291 Depth=1
	s_or_b64 exec, exec, s[20:21]
	v_lshlrev_b32_e32 v5, 16, v5
	v_mul_f32_e32 v5, v56, v5
	v_and_b32_e32 v8, 0x7f800000, v5
	v_cmp_ne_u32_e64 s[2:3], s5, v8
                                        ; implicit-def: $vgpr55
	s_and_saveexec_b64 s[20:21], s[2:3]
	s_xor_b64 s[2:3], exec, s[20:21]
; %bb.639:                              ;   in Loop: Header=BB359_291 Depth=1
	v_bfe_u32 v8, v5, 16, 1
	v_add3_u32 v55, v5, v8, s15
                                        ; implicit-def: $vgpr5
; %bb.640:                              ;   in Loop: Header=BB359_291 Depth=1
	s_andn2_saveexec_b64 s[20:21], s[2:3]
; %bb.641:                              ;   in Loop: Header=BB359_291 Depth=1
	v_or_b32_e32 v8, 0x10000, v5
	v_cmp_eq_u32_sdwa s[2:3], v5, v31 src0_sel:WORD_0 src1_sel:DWORD
	s_nop 1
	v_cndmask_b32_e64 v55, v8, v5, s[2:3]
; %bb.642:                              ;   in Loop: Header=BB359_291 Depth=1
	s_or_b64 exec, exec, s[20:21]
	v_lshlrev_b32_e32 v5, 16, v7
	v_mul_f32_e32 v5, v57, v5
	v_and_b32_e32 v7, 0x7f800000, v5
	v_cmp_ne_u32_e64 s[2:3], s5, v7
                                        ; implicit-def: $vgpr20
	s_and_saveexec_b64 s[20:21], s[2:3]
	s_xor_b64 s[2:3], exec, s[20:21]
; %bb.643:                              ;   in Loop: Header=BB359_291 Depth=1
	v_bfe_u32 v7, v5, 16, 1
	v_add3_u32 v20, v5, v7, s15
                                        ; implicit-def: $vgpr5
; %bb.644:                              ;   in Loop: Header=BB359_291 Depth=1
	s_andn2_saveexec_b64 s[20:21], s[2:3]
; %bb.645:                              ;   in Loop: Header=BB359_291 Depth=1
	v_or_b32_e32 v7, 0x10000, v5
	v_cmp_eq_u32_sdwa s[2:3], v5, v31 src0_sel:WORD_0 src1_sel:DWORD
	s_nop 1
	v_cndmask_b32_e64 v20, v7, v5, s[2:3]
; %bb.646:                              ;   in Loop: Header=BB359_291 Depth=1
	s_or_b64 exec, exec, s[20:21]
	v_lshlrev_b32_e32 v5, 16, v6
	v_mul_f32_e32 v5, v58, v5
	v_and_b32_e32 v6, 0x7f800000, v5
	v_cmp_ne_u32_e64 s[2:3], s5, v6
                                        ; implicit-def: $vgpr60
	s_and_saveexec_b64 s[20:21], s[2:3]
	s_xor_b64 s[2:3], exec, s[20:21]
; %bb.647:                              ;   in Loop: Header=BB359_291 Depth=1
	v_bfe_u32 v6, v5, 16, 1
	v_add3_u32 v60, v5, v6, s15
                                        ; implicit-def: $vgpr5
; %bb.648:                              ;   in Loop: Header=BB359_291 Depth=1
	s_andn2_saveexec_b64 s[20:21], s[2:3]
; %bb.649:                              ;   in Loop: Header=BB359_291 Depth=1
	v_or_b32_e32 v6, 0x10000, v5
	v_cmp_eq_u32_sdwa s[2:3], v5, v31 src0_sel:WORD_0 src1_sel:DWORD
	s_nop 1
	v_cndmask_b32_e64 v60, v6, v5, s[2:3]
; %bb.650:                              ;   in Loop: Header=BB359_291 Depth=1
	s_or_b64 exec, exec, s[20:21]
	v_lshlrev_b32_e32 v4, 16, v4
	v_mul_f32_e32 v4, v59, v4
	v_and_b32_e32 v5, 0x7f800000, v4
	v_cmp_ne_u32_e64 s[2:3], s5, v5
                                        ; implicit-def: $vgpr61
	s_and_saveexec_b64 s[20:21], s[2:3]
	s_xor_b64 s[2:3], exec, s[20:21]
; %bb.651:                              ;   in Loop: Header=BB359_291 Depth=1
	v_bfe_u32 v5, v4, 16, 1
	v_add3_u32 v61, v4, v5, s15
                                        ; implicit-def: $vgpr4
; %bb.652:                              ;   in Loop: Header=BB359_291 Depth=1
	s_andn2_saveexec_b64 s[20:21], s[2:3]
; %bb.653:                              ;   in Loop: Header=BB359_291 Depth=1
	v_or_b32_e32 v5, 0x10000, v4
	v_cmp_eq_u32_sdwa s[2:3], v4, v31 src0_sel:WORD_0 src1_sel:DWORD
	s_nop 1
	v_cndmask_b32_e64 v61, v5, v4, s[2:3]
; %bb.654:                              ;   in Loop: Header=BB359_291 Depth=1
	s_or_b64 exec, exec, s[20:21]
	flat_load_dwordx2 v[6:7], v[2:3] offset:2560
	scratch_load_dwordx2 v[4:5], off, s32 offset:224 ; 8-byte Folded Reload
	s_waitcnt vmcnt(0)
	flat_load_dword v39, v[4:5]
	s_waitcnt lgkmcnt(0)
	v_and_b32_e32 v4, 0xff, v6
	v_cvt_f32_fp8_sdwa v4, v4 src0_sel:BYTE_0
	s_waitcnt vmcnt(0)
	v_mul_f32_e32 v5, v39, v4
	v_and_b32_e32 v4, 0x7f800000, v5
	v_cmp_ne_u32_e64 s[2:3], s5, v4
                                        ; implicit-def: $vgpr4
	s_and_saveexec_b64 s[20:21], s[2:3]
	s_xor_b64 s[2:3], exec, s[20:21]
; %bb.655:                              ;   in Loop: Header=BB359_291 Depth=1
	v_bfe_u32 v4, v5, 16, 1
	v_add3_u32 v4, v5, v4, s15
                                        ; implicit-def: $vgpr5
; %bb.656:                              ;   in Loop: Header=BB359_291 Depth=1
	s_andn2_saveexec_b64 s[20:21], s[2:3]
; %bb.657:                              ;   in Loop: Header=BB359_291 Depth=1
	v_or_b32_e32 v4, 0x10000, v5
	v_cmp_eq_u32_sdwa s[2:3], v5, v31 src0_sel:WORD_0 src1_sel:DWORD
	s_nop 1
	v_cndmask_b32_e64 v4, v4, v5, s[2:3]
; %bb.658:                              ;   in Loop: Header=BB359_291 Depth=1
	s_or_b64 exec, exec, s[20:21]
	v_bfe_u32 v5, v6, 8, 8
	v_cvt_f32_fp8_sdwa v5, v5 src0_sel:BYTE_0
                                        ; implicit-def: $vgpr10
	s_nop 0
	v_mul_f32_e32 v5, v39, v5
	v_and_b32_e32 v8, 0x7f800000, v5
	v_cmp_ne_u32_e64 s[2:3], s5, v8
	s_and_saveexec_b64 s[20:21], s[2:3]
	s_xor_b64 s[2:3], exec, s[20:21]
; %bb.659:                              ;   in Loop: Header=BB359_291 Depth=1
	v_bfe_u32 v8, v5, 16, 1
	v_add3_u32 v10, v5, v8, s15
                                        ; implicit-def: $vgpr5
; %bb.660:                              ;   in Loop: Header=BB359_291 Depth=1
	s_andn2_saveexec_b64 s[20:21], s[2:3]
; %bb.661:                              ;   in Loop: Header=BB359_291 Depth=1
	v_or_b32_e32 v8, 0x10000, v5
	v_cmp_eq_u32_sdwa s[2:3], v5, v31 src0_sel:WORD_0 src1_sel:DWORD
	s_nop 1
	v_cndmask_b32_e64 v10, v8, v5, s[2:3]
; %bb.662:                              ;   in Loop: Header=BB359_291 Depth=1
	s_or_b64 exec, exec, s[20:21]
	v_bfe_u32 v5, v6, 16, 8
	v_cvt_f32_fp8_sdwa v5, v5 src0_sel:BYTE_0
                                        ; implicit-def: $vgpr11
	s_nop 0
	v_mul_f32_e32 v5, v39, v5
	v_and_b32_e32 v8, 0x7f800000, v5
	v_cmp_ne_u32_e64 s[2:3], s5, v8
	s_and_saveexec_b64 s[20:21], s[2:3]
	s_xor_b64 s[2:3], exec, s[20:21]
; %bb.663:                              ;   in Loop: Header=BB359_291 Depth=1
	v_bfe_u32 v8, v5, 16, 1
	v_add3_u32 v11, v5, v8, s15
                                        ; implicit-def: $vgpr5
; %bb.664:                              ;   in Loop: Header=BB359_291 Depth=1
	s_andn2_saveexec_b64 s[20:21], s[2:3]
; %bb.665:                              ;   in Loop: Header=BB359_291 Depth=1
	v_or_b32_e32 v8, 0x10000, v5
	v_cmp_eq_u32_sdwa s[2:3], v5, v31 src0_sel:WORD_0 src1_sel:DWORD
	s_nop 1
	v_cndmask_b32_e64 v11, v8, v5, s[2:3]
; %bb.666:                              ;   in Loop: Header=BB359_291 Depth=1
	s_or_b64 exec, exec, s[20:21]
	v_lshrrev_b32_e32 v5, 24, v6
	v_cvt_f32_fp8_sdwa v5, v5 src0_sel:BYTE_0
	s_nop 0
	v_mul_f32_e32 v5, v39, v5
	v_and_b32_e32 v6, 0x7f800000, v5
	v_cmp_ne_u32_e64 s[2:3], s5, v6
                                        ; implicit-def: $vgpr6
	s_and_saveexec_b64 s[20:21], s[2:3]
	s_xor_b64 s[2:3], exec, s[20:21]
; %bb.667:                              ;   in Loop: Header=BB359_291 Depth=1
	v_bfe_u32 v6, v5, 16, 1
	v_add3_u32 v6, v5, v6, s15
                                        ; implicit-def: $vgpr5
; %bb.668:                              ;   in Loop: Header=BB359_291 Depth=1
	s_andn2_saveexec_b64 s[20:21], s[2:3]
; %bb.669:                              ;   in Loop: Header=BB359_291 Depth=1
	v_or_b32_e32 v6, 0x10000, v5
	v_cmp_eq_u32_sdwa s[2:3], v5, v31 src0_sel:WORD_0 src1_sel:DWORD
	s_nop 1
	v_cndmask_b32_e64 v6, v6, v5, s[2:3]
; %bb.670:                              ;   in Loop: Header=BB359_291 Depth=1
	s_or_b64 exec, exec, s[20:21]
	v_and_b32_e32 v5, 0xff, v7
	v_cvt_f32_fp8_sdwa v5, v5 src0_sel:BYTE_0
	s_nop 0
	v_mul_f32_e32 v8, v39, v5
	v_and_b32_e32 v5, 0x7f800000, v8
	v_cmp_ne_u32_e64 s[2:3], s5, v5
                                        ; implicit-def: $vgpr5
	s_and_saveexec_b64 s[20:21], s[2:3]
	s_xor_b64 s[2:3], exec, s[20:21]
; %bb.671:                              ;   in Loop: Header=BB359_291 Depth=1
	v_bfe_u32 v5, v8, 16, 1
	v_add3_u32 v5, v8, v5, s15
                                        ; implicit-def: $vgpr8
; %bb.672:                              ;   in Loop: Header=BB359_291 Depth=1
	s_andn2_saveexec_b64 s[20:21], s[2:3]
; %bb.673:                              ;   in Loop: Header=BB359_291 Depth=1
	v_or_b32_e32 v5, 0x10000, v8
	v_cmp_eq_u32_sdwa s[2:3], v8, v31 src0_sel:WORD_0 src1_sel:DWORD
	s_nop 1
	v_cndmask_b32_e64 v5, v5, v8, s[2:3]
; %bb.674:                              ;   in Loop: Header=BB359_291 Depth=1
	s_or_b64 exec, exec, s[20:21]
	v_bfe_u32 v8, v7, 8, 8
	v_cvt_f32_fp8_sdwa v8, v8 src0_sel:BYTE_0
	s_nop 0
	v_mul_f32_e32 v8, v39, v8
	v_and_b32_e32 v12, 0x7f800000, v8
	v_cmp_ne_u32_e64 s[2:3], s5, v12
                                        ; implicit-def: $vgpr12
	s_and_saveexec_b64 s[20:21], s[2:3]
	s_xor_b64 s[2:3], exec, s[20:21]
; %bb.675:                              ;   in Loop: Header=BB359_291 Depth=1
	v_bfe_u32 v12, v8, 16, 1
	v_add3_u32 v12, v8, v12, s15
                                        ; implicit-def: $vgpr8
; %bb.676:                              ;   in Loop: Header=BB359_291 Depth=1
	s_andn2_saveexec_b64 s[20:21], s[2:3]
; %bb.677:                              ;   in Loop: Header=BB359_291 Depth=1
	v_or_b32_e32 v12, 0x10000, v8
	v_cmp_eq_u32_sdwa s[2:3], v8, v31 src0_sel:WORD_0 src1_sel:DWORD
	s_nop 1
	v_cndmask_b32_e64 v12, v12, v8, s[2:3]
; %bb.678:                              ;   in Loop: Header=BB359_291 Depth=1
	s_or_b64 exec, exec, s[20:21]
	v_bfe_u32 v8, v7, 16, 8
	v_cvt_f32_fp8_sdwa v8, v8 src0_sel:BYTE_0
                                        ; implicit-def: $vgpr32
	s_nop 0
	v_mul_f32_e32 v8, v39, v8
	v_and_b32_e32 v13, 0x7f800000, v8
	v_cmp_ne_u32_e64 s[2:3], s5, v13
	s_and_saveexec_b64 s[20:21], s[2:3]
	s_xor_b64 s[2:3], exec, s[20:21]
; %bb.679:                              ;   in Loop: Header=BB359_291 Depth=1
	v_bfe_u32 v13, v8, 16, 1
	v_add3_u32 v32, v8, v13, s15
                                        ; implicit-def: $vgpr8
; %bb.680:                              ;   in Loop: Header=BB359_291 Depth=1
	s_andn2_saveexec_b64 s[20:21], s[2:3]
; %bb.681:                              ;   in Loop: Header=BB359_291 Depth=1
	v_or_b32_e32 v13, 0x10000, v8
	v_cmp_eq_u32_sdwa s[2:3], v8, v31 src0_sel:WORD_0 src1_sel:DWORD
	s_nop 1
	v_cndmask_b32_e64 v32, v13, v8, s[2:3]
; %bb.682:                              ;   in Loop: Header=BB359_291 Depth=1
	s_or_b64 exec, exec, s[20:21]
	v_lshrrev_b32_e32 v7, 24, v7
	v_cvt_f32_fp8_sdwa v7, v7 src0_sel:BYTE_0
	s_nop 0
	v_mul_f32_e32 v7, v39, v7
	v_and_b32_e32 v8, 0x7f800000, v7
	v_cmp_ne_u32_e64 s[2:3], s5, v8
                                        ; implicit-def: $vgpr8
	s_and_saveexec_b64 s[20:21], s[2:3]
	s_xor_b64 s[2:3], exec, s[20:21]
; %bb.683:                              ;   in Loop: Header=BB359_291 Depth=1
	v_bfe_u32 v8, v7, 16, 1
	v_add3_u32 v8, v7, v8, s15
                                        ; implicit-def: $vgpr7
; %bb.684:                              ;   in Loop: Header=BB359_291 Depth=1
	s_andn2_saveexec_b64 s[20:21], s[2:3]
; %bb.685:                              ;   in Loop: Header=BB359_291 Depth=1
	v_or_b32_e32 v8, 0x10000, v7
	v_cmp_eq_u32_sdwa s[2:3], v7, v31 src0_sel:WORD_0 src1_sel:DWORD
	s_nop 1
	v_cndmask_b32_e64 v8, v8, v7, s[2:3]
; %bb.686:                              ;   in Loop: Header=BB359_291 Depth=1
	s_or_b64 exec, exec, s[20:21]
	v_lshrrev_b32_e32 v21, 16, v12
	v_lshrrev_b32_e32 v5, 16, v5
	;; [unrolled: 1-line block ×8, first 2 shown]
	s_and_saveexec_b64 s[20:21], s[0:1]
	s_cbranch_execz .LBB359_688
; %bb.687:                              ;   in Loop: Header=BB359_291 Depth=1
	v_accvgpr_read_b32 v8, a3
	v_cmp_lt_i32_e64 s[2:3], v40, v8
	v_add_u32_e32 v6, 1, v40
	s_nop 0
	v_cndmask_b32_e64 v4, 0, v4, s[2:3]
	v_cmp_lt_i32_e64 s[2:3], v6, v8
	v_add_u32_e32 v6, 2, v40
	s_nop 0
	v_cndmask_b32_e64 v7, 0, v7, s[2:3]
	;; [unrolled: 4-line block ×7, first 2 shown]
	v_cmp_lt_i32_e64 s[2:3], v6, v8
	s_nop 1
	v_cndmask_b32_e64 v10, 0, v10, s[2:3]
.LBB359_688:                            ;   in Loop: Header=BB359_291 Depth=1
	s_or_b64 exec, exec, s[20:21]
	v_lshlrev_b32_e32 v4, 16, v4
	v_mul_f32_e32 v4, v44, v4
	v_and_b32_e32 v6, 0x7f800000, v4
	v_cmp_ne_u32_e64 s[2:3], s5, v6
                                        ; implicit-def: $vgpr6
	s_and_saveexec_b64 s[20:21], s[2:3]
	s_xor_b64 s[2:3], exec, s[20:21]
; %bb.689:                              ;   in Loop: Header=BB359_291 Depth=1
	v_bfe_u32 v6, v4, 16, 1
	v_add3_u32 v6, v4, v6, s15
                                        ; implicit-def: $vgpr4
; %bb.690:                              ;   in Loop: Header=BB359_291 Depth=1
	s_andn2_saveexec_b64 s[20:21], s[2:3]
; %bb.691:                              ;   in Loop: Header=BB359_291 Depth=1
	v_or_b32_e32 v6, 0x10000, v4
	v_cmp_eq_u32_sdwa s[2:3], v4, v31 src0_sel:WORD_0 src1_sel:DWORD
	s_nop 1
	v_cndmask_b32_e64 v6, v6, v4, s[2:3]
; %bb.692:                              ;   in Loop: Header=BB359_291 Depth=1
	s_or_b64 exec, exec, s[20:21]
	v_lshlrev_b32_e32 v4, 16, v7
	v_mul_f32_e32 v4, v45, v4
	v_and_b32_e32 v7, 0x7f800000, v4
	v_cmp_ne_u32_e64 s[2:3], s5, v7
                                        ; implicit-def: $vgpr7
	s_and_saveexec_b64 s[20:21], s[2:3]
	s_xor_b64 s[2:3], exec, s[20:21]
; %bb.693:                              ;   in Loop: Header=BB359_291 Depth=1
	v_bfe_u32 v7, v4, 16, 1
	v_add3_u32 v7, v4, v7, s15
                                        ; implicit-def: $vgpr4
; %bb.694:                              ;   in Loop: Header=BB359_291 Depth=1
	s_andn2_saveexec_b64 s[20:21], s[2:3]
; %bb.695:                              ;   in Loop: Header=BB359_291 Depth=1
	v_or_b32_e32 v7, 0x10000, v4
	v_cmp_eq_u32_sdwa s[2:3], v4, v31 src0_sel:WORD_0 src1_sel:DWORD
	s_nop 1
	v_cndmask_b32_e64 v7, v7, v4, s[2:3]
; %bb.696:                              ;   in Loop: Header=BB359_291 Depth=1
	s_or_b64 exec, exec, s[20:21]
	v_lshlrev_b32_e32 v4, 16, v13
	v_mul_f32_e32 v4, v46, v4
	v_and_b32_e32 v8, 0x7f800000, v4
	v_cmp_ne_u32_e64 s[2:3], s5, v8
                                        ; implicit-def: $vgpr37
	s_and_saveexec_b64 s[20:21], s[2:3]
	s_xor_b64 s[2:3], exec, s[20:21]
; %bb.697:                              ;   in Loop: Header=BB359_291 Depth=1
	v_bfe_u32 v8, v4, 16, 1
	v_add3_u32 v37, v4, v8, s15
                                        ; implicit-def: $vgpr4
; %bb.698:                              ;   in Loop: Header=BB359_291 Depth=1
	s_andn2_saveexec_b64 s[20:21], s[2:3]
; %bb.699:                              ;   in Loop: Header=BB359_291 Depth=1
	v_or_b32_e32 v8, 0x10000, v4
	v_cmp_eq_u32_sdwa s[2:3], v4, v31 src0_sel:WORD_0 src1_sel:DWORD
	s_nop 1
	v_cndmask_b32_e64 v37, v8, v4, s[2:3]
; %bb.700:                              ;   in Loop: Header=BB359_291 Depth=1
	s_or_b64 exec, exec, s[20:21]
	v_lshlrev_b32_e32 v4, 16, v12
	v_mul_f32_e32 v4, v47, v4
	v_and_b32_e32 v8, 0x7f800000, v4
	v_cmp_ne_u32_e64 s[2:3], s5, v8
                                        ; implicit-def: $vgpr38
	s_and_saveexec_b64 s[20:21], s[2:3]
	s_xor_b64 s[2:3], exec, s[20:21]
; %bb.701:                              ;   in Loop: Header=BB359_291 Depth=1
	v_bfe_u32 v8, v4, 16, 1
	v_add3_u32 v38, v4, v8, s15
                                        ; implicit-def: $vgpr4
; %bb.702:                              ;   in Loop: Header=BB359_291 Depth=1
	s_andn2_saveexec_b64 s[20:21], s[2:3]
; %bb.703:                              ;   in Loop: Header=BB359_291 Depth=1
	v_or_b32_e32 v8, 0x10000, v4
	v_cmp_eq_u32_sdwa s[2:3], v4, v31 src0_sel:WORD_0 src1_sel:DWORD
	s_nop 1
	v_cndmask_b32_e64 v38, v8, v4, s[2:3]
; %bb.704:                              ;   in Loop: Header=BB359_291 Depth=1
	s_or_b64 exec, exec, s[20:21]
	v_lshlrev_b32_e32 v4, 16, v5
	v_mul_f32_e32 v4, v56, v4
	v_and_b32_e32 v5, 0x7f800000, v4
	v_cmp_ne_u32_e64 s[2:3], s5, v5
                                        ; implicit-def: $vgpr49
	s_and_saveexec_b64 s[20:21], s[2:3]
	s_xor_b64 s[2:3], exec, s[20:21]
; %bb.705:                              ;   in Loop: Header=BB359_291 Depth=1
	v_bfe_u32 v5, v4, 16, 1
	v_add3_u32 v49, v4, v5, s15
                                        ; implicit-def: $vgpr4
; %bb.706:                              ;   in Loop: Header=BB359_291 Depth=1
	s_andn2_saveexec_b64 s[20:21], s[2:3]
; %bb.707:                              ;   in Loop: Header=BB359_291 Depth=1
	v_or_b32_e32 v5, 0x10000, v4
	v_cmp_eq_u32_sdwa s[2:3], v4, v31 src0_sel:WORD_0 src1_sel:DWORD
	s_nop 1
	v_cndmask_b32_e64 v49, v5, v4, s[2:3]
; %bb.708:                              ;   in Loop: Header=BB359_291 Depth=1
	s_or_b64 exec, exec, s[20:21]
	v_lshlrev_b32_e32 v4, 16, v21
	v_mul_f32_e32 v5, v57, v4
	v_and_b32_e32 v4, 0x7f800000, v5
	v_cmp_ne_u32_e64 s[2:3], s5, v4
                                        ; implicit-def: $vgpr4
	s_and_saveexec_b64 s[20:21], s[2:3]
	s_xor_b64 s[2:3], exec, s[20:21]
; %bb.709:                              ;   in Loop: Header=BB359_291 Depth=1
	v_bfe_u32 v4, v5, 16, 1
	v_add3_u32 v4, v5, v4, s15
                                        ; implicit-def: $vgpr5
; %bb.710:                              ;   in Loop: Header=BB359_291 Depth=1
	s_andn2_saveexec_b64 s[20:21], s[2:3]
; %bb.711:                              ;   in Loop: Header=BB359_291 Depth=1
	v_or_b32_e32 v4, 0x10000, v5
	v_cmp_eq_u32_sdwa s[2:3], v5, v31 src0_sel:WORD_0 src1_sel:DWORD
	s_nop 1
	v_cndmask_b32_e64 v4, v4, v5, s[2:3]
; %bb.712:                              ;   in Loop: Header=BB359_291 Depth=1
	s_or_b64 exec, exec, s[20:21]
	v_lshlrev_b32_e32 v5, 16, v11
	v_mul_f32_e32 v5, v58, v5
	v_and_b32_e32 v8, 0x7f800000, v5
	v_cmp_ne_u32_e64 s[2:3], s5, v8
                                        ; implicit-def: $vgpr35
	s_and_saveexec_b64 s[20:21], s[2:3]
	s_xor_b64 s[2:3], exec, s[20:21]
; %bb.713:                              ;   in Loop: Header=BB359_291 Depth=1
	v_bfe_u32 v8, v5, 16, 1
	v_add3_u32 v35, v5, v8, s15
                                        ; implicit-def: $vgpr5
; %bb.714:                              ;   in Loop: Header=BB359_291 Depth=1
	s_andn2_saveexec_b64 s[20:21], s[2:3]
; %bb.715:                              ;   in Loop: Header=BB359_291 Depth=1
	v_or_b32_e32 v8, 0x10000, v5
	v_cmp_eq_u32_sdwa s[2:3], v5, v31 src0_sel:WORD_0 src1_sel:DWORD
	s_nop 1
	v_cndmask_b32_e64 v35, v8, v5, s[2:3]
; %bb.716:                              ;   in Loop: Header=BB359_291 Depth=1
	s_or_b64 exec, exec, s[20:21]
	v_lshlrev_b32_e32 v5, 16, v10
	v_mul_f32_e32 v5, v59, v5
	v_and_b32_e32 v8, 0x7f800000, v5
	v_cmp_ne_u32_e64 s[2:3], s5, v8
                                        ; implicit-def: $vgpr41
	s_and_saveexec_b64 s[20:21], s[2:3]
	s_xor_b64 s[2:3], exec, s[20:21]
; %bb.717:                              ;   in Loop: Header=BB359_291 Depth=1
	v_bfe_u32 v8, v5, 16, 1
	v_add3_u32 v41, v5, v8, s15
                                        ; implicit-def: $vgpr5
; %bb.718:                              ;   in Loop: Header=BB359_291 Depth=1
	s_andn2_saveexec_b64 s[20:21], s[2:3]
; %bb.719:                              ;   in Loop: Header=BB359_291 Depth=1
	v_or_b32_e32 v8, 0x10000, v5
	v_cmp_eq_u32_sdwa s[2:3], v5, v31 src0_sel:WORD_0 src1_sel:DWORD
	s_nop 1
	v_cndmask_b32_e64 v41, v8, v5, s[2:3]
; %bb.720:                              ;   in Loop: Header=BB359_291 Depth=1
	s_or_b64 exec, exec, s[20:21]
	flat_load_dwordx2 v[2:3], v[2:3] offset:3072
                                        ; implicit-def: $vgpr10
	s_waitcnt vmcnt(0) lgkmcnt(0)
	v_and_b32_e32 v5, 0xff, v2
	v_cvt_f32_fp8_sdwa v5, v5 src0_sel:BYTE_0
	s_nop 0
	v_mul_f32_e32 v5, v39, v5
	v_and_b32_e32 v8, 0x7f800000, v5
	v_cmp_ne_u32_e64 s[2:3], s5, v8
	s_and_saveexec_b64 s[20:21], s[2:3]
	s_xor_b64 s[2:3], exec, s[20:21]
; %bb.721:                              ;   in Loop: Header=BB359_291 Depth=1
	v_bfe_u32 v8, v5, 16, 1
	v_add3_u32 v10, v5, v8, s15
                                        ; implicit-def: $vgpr5
; %bb.722:                              ;   in Loop: Header=BB359_291 Depth=1
	s_andn2_saveexec_b64 s[20:21], s[2:3]
; %bb.723:                              ;   in Loop: Header=BB359_291 Depth=1
	v_or_b32_e32 v8, 0x10000, v5
	v_cmp_eq_u32_sdwa s[2:3], v5, v31 src0_sel:WORD_0 src1_sel:DWORD
	s_nop 1
	v_cndmask_b32_e64 v10, v8, v5, s[2:3]
; %bb.724:                              ;   in Loop: Header=BB359_291 Depth=1
	s_or_b64 exec, exec, s[20:21]
	v_bfe_u32 v5, v2, 8, 8
	v_cvt_f32_fp8_sdwa v5, v5 src0_sel:BYTE_0
                                        ; implicit-def: $vgpr11
	s_nop 0
	v_mul_f32_e32 v5, v39, v5
	v_and_b32_e32 v8, 0x7f800000, v5
	v_cmp_ne_u32_e64 s[2:3], s5, v8
	s_and_saveexec_b64 s[20:21], s[2:3]
	s_xor_b64 s[2:3], exec, s[20:21]
; %bb.725:                              ;   in Loop: Header=BB359_291 Depth=1
	v_bfe_u32 v8, v5, 16, 1
	v_add3_u32 v11, v5, v8, s15
                                        ; implicit-def: $vgpr5
; %bb.726:                              ;   in Loop: Header=BB359_291 Depth=1
	s_andn2_saveexec_b64 s[20:21], s[2:3]
; %bb.727:                              ;   in Loop: Header=BB359_291 Depth=1
	v_or_b32_e32 v8, 0x10000, v5
	v_cmp_eq_u32_sdwa s[2:3], v5, v31 src0_sel:WORD_0 src1_sel:DWORD
	s_nop 1
	v_cndmask_b32_e64 v11, v8, v5, s[2:3]
; %bb.728:                              ;   in Loop: Header=BB359_291 Depth=1
	s_or_b64 exec, exec, s[20:21]
	v_bfe_u32 v5, v2, 16, 8
	v_cvt_f32_fp8_sdwa v5, v5 src0_sel:BYTE_0
                                        ; implicit-def: $vgpr32
	s_nop 0
	v_mul_f32_e32 v5, v39, v5
	v_and_b32_e32 v8, 0x7f800000, v5
	v_cmp_ne_u32_e64 s[2:3], s5, v8
	s_and_saveexec_b64 s[20:21], s[2:3]
	s_xor_b64 s[2:3], exec, s[20:21]
; %bb.729:                              ;   in Loop: Header=BB359_291 Depth=1
	v_bfe_u32 v8, v5, 16, 1
	v_add3_u32 v32, v5, v8, s15
                                        ; implicit-def: $vgpr5
; %bb.730:                              ;   in Loop: Header=BB359_291 Depth=1
	s_andn2_saveexec_b64 s[20:21], s[2:3]
; %bb.731:                              ;   in Loop: Header=BB359_291 Depth=1
	v_or_b32_e32 v8, 0x10000, v5
	v_cmp_eq_u32_sdwa s[2:3], v5, v31 src0_sel:WORD_0 src1_sel:DWORD
	s_nop 1
	v_cndmask_b32_e64 v32, v8, v5, s[2:3]
; %bb.732:                              ;   in Loop: Header=BB359_291 Depth=1
	s_or_b64 exec, exec, s[20:21]
	v_lshrrev_b32_e32 v2, 24, v2
	v_cvt_f32_fp8_sdwa v2, v2 src0_sel:BYTE_0
	s_nop 0
	v_mul_f32_e32 v5, v39, v2
	v_and_b32_e32 v2, 0x7f800000, v5
	v_cmp_ne_u32_e64 s[2:3], s5, v2
                                        ; implicit-def: $vgpr2
	s_and_saveexec_b64 s[20:21], s[2:3]
	s_xor_b64 s[2:3], exec, s[20:21]
; %bb.733:                              ;   in Loop: Header=BB359_291 Depth=1
	v_bfe_u32 v2, v5, 16, 1
	v_add3_u32 v2, v5, v2, s15
                                        ; implicit-def: $vgpr5
; %bb.734:                              ;   in Loop: Header=BB359_291 Depth=1
	s_andn2_saveexec_b64 s[20:21], s[2:3]
; %bb.735:                              ;   in Loop: Header=BB359_291 Depth=1
	v_or_b32_e32 v2, 0x10000, v5
	v_cmp_eq_u32_sdwa s[2:3], v5, v31 src0_sel:WORD_0 src1_sel:DWORD
	s_nop 1
	v_cndmask_b32_e64 v2, v2, v5, s[2:3]
; %bb.736:                              ;   in Loop: Header=BB359_291 Depth=1
	s_or_b64 exec, exec, s[20:21]
	v_and_b32_e32 v5, 0xff, v3
	v_cvt_f32_fp8_sdwa v5, v5 src0_sel:BYTE_0
	s_nop 0
	v_mul_f32_e32 v8, v39, v5
	v_and_b32_e32 v5, 0x7f800000, v8
	v_cmp_ne_u32_e64 s[2:3], s5, v5
                                        ; implicit-def: $vgpr5
	s_and_saveexec_b64 s[20:21], s[2:3]
	s_xor_b64 s[2:3], exec, s[20:21]
; %bb.737:                              ;   in Loop: Header=BB359_291 Depth=1
	v_bfe_u32 v5, v8, 16, 1
	v_add3_u32 v5, v8, v5, s15
                                        ; implicit-def: $vgpr8
; %bb.738:                              ;   in Loop: Header=BB359_291 Depth=1
	s_andn2_saveexec_b64 s[20:21], s[2:3]
; %bb.739:                              ;   in Loop: Header=BB359_291 Depth=1
	v_or_b32_e32 v5, 0x10000, v8
	v_cmp_eq_u32_sdwa s[2:3], v8, v31 src0_sel:WORD_0 src1_sel:DWORD
	s_nop 1
	v_cndmask_b32_e64 v5, v5, v8, s[2:3]
; %bb.740:                              ;   in Loop: Header=BB359_291 Depth=1
	s_or_b64 exec, exec, s[20:21]
	v_bfe_u32 v8, v3, 8, 8
	v_cvt_f32_fp8_sdwa v8, v8 src0_sel:BYTE_0
	s_nop 0
	v_mul_f32_e32 v8, v39, v8
	v_and_b32_e32 v12, 0x7f800000, v8
	v_cmp_ne_u32_e64 s[2:3], s5, v12
                                        ; implicit-def: $vgpr12
	s_and_saveexec_b64 s[20:21], s[2:3]
	s_xor_b64 s[2:3], exec, s[20:21]
; %bb.741:                              ;   in Loop: Header=BB359_291 Depth=1
	v_bfe_u32 v12, v8, 16, 1
	v_add3_u32 v12, v8, v12, s15
                                        ; implicit-def: $vgpr8
; %bb.742:                              ;   in Loop: Header=BB359_291 Depth=1
	s_andn2_saveexec_b64 s[20:21], s[2:3]
; %bb.743:                              ;   in Loop: Header=BB359_291 Depth=1
	v_or_b32_e32 v12, 0x10000, v8
	v_cmp_eq_u32_sdwa s[2:3], v8, v31 src0_sel:WORD_0 src1_sel:DWORD
	s_nop 1
	v_cndmask_b32_e64 v12, v12, v8, s[2:3]
; %bb.744:                              ;   in Loop: Header=BB359_291 Depth=1
	s_or_b64 exec, exec, s[20:21]
	v_bfe_u32 v8, v3, 16, 8
	v_cvt_f32_fp8_sdwa v8, v8 src0_sel:BYTE_0
                                        ; implicit-def: $vgpr33
	s_nop 0
	v_mul_f32_e32 v8, v39, v8
	v_and_b32_e32 v13, 0x7f800000, v8
	v_cmp_ne_u32_e64 s[2:3], s5, v13
	s_and_saveexec_b64 s[20:21], s[2:3]
	s_xor_b64 s[2:3], exec, s[20:21]
; %bb.745:                              ;   in Loop: Header=BB359_291 Depth=1
	v_bfe_u32 v13, v8, 16, 1
	v_add3_u32 v33, v8, v13, s15
                                        ; implicit-def: $vgpr8
; %bb.746:                              ;   in Loop: Header=BB359_291 Depth=1
	s_andn2_saveexec_b64 s[20:21], s[2:3]
; %bb.747:                              ;   in Loop: Header=BB359_291 Depth=1
	v_or_b32_e32 v13, 0x10000, v8
	v_cmp_eq_u32_sdwa s[2:3], v8, v31 src0_sel:WORD_0 src1_sel:DWORD
	s_nop 1
	v_cndmask_b32_e64 v33, v13, v8, s[2:3]
; %bb.748:                              ;   in Loop: Header=BB359_291 Depth=1
	s_or_b64 exec, exec, s[20:21]
	v_lshrrev_b32_e32 v3, 24, v3
	v_cvt_f32_fp8_sdwa v3, v3 src0_sel:BYTE_0
	s_nop 0
	v_mul_f32_e32 v3, v39, v3
	v_and_b32_e32 v8, 0x7f800000, v3
	v_cmp_ne_u32_e64 s[2:3], s5, v8
                                        ; implicit-def: $vgpr8
	s_and_saveexec_b64 s[20:21], s[2:3]
	s_xor_b64 s[2:3], exec, s[20:21]
; %bb.749:                              ;   in Loop: Header=BB359_291 Depth=1
	v_bfe_u32 v8, v3, 16, 1
	v_add3_u32 v8, v3, v8, s15
                                        ; implicit-def: $vgpr3
; %bb.750:                              ;   in Loop: Header=BB359_291 Depth=1
	s_andn2_saveexec_b64 s[20:21], s[2:3]
; %bb.751:                              ;   in Loop: Header=BB359_291 Depth=1
	v_or_b32_e32 v8, 0x10000, v3
	v_cmp_eq_u32_sdwa s[2:3], v3, v31 src0_sel:WORD_0 src1_sel:DWORD
	s_nop 1
	v_cndmask_b32_e64 v8, v8, v3, s[2:3]
; %bb.752:                              ;   in Loop: Header=BB359_291 Depth=1
	s_or_b64 exec, exec, s[20:21]
	v_lshrrev_b32_e32 v21, 16, v12
	v_lshrrev_b32_e32 v5, 16, v5
	;; [unrolled: 1-line block ×8, first 2 shown]
	s_and_saveexec_b64 s[20:21], s[0:1]
	s_cbranch_execz .LBB359_754
; %bb.753:                              ;   in Loop: Header=BB359_291 Depth=1
	v_accvgpr_read_b32 v22, a3
	v_cmp_lt_i32_e64 s[2:3], v40, v22
	v_add_u32_e32 v8, 1, v40
	s_nop 0
	v_cndmask_b32_e64 v2, 0, v2, s[2:3]
	v_cmp_lt_i32_e64 s[2:3], v8, v22
	v_add_u32_e32 v8, 2, v40
	s_nop 0
	v_cndmask_b32_e64 v3, 0, v3, s[2:3]
	v_cmp_lt_i32_e64 s[2:3], v8, v22
	v_add_u32_e32 v8, 3, v40
	s_nop 0
	v_cndmask_b32_e64 v13, 0, v13, s[2:3]
	v_cmp_lt_i32_e64 s[2:3], v8, v22
	v_add_u32_e32 v8, 4, v40
	s_nop 0
	v_cndmask_b32_e64 v12, 0, v12, s[2:3]
	v_cmp_lt_i32_e64 s[2:3], v8, v22
	v_add_u32_e32 v8, 5, v40
	s_nop 0
	v_cndmask_b32_e64 v5, 0, v5, s[2:3]
	v_cmp_lt_i32_e64 s[2:3], v8, v22
	v_add_u32_e32 v8, 6, v40
	s_nop 0
	v_cndmask_b32_e64 v21, 0, v21, s[2:3]
	v_cmp_lt_i32_e64 s[2:3], v8, v22
	v_add_u32_e32 v8, 7, v40
	s_nop 0
	v_cndmask_b32_e64 v10, 0, v10, s[2:3]
	v_cmp_lt_i32_e64 s[2:3], v8, v22
	s_nop 1
	v_cndmask_b32_e64 v11, 0, v11, s[2:3]
.LBB359_754:                            ;   in Loop: Header=BB359_291 Depth=1
	s_or_b64 exec, exec, s[20:21]
	v_lshlrev_b32_e32 v2, 16, v2
	v_mul_f32_e32 v8, v44, v2
	v_and_b32_e32 v2, 0x7f800000, v8
	v_cmp_ne_u32_e64 s[2:3], s5, v2
                                        ; implicit-def: $vgpr2
	s_and_saveexec_b64 s[20:21], s[2:3]
	s_xor_b64 s[2:3], exec, s[20:21]
; %bb.755:                              ;   in Loop: Header=BB359_291 Depth=1
	v_bfe_u32 v2, v8, 16, 1
	v_add3_u32 v2, v8, v2, s15
                                        ; implicit-def: $vgpr8
; %bb.756:                              ;   in Loop: Header=BB359_291 Depth=1
	s_andn2_saveexec_b64 s[20:21], s[2:3]
; %bb.757:                              ;   in Loop: Header=BB359_291 Depth=1
	v_or_b32_e32 v2, 0x10000, v8
	v_cmp_eq_u32_sdwa s[2:3], v8, v31 src0_sel:WORD_0 src1_sel:DWORD
	s_nop 1
	v_cndmask_b32_e64 v2, v2, v8, s[2:3]
; %bb.758:                              ;   in Loop: Header=BB359_291 Depth=1
	s_or_b64 exec, exec, s[20:21]
	v_lshlrev_b32_e32 v3, 16, v3
	v_mul_f32_e32 v8, v45, v3
	v_and_b32_e32 v3, 0x7f800000, v8
	v_cmp_ne_u32_e64 s[2:3], s5, v3
                                        ; implicit-def: $vgpr3
	s_and_saveexec_b64 s[20:21], s[2:3]
	s_xor_b64 s[2:3], exec, s[20:21]
; %bb.759:                              ;   in Loop: Header=BB359_291 Depth=1
	v_bfe_u32 v3, v8, 16, 1
	v_add3_u32 v3, v8, v3, s15
                                        ; implicit-def: $vgpr8
; %bb.760:                              ;   in Loop: Header=BB359_291 Depth=1
	s_andn2_saveexec_b64 s[20:21], s[2:3]
; %bb.761:                              ;   in Loop: Header=BB359_291 Depth=1
	v_or_b32_e32 v3, 0x10000, v8
	v_cmp_eq_u32_sdwa s[2:3], v8, v31 src0_sel:WORD_0 src1_sel:DWORD
	s_nop 1
	v_cndmask_b32_e64 v3, v3, v8, s[2:3]
; %bb.762:                              ;   in Loop: Header=BB359_291 Depth=1
	s_or_b64 exec, exec, s[20:21]
	v_lshlrev_b32_e32 v8, 16, v13
	v_mul_f32_e32 v8, v46, v8
	v_and_b32_e32 v13, 0x7f800000, v8
	v_cmp_ne_u32_e64 s[2:3], s5, v13
                                        ; implicit-def: $vgpr36
	s_and_saveexec_b64 s[20:21], s[2:3]
	s_xor_b64 s[2:3], exec, s[20:21]
; %bb.763:                              ;   in Loop: Header=BB359_291 Depth=1
	v_bfe_u32 v13, v8, 16, 1
	v_add3_u32 v36, v8, v13, s15
                                        ; implicit-def: $vgpr8
; %bb.764:                              ;   in Loop: Header=BB359_291 Depth=1
	s_andn2_saveexec_b64 s[20:21], s[2:3]
; %bb.765:                              ;   in Loop: Header=BB359_291 Depth=1
	v_or_b32_e32 v13, 0x10000, v8
	v_cmp_eq_u32_sdwa s[2:3], v8, v31 src0_sel:WORD_0 src1_sel:DWORD
	s_nop 1
	v_cndmask_b32_e64 v36, v13, v8, s[2:3]
; %bb.766:                              ;   in Loop: Header=BB359_291 Depth=1
	s_or_b64 exec, exec, s[20:21]
	v_lshlrev_b32_e32 v8, 16, v12
	v_mul_f32_e32 v8, v47, v8
	v_and_b32_e32 v12, 0x7f800000, v8
	v_cmp_ne_u32_e64 s[2:3], s5, v12
                                        ; implicit-def: $vgpr32
	s_and_saveexec_b64 s[20:21], s[2:3]
	s_xor_b64 s[2:3], exec, s[20:21]
; %bb.767:                              ;   in Loop: Header=BB359_291 Depth=1
	v_bfe_u32 v12, v8, 16, 1
	v_add3_u32 v32, v8, v12, s15
                                        ; implicit-def: $vgpr8
; %bb.768:                              ;   in Loop: Header=BB359_291 Depth=1
	s_andn2_saveexec_b64 s[20:21], s[2:3]
; %bb.769:                              ;   in Loop: Header=BB359_291 Depth=1
	v_or_b32_e32 v12, 0x10000, v8
	v_cmp_eq_u32_sdwa s[2:3], v8, v31 src0_sel:WORD_0 src1_sel:DWORD
	s_nop 1
	v_cndmask_b32_e64 v32, v12, v8, s[2:3]
; %bb.770:                              ;   in Loop: Header=BB359_291 Depth=1
	s_or_b64 exec, exec, s[20:21]
	v_lshlrev_b32_e32 v5, 16, v5
	v_mul_f32_e32 v5, v56, v5
	v_and_b32_e32 v8, 0x7f800000, v5
	v_cmp_ne_u32_e64 s[2:3], s5, v8
                                        ; implicit-def: $vgpr33
	s_and_saveexec_b64 s[20:21], s[2:3]
	s_xor_b64 s[2:3], exec, s[20:21]
; %bb.771:                              ;   in Loop: Header=BB359_291 Depth=1
	v_bfe_u32 v8, v5, 16, 1
	v_add3_u32 v33, v5, v8, s15
                                        ; implicit-def: $vgpr5
; %bb.772:                              ;   in Loop: Header=BB359_291 Depth=1
	s_andn2_saveexec_b64 s[20:21], s[2:3]
; %bb.773:                              ;   in Loop: Header=BB359_291 Depth=1
	v_or_b32_e32 v8, 0x10000, v5
	v_cmp_eq_u32_sdwa s[2:3], v5, v31 src0_sel:WORD_0 src1_sel:DWORD
	s_nop 1
	v_cndmask_b32_e64 v33, v8, v5, s[2:3]
; %bb.774:                              ;   in Loop: Header=BB359_291 Depth=1
	s_or_b64 exec, exec, s[20:21]
	v_lshlrev_b32_e32 v5, 16, v21
	v_mul_f32_e32 v5, v57, v5
	v_and_b32_e32 v8, 0x7f800000, v5
	v_cmp_ne_u32_e64 s[2:3], s5, v8
                                        ; implicit-def: $vgpr34
	s_and_saveexec_b64 s[20:21], s[2:3]
	s_xor_b64 s[2:3], exec, s[20:21]
; %bb.775:                              ;   in Loop: Header=BB359_291 Depth=1
	v_bfe_u32 v8, v5, 16, 1
	v_add3_u32 v34, v5, v8, s15
                                        ; implicit-def: $vgpr5
; %bb.776:                              ;   in Loop: Header=BB359_291 Depth=1
	s_andn2_saveexec_b64 s[20:21], s[2:3]
; %bb.777:                              ;   in Loop: Header=BB359_291 Depth=1
	v_or_b32_e32 v8, 0x10000, v5
	v_cmp_eq_u32_sdwa s[2:3], v5, v31 src0_sel:WORD_0 src1_sel:DWORD
	s_nop 1
	v_cndmask_b32_e64 v34, v8, v5, s[2:3]
; %bb.778:                              ;   in Loop: Header=BB359_291 Depth=1
	s_or_b64 exec, exec, s[20:21]
	v_lshlrev_b32_e32 v5, 16, v10
	v_mul_f32_e32 v5, v58, v5
	v_and_b32_e32 v8, 0x7f800000, v5
	v_cmp_ne_u32_e64 s[2:3], s5, v8
                                        ; implicit-def: $vgpr10
	s_and_saveexec_b64 s[20:21], s[2:3]
	s_xor_b64 s[2:3], exec, s[20:21]
; %bb.779:                              ;   in Loop: Header=BB359_291 Depth=1
	v_bfe_u32 v8, v5, 16, 1
	v_add3_u32 v10, v5, v8, s15
                                        ; implicit-def: $vgpr5
; %bb.780:                              ;   in Loop: Header=BB359_291 Depth=1
	s_andn2_saveexec_b64 s[20:21], s[2:3]
; %bb.781:                              ;   in Loop: Header=BB359_291 Depth=1
	v_or_b32_e32 v8, 0x10000, v5
	v_cmp_eq_u32_sdwa s[2:3], v5, v31 src0_sel:WORD_0 src1_sel:DWORD
	s_nop 1
	v_cndmask_b32_e64 v10, v8, v5, s[2:3]
; %bb.782:                              ;   in Loop: Header=BB359_291 Depth=1
	s_or_b64 exec, exec, s[20:21]
	v_lshlrev_b32_e32 v5, 16, v11
	v_mul_f32_e32 v5, v59, v5
	v_and_b32_e32 v8, 0x7f800000, v5
	v_cmp_ne_u32_e64 s[2:3], s5, v8
                                        ; implicit-def: $vgpr11
	s_and_saveexec_b64 s[20:21], s[2:3]
	s_xor_b64 s[2:3], exec, s[20:21]
	s_cbranch_execnz .LBB359_785
; %bb.783:                              ;   in Loop: Header=BB359_291 Depth=1
	s_andn2_saveexec_b64 s[20:21], s[2:3]
	s_cbranch_execnz .LBB359_786
.LBB359_784:                            ;   in Loop: Header=BB359_291 Depth=1
	s_or_b64 exec, exec, s[20:21]
	s_and_saveexec_b64 s[20:21], vcc
	s_cbranch_execz .LBB359_289
	s_branch .LBB359_787
.LBB359_785:                            ;   in Loop: Header=BB359_291 Depth=1
	v_bfe_u32 v8, v5, 16, 1
	v_add3_u32 v11, v5, v8, s15
                                        ; implicit-def: $vgpr5
	s_andn2_saveexec_b64 s[20:21], s[2:3]
	s_cbranch_execz .LBB359_784
.LBB359_786:                            ;   in Loop: Header=BB359_291 Depth=1
	v_or_b32_e32 v8, 0x10000, v5
	v_cmp_eq_u32_sdwa s[2:3], v5, v31 src0_sel:WORD_0 src1_sel:DWORD
	s_nop 1
	v_cndmask_b32_e64 v11, v8, v5, s[2:3]
	s_or_b64 exec, exec, s[20:21]
	s_and_saveexec_b64 s[20:21], vcc
	s_cbranch_execz .LBB359_289
.LBB359_787:                            ;   in Loop: Header=BB359_291 Depth=1
	v_accvgpr_read_b32 v12, a26
	v_accvgpr_read_b32 v13, a27
	v_lshl_add_u64 v[0:1], v[0:1], 0, v[12:13]
	flat_load_dwordx2 v[0:1], v[0:1]
                                        ; implicit-def: $vgpr21
	s_waitcnt vmcnt(0) lgkmcnt(0)
	v_and_b32_e32 v5, 0xff, v0
	v_cvt_f32_fp8_sdwa v5, v5 src0_sel:BYTE_0
	s_nop 0
	v_mul_f32_e32 v5, v39, v5
	v_and_b32_e32 v8, 0x7f800000, v5
	v_cmp_ne_u32_e64 s[2:3], s5, v8
	s_and_saveexec_b64 s[22:23], s[2:3]
	s_xor_b64 s[2:3], exec, s[22:23]
; %bb.788:                              ;   in Loop: Header=BB359_291 Depth=1
	v_bfe_u32 v8, v5, 16, 1
	v_add3_u32 v21, v5, v8, s15
                                        ; implicit-def: $vgpr5
; %bb.789:                              ;   in Loop: Header=BB359_291 Depth=1
	s_andn2_saveexec_b64 s[22:23], s[2:3]
; %bb.790:                              ;   in Loop: Header=BB359_291 Depth=1
	v_or_b32_e32 v8, 0x10000, v5
	v_cmp_eq_u32_sdwa s[2:3], v5, v31 src0_sel:WORD_0 src1_sel:DWORD
	s_nop 1
	v_cndmask_b32_e64 v21, v8, v5, s[2:3]
; %bb.791:                              ;   in Loop: Header=BB359_291 Depth=1
	s_or_b64 exec, exec, s[22:23]
	v_bfe_u32 v5, v0, 8, 8
	v_cvt_f32_fp8_sdwa v5, v5 src0_sel:BYTE_0
                                        ; implicit-def: $vgpr43
	s_nop 0
	v_mul_f32_e32 v5, v39, v5
	v_and_b32_e32 v8, 0x7f800000, v5
	v_cmp_ne_u32_e64 s[2:3], s5, v8
	s_and_saveexec_b64 s[22:23], s[2:3]
	s_xor_b64 s[2:3], exec, s[22:23]
; %bb.792:                              ;   in Loop: Header=BB359_291 Depth=1
	v_bfe_u32 v8, v5, 16, 1
	v_add3_u32 v43, v5, v8, s15
                                        ; implicit-def: $vgpr5
; %bb.793:                              ;   in Loop: Header=BB359_291 Depth=1
	s_andn2_saveexec_b64 s[22:23], s[2:3]
; %bb.794:                              ;   in Loop: Header=BB359_291 Depth=1
	v_or_b32_e32 v8, 0x10000, v5
	v_cmp_eq_u32_sdwa s[2:3], v5, v31 src0_sel:WORD_0 src1_sel:DWORD
	s_nop 1
	v_cndmask_b32_e64 v43, v8, v5, s[2:3]
; %bb.795:                              ;   in Loop: Header=BB359_291 Depth=1
	s_or_b64 exec, exec, s[22:23]
	v_bfe_u32 v5, v0, 16, 8
	v_cvt_f32_fp8_sdwa v5, v5 src0_sel:BYTE_0
	s_nop 0
	v_mul_f32_e32 v8, v39, v5
	v_and_b32_e32 v5, 0x7f800000, v8
	v_cmp_ne_u32_e64 s[2:3], s5, v5
                                        ; implicit-def: $vgpr5
	s_and_saveexec_b64 s[22:23], s[2:3]
	s_xor_b64 s[2:3], exec, s[22:23]
; %bb.796:                              ;   in Loop: Header=BB359_291 Depth=1
	v_bfe_u32 v5, v8, 16, 1
	v_add3_u32 v5, v8, v5, s15
                                        ; implicit-def: $vgpr8
; %bb.797:                              ;   in Loop: Header=BB359_291 Depth=1
	s_andn2_saveexec_b64 s[22:23], s[2:3]
; %bb.798:                              ;   in Loop: Header=BB359_291 Depth=1
	v_or_b32_e32 v5, 0x10000, v8
	v_cmp_eq_u32_sdwa s[2:3], v8, v31 src0_sel:WORD_0 src1_sel:DWORD
	s_nop 1
	v_cndmask_b32_e64 v5, v5, v8, s[2:3]
; %bb.799:                              ;   in Loop: Header=BB359_291 Depth=1
	s_or_b64 exec, exec, s[22:23]
	v_lshrrev_b32_e32 v0, 24, v0
	v_cvt_f32_fp8_sdwa v0, v0 src0_sel:BYTE_0
	s_nop 0
	v_mul_f32_e32 v8, v39, v0
	v_and_b32_e32 v0, 0x7f800000, v8
	v_cmp_ne_u32_e64 s[2:3], s5, v0
                                        ; implicit-def: $vgpr0
	s_and_saveexec_b64 s[22:23], s[2:3]
	s_xor_b64 s[2:3], exec, s[22:23]
; %bb.800:                              ;   in Loop: Header=BB359_291 Depth=1
	v_bfe_u32 v0, v8, 16, 1
	v_add3_u32 v0, v8, v0, s15
                                        ; implicit-def: $vgpr8
; %bb.801:                              ;   in Loop: Header=BB359_291 Depth=1
	s_andn2_saveexec_b64 s[22:23], s[2:3]
; %bb.802:                              ;   in Loop: Header=BB359_291 Depth=1
	v_or_b32_e32 v0, 0x10000, v8
	v_cmp_eq_u32_sdwa s[2:3], v8, v31 src0_sel:WORD_0 src1_sel:DWORD
	s_nop 1
	v_cndmask_b32_e64 v0, v0, v8, s[2:3]
; %bb.803:                              ;   in Loop: Header=BB359_291 Depth=1
	s_or_b64 exec, exec, s[22:23]
	v_and_b32_e32 v8, 0xff, v1
	v_cvt_f32_fp8_sdwa v8, v8 src0_sel:BYTE_0
	s_nop 0
	v_mul_f32_e32 v8, v39, v8
	v_and_b32_e32 v12, 0x7f800000, v8
	v_cmp_ne_u32_e64 s[2:3], s5, v12
                                        ; implicit-def: $vgpr12
	s_and_saveexec_b64 s[22:23], s[2:3]
	s_xor_b64 s[2:3], exec, s[22:23]
; %bb.804:                              ;   in Loop: Header=BB359_291 Depth=1
	v_bfe_u32 v12, v8, 16, 1
	v_add3_u32 v12, v8, v12, s15
                                        ; implicit-def: $vgpr8
; %bb.805:                              ;   in Loop: Header=BB359_291 Depth=1
	s_andn2_saveexec_b64 s[22:23], s[2:3]
; %bb.806:                              ;   in Loop: Header=BB359_291 Depth=1
	v_or_b32_e32 v12, 0x10000, v8
	v_cmp_eq_u32_sdwa s[2:3], v8, v31 src0_sel:WORD_0 src1_sel:DWORD
	s_nop 1
	v_cndmask_b32_e64 v12, v12, v8, s[2:3]
; %bb.807:                              ;   in Loop: Header=BB359_291 Depth=1
	s_or_b64 exec, exec, s[22:23]
	v_bfe_u32 v8, v1, 8, 8
	v_cvt_f32_fp8_sdwa v8, v8 src0_sel:BYTE_0
	s_nop 0
	v_mul_f32_e32 v8, v39, v8
	v_and_b32_e32 v13, 0x7f800000, v8
	v_cmp_ne_u32_e64 s[2:3], s5, v13
                                        ; implicit-def: $vgpr13
	s_and_saveexec_b64 s[22:23], s[2:3]
	s_xor_b64 s[2:3], exec, s[22:23]
; %bb.808:                              ;   in Loop: Header=BB359_291 Depth=1
	v_bfe_u32 v13, v8, 16, 1
	v_add3_u32 v13, v8, v13, s15
                                        ; implicit-def: $vgpr8
; %bb.809:                              ;   in Loop: Header=BB359_291 Depth=1
	s_andn2_saveexec_b64 s[22:23], s[2:3]
; %bb.810:                              ;   in Loop: Header=BB359_291 Depth=1
	v_or_b32_e32 v13, 0x10000, v8
	v_cmp_eq_u32_sdwa s[2:3], v8, v31 src0_sel:WORD_0 src1_sel:DWORD
	s_nop 1
	v_cndmask_b32_e64 v13, v13, v8, s[2:3]
; %bb.811:                              ;   in Loop: Header=BB359_291 Depth=1
	s_or_b64 exec, exec, s[22:23]
	v_bfe_u32 v8, v1, 16, 8
	v_cvt_f32_fp8_sdwa v8, v8 src0_sel:BYTE_0
	s_nop 0
	v_mul_f32_e32 v22, v39, v8
	v_and_b32_e32 v8, 0x7f800000, v22
	v_cmp_ne_u32_e64 s[2:3], s5, v8
                                        ; implicit-def: $vgpr8
	s_and_saveexec_b64 s[22:23], s[2:3]
	s_xor_b64 s[2:3], exec, s[22:23]
; %bb.812:                              ;   in Loop: Header=BB359_291 Depth=1
	v_bfe_u32 v8, v22, 16, 1
	v_add3_u32 v8, v22, v8, s15
                                        ; implicit-def: $vgpr22
; %bb.813:                              ;   in Loop: Header=BB359_291 Depth=1
	s_andn2_saveexec_b64 s[22:23], s[2:3]
; %bb.814:                              ;   in Loop: Header=BB359_291 Depth=1
	v_or_b32_e32 v8, 0x10000, v22
	v_cmp_eq_u32_sdwa s[2:3], v22, v31 src0_sel:WORD_0 src1_sel:DWORD
	s_nop 1
	v_cndmask_b32_e64 v8, v8, v22, s[2:3]
; %bb.815:                              ;   in Loop: Header=BB359_291 Depth=1
	s_or_b64 exec, exec, s[22:23]
	v_lshrrev_b32_e32 v1, 24, v1
	v_cvt_f32_fp8_sdwa v1, v1 src0_sel:BYTE_0
	s_nop 0
	v_mul_f32_e32 v1, v39, v1
	v_and_b32_e32 v22, 0x7f800000, v1
	v_cmp_ne_u32_e64 s[2:3], s5, v22
                                        ; implicit-def: $vgpr22
	s_and_saveexec_b64 s[22:23], s[2:3]
	s_xor_b64 s[2:3], exec, s[22:23]
; %bb.816:                              ;   in Loop: Header=BB359_291 Depth=1
	v_bfe_u32 v22, v1, 16, 1
	v_add3_u32 v22, v1, v22, s15
                                        ; implicit-def: $vgpr1
; %bb.817:                              ;   in Loop: Header=BB359_291 Depth=1
	s_andn2_saveexec_b64 s[22:23], s[2:3]
; %bb.818:                              ;   in Loop: Header=BB359_291 Depth=1
	v_or_b32_e32 v22, 0x10000, v1
	v_cmp_eq_u32_sdwa s[2:3], v1, v31 src0_sel:WORD_0 src1_sel:DWORD
	s_nop 1
	v_cndmask_b32_e64 v22, v22, v1, s[2:3]
; %bb.819:                              ;   in Loop: Header=BB359_291 Depth=1
	s_or_b64 exec, exec, s[22:23]
	v_lshrrev_b32_e32 v62, 16, v13
	v_lshrrev_b32_e32 v12, 16, v12
	;; [unrolled: 1-line block ×8, first 2 shown]
	s_and_saveexec_b64 s[2:3], s[0:1]
	s_cbranch_execz .LBB359_821
; %bb.820:                              ;   in Loop: Header=BB359_291 Depth=1
	v_accvgpr_read_b32 v22, a3
	v_cmp_lt_i32_e64 s[0:1], v40, v22
	v_add_u32_e32 v8, 1, v40
	s_nop 0
	v_cndmask_b32_e64 v1, 0, v1, s[0:1]
	v_cmp_lt_i32_e64 s[0:1], v8, v22
	v_add_u32_e32 v8, 2, v40
	s_nop 0
	v_cndmask_b32_e64 v39, 0, v39, s[0:1]
	;; [unrolled: 4-line block ×7, first 2 shown]
	v_cmp_lt_i32_e64 s[0:1], v8, v22
	s_nop 1
	v_cndmask_b32_e64 v0, 0, v0, s[0:1]
.LBB359_821:                            ;   in Loop: Header=BB359_291 Depth=1
	s_or_b64 exec, exec, s[2:3]
	v_lshlrev_b32_e32 v1, 16, v1
	v_mul_f32_e32 v8, v44, v1
	v_and_b32_e32 v1, 0x7f800000, v8
	v_cmp_ne_u32_e64 s[0:1], s5, v1
                                        ; implicit-def: $vgpr1
	s_and_saveexec_b64 s[2:3], s[0:1]
	s_xor_b64 s[0:1], exec, s[2:3]
; %bb.822:                              ;   in Loop: Header=BB359_291 Depth=1
	v_bfe_u32 v1, v8, 16, 1
	v_add3_u32 v1, v8, v1, s15
                                        ; implicit-def: $vgpr8
; %bb.823:                              ;   in Loop: Header=BB359_291 Depth=1
	s_andn2_saveexec_b64 s[2:3], s[0:1]
; %bb.824:                              ;   in Loop: Header=BB359_291 Depth=1
	v_or_b32_e32 v1, 0x10000, v8
	v_cmp_eq_u32_sdwa s[0:1], v8, v31 src0_sel:WORD_0 src1_sel:DWORD
	s_nop 1
	v_cndmask_b32_e64 v1, v1, v8, s[0:1]
; %bb.825:                              ;   in Loop: Header=BB359_291 Depth=1
	s_or_b64 exec, exec, s[2:3]
	v_lshlrev_b32_e32 v8, 16, v39
	v_mul_f32_e32 v8, v45, v8
	v_and_b32_e32 v22, 0x7f800000, v8
	v_cmp_ne_u32_e64 s[0:1], s5, v22
                                        ; implicit-def: $vgpr39
	s_and_saveexec_b64 s[2:3], s[0:1]
	s_xor_b64 s[0:1], exec, s[2:3]
; %bb.826:                              ;   in Loop: Header=BB359_291 Depth=1
	v_bfe_u32 v22, v8, 16, 1
	v_add3_u32 v39, v8, v22, s15
                                        ; implicit-def: $vgpr8
; %bb.827:                              ;   in Loop: Header=BB359_291 Depth=1
	s_andn2_saveexec_b64 s[2:3], s[0:1]
; %bb.828:                              ;   in Loop: Header=BB359_291 Depth=1
	v_or_b32_e32 v22, 0x10000, v8
	v_cmp_eq_u32_sdwa s[0:1], v8, v31 src0_sel:WORD_0 src1_sel:DWORD
	s_nop 1
	v_cndmask_b32_e64 v39, v22, v8, s[0:1]
; %bb.829:                              ;   in Loop: Header=BB359_291 Depth=1
	s_or_b64 exec, exec, s[2:3]
	v_lshlrev_b32_e32 v5, 16, v5
	v_mul_f32_e32 v8, v46, v5
	v_and_b32_e32 v5, 0x7f800000, v8
	v_cmp_ne_u32_e64 s[0:1], s5, v5
                                        ; implicit-def: $vgpr5
	s_and_saveexec_b64 s[2:3], s[0:1]
	s_xor_b64 s[0:1], exec, s[2:3]
; %bb.830:                              ;   in Loop: Header=BB359_291 Depth=1
	v_bfe_u32 v5, v8, 16, 1
	v_add3_u32 v5, v8, v5, s15
                                        ; implicit-def: $vgpr8
; %bb.831:                              ;   in Loop: Header=BB359_291 Depth=1
	s_andn2_saveexec_b64 s[2:3], s[0:1]
; %bb.832:                              ;   in Loop: Header=BB359_291 Depth=1
	v_or_b32_e32 v5, 0x10000, v8
	v_cmp_eq_u32_sdwa s[0:1], v8, v31 src0_sel:WORD_0 src1_sel:DWORD
	s_nop 1
	v_cndmask_b32_e64 v5, v5, v8, s[0:1]
; %bb.833:                              ;   in Loop: Header=BB359_291 Depth=1
	s_or_b64 exec, exec, s[2:3]
	v_lshlrev_b32_e32 v8, 16, v13
	v_mul_f32_e32 v8, v47, v8
	v_and_b32_e32 v13, 0x7f800000, v8
	v_cmp_ne_u32_e64 s[0:1], s5, v13
                                        ; implicit-def: $vgpr13
	s_and_saveexec_b64 s[2:3], s[0:1]
	s_xor_b64 s[0:1], exec, s[2:3]
; %bb.834:                              ;   in Loop: Header=BB359_291 Depth=1
	v_bfe_u32 v13, v8, 16, 1
	v_add3_u32 v13, v8, v13, s15
                                        ; implicit-def: $vgpr8
; %bb.835:                              ;   in Loop: Header=BB359_291 Depth=1
	s_andn2_saveexec_b64 s[2:3], s[0:1]
; %bb.836:                              ;   in Loop: Header=BB359_291 Depth=1
	v_or_b32_e32 v13, 0x10000, v8
	v_cmp_eq_u32_sdwa s[0:1], v8, v31 src0_sel:WORD_0 src1_sel:DWORD
	s_nop 1
	v_cndmask_b32_e64 v13, v13, v8, s[0:1]
; %bb.837:                              ;   in Loop: Header=BB359_291 Depth=1
	s_or_b64 exec, exec, s[2:3]
	v_lshlrev_b32_e32 v8, 16, v12
	v_mul_f32_e32 v8, v56, v8
	v_and_b32_e32 v12, 0x7f800000, v8
	v_cmp_ne_u32_e64 s[0:1], s5, v12
                                        ; implicit-def: $vgpr12
	s_and_saveexec_b64 s[2:3], s[0:1]
	s_xor_b64 s[0:1], exec, s[2:3]
; %bb.838:                              ;   in Loop: Header=BB359_291 Depth=1
	v_bfe_u32 v12, v8, 16, 1
	v_add3_u32 v12, v8, v12, s15
                                        ; implicit-def: $vgpr8
; %bb.839:                              ;   in Loop: Header=BB359_291 Depth=1
	s_andn2_saveexec_b64 s[2:3], s[0:1]
; %bb.840:                              ;   in Loop: Header=BB359_291 Depth=1
	v_or_b32_e32 v12, 0x10000, v8
	v_cmp_eq_u32_sdwa s[0:1], v8, v31 src0_sel:WORD_0 src1_sel:DWORD
	s_nop 1
	v_cndmask_b32_e64 v12, v12, v8, s[0:1]
; %bb.841:                              ;   in Loop: Header=BB359_291 Depth=1
	s_or_b64 exec, exec, s[2:3]
	v_lshlrev_b32_e32 v8, 16, v62
	v_mul_f32_e32 v8, v57, v8
	v_and_b32_e32 v22, 0x7f800000, v8
	v_cmp_ne_u32_e64 s[0:1], s5, v22
                                        ; implicit-def: $vgpr40
	s_and_saveexec_b64 s[2:3], s[0:1]
	s_xor_b64 s[0:1], exec, s[2:3]
; %bb.842:                              ;   in Loop: Header=BB359_291 Depth=1
	v_bfe_u32 v22, v8, 16, 1
	v_add3_u32 v40, v8, v22, s15
                                        ; implicit-def: $vgpr8
; %bb.843:                              ;   in Loop: Header=BB359_291 Depth=1
	s_andn2_saveexec_b64 s[2:3], s[0:1]
; %bb.844:                              ;   in Loop: Header=BB359_291 Depth=1
	v_or_b32_e32 v22, 0x10000, v8
	v_cmp_eq_u32_sdwa s[0:1], v8, v31 src0_sel:WORD_0 src1_sel:DWORD
	s_nop 1
	v_cndmask_b32_e64 v40, v22, v8, s[0:1]
; %bb.845:                              ;   in Loop: Header=BB359_291 Depth=1
	s_or_b64 exec, exec, s[2:3]
	v_lshlrev_b32_e32 v8, 16, v21
	v_mul_f32_e32 v21, v58, v8
	v_and_b32_e32 v8, 0x7f800000, v21
	v_cmp_ne_u32_e64 s[0:1], s5, v8
                                        ; implicit-def: $vgpr8
	s_and_saveexec_b64 s[2:3], s[0:1]
	s_xor_b64 s[0:1], exec, s[2:3]
; %bb.846:                              ;   in Loop: Header=BB359_291 Depth=1
	v_bfe_u32 v8, v21, 16, 1
	v_add3_u32 v8, v21, v8, s15
                                        ; implicit-def: $vgpr21
; %bb.847:                              ;   in Loop: Header=BB359_291 Depth=1
	s_andn2_saveexec_b64 s[2:3], s[0:1]
; %bb.848:                              ;   in Loop: Header=BB359_291 Depth=1
	v_or_b32_e32 v8, 0x10000, v21
	v_cmp_eq_u32_sdwa s[0:1], v21, v31 src0_sel:WORD_0 src1_sel:DWORD
	s_nop 1
	v_cndmask_b32_e64 v8, v8, v21, s[0:1]
; %bb.849:                              ;   in Loop: Header=BB359_291 Depth=1
	s_or_b64 exec, exec, s[2:3]
	v_lshlrev_b32_e32 v0, 16, v0
	v_mul_f32_e32 v0, v59, v0
	v_and_b32_e32 v21, 0x7f800000, v0
	v_cmp_ne_u32_e64 s[0:1], s5, v21
                                        ; implicit-def: $vgpr21
	s_and_saveexec_b64 s[2:3], s[0:1]
	s_xor_b64 s[0:1], exec, s[2:3]
; %bb.850:                              ;   in Loop: Header=BB359_291 Depth=1
	v_bfe_u32 v21, v0, 16, 1
	v_add3_u32 v21, v0, v21, s15
                                        ; implicit-def: $vgpr0
; %bb.851:                              ;   in Loop: Header=BB359_291 Depth=1
	s_andn2_saveexec_b64 s[2:3], s[0:1]
	s_cbranch_execz .LBB359_288
; %bb.852:                              ;   in Loop: Header=BB359_291 Depth=1
	v_or_b32_e32 v21, 0x10000, v0
	v_cmp_eq_u32_sdwa s[0:1], v0, v31 src0_sel:WORD_0 src1_sel:DWORD
	s_nop 1
	v_cndmask_b32_e64 v21, v21, v0, s[0:1]
	s_branch .LBB359_288
.LBB359_853:
	s_or_b64 exec, exec, s[12:13]
	v_accvgpr_read_b32 v27, a21
	v_accvgpr_read_b32 v20, a2
	;; [unrolled: 1-line block ×6, first 2 shown]
.LBB359_854:
	s_or_b64 exec, exec, s[8:9]
	ds_bpermute_b32 v0, v42, v24
	ds_bpermute_b32 v1, v42, v25
	;; [unrolled: 1-line block ×8, first 2 shown]
	s_waitcnt lgkmcnt(0)
	v_pk_add_f32 v[0:1], v[24:25], v[0:1]
	v_pk_add_f32 v[2:3], v[18:19], v[2:3]
	;; [unrolled: 1-line block ×3, first 2 shown]
	ds_bpermute_b32 v4, v21, v0
	v_pk_add_f32 v[14:15], v[26:27], v[8:9]
	ds_bpermute_b32 v5, v21, v1
	ds_bpermute_b32 v10, v21, v2
	;; [unrolled: 1-line block ×7, first 2 shown]
	s_waitcnt lgkmcnt(0)
	v_pk_add_f32 v[8:9], v[0:1], v[4:5]
	v_pk_add_f32 v[2:3], v[2:3], v[10:11]
	;; [unrolled: 1-line block ×3, first 2 shown]
	v_and_b32_e32 v4, 0x3c0, v20
	v_pk_add_f32 v[6:7], v[14:15], v[16:17]
	s_barrier
	v_cmp_eq_u32_e32 vcc, 64, v4
	s_mov_b64 s[2:3], exec
	scratch_load_dwordx2 v[10:11], off, s32 offset:284 ; 8-byte Folded Reload
	s_and_b64 s[0:1], s[2:3], vcc
	s_mov_b64 exec, s[0:1]
	s_cbranch_execz .LBB359_859
; %bb.855:
	v_cmp_eq_u32_e32 vcc, 0, v22
	s_and_saveexec_b64 s[0:1], vcc
	s_cbranch_execz .LBB359_857
; %bb.856:
	s_load_dword s5, s[6:7], 0x0
	s_waitcnt lgkmcnt(0)
	v_lshl_add_u32 v4, v23, 2, s5
	ds_write2_b32 v4, v8, v9 offset1:16
	ds_write2_b32 v4, v2, v3 offset0:32 offset1:48
	ds_write2_b32 v4, v0, v1 offset0:64 offset1:80
	ds_write_b32 v4, v6 offset:384
.LBB359_857:
	s_or_b64 exec, exec, s[0:1]
	v_or_b32_e32 v4, 0x70, v23
	s_movk_i32 s0, 0x78
	v_cmp_gt_u32_e64 s[0:1], s0, v4
	s_and_b64 s[0:1], vcc, s[0:1]
	s_and_b64 exec, exec, s[0:1]
	s_cbranch_execz .LBB359_859
; %bb.858:
	s_load_dword s0, s[6:7], 0x0
	s_waitcnt lgkmcnt(0)
	v_lshl_add_u32 v4, v23, 2, s0
	ds_write_b32 v4, v7 offset:448
.LBB359_859:
	s_or_b64 exec, exec, s[2:3]
	v_cmp_gt_u32_e32 vcc, 64, v20
	v_lshrrev_b32_e32 v12, 2, v20
	s_waitcnt lgkmcnt(0)
	s_barrier
	s_and_saveexec_b64 s[8:9], vcc
	s_cbranch_execz .LBB359_871
; %bb.860:
	v_cmp_eq_u32_e64 s[0:1], 0, v22
	s_and_saveexec_b64 s[2:3], s[0:1]
	s_cbranch_execnz .LBB359_909
; %bb.861:
	s_or_b64 exec, exec, s[2:3]
	s_and_saveexec_b64 s[2:3], s[0:1]
	s_cbranch_execnz .LBB359_910
.LBB359_862:
	s_or_b64 exec, exec, s[2:3]
	s_and_saveexec_b64 s[2:3], s[0:1]
	s_cbranch_execnz .LBB359_911
.LBB359_863:
	s_or_b64 exec, exec, s[2:3]
	s_and_saveexec_b64 s[2:3], s[0:1]
	s_cbranch_execnz .LBB359_912
.LBB359_864:
	s_or_b64 exec, exec, s[2:3]
	s_and_saveexec_b64 s[2:3], s[0:1]
	s_cbranch_execnz .LBB359_913
.LBB359_865:
	s_or_b64 exec, exec, s[2:3]
	s_and_saveexec_b64 s[2:3], s[0:1]
	s_cbranch_execnz .LBB359_914
.LBB359_866:
	s_or_b64 exec, exec, s[2:3]
	s_and_saveexec_b64 s[2:3], s[0:1]
	s_cbranch_execz .LBB359_868
.LBB359_867:
	s_load_dword s5, s[6:7], 0x0
	s_waitcnt lgkmcnt(0)
	v_lshl_add_u32 v4, v12, 2, s5
	ds_read_b32 v4, v4 offset:384
	s_waitcnt lgkmcnt(0)
	v_add_f32_e32 v6, v6, v4
.LBB359_868:
	s_or_b64 exec, exec, s[2:3]
	v_or_b32_e32 v4, 0x70, v12
	s_movk_i32 s2, 0x78
	v_cmp_gt_u32_e64 s[2:3], s2, v4
	s_and_b64 s[2:3], s[0:1], s[2:3]
	s_and_saveexec_b64 s[0:1], s[2:3]
	s_cbranch_execz .LBB359_870
; %bb.869:
	s_load_dword s2, s[6:7], 0x0
	s_waitcnt lgkmcnt(0)
	v_lshl_add_u32 v4, v12, 2, s2
	ds_read_b32 v4, v4 offset:448
	s_waitcnt lgkmcnt(0)
	v_add_f32_e32 v7, v7, v4
.LBB359_870:
	s_or_b64 exec, exec, s[0:1]
.LBB359_871:
	s_or_b64 exec, exec, s[8:9]
	s_barrier
	s_and_b64 exec, exec, vcc
	s_cbranch_execz .LBB359_908
; %bb.872:
	s_mul_i32 s0, s4, 0x78
	s_mul_i32 s2, s16, s17
	s_mul_i32 s4, s14, 0x78
	s_ashr_i32 s1, s0, 31
	s_ashr_i32 s3, s2, 31
	;; [unrolled: 1-line block ×3, first 2 shown]
	s_lshl_b64 s[0:1], s[0:1], 1
	s_lshl_b64 s[2:3], s[2:3], 1
	;; [unrolled: 1-line block ×3, first 2 shown]
	s_add_u32 s2, s4, s2
	s_addc_u32 s3, s5, s3
	s_add_u32 s0, s2, s0
	s_addc_u32 s1, s3, s1
	s_waitcnt vmcnt(0)
	v_lshl_add_u64 v[10:11], s[0:1], 0, v[10:11]
	v_cmp_eq_u32_e32 vcc, 0, v22
	s_and_saveexec_b64 s[2:3], vcc
	s_cbranch_execz .LBB359_902
; %bb.873:
	s_mov_b32 s0, 0x7f800000
	v_and_b32_e32 v4, 0x7f800000, v8
	v_cmp_ne_u32_e64 s[0:1], s0, v4
                                        ; implicit-def: $vgpr13
	s_and_saveexec_b64 s[4:5], s[0:1]
	s_xor_b64 s[0:1], exec, s[4:5]
; %bb.874:
	v_bfe_u32 v4, v8, 16, 1
	s_movk_i32 s4, 0x7fff
	v_add3_u32 v13, v8, v4, s4
; %bb.875:
	s_andn2_saveexec_b64 s[4:5], s[0:1]
; %bb.876:
	v_mov_b32_e32 v4, 0
	v_or_b32_e32 v5, 0x10000, v8
	v_cmp_eq_u32_sdwa s[0:1], v8, v4 src0_sel:WORD_0 src1_sel:DWORD
	s_nop 1
	v_cndmask_b32_e64 v13, v5, v8, s[0:1]
; %bb.877:
	s_or_b64 exec, exec, s[4:5]
	v_lshlrev_b32_e32 v4, 1, v12
	v_mov_b32_e32 v5, 0
	s_mov_b32 s0, 0x7f800000
	v_and_b32_e32 v8, 0x7f800000, v9
	v_lshl_add_u64 v[4:5], v[10:11], 0, v[4:5]
	v_cmp_ne_u32_e64 s[0:1], s0, v8
	flat_store_short_d16_hi v[4:5], v13
                                        ; implicit-def: $vgpr8
	s_and_saveexec_b64 s[4:5], s[0:1]
	s_xor_b64 s[0:1], exec, s[4:5]
; %bb.878:
	v_bfe_u32 v8, v9, 16, 1
	s_movk_i32 s4, 0x7fff
	v_add3_u32 v8, v9, v8, s4
; %bb.879:
	s_andn2_saveexec_b64 s[4:5], s[0:1]
; %bb.880:
	v_mov_b32_e32 v8, 0
	v_or_b32_e32 v13, 0x10000, v9
	v_cmp_eq_u32_sdwa s[0:1], v9, v8 src0_sel:WORD_0 src1_sel:DWORD
	s_nop 1
	v_cndmask_b32_e64 v8, v13, v9, s[0:1]
; %bb.881:
	s_or_b64 exec, exec, s[4:5]
	flat_store_short_d16_hi v[4:5], v8 offset:32
	s_mov_b32 s0, 0x7f800000
	v_and_b32_e32 v8, 0x7f800000, v2
	v_cmp_ne_u32_e64 s[0:1], s0, v8
                                        ; implicit-def: $vgpr8
	s_and_saveexec_b64 s[4:5], s[0:1]
	s_xor_b64 s[0:1], exec, s[4:5]
; %bb.882:
	v_bfe_u32 v8, v2, 16, 1
	s_movk_i32 s4, 0x7fff
	v_add3_u32 v8, v2, v8, s4
; %bb.883:
	s_andn2_saveexec_b64 s[4:5], s[0:1]
; %bb.884:
	v_mov_b32_e32 v8, 0
	v_or_b32_e32 v9, 0x10000, v2
	v_cmp_eq_u32_sdwa s[0:1], v2, v8 src0_sel:WORD_0 src1_sel:DWORD
	s_nop 1
	v_cndmask_b32_e64 v8, v9, v2, s[0:1]
; %bb.885:
	s_or_b64 exec, exec, s[4:5]
	s_mov_b32 s0, 0x7f800000
	v_and_b32_e32 v2, 0x7f800000, v3
	v_cmp_ne_u32_e64 s[0:1], s0, v2
	flat_store_short_d16_hi v[4:5], v8 offset:64
                                        ; implicit-def: $vgpr2
	s_and_saveexec_b64 s[4:5], s[0:1]
	s_xor_b64 s[0:1], exec, s[4:5]
; %bb.886:
	v_bfe_u32 v2, v3, 16, 1
	s_movk_i32 s4, 0x7fff
	v_add3_u32 v2, v3, v2, s4
; %bb.887:
	s_andn2_saveexec_b64 s[4:5], s[0:1]
; %bb.888:
	v_mov_b32_e32 v2, 0
	v_or_b32_e32 v8, 0x10000, v3
	v_cmp_eq_u32_sdwa s[0:1], v3, v2 src0_sel:WORD_0 src1_sel:DWORD
	s_nop 1
	v_cndmask_b32_e64 v2, v8, v3, s[0:1]
; %bb.889:
	s_or_b64 exec, exec, s[4:5]
	flat_store_short_d16_hi v[4:5], v2 offset:96
	s_mov_b32 s0, 0x7f800000
	v_and_b32_e32 v2, 0x7f800000, v0
	v_cmp_ne_u32_e64 s[0:1], s0, v2
                                        ; implicit-def: $vgpr2
	s_and_saveexec_b64 s[4:5], s[0:1]
	s_xor_b64 s[0:1], exec, s[4:5]
; %bb.890:
	v_bfe_u32 v2, v0, 16, 1
	s_movk_i32 s4, 0x7fff
	v_add3_u32 v2, v0, v2, s4
; %bb.891:
	s_andn2_saveexec_b64 s[4:5], s[0:1]
; %bb.892:
	v_mov_b32_e32 v2, 0
	v_or_b32_e32 v3, 0x10000, v0
	v_cmp_eq_u32_sdwa s[0:1], v0, v2 src0_sel:WORD_0 src1_sel:DWORD
	s_nop 1
	v_cndmask_b32_e64 v2, v3, v0, s[0:1]
; %bb.893:
	s_or_b64 exec, exec, s[4:5]
	s_mov_b32 s0, 0x7f800000
	v_and_b32_e32 v0, 0x7f800000, v1
	v_cmp_ne_u32_e64 s[0:1], s0, v0
	flat_store_short_d16_hi v[4:5], v2 offset:128
                                        ; implicit-def: $vgpr0
	s_and_saveexec_b64 s[4:5], s[0:1]
	s_xor_b64 s[0:1], exec, s[4:5]
; %bb.894:
	v_bfe_u32 v0, v1, 16, 1
	s_movk_i32 s4, 0x7fff
	v_add3_u32 v0, v1, v0, s4
; %bb.895:
	s_andn2_saveexec_b64 s[4:5], s[0:1]
; %bb.896:
	v_mov_b32_e32 v0, 0
	v_or_b32_e32 v2, 0x10000, v1
	v_cmp_eq_u32_sdwa s[0:1], v1, v0 src0_sel:WORD_0 src1_sel:DWORD
	s_nop 1
	v_cndmask_b32_e64 v0, v2, v1, s[0:1]
; %bb.897:
	s_or_b64 exec, exec, s[4:5]
	flat_store_short_d16_hi v[4:5], v0 offset:160
	s_mov_b32 s0, 0x7f800000
	v_and_b32_e32 v0, 0x7f800000, v6
	v_cmp_ne_u32_e64 s[0:1], s0, v0
                                        ; implicit-def: $vgpr0
	s_and_saveexec_b64 s[4:5], s[0:1]
	s_xor_b64 s[0:1], exec, s[4:5]
; %bb.898:
	v_bfe_u32 v0, v6, 16, 1
	s_movk_i32 s4, 0x7fff
	v_add3_u32 v0, v6, v0, s4
; %bb.899:
	s_andn2_saveexec_b64 s[4:5], s[0:1]
; %bb.900:
	v_mov_b32_e32 v0, 0
	v_or_b32_e32 v1, 0x10000, v6
	v_cmp_eq_u32_sdwa s[0:1], v6, v0 src0_sel:WORD_0 src1_sel:DWORD
	s_nop 1
	v_cndmask_b32_e64 v0, v1, v6, s[0:1]
; %bb.901:
	s_or_b64 exec, exec, s[4:5]
	flat_store_short_d16_hi v[4:5], v0 offset:192
.LBB359_902:
	s_or_b64 exec, exec, s[2:3]
	v_or_b32_e32 v0, 0x70, v12
	s_movk_i32 s0, 0x78
	v_cmp_gt_u32_e64 s[0:1], s0, v0
	s_and_b64 s[0:1], vcc, s[0:1]
	s_and_b64 exec, exec, s[0:1]
	s_cbranch_execz .LBB359_908
; %bb.903:
	s_mov_b32 s0, 0x7f800000
	v_and_b32_e32 v0, 0x7f800000, v7
	v_cmp_ne_u32_e32 vcc, s0, v0
                                        ; implicit-def: $vgpr8
	s_and_saveexec_b64 s[0:1], vcc
	s_xor_b64 s[0:1], exec, s[0:1]
; %bb.904:
	v_bfe_u32 v0, v7, 16, 1
	s_movk_i32 s2, 0x7fff
	v_add3_u32 v8, v7, v0, s2
                                        ; implicit-def: $vgpr0_vgpr1_vgpr2_vgpr3_vgpr4_vgpr5_vgpr6_vgpr7
; %bb.905:
	s_andn2_saveexec_b64 s[0:1], s[0:1]
; %bb.906:
	v_mov_b32_e32 v0, 0
	v_or_b32_e32 v1, 0x10000, v7
	v_cmp_eq_u32_sdwa vcc, v7, v0 src0_sel:WORD_0 src1_sel:DWORD
	s_nop 1
	v_cndmask_b32_e32 v8, v1, v7, vcc
; %bb.907:
	s_or_b64 exec, exec, s[0:1]
	v_lshlrev_b32_e32 v0, 1, v12
	v_mov_b32_e32 v1, 0
	v_lshl_add_u64 v[0:1], v[10:11], 0, v[0:1]
	flat_store_short_d16_hi v[0:1], v8 offset:224
.LBB359_908:
	s_or_b64 exec, exec, s[10:11]
	scratch_load_dword a63, off, s32 offset:8 ; 4-byte Folded Reload
	scratch_load_dword a62, off, s32 offset:12 ; 4-byte Folded Reload
	scratch_load_dword a61, off, s32 offset:16 ; 4-byte Folded Reload
	scratch_load_dword a60, off, s32 offset:20 ; 4-byte Folded Reload
	scratch_load_dword a59, off, s32 offset:24 ; 4-byte Folded Reload
	scratch_load_dword a58, off, s32 offset:28 ; 4-byte Folded Reload
	scratch_load_dword a57, off, s32 offset:32 ; 4-byte Folded Reload
	scratch_load_dword a56, off, s32 offset:36 ; 4-byte Folded Reload
	scratch_load_dword a55, off, s32 offset:40 ; 4-byte Folded Reload
	scratch_load_dword a54, off, s32 offset:44 ; 4-byte Folded Reload
	scratch_load_dword a53, off, s32 offset:48 ; 4-byte Folded Reload
	scratch_load_dword a52, off, s32 offset:52 ; 4-byte Folded Reload
	scratch_load_dword a51, off, s32 offset:56 ; 4-byte Folded Reload
	scratch_load_dword a50, off, s32 offset:60 ; 4-byte Folded Reload
	scratch_load_dword a49, off, s32 offset:64 ; 4-byte Folded Reload
	scratch_load_dword a48, off, s32 offset:68 ; 4-byte Folded Reload
	scratch_load_dword a47, off, s32 offset:72 ; 4-byte Folded Reload
	scratch_load_dword a46, off, s32 offset:76 ; 4-byte Folded Reload
	scratch_load_dword a45, off, s32 offset:80 ; 4-byte Folded Reload
	scratch_load_dword a44, off, s32 offset:84 ; 4-byte Folded Reload
	scratch_load_dword a43, off, s32 offset:88 ; 4-byte Folded Reload
	scratch_load_dword a42, off, s32 offset:92 ; 4-byte Folded Reload
	scratch_load_dword a41, off, s32 offset:96 ; 4-byte Folded Reload
	scratch_load_dword a40, off, s32 offset:100 ; 4-byte Folded Reload
	scratch_load_dword a39, off, s32 offset:104 ; 4-byte Folded Reload
	scratch_load_dword a38, off, s32 offset:108 ; 4-byte Folded Reload
	scratch_load_dword a37, off, s32 offset:112 ; 4-byte Folded Reload
	scratch_load_dword a36, off, s32 offset:116 ; 4-byte Folded Reload
	scratch_load_dword a35, off, s32 offset:120 ; 4-byte Folded Reload
	scratch_load_dword a34, off, s32 offset:124 ; 4-byte Folded Reload
	scratch_load_dword a33, off, s32 offset:128 ; 4-byte Folded Reload
	scratch_load_dword a32, off, s32 offset:132 ; 4-byte Folded Reload
	scratch_load_dword v62, off, s32 offset:136 ; 4-byte Folded Reload
	scratch_load_dword v61, off, s32 offset:140 ; 4-byte Folded Reload
	scratch_load_dword v60, off, s32 offset:144 ; 4-byte Folded Reload
	scratch_load_dword v59, off, s32 offset:148 ; 4-byte Folded Reload
	scratch_load_dword v58, off, s32 offset:152 ; 4-byte Folded Reload
	scratch_load_dword v57, off, s32 offset:156 ; 4-byte Folded Reload
	scratch_load_dword v56, off, s32 offset:160 ; 4-byte Folded Reload
	scratch_load_dword v47, off, s32 offset:164 ; 4-byte Folded Reload
	scratch_load_dword v46, off, s32 offset:168 ; 4-byte Folded Reload
	scratch_load_dword v45, off, s32 offset:172 ; 4-byte Folded Reload
	scratch_load_dword v44, off, s32 offset:176 ; 4-byte Folded Reload
	scratch_load_dword v43, off, s32 offset:180 ; 4-byte Folded Reload
	scratch_load_dword v42, off, s32 offset:184 ; 4-byte Folded Reload
	scratch_load_dword v41, off, s32 offset:188 ; 4-byte Folded Reload
	scratch_load_dword v40, off, s32 offset:192 ; 4-byte Folded Reload
	v_readlane_b32 s30, v63, 2
	v_readlane_b32 s31, v63, 3
	;; [unrolled: 1-line block ×4, first 2 shown]
	s_or_saveexec_b64 s[0:1], -1
	scratch_load_dword v63, off, s32 offset:372 ; 4-byte Folded Reload
	s_mov_b64 exec, s[0:1]
	s_waitcnt vmcnt(0) lgkmcnt(0)
	s_setpc_b64 s[30:31]
.LBB359_909:
	s_load_dword s5, s[6:7], 0x0
	s_waitcnt lgkmcnt(0)
	v_lshl_add_u32 v4, v12, 2, s5
	ds_read_b32 v4, v4
	s_waitcnt lgkmcnt(0)
	v_add_f32_e32 v8, v8, v4
	s_or_b64 exec, exec, s[2:3]
	s_and_saveexec_b64 s[2:3], s[0:1]
	s_cbranch_execz .LBB359_862
.LBB359_910:
	s_load_dword s5, s[6:7], 0x0
	s_waitcnt lgkmcnt(0)
	v_lshl_add_u32 v4, v12, 2, s5
	ds_read_b32 v4, v4 offset:64
	s_waitcnt lgkmcnt(0)
	v_add_f32_e32 v9, v9, v4
	s_or_b64 exec, exec, s[2:3]
	s_and_saveexec_b64 s[2:3], s[0:1]
	s_cbranch_execz .LBB359_863
.LBB359_911:
	s_load_dword s5, s[6:7], 0x0
	s_waitcnt lgkmcnt(0)
	v_lshl_add_u32 v4, v12, 2, s5
	ds_read_b32 v4, v4 offset:128
	s_waitcnt lgkmcnt(0)
	v_add_f32_e32 v2, v2, v4
	s_or_b64 exec, exec, s[2:3]
	s_and_saveexec_b64 s[2:3], s[0:1]
	s_cbranch_execz .LBB359_864
.LBB359_912:
	s_load_dword s5, s[6:7], 0x0
	s_waitcnt lgkmcnt(0)
	v_lshl_add_u32 v4, v12, 2, s5
	ds_read_b32 v4, v4 offset:192
	s_waitcnt lgkmcnt(0)
	v_add_f32_e32 v3, v3, v4
	s_or_b64 exec, exec, s[2:3]
	s_and_saveexec_b64 s[2:3], s[0:1]
	s_cbranch_execz .LBB359_865
.LBB359_913:
	s_load_dword s5, s[6:7], 0x0
	s_waitcnt lgkmcnt(0)
	v_lshl_add_u32 v4, v12, 2, s5
	ds_read_b32 v4, v4 offset:256
	s_waitcnt lgkmcnt(0)
	v_add_f32_e32 v0, v0, v4
	s_or_b64 exec, exec, s[2:3]
	s_and_saveexec_b64 s[2:3], s[0:1]
	s_cbranch_execz .LBB359_866
.LBB359_914:
	s_load_dword s5, s[6:7], 0x0
	s_waitcnt lgkmcnt(0)
	v_lshl_add_u32 v4, v12, 2, s5
	ds_read_b32 v4, v4 offset:320
	s_waitcnt lgkmcnt(0)
	v_add_f32_e32 v1, v1, v4
	s_or_b64 exec, exec, s[2:3]
	s_and_saveexec_b64 s[2:3], s[0:1]
	s_cbranch_execnz .LBB359_867
	s_branch .LBB359_868
.Lfunc_end359:
	.size	_ZN4vllm22paged_attention_kernelI14__hip_bfloat16hLi120ELi32ELi128ELNS_18Fp8KVCacheDataTypeE1ELb1ELi512EEEvPfS3_PT_PKS4_PKT0_SA_ifPKiSC_iPKfiiiSE_SE_iiiii, .Lfunc_end359-_ZN4vllm22paged_attention_kernelI14__hip_bfloat16hLi120ELi32ELi128ELNS_18Fp8KVCacheDataTypeE1ELb1ELi512EEEvPfS3_PT_PKS4_PKT0_SA_ifPKiSC_iPKfiiiSE_SE_iiiii
                                        ; -- End function
	.section	.AMDGPU.csdata,"",@progbits
; Function info:
; codeLenInByte = 32416
; NumSgprs: 42
; NumVgprs: 64
; NumAgprs: 64
; TotalNumVgprs: 128
; ScratchSize: 380
; MemoryBound: 0
	.section	.text._ZN4vllm25paged_attention_v2_kernelI14__hip_bfloat16hLi120ELi32ELi128ELNS_18Fp8KVCacheDataTypeE1ELb1ELi512EEEvPfS3_PT_PKS4_PKT0_SA_ifPKiSC_iPKfiiiSE_SE_iiiii,"axG",@progbits,_ZN4vllm25paged_attention_v2_kernelI14__hip_bfloat16hLi120ELi32ELi128ELNS_18Fp8KVCacheDataTypeE1ELb1ELi512EEEvPfS3_PT_PKS4_PKT0_SA_ifPKiSC_iPKfiiiSE_SE_iiiii,comdat
	.protected	_ZN4vllm25paged_attention_v2_kernelI14__hip_bfloat16hLi120ELi32ELi128ELNS_18Fp8KVCacheDataTypeE1ELb1ELi512EEEvPfS3_PT_PKS4_PKT0_SA_ifPKiSC_iPKfiiiSE_SE_iiiii ; -- Begin function _ZN4vllm25paged_attention_v2_kernelI14__hip_bfloat16hLi120ELi32ELi128ELNS_18Fp8KVCacheDataTypeE1ELb1ELi512EEEvPfS3_PT_PKS4_PKT0_SA_ifPKiSC_iPKfiiiSE_SE_iiiii
	.globl	_ZN4vllm25paged_attention_v2_kernelI14__hip_bfloat16hLi120ELi32ELi128ELNS_18Fp8KVCacheDataTypeE1ELb1ELi512EEEvPfS3_PT_PKS4_PKT0_SA_ifPKiSC_iPKfiiiSE_SE_iiiii
	.p2align	8
	.type	_ZN4vllm25paged_attention_v2_kernelI14__hip_bfloat16hLi120ELi32ELi128ELNS_18Fp8KVCacheDataTypeE1ELb1ELi512EEEvPfS3_PT_PKS4_PKT0_SA_ifPKiSC_iPKfiiiSE_SE_iiiii,@function
_ZN4vllm25paged_attention_v2_kernelI14__hip_bfloat16hLi120ELi32ELi128ELNS_18Fp8KVCacheDataTypeE1ELb1ELi512EEEvPfS3_PT_PKS4_PKT0_SA_ifPKiSC_iPKfiiiSE_SE_iiiii: ; @_ZN4vllm25paged_attention_v2_kernelI14__hip_bfloat16hLi120ELi32ELi128ELNS_18Fp8KVCacheDataTypeE1ELb1ELi512EEEvPfS3_PT_PKS4_PKT0_SA_ifPKiSC_iPKfiiiSE_SE_iiiii
; %bb.0:
	s_load_dwordx8 s[24:31], s[0:1], 0x0
	s_load_dwordx8 s[16:23], s[0:1], 0x20
	s_load_dwordx2 s[6:7], s[0:1], 0x40
	s_load_dwordx4 s[44:47], s[0:1], 0x78
	s_load_dword s5, s[0:1], 0x88
	s_load_dwordx2 s[10:11], s[0:1], 0x50
	s_load_dword s33, s[0:1], 0x48
	s_load_dwordx8 s[36:43], s[0:1], 0x58
	s_mov_b32 s32, 0
	s_waitcnt lgkmcnt(0)
	v_mov_b32_e32 v2, s47
	v_mov_b32_e32 v3, s5
	s_add_u32 s8, s0, 0x90
	scratch_store_dwordx2 off, v[2:3], s32
	s_addc_u32 s9, s1, 0
	s_mov_b32 s12, s2
	s_mov_b32 s13, s3
	;; [unrolled: 1-line block ×4, first 2 shown]
	v_mov_b32_e32 v31, v0
	v_mov_b32_e32 v0, s24
	v_mov_b32_e32 v1, s25
	v_mov_b32_e32 v2, s26
	v_mov_b32_e32 v3, s27
	v_mov_b32_e32 v4, s28
	v_mov_b32_e32 v5, s29
	v_mov_b32_e32 v6, s30
	v_mov_b32_e32 v7, s31
	v_mov_b32_e32 v8, s16
	v_mov_b32_e32 v9, s17
	v_mov_b32_e32 v10, s18
	v_mov_b32_e32 v11, s19
	v_mov_b32_e32 v12, s20
	v_mov_b32_e32 v13, s21
	v_mov_b32_e32 v14, s22
	v_mov_b32_e32 v15, s23
	v_mov_b32_e32 v16, s6
	v_mov_b32_e32 v17, s7
	v_mov_b32_e32 v18, s33
	v_mov_b32_e32 v19, s10
	v_mov_b32_e32 v20, s11
	v_mov_b32_e32 v21, s36
	v_mov_b32_e32 v22, s37
	v_mov_b32_e32 v23, s38
	v_mov_b32_e32 v24, s40
	v_mov_b32_e32 v25, s41
	v_mov_b32_e32 v26, s42
	v_mov_b32_e32 v27, s43
	v_mov_b32_e32 v28, s44
	v_mov_b32_e32 v29, s45
	v_mov_b32_e32 v30, s46
	s_getpc_b64 s[0:1]
	s_add_u32 s0, s0, _ZN4vllm22paged_attention_kernelI14__hip_bfloat16hLi120ELi32ELi128ELNS_18Fp8KVCacheDataTypeE1ELb1ELi512EEEvPfS3_PT_PKS4_PKT0_SA_ifPKiSC_iPKfiiiSE_SE_iiiii@rel32@lo+4
	s_addc_u32 s1, s1, _ZN4vllm22paged_attention_kernelI14__hip_bfloat16hLi120ELi32ELi128ELNS_18Fp8KVCacheDataTypeE1ELb1ELi512EEEvPfS3_PT_PKS4_PKT0_SA_ifPKiSC_iPKfiiiSE_SE_iiiii@rel32@hi+12
	s_swappc_b64 s[30:31], s[0:1]
	s_endpgm
	.section	.rodata,"a",@progbits
	.p2align	6, 0x0
	.amdhsa_kernel _ZN4vllm25paged_attention_v2_kernelI14__hip_bfloat16hLi120ELi32ELi128ELNS_18Fp8KVCacheDataTypeE1ELb1ELi512EEEvPfS3_PT_PKS4_PKT0_SA_ifPKiSC_iPKfiiiSE_SE_iiiii
		.amdhsa_group_segment_fixed_size 256
		.amdhsa_private_segment_fixed_size 380
		.amdhsa_kernarg_size 400
		.amdhsa_user_sgpr_count 2
		.amdhsa_user_sgpr_dispatch_ptr 0
		.amdhsa_user_sgpr_queue_ptr 0
		.amdhsa_user_sgpr_kernarg_segment_ptr 1
		.amdhsa_user_sgpr_dispatch_id 0
		.amdhsa_user_sgpr_kernarg_preload_length 0
		.amdhsa_user_sgpr_kernarg_preload_offset 0
		.amdhsa_user_sgpr_private_segment_size 0
		.amdhsa_uses_dynamic_stack 0
		.amdhsa_enable_private_segment 1
		.amdhsa_system_sgpr_workgroup_id_x 1
		.amdhsa_system_sgpr_workgroup_id_y 1
		.amdhsa_system_sgpr_workgroup_id_z 1
		.amdhsa_system_sgpr_workgroup_info 0
		.amdhsa_system_vgpr_workitem_id 0
		.amdhsa_next_free_vgpr 128
		.amdhsa_next_free_sgpr 48
		.amdhsa_accum_offset 64
		.amdhsa_reserve_vcc 1
		.amdhsa_float_round_mode_32 0
		.amdhsa_float_round_mode_16_64 0
		.amdhsa_float_denorm_mode_32 3
		.amdhsa_float_denorm_mode_16_64 3
		.amdhsa_dx10_clamp 1
		.amdhsa_ieee_mode 1
		.amdhsa_fp16_overflow 0
		.amdhsa_tg_split 0
		.amdhsa_exception_fp_ieee_invalid_op 0
		.amdhsa_exception_fp_denorm_src 0
		.amdhsa_exception_fp_ieee_div_zero 0
		.amdhsa_exception_fp_ieee_overflow 0
		.amdhsa_exception_fp_ieee_underflow 0
		.amdhsa_exception_fp_ieee_inexact 0
		.amdhsa_exception_int_div_zero 0
	.end_amdhsa_kernel
	.section	.text._ZN4vllm25paged_attention_v2_kernelI14__hip_bfloat16hLi120ELi32ELi128ELNS_18Fp8KVCacheDataTypeE1ELb1ELi512EEEvPfS3_PT_PKS4_PKT0_SA_ifPKiSC_iPKfiiiSE_SE_iiiii,"axG",@progbits,_ZN4vllm25paged_attention_v2_kernelI14__hip_bfloat16hLi120ELi32ELi128ELNS_18Fp8KVCacheDataTypeE1ELb1ELi512EEEvPfS3_PT_PKS4_PKT0_SA_ifPKiSC_iPKfiiiSE_SE_iiiii,comdat
.Lfunc_end360:
	.size	_ZN4vllm25paged_attention_v2_kernelI14__hip_bfloat16hLi120ELi32ELi128ELNS_18Fp8KVCacheDataTypeE1ELb1ELi512EEEvPfS3_PT_PKS4_PKT0_SA_ifPKiSC_iPKfiiiSE_SE_iiiii, .Lfunc_end360-_ZN4vllm25paged_attention_v2_kernelI14__hip_bfloat16hLi120ELi32ELi128ELNS_18Fp8KVCacheDataTypeE1ELb1ELi512EEEvPfS3_PT_PKS4_PKT0_SA_ifPKiSC_iPKfiiiSE_SE_iiiii
                                        ; -- End function
	.section	.AMDGPU.csdata,"",@progbits
; Kernel info:
; codeLenInByte = 272
; NumSgprs: 54
; NumVgprs: 64
; NumAgprs: 64
; TotalNumVgprs: 128
; ScratchSize: 380
; MemoryBound: 0
; FloatMode: 240
; IeeeMode: 1
; LDSByteSize: 256 bytes/workgroup (compile time only)
; SGPRBlocks: 6
; VGPRBlocks: 15
; NumSGPRsForWavesPerEU: 54
; NumVGPRsForWavesPerEU: 128
; AccumOffset: 64
; Occupancy: 4
; WaveLimiterHint : 1
; COMPUTE_PGM_RSRC2:SCRATCH_EN: 1
; COMPUTE_PGM_RSRC2:USER_SGPR: 2
; COMPUTE_PGM_RSRC2:TRAP_HANDLER: 0
; COMPUTE_PGM_RSRC2:TGID_X_EN: 1
; COMPUTE_PGM_RSRC2:TGID_Y_EN: 1
; COMPUTE_PGM_RSRC2:TGID_Z_EN: 1
; COMPUTE_PGM_RSRC2:TIDIG_COMP_CNT: 0
; COMPUTE_PGM_RSRC3_GFX90A:ACCUM_OFFSET: 15
; COMPUTE_PGM_RSRC3_GFX90A:TG_SPLIT: 0
	.text
	.p2align	2                               ; -- Begin function _ZN4vllm22paged_attention_kernelI14__hip_bfloat16hLi128ELi32ELi128ELNS_18Fp8KVCacheDataTypeE1ELb1ELi512EEEvPfS3_PT_PKS4_PKT0_SA_ifPKiSC_iPKfiiiSE_SE_iiiii
	.type	_ZN4vllm22paged_attention_kernelI14__hip_bfloat16hLi128ELi32ELi128ELNS_18Fp8KVCacheDataTypeE1ELb1ELi512EEEvPfS3_PT_PKS4_PKT0_SA_ifPKiSC_iPKfiiiSE_SE_iiiii,@function
_ZN4vllm22paged_attention_kernelI14__hip_bfloat16hLi128ELi32ELi128ELNS_18Fp8KVCacheDataTypeE1ELb1ELi512EEEvPfS3_PT_PKS4_PKT0_SA_ifPKiSC_iPKfiiiSE_SE_iiiii: ; @_ZN4vllm22paged_attention_kernelI14__hip_bfloat16hLi128ELi32ELi128ELNS_18Fp8KVCacheDataTypeE1ELb1ELi512EEEvPfS3_PT_PKS4_PKT0_SA_ifPKiSC_iPKfiiiSE_SE_iiiii
; %bb.0:
	s_waitcnt vmcnt(0) expcnt(0) lgkmcnt(0)
	s_or_saveexec_b64 s[0:1], -1
	scratch_store_dword off, v63, s32 offset:388 ; 4-byte Folded Spill
	s_mov_b64 exec, s[0:1]
	scratch_store_dword off, v40, s32 offset:192 ; 4-byte Folded Spill
	scratch_store_dword off, v41, s32 offset:188 ; 4-byte Folded Spill
	;; [unrolled: 1-line block ×47, first 2 shown]
	v_writelane_b32 v63, s34, 0
	v_writelane_b32 v63, s35, 1
	;; [unrolled: 1-line block ×3, first 2 shown]
	s_nop 1
	v_writelane_b32 v63, s31, 3
	s_mov_b32 s16, s13
	s_ashr_i32 s17, s13, 31
	scratch_store_dwordx2 off, v[26:27], s32 offset:256 ; 8-byte Folded Spill
	scratch_store_dwordx2 off, v[24:25], s32 offset:264 ; 8-byte Folded Spill
	;; [unrolled: 1-line block ×3, first 2 shown]
	scratch_store_dword off, v13, s32 offset:292 ; 4-byte Folded Spill
	v_mov_b32_e32 v35, v3
	v_mov_b32_e32 v34, v2
	v_lshl_add_u64 v[2:3], s[16:17], 2, v[16:17]
	v_mov_b32_e32 v25, v1
	v_mov_b32_e32 v24, v0
	scratch_load_dword v0, off, s32 offset:4
	flat_load_dword v1, v[2:3]
	s_nop 0
	scratch_load_dword v2, off, s32
	s_mov_b32 s20, s15
	s_lshl_b32 s15, s14, 9
	v_mov_b32_e32 v33, v20
	v_mov_b32_e32 v32, v19
	;; [unrolled: 1-line block ×4, first 2 shown]
	s_waitcnt vmcnt(0) lgkmcnt(0)
	v_cmp_lt_i32_e32 vcc, s15, v1
	scratch_store_dword off, v1, s32 offset:196 ; 4-byte Folded Spill
	s_and_saveexec_b64 s[10:11], vcc
	s_cbranch_execz .LBB361_916
; %bb.1:
	v_sub_u32_e32 v1, 0, v12
	v_max_i32_e32 v1, v12, v1
	v_cvt_f32_u32_e32 v3, v1
	scratch_store_dwordx2 off, v[4:5], s32 offset:304 ; 8-byte Folded Spill
	s_load_dword s0, s[8:9], 0x10
	s_load_dword s2, s[8:9], 0x0
	v_sub_u32_e32 v5, 0, v1
	v_rcp_iflag_f32_e32 v3, v3
	s_waitcnt lgkmcnt(0)
	s_lshr_b32 s0, s0, 16
	s_cmp_lg_u32 s0, 0
	v_mul_f32_e32 v3, 0x4f7ffffe, v3
	v_cvt_u32_f32_e32 v3, v3
	s_cselect_b64 s[0:1], -1, 0
	s_cmp_lg_u64 s[0:1], 0
	s_addc_u32 s17, s2, 0
	v_mul_lo_u32 v5, v5, v3
	v_mul_hi_u32 v5, v3, v5
	s_abs_i32 s0, s17
	v_add_u32_e32 v3, v3, v5
	v_mul_hi_u32 v3, s0, v3
	v_mul_lo_u32 v5, v3, v1
	v_sub_u32_e32 v5, s0, v5
	v_add_u32_e32 v10, 1, v3
	v_cmp_ge_u32_e32 vcc, v5, v1
	v_xor_b32_e32 v4, s17, v12
	v_ashrrev_i32_e32 v4, 31, v4
	v_cndmask_b32_e32 v3, v3, v10, vcc
	v_sub_u32_e32 v10, v5, v1
	v_cndmask_b32_e32 v5, v5, v10, vcc
	v_add_u32_e32 v10, 1, v3
	v_cmp_ge_u32_e32 vcc, v5, v1
	s_abs_i32 s2, s12
	s_nop 0
	v_cndmask_b32_e32 v1, v3, v10, vcc
	v_xor_b32_e32 v1, v1, v4
	v_sub_u32_e32 v1, v1, v4
	v_sub_u32_e32 v3, 0, v1
	v_max_i32_e32 v3, v1, v3
	v_cvt_f32_u32_e32 v4, v3
	v_sub_u32_e32 v5, 0, v3
	v_cmp_ne_u64_e32 vcc, 0, v[32:33]
	v_rcp_iflag_f32_e32 v4, v4
	s_nop 0
	v_mul_f32_e32 v4, 0x4f7ffffe, v4
	v_cvt_u32_f32_e32 v4, v4
	v_mul_lo_u32 v5, v5, v4
	v_mul_hi_u32 v5, v4, v5
	v_add_u32_e32 v4, v4, v5
	v_mad_u64_u32 v[16:17], s[0:1], s2, v4, 0
	v_mov_b32_e32 v4, 0
	scratch_store_dword off, v4, s32 offset:288 ; 4-byte Folded Spill
	s_and_saveexec_b64 s[0:1], vcc
	s_cbranch_execz .LBB361_3
; %bb.2:
	s_ashr_i32 s13, s12, 31
	v_lshl_add_u64 v[4:5], s[12:13], 2, v[32:33]
	flat_load_dword v4, v[4:5]
	s_waitcnt vmcnt(0) lgkmcnt(0)
	scratch_store_dword off, v4, s32 offset:288 ; 4-byte Folded Spill
.LBB361_3:
	s_or_b64 exec, exec, s[0:1]
	v_and_b32_e32 v5, 0x3ff, v31
	s_ashr_i32 s3, s12, 31
	v_ashrrev_i32_e32 v4, 31, v1
	v_and_b32_e32 v1, 1, v5
	s_lshl_b32 s18, s12, 7
	v_cmp_gt_u32_e32 vcc, 32, v5
	v_lshlrev_b32_e32 v32, 3, v5
	scratch_store_dword off, v5, s32 offset:252 ; 4-byte Folded Spill
	s_and_saveexec_b64 s[0:1], vcc
	s_cbranch_execz .LBB361_5
; %bb.4:
	v_mul_lo_u32 v10, s16, v21
	v_ashrrev_i32_e32 v11, 31, v10
	v_lshl_add_u64 v[6:7], v[10:11], 1, v[6:7]
	s_ashr_i32 s19, s18, 31
	v_lshl_add_u64 v[6:7], s[18:19], 1, v[6:7]
	v_mov_b32_e32 v33, 0
	v_lshl_add_u64 v[6:7], v[6:7], 0, v[32:33]
	flat_load_dwordx2 v[6:7], v[6:7]
	s_nop 0
	scratch_load_dword v5, off, s32 offset:252 ; 4-byte Folded Reload
	s_waitcnt vmcnt(0)
	v_lshlrev_b32_e32 v5, 2, v5
	v_and_b32_e32 v5, 0xff8, v5
	v_lshl_add_u32 v5, v1, 7, v5
	s_waitcnt lgkmcnt(0)
	ds_write_b64 v5, v[6:7]
.LBB361_5:
	s_or_b64 exec, exec, s[0:1]
	v_mul_lo_u32 v5, v17, v3
	v_sub_u32_e32 v5, s2, v5
	v_add_u32_e32 v6, 1, v17
	v_cmp_ge_u32_e32 vcc, v5, v3
	v_sub_u32_e32 v7, v5, v3
	v_xor_b32_e32 v4, s3, v4
	v_cndmask_b32_e32 v6, v17, v6, vcc
	v_cndmask_b32_e32 v5, v5, v7, vcc
	v_add_u32_e32 v7, 1, v6
	v_cmp_ge_u32_e32 vcc, v5, v3
	s_waitcnt lgkmcnt(0)
	s_barrier
	v_cndmask_b32_e32 v3, v6, v7, vcc
	v_xor_b32_e32 v3, v3, v4
	v_sub_u32_e32 v6, v3, v4
	scratch_load_dword v4, off, s32 offset:196 ; 4-byte Folded Reload
	v_sub_u32_e32 v5, 0, v2
	v_max_i32_e32 v7, v2, v5
	v_cvt_f32_u32_e32 v5, v7
	scratch_store_dword off, v7, s32 offset:200 ; 4-byte Folded Spill
	v_sub_u32_e32 v7, 0, v7
	v_cmp_gt_i32_e32 vcc, 0, v0
	v_rcp_iflag_f32_e32 v3, v5
                                        ; implicit-def: $vgpr10
	scratch_store_dwordx2 off, v[10:11], s32 offset:212 ; 8-byte Folded Spill
	v_mul_f32_e32 v3, 0x4f7ffffe, v3
	v_cvt_u32_f32_e32 v5, v3
	v_mul_lo_u32 v7, v7, v5
	v_mul_hi_u32 v7, v5, v7
	v_add_u32_e32 v5, v5, v7
	scratch_store_dword off, v5, s32 offset:220 ; 4-byte Folded Spill
	s_waitcnt vmcnt(3)
	v_add_u32_e32 v4, -1, v4
	v_sub_u32_e32 v3, 0, v4
	v_max_i32_e32 v3, v4, v3
	v_mad_u64_u32 v[16:17], s[0:1], v3, v5, 0
	s_and_saveexec_b64 s[0:1], vcc
	s_xor_b64 s[0:1], exec, s[0:1]
	s_cbranch_execz .LBB361_7
; %bb.6:
	v_mad_u64_u32 v[10:11], s[2:3], v28, v12, v[6:7]
	v_mul_lo_u32 v0, v10, v0
	v_sub_u32_e32 v0, 1, v0
	scratch_store_dwordx2 off, v[0:1], s32 offset:212 ; 8-byte Folded Spill
                                        ; implicit-def: $vgpr28
                                        ; implicit-def: $vgpr0
.LBB361_7:
	s_or_saveexec_b64 s[0:1], s[0:1]
	v_ashrrev_i32_e32 v4, 31, v4
	v_ashrrev_i32_e32 v2, 31, v2
	scratch_store_dword off, v2, s32 offset:204 ; 4-byte Folded Spill
	s_xor_b64 exec, exec, s[0:1]
	s_cbranch_execz .LBB361_9
; %bb.8:
	v_mul_lo_u32 v2, s17, v28
	v_add_u32_e32 v2, s12, v2
	v_mad_u64_u32 v[10:11], s[2:3], v2, v0, 1
	scratch_store_dwordx2 off, v[10:11], s32 offset:212 ; 8-byte Folded Spill
.LBB361_9:
	s_or_b64 exec, exec, s[0:1]
	s_load_dword s28, s[8:9], 0x14
	s_load_dword s13, s[8:9], 0x8
	scratch_load_dword v0, off, s32 offset:204 ; 4-byte Folded Reload
	scratch_load_dword v5, off, s32 offset:200 ; 4-byte Folded Reload
	s_lshl_b32 s19, s14, 4
	s_add_i32 s0, s19, 16
	v_mul_lo_u32 v38, s16, v18
	v_mul_lo_u32 v48, v6, v23
	v_ashrrev_i32_e32 v39, 31, v38
	v_ashrrev_i32_e32 v49, 31, v48
	v_sub_u32_e32 v23, 0, v30
	s_waitcnt vmcnt(1)
	v_xor_b32_e32 v0, v4, v0
	s_waitcnt vmcnt(0)
	v_mul_lo_u32 v2, v17, v5
	v_sub_u32_e32 v2, v3, v2
	v_add_u32_e32 v3, 1, v17
	v_cmp_ge_u32_e32 vcc, v2, v5
	v_sub_u32_e32 v4, v2, v5
	s_nop 0
	v_cndmask_b32_e32 v3, v17, v3, vcc
	v_cndmask_b32_e32 v2, v2, v4, vcc
	v_add_u32_e32 v4, 1, v3
	v_cmp_ge_u32_e32 vcc, v2, v5
	v_mov_b32_e32 v5, 0xff7fffff
	s_nop 0
	v_cndmask_b32_e32 v2, v3, v4, vcc
	v_xor_b32_e32 v2, v2, v0
	v_sub_u32_e32 v0, v2, v0
	scratch_load_dword v2, off, s32 offset:196 ; 4-byte Folded Reload
	v_sub_u32_e32 v0, v0, v29
	scratch_store_dword off, v0, s32 offset:224 ; 4-byte Folded Spill
	v_mbcnt_lo_u32_b32 v4, -1, 0
	s_waitcnt vmcnt(1)
	v_add_u32_e32 v2, 31, v2
	v_ashrrev_i32_e32 v3, 31, v2
	v_lshrrev_b32_e32 v3, 27, v3
	v_add_u32_e32 v2, v2, v3
	v_ashrrev_i32_e32 v31, 5, v2
	scratch_load_dword v2, off, s32 offset:252 ; 4-byte Folded Reload
	v_min_i32_e32 v3, s0, v31
	scratch_store_dword off, v3, s32 offset:208 ; 4-byte Folded Spill
	s_waitcnt vmcnt(1)
	v_lshrrev_b32_e32 v28, 6, v2
	v_or_b32_e32 v2, s19, v28
	v_cmp_lt_i32_e64 s[0:1], v2, v3
	v_ashrrev_i32_e32 v3, 31, v2
	v_accvgpr_write_b32 a13, v3
	v_accvgpr_write_b32 a12, v2
	v_lshl_add_u32 v0, v28, 5, s15
	scratch_store_dword off, v0, s32 offset:312 ; 4-byte Folded Spill
	s_and_saveexec_b64 s[8:9], s[0:1]
	s_cbranch_execz .LBB361_275
; %bb.10:
	scratch_store_dword off, v31, s32 offset:316 ; 4-byte Folded Spill
	scratch_store_dwordx2 off, v[32:33], s32 offset:344 ; 8-byte Folded Spill
	scratch_store_dwordx2 off, v[34:35], s32 offset:352 ; 8-byte Folded Spill
	;; [unrolled: 1-line block ×4, first 2 shown]
	scratch_load_dword v0, off, s32 offset:252 ; 4-byte Folded Reload
	v_lshl_add_u64 v[2:3], v[8:9], 0, v[48:49]
	v_mov_b32_e32 v47, 0
	scratch_store_dwordx2 off, v[48:49], s32 offset:320 ; 8-byte Folded Spill
	v_cmp_eq_u32_e32 vcc, 0, v1
	v_lshlrev_b32_e32 v22, 7, v1
	s_ashr_i32 s21, s20, 31
	s_lshl_b64 s[4:5], s[20:21], 2
	s_getpc_b64 s[6:7]
	s_add_u32 s6, s6, llvm.amdgcn.dynlds.offset.table@rel32@lo+4
	s_addc_u32 s7, s7, llvm.amdgcn.dynlds.offset.table@rel32@hi+12
	s_add_u32 s22, s4, s6
	s_addc_u32 s23, s5, s7
	v_lshl_add_u32 v27, v28, 5, s15
	s_mov_b64 s[24:25], 0
	s_mov_b32 s29, 0x7f800000
	s_movk_i32 s30, 0x7fff
	s_waitcnt vmcnt(1)
	v_bfe_u32 v5, v0, 1, 5
	v_lshlrev_b32_e32 v46, 4, v5
	v_lshl_add_u64 v[2:3], v[2:3], 0, v[46:47]
	scratch_store_dwordx2 off, v[2:3], s32 offset:280 ; 8-byte Folded Spill
	scratch_store_dword off, v30, s32 offset:376 ; 4-byte Folded Spill
	scratch_store_dword off, v23, s32 offset:328 ; 4-byte Folded Spill
	v_lshlrev_b32_e32 v46, 2, v1
	scratch_load_dword v1, off, s32 offset:288 ; 4-byte Folded Reload
	v_max_i32_e32 v2, v30, v23
	v_cvt_f32_u32_e32 v0, v2
	scratch_store_dword off, v2, s32 offset:236 ; 4-byte Folded Spill
	s_load_dword s21, s[22:23], 0x0
	scratch_store_dwordx2 off, v[38:39], s32 offset:332 ; 8-byte Folded Spill
	v_rcp_iflag_f32_e32 v0, v0
	scratch_store_dwordx2 off, v[14:15], s32 offset:380 ; 8-byte Folded Spill
	scratch_store_dword off, v28, s32 offset:340 ; 4-byte Folded Spill
	scratch_store_dword off, v5, s32 offset:296 ; 4-byte Folded Spill
	v_mul_f32_e32 v0, 0x4f7ffffe, v0
	v_cvt_u32_f32_e32 v0, v0
	s_waitcnt vmcnt(5)
	v_cmp_neq_f32_e64 s[2:3], 0, v1
	v_sub_u32_e32 v1, 0, v2
	v_mul_lo_u32 v1, v1, v0
	v_mul_hi_u32 v1, v0, v1
	v_accvgpr_read_b32 v2, a12
	v_add_u32_e32 v0, v0, v1
	v_accvgpr_read_b32 v3, a13
	scratch_store_dwordx2 off, v[0:1], s32 offset:240 ; 8-byte Folded Spill
	v_lshlrev_b64 v[0:1], 2, v[2:3]
	v_lshl_add_u64 v[0:1], v[38:39], 2, v[0:1]
	v_lshl_add_u64 v[58:59], v[14:15], 0, v[0:1]
	v_lshlrev_b32_e32 v0, 2, v5
	v_lshl_or_b32 v26, v28, 7, v0
	scratch_load_dword v0, off, s32 offset:196 ; 4-byte Folded Reload
	v_mov_b32_e32 v40, v2
	s_waitcnt vmcnt(0)
	v_sub_u32_e32 v0, v5, v0
	v_add_u32_e32 v0, 1, v0
	scratch_store_dword off, v0, s32 offset:300 ; 4-byte Folded Spill
	v_mbcnt_hi_u32_b32 v0, -1, v4
	scratch_store_dword off, v0, s32 offset:276 ; 4-byte Folded Spill
	v_mov_b32_e32 v0, 0xff7fffff
	scratch_store_dword off, v0, s32 offset:272 ; 4-byte Folded Spill
	s_branch .LBB361_13
.LBB361_11:                             ;   in Loop: Header=BB361_13 Depth=1
	s_or_b64 exec, exec, s[26:27]
.LBB361_12:                             ;   in Loop: Header=BB361_13 Depth=1
	s_or_b64 exec, exec, s[6:7]
	scratch_load_dword v0, off, s32 offset:208 ; 4-byte Folded Reload
	v_add_u32_e32 v40, 2, v40
	v_lshl_add_u64 v[58:59], v[58:59], 0, 8
	v_add_u32_e32 v27, 64, v27
	v_add_u32_e32 v26, 0x100, v26
	s_waitcnt vmcnt(0)
	v_cmp_ge_i32_e64 s[4:5], v40, v0
	s_or_b64 s[24:25], s[4:5], s[24:25]
	s_andn2_b64 exec, exec, s[24:25]
	s_cbranch_execz .LBB361_274
.LBB361_13:                             ; =>This Inner Loop Header: Depth=1
	s_waitcnt lgkmcnt(0)
	scratch_load_dword v1, off, s32 offset:204 ; 4-byte Folded Reload
	scratch_load_dword v2, off, s32 offset:220 ; 4-byte Folded Reload
	;; [unrolled: 1-line block ×3, first 2 shown]
	v_ashrrev_i32_e32 v0, 31, v27
	s_waitcnt vmcnt(2)
	v_xor_b32_e32 v0, v0, v1
	v_sub_u32_e32 v1, 0, v27
	v_max_i32_e32 v1, v27, v1
	s_waitcnt vmcnt(1)
	v_mul_hi_u32 v2, v1, v2
	s_waitcnt vmcnt(0)
	v_mul_lo_u32 v3, v2, v4
	v_sub_u32_e32 v1, v1, v3
	v_add_u32_e32 v3, 1, v2
	v_cmp_ge_u32_e64 s[4:5], v1, v4
	s_nop 1
	v_cndmask_b32_e64 v2, v2, v3, s[4:5]
	v_sub_u32_e32 v3, v1, v4
	v_cndmask_b32_e64 v1, v1, v3, s[4:5]
	v_add_u32_e32 v3, 1, v2
	v_cmp_ge_u32_e64 s[4:5], v1, v4
	scratch_load_dwordx2 v[4:5], off, s32 offset:240 ; 8-byte Folded Reload
	s_nop 0
	v_cndmask_b32_e64 v1, v2, v3, s[4:5]
	scratch_load_dwordx2 v[2:3], off, s32 offset:212 ; 8-byte Folded Reload
	v_xor_b32_e32 v1, v1, v0
	v_sub_u32_e32 v0, v1, v0
	s_waitcnt vmcnt(0)
	v_add_u32_e32 v1, v0, v2
	v_sub_u32_e32 v3, 0, v1
	v_ashrrev_i32_e32 v2, 31, v1
	v_max_i32_e32 v1, v1, v3
	v_mul_hi_u32 v3, v1, v4
	scratch_load_dword v4, off, s32 offset:236 ; 4-byte Folded Reload
	s_waitcnt vmcnt(0)
	v_mul_lo_u32 v3, v3, v4
	v_sub_u32_e32 v1, v1, v3
	v_sub_u32_e32 v3, v1, v4
	v_cmp_ge_u32_e64 s[4:5], v1, v4
	s_nop 1
	v_cndmask_b32_e64 v1, v1, v3, s[4:5]
	v_sub_u32_e32 v3, v1, v4
	v_cmp_ge_u32_e64 s[4:5], v1, v4
	s_nop 1
	v_cndmask_b32_e64 v1, v1, v3, s[4:5]
	v_xor_b32_e32 v1, v1, v2
	v_sub_u32_e32 v1, v1, v2
	v_cmp_ne_u32_e64 s[4:5], 0, v1
	scratch_load_dword v1, off, s32 offset:224 ; 4-byte Folded Reload
	s_waitcnt vmcnt(0)
	v_cmp_le_i32_e64 s[6:7], v0, v1
	s_and_b64 s[4:5], s[4:5], s[6:7]
	s_and_b64 s[26:27], vcc, s[4:5]
	s_and_saveexec_b64 s[6:7], s[26:27]
	s_cbranch_execz .LBB361_15
; %bb.14:                               ;   in Loop: Header=BB361_13 Depth=1
	s_waitcnt lgkmcnt(0)
	v_add_u32_e32 v0, s21, v26
	v_mov_b32_e32 v1, 0xff7fffff
	ds_write_b32 v0, v1
.LBB361_15:                             ;   in Loop: Header=BB361_13 Depth=1
	s_or_b64 exec, exec, s[6:7]
	s_xor_b64 s[4:5], s[4:5], -1
	s_and_saveexec_b64 s[6:7], s[4:5]
	s_cbranch_execz .LBB361_12
; %bb.16:                               ;   in Loop: Header=BB361_13 Depth=1
	flat_load_dword v0, v[58:59]
	scratch_load_dwordx2 v[2:3], off, s32 offset:228 ; 8-byte Folded Reload
	scratch_load_dwordx2 v[4:5], off, s32 offset:280 ; 8-byte Folded Reload
                                        ; implicit-def: $agpr45
	s_waitcnt vmcnt(0) lgkmcnt(0)
	v_mad_i64_i32 v[0:1], s[4:5], v0, v2, v[4:5]
	v_lshl_add_u64 v[60:61], v[0:1], 0, v[46:47]
	flat_load_dword v0, v[60:61]
	scratch_load_dwordx2 v[2:3], off, s32 offset:264 ; 8-byte Folded Reload
	s_waitcnt vmcnt(0) lgkmcnt(0)
	v_and_b32_e32 v1, 0xff, v0
	flat_load_dword v10, v[2:3]
	ds_read_b128 v[52:55], v22
	ds_read_b128 v[48:51], v22 offset:16
	ds_read_b128 v[36:39], v22 offset:32
	ds_read_b128 v[32:35], v22 offset:48
	ds_read_b128 v[6:9], v22 offset:64
	ds_read_b128 a[48:51], v22 offset:80
	v_cvt_f32_fp8_sdwa v1, v1 src0_sel:BYTE_0
	ds_read_b32 v2, v22 offset:96
	ds_read_u16 a46, v22 offset:100
	s_waitcnt lgkmcnt(0)
	scratch_store_dword off, v2, s32 offset:248 ; 4-byte Folded Spill
	s_waitcnt vmcnt(0)
	v_mul_f32_e32 v1, v10, v1
	v_and_b32_e32 v2, 0x7f800000, v1
	v_cmp_ne_u32_e64 s[4:5], s29, v2
	s_and_saveexec_b64 s[26:27], s[4:5]
	s_xor_b64 s[4:5], exec, s[26:27]
; %bb.17:                               ;   in Loop: Header=BB361_13 Depth=1
	v_bfe_u32 v2, v1, 16, 1
	v_add3_u32 v1, v1, v2, s30
	v_accvgpr_write_b32 a45, v1
                                        ; implicit-def: $vgpr1
; %bb.18:                               ;   in Loop: Header=BB361_13 Depth=1
	s_andn2_saveexec_b64 s[26:27], s[4:5]
; %bb.19:                               ;   in Loop: Header=BB361_13 Depth=1
	v_or_b32_e32 v2, 0x10000, v1
	v_cmp_eq_u32_sdwa s[4:5], v1, v47 src0_sel:WORD_0 src1_sel:DWORD
	s_nop 1
	v_cndmask_b32_e64 v1, v2, v1, s[4:5]
	v_accvgpr_write_b32 a45, v1
; %bb.20:                               ;   in Loop: Header=BB361_13 Depth=1
	s_or_b64 exec, exec, s[26:27]
	v_bfe_u32 v1, v0, 8, 8
	v_cvt_f32_fp8_sdwa v1, v1 src0_sel:BYTE_0
                                        ; implicit-def: $agpr52
	s_nop 0
	v_mul_f32_e32 v1, v10, v1
	v_and_b32_e32 v2, 0x7f800000, v1
	v_cmp_ne_u32_e64 s[4:5], s29, v2
	s_and_saveexec_b64 s[26:27], s[4:5]
	s_xor_b64 s[4:5], exec, s[26:27]
; %bb.21:                               ;   in Loop: Header=BB361_13 Depth=1
	v_bfe_u32 v2, v1, 16, 1
	v_add3_u32 v1, v1, v2, s30
	v_accvgpr_write_b32 a52, v1
                                        ; implicit-def: $vgpr1
; %bb.22:                               ;   in Loop: Header=BB361_13 Depth=1
	s_andn2_saveexec_b64 s[26:27], s[4:5]
; %bb.23:                               ;   in Loop: Header=BB361_13 Depth=1
	v_or_b32_e32 v2, 0x10000, v1
	v_cmp_eq_u32_sdwa s[4:5], v1, v47 src0_sel:WORD_0 src1_sel:DWORD
	s_nop 1
	v_cndmask_b32_e64 v1, v2, v1, s[4:5]
	v_accvgpr_write_b32 a52, v1
; %bb.24:                               ;   in Loop: Header=BB361_13 Depth=1
	s_or_b64 exec, exec, s[26:27]
	v_bfe_u32 v1, v0, 16, 8
	v_cvt_f32_fp8_sdwa v1, v1 src0_sel:BYTE_0
                                        ; implicit-def: $agpr53
	s_nop 0
	v_mul_f32_e32 v1, v10, v1
	v_and_b32_e32 v2, 0x7f800000, v1
	v_cmp_ne_u32_e64 s[4:5], s29, v2
	s_and_saveexec_b64 s[26:27], s[4:5]
	s_xor_b64 s[4:5], exec, s[26:27]
; %bb.25:                               ;   in Loop: Header=BB361_13 Depth=1
	v_bfe_u32 v2, v1, 16, 1
	v_add3_u32 v1, v1, v2, s30
	v_accvgpr_write_b32 a53, v1
                                        ; implicit-def: $vgpr1
; %bb.26:                               ;   in Loop: Header=BB361_13 Depth=1
	s_andn2_saveexec_b64 s[26:27], s[4:5]
; %bb.27:                               ;   in Loop: Header=BB361_13 Depth=1
	v_or_b32_e32 v2, 0x10000, v1
	v_cmp_eq_u32_sdwa s[4:5], v1, v47 src0_sel:WORD_0 src1_sel:DWORD
	s_nop 1
	v_cndmask_b32_e64 v1, v2, v1, s[4:5]
	v_accvgpr_write_b32 a53, v1
; %bb.28:                               ;   in Loop: Header=BB361_13 Depth=1
	s_or_b64 exec, exec, s[26:27]
	v_lshrrev_b32_e32 v0, 24, v0
	v_cvt_f32_fp8_sdwa v0, v0 src0_sel:BYTE_0
                                        ; implicit-def: $agpr54
	s_nop 0
	v_mul_f32_e32 v0, v10, v0
	v_and_b32_e32 v1, 0x7f800000, v0
	v_cmp_ne_u32_e64 s[4:5], s29, v1
	s_and_saveexec_b64 s[26:27], s[4:5]
	s_xor_b64 s[4:5], exec, s[26:27]
; %bb.29:                               ;   in Loop: Header=BB361_13 Depth=1
	v_bfe_u32 v1, v0, 16, 1
	v_add3_u32 v0, v0, v1, s30
	v_accvgpr_write_b32 a54, v0
                                        ; implicit-def: $vgpr0
; %bb.30:                               ;   in Loop: Header=BB361_13 Depth=1
	s_andn2_saveexec_b64 s[26:27], s[4:5]
; %bb.31:                               ;   in Loop: Header=BB361_13 Depth=1
	v_or_b32_e32 v1, 0x10000, v0
	v_cmp_eq_u32_sdwa s[4:5], v0, v47 src0_sel:WORD_0 src1_sel:DWORD
	s_nop 1
	v_cndmask_b32_e64 v0, v1, v0, s[4:5]
	v_accvgpr_write_b32 a54, v0
; %bb.32:                               ;   in Loop: Header=BB361_13 Depth=1
	s_or_b64 exec, exec, s[26:27]
	flat_load_dword v0, v[60:61] offset:8
                                        ; implicit-def: $agpr55
	s_waitcnt vmcnt(0) lgkmcnt(0)
	v_and_b32_e32 v1, 0xff, v0
	v_cvt_f32_fp8_sdwa v1, v1 src0_sel:BYTE_0
	s_nop 0
	v_mul_f32_e32 v1, v10, v1
	v_and_b32_e32 v2, 0x7f800000, v1
	v_cmp_ne_u32_e64 s[4:5], s29, v2
	s_and_saveexec_b64 s[26:27], s[4:5]
	s_xor_b64 s[4:5], exec, s[26:27]
; %bb.33:                               ;   in Loop: Header=BB361_13 Depth=1
	v_bfe_u32 v2, v1, 16, 1
	v_add3_u32 v1, v1, v2, s30
	v_accvgpr_write_b32 a55, v1
                                        ; implicit-def: $vgpr1
; %bb.34:                               ;   in Loop: Header=BB361_13 Depth=1
	s_andn2_saveexec_b64 s[26:27], s[4:5]
; %bb.35:                               ;   in Loop: Header=BB361_13 Depth=1
	v_or_b32_e32 v2, 0x10000, v1
	v_cmp_eq_u32_sdwa s[4:5], v1, v47 src0_sel:WORD_0 src1_sel:DWORD
	s_nop 1
	v_cndmask_b32_e64 v1, v2, v1, s[4:5]
	v_accvgpr_write_b32 a55, v1
; %bb.36:                               ;   in Loop: Header=BB361_13 Depth=1
	s_or_b64 exec, exec, s[26:27]
	v_bfe_u32 v1, v0, 8, 8
	v_cvt_f32_fp8_sdwa v1, v1 src0_sel:BYTE_0
                                        ; implicit-def: $agpr56
	s_nop 0
	v_mul_f32_e32 v1, v10, v1
	v_and_b32_e32 v2, 0x7f800000, v1
	v_cmp_ne_u32_e64 s[4:5], s29, v2
	s_and_saveexec_b64 s[26:27], s[4:5]
	s_xor_b64 s[4:5], exec, s[26:27]
; %bb.37:                               ;   in Loop: Header=BB361_13 Depth=1
	v_bfe_u32 v2, v1, 16, 1
	v_add3_u32 v1, v1, v2, s30
	v_accvgpr_write_b32 a56, v1
                                        ; implicit-def: $vgpr1
; %bb.38:                               ;   in Loop: Header=BB361_13 Depth=1
	s_andn2_saveexec_b64 s[26:27], s[4:5]
; %bb.39:                               ;   in Loop: Header=BB361_13 Depth=1
	v_or_b32_e32 v2, 0x10000, v1
	v_cmp_eq_u32_sdwa s[4:5], v1, v47 src0_sel:WORD_0 src1_sel:DWORD
	s_nop 1
	v_cndmask_b32_e64 v1, v2, v1, s[4:5]
	v_accvgpr_write_b32 a56, v1
; %bb.40:                               ;   in Loop: Header=BB361_13 Depth=1
	s_or_b64 exec, exec, s[26:27]
	v_bfe_u32 v1, v0, 16, 8
	v_cvt_f32_fp8_sdwa v1, v1 src0_sel:BYTE_0
                                        ; implicit-def: $agpr57
	s_nop 0
	v_mul_f32_e32 v1, v10, v1
	v_and_b32_e32 v2, 0x7f800000, v1
	v_cmp_ne_u32_e64 s[4:5], s29, v2
	s_and_saveexec_b64 s[26:27], s[4:5]
	s_xor_b64 s[4:5], exec, s[26:27]
; %bb.41:                               ;   in Loop: Header=BB361_13 Depth=1
	v_bfe_u32 v2, v1, 16, 1
	v_add3_u32 v1, v1, v2, s30
	v_accvgpr_write_b32 a57, v1
                                        ; implicit-def: $vgpr1
; %bb.42:                               ;   in Loop: Header=BB361_13 Depth=1
	s_andn2_saveexec_b64 s[26:27], s[4:5]
; %bb.43:                               ;   in Loop: Header=BB361_13 Depth=1
	v_or_b32_e32 v2, 0x10000, v1
	v_cmp_eq_u32_sdwa s[4:5], v1, v47 src0_sel:WORD_0 src1_sel:DWORD
	s_nop 1
	v_cndmask_b32_e64 v1, v2, v1, s[4:5]
	v_accvgpr_write_b32 a57, v1
; %bb.44:                               ;   in Loop: Header=BB361_13 Depth=1
	s_or_b64 exec, exec, s[26:27]
	v_lshrrev_b32_e32 v0, 24, v0
	v_cvt_f32_fp8_sdwa v0, v0 src0_sel:BYTE_0
                                        ; implicit-def: $agpr58
	s_nop 0
	v_mul_f32_e32 v0, v10, v0
	v_and_b32_e32 v1, 0x7f800000, v0
	v_cmp_ne_u32_e64 s[4:5], s29, v1
	s_and_saveexec_b64 s[26:27], s[4:5]
	s_xor_b64 s[4:5], exec, s[26:27]
; %bb.45:                               ;   in Loop: Header=BB361_13 Depth=1
	v_bfe_u32 v1, v0, 16, 1
	v_add3_u32 v0, v0, v1, s30
	v_accvgpr_write_b32 a58, v0
                                        ; implicit-def: $vgpr0
; %bb.46:                               ;   in Loop: Header=BB361_13 Depth=1
	s_andn2_saveexec_b64 s[26:27], s[4:5]
; %bb.47:                               ;   in Loop: Header=BB361_13 Depth=1
	v_or_b32_e32 v1, 0x10000, v0
	v_cmp_eq_u32_sdwa s[4:5], v0, v47 src0_sel:WORD_0 src1_sel:DWORD
	s_nop 1
	v_cndmask_b32_e64 v0, v1, v0, s[4:5]
	v_accvgpr_write_b32 a58, v0
; %bb.48:                               ;   in Loop: Header=BB361_13 Depth=1
	s_or_b64 exec, exec, s[26:27]
	flat_load_dword v0, v[60:61] offset:512
                                        ; implicit-def: $agpr59
	s_waitcnt vmcnt(0) lgkmcnt(0)
	v_and_b32_e32 v1, 0xff, v0
	v_cvt_f32_fp8_sdwa v1, v1 src0_sel:BYTE_0
	s_nop 0
	v_mul_f32_e32 v1, v10, v1
	v_and_b32_e32 v2, 0x7f800000, v1
	v_cmp_ne_u32_e64 s[4:5], s29, v2
	s_and_saveexec_b64 s[26:27], s[4:5]
	s_xor_b64 s[4:5], exec, s[26:27]
; %bb.49:                               ;   in Loop: Header=BB361_13 Depth=1
	v_bfe_u32 v2, v1, 16, 1
	v_add3_u32 v1, v1, v2, s30
	v_accvgpr_write_b32 a59, v1
                                        ; implicit-def: $vgpr1
; %bb.50:                               ;   in Loop: Header=BB361_13 Depth=1
	s_andn2_saveexec_b64 s[26:27], s[4:5]
; %bb.51:                               ;   in Loop: Header=BB361_13 Depth=1
	v_or_b32_e32 v2, 0x10000, v1
	v_cmp_eq_u32_sdwa s[4:5], v1, v47 src0_sel:WORD_0 src1_sel:DWORD
	s_nop 1
	v_cndmask_b32_e64 v1, v2, v1, s[4:5]
	v_accvgpr_write_b32 a59, v1
; %bb.52:                               ;   in Loop: Header=BB361_13 Depth=1
	s_or_b64 exec, exec, s[26:27]
	v_bfe_u32 v1, v0, 8, 8
	v_cvt_f32_fp8_sdwa v1, v1 src0_sel:BYTE_0
                                        ; implicit-def: $agpr60
	s_nop 0
	v_mul_f32_e32 v1, v10, v1
	v_and_b32_e32 v2, 0x7f800000, v1
	v_cmp_ne_u32_e64 s[4:5], s29, v2
	s_and_saveexec_b64 s[26:27], s[4:5]
	s_xor_b64 s[4:5], exec, s[26:27]
; %bb.53:                               ;   in Loop: Header=BB361_13 Depth=1
	v_bfe_u32 v2, v1, 16, 1
	v_add3_u32 v1, v1, v2, s30
	v_accvgpr_write_b32 a60, v1
                                        ; implicit-def: $vgpr1
; %bb.54:                               ;   in Loop: Header=BB361_13 Depth=1
	s_andn2_saveexec_b64 s[26:27], s[4:5]
; %bb.55:                               ;   in Loop: Header=BB361_13 Depth=1
	v_or_b32_e32 v2, 0x10000, v1
	v_cmp_eq_u32_sdwa s[4:5], v1, v47 src0_sel:WORD_0 src1_sel:DWORD
	s_nop 1
	v_cndmask_b32_e64 v1, v2, v1, s[4:5]
	v_accvgpr_write_b32 a60, v1
; %bb.56:                               ;   in Loop: Header=BB361_13 Depth=1
	s_or_b64 exec, exec, s[26:27]
	v_bfe_u32 v1, v0, 16, 8
	v_cvt_f32_fp8_sdwa v1, v1 src0_sel:BYTE_0
                                        ; implicit-def: $agpr61
	s_nop 0
	v_mul_f32_e32 v1, v10, v1
	v_and_b32_e32 v2, 0x7f800000, v1
	v_cmp_ne_u32_e64 s[4:5], s29, v2
	s_and_saveexec_b64 s[26:27], s[4:5]
	s_xor_b64 s[4:5], exec, s[26:27]
; %bb.57:                               ;   in Loop: Header=BB361_13 Depth=1
	v_bfe_u32 v2, v1, 16, 1
	v_add3_u32 v1, v1, v2, s30
	v_accvgpr_write_b32 a61, v1
                                        ; implicit-def: $vgpr1
; %bb.58:                               ;   in Loop: Header=BB361_13 Depth=1
	s_andn2_saveexec_b64 s[26:27], s[4:5]
; %bb.59:                               ;   in Loop: Header=BB361_13 Depth=1
	v_or_b32_e32 v2, 0x10000, v1
	v_cmp_eq_u32_sdwa s[4:5], v1, v47 src0_sel:WORD_0 src1_sel:DWORD
	s_nop 1
	v_cndmask_b32_e64 v1, v2, v1, s[4:5]
	v_accvgpr_write_b32 a61, v1
; %bb.60:                               ;   in Loop: Header=BB361_13 Depth=1
	s_or_b64 exec, exec, s[26:27]
	v_lshrrev_b32_e32 v0, 24, v0
	v_cvt_f32_fp8_sdwa v0, v0 src0_sel:BYTE_0
                                        ; implicit-def: $agpr62
	s_nop 0
	v_mul_f32_e32 v0, v10, v0
	v_and_b32_e32 v1, 0x7f800000, v0
	v_cmp_ne_u32_e64 s[4:5], s29, v1
	s_and_saveexec_b64 s[26:27], s[4:5]
	s_xor_b64 s[4:5], exec, s[26:27]
; %bb.61:                               ;   in Loop: Header=BB361_13 Depth=1
	v_bfe_u32 v1, v0, 16, 1
	v_add3_u32 v0, v0, v1, s30
	v_accvgpr_write_b32 a62, v0
                                        ; implicit-def: $vgpr0
; %bb.62:                               ;   in Loop: Header=BB361_13 Depth=1
	s_andn2_saveexec_b64 s[26:27], s[4:5]
; %bb.63:                               ;   in Loop: Header=BB361_13 Depth=1
	v_or_b32_e32 v1, 0x10000, v0
	v_cmp_eq_u32_sdwa s[4:5], v0, v47 src0_sel:WORD_0 src1_sel:DWORD
	s_nop 1
	v_cndmask_b32_e64 v0, v1, v0, s[4:5]
	v_accvgpr_write_b32 a62, v0
; %bb.64:                               ;   in Loop: Header=BB361_13 Depth=1
	s_or_b64 exec, exec, s[26:27]
	flat_load_dword v0, v[60:61] offset:520
                                        ; implicit-def: $agpr63
	s_waitcnt vmcnt(0) lgkmcnt(0)
	v_and_b32_e32 v1, 0xff, v0
	v_cvt_f32_fp8_sdwa v1, v1 src0_sel:BYTE_0
	s_nop 0
	v_mul_f32_e32 v1, v10, v1
	v_and_b32_e32 v2, 0x7f800000, v1
	v_cmp_ne_u32_e64 s[4:5], s29, v2
	s_and_saveexec_b64 s[26:27], s[4:5]
	s_xor_b64 s[4:5], exec, s[26:27]
; %bb.65:                               ;   in Loop: Header=BB361_13 Depth=1
	v_bfe_u32 v2, v1, 16, 1
	v_add3_u32 v1, v1, v2, s30
	v_accvgpr_write_b32 a63, v1
                                        ; implicit-def: $vgpr1
; %bb.66:                               ;   in Loop: Header=BB361_13 Depth=1
	s_andn2_saveexec_b64 s[26:27], s[4:5]
; %bb.67:                               ;   in Loop: Header=BB361_13 Depth=1
	v_or_b32_e32 v2, 0x10000, v1
	v_cmp_eq_u32_sdwa s[4:5], v1, v47 src0_sel:WORD_0 src1_sel:DWORD
	s_nop 1
	v_cndmask_b32_e64 v1, v2, v1, s[4:5]
	v_accvgpr_write_b32 a63, v1
; %bb.68:                               ;   in Loop: Header=BB361_13 Depth=1
	s_or_b64 exec, exec, s[26:27]
	v_bfe_u32 v1, v0, 8, 8
	v_cvt_f32_fp8_sdwa v1, v1 src0_sel:BYTE_0
                                        ; implicit-def: $agpr27
	s_nop 0
	v_mul_f32_e32 v1, v10, v1
	v_and_b32_e32 v2, 0x7f800000, v1
	v_cmp_ne_u32_e64 s[4:5], s29, v2
	s_and_saveexec_b64 s[26:27], s[4:5]
	s_xor_b64 s[4:5], exec, s[26:27]
; %bb.69:                               ;   in Loop: Header=BB361_13 Depth=1
	v_bfe_u32 v2, v1, 16, 1
	v_add3_u32 v1, v1, v2, s30
	v_accvgpr_write_b32 a27, v1
                                        ; implicit-def: $vgpr1
; %bb.70:                               ;   in Loop: Header=BB361_13 Depth=1
	s_andn2_saveexec_b64 s[26:27], s[4:5]
; %bb.71:                               ;   in Loop: Header=BB361_13 Depth=1
	v_or_b32_e32 v2, 0x10000, v1
	v_cmp_eq_u32_sdwa s[4:5], v1, v47 src0_sel:WORD_0 src1_sel:DWORD
	s_nop 1
	v_cndmask_b32_e64 v1, v2, v1, s[4:5]
	v_accvgpr_write_b32 a27, v1
; %bb.72:                               ;   in Loop: Header=BB361_13 Depth=1
	s_or_b64 exec, exec, s[26:27]
	v_bfe_u32 v1, v0, 16, 8
	v_cvt_f32_fp8_sdwa v1, v1 src0_sel:BYTE_0
                                        ; implicit-def: $agpr30
	s_nop 0
	v_mul_f32_e32 v1, v10, v1
	v_and_b32_e32 v2, 0x7f800000, v1
	v_cmp_ne_u32_e64 s[4:5], s29, v2
	s_and_saveexec_b64 s[26:27], s[4:5]
	s_xor_b64 s[4:5], exec, s[26:27]
; %bb.73:                               ;   in Loop: Header=BB361_13 Depth=1
	v_bfe_u32 v2, v1, 16, 1
	v_add3_u32 v1, v1, v2, s30
	v_accvgpr_write_b32 a30, v1
                                        ; implicit-def: $vgpr1
; %bb.74:                               ;   in Loop: Header=BB361_13 Depth=1
	s_andn2_saveexec_b64 s[26:27], s[4:5]
; %bb.75:                               ;   in Loop: Header=BB361_13 Depth=1
	v_or_b32_e32 v2, 0x10000, v1
	v_cmp_eq_u32_sdwa s[4:5], v1, v47 src0_sel:WORD_0 src1_sel:DWORD
	s_nop 1
	v_cndmask_b32_e64 v1, v2, v1, s[4:5]
	v_accvgpr_write_b32 a30, v1
; %bb.76:                               ;   in Loop: Header=BB361_13 Depth=1
	s_or_b64 exec, exec, s[26:27]
	v_lshrrev_b32_e32 v0, 24, v0
	v_cvt_f32_fp8_sdwa v0, v0 src0_sel:BYTE_0
                                        ; implicit-def: $agpr31
	s_nop 0
	v_mul_f32_e32 v0, v10, v0
	v_and_b32_e32 v1, 0x7f800000, v0
	v_cmp_ne_u32_e64 s[4:5], s29, v1
	s_and_saveexec_b64 s[26:27], s[4:5]
	s_xor_b64 s[4:5], exec, s[26:27]
; %bb.77:                               ;   in Loop: Header=BB361_13 Depth=1
	v_bfe_u32 v1, v0, 16, 1
	v_add3_u32 v0, v0, v1, s30
	v_accvgpr_write_b32 a31, v0
                                        ; implicit-def: $vgpr0
; %bb.78:                               ;   in Loop: Header=BB361_13 Depth=1
	s_andn2_saveexec_b64 s[26:27], s[4:5]
; %bb.79:                               ;   in Loop: Header=BB361_13 Depth=1
	v_or_b32_e32 v1, 0x10000, v0
	v_cmp_eq_u32_sdwa s[4:5], v0, v47 src0_sel:WORD_0 src1_sel:DWORD
	s_nop 1
	v_cndmask_b32_e64 v0, v1, v0, s[4:5]
	v_accvgpr_write_b32 a31, v0
; %bb.80:                               ;   in Loop: Header=BB361_13 Depth=1
	s_or_b64 exec, exec, s[26:27]
	flat_load_dword v0, v[60:61] offset:1024
                                        ; implicit-def: $agpr32
	s_waitcnt vmcnt(0) lgkmcnt(0)
	v_and_b32_e32 v1, 0xff, v0
	v_cvt_f32_fp8_sdwa v1, v1 src0_sel:BYTE_0
	s_nop 0
	v_mul_f32_e32 v1, v10, v1
	v_and_b32_e32 v2, 0x7f800000, v1
	v_cmp_ne_u32_e64 s[4:5], s29, v2
	s_and_saveexec_b64 s[26:27], s[4:5]
	s_xor_b64 s[4:5], exec, s[26:27]
; %bb.81:                               ;   in Loop: Header=BB361_13 Depth=1
	v_bfe_u32 v2, v1, 16, 1
	v_add3_u32 v1, v1, v2, s30
	v_accvgpr_write_b32 a32, v1
                                        ; implicit-def: $vgpr1
; %bb.82:                               ;   in Loop: Header=BB361_13 Depth=1
	s_andn2_saveexec_b64 s[26:27], s[4:5]
; %bb.83:                               ;   in Loop: Header=BB361_13 Depth=1
	v_or_b32_e32 v2, 0x10000, v1
	v_cmp_eq_u32_sdwa s[4:5], v1, v47 src0_sel:WORD_0 src1_sel:DWORD
	s_nop 1
	v_cndmask_b32_e64 v1, v2, v1, s[4:5]
	v_accvgpr_write_b32 a32, v1
; %bb.84:                               ;   in Loop: Header=BB361_13 Depth=1
	s_or_b64 exec, exec, s[26:27]
	v_bfe_u32 v1, v0, 8, 8
	v_cvt_f32_fp8_sdwa v1, v1 src0_sel:BYTE_0
                                        ; implicit-def: $agpr28
	s_nop 0
	v_mul_f32_e32 v1, v10, v1
	v_and_b32_e32 v2, 0x7f800000, v1
	v_cmp_ne_u32_e64 s[4:5], s29, v2
	s_and_saveexec_b64 s[26:27], s[4:5]
	s_xor_b64 s[4:5], exec, s[26:27]
; %bb.85:                               ;   in Loop: Header=BB361_13 Depth=1
	v_bfe_u32 v2, v1, 16, 1
	v_add3_u32 v1, v1, v2, s30
	v_accvgpr_write_b32 a28, v1
                                        ; implicit-def: $vgpr1
; %bb.86:                               ;   in Loop: Header=BB361_13 Depth=1
	s_andn2_saveexec_b64 s[26:27], s[4:5]
; %bb.87:                               ;   in Loop: Header=BB361_13 Depth=1
	v_or_b32_e32 v2, 0x10000, v1
	v_cmp_eq_u32_sdwa s[4:5], v1, v47 src0_sel:WORD_0 src1_sel:DWORD
	s_nop 1
	v_cndmask_b32_e64 v1, v2, v1, s[4:5]
	v_accvgpr_write_b32 a28, v1
; %bb.88:                               ;   in Loop: Header=BB361_13 Depth=1
	s_or_b64 exec, exec, s[26:27]
	v_bfe_u32 v1, v0, 16, 8
	v_cvt_f32_fp8_sdwa v1, v1 src0_sel:BYTE_0
                                        ; implicit-def: $agpr29
	s_nop 0
	v_mul_f32_e32 v1, v10, v1
	v_and_b32_e32 v2, 0x7f800000, v1
	v_cmp_ne_u32_e64 s[4:5], s29, v2
	s_and_saveexec_b64 s[26:27], s[4:5]
	s_xor_b64 s[4:5], exec, s[26:27]
; %bb.89:                               ;   in Loop: Header=BB361_13 Depth=1
	v_bfe_u32 v2, v1, 16, 1
	v_add3_u32 v1, v1, v2, s30
	v_accvgpr_write_b32 a29, v1
                                        ; implicit-def: $vgpr1
; %bb.90:                               ;   in Loop: Header=BB361_13 Depth=1
	s_andn2_saveexec_b64 s[26:27], s[4:5]
; %bb.91:                               ;   in Loop: Header=BB361_13 Depth=1
	v_or_b32_e32 v2, 0x10000, v1
	v_cmp_eq_u32_sdwa s[4:5], v1, v47 src0_sel:WORD_0 src1_sel:DWORD
	s_nop 1
	v_cndmask_b32_e64 v1, v2, v1, s[4:5]
	v_accvgpr_write_b32 a29, v1
; %bb.92:                               ;   in Loop: Header=BB361_13 Depth=1
	s_or_b64 exec, exec, s[26:27]
	v_lshrrev_b32_e32 v0, 24, v0
	v_cvt_f32_fp8_sdwa v0, v0 src0_sel:BYTE_0
                                        ; implicit-def: $agpr19
	s_nop 0
	v_mul_f32_e32 v0, v10, v0
	v_and_b32_e32 v1, 0x7f800000, v0
	v_cmp_ne_u32_e64 s[4:5], s29, v1
	s_and_saveexec_b64 s[26:27], s[4:5]
	s_xor_b64 s[4:5], exec, s[26:27]
; %bb.93:                               ;   in Loop: Header=BB361_13 Depth=1
	v_bfe_u32 v1, v0, 16, 1
	v_add3_u32 v0, v0, v1, s30
	v_accvgpr_write_b32 a19, v0
                                        ; implicit-def: $vgpr0
; %bb.94:                               ;   in Loop: Header=BB361_13 Depth=1
	s_andn2_saveexec_b64 s[26:27], s[4:5]
; %bb.95:                               ;   in Loop: Header=BB361_13 Depth=1
	v_or_b32_e32 v1, 0x10000, v0
	v_cmp_eq_u32_sdwa s[4:5], v0, v47 src0_sel:WORD_0 src1_sel:DWORD
	s_nop 1
	v_cndmask_b32_e64 v0, v1, v0, s[4:5]
	v_accvgpr_write_b32 a19, v0
; %bb.96:                               ;   in Loop: Header=BB361_13 Depth=1
	s_or_b64 exec, exec, s[26:27]
	flat_load_dword v0, v[60:61] offset:1032
                                        ; implicit-def: $agpr36
	s_waitcnt vmcnt(0) lgkmcnt(0)
	v_and_b32_e32 v1, 0xff, v0
	v_cvt_f32_fp8_sdwa v1, v1 src0_sel:BYTE_0
	s_nop 0
	v_mul_f32_e32 v1, v10, v1
	v_and_b32_e32 v2, 0x7f800000, v1
	v_cmp_ne_u32_e64 s[4:5], s29, v2
	s_and_saveexec_b64 s[26:27], s[4:5]
	s_xor_b64 s[4:5], exec, s[26:27]
; %bb.97:                               ;   in Loop: Header=BB361_13 Depth=1
	v_bfe_u32 v2, v1, 16, 1
	v_add3_u32 v1, v1, v2, s30
	v_accvgpr_write_b32 a36, v1
                                        ; implicit-def: $vgpr1
; %bb.98:                               ;   in Loop: Header=BB361_13 Depth=1
	s_andn2_saveexec_b64 s[26:27], s[4:5]
; %bb.99:                               ;   in Loop: Header=BB361_13 Depth=1
	v_or_b32_e32 v2, 0x10000, v1
	v_cmp_eq_u32_sdwa s[4:5], v1, v47 src0_sel:WORD_0 src1_sel:DWORD
	s_nop 1
	v_cndmask_b32_e64 v1, v2, v1, s[4:5]
	v_accvgpr_write_b32 a36, v1
; %bb.100:                              ;   in Loop: Header=BB361_13 Depth=1
	s_or_b64 exec, exec, s[26:27]
	v_bfe_u32 v1, v0, 8, 8
	v_cvt_f32_fp8_sdwa v1, v1 src0_sel:BYTE_0
                                        ; implicit-def: $agpr15
	s_nop 0
	v_mul_f32_e32 v1, v10, v1
	v_and_b32_e32 v2, 0x7f800000, v1
	v_cmp_ne_u32_e64 s[4:5], s29, v2
	s_and_saveexec_b64 s[26:27], s[4:5]
	s_xor_b64 s[4:5], exec, s[26:27]
; %bb.101:                              ;   in Loop: Header=BB361_13 Depth=1
	v_bfe_u32 v2, v1, 16, 1
	v_add3_u32 v1, v1, v2, s30
	v_accvgpr_write_b32 a15, v1
                                        ; implicit-def: $vgpr1
; %bb.102:                              ;   in Loop: Header=BB361_13 Depth=1
	s_andn2_saveexec_b64 s[26:27], s[4:5]
; %bb.103:                              ;   in Loop: Header=BB361_13 Depth=1
	v_or_b32_e32 v2, 0x10000, v1
	v_cmp_eq_u32_sdwa s[4:5], v1, v47 src0_sel:WORD_0 src1_sel:DWORD
	s_nop 1
	v_cndmask_b32_e64 v1, v2, v1, s[4:5]
	v_accvgpr_write_b32 a15, v1
; %bb.104:                              ;   in Loop: Header=BB361_13 Depth=1
	s_or_b64 exec, exec, s[26:27]
	v_bfe_u32 v1, v0, 16, 8
	v_cvt_f32_fp8_sdwa v1, v1 src0_sel:BYTE_0
                                        ; implicit-def: $agpr0
	s_nop 0
	v_mul_f32_e32 v1, v10, v1
	v_and_b32_e32 v2, 0x7f800000, v1
	v_cmp_ne_u32_e64 s[4:5], s29, v2
	s_and_saveexec_b64 s[26:27], s[4:5]
	s_xor_b64 s[4:5], exec, s[26:27]
; %bb.105:                              ;   in Loop: Header=BB361_13 Depth=1
	v_bfe_u32 v2, v1, 16, 1
	v_add3_u32 v1, v1, v2, s30
	v_accvgpr_write_b32 a0, v1
                                        ; implicit-def: $vgpr1
; %bb.106:                              ;   in Loop: Header=BB361_13 Depth=1
	s_andn2_saveexec_b64 s[26:27], s[4:5]
; %bb.107:                              ;   in Loop: Header=BB361_13 Depth=1
	v_or_b32_e32 v2, 0x10000, v1
	v_cmp_eq_u32_sdwa s[4:5], v1, v47 src0_sel:WORD_0 src1_sel:DWORD
	s_nop 1
	v_cndmask_b32_e64 v1, v2, v1, s[4:5]
	v_accvgpr_write_b32 a0, v1
; %bb.108:                              ;   in Loop: Header=BB361_13 Depth=1
	s_or_b64 exec, exec, s[26:27]
	v_lshrrev_b32_e32 v0, 24, v0
	v_cvt_f32_fp8_sdwa v0, v0 src0_sel:BYTE_0
                                        ; implicit-def: $agpr1
	s_nop 0
	v_mul_f32_e32 v0, v10, v0
	v_and_b32_e32 v1, 0x7f800000, v0
	v_cmp_ne_u32_e64 s[4:5], s29, v1
	s_and_saveexec_b64 s[26:27], s[4:5]
	s_xor_b64 s[4:5], exec, s[26:27]
; %bb.109:                              ;   in Loop: Header=BB361_13 Depth=1
	v_bfe_u32 v1, v0, 16, 1
	v_add3_u32 v0, v0, v1, s30
	v_accvgpr_write_b32 a1, v0
                                        ; implicit-def: $vgpr0
; %bb.110:                              ;   in Loop: Header=BB361_13 Depth=1
	s_andn2_saveexec_b64 s[26:27], s[4:5]
; %bb.111:                              ;   in Loop: Header=BB361_13 Depth=1
	v_or_b32_e32 v1, 0x10000, v0
	v_cmp_eq_u32_sdwa s[4:5], v0, v47 src0_sel:WORD_0 src1_sel:DWORD
	s_nop 1
	v_cndmask_b32_e64 v0, v1, v0, s[4:5]
	v_accvgpr_write_b32 a1, v0
; %bb.112:                              ;   in Loop: Header=BB361_13 Depth=1
	s_or_b64 exec, exec, s[26:27]
	flat_load_dword v0, v[60:61] offset:1536
                                        ; implicit-def: $agpr26
	s_waitcnt vmcnt(0) lgkmcnt(0)
	v_and_b32_e32 v1, 0xff, v0
	v_cvt_f32_fp8_sdwa v1, v1 src0_sel:BYTE_0
	s_nop 0
	v_mul_f32_e32 v1, v10, v1
	v_and_b32_e32 v2, 0x7f800000, v1
	v_cmp_ne_u32_e64 s[4:5], s29, v2
	s_and_saveexec_b64 s[26:27], s[4:5]
	s_xor_b64 s[4:5], exec, s[26:27]
; %bb.113:                              ;   in Loop: Header=BB361_13 Depth=1
	v_bfe_u32 v2, v1, 16, 1
	v_add3_u32 v1, v1, v2, s30
	v_accvgpr_write_b32 a26, v1
                                        ; implicit-def: $vgpr1
; %bb.114:                              ;   in Loop: Header=BB361_13 Depth=1
	s_andn2_saveexec_b64 s[26:27], s[4:5]
; %bb.115:                              ;   in Loop: Header=BB361_13 Depth=1
	v_or_b32_e32 v2, 0x10000, v1
	v_cmp_eq_u32_sdwa s[4:5], v1, v47 src0_sel:WORD_0 src1_sel:DWORD
	s_nop 1
	v_cndmask_b32_e64 v1, v2, v1, s[4:5]
	v_accvgpr_write_b32 a26, v1
; %bb.116:                              ;   in Loop: Header=BB361_13 Depth=1
	s_or_b64 exec, exec, s[26:27]
	v_bfe_u32 v1, v0, 8, 8
	v_cvt_f32_fp8_sdwa v1, v1 src0_sel:BYTE_0
                                        ; implicit-def: $agpr24
	s_nop 0
	v_mul_f32_e32 v1, v10, v1
	v_and_b32_e32 v2, 0x7f800000, v1
	v_cmp_ne_u32_e64 s[4:5], s29, v2
	s_and_saveexec_b64 s[26:27], s[4:5]
	s_xor_b64 s[4:5], exec, s[26:27]
; %bb.117:                              ;   in Loop: Header=BB361_13 Depth=1
	v_bfe_u32 v2, v1, 16, 1
	v_add3_u32 v1, v1, v2, s30
	v_accvgpr_write_b32 a24, v1
                                        ; implicit-def: $vgpr1
; %bb.118:                              ;   in Loop: Header=BB361_13 Depth=1
	s_andn2_saveexec_b64 s[26:27], s[4:5]
; %bb.119:                              ;   in Loop: Header=BB361_13 Depth=1
	v_or_b32_e32 v2, 0x10000, v1
	v_cmp_eq_u32_sdwa s[4:5], v1, v47 src0_sel:WORD_0 src1_sel:DWORD
	s_nop 1
	v_cndmask_b32_e64 v1, v2, v1, s[4:5]
	v_accvgpr_write_b32 a24, v1
; %bb.120:                              ;   in Loop: Header=BB361_13 Depth=1
	s_or_b64 exec, exec, s[26:27]
	v_bfe_u32 v1, v0, 16, 8
	v_cvt_f32_fp8_sdwa v1, v1 src0_sel:BYTE_0
                                        ; implicit-def: $agpr25
	s_nop 0
	v_mul_f32_e32 v1, v10, v1
	v_and_b32_e32 v2, 0x7f800000, v1
	v_cmp_ne_u32_e64 s[4:5], s29, v2
	s_and_saveexec_b64 s[26:27], s[4:5]
	s_xor_b64 s[4:5], exec, s[26:27]
; %bb.121:                              ;   in Loop: Header=BB361_13 Depth=1
	v_bfe_u32 v2, v1, 16, 1
	v_add3_u32 v1, v1, v2, s30
	v_accvgpr_write_b32 a25, v1
                                        ; implicit-def: $vgpr1
; %bb.122:                              ;   in Loop: Header=BB361_13 Depth=1
	s_andn2_saveexec_b64 s[26:27], s[4:5]
; %bb.123:                              ;   in Loop: Header=BB361_13 Depth=1
	v_or_b32_e32 v2, 0x10000, v1
	v_cmp_eq_u32_sdwa s[4:5], v1, v47 src0_sel:WORD_0 src1_sel:DWORD
	s_nop 1
	v_cndmask_b32_e64 v1, v2, v1, s[4:5]
	v_accvgpr_write_b32 a25, v1
; %bb.124:                              ;   in Loop: Header=BB361_13 Depth=1
	s_or_b64 exec, exec, s[26:27]
	v_lshrrev_b32_e32 v0, 24, v0
	v_cvt_f32_fp8_sdwa v0, v0 src0_sel:BYTE_0
                                        ; implicit-def: $agpr22
	s_nop 0
	v_mul_f32_e32 v0, v10, v0
	v_and_b32_e32 v1, 0x7f800000, v0
	v_cmp_ne_u32_e64 s[4:5], s29, v1
	s_and_saveexec_b64 s[26:27], s[4:5]
	s_xor_b64 s[4:5], exec, s[26:27]
; %bb.125:                              ;   in Loop: Header=BB361_13 Depth=1
	v_bfe_u32 v1, v0, 16, 1
	v_add3_u32 v0, v0, v1, s30
	v_accvgpr_write_b32 a22, v0
                                        ; implicit-def: $vgpr0
; %bb.126:                              ;   in Loop: Header=BB361_13 Depth=1
	s_andn2_saveexec_b64 s[26:27], s[4:5]
; %bb.127:                              ;   in Loop: Header=BB361_13 Depth=1
	v_or_b32_e32 v1, 0x10000, v0
	v_cmp_eq_u32_sdwa s[4:5], v0, v47 src0_sel:WORD_0 src1_sel:DWORD
	s_nop 1
	v_cndmask_b32_e64 v0, v1, v0, s[4:5]
	v_accvgpr_write_b32 a22, v0
; %bb.128:                              ;   in Loop: Header=BB361_13 Depth=1
	s_or_b64 exec, exec, s[26:27]
	flat_load_dword v0, v[60:61] offset:1544
                                        ; implicit-def: $agpr23
	s_waitcnt vmcnt(0) lgkmcnt(0)
	v_and_b32_e32 v1, 0xff, v0
	v_cvt_f32_fp8_sdwa v1, v1 src0_sel:BYTE_0
	s_nop 0
	v_mul_f32_e32 v1, v10, v1
	v_and_b32_e32 v2, 0x7f800000, v1
	v_cmp_ne_u32_e64 s[4:5], s29, v2
	s_and_saveexec_b64 s[26:27], s[4:5]
	s_xor_b64 s[4:5], exec, s[26:27]
; %bb.129:                              ;   in Loop: Header=BB361_13 Depth=1
	v_bfe_u32 v2, v1, 16, 1
	v_add3_u32 v1, v1, v2, s30
	v_accvgpr_write_b32 a23, v1
                                        ; implicit-def: $vgpr1
; %bb.130:                              ;   in Loop: Header=BB361_13 Depth=1
	s_andn2_saveexec_b64 s[26:27], s[4:5]
; %bb.131:                              ;   in Loop: Header=BB361_13 Depth=1
	v_or_b32_e32 v2, 0x10000, v1
	v_cmp_eq_u32_sdwa s[4:5], v1, v47 src0_sel:WORD_0 src1_sel:DWORD
	s_nop 1
	v_cndmask_b32_e64 v1, v2, v1, s[4:5]
	v_accvgpr_write_b32 a23, v1
; %bb.132:                              ;   in Loop: Header=BB361_13 Depth=1
	s_or_b64 exec, exec, s[26:27]
	v_bfe_u32 v1, v0, 8, 8
	v_cvt_f32_fp8_sdwa v1, v1 src0_sel:BYTE_0
                                        ; implicit-def: $agpr21
	s_nop 0
	v_mul_f32_e32 v1, v10, v1
	v_and_b32_e32 v2, 0x7f800000, v1
	v_cmp_ne_u32_e64 s[4:5], s29, v2
	s_and_saveexec_b64 s[26:27], s[4:5]
	s_xor_b64 s[4:5], exec, s[26:27]
; %bb.133:                              ;   in Loop: Header=BB361_13 Depth=1
	v_bfe_u32 v2, v1, 16, 1
	v_add3_u32 v1, v1, v2, s30
	v_accvgpr_write_b32 a21, v1
                                        ; implicit-def: $vgpr1
; %bb.134:                              ;   in Loop: Header=BB361_13 Depth=1
	s_andn2_saveexec_b64 s[26:27], s[4:5]
; %bb.135:                              ;   in Loop: Header=BB361_13 Depth=1
	v_or_b32_e32 v2, 0x10000, v1
	v_cmp_eq_u32_sdwa s[4:5], v1, v47 src0_sel:WORD_0 src1_sel:DWORD
	s_nop 1
	v_cndmask_b32_e64 v1, v2, v1, s[4:5]
	v_accvgpr_write_b32 a21, v1
; %bb.136:                              ;   in Loop: Header=BB361_13 Depth=1
	s_or_b64 exec, exec, s[26:27]
	v_bfe_u32 v1, v0, 16, 8
	v_cvt_f32_fp8_sdwa v1, v1 src0_sel:BYTE_0
                                        ; implicit-def: $agpr20
	s_nop 0
	v_mul_f32_e32 v1, v10, v1
	v_and_b32_e32 v2, 0x7f800000, v1
	v_cmp_ne_u32_e64 s[4:5], s29, v2
	s_and_saveexec_b64 s[26:27], s[4:5]
	s_xor_b64 s[4:5], exec, s[26:27]
; %bb.137:                              ;   in Loop: Header=BB361_13 Depth=1
	v_bfe_u32 v2, v1, 16, 1
	v_add3_u32 v1, v1, v2, s30
	v_accvgpr_write_b32 a20, v1
                                        ; implicit-def: $vgpr1
; %bb.138:                              ;   in Loop: Header=BB361_13 Depth=1
	s_andn2_saveexec_b64 s[26:27], s[4:5]
; %bb.139:                              ;   in Loop: Header=BB361_13 Depth=1
	v_or_b32_e32 v2, 0x10000, v1
	v_cmp_eq_u32_sdwa s[4:5], v1, v47 src0_sel:WORD_0 src1_sel:DWORD
	s_nop 1
	v_cndmask_b32_e64 v1, v2, v1, s[4:5]
	v_accvgpr_write_b32 a20, v1
; %bb.140:                              ;   in Loop: Header=BB361_13 Depth=1
	s_or_b64 exec, exec, s[26:27]
	v_lshrrev_b32_e32 v0, 24, v0
	v_cvt_f32_fp8_sdwa v0, v0 src0_sel:BYTE_0
                                        ; implicit-def: $agpr18
	s_nop 0
	v_mul_f32_e32 v0, v10, v0
	v_and_b32_e32 v1, 0x7f800000, v0
	v_cmp_ne_u32_e64 s[4:5], s29, v1
	s_and_saveexec_b64 s[26:27], s[4:5]
	s_xor_b64 s[4:5], exec, s[26:27]
; %bb.141:                              ;   in Loop: Header=BB361_13 Depth=1
	v_bfe_u32 v1, v0, 16, 1
	v_add3_u32 v0, v0, v1, s30
	v_accvgpr_write_b32 a18, v0
                                        ; implicit-def: $vgpr0
; %bb.142:                              ;   in Loop: Header=BB361_13 Depth=1
	s_andn2_saveexec_b64 s[26:27], s[4:5]
; %bb.143:                              ;   in Loop: Header=BB361_13 Depth=1
	v_or_b32_e32 v1, 0x10000, v0
	v_cmp_eq_u32_sdwa s[4:5], v0, v47 src0_sel:WORD_0 src1_sel:DWORD
	s_nop 1
	v_cndmask_b32_e64 v0, v1, v0, s[4:5]
	v_accvgpr_write_b32 a18, v0
; %bb.144:                              ;   in Loop: Header=BB361_13 Depth=1
	s_or_b64 exec, exec, s[26:27]
	flat_load_dword v0, v[60:61] offset:2048
                                        ; implicit-def: $agpr16
	s_waitcnt vmcnt(0) lgkmcnt(0)
	v_and_b32_e32 v1, 0xff, v0
	v_cvt_f32_fp8_sdwa v1, v1 src0_sel:BYTE_0
	s_nop 0
	v_mul_f32_e32 v1, v10, v1
	v_and_b32_e32 v2, 0x7f800000, v1
	v_cmp_ne_u32_e64 s[4:5], s29, v2
	s_and_saveexec_b64 s[26:27], s[4:5]
	s_xor_b64 s[4:5], exec, s[26:27]
; %bb.145:                              ;   in Loop: Header=BB361_13 Depth=1
	v_bfe_u32 v2, v1, 16, 1
	v_add3_u32 v1, v1, v2, s30
	v_accvgpr_write_b32 a16, v1
                                        ; implicit-def: $vgpr1
; %bb.146:                              ;   in Loop: Header=BB361_13 Depth=1
	s_andn2_saveexec_b64 s[26:27], s[4:5]
; %bb.147:                              ;   in Loop: Header=BB361_13 Depth=1
	v_or_b32_e32 v2, 0x10000, v1
	v_cmp_eq_u32_sdwa s[4:5], v1, v47 src0_sel:WORD_0 src1_sel:DWORD
	s_nop 1
	v_cndmask_b32_e64 v1, v2, v1, s[4:5]
	v_accvgpr_write_b32 a16, v1
; %bb.148:                              ;   in Loop: Header=BB361_13 Depth=1
	s_or_b64 exec, exec, s[26:27]
	v_bfe_u32 v1, v0, 8, 8
	v_cvt_f32_fp8_sdwa v1, v1 src0_sel:BYTE_0
                                        ; implicit-def: $agpr17
	s_nop 0
	v_mul_f32_e32 v1, v10, v1
	v_and_b32_e32 v2, 0x7f800000, v1
	v_cmp_ne_u32_e64 s[4:5], s29, v2
	s_and_saveexec_b64 s[26:27], s[4:5]
	s_xor_b64 s[4:5], exec, s[26:27]
; %bb.149:                              ;   in Loop: Header=BB361_13 Depth=1
	v_bfe_u32 v2, v1, 16, 1
	v_add3_u32 v1, v1, v2, s30
	v_accvgpr_write_b32 a17, v1
                                        ; implicit-def: $vgpr1
; %bb.150:                              ;   in Loop: Header=BB361_13 Depth=1
	s_andn2_saveexec_b64 s[26:27], s[4:5]
; %bb.151:                              ;   in Loop: Header=BB361_13 Depth=1
	v_or_b32_e32 v2, 0x10000, v1
	v_cmp_eq_u32_sdwa s[4:5], v1, v47 src0_sel:WORD_0 src1_sel:DWORD
	s_nop 1
	v_cndmask_b32_e64 v1, v2, v1, s[4:5]
	v_accvgpr_write_b32 a17, v1
; %bb.152:                              ;   in Loop: Header=BB361_13 Depth=1
	s_or_b64 exec, exec, s[26:27]
	v_bfe_u32 v1, v0, 16, 8
	v_cvt_f32_fp8_sdwa v1, v1 src0_sel:BYTE_0
                                        ; implicit-def: $agpr2
	s_nop 0
	v_mul_f32_e32 v1, v10, v1
	v_and_b32_e32 v2, 0x7f800000, v1
	v_cmp_ne_u32_e64 s[4:5], s29, v2
	s_and_saveexec_b64 s[26:27], s[4:5]
	s_xor_b64 s[4:5], exec, s[26:27]
; %bb.153:                              ;   in Loop: Header=BB361_13 Depth=1
	v_bfe_u32 v2, v1, 16, 1
	v_add3_u32 v1, v1, v2, s30
	v_accvgpr_write_b32 a2, v1
                                        ; implicit-def: $vgpr1
; %bb.154:                              ;   in Loop: Header=BB361_13 Depth=1
	s_andn2_saveexec_b64 s[26:27], s[4:5]
; %bb.155:                              ;   in Loop: Header=BB361_13 Depth=1
	v_or_b32_e32 v2, 0x10000, v1
	v_cmp_eq_u32_sdwa s[4:5], v1, v47 src0_sel:WORD_0 src1_sel:DWORD
	s_nop 1
	v_cndmask_b32_e64 v1, v2, v1, s[4:5]
	v_accvgpr_write_b32 a2, v1
; %bb.156:                              ;   in Loop: Header=BB361_13 Depth=1
	s_or_b64 exec, exec, s[26:27]
	v_lshrrev_b32_e32 v0, 24, v0
	v_cvt_f32_fp8_sdwa v0, v0 src0_sel:BYTE_0
                                        ; implicit-def: $agpr37
	s_nop 0
	v_mul_f32_e32 v0, v10, v0
	v_and_b32_e32 v1, 0x7f800000, v0
	v_cmp_ne_u32_e64 s[4:5], s29, v1
	s_and_saveexec_b64 s[26:27], s[4:5]
	s_xor_b64 s[4:5], exec, s[26:27]
; %bb.157:                              ;   in Loop: Header=BB361_13 Depth=1
	v_bfe_u32 v1, v0, 16, 1
	v_add3_u32 v0, v0, v1, s30
	v_accvgpr_write_b32 a37, v0
                                        ; implicit-def: $vgpr0
; %bb.158:                              ;   in Loop: Header=BB361_13 Depth=1
	s_andn2_saveexec_b64 s[26:27], s[4:5]
; %bb.159:                              ;   in Loop: Header=BB361_13 Depth=1
	v_or_b32_e32 v1, 0x10000, v0
	v_cmp_eq_u32_sdwa s[4:5], v0, v47 src0_sel:WORD_0 src1_sel:DWORD
	s_nop 1
	v_cndmask_b32_e64 v0, v1, v0, s[4:5]
	v_accvgpr_write_b32 a37, v0
; %bb.160:                              ;   in Loop: Header=BB361_13 Depth=1
	s_or_b64 exec, exec, s[26:27]
	flat_load_dword v0, v[60:61] offset:2056
                                        ; implicit-def: $agpr43
	s_waitcnt vmcnt(0) lgkmcnt(0)
	v_and_b32_e32 v1, 0xff, v0
	v_cvt_f32_fp8_sdwa v1, v1 src0_sel:BYTE_0
	s_nop 0
	v_mul_f32_e32 v1, v10, v1
	v_and_b32_e32 v2, 0x7f800000, v1
	v_cmp_ne_u32_e64 s[4:5], s29, v2
	s_and_saveexec_b64 s[26:27], s[4:5]
	s_xor_b64 s[4:5], exec, s[26:27]
; %bb.161:                              ;   in Loop: Header=BB361_13 Depth=1
	v_bfe_u32 v2, v1, 16, 1
	v_add3_u32 v1, v1, v2, s30
	v_accvgpr_write_b32 a43, v1
                                        ; implicit-def: $vgpr1
; %bb.162:                              ;   in Loop: Header=BB361_13 Depth=1
	s_andn2_saveexec_b64 s[26:27], s[4:5]
; %bb.163:                              ;   in Loop: Header=BB361_13 Depth=1
	v_or_b32_e32 v2, 0x10000, v1
	v_cmp_eq_u32_sdwa s[4:5], v1, v47 src0_sel:WORD_0 src1_sel:DWORD
	s_nop 1
	v_cndmask_b32_e64 v1, v2, v1, s[4:5]
	v_accvgpr_write_b32 a43, v1
; %bb.164:                              ;   in Loop: Header=BB361_13 Depth=1
	s_or_b64 exec, exec, s[26:27]
	v_bfe_u32 v1, v0, 8, 8
	v_cvt_f32_fp8_sdwa v1, v1 src0_sel:BYTE_0
                                        ; implicit-def: $agpr4
	s_nop 0
	v_mul_f32_e32 v1, v10, v1
	v_and_b32_e32 v2, 0x7f800000, v1
	v_cmp_ne_u32_e64 s[4:5], s29, v2
	s_and_saveexec_b64 s[26:27], s[4:5]
	s_xor_b64 s[4:5], exec, s[26:27]
; %bb.165:                              ;   in Loop: Header=BB361_13 Depth=1
	v_bfe_u32 v2, v1, 16, 1
	v_add3_u32 v1, v1, v2, s30
	v_accvgpr_write_b32 a4, v1
                                        ; implicit-def: $vgpr1
; %bb.166:                              ;   in Loop: Header=BB361_13 Depth=1
	s_andn2_saveexec_b64 s[26:27], s[4:5]
; %bb.167:                              ;   in Loop: Header=BB361_13 Depth=1
	v_or_b32_e32 v2, 0x10000, v1
	v_cmp_eq_u32_sdwa s[4:5], v1, v47 src0_sel:WORD_0 src1_sel:DWORD
	s_nop 1
	v_cndmask_b32_e64 v1, v2, v1, s[4:5]
	v_accvgpr_write_b32 a4, v1
; %bb.168:                              ;   in Loop: Header=BB361_13 Depth=1
	s_or_b64 exec, exec, s[26:27]
	v_bfe_u32 v1, v0, 16, 8
	v_cvt_f32_fp8_sdwa v1, v1 src0_sel:BYTE_0
                                        ; implicit-def: $agpr5
	s_nop 0
	v_mul_f32_e32 v1, v10, v1
	v_and_b32_e32 v2, 0x7f800000, v1
	v_cmp_ne_u32_e64 s[4:5], s29, v2
	s_and_saveexec_b64 s[26:27], s[4:5]
	s_xor_b64 s[4:5], exec, s[26:27]
; %bb.169:                              ;   in Loop: Header=BB361_13 Depth=1
	v_bfe_u32 v2, v1, 16, 1
	v_add3_u32 v1, v1, v2, s30
	v_accvgpr_write_b32 a5, v1
                                        ; implicit-def: $vgpr1
; %bb.170:                              ;   in Loop: Header=BB361_13 Depth=1
	s_andn2_saveexec_b64 s[26:27], s[4:5]
; %bb.171:                              ;   in Loop: Header=BB361_13 Depth=1
	v_or_b32_e32 v2, 0x10000, v1
	v_cmp_eq_u32_sdwa s[4:5], v1, v47 src0_sel:WORD_0 src1_sel:DWORD
	s_nop 1
	v_cndmask_b32_e64 v1, v2, v1, s[4:5]
	v_accvgpr_write_b32 a5, v1
; %bb.172:                              ;   in Loop: Header=BB361_13 Depth=1
	s_or_b64 exec, exec, s[26:27]
	v_lshrrev_b32_e32 v0, 24, v0
	v_cvt_f32_fp8_sdwa v0, v0 src0_sel:BYTE_0
                                        ; implicit-def: $agpr44
	s_nop 0
	v_mul_f32_e32 v0, v10, v0
	v_and_b32_e32 v1, 0x7f800000, v0
	v_cmp_ne_u32_e64 s[4:5], s29, v1
	s_and_saveexec_b64 s[26:27], s[4:5]
	s_xor_b64 s[4:5], exec, s[26:27]
; %bb.173:                              ;   in Loop: Header=BB361_13 Depth=1
	v_bfe_u32 v1, v0, 16, 1
	v_add3_u32 v0, v0, v1, s30
	v_accvgpr_write_b32 a44, v0
                                        ; implicit-def: $vgpr0
; %bb.174:                              ;   in Loop: Header=BB361_13 Depth=1
	s_andn2_saveexec_b64 s[26:27], s[4:5]
; %bb.175:                              ;   in Loop: Header=BB361_13 Depth=1
	v_or_b32_e32 v1, 0x10000, v0
	v_cmp_eq_u32_sdwa s[4:5], v0, v47 src0_sel:WORD_0 src1_sel:DWORD
	s_nop 1
	v_cndmask_b32_e64 v0, v1, v0, s[4:5]
	v_accvgpr_write_b32 a44, v0
; %bb.176:                              ;   in Loop: Header=BB361_13 Depth=1
	s_or_b64 exec, exec, s[26:27]
	flat_load_dword v0, v[60:61] offset:2560
                                        ; implicit-def: $agpr8
	s_waitcnt vmcnt(0) lgkmcnt(0)
	v_and_b32_e32 v1, 0xff, v0
	v_cvt_f32_fp8_sdwa v1, v1 src0_sel:BYTE_0
	s_nop 0
	v_mul_f32_e32 v1, v10, v1
	v_and_b32_e32 v2, 0x7f800000, v1
	v_cmp_ne_u32_e64 s[4:5], s29, v2
	s_and_saveexec_b64 s[26:27], s[4:5]
	s_xor_b64 s[4:5], exec, s[26:27]
; %bb.177:                              ;   in Loop: Header=BB361_13 Depth=1
	v_bfe_u32 v2, v1, 16, 1
	v_add3_u32 v1, v1, v2, s30
	v_accvgpr_write_b32 a8, v1
                                        ; implicit-def: $vgpr1
; %bb.178:                              ;   in Loop: Header=BB361_13 Depth=1
	s_andn2_saveexec_b64 s[26:27], s[4:5]
; %bb.179:                              ;   in Loop: Header=BB361_13 Depth=1
	v_or_b32_e32 v2, 0x10000, v1
	v_cmp_eq_u32_sdwa s[4:5], v1, v47 src0_sel:WORD_0 src1_sel:DWORD
	s_nop 1
	v_cndmask_b32_e64 v1, v2, v1, s[4:5]
	v_accvgpr_write_b32 a8, v1
; %bb.180:                              ;   in Loop: Header=BB361_13 Depth=1
	s_or_b64 exec, exec, s[26:27]
	v_bfe_u32 v1, v0, 8, 8
	v_cvt_f32_fp8_sdwa v1, v1 src0_sel:BYTE_0
                                        ; implicit-def: $agpr14
	s_nop 0
	v_mul_f32_e32 v1, v10, v1
	v_and_b32_e32 v2, 0x7f800000, v1
	v_cmp_ne_u32_e64 s[4:5], s29, v2
	s_and_saveexec_b64 s[26:27], s[4:5]
	s_xor_b64 s[4:5], exec, s[26:27]
; %bb.181:                              ;   in Loop: Header=BB361_13 Depth=1
	v_bfe_u32 v2, v1, 16, 1
	v_add3_u32 v1, v1, v2, s30
	v_accvgpr_write_b32 a14, v1
                                        ; implicit-def: $vgpr1
; %bb.182:                              ;   in Loop: Header=BB361_13 Depth=1
	s_andn2_saveexec_b64 s[26:27], s[4:5]
; %bb.183:                              ;   in Loop: Header=BB361_13 Depth=1
	v_or_b32_e32 v2, 0x10000, v1
	v_cmp_eq_u32_sdwa s[4:5], v1, v47 src0_sel:WORD_0 src1_sel:DWORD
	s_nop 1
	v_cndmask_b32_e64 v1, v2, v1, s[4:5]
	v_accvgpr_write_b32 a14, v1
; %bb.184:                              ;   in Loop: Header=BB361_13 Depth=1
	s_or_b64 exec, exec, s[26:27]
	v_bfe_u32 v1, v0, 16, 8
	v_cvt_f32_fp8_sdwa v1, v1 src0_sel:BYTE_0
                                        ; implicit-def: $agpr33
	s_nop 0
	v_mul_f32_e32 v1, v10, v1
	v_and_b32_e32 v2, 0x7f800000, v1
	v_cmp_ne_u32_e64 s[4:5], s29, v2
	s_and_saveexec_b64 s[26:27], s[4:5]
	s_xor_b64 s[4:5], exec, s[26:27]
; %bb.185:                              ;   in Loop: Header=BB361_13 Depth=1
	v_bfe_u32 v2, v1, 16, 1
	v_add3_u32 v1, v1, v2, s30
	v_accvgpr_write_b32 a33, v1
                                        ; implicit-def: $vgpr1
; %bb.186:                              ;   in Loop: Header=BB361_13 Depth=1
	s_andn2_saveexec_b64 s[26:27], s[4:5]
; %bb.187:                              ;   in Loop: Header=BB361_13 Depth=1
	v_or_b32_e32 v2, 0x10000, v1
	v_cmp_eq_u32_sdwa s[4:5], v1, v47 src0_sel:WORD_0 src1_sel:DWORD
	s_nop 1
	v_cndmask_b32_e64 v1, v2, v1, s[4:5]
	v_accvgpr_write_b32 a33, v1
; %bb.188:                              ;   in Loop: Header=BB361_13 Depth=1
	s_or_b64 exec, exec, s[26:27]
	v_lshrrev_b32_e32 v0, 24, v0
	v_cvt_f32_fp8_sdwa v0, v0 src0_sel:BYTE_0
                                        ; implicit-def: $agpr7
	s_nop 0
	v_mul_f32_e32 v0, v10, v0
	v_and_b32_e32 v1, 0x7f800000, v0
	v_cmp_ne_u32_e64 s[4:5], s29, v1
	s_and_saveexec_b64 s[26:27], s[4:5]
	s_xor_b64 s[4:5], exec, s[26:27]
; %bb.189:                              ;   in Loop: Header=BB361_13 Depth=1
	v_bfe_u32 v1, v0, 16, 1
	v_add3_u32 v0, v0, v1, s30
	v_accvgpr_write_b32 a7, v0
                                        ; implicit-def: $vgpr0
; %bb.190:                              ;   in Loop: Header=BB361_13 Depth=1
	s_andn2_saveexec_b64 s[26:27], s[4:5]
; %bb.191:                              ;   in Loop: Header=BB361_13 Depth=1
	v_or_b32_e32 v1, 0x10000, v0
	v_cmp_eq_u32_sdwa s[4:5], v0, v47 src0_sel:WORD_0 src1_sel:DWORD
	s_nop 1
	v_cndmask_b32_e64 v0, v1, v0, s[4:5]
	v_accvgpr_write_b32 a7, v0
; %bb.192:                              ;   in Loop: Header=BB361_13 Depth=1
	s_or_b64 exec, exec, s[26:27]
	flat_load_dword v0, v[60:61] offset:2568
                                        ; implicit-def: $agpr9
	s_waitcnt vmcnt(0) lgkmcnt(0)
	v_and_b32_e32 v1, 0xff, v0
	v_cvt_f32_fp8_sdwa v1, v1 src0_sel:BYTE_0
	s_nop 0
	v_mul_f32_e32 v1, v10, v1
	v_and_b32_e32 v2, 0x7f800000, v1
	v_cmp_ne_u32_e64 s[4:5], s29, v2
	s_and_saveexec_b64 s[26:27], s[4:5]
	s_xor_b64 s[4:5], exec, s[26:27]
; %bb.193:                              ;   in Loop: Header=BB361_13 Depth=1
	v_bfe_u32 v2, v1, 16, 1
	v_add3_u32 v1, v1, v2, s30
	v_accvgpr_write_b32 a9, v1
                                        ; implicit-def: $vgpr1
; %bb.194:                              ;   in Loop: Header=BB361_13 Depth=1
	s_andn2_saveexec_b64 s[26:27], s[4:5]
; %bb.195:                              ;   in Loop: Header=BB361_13 Depth=1
	v_or_b32_e32 v2, 0x10000, v1
	v_cmp_eq_u32_sdwa s[4:5], v1, v47 src0_sel:WORD_0 src1_sel:DWORD
	s_nop 1
	v_cndmask_b32_e64 v1, v2, v1, s[4:5]
	v_accvgpr_write_b32 a9, v1
; %bb.196:                              ;   in Loop: Header=BB361_13 Depth=1
	s_or_b64 exec, exec, s[26:27]
	v_bfe_u32 v1, v0, 8, 8
	v_cvt_f32_fp8_sdwa v1, v1 src0_sel:BYTE_0
                                        ; implicit-def: $agpr11
	s_nop 0
	v_mul_f32_e32 v1, v10, v1
	v_and_b32_e32 v2, 0x7f800000, v1
	v_cmp_ne_u32_e64 s[4:5], s29, v2
	s_and_saveexec_b64 s[26:27], s[4:5]
	s_xor_b64 s[4:5], exec, s[26:27]
; %bb.197:                              ;   in Loop: Header=BB361_13 Depth=1
	v_bfe_u32 v2, v1, 16, 1
	v_add3_u32 v1, v1, v2, s30
	v_accvgpr_write_b32 a11, v1
                                        ; implicit-def: $vgpr1
; %bb.198:                              ;   in Loop: Header=BB361_13 Depth=1
	s_andn2_saveexec_b64 s[26:27], s[4:5]
; %bb.199:                              ;   in Loop: Header=BB361_13 Depth=1
	v_or_b32_e32 v2, 0x10000, v1
	v_cmp_eq_u32_sdwa s[4:5], v1, v47 src0_sel:WORD_0 src1_sel:DWORD
	s_nop 1
	v_cndmask_b32_e64 v1, v2, v1, s[4:5]
	v_accvgpr_write_b32 a11, v1
; %bb.200:                              ;   in Loop: Header=BB361_13 Depth=1
	s_or_b64 exec, exec, s[26:27]
	v_bfe_u32 v1, v0, 16, 8
	v_cvt_f32_fp8_sdwa v1, v1 src0_sel:BYTE_0
                                        ; implicit-def: $agpr6
	s_nop 0
	v_mul_f32_e32 v1, v10, v1
	v_and_b32_e32 v2, 0x7f800000, v1
	v_cmp_ne_u32_e64 s[4:5], s29, v2
	s_and_saveexec_b64 s[26:27], s[4:5]
	s_xor_b64 s[4:5], exec, s[26:27]
; %bb.201:                              ;   in Loop: Header=BB361_13 Depth=1
	v_bfe_u32 v2, v1, 16, 1
	v_add3_u32 v1, v1, v2, s30
	v_accvgpr_write_b32 a6, v1
                                        ; implicit-def: $vgpr1
; %bb.202:                              ;   in Loop: Header=BB361_13 Depth=1
	s_andn2_saveexec_b64 s[26:27], s[4:5]
; %bb.203:                              ;   in Loop: Header=BB361_13 Depth=1
	v_or_b32_e32 v2, 0x10000, v1
	v_cmp_eq_u32_sdwa s[4:5], v1, v47 src0_sel:WORD_0 src1_sel:DWORD
	s_nop 1
	v_cndmask_b32_e64 v1, v2, v1, s[4:5]
	v_accvgpr_write_b32 a6, v1
; %bb.204:                              ;   in Loop: Header=BB361_13 Depth=1
	s_or_b64 exec, exec, s[26:27]
	v_lshrrev_b32_e32 v0, 24, v0
	v_cvt_f32_fp8_sdwa v0, v0 src0_sel:BYTE_0
                                        ; implicit-def: $agpr40
	s_nop 0
	v_mul_f32_e32 v0, v10, v0
	v_and_b32_e32 v1, 0x7f800000, v0
	v_cmp_ne_u32_e64 s[4:5], s29, v1
	s_and_saveexec_b64 s[26:27], s[4:5]
	s_xor_b64 s[4:5], exec, s[26:27]
; %bb.205:                              ;   in Loop: Header=BB361_13 Depth=1
	v_bfe_u32 v1, v0, 16, 1
	v_add3_u32 v0, v0, v1, s30
	v_accvgpr_write_b32 a40, v0
                                        ; implicit-def: $vgpr0
; %bb.206:                              ;   in Loop: Header=BB361_13 Depth=1
	s_andn2_saveexec_b64 s[26:27], s[4:5]
; %bb.207:                              ;   in Loop: Header=BB361_13 Depth=1
	v_or_b32_e32 v1, 0x10000, v0
	v_cmp_eq_u32_sdwa s[4:5], v0, v47 src0_sel:WORD_0 src1_sel:DWORD
	s_nop 1
	v_cndmask_b32_e64 v0, v1, v0, s[4:5]
	v_accvgpr_write_b32 a40, v0
; %bb.208:                              ;   in Loop: Header=BB361_13 Depth=1
	s_or_b64 exec, exec, s[26:27]
	flat_load_dword v2, v[60:61] offset:3072
                                        ; implicit-def: $agpr38
	s_waitcnt vmcnt(0) lgkmcnt(0)
	v_and_b32_e32 v0, 0xff, v2
	v_cvt_f32_fp8_sdwa v0, v0 src0_sel:BYTE_0
	s_nop 0
	v_mul_f32_e32 v0, v10, v0
	v_and_b32_e32 v1, 0x7f800000, v0
	v_cmp_ne_u32_e64 s[4:5], s29, v1
	s_and_saveexec_b64 s[26:27], s[4:5]
	s_xor_b64 s[4:5], exec, s[26:27]
; %bb.209:                              ;   in Loop: Header=BB361_13 Depth=1
	v_bfe_u32 v1, v0, 16, 1
	v_add3_u32 v0, v0, v1, s30
	v_accvgpr_write_b32 a38, v0
                                        ; implicit-def: $vgpr0
; %bb.210:                              ;   in Loop: Header=BB361_13 Depth=1
	s_andn2_saveexec_b64 s[26:27], s[4:5]
; %bb.211:                              ;   in Loop: Header=BB361_13 Depth=1
	v_or_b32_e32 v1, 0x10000, v0
	v_cmp_eq_u32_sdwa s[4:5], v0, v47 src0_sel:WORD_0 src1_sel:DWORD
	s_nop 1
	v_cndmask_b32_e64 v0, v1, v0, s[4:5]
	v_accvgpr_write_b32 a38, v0
; %bb.212:                              ;   in Loop: Header=BB361_13 Depth=1
	s_or_b64 exec, exec, s[26:27]
	v_bfe_u32 v0, v2, 8, 8
	v_cvt_f32_fp8_sdwa v0, v0 src0_sel:BYTE_0
                                        ; implicit-def: $agpr39
	s_nop 0
	v_mul_f32_e32 v0, v10, v0
	v_and_b32_e32 v1, 0x7f800000, v0
	v_cmp_ne_u32_e64 s[4:5], s29, v1
	s_and_saveexec_b64 s[26:27], s[4:5]
	s_xor_b64 s[4:5], exec, s[26:27]
; %bb.213:                              ;   in Loop: Header=BB361_13 Depth=1
	v_bfe_u32 v1, v0, 16, 1
	v_add3_u32 v0, v0, v1, s30
	v_accvgpr_write_b32 a39, v0
                                        ; implicit-def: $vgpr0
; %bb.214:                              ;   in Loop: Header=BB361_13 Depth=1
	s_andn2_saveexec_b64 s[26:27], s[4:5]
; %bb.215:                              ;   in Loop: Header=BB361_13 Depth=1
	v_or_b32_e32 v1, 0x10000, v0
	v_cmp_eq_u32_sdwa s[4:5], v0, v47 src0_sel:WORD_0 src1_sel:DWORD
	s_nop 1
	v_cndmask_b32_e64 v0, v1, v0, s[4:5]
	v_accvgpr_write_b32 a39, v0
; %bb.216:                              ;   in Loop: Header=BB361_13 Depth=1
	s_or_b64 exec, exec, s[26:27]
	v_bfe_u32 v0, v2, 16, 8
	v_cvt_f32_fp8_sdwa v0, v0 src0_sel:BYTE_0
                                        ; implicit-def: $agpr34
	s_nop 0
	v_mul_f32_e32 v3, v10, v0
	v_and_b32_e32 v0, 0x7f800000, v3
	v_cmp_ne_u32_e64 s[4:5], s29, v0
	s_and_saveexec_b64 s[26:27], s[4:5]
	s_xor_b64 s[4:5], exec, s[26:27]
; %bb.217:                              ;   in Loop: Header=BB361_13 Depth=1
	v_bfe_u32 v0, v3, 16, 1
	v_add3_u32 v0, v3, v0, s30
	v_accvgpr_write_b32 a34, v0
                                        ; implicit-def: $vgpr3
; %bb.218:                              ;   in Loop: Header=BB361_13 Depth=1
	s_andn2_saveexec_b64 s[26:27], s[4:5]
; %bb.219:                              ;   in Loop: Header=BB361_13 Depth=1
	v_or_b32_e32 v0, 0x10000, v3
	v_cmp_eq_u32_sdwa s[4:5], v3, v47 src0_sel:WORD_0 src1_sel:DWORD
	s_nop 1
	v_cndmask_b32_e64 v0, v0, v3, s[4:5]
	v_accvgpr_write_b32 a34, v0
; %bb.220:                              ;   in Loop: Header=BB361_13 Depth=1
	s_or_b64 exec, exec, s[26:27]
	v_lshrrev_b32_e32 v2, 24, v2
	v_cvt_f32_fp8_sdwa v2, v2 src0_sel:BYTE_0
                                        ; implicit-def: $agpr35
	s_nop 0
	v_mul_f32_e32 v2, v10, v2
	v_and_b32_e32 v3, 0x7f800000, v2
	v_cmp_ne_u32_e64 s[4:5], s29, v3
	s_and_saveexec_b64 s[26:27], s[4:5]
	s_xor_b64 s[4:5], exec, s[26:27]
; %bb.221:                              ;   in Loop: Header=BB361_13 Depth=1
	v_bfe_u32 v3, v2, 16, 1
	v_add3_u32 v0, v2, v3, s30
	v_accvgpr_write_b32 a35, v0
                                        ; implicit-def: $vgpr2
; %bb.222:                              ;   in Loop: Header=BB361_13 Depth=1
	s_andn2_saveexec_b64 s[26:27], s[4:5]
; %bb.223:                              ;   in Loop: Header=BB361_13 Depth=1
	v_or_b32_e32 v3, 0x10000, v2
	v_cmp_eq_u32_sdwa s[4:5], v2, v47 src0_sel:WORD_0 src1_sel:DWORD
	s_nop 1
	v_cndmask_b32_e64 v0, v3, v2, s[4:5]
	v_accvgpr_write_b32 a35, v0
; %bb.224:                              ;   in Loop: Header=BB361_13 Depth=1
	s_or_b64 exec, exec, s[26:27]
	flat_load_dword v12, v[60:61] offset:3080
                                        ; implicit-def: $agpr10
	s_waitcnt vmcnt(0) lgkmcnt(0)
	v_and_b32_e32 v2, 0xff, v12
	v_cvt_f32_fp8_sdwa v2, v2 src0_sel:BYTE_0
	s_nop 0
	v_mul_f32_e32 v2, v10, v2
	v_and_b32_e32 v13, 0x7f800000, v2
	v_cmp_ne_u32_e64 s[4:5], s29, v13
	s_and_saveexec_b64 s[26:27], s[4:5]
	s_xor_b64 s[4:5], exec, s[26:27]
; %bb.225:                              ;   in Loop: Header=BB361_13 Depth=1
	v_bfe_u32 v13, v2, 16, 1
	v_add3_u32 v0, v2, v13, s30
	v_accvgpr_write_b32 a10, v0
                                        ; implicit-def: $vgpr2
; %bb.226:                              ;   in Loop: Header=BB361_13 Depth=1
	s_andn2_saveexec_b64 s[26:27], s[4:5]
; %bb.227:                              ;   in Loop: Header=BB361_13 Depth=1
	v_or_b32_e32 v13, 0x10000, v2
	v_cmp_eq_u32_sdwa s[4:5], v2, v47 src0_sel:WORD_0 src1_sel:DWORD
	s_nop 1
	v_cndmask_b32_e64 v0, v13, v2, s[4:5]
	v_accvgpr_write_b32 a10, v0
; %bb.228:                              ;   in Loop: Header=BB361_13 Depth=1
	s_or_b64 exec, exec, s[26:27]
	v_bfe_u32 v2, v12, 8, 8
	v_cvt_f32_fp8_sdwa v2, v2 src0_sel:BYTE_0
                                        ; implicit-def: $agpr3
	s_nop 0
	v_mul_f32_e32 v2, v10, v2
	v_and_b32_e32 v13, 0x7f800000, v2
	v_cmp_ne_u32_e64 s[4:5], s29, v13
	s_and_saveexec_b64 s[26:27], s[4:5]
	s_xor_b64 s[4:5], exec, s[26:27]
; %bb.229:                              ;   in Loop: Header=BB361_13 Depth=1
	v_bfe_u32 v13, v2, 16, 1
	v_add3_u32 v0, v2, v13, s30
	v_accvgpr_write_b32 a3, v0
                                        ; implicit-def: $vgpr2
; %bb.230:                              ;   in Loop: Header=BB361_13 Depth=1
	s_andn2_saveexec_b64 s[26:27], s[4:5]
; %bb.231:                              ;   in Loop: Header=BB361_13 Depth=1
	v_or_b32_e32 v13, 0x10000, v2
	v_cmp_eq_u32_sdwa s[4:5], v2, v47 src0_sel:WORD_0 src1_sel:DWORD
	s_nop 1
	v_cndmask_b32_e64 v0, v13, v2, s[4:5]
	v_accvgpr_write_b32 a3, v0
; %bb.232:                              ;   in Loop: Header=BB361_13 Depth=1
	s_or_b64 exec, exec, s[26:27]
	v_bfe_u32 v2, v12, 16, 8
	v_cvt_f32_fp8_sdwa v2, v2 src0_sel:BYTE_0
                                        ; implicit-def: $agpr42
	s_nop 0
	v_mul_f32_e32 v13, v10, v2
	v_and_b32_e32 v2, 0x7f800000, v13
	v_cmp_ne_u32_e64 s[4:5], s29, v2
	s_and_saveexec_b64 s[26:27], s[4:5]
	s_xor_b64 s[4:5], exec, s[26:27]
; %bb.233:                              ;   in Loop: Header=BB361_13 Depth=1
	v_bfe_u32 v2, v13, 16, 1
	v_add3_u32 v0, v13, v2, s30
	v_accvgpr_write_b32 a42, v0
                                        ; implicit-def: $vgpr13
; %bb.234:                              ;   in Loop: Header=BB361_13 Depth=1
	s_andn2_saveexec_b64 s[26:27], s[4:5]
; %bb.235:                              ;   in Loop: Header=BB361_13 Depth=1
	v_or_b32_e32 v2, 0x10000, v13
	v_cmp_eq_u32_sdwa s[4:5], v13, v47 src0_sel:WORD_0 src1_sel:DWORD
	s_nop 1
	v_cndmask_b32_e64 v0, v2, v13, s[4:5]
	v_accvgpr_write_b32 a42, v0
; %bb.236:                              ;   in Loop: Header=BB361_13 Depth=1
	s_or_b64 exec, exec, s[26:27]
	v_lshrrev_b32_e32 v12, 24, v12
	v_cvt_f32_fp8_sdwa v12, v12 src0_sel:BYTE_0
                                        ; implicit-def: $agpr47
	s_nop 0
	v_mul_f32_e32 v12, v10, v12
	v_and_b32_e32 v13, 0x7f800000, v12
	v_cmp_ne_u32_e64 s[4:5], s29, v13
	s_and_saveexec_b64 s[26:27], s[4:5]
	s_xor_b64 s[4:5], exec, s[26:27]
; %bb.237:                              ;   in Loop: Header=BB361_13 Depth=1
	v_bfe_u32 v13, v12, 16, 1
	v_add3_u32 v0, v12, v13, s30
	v_accvgpr_write_b32 a47, v0
                                        ; implicit-def: $vgpr12
; %bb.238:                              ;   in Loop: Header=BB361_13 Depth=1
	s_andn2_saveexec_b64 s[26:27], s[4:5]
; %bb.239:                              ;   in Loop: Header=BB361_13 Depth=1
	v_or_b32_e32 v13, 0x10000, v12
	v_cmp_eq_u32_sdwa s[4:5], v12, v47 src0_sel:WORD_0 src1_sel:DWORD
	s_nop 1
	v_cndmask_b32_e64 v0, v13, v12, s[4:5]
	v_accvgpr_write_b32 a47, v0
; %bb.240:                              ;   in Loop: Header=BB361_13 Depth=1
	s_or_b64 exec, exec, s[26:27]
	flat_load_dword v21, v[60:61] offset:3584
                                        ; implicit-def: $vgpr19
	s_waitcnt vmcnt(0) lgkmcnt(0)
	v_and_b32_e32 v12, 0xff, v21
	v_cvt_f32_fp8_sdwa v12, v12 src0_sel:BYTE_0
	s_nop 0
	v_mul_f32_e32 v12, v10, v12
	v_and_b32_e32 v13, 0x7f800000, v12
	v_cmp_ne_u32_e64 s[4:5], s29, v13
	s_and_saveexec_b64 s[26:27], s[4:5]
	s_xor_b64 s[4:5], exec, s[26:27]
; %bb.241:                              ;   in Loop: Header=BB361_13 Depth=1
	v_bfe_u32 v13, v12, 16, 1
	v_add3_u32 v19, v12, v13, s30
                                        ; implicit-def: $vgpr12
; %bb.242:                              ;   in Loop: Header=BB361_13 Depth=1
	s_andn2_saveexec_b64 s[26:27], s[4:5]
; %bb.243:                              ;   in Loop: Header=BB361_13 Depth=1
	v_or_b32_e32 v13, 0x10000, v12
	v_cmp_eq_u32_sdwa s[4:5], v12, v47 src0_sel:WORD_0 src1_sel:DWORD
	s_nop 1
	v_cndmask_b32_e64 v19, v13, v12, s[4:5]
; %bb.244:                              ;   in Loop: Header=BB361_13 Depth=1
	s_or_b64 exec, exec, s[26:27]
	v_bfe_u32 v12, v21, 8, 8
	v_cvt_f32_fp8_sdwa v12, v12 src0_sel:BYTE_0
	s_nop 0
	v_mul_f32_e32 v12, v10, v12
	v_and_b32_e32 v13, 0x7f800000, v12
	v_cmp_ne_u32_e64 s[4:5], s29, v13
                                        ; implicit-def: $vgpr13
	s_and_saveexec_b64 s[26:27], s[4:5]
	s_xor_b64 s[4:5], exec, s[26:27]
; %bb.245:                              ;   in Loop: Header=BB361_13 Depth=1
	v_bfe_u32 v13, v12, 16, 1
	v_add3_u32 v13, v12, v13, s30
                                        ; implicit-def: $vgpr12
; %bb.246:                              ;   in Loop: Header=BB361_13 Depth=1
	s_andn2_saveexec_b64 s[26:27], s[4:5]
; %bb.247:                              ;   in Loop: Header=BB361_13 Depth=1
	v_or_b32_e32 v13, 0x10000, v12
	v_cmp_eq_u32_sdwa s[4:5], v12, v47 src0_sel:WORD_0 src1_sel:DWORD
	s_nop 1
	v_cndmask_b32_e64 v13, v13, v12, s[4:5]
; %bb.248:                              ;   in Loop: Header=BB361_13 Depth=1
	s_or_b64 exec, exec, s[26:27]
	v_bfe_u32 v12, v21, 16, 8
	v_cvt_f32_fp8_sdwa v12, v12 src0_sel:BYTE_0
	s_nop 0
	v_mul_f32_e32 v56, v10, v12
	v_and_b32_e32 v12, 0x7f800000, v56
	v_cmp_ne_u32_e64 s[4:5], s29, v12
                                        ; implicit-def: $vgpr12
	s_and_saveexec_b64 s[26:27], s[4:5]
	s_xor_b64 s[4:5], exec, s[26:27]
; %bb.249:                              ;   in Loop: Header=BB361_13 Depth=1
	v_bfe_u32 v12, v56, 16, 1
	v_add3_u32 v12, v56, v12, s30
                                        ; implicit-def: $vgpr56
; %bb.250:                              ;   in Loop: Header=BB361_13 Depth=1
	s_andn2_saveexec_b64 s[26:27], s[4:5]
; %bb.251:                              ;   in Loop: Header=BB361_13 Depth=1
	v_or_b32_e32 v12, 0x10000, v56
	v_cmp_eq_u32_sdwa s[4:5], v56, v47 src0_sel:WORD_0 src1_sel:DWORD
	s_nop 1
	v_cndmask_b32_e64 v12, v12, v56, s[4:5]
; %bb.252:                              ;   in Loop: Header=BB361_13 Depth=1
	s_or_b64 exec, exec, s[26:27]
	v_lshrrev_b32_e32 v21, 24, v21
	v_cvt_f32_fp8_sdwa v21, v21 src0_sel:BYTE_0
                                        ; implicit-def: $vgpr56
	s_nop 0
	v_mul_f32_e32 v21, v10, v21
	v_and_b32_e32 v28, 0x7f800000, v21
	v_cmp_ne_u32_e64 s[4:5], s29, v28
	s_and_saveexec_b64 s[26:27], s[4:5]
	s_xor_b64 s[4:5], exec, s[26:27]
; %bb.253:                              ;   in Loop: Header=BB361_13 Depth=1
	v_bfe_u32 v28, v21, 16, 1
	v_add3_u32 v56, v21, v28, s30
                                        ; implicit-def: $vgpr21
; %bb.254:                              ;   in Loop: Header=BB361_13 Depth=1
	s_andn2_saveexec_b64 s[26:27], s[4:5]
; %bb.255:                              ;   in Loop: Header=BB361_13 Depth=1
	v_or_b32_e32 v28, 0x10000, v21
	v_cmp_eq_u32_sdwa s[4:5], v21, v47 src0_sel:WORD_0 src1_sel:DWORD
	s_nop 1
	v_cndmask_b32_e64 v56, v28, v21, s[4:5]
; %bb.256:                              ;   in Loop: Header=BB361_13 Depth=1
	s_or_b64 exec, exec, s[26:27]
	flat_load_dword v21, v[60:61] offset:3592
                                        ; implicit-def: $vgpr60
	s_waitcnt vmcnt(0) lgkmcnt(0)
	v_and_b32_e32 v28, 0xff, v21
	v_cvt_f32_fp8_sdwa v28, v28 src0_sel:BYTE_0
	s_nop 0
	v_mul_f32_e32 v57, v10, v28
	v_and_b32_e32 v28, 0x7f800000, v57
	v_cmp_ne_u32_e64 s[4:5], s29, v28
	s_and_saveexec_b64 s[26:27], s[4:5]
	s_xor_b64 s[4:5], exec, s[26:27]
; %bb.257:                              ;   in Loop: Header=BB361_13 Depth=1
	v_bfe_u32 v28, v57, 16, 1
	v_add3_u32 v60, v57, v28, s30
                                        ; implicit-def: $vgpr57
; %bb.258:                              ;   in Loop: Header=BB361_13 Depth=1
	s_andn2_saveexec_b64 s[26:27], s[4:5]
; %bb.259:                              ;   in Loop: Header=BB361_13 Depth=1
	v_or_b32_e32 v28, 0x10000, v57
	v_cmp_eq_u32_sdwa s[4:5], v57, v47 src0_sel:WORD_0 src1_sel:DWORD
	s_nop 1
	v_cndmask_b32_e64 v60, v28, v57, s[4:5]
; %bb.260:                              ;   in Loop: Header=BB361_13 Depth=1
	s_or_b64 exec, exec, s[26:27]
	v_bfe_u32 v28, v21, 8, 8
	v_cvt_f32_fp8_sdwa v28, v28 src0_sel:BYTE_0
                                        ; implicit-def: $vgpr57
	s_nop 0
	v_mul_f32_e32 v61, v10, v28
	v_and_b32_e32 v28, 0x7f800000, v61
	v_cmp_ne_u32_e64 s[4:5], s29, v28
	s_and_saveexec_b64 s[26:27], s[4:5]
	s_xor_b64 s[4:5], exec, s[26:27]
; %bb.261:                              ;   in Loop: Header=BB361_13 Depth=1
	v_bfe_u32 v28, v61, 16, 1
	v_add3_u32 v57, v61, v28, s30
                                        ; implicit-def: $vgpr61
; %bb.262:                              ;   in Loop: Header=BB361_13 Depth=1
	s_andn2_saveexec_b64 s[26:27], s[4:5]
; %bb.263:                              ;   in Loop: Header=BB361_13 Depth=1
	v_or_b32_e32 v28, 0x10000, v61
	v_cmp_eq_u32_sdwa s[4:5], v61, v47 src0_sel:WORD_0 src1_sel:DWORD
	s_nop 1
	v_cndmask_b32_e64 v57, v28, v61, s[4:5]
; %bb.264:                              ;   in Loop: Header=BB361_13 Depth=1
	s_or_b64 exec, exec, s[26:27]
	v_bfe_u32 v28, v21, 16, 8
	v_cvt_f32_fp8_sdwa v28, v28 src0_sel:BYTE_0
                                        ; implicit-def: $vgpr61
	s_nop 0
	v_mul_f32_e32 v28, v10, v28
	v_and_b32_e32 v29, 0x7f800000, v28
	v_cmp_ne_u32_e64 s[4:5], s29, v29
	s_and_saveexec_b64 s[26:27], s[4:5]
	s_xor_b64 s[4:5], exec, s[26:27]
; %bb.265:                              ;   in Loop: Header=BB361_13 Depth=1
	v_bfe_u32 v29, v28, 16, 1
	v_add3_u32 v61, v28, v29, s30
                                        ; implicit-def: $vgpr28
; %bb.266:                              ;   in Loop: Header=BB361_13 Depth=1
	s_andn2_saveexec_b64 s[26:27], s[4:5]
; %bb.267:                              ;   in Loop: Header=BB361_13 Depth=1
	v_or_b32_e32 v29, 0x10000, v28
	v_cmp_eq_u32_sdwa s[4:5], v28, v47 src0_sel:WORD_0 src1_sel:DWORD
	s_nop 1
	v_cndmask_b32_e64 v61, v29, v28, s[4:5]
; %bb.268:                              ;   in Loop: Header=BB361_13 Depth=1
	s_or_b64 exec, exec, s[26:27]
	v_lshrrev_b32_e32 v21, 24, v21
	v_cvt_f32_fp8_sdwa v21, v21 src0_sel:BYTE_0
	s_nop 0
	v_mul_f32_e32 v21, v10, v21
	v_and_b32_e32 v10, 0x7f800000, v21
	v_cmp_ne_u32_e64 s[4:5], s29, v10
                                        ; implicit-def: $vgpr10
	s_and_saveexec_b64 s[26:27], s[4:5]
	s_xor_b64 s[4:5], exec, s[26:27]
; %bb.269:                              ;   in Loop: Header=BB361_13 Depth=1
	v_bfe_u32 v10, v21, 16, 1
	v_add3_u32 v10, v21, v10, s30
                                        ; implicit-def: $vgpr21
; %bb.270:                              ;   in Loop: Header=BB361_13 Depth=1
	s_or_saveexec_b64 s[26:27], s[4:5]
	v_accvgpr_write_b32 a41, v22
	s_xor_b64 exec, exec, s[26:27]
; %bb.271:                              ;   in Loop: Header=BB361_13 Depth=1
	v_or_b32_e32 v10, 0x10000, v21
	v_cmp_eq_u32_sdwa s[4:5], v21, v47 src0_sel:WORD_0 src1_sel:DWORD
	s_nop 1
	v_cndmask_b32_e64 v10, v10, v21, s[4:5]
; %bb.272:                              ;   in Loop: Header=BB361_13 Depth=1
	s_or_b64 exec, exec, s[26:27]
	v_lshlrev_b32_e32 v28, 16, v52
	v_lshlrev_b32_e32 v29, 16, v53
	v_and_b32_e32 v25, 0xffff0000, v52
	v_and_b32_e32 v24, 0xffff0000, v53
	v_lshlrev_b32_e32 v44, 16, v48
	v_lshlrev_b32_e32 v45, 16, v49
	v_and_b32_e32 v4, 0xffff0000, v48
	v_and_b32_e32 v30, 0xffff0000, v49
	v_lshlrev_b32_e32 v5, 16, v36
	v_lshlrev_b32_e32 v11, 16, v37
	;; [unrolled: 1-line block ×3, first 2 shown]
	v_and_b32_e32 v3, 0xffff0000, v36
	v_and_b32_e32 v41, 0xffff0000, v37
	;; [unrolled: 1-line block ×3, first 2 shown]
	v_lshlrev_b32_e32 v42, 16, v33
	v_and_b32_e32 v17, 0xffff0000, v33
	v_lshlrev_b32_e32 v52, 16, v6
	v_lshlrev_b32_e32 v49, 16, v7
	;; [unrolled: 1-line block ×4, first 2 shown]
	v_and_b32_e32 v53, 0xffff0000, v6
	v_and_b32_e32 v48, 0xffff0000, v7
	;; [unrolled: 1-line block ×4, first 2 shown]
	v_accvgpr_read_b32 v6, a48
	v_accvgpr_read_b32 v8, a50
	v_lshlrev_b32_e32 v43, 16, v55
	v_and_b32_e32 v62, 0xffff0000, v55
	v_lshlrev_b32_e32 v1, 16, v38
	v_and_b32_e32 v20, 0xffff0000, v38
	;; [unrolled: 2-line block ×3, first 2 shown]
	v_accvgpr_read_b32 v9, a51
	v_lshlrev_b32_e32 v35, 16, v6
	v_and_b32_e32 v38, 0xffff0000, v6
	v_and_b32_e32 v6, 0xffff0000, v8
	v_lshlrev_b32_e32 v14, 16, v34
	v_and_b32_e32 v18, 0xffff0000, v34
	v_accvgpr_read_b32 v7, a49
	v_lshlrev_b32_e32 v34, 16, v8
	v_accvgpr_write_b32 a51, v6
	v_and_b32_e32 v6, 0xffff0000, v9
	v_accvgpr_write_b32 a50, v34
	v_lshlrev_b32_e32 v34, 16, v9
	v_accvgpr_write_b32 a49, v6
	v_accvgpr_read_b32 v6, a55
	v_lshlrev_b32_e32 v31, 16, v54
	v_lshlrev_b32_e32 v15, 16, v32
	v_and_b32_e32 v16, 0xffff0000, v32
	v_lshlrev_b32_e32 v32, 16, v7
	v_accvgpr_write_b32 a48, v34
	v_and_b32_e32 v34, 0xffff0000, v7
	v_and_b32_e32 v6, 0xffff0000, v6
	v_accvgpr_read_b32 v7, a45
	v_mul_f32_e32 v6, v31, v6
	v_and_b32_e32 v7, 0xffff0000, v7
	v_fmac_f32_e32 v6, v28, v7
	v_accvgpr_read_b32 v7, a56
	v_and_b32_e32 v54, 0xffff0000, v54
	v_and_b32_e32 v7, 0xffff0000, v7
	v_accvgpr_read_b32 v8, a52
	v_mul_f32_e32 v7, v54, v7
	v_and_b32_e32 v8, 0xffff0000, v8
	v_fmac_f32_e32 v7, v25, v8
	v_accvgpr_read_b32 v8, a57
	v_and_b32_e32 v8, 0xffff0000, v8
	v_accvgpr_read_b32 v9, a53
	v_mul_f32_e32 v8, v43, v8
	v_and_b32_e32 v9, 0xffff0000, v9
	v_fmac_f32_e32 v8, v29, v9
	v_accvgpr_read_b32 v9, a58
	;; [unrolled: 6-line block ×3, first 2 shown]
	v_and_b32_e32 v24, 0xffff0000, v24
	v_fmac_f32_e32 v6, v44, v24
	v_accvgpr_read_b32 v24, a60
	v_and_b32_e32 v24, 0xffff0000, v24
	v_fmac_f32_e32 v7, v4, v24
	v_accvgpr_read_b32 v4, a61
	v_and_b32_e32 v4, 0xffff0000, v4
	v_fmac_f32_e32 v8, v45, v4
	v_accvgpr_read_b32 v4, a62
	v_and_b32_e32 v4, 0xffff0000, v4
	v_fmac_f32_e32 v9, v30, v4
	v_accvgpr_read_b32 v4, a63
	v_lshlrev_b32_e32 v22, 16, v50
	v_and_b32_e32 v4, 0xffff0000, v4
	v_fmac_f32_e32 v6, v22, v4
	v_accvgpr_read_b32 v4, a27
	v_and_b32_e32 v50, 0xffff0000, v50
	v_and_b32_e32 v4, 0xffff0000, v4
	v_fmac_f32_e32 v7, v50, v4
	v_accvgpr_read_b32 v4, a30
	v_lshlrev_b32_e32 v23, 16, v51
	v_and_b32_e32 v4, 0xffff0000, v4
	v_fmac_f32_e32 v8, v23, v4
	v_accvgpr_read_b32 v4, a31
	v_and_b32_e32 v51, 0xffff0000, v51
	v_and_b32_e32 v4, 0xffff0000, v4
	v_fmac_f32_e32 v9, v51, v4
	v_and_b32_e32 v51, 0xffff0000, v60
	scratch_load_dword v60, off, s32 offset:276 ; 4-byte Folded Reload
	scratch_load_dword v62, off, s32 offset:248 ; 4-byte Folded Reload
	v_accvgpr_read_b32 v4, a32
	v_and_b32_e32 v4, 0xffff0000, v4
	v_fmac_f32_e32 v6, v5, v4
	v_accvgpr_read_b32 v4, a28
	v_and_b32_e32 v4, 0xffff0000, v4
	v_fmac_f32_e32 v7, v3, v4
	;; [unrolled: 3-line block ×11, first 2 shown]
	v_accvgpr_read_b32 v0, a22
	v_and_b32_e32 v0, 0xffff0000, v0
	v_accvgpr_read_b32 v16, a9
	v_accvgpr_read_b32 v24, a37
	v_fmac_f32_e32 v9, v17, v0
	v_accvgpr_read_b32 v0, a23
	v_and_b32_e32 v22, 0xffff0000, v16
	v_accvgpr_read_b32 v16, a33
	v_and_b32_e32 v28, 0xffff0000, v24
	;; [unrolled: 2-line block ×3, first 2 shown]
	v_and_b32_e32 v44, 0xffff0000, v16
	v_accvgpr_read_b32 v16, a7
	v_and_b32_e32 v29, 0xffff0000, v24
	v_accvgpr_read_b32 v24, a16
	v_fmac_f32_e32 v6, v14, v0
	v_accvgpr_read_b32 v0, a21
	v_and_b32_e32 v30, 0xffff0000, v16
	v_accvgpr_read_b32 v16, a14
	v_and_b32_e32 v31, 0xffff0000, v24
	;; [unrolled: 2-line block ×3, first 2 shown]
	v_and_b32_e32 v14, 0xffff0000, v19
	v_and_b32_e32 v45, 0xffff0000, v16
	v_accvgpr_read_b32 v16, a8
	v_accvgpr_read_b32 v19, a43
	;; [unrolled: 1-line block ×3, first 2 shown]
	v_and_b32_e32 v24, 0xffff0000, v24
	v_fmac_f32_e32 v7, v18, v0
	v_accvgpr_read_b32 v4, a6
	v_and_b32_e32 v25, 0xffff0000, v16
	v_accvgpr_read_b32 v16, a5
	v_accvgpr_read_b32 v18, a4
	v_and_b32_e32 v19, 0xffff0000, v19
	v_and_b32_e32 v23, 0xffff0000, v23
	v_accvgpr_read_b32 v42, a18
	v_fmac_f32_e32 v8, v21, v24
	v_fmac_f32_e32 v6, v52, v31
	v_and_b32_e32 v11, 0xffff0000, v4
	v_accvgpr_read_b32 v4, a40
	v_and_b32_e32 v16, 0xffff0000, v16
	v_and_b32_e32 v18, 0xffff0000, v18
	;; [unrolled: 1-line block ×3, first 2 shown]
	v_fmac_f32_e32 v7, v53, v29
	v_fmac_f32_e32 v8, v49, v23
	;; [unrolled: 1-line block ×3, first 2 shown]
	v_and_b32_e32 v5, 0xffff0000, v4
	v_accvgpr_read_b32 v4, a11
	v_accvgpr_read_b32 v17, a44
	v_fmac_f32_e32 v9, v55, v42
	v_fmac_f32_e32 v7, v39, v18
	;; [unrolled: 1-line block ×4, first 2 shown]
	v_accvgpr_read_b32 v16, a50
	v_accvgpr_read_b32 v0, a42
	v_and_b32_e32 v4, 0xffff0000, v4
	v_and_b32_e32 v17, 0xffff0000, v17
	v_fmac_f32_e32 v9, v48, v28
	v_fmac_f32_e32 v7, v38, v45
	;; [unrolled: 1-line block ×3, first 2 shown]
	v_accvgpr_read_b32 v16, a51
	v_and_b32_e32 v54, 0xffff0000, v12
	v_and_b32_e32 v12, 0xffff0000, v56
	;; [unrolled: 1-line block ×3, first 2 shown]
	v_accvgpr_read_b32 v0, a47
	v_fmac_f32_e32 v9, v36, v17
	v_fmac_f32_e32 v8, v32, v44
	;; [unrolled: 1-line block ×3, first 2 shown]
	v_accvgpr_read_b32 v4, a48
	v_and_b32_e32 v2, 0xffff0000, v0
	v_accvgpr_read_b32 v0, a3
	s_waitcnt vmcnt(1)
	v_and_b32_e32 v24, 64, v60
	v_fmac_f32_e32 v9, v34, v30
	v_fmac_f32_e32 v8, v4, v11
	v_accvgpr_read_b32 v4, a49
	v_accvgpr_read_b32 v22, a41
	v_and_b32_e32 v15, 0xffff0000, v0
	v_accvgpr_read_b32 v0, a10
	v_xor_b32_e32 v21, 1, v60
	v_add_u32_e32 v24, 64, v24
	v_fmac_f32_e32 v9, v4, v5
	ds_read_b128 v[16:19], v22 offset:102
	ds_read_b64 v[4:5], v22 offset:118
	ds_read_u16 v11, v22 offset:126
	v_and_b32_e32 v20, 0xffff0000, v0
	v_accvgpr_read_b32 v0, a34
	v_accvgpr_read_b32 v1, a39
	v_cmp_lt_i32_e64 s[4:5], v21, v24
	v_accvgpr_read_b32 v24, a46
	v_and_b32_e32 v50, 0xffff0000, v57
	v_and_b32_e32 v41, 0xffff0000, v0
	v_accvgpr_read_b32 v0, a35
	v_and_b32_e32 v1, 0xffff0000, v1
	v_accvgpr_read_b32 v3, a38
	v_lshlrev_b32_e32 v57, 16, v24
	v_and_b32_e32 v24, 0xffff0000, v61
	s_waitcnt vmcnt(0)
	v_and_b32_e32 v61, 0xffff0000, v62
	v_and_b32_e32 v0, 0xffff0000, v0
	;; [unrolled: 1-line block ×3, first 2 shown]
	v_lshlrev_b32_e32 v43, 16, v62
	v_fmac_f32_e32 v7, v61, v1
	s_waitcnt lgkmcnt(2)
	v_lshlrev_b32_e32 v1, 16, v16
	v_fmac_f32_e32 v6, v43, v3
	v_fmac_f32_e32 v9, v1, v0
	v_and_b32_e32 v0, 0xffff0000, v16
	v_lshlrev_b32_e32 v1, 16, v17
	v_fmac_f32_e32 v8, v57, v41
	v_fmac_f32_e32 v6, v0, v20
	;; [unrolled: 1-line block ×3, first 2 shown]
	v_and_b32_e32 v0, 0xffff0000, v17
	v_lshlrev_b32_e32 v1, 16, v18
	v_and_b32_e32 v13, 0xffff0000, v13
	v_fmac_f32_e32 v8, v0, v56
	v_fmac_f32_e32 v9, v1, v2
	v_and_b32_e32 v0, 0xffff0000, v18
	v_lshlrev_b32_e32 v1, 16, v19
	v_fmac_f32_e32 v6, v0, v14
	v_fmac_f32_e32 v7, v1, v13
	v_and_b32_e32 v0, 0xffff0000, v19
	s_waitcnt lgkmcnt(1)
	v_lshlrev_b32_e32 v1, 16, v4
	v_fmac_f32_e32 v8, v0, v54
	v_fmac_f32_e32 v9, v1, v12
	v_and_b32_e32 v0, 0xffff0000, v4
	v_lshlrev_b32_e32 v1, 16, v5
	v_fmac_f32_e32 v6, v0, v51
	v_fmac_f32_e32 v7, v1, v50
	v_and_b32_e32 v0, 0xffff0000, v5
	v_cndmask_b32_e64 v60, v60, v21, s[4:5]
	v_and_b32_e32 v21, 0xffff0000, v10
	s_waitcnt lgkmcnt(0)
	v_lshlrev_b32_e32 v1, 16, v11
	v_fmac_f32_e32 v8, v0, v24
	v_add_f32_e32 v0, v6, v7
	v_fmac_f32_e32 v9, v1, v21
	v_add_f32_e32 v0, v0, v8
	v_lshlrev_b32_e32 v10, 2, v60
	v_add_f32_e32 v0, v9, v0
	ds_bpermute_b32 v1, v10, v0
	s_and_saveexec_b64 s[26:27], vcc
	s_cbranch_execz .LBB361_11
; %bb.273:                              ;   in Loop: Header=BB361_13 Depth=1
	scratch_load_dword v2, off, s32 offset:300 ; 4-byte Folded Reload
	scratch_load_dword v4, off, s32 offset:288 ; 4-byte Folded Reload
	s_waitcnt lgkmcnt(0)
	v_add_f32_e32 v0, v0, v1
	scratch_load_dword v1, off, s32 offset:292 ; 4-byte Folded Reload
	scratch_load_dword v3, off, s32 offset:296 ; 4-byte Folded Reload
	s_load_dword s4, s[22:23], 0x0
	s_waitcnt vmcnt(3)
	v_add_u32_e32 v2, v2, v27
	v_cvt_f32_i32_e32 v2, v2
	s_waitcnt vmcnt(2)
	v_mul_f32_e32 v2, v4, v2
	v_cndmask_b32_e64 v2, 0, v2, s[2:3]
	s_waitcnt vmcnt(1)
	v_fmac_f32_e32 v2, v0, v1
	scratch_load_dword v1, off, s32 offset:272 ; 4-byte Folded Reload
	scratch_load_dword v0, off, s32 offset:196 ; 4-byte Folded Reload
	s_waitcnt vmcnt(2)
	v_add_u32_e32 v3, v3, v27
	s_waitcnt lgkmcnt(0)
	v_add_u32_e32 v4, s4, v26
	s_waitcnt vmcnt(0)
	v_cmp_lt_i32_e64 s[4:5], v3, v0
	s_nop 1
	v_cndmask_b32_e64 v0, 0, v2, s[4:5]
	ds_write_b32 v4, v0
	v_max_f32_e32 v0, v1, v1
	v_max_f32_e32 v0, v0, v2
	v_cndmask_b32_e64 v1, v1, v0, s[4:5]
	scratch_store_dword off, v1, s32 offset:272 ; 4-byte Folded Spill
	s_branch .LBB361_11
.LBB361_274:
	s_or_b64 exec, exec, s[24:25]
	scratch_load_dwordx2 v[14:15], off, s32 offset:380 ; 8-byte Folded Reload
	scratch_load_dword v30, off, s32 offset:376 ; 4-byte Folded Reload
	scratch_load_dwordx2 v[26:27], off, s32 offset:368 ; 8-byte Folded Reload
	scratch_load_dwordx2 v[24:25], off, s32 offset:360 ; 8-byte Folded Reload
	;; [unrolled: 1-line block ×5, first 2 shown]
	scratch_load_dword v28, off, s32 offset:340 ; 4-byte Folded Reload
	scratch_load_dword v31, off, s32 offset:316 ; 4-byte Folded Reload
	scratch_load_dwordx2 v[48:49], off, s32 offset:320 ; 8-byte Folded Reload
	scratch_load_dword v23, off, s32 offset:328 ; 4-byte Folded Reload
	scratch_load_dword v5, off, s32 offset:272 ; 4-byte Folded Reload
	v_mbcnt_lo_u32_b32 v4, -1, 0
.LBB361_275:
	s_or_b64 exec, exec, s[8:9]
	v_mbcnt_hi_u32_b32 v0, -1, v4
	s_waitcnt lgkmcnt(0)
	v_and_b32_e32 v1, 64, v0
	v_add_u32_e32 v1, 64, v1
	v_xor_b32_e32 v2, 32, v0
	v_cmp_lt_i32_e32 vcc, v2, v1
	s_waitcnt vmcnt(0)
	v_max_f32_e32 v4, v5, v5
	v_xor_b32_e32 v6, 8, v0
	v_cndmask_b32_e32 v2, v0, v2, vcc
	v_lshlrev_b32_e32 v2, 2, v2
	ds_bpermute_b32 v3, v2, v5
	v_xor_b32_e32 v5, 16, v0
	v_cmp_lt_i32_e32 vcc, v5, v1
	v_xor_b32_e32 v7, 4, v0
	v_xor_b32_e32 v8, 2, v0
	s_waitcnt lgkmcnt(0)
	v_max_f32_e32 v3, v3, v3
	v_max_f32_e32 v4, v4, v3
	v_cndmask_b32_e32 v3, v0, v5, vcc
	v_lshlrev_b32_e32 v3, 2, v3
	ds_bpermute_b32 v5, v3, v4
	v_cmp_lt_i32_e32 vcc, v6, v1
	s_lshr_b32 s24, s28, 16
	s_waitcnt lgkmcnt(0)
	v_max_f32_e32 v5, v5, v5
	v_max_f32_e32 v5, v4, v5
	v_cndmask_b32_e32 v4, v0, v6, vcc
	v_lshlrev_b32_e32 v4, 2, v4
	ds_bpermute_b32 v6, v4, v5
	v_cmp_lt_i32_e32 vcc, v7, v1
	s_waitcnt lgkmcnt(0)
	v_max_f32_e32 v6, v6, v6
	v_max_f32_e32 v6, v5, v6
	v_cndmask_b32_e32 v5, v0, v7, vcc
	v_lshlrev_b32_e32 v5, 2, v5
	ds_bpermute_b32 v7, v5, v6
	v_cmp_lt_i32_e32 vcc, v8, v1
	s_waitcnt lgkmcnt(0)
	v_max_f32_e32 v7, v7, v7
	v_max_f32_e32 v7, v6, v7
	v_cndmask_b32_e32 v6, v0, v8, vcc
	v_lshlrev_b32_e32 v20, 2, v6
	scratch_load_dword v6, off, s32 offset:252 ; 4-byte Folded Reload
	ds_bpermute_b32 v8, v20, v7
	s_waitcnt vmcnt(0)
	v_and_b32_e32 v42, 63, v6
	v_cmp_eq_u32_e32 vcc, 0, v42
	v_lshlrev_b32_e32 v6, 2, v28
	s_and_saveexec_b64 s[2:3], vcc
	s_cbranch_execz .LBB361_277
; %bb.276:
	s_waitcnt lgkmcnt(0)
	v_max_f32_e32 v8, v8, v8
	v_max_f32_e32 v7, v7, v7
	;; [unrolled: 1-line block ×3, first 2 shown]
	ds_write_b32 v6, v7 offset:256
.LBB361_277:
	s_or_b64 exec, exec, s[2:3]
	v_cmp_gt_u32_e64 s[2:3], 2, v42
	s_waitcnt lgkmcnt(0)
	v_mov_b32_e32 v8, 0xff7fffff
	v_lshlrev_b32_e32 v7, 2, v42
	s_barrier
	s_and_saveexec_b64 s[4:5], s[2:3]
	s_cbranch_execz .LBB361_279
; %bb.278:
	ds_read_b32 v8, v7 offset:256
.LBB361_279:
	s_or_b64 exec, exec, s[4:5]
	v_xor_b32_e32 v9, 1, v0
	v_cmp_lt_i32_e64 s[4:5], v9, v1
	s_nop 1
	v_cndmask_b32_e64 v1, v0, v9, s[4:5]
	scratch_load_dword v9, off, s32 offset:208 ; 4-byte Folded Reload
	v_lshlrev_b32_e32 v21, 2, v1
	s_waitcnt lgkmcnt(0)
	ds_bpermute_b32 v1, v21, v8
	v_max_f32_e32 v8, v8, v8
	v_lshlrev_b32_e32 v0, 2, v0
	s_waitcnt lgkmcnt(0)
	v_max_f32_e32 v1, v1, v1
	v_max_f32_e32 v1, v8, v1
	s_waitcnt vmcnt(0)
	v_subrev_u32_e32 v9, s19, v9
	v_lshl_add_u32 v10, v9, 5, s15
	v_and_b32_e32 v9, 0x100, v0
	ds_bpermute_b32 v0, v9, v1
	scratch_load_dword v1, off, s32 offset:196 ; 4-byte Folded Reload
	s_waitcnt vmcnt(0)
	v_min_i32_e32 v8, v10, v1
	scratch_load_dword v10, off, s32 offset:252 ; 4-byte Folded Reload
	v_subrev_u32_e32 v1, s15, v8
	s_waitcnt vmcnt(0)
	v_cmp_lt_i32_e64 s[4:5], v10, v1
	v_mov_b32_e32 v10, 0
	s_and_saveexec_b64 s[8:9], s[4:5]
	s_cbranch_execz .LBB361_283
; %bb.280:
	scratch_load_dword v12, off, s32 offset:252 ; 4-byte Folded Reload
	s_ashr_i32 s21, s20, 31
	s_lshl_b64 s[6:7], s[20:21], 2
	s_getpc_b64 s[22:23]
	s_add_u32 s22, s22, llvm.amdgcn.dynlds.offset.table@rel32@lo+4
	s_addc_u32 s23, s23, llvm.amdgcn.dynlds.offset.table@rel32@hi+12
	s_add_u32 s6, s6, s22
	s_addc_u32 s7, s7, s23
	s_load_dword s6, s[6:7], 0x0
	s_mov_b64 s[22:23], 0
	v_mov_b32_e32 v10, 0
	s_waitcnt vmcnt(0) lgkmcnt(0)
	v_lshl_add_u32 v11, v12, 2, s6
.LBB361_281:                            ; =>This Inner Loop Header: Depth=1
	ds_read_b32 v13, v11
	v_add_u32_e32 v12, 0x80, v12
	v_cmp_ge_i32_e64 s[6:7], v12, v1
	s_or_b64 s[22:23], s[6:7], s[22:23]
	s_waitcnt lgkmcnt(0)
	v_sub_f32_e32 v13, v13, v0
	v_mul_f32_e32 v13, 0x3fb8aa3b, v13
	v_exp_f32_e32 v13, v13
	ds_write_b32 v11, v13
	v_add_f32_e32 v10, v10, v13
	v_add_u32_e32 v11, 0x200, v11
	s_andn2_b64 exec, exec, s[22:23]
	s_cbranch_execnz .LBB361_281
; %bb.282:
	s_or_b64 exec, exec, s[22:23]
.LBB361_283:
	s_or_b64 exec, exec, s[8:9]
	ds_bpermute_b32 v2, v2, v10
	s_waitcnt lgkmcnt(0)
	v_add_f32_e32 v2, v10, v2
	ds_bpermute_b32 v3, v3, v2
	s_waitcnt lgkmcnt(0)
	v_add_f32_e32 v2, v2, v3
	;; [unrolled: 3-line block ×6, first 2 shown]
	s_and_saveexec_b64 s[6:7], vcc
	s_cbranch_execz .LBB361_285
; %bb.284:
	ds_write_b32 v6, v2 offset:264
.LBB361_285:
	s_or_b64 exec, exec, s[6:7]
	s_waitcnt lgkmcnt(0)
	s_barrier
	s_and_saveexec_b64 s[6:7], s[2:3]
	s_cbranch_execz .LBB361_287
; %bb.286:
	ds_read_b32 v2, v7 offset:264
.LBB361_287:
	s_or_b64 exec, exec, s[6:7]
	s_waitcnt lgkmcnt(0)
	ds_bpermute_b32 v3, v21, v2
	s_waitcnt lgkmcnt(0)
	v_add_f32_e32 v2, v2, v3
	ds_bpermute_b32 v2, v9, v2
	s_and_saveexec_b64 s[2:3], s[4:5]
	s_cbranch_execz .LBB361_300
; %bb.288:
	s_waitcnt lgkmcnt(0)
	v_add_f32_e32 v3, 0x358637bd, v2
	v_div_scale_f32 v4, s[4:5], v3, v3, 1.0
	v_rcp_f32_e32 v5, v4
	v_div_scale_f32 v6, vcc, 1.0, v3, 1.0
	s_movk_i32 s4, 0x7f
	v_fma_f32 v7, -v4, v5, 1.0
	v_fmac_f32_e32 v5, v7, v5
	v_mul_f32_e32 v7, v6, v5
	v_fma_f32 v9, -v4, v7, v6
	v_fmac_f32_e32 v7, v9, v5
	v_fma_f32 v4, -v4, v7, v6
	v_div_fmas_f32 v4, v4, v5, v7
	scratch_load_dword v5, off, s32 offset:252 ; 4-byte Folded Reload
	v_div_fixup_f32 v6, v4, v3, 1.0
	s_mov_b64 s[6:7], -1
	s_waitcnt vmcnt(0)
	v_xad_u32 v3, v5, -1, v8
	v_subrev_u32_e32 v4, s15, v3
	v_cmp_lt_u32_e32 vcc, s4, v4
	v_mov_b32_e32 v3, v5
	s_and_saveexec_b64 s[4:5], vcc
	s_cbranch_execz .LBB361_297
; %bb.289:
	v_lshrrev_b32_e32 v3, 7, v4
	v_add_u32_e32 v5, -1, v3
	v_lshrrev_b32_e32 v4, 1, v5
	v_mov_b32_e32 v7, v6
	v_add_u32_e32 v4, 1, v4
	v_cmp_lt_u32_e32 vcc, 13, v5
	v_mov_b32_e32 v9, 0
	s_and_saveexec_b64 s[6:7], vcc
	s_cbranch_execz .LBB361_293
; %bb.290:
	scratch_load_dword v8, off, s32 offset:252 ; 4-byte Folded Reload
	s_ashr_i32 s21, s20, 31
	s_lshl_b64 s[8:9], s[20:21], 2
	s_getpc_b64 s[22:23]
	s_add_u32 s22, s22, llvm.amdgcn.dynlds.offset.table@rel32@lo+4
	s_addc_u32 s23, s23, llvm.amdgcn.dynlds.offset.table@rel32@hi+12
	s_add_u32 s8, s8, s22
	s_addc_u32 s9, s9, s23
	s_load_dword s8, s[8:9], 0x0
	v_and_b32_e32 v5, -8, v4
	s_mov_b32 s15, 0
	s_waitcnt vmcnt(0) lgkmcnt(0)
	v_lshl_add_u32 v8, v8, 2, s8
	s_mov_b64 s[8:9], 0
.LBB361_291:                            ; =>This Inner Loop Header: Depth=1
	ds_read2st64_b32 v[10:11], v8 offset1:2
	ds_read2st64_b32 v[12:13], v8 offset0:4 offset1:6
	ds_read2st64_b32 v[18:19], v8 offset0:8 offset1:10
	;; [unrolled: 1-line block ×3, first 2 shown]
	v_add_u32_e32 v5, -8, v5
	s_waitcnt lgkmcnt(3)
	v_pk_mul_f32 v[10:11], v[6:7], v[10:11]
	s_waitcnt lgkmcnt(2)
	v_pk_mul_f32 v[12:13], v[6:7], v[12:13]
	ds_write2st64_b32 v8, v10, v11 offset1:2
	ds_write2st64_b32 v8, v12, v13 offset0:4 offset1:6
	ds_read2st64_b32 v[12:13], v8 offset0:16 offset1:18
	s_waitcnt lgkmcnt(4)
	v_pk_mul_f32 v[10:11], v[6:7], v[18:19]
	ds_write2st64_b32 v8, v10, v11 offset0:8 offset1:10
	s_waitcnt lgkmcnt(4)
	v_pk_mul_f32 v[10:11], v[6:7], v[16:17]
	ds_write2st64_b32 v8, v10, v11 offset0:12 offset1:14
	ds_read2st64_b32 v[10:11], v8 offset0:20 offset1:22
	s_waitcnt lgkmcnt(3)
	v_pk_mul_f32 v[12:13], v[6:7], v[12:13]
	ds_read2st64_b32 v[16:17], v8 offset0:24 offset1:26
	ds_write2st64_b32 v8, v12, v13 offset0:16 offset1:18
	ds_read2st64_b32 v[12:13], v8 offset0:28 offset1:30
	s_waitcnt lgkmcnt(3)
	v_pk_mul_f32 v[10:11], v[6:7], v[10:11]
	ds_write2st64_b32 v8, v10, v11 offset0:20 offset1:22
	s_waitcnt lgkmcnt(3)
	v_pk_mul_f32 v[10:11], v[6:7], v[16:17]
	ds_write2st64_b32 v8, v10, v11 offset0:24 offset1:26
	s_waitcnt lgkmcnt(2)
	v_pk_mul_f32 v[10:11], v[6:7], v[12:13]
	s_add_i32 s15, s15, 16
	v_cmp_eq_u32_e32 vcc, 0, v5
	ds_write2st64_b32 v8, v10, v11 offset0:28 offset1:30
	v_add_u32_e32 v8, 0x2000, v8
	s_or_b64 s[8:9], vcc, s[8:9]
	v_mov_b32_e32 v9, s15
	s_andn2_b64 exec, exec, s[8:9]
	s_cbranch_execnz .LBB361_291
; %bb.292:
	s_or_b64 exec, exec, s[8:9]
.LBB361_293:
	s_or_b64 exec, exec, s[6:7]
	v_and_b32_e32 v4, 7, v4
	v_cmp_ne_u32_e32 vcc, 0, v4
	s_and_saveexec_b64 s[6:7], vcc
	s_cbranch_execz .LBB361_296
; %bb.294:
	scratch_load_dword v8, off, s32 offset:252 ; 4-byte Folded Reload
	s_ashr_i32 s21, s20, 31
	s_lshl_b64 s[8:9], s[20:21], 2
	s_getpc_b64 s[22:23]
	s_add_u32 s22, s22, llvm.amdgcn.dynlds.offset.table@rel32@lo+4
	s_addc_u32 s23, s23, llvm.amdgcn.dynlds.offset.table@rel32@hi+12
	s_add_u32 s8, s8, s22
	s_addc_u32 s9, s9, s23
	s_load_dword s8, s[8:9], 0x0
	v_lshlrev_b32_e32 v5, 9, v9
	s_waitcnt vmcnt(0)
	v_lshlrev_b32_e32 v8, 2, v8
	s_waitcnt lgkmcnt(0)
	v_add3_u32 v5, v5, v8, s8
	s_mov_b64 s[8:9], 0
.LBB361_295:                            ; =>This Inner Loop Header: Depth=1
	ds_read2st64_b32 v[8:9], v5 offset1:2
	v_add_u32_e32 v4, -1, v4
	v_cmp_eq_u32_e32 vcc, 0, v4
	s_or_b64 s[8:9], vcc, s[8:9]
	s_waitcnt lgkmcnt(0)
	v_pk_mul_f32 v[8:9], v[6:7], v[8:9]
	ds_write2st64_b32 v5, v8, v9 offset1:2
	v_add_u32_e32 v5, 0x400, v5
	s_andn2_b64 exec, exec, s[8:9]
	s_cbranch_execnz .LBB361_295
.LBB361_296:
	s_or_b64 exec, exec, s[6:7]
	v_add_u32_e32 v4, 1, v3
	scratch_load_dword v3, off, s32 offset:252 ; 4-byte Folded Reload
	v_and_b32_e32 v5, 0x3fffffe, v4
	v_cmp_ne_u32_e32 vcc, v4, v5
	s_orn2_b64 s[6:7], vcc, exec
	s_waitcnt vmcnt(0)
	v_lshl_add_u32 v3, v5, 7, v3
.LBB361_297:
	s_or_b64 exec, exec, s[4:5]
	s_and_b64 exec, exec, s[6:7]
	s_cbranch_execz .LBB361_300
; %bb.298:
	s_ashr_i32 s21, s20, 31
	s_lshl_b64 s[4:5], s[20:21], 2
	s_getpc_b64 s[6:7]
	s_add_u32 s6, s6, llvm.amdgcn.dynlds.offset.table@rel32@lo+4
	s_addc_u32 s7, s7, llvm.amdgcn.dynlds.offset.table@rel32@hi+12
	s_add_u32 s4, s4, s6
	s_addc_u32 s5, s5, s7
	s_load_dword s4, s[4:5], 0x0
	s_waitcnt lgkmcnt(0)
	v_lshl_add_u32 v4, v3, 2, s4
	s_mov_b64 s[4:5], 0
.LBB361_299:                            ; =>This Inner Loop Header: Depth=1
	ds_read_b32 v5, v4
	v_add_u32_e32 v3, 0x80, v3
	v_cmp_ge_i32_e32 vcc, v3, v1
	s_or_b64 s[4:5], vcc, s[4:5]
	s_waitcnt lgkmcnt(0)
	v_mul_f32_e32 v5, v6, v5
	ds_write_b32 v4, v5
	v_add_u32_e32 v4, 0x200, v4
	s_andn2_b64 exec, exec, s[4:5]
	s_cbranch_execnz .LBB361_299
.LBB361_300:
	s_or_b64 exec, exec, s[2:3]
	s_waitcnt lgkmcnt(0)
	s_barrier
	scratch_load_dword v1, off, s32 offset:252 ; 4-byte Folded Reload
	v_cmp_ne_u16_e64 s[2:3], s24, 0
	s_cmp_lg_u64 s[2:3], 0
	s_addc_u32 s19, s13, 0
	s_waitcnt vmcnt(0)
	v_cmp_eq_u32_e32 vcc, 0, v1
	s_and_saveexec_b64 s[2:3], vcc
	s_cbranch_execz .LBB361_302
; %bb.301:
	s_mul_i32 s4, s19, s16
	s_mul_i32 s4, s4, s17
	;; [unrolled: 1-line block ×3, first 2 shown]
	s_ashr_i32 s5, s4, 31
	s_ashr_i32 s7, s6, 31
	;; [unrolled: 1-line block ×3, first 2 shown]
	s_lshl_b64 s[4:5], s[4:5], 2
	s_lshl_b64 s[6:7], s[6:7], 2
	;; [unrolled: 1-line block ×3, first 2 shown]
	s_add_u32 s6, s8, s6
	s_addc_u32 s7, s9, s7
	s_add_u32 s4, s6, s4
	s_addc_u32 s5, s7, s5
	v_lshl_add_u64 v[4:5], s[4:5], 0, v[34:35]
	flat_store_dword v[4:5], v0
	v_lshl_add_u64 v[0:1], s[4:5], 0, v[24:25]
	flat_store_dword v[0:1], v2
.LBB361_302:
	s_or_b64 exec, exec, s[2:3]
	scratch_load_dword v0, off, s32 offset:252 ; 4-byte Folded Reload
	s_ashr_i32 s21, s20, 31
	s_lshl_b64 s[2:3], s[20:21], 2
	s_getpc_b64 s[4:5]
	s_add_u32 s4, s4, llvm.amdgcn.dynlds.offset.table@rel32@lo+4
	s_addc_u32 s5, s5, llvm.amdgcn.dynlds.offset.table@rel32@hi+12
	s_add_u32 s2, s2, s4
	s_addc_u32 s3, s3, s5
	v_mov_b32_e32 v13, 0
	v_mov_b32_e32 v12, 0
	;; [unrolled: 1-line block ×8, first 2 shown]
	s_waitcnt vmcnt(0)
	v_and_b32_e32 v22, 3, v0
	s_and_saveexec_b64 s[4:5], s[0:1]
	s_cbranch_execz .LBB361_868
; %bb.303:
	v_max_i32_e32 v36, v30, v23
	v_cvt_f32_u32_e32 v2, v36
	v_and_b32_e32 v0, 24, v32
	v_accvgpr_write_b32 a19, v0
	v_lshl_add_u64 v[0:1], v[26:27], 0, v[48:49]
	v_rcp_iflag_f32_e32 v2, v2
	v_and_b32_e32 v10, 0x1f8, v32
	v_mov_b32_e32 v11, 0
	v_lshl_add_u64 v[0:1], v[0:1], 0, v[10:11]
	v_mul_f32_e32 v2, 0x4f7ffffe, v2
	v_cvt_u32_f32_e32 v4, v2
	v_add_u32_e32 v3, -1, v31
	v_sub_u32_e32 v5, 0, v36
	v_accvgpr_write_b32 a23, v1
	v_accvgpr_write_b32 a20, v3
	v_accvgpr_read_b32 v2, a12
	v_accvgpr_write_b32 a22, v0
	v_mul_lo_u32 v0, v5, v4
	v_accvgpr_read_b32 v3, a13
	v_mul_hi_u32 v0, v4, v0
	v_lshlrev_b64 v[2:3], 2, v[2:3]
	v_add_u32_e32 v0, v4, v0
	v_accvgpr_write_b32 a24, v0
	v_lshl_add_u64 v[0:1], v[38:39], 2, v[2:3]
	v_lshl_add_u64 v[14:15], v[14:15], 0, v[0:1]
	scratch_load_dword v1, off, s32 offset:312 ; 4-byte Folded Reload
	s_load_dword s0, s[2:3], 0x0
	v_lshlrev_b32_e32 v0, 5, v22
	v_lshl_or_b32 v0, v28, 7, v0
	v_accvgpr_write_b32 a17, v21
	v_accvgpr_write_b32 a16, v20
	;; [unrolled: 1-line block ×3, first 2 shown]
	s_waitcnt lgkmcnt(0)
	v_add_u32_e32 v29, s0, v0
	s_mov_b64 s[6:7], 0
	s_mov_b32 s15, 0x7f800000
	s_movk_i32 s20, 0x7fff
	v_mov_b32_e32 v24, 0
	v_mov_b32_e32 v25, 0
	v_mov_b32_e32 v18, 0
	v_mov_b32_e32 v19, 0
	v_mov_b32_e32 v16, 0
	v_mov_b32_e32 v17, 0
	v_mov_b32_e32 v12, 0
	v_mov_b32_e32 v13, 0
	s_branch .LBB361_306
.LBB361_304:                            ;   in Loop: Header=BB361_306 Depth=1
	s_or_b64 exec, exec, s[0:1]
	v_and_b32_e32 v9, 0xffff0000, v31
	v_and_b32_e32 v8, 0xffff0000, v3
	;; [unrolled: 1-line block ×4, first 2 shown]
	v_pk_add_f32 v[2:3], v[2:3], v[8:9]
	v_and_b32_e32 v9, 0xffff0000, v43
	v_and_b32_e32 v8, 0xffff0000, v27
	;; [unrolled: 1-line block ×4, first 2 shown]
	v_pk_add_f32 v[8:9], v[26:27], v[8:9]
	v_add_f32_e32 v2, v2, v3
	v_add_f32_e32 v2, v2, v8
	;; [unrolled: 1-line block ×3, first 2 shown]
	v_and_b32_e32 v3, 0xffff0000, v54
	v_and_b32_e32 v2, 0xffff0000, v53
	;; [unrolled: 1-line block ×4, first 2 shown]
	v_pk_add_f32 v[2:3], v[8:9], v[2:3]
	v_and_b32_e32 v9, 0xffff0000, v45
	v_and_b32_e32 v8, 0xffff0000, v40
	;; [unrolled: 1-line block ×4, first 2 shown]
	v_pk_add_f32 v[8:9], v[26:27], v[8:9]
	v_add_f32_e32 v2, v2, v3
	v_add_f32_e32 v2, v2, v8
	;; [unrolled: 1-line block ×3, first 2 shown]
	v_and_b32_e32 v27, 0xffff0000, v38
	v_and_b32_e32 v26, 0xffff0000, v32
	;; [unrolled: 1-line block ×4, first 2 shown]
	v_add_f32_e32 v17, v17, v2
	v_and_b32_e32 v3, 0xffff0000, v10
	v_and_b32_e32 v2, 0xffff0000, v33
	;; [unrolled: 1-line block ×4, first 2 shown]
	v_pk_add_f32 v[20:21], v[20:21], v[26:27]
	v_pk_add_f32 v[2:3], v[8:9], v[2:3]
	v_add_f32_e32 v4, v20, v21
	v_add_f32_e32 v2, v4, v2
	v_accvgpr_read_b32 v4, a55
	v_and_b32_e32 v21, 0xffff0000, v4
	v_accvgpr_read_b32 v4, a53
	v_and_b32_e32 v20, 0xffff0000, v4
	v_accvgpr_read_b32 v4, a54
	v_and_b32_e32 v27, 0xffff0000, v4
	v_accvgpr_read_b32 v4, a52
	v_add_f32_e32 v2, v2, v3
	v_and_b32_e32 v26, 0xffff0000, v4
	v_add_f32_e32 v16, v16, v2
	v_and_b32_e32 v3, 0xffff0000, v51
	v_and_b32_e32 v2, 0xffff0000, v49
	;; [unrolled: 1-line block ×4, first 2 shown]
	v_pk_add_f32 v[20:21], v[26:27], v[20:21]
	v_pk_add_f32 v[2:3], v[8:9], v[2:3]
	v_add_f32_e32 v4, v20, v21
	v_add_f32_e32 v2, v4, v2
	v_accvgpr_read_b32 v4, a50
	v_and_b32_e32 v9, 0xffff0000, v4
	v_accvgpr_read_b32 v4, a48
	v_and_b32_e32 v8, 0xffff0000, v4
	;; [unrolled: 2-line block ×3, first 2 shown]
	v_accvgpr_read_b32 v4, a45
	v_add_f32_e32 v2, v2, v3
	v_and_b32_e32 v20, 0xffff0000, v4
	v_accvgpr_read_b32 v4, a46
	v_add_f32_e32 v19, v19, v2
	v_accvgpr_read_b32 v2, a51
	v_and_b32_e32 v27, 0xffff0000, v4
	v_accvgpr_read_b32 v4, a44
	v_and_b32_e32 v3, 0xffff0000, v2
	;; [unrolled: 2-line block ×3, first 2 shown]
	v_and_b32_e32 v2, 0xffff0000, v2
	v_pk_add_f32 v[20:21], v[26:27], v[20:21]
	v_pk_add_f32 v[2:3], v[8:9], v[2:3]
	v_add_f32_e32 v4, v20, v21
	v_add_f32_e32 v2, v4, v2
	v_accvgpr_read_b32 v4, a42
	v_and_b32_e32 v9, 0xffff0000, v4
	v_accvgpr_read_b32 v4, a40
	v_and_b32_e32 v8, 0xffff0000, v4
	;; [unrolled: 2-line block ×3, first 2 shown]
	v_accvgpr_read_b32 v4, a37
	v_add_f32_e32 v2, v2, v3
	v_and_b32_e32 v20, 0xffff0000, v4
	v_accvgpr_read_b32 v4, a38
	v_add_f32_e32 v18, v18, v2
	v_accvgpr_read_b32 v2, a43
	v_and_b32_e32 v27, 0xffff0000, v4
	v_accvgpr_read_b32 v4, a36
	v_and_b32_e32 v3, 0xffff0000, v2
	;; [unrolled: 2-line block ×3, first 2 shown]
	v_and_b32_e32 v2, 0xffff0000, v2
	v_pk_add_f32 v[20:21], v[26:27], v[20:21]
	v_pk_add_f32 v[2:3], v[8:9], v[2:3]
	v_add_f32_e32 v4, v20, v21
	v_add_f32_e32 v2, v4, v2
	v_accvgpr_read_b32 v4, a27
	v_and_b32_e32 v9, 0xffff0000, v4
	v_accvgpr_read_b32 v4, a25
	v_add_f32_e32 v2, v2, v3
	v_and_b32_e32 v8, 0xffff0000, v4
	v_accvgpr_read_b32 v4, a21
	v_add_f32_e32 v25, v25, v2
	v_accvgpr_read_b32 v2, a28
	v_and_b32_e32 v21, 0xffff0000, v4
	v_accvgpr_read_b32 v4, a15
	v_and_b32_e32 v3, 0xffff0000, v2
	;; [unrolled: 2-line block ×3, first 2 shown]
	v_and_b32_e32 v27, 0xffff0000, v4
	v_and_b32_e32 v26, 0xffff0000, v23
	;; [unrolled: 1-line block ×3, first 2 shown]
	v_pk_add_f32 v[20:21], v[26:27], v[20:21]
	v_pk_add_f32 v[2:3], v[8:9], v[2:3]
	v_add_f32_e32 v4, v20, v21
	v_add_f32_e32 v2, v4, v2
	;; [unrolled: 1-line block ×4, first 2 shown]
	v_and_b32_e32 v3, 0xffff0000, v6
	v_and_b32_e32 v7, 0xffff0000, v52
	;; [unrolled: 1-line block ×5, first 2 shown]
	v_add_f32_e32 v24, v24, v2
	v_and_b32_e32 v2, 0xffff0000, v56
	v_and_b32_e32 v5, 0xffff0000, v5
	;; [unrolled: 1-line block ×3, first 2 shown]
	v_pk_add_f32 v[0:1], v[0:1], v[6:7]
	v_pk_add_f32 v[2:3], v[4:5], v[2:3]
	v_add_f32_e32 v0, v0, v1
	v_add_f32_e32 v0, v0, v2
	;; [unrolled: 1-line block ×4, first 2 shown]
.LBB361_305:                            ;   in Loop: Header=BB361_306 Depth=1
	s_or_b64 exec, exec, s[8:9]
	scratch_load_dword v0, off, s32 offset:208 ; 4-byte Folded Reload
	v_accvgpr_read_b32 v2, a12
	v_add_u32_e32 v2, 2, v2
	v_accvgpr_read_b32 v1, a13
	v_lshl_add_u64 v[14:15], v[14:15], 0, 8
	v_add_u32_e32 v1, 64, v1
	v_accvgpr_write_b32 a12, v2
	v_add_u32_e32 v29, 0x100, v29
	s_waitcnt vmcnt(0)
	v_cmp_ge_i32_e32 vcc, v2, v0
	s_or_b64 s[6:7], vcc, s[6:7]
	s_andn2_b64 exec, exec, s[6:7]
	s_cbranch_execz .LBB361_867
.LBB361_306:                            ; =>This Inner Loop Header: Depth=1
	s_waitcnt vmcnt(0)
	v_ashrrev_i32_e32 v0, 31, v1
	v_mov_b32_e32 v2, v1
	scratch_load_dword v1, off, s32 offset:204 ; 4-byte Folded Reload
	scratch_load_dword v4, off, s32 offset:200 ; 4-byte Folded Reload
	v_accvgpr_write_b32 a13, v2
	s_waitcnt vmcnt(1)
	v_xor_b32_e32 v0, v0, v1
	v_sub_u32_e32 v1, 0, v2
	v_max_i32_e32 v1, v2, v1
	scratch_load_dword v2, off, s32 offset:220 ; 4-byte Folded Reload
	s_waitcnt vmcnt(0)
	v_mul_hi_u32 v2, v1, v2
	v_mul_lo_u32 v3, v2, v4
	v_sub_u32_e32 v1, v1, v3
	v_add_u32_e32 v3, 1, v2
	v_cmp_ge_u32_e32 vcc, v1, v4
	s_nop 1
	v_cndmask_b32_e32 v2, v2, v3, vcc
	v_sub_u32_e32 v3, v1, v4
	v_cndmask_b32_e32 v1, v1, v3, vcc
	v_add_u32_e32 v3, 1, v2
	v_cmp_ge_u32_e32 vcc, v1, v4
	v_accvgpr_read_b32 v4, a24
	s_nop 0
	v_cndmask_b32_e32 v1, v2, v3, vcc
	scratch_load_dwordx2 v[2:3], off, s32 offset:212 ; 8-byte Folded Reload
	v_xor_b32_e32 v1, v1, v0
	v_sub_u32_e32 v0, v1, v0
	s_waitcnt vmcnt(0)
	v_add_u32_e32 v1, v0, v2
	v_sub_u32_e32 v3, 0, v1
	v_ashrrev_i32_e32 v2, 31, v1
	v_max_i32_e32 v1, v1, v3
	v_mul_hi_u32 v3, v1, v4
	v_mul_lo_u32 v3, v3, v36
	v_sub_u32_e32 v1, v1, v3
	v_sub_u32_e32 v3, v1, v36
	v_cmp_ge_u32_e32 vcc, v1, v36
	s_nop 1
	v_cndmask_b32_e32 v1, v1, v3, vcc
	v_sub_u32_e32 v3, v1, v36
	v_cmp_ge_u32_e32 vcc, v1, v36
	s_nop 1
	v_cndmask_b32_e32 v1, v1, v3, vcc
	v_xor_b32_e32 v1, v1, v2
	v_sub_u32_e32 v1, v1, v2
	v_cmp_eq_u32_e32 vcc, 0, v1
	scratch_load_dword v1, off, s32 offset:224 ; 4-byte Folded Reload
	s_waitcnt vmcnt(0)
	v_cmp_gt_i32_e64 s[0:1], v0, v1
	s_or_b64 s[0:1], vcc, s[0:1]
	s_and_saveexec_b64 s[8:9], s[0:1]
	s_cbranch_execz .LBB361_305
; %bb.307:                              ;   in Loop: Header=BB361_306 Depth=1
	flat_load_dword v26, v[14:15]
	ds_read2_b64 v[6:9], v29 offset1:1
	ds_read2_b64 v[0:3], v29 offset0:2 offset1:3
                                        ; implicit-def: $vgpr22
	s_waitcnt lgkmcnt(0)
	v_and_b32_e32 v4, 0x7f800000, v6
	v_cmp_ne_u32_e32 vcc, s15, v4
	s_and_saveexec_b64 s[0:1], vcc
	s_xor_b64 s[0:1], exec, s[0:1]
; %bb.308:                              ;   in Loop: Header=BB361_306 Depth=1
	v_bfe_u32 v4, v6, 16, 1
	v_add3_u32 v22, v6, v4, s20
; %bb.309:                              ;   in Loop: Header=BB361_306 Depth=1
	s_andn2_saveexec_b64 s[0:1], s[0:1]
; %bb.310:                              ;   in Loop: Header=BB361_306 Depth=1
	v_or_b32_e32 v4, 0x10000, v6
	v_cmp_eq_u32_sdwa vcc, v6, v11 src0_sel:WORD_0 src1_sel:DWORD
	s_nop 1
	v_cndmask_b32_e32 v22, v4, v6, vcc
; %bb.311:                              ;   in Loop: Header=BB361_306 Depth=1
	s_or_b64 exec, exec, s[0:1]
	v_and_b32_e32 v4, 0x7f800000, v7
	v_cmp_ne_u32_e32 vcc, s15, v4
                                        ; implicit-def: $vgpr21
	s_and_saveexec_b64 s[0:1], vcc
	s_xor_b64 s[0:1], exec, s[0:1]
; %bb.312:                              ;   in Loop: Header=BB361_306 Depth=1
	v_bfe_u32 v4, v7, 16, 1
	v_add3_u32 v21, v7, v4, s20
; %bb.313:                              ;   in Loop: Header=BB361_306 Depth=1
	s_andn2_saveexec_b64 s[0:1], s[0:1]
; %bb.314:                              ;   in Loop: Header=BB361_306 Depth=1
	v_or_b32_e32 v4, 0x10000, v7
	v_cmp_eq_u32_sdwa vcc, v7, v11 src0_sel:WORD_0 src1_sel:DWORD
	s_nop 1
	v_cndmask_b32_e32 v21, v4, v7, vcc
; %bb.315:                              ;   in Loop: Header=BB361_306 Depth=1
	s_or_b64 exec, exec, s[0:1]
	v_and_b32_e32 v4, 0x7f800000, v8
	v_cmp_ne_u32_e32 vcc, s15, v4
                                        ; implicit-def: $vgpr20
	s_and_saveexec_b64 s[0:1], vcc
	s_xor_b64 s[0:1], exec, s[0:1]
; %bb.316:                              ;   in Loop: Header=BB361_306 Depth=1
	v_bfe_u32 v4, v8, 16, 1
	v_add3_u32 v20, v8, v4, s20
; %bb.317:                              ;   in Loop: Header=BB361_306 Depth=1
	s_andn2_saveexec_b64 s[0:1], s[0:1]
; %bb.318:                              ;   in Loop: Header=BB361_306 Depth=1
	v_or_b32_e32 v4, 0x10000, v8
	v_cmp_eq_u32_sdwa vcc, v8, v11 src0_sel:WORD_0 src1_sel:DWORD
	s_nop 1
	v_cndmask_b32_e32 v20, v4, v8, vcc
; %bb.319:                              ;   in Loop: Header=BB361_306 Depth=1
	s_or_b64 exec, exec, s[0:1]
	v_and_b32_e32 v4, 0x7f800000, v9
	v_cmp_ne_u32_e32 vcc, s15, v4
                                        ; implicit-def: $vgpr10
	s_and_saveexec_b64 s[0:1], vcc
	s_xor_b64 s[0:1], exec, s[0:1]
; %bb.320:                              ;   in Loop: Header=BB361_306 Depth=1
	v_bfe_u32 v4, v9, 16, 1
	v_add3_u32 v10, v9, v4, s20
                                        ; implicit-def: $vgpr6_vgpr7_vgpr8_vgpr9
; %bb.321:                              ;   in Loop: Header=BB361_306 Depth=1
	s_andn2_saveexec_b64 s[0:1], s[0:1]
; %bb.322:                              ;   in Loop: Header=BB361_306 Depth=1
	v_or_b32_e32 v4, 0x10000, v9
	v_cmp_eq_u32_sdwa vcc, v9, v11 src0_sel:WORD_0 src1_sel:DWORD
	s_nop 1
	v_cndmask_b32_e32 v10, v4, v9, vcc
; %bb.323:                              ;   in Loop: Header=BB361_306 Depth=1
	s_or_b64 exec, exec, s[0:1]
	v_and_b32_e32 v4, 0x7f800000, v0
	v_cmp_ne_u32_e32 vcc, s15, v4
                                        ; implicit-def: $vgpr7
	s_and_saveexec_b64 s[0:1], vcc
	s_xor_b64 s[0:1], exec, s[0:1]
; %bb.324:                              ;   in Loop: Header=BB361_306 Depth=1
	v_bfe_u32 v4, v0, 16, 1
	v_add3_u32 v7, v0, v4, s20
; %bb.325:                              ;   in Loop: Header=BB361_306 Depth=1
	s_andn2_saveexec_b64 s[0:1], s[0:1]
; %bb.326:                              ;   in Loop: Header=BB361_306 Depth=1
	v_or_b32_e32 v4, 0x10000, v0
	v_cmp_eq_u32_sdwa vcc, v0, v11 src0_sel:WORD_0 src1_sel:DWORD
	s_nop 1
	v_cndmask_b32_e32 v7, v4, v0, vcc
; %bb.327:                              ;   in Loop: Header=BB361_306 Depth=1
	s_or_b64 exec, exec, s[0:1]
	v_and_b32_e32 v0, 0x7f800000, v1
	v_cmp_ne_u32_e32 vcc, s15, v0
                                        ; implicit-def: $vgpr6
	s_and_saveexec_b64 s[0:1], vcc
	s_xor_b64 s[0:1], exec, s[0:1]
; %bb.328:                              ;   in Loop: Header=BB361_306 Depth=1
	v_bfe_u32 v0, v1, 16, 1
	v_add3_u32 v6, v1, v0, s20
; %bb.329:                              ;   in Loop: Header=BB361_306 Depth=1
	s_andn2_saveexec_b64 s[0:1], s[0:1]
; %bb.330:                              ;   in Loop: Header=BB361_306 Depth=1
	v_or_b32_e32 v0, 0x10000, v1
	v_cmp_eq_u32_sdwa vcc, v1, v11 src0_sel:WORD_0 src1_sel:DWORD
	s_nop 1
	v_cndmask_b32_e32 v6, v0, v1, vcc
; %bb.331:                              ;   in Loop: Header=BB361_306 Depth=1
	s_or_b64 exec, exec, s[0:1]
	v_and_b32_e32 v0, 0x7f800000, v2
	v_cmp_ne_u32_e32 vcc, s15, v0
                                        ; implicit-def: $vgpr5
	s_and_saveexec_b64 s[0:1], vcc
	s_xor_b64 s[0:1], exec, s[0:1]
; %bb.332:                              ;   in Loop: Header=BB361_306 Depth=1
	v_bfe_u32 v0, v2, 16, 1
	v_add3_u32 v5, v2, v0, s20
; %bb.333:                              ;   in Loop: Header=BB361_306 Depth=1
	s_andn2_saveexec_b64 s[0:1], s[0:1]
; %bb.334:                              ;   in Loop: Header=BB361_306 Depth=1
	v_or_b32_e32 v0, 0x10000, v2
	v_cmp_eq_u32_sdwa vcc, v2, v11 src0_sel:WORD_0 src1_sel:DWORD
	s_nop 1
	v_cndmask_b32_e32 v5, v0, v2, vcc
; %bb.335:                              ;   in Loop: Header=BB361_306 Depth=1
	s_or_b64 exec, exec, s[0:1]
	v_and_b32_e32 v0, 0x7f800000, v3
	v_cmp_ne_u32_e32 vcc, s15, v0
                                        ; implicit-def: $vgpr4
	s_and_saveexec_b64 s[0:1], vcc
	s_xor_b64 s[0:1], exec, s[0:1]
; %bb.336:                              ;   in Loop: Header=BB361_306 Depth=1
	v_bfe_u32 v0, v3, 16, 1
	v_add3_u32 v4, v3, v0, s20
                                        ; implicit-def: $vgpr0_vgpr1_vgpr2_vgpr3
; %bb.337:                              ;   in Loop: Header=BB361_306 Depth=1
	s_andn2_saveexec_b64 s[0:1], s[0:1]
; %bb.338:                              ;   in Loop: Header=BB361_306 Depth=1
	v_or_b32_e32 v0, 0x10000, v3
	v_cmp_eq_u32_sdwa vcc, v3, v11 src0_sel:WORD_0 src1_sel:DWORD
	s_nop 1
	v_cndmask_b32_e32 v4, v0, v3, vcc
; %bb.339:                              ;   in Loop: Header=BB361_306 Depth=1
	s_or_b64 exec, exec, s[0:1]
	scratch_load_dwordx2 v[0:1], off, s32 offset:228 ; 8-byte Folded Reload
	v_accvgpr_read_b32 v2, a22
	v_accvgpr_read_b32 v3, a23
	s_waitcnt vmcnt(0)
	v_mad_i64_i32 v[0:1], s[0:1], v26, v0, v[2:3]
	flat_load_dwordx2 v[2:3], v[0:1]
	scratch_load_dwordx2 v[8:9], off, s32 offset:256 ; 8-byte Folded Reload
	s_waitcnt vmcnt(0)
	flat_load_dword v48, v[8:9]
	s_waitcnt lgkmcnt(0)
	v_and_b32_e32 v8, 0xff, v2
	v_cvt_f32_fp8_sdwa v8, v8 src0_sel:BYTE_0
	s_waitcnt vmcnt(0)
	v_mul_f32_e32 v9, v48, v8
	v_and_b32_e32 v8, 0x7f800000, v9
	v_cmp_ne_u32_e32 vcc, s15, v8
                                        ; implicit-def: $vgpr8
	s_and_saveexec_b64 s[0:1], vcc
	s_xor_b64 s[0:1], exec, s[0:1]
; %bb.340:                              ;   in Loop: Header=BB361_306 Depth=1
	v_bfe_u32 v8, v9, 16, 1
	v_add3_u32 v8, v9, v8, s20
                                        ; implicit-def: $vgpr9
; %bb.341:                              ;   in Loop: Header=BB361_306 Depth=1
	s_andn2_saveexec_b64 s[0:1], s[0:1]
; %bb.342:                              ;   in Loop: Header=BB361_306 Depth=1
	v_or_b32_e32 v8, 0x10000, v9
	v_cmp_eq_u32_sdwa vcc, v9, v11 src0_sel:WORD_0 src1_sel:DWORD
	s_nop 1
	v_cndmask_b32_e32 v8, v8, v9, vcc
; %bb.343:                              ;   in Loop: Header=BB361_306 Depth=1
	s_or_b64 exec, exec, s[0:1]
	v_bfe_u32 v9, v2, 8, 8
	v_cvt_f32_fp8_sdwa v9, v9 src0_sel:BYTE_0
	s_nop 0
	v_mul_f32_e32 v26, v48, v9
	v_and_b32_e32 v9, 0x7f800000, v26
	v_cmp_ne_u32_e32 vcc, s15, v9
                                        ; implicit-def: $vgpr9
	s_and_saveexec_b64 s[0:1], vcc
	s_xor_b64 s[0:1], exec, s[0:1]
; %bb.344:                              ;   in Loop: Header=BB361_306 Depth=1
	v_bfe_u32 v9, v26, 16, 1
	v_add3_u32 v9, v26, v9, s20
                                        ; implicit-def: $vgpr26
; %bb.345:                              ;   in Loop: Header=BB361_306 Depth=1
	s_andn2_saveexec_b64 s[0:1], s[0:1]
; %bb.346:                              ;   in Loop: Header=BB361_306 Depth=1
	v_or_b32_e32 v9, 0x10000, v26
	v_cmp_eq_u32_sdwa vcc, v26, v11 src0_sel:WORD_0 src1_sel:DWORD
	s_nop 1
	v_cndmask_b32_e32 v9, v9, v26, vcc
; %bb.347:                              ;   in Loop: Header=BB361_306 Depth=1
	s_or_b64 exec, exec, s[0:1]
	v_bfe_u32 v23, v2, 16, 8
	v_cvt_f32_fp8_sdwa v23, v23 src0_sel:BYTE_0
                                        ; implicit-def: $vgpr27
	s_nop 0
	v_mul_f32_e32 v26, v48, v23
	v_and_b32_e32 v23, 0x7f800000, v26
	v_cmp_ne_u32_e32 vcc, s15, v23
	s_and_saveexec_b64 s[0:1], vcc
	s_xor_b64 s[0:1], exec, s[0:1]
; %bb.348:                              ;   in Loop: Header=BB361_306 Depth=1
	v_bfe_u32 v23, v26, 16, 1
	v_add3_u32 v27, v26, v23, s20
                                        ; implicit-def: $vgpr26
; %bb.349:                              ;   in Loop: Header=BB361_306 Depth=1
	s_andn2_saveexec_b64 s[0:1], s[0:1]
; %bb.350:                              ;   in Loop: Header=BB361_306 Depth=1
	v_or_b32_e32 v23, 0x10000, v26
	v_cmp_eq_u32_sdwa vcc, v26, v11 src0_sel:WORD_0 src1_sel:DWORD
	s_nop 1
	v_cndmask_b32_e32 v27, v23, v26, vcc
; %bb.351:                              ;   in Loop: Header=BB361_306 Depth=1
	s_or_b64 exec, exec, s[0:1]
	v_lshrrev_b32_e32 v2, 24, v2
	v_cvt_f32_fp8_sdwa v2, v2 src0_sel:BYTE_0
	s_nop 0
	v_mul_f32_e32 v26, v48, v2
	v_and_b32_e32 v2, 0x7f800000, v26
	v_cmp_ne_u32_e32 vcc, s15, v2
                                        ; implicit-def: $vgpr2
	s_and_saveexec_b64 s[0:1], vcc
	s_xor_b64 s[0:1], exec, s[0:1]
; %bb.352:                              ;   in Loop: Header=BB361_306 Depth=1
	v_bfe_u32 v2, v26, 16, 1
	v_add3_u32 v2, v26, v2, s20
                                        ; implicit-def: $vgpr26
; %bb.353:                              ;   in Loop: Header=BB361_306 Depth=1
	s_andn2_saveexec_b64 s[0:1], s[0:1]
; %bb.354:                              ;   in Loop: Header=BB361_306 Depth=1
	v_or_b32_e32 v2, 0x10000, v26
	v_cmp_eq_u32_sdwa vcc, v26, v11 src0_sel:WORD_0 src1_sel:DWORD
	s_nop 1
	v_cndmask_b32_e32 v2, v2, v26, vcc
; %bb.355:                              ;   in Loop: Header=BB361_306 Depth=1
	s_or_b64 exec, exec, s[0:1]
	v_and_b32_e32 v23, 0xff, v3
	v_cvt_f32_fp8_sdwa v23, v23 src0_sel:BYTE_0
                                        ; implicit-def: $vgpr30
	s_nop 0
	v_mul_f32_e32 v26, v48, v23
	v_and_b32_e32 v23, 0x7f800000, v26
	v_cmp_ne_u32_e32 vcc, s15, v23
	s_and_saveexec_b64 s[0:1], vcc
	s_xor_b64 s[0:1], exec, s[0:1]
; %bb.356:                              ;   in Loop: Header=BB361_306 Depth=1
	v_bfe_u32 v23, v26, 16, 1
	v_add3_u32 v30, v26, v23, s20
                                        ; implicit-def: $vgpr26
; %bb.357:                              ;   in Loop: Header=BB361_306 Depth=1
	s_andn2_saveexec_b64 s[0:1], s[0:1]
; %bb.358:                              ;   in Loop: Header=BB361_306 Depth=1
	v_or_b32_e32 v23, 0x10000, v26
	v_cmp_eq_u32_sdwa vcc, v26, v11 src0_sel:WORD_0 src1_sel:DWORD
	s_nop 1
	v_cndmask_b32_e32 v30, v23, v26, vcc
; %bb.359:                              ;   in Loop: Header=BB361_306 Depth=1
	s_or_b64 exec, exec, s[0:1]
	v_bfe_u32 v23, v3, 8, 8
	v_cvt_f32_fp8_sdwa v23, v23 src0_sel:BYTE_0
                                        ; implicit-def: $vgpr26
	s_nop 0
	v_mul_f32_e32 v28, v48, v23
	v_and_b32_e32 v23, 0x7f800000, v28
	v_cmp_ne_u32_e32 vcc, s15, v23
	s_and_saveexec_b64 s[0:1], vcc
	s_xor_b64 s[0:1], exec, s[0:1]
; %bb.360:                              ;   in Loop: Header=BB361_306 Depth=1
	v_bfe_u32 v23, v28, 16, 1
	v_add3_u32 v26, v28, v23, s20
                                        ; implicit-def: $vgpr28
; %bb.361:                              ;   in Loop: Header=BB361_306 Depth=1
	s_andn2_saveexec_b64 s[0:1], s[0:1]
; %bb.362:                              ;   in Loop: Header=BB361_306 Depth=1
	v_or_b32_e32 v23, 0x10000, v28
	v_cmp_eq_u32_sdwa vcc, v28, v11 src0_sel:WORD_0 src1_sel:DWORD
	s_nop 1
	v_cndmask_b32_e32 v26, v23, v28, vcc
; %bb.363:                              ;   in Loop: Header=BB361_306 Depth=1
	s_or_b64 exec, exec, s[0:1]
	v_bfe_u32 v23, v3, 16, 8
	v_cvt_f32_fp8_sdwa v23, v23 src0_sel:BYTE_0
                                        ; implicit-def: $vgpr32
	s_nop 0
	v_mul_f32_e32 v28, v48, v23
	v_and_b32_e32 v23, 0x7f800000, v28
	v_cmp_ne_u32_e32 vcc, s15, v23
	s_and_saveexec_b64 s[0:1], vcc
	s_xor_b64 s[0:1], exec, s[0:1]
; %bb.364:                              ;   in Loop: Header=BB361_306 Depth=1
	v_bfe_u32 v23, v28, 16, 1
	v_add3_u32 v32, v28, v23, s20
                                        ; implicit-def: $vgpr28
; %bb.365:                              ;   in Loop: Header=BB361_306 Depth=1
	s_andn2_saveexec_b64 s[0:1], s[0:1]
; %bb.366:                              ;   in Loop: Header=BB361_306 Depth=1
	v_or_b32_e32 v23, 0x10000, v28
	v_cmp_eq_u32_sdwa vcc, v28, v11 src0_sel:WORD_0 src1_sel:DWORD
	s_nop 1
	v_cndmask_b32_e32 v32, v23, v28, vcc
; %bb.367:                              ;   in Loop: Header=BB361_306 Depth=1
	s_or_b64 exec, exec, s[0:1]
	v_lshrrev_b32_e32 v3, 24, v3
	v_cvt_f32_fp8_sdwa v3, v3 src0_sel:BYTE_0
                                        ; implicit-def: $vgpr33
	s_nop 0
	v_mul_f32_e32 v3, v48, v3
	v_and_b32_e32 v23, 0x7f800000, v3
	v_cmp_ne_u32_e32 vcc, s15, v23
	s_and_saveexec_b64 s[0:1], vcc
	s_xor_b64 s[0:1], exec, s[0:1]
; %bb.368:                              ;   in Loop: Header=BB361_306 Depth=1
	v_bfe_u32 v23, v3, 16, 1
	v_add3_u32 v33, v3, v23, s20
                                        ; implicit-def: $vgpr3
; %bb.369:                              ;   in Loop: Header=BB361_306 Depth=1
	s_andn2_saveexec_b64 s[0:1], s[0:1]
; %bb.370:                              ;   in Loop: Header=BB361_306 Depth=1
	v_or_b32_e32 v23, 0x10000, v3
	v_cmp_eq_u32_sdwa vcc, v3, v11 src0_sel:WORD_0 src1_sel:DWORD
	s_nop 1
	v_cndmask_b32_e32 v33, v23, v3, vcc
; %bb.371:                              ;   in Loop: Header=BB361_306 Depth=1
	s_or_b64 exec, exec, s[0:1]
	v_accvgpr_read_b32 v28, a12
	v_accvgpr_read_b32 v3, a20
	v_cmp_eq_u32_e32 vcc, v3, v28
	v_accvgpr_read_b32 v3, a13
	v_accvgpr_read_b32 v23, a19
	v_add_u32_e32 v52, v23, v3
	v_add_u32_e32 v23, 1, v52
	v_accvgpr_write_b32 a35, v23
	v_add_u32_e32 v23, 2, v52
	v_accvgpr_write_b32 a34, v23
	;; [unrolled: 2-line block ×6, first 2 shown]
	v_add_u32_e32 v23, 7, v52
	v_lshrrev_b32_e32 v26, 16, v26
	v_lshrrev_b32_e32 v30, 16, v30
	;; [unrolled: 1-line block ×8, first 2 shown]
	v_accvgpr_write_b32 a29, v23
	s_and_saveexec_b64 s[12:13], vcc
	s_cbranch_execz .LBB361_373
; %bb.372:                              ;   in Loop: Header=BB361_306 Depth=1
	scratch_load_dword v23, off, s32 offset:196 ; 4-byte Folded Reload
	v_accvgpr_read_b32 v28, a35
	s_waitcnt vmcnt(0)
	v_cmp_lt_i32_e64 s[0:1], v52, v23
	s_nop 1
	v_cndmask_b32_e64 v8, 0, v8, s[0:1]
	v_cmp_lt_i32_e64 s[0:1], v28, v23
	v_accvgpr_read_b32 v28, a34
	s_nop 0
	v_cndmask_b32_e64 v9, 0, v9, s[0:1]
	v_cmp_lt_i32_e64 s[0:1], v28, v23
	v_accvgpr_read_b32 v28, a33
	s_nop 0
	v_cndmask_b32_e64 v27, 0, v27, s[0:1]
	v_cmp_lt_i32_e64 s[0:1], v28, v23
	v_accvgpr_read_b32 v28, a32
	s_nop 0
	v_cndmask_b32_e64 v31, 0, v31, s[0:1]
	v_cmp_lt_i32_e64 s[0:1], v28, v23
	v_accvgpr_read_b32 v28, a31
	s_nop 0
	v_cndmask_b32_e64 v30, 0, v30, s[0:1]
	v_cmp_lt_i32_e64 s[0:1], v28, v23
	v_accvgpr_read_b32 v28, a30
	s_nop 0
	v_cndmask_b32_e64 v26, 0, v26, s[0:1]
	v_cmp_lt_i32_e64 s[0:1], v28, v23
	v_accvgpr_read_b32 v28, a29
	s_nop 0
	v_cndmask_b32_e64 v3, 0, v3, s[0:1]
	v_cmp_lt_i32_e64 s[0:1], v28, v23
	s_nop 1
	v_cndmask_b32_e64 v2, 0, v2, s[0:1]
.LBB361_373:                            ;   in Loop: Header=BB361_306 Depth=1
	s_or_b64 exec, exec, s[12:13]
	v_and_b32_e32 v47, 0xffff0000, v22
	v_lshlrev_b32_e32 v8, 16, v8
	v_mul_f32_e32 v8, v47, v8
	v_and_b32_e32 v22, 0x7f800000, v8
	v_cmp_ne_u32_e64 s[0:1], s15, v22
                                        ; implicit-def: $vgpr23
	s_and_saveexec_b64 s[12:13], s[0:1]
	s_xor_b64 s[0:1], exec, s[12:13]
; %bb.374:                              ;   in Loop: Header=BB361_306 Depth=1
	v_bfe_u32 v22, v8, 16, 1
	v_add3_u32 v23, v8, v22, s20
                                        ; implicit-def: $vgpr8
; %bb.375:                              ;   in Loop: Header=BB361_306 Depth=1
	s_andn2_saveexec_b64 s[12:13], s[0:1]
; %bb.376:                              ;   in Loop: Header=BB361_306 Depth=1
	v_or_b32_e32 v22, 0x10000, v8
	v_cmp_eq_u32_sdwa s[0:1], v8, v11 src0_sel:WORD_0 src1_sel:DWORD
	s_nop 1
	v_cndmask_b32_e64 v23, v22, v8, s[0:1]
; %bb.377:                              ;   in Loop: Header=BB361_306 Depth=1
	s_or_b64 exec, exec, s[12:13]
	v_and_b32_e32 v56, 0xffff0000, v21
	v_lshlrev_b32_e32 v8, 16, v9
	v_mul_f32_e32 v8, v56, v8
	v_and_b32_e32 v9, 0x7f800000, v8
	v_cmp_ne_u32_e64 s[0:1], s15, v9
                                        ; implicit-def: $vgpr28
	s_and_saveexec_b64 s[12:13], s[0:1]
	s_xor_b64 s[0:1], exec, s[12:13]
; %bb.378:                              ;   in Loop: Header=BB361_306 Depth=1
	v_bfe_u32 v9, v8, 16, 1
	v_add3_u32 v28, v8, v9, s20
                                        ; implicit-def: $vgpr8
; %bb.379:                              ;   in Loop: Header=BB361_306 Depth=1
	s_andn2_saveexec_b64 s[12:13], s[0:1]
; %bb.380:                              ;   in Loop: Header=BB361_306 Depth=1
	v_or_b32_e32 v9, 0x10000, v8
	v_cmp_eq_u32_sdwa s[0:1], v8, v11 src0_sel:WORD_0 src1_sel:DWORD
	s_nop 1
	v_cndmask_b32_e64 v28, v9, v8, s[0:1]
; %bb.381:                              ;   in Loop: Header=BB361_306 Depth=1
	s_or_b64 exec, exec, s[12:13]
	v_and_b32_e32 v57, 0xffff0000, v20
	v_lshlrev_b32_e32 v8, 16, v27
	v_mul_f32_e32 v8, v57, v8
	v_and_b32_e32 v9, 0x7f800000, v8
	v_cmp_ne_u32_e64 s[0:1], s15, v9
                                        ; implicit-def: $agpr15
	s_and_saveexec_b64 s[12:13], s[0:1]
	s_xor_b64 s[0:1], exec, s[12:13]
; %bb.382:                              ;   in Loop: Header=BB361_306 Depth=1
	v_bfe_u32 v9, v8, 16, 1
	v_add3_u32 v8, v8, v9, s20
	v_accvgpr_write_b32 a15, v8
                                        ; implicit-def: $vgpr8
; %bb.383:                              ;   in Loop: Header=BB361_306 Depth=1
	s_andn2_saveexec_b64 s[12:13], s[0:1]
; %bb.384:                              ;   in Loop: Header=BB361_306 Depth=1
	v_or_b32_e32 v9, 0x10000, v8
	v_cmp_eq_u32_sdwa s[0:1], v8, v11 src0_sel:WORD_0 src1_sel:DWORD
	s_nop 1
	v_cndmask_b32_e64 v8, v9, v8, s[0:1]
	v_accvgpr_write_b32 a15, v8
; %bb.385:                              ;   in Loop: Header=BB361_306 Depth=1
	s_or_b64 exec, exec, s[12:13]
	v_and_b32_e32 v58, 0xffff0000, v10
	v_lshlrev_b32_e32 v8, 16, v31
	v_mul_f32_e32 v8, v58, v8
	v_and_b32_e32 v9, 0x7f800000, v8
	v_cmp_ne_u32_e64 s[0:1], s15, v9
                                        ; implicit-def: $agpr21
	s_and_saveexec_b64 s[12:13], s[0:1]
	s_xor_b64 s[0:1], exec, s[12:13]
; %bb.386:                              ;   in Loop: Header=BB361_306 Depth=1
	v_bfe_u32 v9, v8, 16, 1
	v_add3_u32 v8, v8, v9, s20
	v_accvgpr_write_b32 a21, v8
                                        ; implicit-def: $vgpr8
; %bb.387:                              ;   in Loop: Header=BB361_306 Depth=1
	s_andn2_saveexec_b64 s[12:13], s[0:1]
; %bb.388:                              ;   in Loop: Header=BB361_306 Depth=1
	v_or_b32_e32 v9, 0x10000, v8
	v_cmp_eq_u32_sdwa s[0:1], v8, v11 src0_sel:WORD_0 src1_sel:DWORD
	s_nop 1
	v_cndmask_b32_e64 v8, v9, v8, s[0:1]
	v_accvgpr_write_b32 a21, v8
; %bb.389:                              ;   in Loop: Header=BB361_306 Depth=1
	s_or_b64 exec, exec, s[12:13]
	v_and_b32_e32 v59, 0xffff0000, v7
	v_lshlrev_b32_e32 v7, 16, v30
	v_mul_f32_e32 v7, v59, v7
	v_and_b32_e32 v8, 0x7f800000, v7
	v_cmp_ne_u32_e64 s[0:1], s15, v8
                                        ; implicit-def: $agpr25
	s_and_saveexec_b64 s[12:13], s[0:1]
	s_xor_b64 s[0:1], exec, s[12:13]
; %bb.390:                              ;   in Loop: Header=BB361_306 Depth=1
	v_bfe_u32 v8, v7, 16, 1
	v_add3_u32 v7, v7, v8, s20
	v_accvgpr_write_b32 a25, v7
                                        ; implicit-def: $vgpr7
; %bb.391:                              ;   in Loop: Header=BB361_306 Depth=1
	s_andn2_saveexec_b64 s[12:13], s[0:1]
; %bb.392:                              ;   in Loop: Header=BB361_306 Depth=1
	v_or_b32_e32 v8, 0x10000, v7
	v_cmp_eq_u32_sdwa s[0:1], v7, v11 src0_sel:WORD_0 src1_sel:DWORD
	s_nop 1
	v_cndmask_b32_e64 v7, v8, v7, s[0:1]
	v_accvgpr_write_b32 a25, v7
; %bb.393:                              ;   in Loop: Header=BB361_306 Depth=1
	s_or_b64 exec, exec, s[12:13]
	v_and_b32_e32 v60, 0xffff0000, v6
	v_lshlrev_b32_e32 v6, 16, v26
	v_mul_f32_e32 v6, v60, v6
	v_and_b32_e32 v7, 0x7f800000, v6
	v_cmp_ne_u32_e64 s[0:1], s15, v7
                                        ; implicit-def: $agpr26
	s_and_saveexec_b64 s[12:13], s[0:1]
	s_xor_b64 s[0:1], exec, s[12:13]
; %bb.394:                              ;   in Loop: Header=BB361_306 Depth=1
	v_bfe_u32 v7, v6, 16, 1
	v_add3_u32 v6, v6, v7, s20
	v_accvgpr_write_b32 a26, v6
                                        ; implicit-def: $vgpr6
; %bb.395:                              ;   in Loop: Header=BB361_306 Depth=1
	s_andn2_saveexec_b64 s[12:13], s[0:1]
; %bb.396:                              ;   in Loop: Header=BB361_306 Depth=1
	v_or_b32_e32 v7, 0x10000, v6
	v_cmp_eq_u32_sdwa s[0:1], v6, v11 src0_sel:WORD_0 src1_sel:DWORD
	s_nop 1
	v_cndmask_b32_e64 v6, v7, v6, s[0:1]
	v_accvgpr_write_b32 a26, v6
; %bb.397:                              ;   in Loop: Header=BB361_306 Depth=1
	s_or_b64 exec, exec, s[12:13]
	v_and_b32_e32 v61, 0xffff0000, v5
	v_lshlrev_b32_e32 v3, 16, v3
	v_mul_f32_e32 v3, v61, v3
	v_and_b32_e32 v5, 0x7f800000, v3
	v_cmp_ne_u32_e64 s[0:1], s15, v5
                                        ; implicit-def: $agpr27
	s_and_saveexec_b64 s[12:13], s[0:1]
	s_xor_b64 s[0:1], exec, s[12:13]
; %bb.398:                              ;   in Loop: Header=BB361_306 Depth=1
	v_bfe_u32 v5, v3, 16, 1
	v_add3_u32 v3, v3, v5, s20
	v_accvgpr_write_b32 a27, v3
                                        ; implicit-def: $vgpr3
; %bb.399:                              ;   in Loop: Header=BB361_306 Depth=1
	s_andn2_saveexec_b64 s[12:13], s[0:1]
; %bb.400:                              ;   in Loop: Header=BB361_306 Depth=1
	v_or_b32_e32 v5, 0x10000, v3
	v_cmp_eq_u32_sdwa s[0:1], v3, v11 src0_sel:WORD_0 src1_sel:DWORD
	s_nop 1
	v_cndmask_b32_e64 v3, v5, v3, s[0:1]
	v_accvgpr_write_b32 a27, v3
; %bb.401:                              ;   in Loop: Header=BB361_306 Depth=1
	s_or_b64 exec, exec, s[12:13]
	v_and_b32_e32 v35, 0xffff0000, v4
	v_lshlrev_b32_e32 v2, 16, v2
	v_mul_f32_e32 v2, v35, v2
	v_and_b32_e32 v3, 0x7f800000, v2
	v_cmp_ne_u32_e64 s[0:1], s15, v3
                                        ; implicit-def: $agpr28
	s_and_saveexec_b64 s[12:13], s[0:1]
	s_xor_b64 s[0:1], exec, s[12:13]
; %bb.402:                              ;   in Loop: Header=BB361_306 Depth=1
	v_bfe_u32 v3, v2, 16, 1
	v_add3_u32 v2, v2, v3, s20
	v_accvgpr_write_b32 a28, v2
                                        ; implicit-def: $vgpr2
; %bb.403:                              ;   in Loop: Header=BB361_306 Depth=1
	s_andn2_saveexec_b64 s[12:13], s[0:1]
; %bb.404:                              ;   in Loop: Header=BB361_306 Depth=1
	v_or_b32_e32 v3, 0x10000, v2
	v_cmp_eq_u32_sdwa s[0:1], v2, v11 src0_sel:WORD_0 src1_sel:DWORD
	s_nop 1
	v_cndmask_b32_e64 v2, v3, v2, s[0:1]
	v_accvgpr_write_b32 a28, v2
; %bb.405:                              ;   in Loop: Header=BB361_306 Depth=1
	s_or_b64 exec, exec, s[12:13]
	flat_load_dwordx2 v[2:3], v[0:1] offset:512
	s_waitcnt vmcnt(0) lgkmcnt(0)
	v_and_b32_e32 v4, 0xff, v2
	v_cvt_f32_fp8_sdwa v4, v4 src0_sel:BYTE_0
	s_nop 0
	v_mul_f32_e32 v5, v48, v4
	v_and_b32_e32 v4, 0x7f800000, v5
	v_cmp_ne_u32_e64 s[0:1], s15, v4
                                        ; implicit-def: $vgpr4
	s_and_saveexec_b64 s[12:13], s[0:1]
	s_xor_b64 s[0:1], exec, s[12:13]
; %bb.406:                              ;   in Loop: Header=BB361_306 Depth=1
	v_bfe_u32 v4, v5, 16, 1
	v_add3_u32 v4, v5, v4, s20
                                        ; implicit-def: $vgpr5
; %bb.407:                              ;   in Loop: Header=BB361_306 Depth=1
	s_andn2_saveexec_b64 s[12:13], s[0:1]
; %bb.408:                              ;   in Loop: Header=BB361_306 Depth=1
	v_or_b32_e32 v4, 0x10000, v5
	v_cmp_eq_u32_sdwa s[0:1], v5, v11 src0_sel:WORD_0 src1_sel:DWORD
	s_nop 1
	v_cndmask_b32_e64 v4, v4, v5, s[0:1]
; %bb.409:                              ;   in Loop: Header=BB361_306 Depth=1
	s_or_b64 exec, exec, s[12:13]
	v_bfe_u32 v5, v2, 8, 8
	v_cvt_f32_fp8_sdwa v5, v5 src0_sel:BYTE_0
	s_nop 0
	v_mul_f32_e32 v6, v48, v5
	v_and_b32_e32 v5, 0x7f800000, v6
	v_cmp_ne_u32_e64 s[0:1], s15, v5
                                        ; implicit-def: $vgpr5
	s_and_saveexec_b64 s[12:13], s[0:1]
	s_xor_b64 s[0:1], exec, s[12:13]
; %bb.410:                              ;   in Loop: Header=BB361_306 Depth=1
	v_bfe_u32 v5, v6, 16, 1
	v_add3_u32 v5, v6, v5, s20
                                        ; implicit-def: $vgpr6
; %bb.411:                              ;   in Loop: Header=BB361_306 Depth=1
	s_andn2_saveexec_b64 s[12:13], s[0:1]
; %bb.412:                              ;   in Loop: Header=BB361_306 Depth=1
	v_or_b32_e32 v5, 0x10000, v6
	v_cmp_eq_u32_sdwa s[0:1], v6, v11 src0_sel:WORD_0 src1_sel:DWORD
	s_nop 1
	v_cndmask_b32_e64 v5, v5, v6, s[0:1]
; %bb.413:                              ;   in Loop: Header=BB361_306 Depth=1
	s_or_b64 exec, exec, s[12:13]
	v_bfe_u32 v6, v2, 16, 8
	v_cvt_f32_fp8_sdwa v6, v6 src0_sel:BYTE_0
	s_nop 0
	v_mul_f32_e32 v6, v48, v6
	v_and_b32_e32 v7, 0x7f800000, v6
	v_cmp_ne_u32_e64 s[0:1], s15, v7
                                        ; implicit-def: $vgpr7
	s_and_saveexec_b64 s[12:13], s[0:1]
	s_xor_b64 s[0:1], exec, s[12:13]
; %bb.414:                              ;   in Loop: Header=BB361_306 Depth=1
	v_bfe_u32 v7, v6, 16, 1
	v_add3_u32 v7, v6, v7, s20
                                        ; implicit-def: $vgpr6
; %bb.415:                              ;   in Loop: Header=BB361_306 Depth=1
	s_andn2_saveexec_b64 s[12:13], s[0:1]
; %bb.416:                              ;   in Loop: Header=BB361_306 Depth=1
	v_or_b32_e32 v7, 0x10000, v6
	v_cmp_eq_u32_sdwa s[0:1], v6, v11 src0_sel:WORD_0 src1_sel:DWORD
	s_nop 1
	v_cndmask_b32_e64 v7, v7, v6, s[0:1]
; %bb.417:                              ;   in Loop: Header=BB361_306 Depth=1
	s_or_b64 exec, exec, s[12:13]
	v_lshrrev_b32_e32 v2, 24, v2
	v_cvt_f32_fp8_sdwa v2, v2 src0_sel:BYTE_0
	s_nop 0
	v_mul_f32_e32 v6, v48, v2
	v_and_b32_e32 v2, 0x7f800000, v6
	v_cmp_ne_u32_e64 s[0:1], s15, v2
                                        ; implicit-def: $vgpr2
	s_and_saveexec_b64 s[12:13], s[0:1]
	s_xor_b64 s[0:1], exec, s[12:13]
; %bb.418:                              ;   in Loop: Header=BB361_306 Depth=1
	v_bfe_u32 v2, v6, 16, 1
	v_add3_u32 v2, v6, v2, s20
                                        ; implicit-def: $vgpr6
; %bb.419:                              ;   in Loop: Header=BB361_306 Depth=1
	s_andn2_saveexec_b64 s[12:13], s[0:1]
; %bb.420:                              ;   in Loop: Header=BB361_306 Depth=1
	v_or_b32_e32 v2, 0x10000, v6
	v_cmp_eq_u32_sdwa s[0:1], v6, v11 src0_sel:WORD_0 src1_sel:DWORD
	s_nop 1
	v_cndmask_b32_e64 v2, v2, v6, s[0:1]
; %bb.421:                              ;   in Loop: Header=BB361_306 Depth=1
	s_or_b64 exec, exec, s[12:13]
	v_and_b32_e32 v6, 0xff, v3
	v_cvt_f32_fp8_sdwa v6, v6 src0_sel:BYTE_0
	s_nop 0
	v_mul_f32_e32 v6, v48, v6
	v_and_b32_e32 v8, 0x7f800000, v6
	v_cmp_ne_u32_e64 s[0:1], s15, v8
                                        ; implicit-def: $vgpr8
	s_and_saveexec_b64 s[12:13], s[0:1]
	s_xor_b64 s[0:1], exec, s[12:13]
; %bb.422:                              ;   in Loop: Header=BB361_306 Depth=1
	v_bfe_u32 v8, v6, 16, 1
	v_add3_u32 v8, v6, v8, s20
                                        ; implicit-def: $vgpr6
; %bb.423:                              ;   in Loop: Header=BB361_306 Depth=1
	s_andn2_saveexec_b64 s[12:13], s[0:1]
; %bb.424:                              ;   in Loop: Header=BB361_306 Depth=1
	v_or_b32_e32 v8, 0x10000, v6
	v_cmp_eq_u32_sdwa s[0:1], v6, v11 src0_sel:WORD_0 src1_sel:DWORD
	s_nop 1
	v_cndmask_b32_e64 v8, v8, v6, s[0:1]
; %bb.425:                              ;   in Loop: Header=BB361_306 Depth=1
	s_or_b64 exec, exec, s[12:13]
	v_bfe_u32 v6, v3, 8, 8
	v_cvt_f32_fp8_sdwa v6, v6 src0_sel:BYTE_0
	s_nop 0
	v_mul_f32_e32 v9, v48, v6
	v_and_b32_e32 v6, 0x7f800000, v9
	v_cmp_ne_u32_e64 s[0:1], s15, v6
                                        ; implicit-def: $vgpr6
	s_and_saveexec_b64 s[12:13], s[0:1]
	s_xor_b64 s[0:1], exec, s[12:13]
; %bb.426:                              ;   in Loop: Header=BB361_306 Depth=1
	v_bfe_u32 v6, v9, 16, 1
	v_add3_u32 v6, v9, v6, s20
                                        ; implicit-def: $vgpr9
; %bb.427:                              ;   in Loop: Header=BB361_306 Depth=1
	s_andn2_saveexec_b64 s[12:13], s[0:1]
; %bb.428:                              ;   in Loop: Header=BB361_306 Depth=1
	v_or_b32_e32 v6, 0x10000, v9
	v_cmp_eq_u32_sdwa s[0:1], v9, v11 src0_sel:WORD_0 src1_sel:DWORD
	s_nop 1
	v_cndmask_b32_e64 v6, v6, v9, s[0:1]
; %bb.429:                              ;   in Loop: Header=BB361_306 Depth=1
	s_or_b64 exec, exec, s[12:13]
	v_bfe_u32 v9, v3, 16, 8
	v_cvt_f32_fp8_sdwa v9, v9 src0_sel:BYTE_0
	s_nop 0
	v_mul_f32_e32 v9, v48, v9
	v_and_b32_e32 v10, 0x7f800000, v9
	v_cmp_ne_u32_e64 s[0:1], s15, v10
                                        ; implicit-def: $vgpr10
	s_and_saveexec_b64 s[12:13], s[0:1]
	s_xor_b64 s[0:1], exec, s[12:13]
; %bb.430:                              ;   in Loop: Header=BB361_306 Depth=1
	v_bfe_u32 v10, v9, 16, 1
	v_add3_u32 v10, v9, v10, s20
                                        ; implicit-def: $vgpr9
; %bb.431:                              ;   in Loop: Header=BB361_306 Depth=1
	s_andn2_saveexec_b64 s[12:13], s[0:1]
; %bb.432:                              ;   in Loop: Header=BB361_306 Depth=1
	v_or_b32_e32 v10, 0x10000, v9
	v_cmp_eq_u32_sdwa s[0:1], v9, v11 src0_sel:WORD_0 src1_sel:DWORD
	s_nop 1
	v_cndmask_b32_e64 v10, v10, v9, s[0:1]
; %bb.433:                              ;   in Loop: Header=BB361_306 Depth=1
	s_or_b64 exec, exec, s[12:13]
	v_lshrrev_b32_e32 v3, 24, v3
	v_cvt_f32_fp8_sdwa v3, v3 src0_sel:BYTE_0
                                        ; implicit-def: $vgpr20
	s_nop 0
	v_mul_f32_e32 v3, v48, v3
	v_and_b32_e32 v9, 0x7f800000, v3
	v_cmp_ne_u32_e64 s[0:1], s15, v9
	s_and_saveexec_b64 s[12:13], s[0:1]
	s_xor_b64 s[0:1], exec, s[12:13]
; %bb.434:                              ;   in Loop: Header=BB361_306 Depth=1
	v_bfe_u32 v9, v3, 16, 1
	v_add3_u32 v20, v3, v9, s20
                                        ; implicit-def: $vgpr3
; %bb.435:                              ;   in Loop: Header=BB361_306 Depth=1
	s_andn2_saveexec_b64 s[12:13], s[0:1]
; %bb.436:                              ;   in Loop: Header=BB361_306 Depth=1
	v_or_b32_e32 v9, 0x10000, v3
	v_cmp_eq_u32_sdwa s[0:1], v3, v11 src0_sel:WORD_0 src1_sel:DWORD
	s_nop 1
	v_cndmask_b32_e64 v20, v9, v3, s[0:1]
; %bb.437:                              ;   in Loop: Header=BB361_306 Depth=1
	s_or_b64 exec, exec, s[12:13]
	v_lshrrev_b32_e32 v6, 16, v6
	v_lshrrev_b32_e32 v8, 16, v8
	;; [unrolled: 1-line block ×8, first 2 shown]
	s_and_saveexec_b64 s[12:13], vcc
	s_cbranch_execz .LBB361_439
; %bb.438:                              ;   in Loop: Header=BB361_306 Depth=1
	scratch_load_dword v10, off, s32 offset:196 ; 4-byte Folded Reload
	v_accvgpr_read_b32 v20, a35
	s_waitcnt vmcnt(0)
	v_cmp_lt_i32_e64 s[0:1], v52, v10
	s_nop 1
	v_cndmask_b32_e64 v4, 0, v4, s[0:1]
	v_cmp_lt_i32_e64 s[0:1], v20, v10
	v_accvgpr_read_b32 v20, a34
	s_nop 0
	v_cndmask_b32_e64 v5, 0, v5, s[0:1]
	v_cmp_lt_i32_e64 s[0:1], v20, v10
	v_accvgpr_read_b32 v20, a33
	;; [unrolled: 4-line block ×6, first 2 shown]
	s_nop 0
	v_cndmask_b32_e64 v3, 0, v3, s[0:1]
	v_cmp_lt_i32_e64 s[0:1], v20, v10
	s_nop 1
	v_cndmask_b32_e64 v2, 0, v2, s[0:1]
.LBB361_439:                            ;   in Loop: Header=BB361_306 Depth=1
	s_or_b64 exec, exec, s[12:13]
	v_lshlrev_b32_e32 v4, 16, v4
	v_mul_f32_e32 v4, v47, v4
	v_and_b32_e32 v10, 0x7f800000, v4
	v_cmp_ne_u32_e64 s[0:1], s15, v10
                                        ; implicit-def: $agpr36
	s_and_saveexec_b64 s[12:13], s[0:1]
	s_xor_b64 s[0:1], exec, s[12:13]
; %bb.440:                              ;   in Loop: Header=BB361_306 Depth=1
	v_bfe_u32 v10, v4, 16, 1
	v_add3_u32 v4, v4, v10, s20
	v_accvgpr_write_b32 a36, v4
                                        ; implicit-def: $vgpr4
; %bb.441:                              ;   in Loop: Header=BB361_306 Depth=1
	s_andn2_saveexec_b64 s[12:13], s[0:1]
; %bb.442:                              ;   in Loop: Header=BB361_306 Depth=1
	v_or_b32_e32 v10, 0x10000, v4
	v_cmp_eq_u32_sdwa s[0:1], v4, v11 src0_sel:WORD_0 src1_sel:DWORD
	s_nop 1
	v_cndmask_b32_e64 v4, v10, v4, s[0:1]
	v_accvgpr_write_b32 a36, v4
; %bb.443:                              ;   in Loop: Header=BB361_306 Depth=1
	s_or_b64 exec, exec, s[12:13]
	v_lshlrev_b32_e32 v4, 16, v5
	v_mul_f32_e32 v4, v56, v4
	v_and_b32_e32 v5, 0x7f800000, v4
	v_cmp_ne_u32_e64 s[0:1], s15, v5
                                        ; implicit-def: $agpr37
	s_and_saveexec_b64 s[12:13], s[0:1]
	s_xor_b64 s[0:1], exec, s[12:13]
; %bb.444:                              ;   in Loop: Header=BB361_306 Depth=1
	v_bfe_u32 v5, v4, 16, 1
	v_add3_u32 v4, v4, v5, s20
	v_accvgpr_write_b32 a37, v4
                                        ; implicit-def: $vgpr4
; %bb.445:                              ;   in Loop: Header=BB361_306 Depth=1
	s_andn2_saveexec_b64 s[12:13], s[0:1]
; %bb.446:                              ;   in Loop: Header=BB361_306 Depth=1
	v_or_b32_e32 v5, 0x10000, v4
	v_cmp_eq_u32_sdwa s[0:1], v4, v11 src0_sel:WORD_0 src1_sel:DWORD
	s_nop 1
	v_cndmask_b32_e64 v4, v5, v4, s[0:1]
	v_accvgpr_write_b32 a37, v4
; %bb.447:                              ;   in Loop: Header=BB361_306 Depth=1
	s_or_b64 exec, exec, s[12:13]
	v_lshlrev_b32_e32 v4, 16, v7
	v_mul_f32_e32 v4, v57, v4
	v_and_b32_e32 v5, 0x7f800000, v4
	v_cmp_ne_u32_e64 s[0:1], s15, v5
                                        ; implicit-def: $agpr38
	s_and_saveexec_b64 s[12:13], s[0:1]
	s_xor_b64 s[0:1], exec, s[12:13]
; %bb.448:                              ;   in Loop: Header=BB361_306 Depth=1
	v_bfe_u32 v5, v4, 16, 1
	v_add3_u32 v4, v4, v5, s20
	v_accvgpr_write_b32 a38, v4
                                        ; implicit-def: $vgpr4
; %bb.449:                              ;   in Loop: Header=BB361_306 Depth=1
	s_andn2_saveexec_b64 s[12:13], s[0:1]
; %bb.450:                              ;   in Loop: Header=BB361_306 Depth=1
	v_or_b32_e32 v5, 0x10000, v4
	v_cmp_eq_u32_sdwa s[0:1], v4, v11 src0_sel:WORD_0 src1_sel:DWORD
	s_nop 1
	v_cndmask_b32_e64 v4, v5, v4, s[0:1]
	v_accvgpr_write_b32 a38, v4
; %bb.451:                              ;   in Loop: Header=BB361_306 Depth=1
	s_or_b64 exec, exec, s[12:13]
	v_lshlrev_b32_e32 v4, 16, v9
	v_mul_f32_e32 v4, v58, v4
	v_and_b32_e32 v5, 0x7f800000, v4
	v_cmp_ne_u32_e64 s[0:1], s15, v5
                                        ; implicit-def: $agpr39
	s_and_saveexec_b64 s[12:13], s[0:1]
	s_xor_b64 s[0:1], exec, s[12:13]
; %bb.452:                              ;   in Loop: Header=BB361_306 Depth=1
	v_bfe_u32 v5, v4, 16, 1
	v_add3_u32 v4, v4, v5, s20
	v_accvgpr_write_b32 a39, v4
                                        ; implicit-def: $vgpr4
; %bb.453:                              ;   in Loop: Header=BB361_306 Depth=1
	s_andn2_saveexec_b64 s[12:13], s[0:1]
; %bb.454:                              ;   in Loop: Header=BB361_306 Depth=1
	v_or_b32_e32 v5, 0x10000, v4
	v_cmp_eq_u32_sdwa s[0:1], v4, v11 src0_sel:WORD_0 src1_sel:DWORD
	s_nop 1
	v_cndmask_b32_e64 v4, v5, v4, s[0:1]
	v_accvgpr_write_b32 a39, v4
; %bb.455:                              ;   in Loop: Header=BB361_306 Depth=1
	s_or_b64 exec, exec, s[12:13]
	v_lshlrev_b32_e32 v4, 16, v8
	v_mul_f32_e32 v4, v59, v4
	v_and_b32_e32 v5, 0x7f800000, v4
	v_cmp_ne_u32_e64 s[0:1], s15, v5
                                        ; implicit-def: $agpr40
	s_and_saveexec_b64 s[12:13], s[0:1]
	s_xor_b64 s[0:1], exec, s[12:13]
; %bb.456:                              ;   in Loop: Header=BB361_306 Depth=1
	v_bfe_u32 v5, v4, 16, 1
	v_add3_u32 v4, v4, v5, s20
	v_accvgpr_write_b32 a40, v4
                                        ; implicit-def: $vgpr4
; %bb.457:                              ;   in Loop: Header=BB361_306 Depth=1
	s_andn2_saveexec_b64 s[12:13], s[0:1]
; %bb.458:                              ;   in Loop: Header=BB361_306 Depth=1
	v_or_b32_e32 v5, 0x10000, v4
	v_cmp_eq_u32_sdwa s[0:1], v4, v11 src0_sel:WORD_0 src1_sel:DWORD
	s_nop 1
	v_cndmask_b32_e64 v4, v5, v4, s[0:1]
	v_accvgpr_write_b32 a40, v4
; %bb.459:                              ;   in Loop: Header=BB361_306 Depth=1
	s_or_b64 exec, exec, s[12:13]
	v_lshlrev_b32_e32 v4, 16, v6
	v_mul_f32_e32 v4, v60, v4
	v_and_b32_e32 v5, 0x7f800000, v4
	v_cmp_ne_u32_e64 s[0:1], s15, v5
                                        ; implicit-def: $agpr41
	s_and_saveexec_b64 s[12:13], s[0:1]
	s_xor_b64 s[0:1], exec, s[12:13]
; %bb.460:                              ;   in Loop: Header=BB361_306 Depth=1
	v_bfe_u32 v5, v4, 16, 1
	v_add3_u32 v4, v4, v5, s20
	v_accvgpr_write_b32 a41, v4
                                        ; implicit-def: $vgpr4
; %bb.461:                              ;   in Loop: Header=BB361_306 Depth=1
	s_andn2_saveexec_b64 s[12:13], s[0:1]
; %bb.462:                              ;   in Loop: Header=BB361_306 Depth=1
	v_or_b32_e32 v5, 0x10000, v4
	v_cmp_eq_u32_sdwa s[0:1], v4, v11 src0_sel:WORD_0 src1_sel:DWORD
	s_nop 1
	v_cndmask_b32_e64 v4, v5, v4, s[0:1]
	v_accvgpr_write_b32 a41, v4
; %bb.463:                              ;   in Loop: Header=BB361_306 Depth=1
	s_or_b64 exec, exec, s[12:13]
	v_lshlrev_b32_e32 v3, 16, v3
	v_mul_f32_e32 v3, v61, v3
	v_and_b32_e32 v4, 0x7f800000, v3
	v_cmp_ne_u32_e64 s[0:1], s15, v4
                                        ; implicit-def: $agpr42
	s_and_saveexec_b64 s[12:13], s[0:1]
	s_xor_b64 s[0:1], exec, s[12:13]
; %bb.464:                              ;   in Loop: Header=BB361_306 Depth=1
	v_bfe_u32 v4, v3, 16, 1
	v_add3_u32 v3, v3, v4, s20
	v_accvgpr_write_b32 a42, v3
                                        ; implicit-def: $vgpr3
; %bb.465:                              ;   in Loop: Header=BB361_306 Depth=1
	s_andn2_saveexec_b64 s[12:13], s[0:1]
; %bb.466:                              ;   in Loop: Header=BB361_306 Depth=1
	v_or_b32_e32 v4, 0x10000, v3
	v_cmp_eq_u32_sdwa s[0:1], v3, v11 src0_sel:WORD_0 src1_sel:DWORD
	s_nop 1
	v_cndmask_b32_e64 v3, v4, v3, s[0:1]
	v_accvgpr_write_b32 a42, v3
; %bb.467:                              ;   in Loop: Header=BB361_306 Depth=1
	s_or_b64 exec, exec, s[12:13]
	v_lshlrev_b32_e32 v2, 16, v2
	v_mul_f32_e32 v2, v35, v2
	v_and_b32_e32 v3, 0x7f800000, v2
	v_cmp_ne_u32_e64 s[0:1], s15, v3
                                        ; implicit-def: $agpr43
	s_and_saveexec_b64 s[12:13], s[0:1]
	s_xor_b64 s[0:1], exec, s[12:13]
; %bb.468:                              ;   in Loop: Header=BB361_306 Depth=1
	v_bfe_u32 v3, v2, 16, 1
	v_add3_u32 v2, v2, v3, s20
	v_accvgpr_write_b32 a43, v2
                                        ; implicit-def: $vgpr2
; %bb.469:                              ;   in Loop: Header=BB361_306 Depth=1
	s_andn2_saveexec_b64 s[12:13], s[0:1]
; %bb.470:                              ;   in Loop: Header=BB361_306 Depth=1
	v_or_b32_e32 v3, 0x10000, v2
	v_cmp_eq_u32_sdwa s[0:1], v2, v11 src0_sel:WORD_0 src1_sel:DWORD
	s_nop 1
	v_cndmask_b32_e64 v2, v3, v2, s[0:1]
	v_accvgpr_write_b32 a43, v2
; %bb.471:                              ;   in Loop: Header=BB361_306 Depth=1
	s_or_b64 exec, exec, s[12:13]
	flat_load_dwordx2 v[2:3], v[0:1] offset:1024
	s_waitcnt vmcnt(0) lgkmcnt(0)
	v_and_b32_e32 v4, 0xff, v2
	v_cvt_f32_fp8_sdwa v4, v4 src0_sel:BYTE_0
	s_nop 0
	v_mul_f32_e32 v5, v48, v4
	v_and_b32_e32 v4, 0x7f800000, v5
	v_cmp_ne_u32_e64 s[0:1], s15, v4
                                        ; implicit-def: $vgpr4
	s_and_saveexec_b64 s[12:13], s[0:1]
	s_xor_b64 s[0:1], exec, s[12:13]
; %bb.472:                              ;   in Loop: Header=BB361_306 Depth=1
	v_bfe_u32 v4, v5, 16, 1
	v_add3_u32 v4, v5, v4, s20
                                        ; implicit-def: $vgpr5
; %bb.473:                              ;   in Loop: Header=BB361_306 Depth=1
	s_andn2_saveexec_b64 s[12:13], s[0:1]
; %bb.474:                              ;   in Loop: Header=BB361_306 Depth=1
	v_or_b32_e32 v4, 0x10000, v5
	v_cmp_eq_u32_sdwa s[0:1], v5, v11 src0_sel:WORD_0 src1_sel:DWORD
	s_nop 1
	v_cndmask_b32_e64 v4, v4, v5, s[0:1]
; %bb.475:                              ;   in Loop: Header=BB361_306 Depth=1
	s_or_b64 exec, exec, s[12:13]
	v_bfe_u32 v5, v2, 8, 8
	v_cvt_f32_fp8_sdwa v5, v5 src0_sel:BYTE_0
	s_nop 0
	v_mul_f32_e32 v6, v48, v5
	v_and_b32_e32 v5, 0x7f800000, v6
	v_cmp_ne_u32_e64 s[0:1], s15, v5
                                        ; implicit-def: $vgpr5
	s_and_saveexec_b64 s[12:13], s[0:1]
	s_xor_b64 s[0:1], exec, s[12:13]
; %bb.476:                              ;   in Loop: Header=BB361_306 Depth=1
	v_bfe_u32 v5, v6, 16, 1
	v_add3_u32 v5, v6, v5, s20
                                        ; implicit-def: $vgpr6
; %bb.477:                              ;   in Loop: Header=BB361_306 Depth=1
	s_andn2_saveexec_b64 s[12:13], s[0:1]
; %bb.478:                              ;   in Loop: Header=BB361_306 Depth=1
	v_or_b32_e32 v5, 0x10000, v6
	v_cmp_eq_u32_sdwa s[0:1], v6, v11 src0_sel:WORD_0 src1_sel:DWORD
	s_nop 1
	v_cndmask_b32_e64 v5, v5, v6, s[0:1]
; %bb.479:                              ;   in Loop: Header=BB361_306 Depth=1
	s_or_b64 exec, exec, s[12:13]
	v_bfe_u32 v6, v2, 16, 8
	v_cvt_f32_fp8_sdwa v6, v6 src0_sel:BYTE_0
	s_nop 0
	v_mul_f32_e32 v6, v48, v6
	v_and_b32_e32 v7, 0x7f800000, v6
	v_cmp_ne_u32_e64 s[0:1], s15, v7
                                        ; implicit-def: $vgpr7
	s_and_saveexec_b64 s[12:13], s[0:1]
	s_xor_b64 s[0:1], exec, s[12:13]
; %bb.480:                              ;   in Loop: Header=BB361_306 Depth=1
	v_bfe_u32 v7, v6, 16, 1
	v_add3_u32 v7, v6, v7, s20
                                        ; implicit-def: $vgpr6
; %bb.481:                              ;   in Loop: Header=BB361_306 Depth=1
	s_andn2_saveexec_b64 s[12:13], s[0:1]
; %bb.482:                              ;   in Loop: Header=BB361_306 Depth=1
	v_or_b32_e32 v7, 0x10000, v6
	v_cmp_eq_u32_sdwa s[0:1], v6, v11 src0_sel:WORD_0 src1_sel:DWORD
	s_nop 1
	v_cndmask_b32_e64 v7, v7, v6, s[0:1]
; %bb.483:                              ;   in Loop: Header=BB361_306 Depth=1
	s_or_b64 exec, exec, s[12:13]
	v_lshrrev_b32_e32 v2, 24, v2
	v_cvt_f32_fp8_sdwa v2, v2 src0_sel:BYTE_0
	s_nop 0
	v_mul_f32_e32 v6, v48, v2
	v_and_b32_e32 v2, 0x7f800000, v6
	v_cmp_ne_u32_e64 s[0:1], s15, v2
                                        ; implicit-def: $vgpr2
	s_and_saveexec_b64 s[12:13], s[0:1]
	s_xor_b64 s[0:1], exec, s[12:13]
; %bb.484:                              ;   in Loop: Header=BB361_306 Depth=1
	v_bfe_u32 v2, v6, 16, 1
	v_add3_u32 v2, v6, v2, s20
                                        ; implicit-def: $vgpr6
; %bb.485:                              ;   in Loop: Header=BB361_306 Depth=1
	s_andn2_saveexec_b64 s[12:13], s[0:1]
; %bb.486:                              ;   in Loop: Header=BB361_306 Depth=1
	v_or_b32_e32 v2, 0x10000, v6
	v_cmp_eq_u32_sdwa s[0:1], v6, v11 src0_sel:WORD_0 src1_sel:DWORD
	s_nop 1
	v_cndmask_b32_e64 v2, v2, v6, s[0:1]
; %bb.487:                              ;   in Loop: Header=BB361_306 Depth=1
	s_or_b64 exec, exec, s[12:13]
	v_and_b32_e32 v6, 0xff, v3
	v_cvt_f32_fp8_sdwa v6, v6 src0_sel:BYTE_0
	s_nop 0
	v_mul_f32_e32 v6, v48, v6
	v_and_b32_e32 v8, 0x7f800000, v6
	v_cmp_ne_u32_e64 s[0:1], s15, v8
                                        ; implicit-def: $vgpr8
	s_and_saveexec_b64 s[12:13], s[0:1]
	s_xor_b64 s[0:1], exec, s[12:13]
; %bb.488:                              ;   in Loop: Header=BB361_306 Depth=1
	v_bfe_u32 v8, v6, 16, 1
	v_add3_u32 v8, v6, v8, s20
                                        ; implicit-def: $vgpr6
; %bb.489:                              ;   in Loop: Header=BB361_306 Depth=1
	s_andn2_saveexec_b64 s[12:13], s[0:1]
; %bb.490:                              ;   in Loop: Header=BB361_306 Depth=1
	v_or_b32_e32 v8, 0x10000, v6
	v_cmp_eq_u32_sdwa s[0:1], v6, v11 src0_sel:WORD_0 src1_sel:DWORD
	s_nop 1
	v_cndmask_b32_e64 v8, v8, v6, s[0:1]
; %bb.491:                              ;   in Loop: Header=BB361_306 Depth=1
	s_or_b64 exec, exec, s[12:13]
	v_bfe_u32 v6, v3, 8, 8
	v_cvt_f32_fp8_sdwa v6, v6 src0_sel:BYTE_0
	s_nop 0
	v_mul_f32_e32 v9, v48, v6
	v_and_b32_e32 v6, 0x7f800000, v9
	v_cmp_ne_u32_e64 s[0:1], s15, v6
                                        ; implicit-def: $vgpr6
	s_and_saveexec_b64 s[12:13], s[0:1]
	s_xor_b64 s[0:1], exec, s[12:13]
; %bb.492:                              ;   in Loop: Header=BB361_306 Depth=1
	v_bfe_u32 v6, v9, 16, 1
	v_add3_u32 v6, v9, v6, s20
                                        ; implicit-def: $vgpr9
; %bb.493:                              ;   in Loop: Header=BB361_306 Depth=1
	s_andn2_saveexec_b64 s[12:13], s[0:1]
; %bb.494:                              ;   in Loop: Header=BB361_306 Depth=1
	v_or_b32_e32 v6, 0x10000, v9
	v_cmp_eq_u32_sdwa s[0:1], v9, v11 src0_sel:WORD_0 src1_sel:DWORD
	s_nop 1
	v_cndmask_b32_e64 v6, v6, v9, s[0:1]
; %bb.495:                              ;   in Loop: Header=BB361_306 Depth=1
	s_or_b64 exec, exec, s[12:13]
	v_bfe_u32 v9, v3, 16, 8
	v_cvt_f32_fp8_sdwa v9, v9 src0_sel:BYTE_0
	s_nop 0
	v_mul_f32_e32 v9, v48, v9
	v_and_b32_e32 v10, 0x7f800000, v9
	v_cmp_ne_u32_e64 s[0:1], s15, v10
                                        ; implicit-def: $vgpr10
	s_and_saveexec_b64 s[12:13], s[0:1]
	s_xor_b64 s[0:1], exec, s[12:13]
; %bb.496:                              ;   in Loop: Header=BB361_306 Depth=1
	v_bfe_u32 v10, v9, 16, 1
	v_add3_u32 v10, v9, v10, s20
                                        ; implicit-def: $vgpr9
; %bb.497:                              ;   in Loop: Header=BB361_306 Depth=1
	s_andn2_saveexec_b64 s[12:13], s[0:1]
; %bb.498:                              ;   in Loop: Header=BB361_306 Depth=1
	v_or_b32_e32 v10, 0x10000, v9
	v_cmp_eq_u32_sdwa s[0:1], v9, v11 src0_sel:WORD_0 src1_sel:DWORD
	s_nop 1
	v_cndmask_b32_e64 v10, v10, v9, s[0:1]
; %bb.499:                              ;   in Loop: Header=BB361_306 Depth=1
	s_or_b64 exec, exec, s[12:13]
	v_lshrrev_b32_e32 v3, 24, v3
	v_cvt_f32_fp8_sdwa v3, v3 src0_sel:BYTE_0
                                        ; implicit-def: $vgpr20
	s_nop 0
	v_mul_f32_e32 v3, v48, v3
	v_and_b32_e32 v9, 0x7f800000, v3
	v_cmp_ne_u32_e64 s[0:1], s15, v9
	s_and_saveexec_b64 s[12:13], s[0:1]
	s_xor_b64 s[0:1], exec, s[12:13]
; %bb.500:                              ;   in Loop: Header=BB361_306 Depth=1
	v_bfe_u32 v9, v3, 16, 1
	v_add3_u32 v20, v3, v9, s20
                                        ; implicit-def: $vgpr3
; %bb.501:                              ;   in Loop: Header=BB361_306 Depth=1
	s_andn2_saveexec_b64 s[12:13], s[0:1]
; %bb.502:                              ;   in Loop: Header=BB361_306 Depth=1
	v_or_b32_e32 v9, 0x10000, v3
	v_cmp_eq_u32_sdwa s[0:1], v3, v11 src0_sel:WORD_0 src1_sel:DWORD
	s_nop 1
	v_cndmask_b32_e64 v20, v9, v3, s[0:1]
; %bb.503:                              ;   in Loop: Header=BB361_306 Depth=1
	s_or_b64 exec, exec, s[12:13]
	v_lshrrev_b32_e32 v6, 16, v6
	v_lshrrev_b32_e32 v8, 16, v8
	;; [unrolled: 1-line block ×8, first 2 shown]
	s_and_saveexec_b64 s[12:13], vcc
	s_cbranch_execz .LBB361_505
; %bb.504:                              ;   in Loop: Header=BB361_306 Depth=1
	scratch_load_dword v10, off, s32 offset:196 ; 4-byte Folded Reload
	v_accvgpr_read_b32 v20, a35
	s_waitcnt vmcnt(0)
	v_cmp_lt_i32_e64 s[0:1], v52, v10
	s_nop 1
	v_cndmask_b32_e64 v4, 0, v4, s[0:1]
	v_cmp_lt_i32_e64 s[0:1], v20, v10
	v_accvgpr_read_b32 v20, a34
	s_nop 0
	v_cndmask_b32_e64 v5, 0, v5, s[0:1]
	v_cmp_lt_i32_e64 s[0:1], v20, v10
	v_accvgpr_read_b32 v20, a33
	s_nop 0
	v_cndmask_b32_e64 v7, 0, v7, s[0:1]
	v_cmp_lt_i32_e64 s[0:1], v20, v10
	v_accvgpr_read_b32 v20, a32
	s_nop 0
	v_cndmask_b32_e64 v9, 0, v9, s[0:1]
	v_cmp_lt_i32_e64 s[0:1], v20, v10
	v_accvgpr_read_b32 v20, a31
	s_nop 0
	v_cndmask_b32_e64 v8, 0, v8, s[0:1]
	v_cmp_lt_i32_e64 s[0:1], v20, v10
	v_accvgpr_read_b32 v20, a30
	s_nop 0
	v_cndmask_b32_e64 v6, 0, v6, s[0:1]
	v_cmp_lt_i32_e64 s[0:1], v20, v10
	v_accvgpr_read_b32 v20, a29
	s_nop 0
	v_cndmask_b32_e64 v3, 0, v3, s[0:1]
	v_cmp_lt_i32_e64 s[0:1], v20, v10
	s_nop 1
	v_cndmask_b32_e64 v2, 0, v2, s[0:1]
.LBB361_505:                            ;   in Loop: Header=BB361_306 Depth=1
	s_or_b64 exec, exec, s[12:13]
	v_lshlrev_b32_e32 v4, 16, v4
	v_mul_f32_e32 v4, v47, v4
	v_and_b32_e32 v10, 0x7f800000, v4
	v_cmp_ne_u32_e64 s[0:1], s15, v10
                                        ; implicit-def: $agpr44
	s_and_saveexec_b64 s[12:13], s[0:1]
	s_xor_b64 s[0:1], exec, s[12:13]
; %bb.506:                              ;   in Loop: Header=BB361_306 Depth=1
	v_bfe_u32 v10, v4, 16, 1
	v_add3_u32 v4, v4, v10, s20
	v_accvgpr_write_b32 a44, v4
                                        ; implicit-def: $vgpr4
; %bb.507:                              ;   in Loop: Header=BB361_306 Depth=1
	s_andn2_saveexec_b64 s[12:13], s[0:1]
; %bb.508:                              ;   in Loop: Header=BB361_306 Depth=1
	v_or_b32_e32 v10, 0x10000, v4
	v_cmp_eq_u32_sdwa s[0:1], v4, v11 src0_sel:WORD_0 src1_sel:DWORD
	s_nop 1
	v_cndmask_b32_e64 v4, v10, v4, s[0:1]
	v_accvgpr_write_b32 a44, v4
; %bb.509:                              ;   in Loop: Header=BB361_306 Depth=1
	s_or_b64 exec, exec, s[12:13]
	v_lshlrev_b32_e32 v4, 16, v5
	v_mul_f32_e32 v4, v56, v4
	v_and_b32_e32 v5, 0x7f800000, v4
	v_cmp_ne_u32_e64 s[0:1], s15, v5
                                        ; implicit-def: $agpr45
	s_and_saveexec_b64 s[12:13], s[0:1]
	s_xor_b64 s[0:1], exec, s[12:13]
; %bb.510:                              ;   in Loop: Header=BB361_306 Depth=1
	v_bfe_u32 v5, v4, 16, 1
	v_add3_u32 v4, v4, v5, s20
	v_accvgpr_write_b32 a45, v4
                                        ; implicit-def: $vgpr4
; %bb.511:                              ;   in Loop: Header=BB361_306 Depth=1
	s_andn2_saveexec_b64 s[12:13], s[0:1]
; %bb.512:                              ;   in Loop: Header=BB361_306 Depth=1
	v_or_b32_e32 v5, 0x10000, v4
	v_cmp_eq_u32_sdwa s[0:1], v4, v11 src0_sel:WORD_0 src1_sel:DWORD
	s_nop 1
	v_cndmask_b32_e64 v4, v5, v4, s[0:1]
	v_accvgpr_write_b32 a45, v4
; %bb.513:                              ;   in Loop: Header=BB361_306 Depth=1
	s_or_b64 exec, exec, s[12:13]
	v_lshlrev_b32_e32 v4, 16, v7
	v_mul_f32_e32 v4, v57, v4
	v_and_b32_e32 v5, 0x7f800000, v4
	v_cmp_ne_u32_e64 s[0:1], s15, v5
                                        ; implicit-def: $agpr46
	s_and_saveexec_b64 s[12:13], s[0:1]
	s_xor_b64 s[0:1], exec, s[12:13]
; %bb.514:                              ;   in Loop: Header=BB361_306 Depth=1
	v_bfe_u32 v5, v4, 16, 1
	v_add3_u32 v4, v4, v5, s20
	v_accvgpr_write_b32 a46, v4
                                        ; implicit-def: $vgpr4
; %bb.515:                              ;   in Loop: Header=BB361_306 Depth=1
	s_andn2_saveexec_b64 s[12:13], s[0:1]
; %bb.516:                              ;   in Loop: Header=BB361_306 Depth=1
	v_or_b32_e32 v5, 0x10000, v4
	v_cmp_eq_u32_sdwa s[0:1], v4, v11 src0_sel:WORD_0 src1_sel:DWORD
	s_nop 1
	v_cndmask_b32_e64 v4, v5, v4, s[0:1]
	v_accvgpr_write_b32 a46, v4
; %bb.517:                              ;   in Loop: Header=BB361_306 Depth=1
	s_or_b64 exec, exec, s[12:13]
	v_lshlrev_b32_e32 v4, 16, v9
	v_mul_f32_e32 v4, v58, v4
	v_and_b32_e32 v5, 0x7f800000, v4
	v_cmp_ne_u32_e64 s[0:1], s15, v5
                                        ; implicit-def: $agpr47
	s_and_saveexec_b64 s[12:13], s[0:1]
	s_xor_b64 s[0:1], exec, s[12:13]
; %bb.518:                              ;   in Loop: Header=BB361_306 Depth=1
	v_bfe_u32 v5, v4, 16, 1
	v_add3_u32 v4, v4, v5, s20
	v_accvgpr_write_b32 a47, v4
                                        ; implicit-def: $vgpr4
; %bb.519:                              ;   in Loop: Header=BB361_306 Depth=1
	s_andn2_saveexec_b64 s[12:13], s[0:1]
; %bb.520:                              ;   in Loop: Header=BB361_306 Depth=1
	v_or_b32_e32 v5, 0x10000, v4
	v_cmp_eq_u32_sdwa s[0:1], v4, v11 src0_sel:WORD_0 src1_sel:DWORD
	s_nop 1
	v_cndmask_b32_e64 v4, v5, v4, s[0:1]
	v_accvgpr_write_b32 a47, v4
; %bb.521:                              ;   in Loop: Header=BB361_306 Depth=1
	s_or_b64 exec, exec, s[12:13]
	v_lshlrev_b32_e32 v4, 16, v8
	v_mul_f32_e32 v4, v59, v4
	v_and_b32_e32 v5, 0x7f800000, v4
	v_cmp_ne_u32_e64 s[0:1], s15, v5
                                        ; implicit-def: $agpr48
	s_and_saveexec_b64 s[12:13], s[0:1]
	s_xor_b64 s[0:1], exec, s[12:13]
; %bb.522:                              ;   in Loop: Header=BB361_306 Depth=1
	v_bfe_u32 v5, v4, 16, 1
	v_add3_u32 v4, v4, v5, s20
	v_accvgpr_write_b32 a48, v4
                                        ; implicit-def: $vgpr4
; %bb.523:                              ;   in Loop: Header=BB361_306 Depth=1
	s_andn2_saveexec_b64 s[12:13], s[0:1]
; %bb.524:                              ;   in Loop: Header=BB361_306 Depth=1
	v_or_b32_e32 v5, 0x10000, v4
	v_cmp_eq_u32_sdwa s[0:1], v4, v11 src0_sel:WORD_0 src1_sel:DWORD
	s_nop 1
	v_cndmask_b32_e64 v4, v5, v4, s[0:1]
	v_accvgpr_write_b32 a48, v4
; %bb.525:                              ;   in Loop: Header=BB361_306 Depth=1
	s_or_b64 exec, exec, s[12:13]
	v_lshlrev_b32_e32 v4, 16, v6
	v_mul_f32_e32 v4, v60, v4
	v_and_b32_e32 v5, 0x7f800000, v4
	v_cmp_ne_u32_e64 s[0:1], s15, v5
                                        ; implicit-def: $agpr49
	s_and_saveexec_b64 s[12:13], s[0:1]
	s_xor_b64 s[0:1], exec, s[12:13]
; %bb.526:                              ;   in Loop: Header=BB361_306 Depth=1
	v_bfe_u32 v5, v4, 16, 1
	v_add3_u32 v4, v4, v5, s20
	v_accvgpr_write_b32 a49, v4
                                        ; implicit-def: $vgpr4
; %bb.527:                              ;   in Loop: Header=BB361_306 Depth=1
	s_andn2_saveexec_b64 s[12:13], s[0:1]
; %bb.528:                              ;   in Loop: Header=BB361_306 Depth=1
	v_or_b32_e32 v5, 0x10000, v4
	v_cmp_eq_u32_sdwa s[0:1], v4, v11 src0_sel:WORD_0 src1_sel:DWORD
	s_nop 1
	v_cndmask_b32_e64 v4, v5, v4, s[0:1]
	v_accvgpr_write_b32 a49, v4
; %bb.529:                              ;   in Loop: Header=BB361_306 Depth=1
	s_or_b64 exec, exec, s[12:13]
	v_lshlrev_b32_e32 v3, 16, v3
	v_mul_f32_e32 v3, v61, v3
	v_and_b32_e32 v4, 0x7f800000, v3
	v_cmp_ne_u32_e64 s[0:1], s15, v4
                                        ; implicit-def: $agpr50
	s_and_saveexec_b64 s[12:13], s[0:1]
	s_xor_b64 s[0:1], exec, s[12:13]
; %bb.530:                              ;   in Loop: Header=BB361_306 Depth=1
	v_bfe_u32 v4, v3, 16, 1
	v_add3_u32 v3, v3, v4, s20
	v_accvgpr_write_b32 a50, v3
                                        ; implicit-def: $vgpr3
; %bb.531:                              ;   in Loop: Header=BB361_306 Depth=1
	s_andn2_saveexec_b64 s[12:13], s[0:1]
; %bb.532:                              ;   in Loop: Header=BB361_306 Depth=1
	v_or_b32_e32 v4, 0x10000, v3
	v_cmp_eq_u32_sdwa s[0:1], v3, v11 src0_sel:WORD_0 src1_sel:DWORD
	s_nop 1
	v_cndmask_b32_e64 v3, v4, v3, s[0:1]
	v_accvgpr_write_b32 a50, v3
; %bb.533:                              ;   in Loop: Header=BB361_306 Depth=1
	s_or_b64 exec, exec, s[12:13]
	v_lshlrev_b32_e32 v2, 16, v2
	v_mul_f32_e32 v2, v35, v2
	v_and_b32_e32 v3, 0x7f800000, v2
	v_cmp_ne_u32_e64 s[0:1], s15, v3
                                        ; implicit-def: $agpr51
	s_and_saveexec_b64 s[12:13], s[0:1]
	s_xor_b64 s[0:1], exec, s[12:13]
; %bb.534:                              ;   in Loop: Header=BB361_306 Depth=1
	v_bfe_u32 v3, v2, 16, 1
	v_add3_u32 v2, v2, v3, s20
	v_accvgpr_write_b32 a51, v2
                                        ; implicit-def: $vgpr2
; %bb.535:                              ;   in Loop: Header=BB361_306 Depth=1
	s_andn2_saveexec_b64 s[12:13], s[0:1]
; %bb.536:                              ;   in Loop: Header=BB361_306 Depth=1
	v_or_b32_e32 v3, 0x10000, v2
	v_cmp_eq_u32_sdwa s[0:1], v2, v11 src0_sel:WORD_0 src1_sel:DWORD
	s_nop 1
	v_cndmask_b32_e64 v2, v3, v2, s[0:1]
	v_accvgpr_write_b32 a51, v2
; %bb.537:                              ;   in Loop: Header=BB361_306 Depth=1
	s_or_b64 exec, exec, s[12:13]
	flat_load_dwordx2 v[2:3], v[0:1] offset:1536
	s_waitcnt vmcnt(0) lgkmcnt(0)
	v_and_b32_e32 v4, 0xff, v2
	v_cvt_f32_fp8_sdwa v4, v4 src0_sel:BYTE_0
	s_nop 0
	v_mul_f32_e32 v5, v48, v4
	v_and_b32_e32 v4, 0x7f800000, v5
	v_cmp_ne_u32_e64 s[0:1], s15, v4
                                        ; implicit-def: $vgpr4
	s_and_saveexec_b64 s[12:13], s[0:1]
	s_xor_b64 s[0:1], exec, s[12:13]
; %bb.538:                              ;   in Loop: Header=BB361_306 Depth=1
	v_bfe_u32 v4, v5, 16, 1
	v_add3_u32 v4, v5, v4, s20
                                        ; implicit-def: $vgpr5
; %bb.539:                              ;   in Loop: Header=BB361_306 Depth=1
	s_andn2_saveexec_b64 s[12:13], s[0:1]
; %bb.540:                              ;   in Loop: Header=BB361_306 Depth=1
	v_or_b32_e32 v4, 0x10000, v5
	v_cmp_eq_u32_sdwa s[0:1], v5, v11 src0_sel:WORD_0 src1_sel:DWORD
	s_nop 1
	v_cndmask_b32_e64 v4, v4, v5, s[0:1]
; %bb.541:                              ;   in Loop: Header=BB361_306 Depth=1
	s_or_b64 exec, exec, s[12:13]
	v_bfe_u32 v5, v2, 8, 8
	v_cvt_f32_fp8_sdwa v5, v5 src0_sel:BYTE_0
	s_nop 0
	v_mul_f32_e32 v6, v48, v5
	v_and_b32_e32 v5, 0x7f800000, v6
	v_cmp_ne_u32_e64 s[0:1], s15, v5
                                        ; implicit-def: $vgpr5
	s_and_saveexec_b64 s[12:13], s[0:1]
	s_xor_b64 s[0:1], exec, s[12:13]
; %bb.542:                              ;   in Loop: Header=BB361_306 Depth=1
	v_bfe_u32 v5, v6, 16, 1
	v_add3_u32 v5, v6, v5, s20
                                        ; implicit-def: $vgpr6
; %bb.543:                              ;   in Loop: Header=BB361_306 Depth=1
	s_andn2_saveexec_b64 s[12:13], s[0:1]
; %bb.544:                              ;   in Loop: Header=BB361_306 Depth=1
	v_or_b32_e32 v5, 0x10000, v6
	v_cmp_eq_u32_sdwa s[0:1], v6, v11 src0_sel:WORD_0 src1_sel:DWORD
	s_nop 1
	v_cndmask_b32_e64 v5, v5, v6, s[0:1]
; %bb.545:                              ;   in Loop: Header=BB361_306 Depth=1
	s_or_b64 exec, exec, s[12:13]
	v_bfe_u32 v6, v2, 16, 8
	v_cvt_f32_fp8_sdwa v6, v6 src0_sel:BYTE_0
	s_nop 0
	v_mul_f32_e32 v7, v48, v6
	v_and_b32_e32 v6, 0x7f800000, v7
	v_cmp_ne_u32_e64 s[0:1], s15, v6
                                        ; implicit-def: $vgpr6
	s_and_saveexec_b64 s[12:13], s[0:1]
	s_xor_b64 s[0:1], exec, s[12:13]
; %bb.546:                              ;   in Loop: Header=BB361_306 Depth=1
	v_bfe_u32 v6, v7, 16, 1
	v_add3_u32 v6, v7, v6, s20
                                        ; implicit-def: $vgpr7
; %bb.547:                              ;   in Loop: Header=BB361_306 Depth=1
	s_andn2_saveexec_b64 s[12:13], s[0:1]
; %bb.548:                              ;   in Loop: Header=BB361_306 Depth=1
	v_or_b32_e32 v6, 0x10000, v7
	v_cmp_eq_u32_sdwa s[0:1], v7, v11 src0_sel:WORD_0 src1_sel:DWORD
	s_nop 1
	v_cndmask_b32_e64 v6, v6, v7, s[0:1]
; %bb.549:                              ;   in Loop: Header=BB361_306 Depth=1
	s_or_b64 exec, exec, s[12:13]
	v_lshrrev_b32_e32 v2, 24, v2
	v_cvt_f32_fp8_sdwa v2, v2 src0_sel:BYTE_0
	s_nop 0
	v_mul_f32_e32 v7, v48, v2
	v_and_b32_e32 v2, 0x7f800000, v7
	v_cmp_ne_u32_e64 s[0:1], s15, v2
                                        ; implicit-def: $vgpr2
	s_and_saveexec_b64 s[12:13], s[0:1]
	s_xor_b64 s[0:1], exec, s[12:13]
; %bb.550:                              ;   in Loop: Header=BB361_306 Depth=1
	v_bfe_u32 v2, v7, 16, 1
	v_add3_u32 v2, v7, v2, s20
                                        ; implicit-def: $vgpr7
; %bb.551:                              ;   in Loop: Header=BB361_306 Depth=1
	s_andn2_saveexec_b64 s[12:13], s[0:1]
; %bb.552:                              ;   in Loop: Header=BB361_306 Depth=1
	v_or_b32_e32 v2, 0x10000, v7
	v_cmp_eq_u32_sdwa s[0:1], v7, v11 src0_sel:WORD_0 src1_sel:DWORD
	s_nop 1
	v_cndmask_b32_e64 v2, v2, v7, s[0:1]
; %bb.553:                              ;   in Loop: Header=BB361_306 Depth=1
	s_or_b64 exec, exec, s[12:13]
	v_and_b32_e32 v7, 0xff, v3
	v_cvt_f32_fp8_sdwa v7, v7 src0_sel:BYTE_0
	s_nop 0
	v_mul_f32_e32 v8, v48, v7
	v_and_b32_e32 v7, 0x7f800000, v8
	v_cmp_ne_u32_e64 s[0:1], s15, v7
                                        ; implicit-def: $vgpr7
	s_and_saveexec_b64 s[12:13], s[0:1]
	s_xor_b64 s[0:1], exec, s[12:13]
; %bb.554:                              ;   in Loop: Header=BB361_306 Depth=1
	v_bfe_u32 v7, v8, 16, 1
	v_add3_u32 v7, v8, v7, s20
                                        ; implicit-def: $vgpr8
; %bb.555:                              ;   in Loop: Header=BB361_306 Depth=1
	s_andn2_saveexec_b64 s[12:13], s[0:1]
; %bb.556:                              ;   in Loop: Header=BB361_306 Depth=1
	v_or_b32_e32 v7, 0x10000, v8
	v_cmp_eq_u32_sdwa s[0:1], v8, v11 src0_sel:WORD_0 src1_sel:DWORD
	s_nop 1
	v_cndmask_b32_e64 v7, v7, v8, s[0:1]
; %bb.557:                              ;   in Loop: Header=BB361_306 Depth=1
	s_or_b64 exec, exec, s[12:13]
	v_bfe_u32 v8, v3, 8, 8
	v_cvt_f32_fp8_sdwa v8, v8 src0_sel:BYTE_0
	s_nop 0
	v_mul_f32_e32 v9, v48, v8
	v_and_b32_e32 v8, 0x7f800000, v9
	v_cmp_ne_u32_e64 s[0:1], s15, v8
                                        ; implicit-def: $vgpr8
	s_and_saveexec_b64 s[12:13], s[0:1]
	s_xor_b64 s[0:1], exec, s[12:13]
; %bb.558:                              ;   in Loop: Header=BB361_306 Depth=1
	v_bfe_u32 v8, v9, 16, 1
	v_add3_u32 v8, v9, v8, s20
                                        ; implicit-def: $vgpr9
; %bb.559:                              ;   in Loop: Header=BB361_306 Depth=1
	s_andn2_saveexec_b64 s[12:13], s[0:1]
; %bb.560:                              ;   in Loop: Header=BB361_306 Depth=1
	v_or_b32_e32 v8, 0x10000, v9
	v_cmp_eq_u32_sdwa s[0:1], v9, v11 src0_sel:WORD_0 src1_sel:DWORD
	s_nop 1
	v_cndmask_b32_e64 v8, v8, v9, s[0:1]
; %bb.561:                              ;   in Loop: Header=BB361_306 Depth=1
	s_or_b64 exec, exec, s[12:13]
	v_bfe_u32 v9, v3, 16, 8
	v_cvt_f32_fp8_sdwa v9, v9 src0_sel:BYTE_0
	s_nop 0
	v_mul_f32_e32 v10, v48, v9
	v_and_b32_e32 v9, 0x7f800000, v10
	v_cmp_ne_u32_e64 s[0:1], s15, v9
                                        ; implicit-def: $vgpr9
	s_and_saveexec_b64 s[12:13], s[0:1]
	s_xor_b64 s[0:1], exec, s[12:13]
; %bb.562:                              ;   in Loop: Header=BB361_306 Depth=1
	v_bfe_u32 v9, v10, 16, 1
	v_add3_u32 v9, v10, v9, s20
                                        ; implicit-def: $vgpr10
; %bb.563:                              ;   in Loop: Header=BB361_306 Depth=1
	s_andn2_saveexec_b64 s[12:13], s[0:1]
; %bb.564:                              ;   in Loop: Header=BB361_306 Depth=1
	v_or_b32_e32 v9, 0x10000, v10
	v_cmp_eq_u32_sdwa s[0:1], v10, v11 src0_sel:WORD_0 src1_sel:DWORD
	s_nop 1
	v_cndmask_b32_e64 v9, v9, v10, s[0:1]
; %bb.565:                              ;   in Loop: Header=BB361_306 Depth=1
	s_or_b64 exec, exec, s[12:13]
	v_lshrrev_b32_e32 v3, 24, v3
	v_cvt_f32_fp8_sdwa v3, v3 src0_sel:BYTE_0
                                        ; implicit-def: $vgpr21
	s_nop 0
	v_mul_f32_e32 v3, v48, v3
	v_and_b32_e32 v10, 0x7f800000, v3
	v_cmp_ne_u32_e64 s[0:1], s15, v10
	s_and_saveexec_b64 s[12:13], s[0:1]
	s_xor_b64 s[0:1], exec, s[12:13]
; %bb.566:                              ;   in Loop: Header=BB361_306 Depth=1
	v_bfe_u32 v10, v3, 16, 1
	v_add3_u32 v21, v3, v10, s20
                                        ; implicit-def: $vgpr3
; %bb.567:                              ;   in Loop: Header=BB361_306 Depth=1
	s_andn2_saveexec_b64 s[12:13], s[0:1]
; %bb.568:                              ;   in Loop: Header=BB361_306 Depth=1
	v_or_b32_e32 v10, 0x10000, v3
	v_cmp_eq_u32_sdwa s[0:1], v3, v11 src0_sel:WORD_0 src1_sel:DWORD
	s_nop 1
	v_cndmask_b32_e64 v21, v10, v3, s[0:1]
; %bb.569:                              ;   in Loop: Header=BB361_306 Depth=1
	s_or_b64 exec, exec, s[12:13]
	v_lshrrev_b32_e32 v10, 16, v8
	v_lshrrev_b32_e32 v20, 16, v7
	;; [unrolled: 1-line block ×8, first 2 shown]
	s_and_saveexec_b64 s[12:13], vcc
	s_cbranch_execz .LBB361_571
; %bb.570:                              ;   in Loop: Header=BB361_306 Depth=1
	scratch_load_dword v8, off, s32 offset:196 ; 4-byte Folded Reload
	v_accvgpr_read_b32 v9, a35
	s_waitcnt vmcnt(0)
	v_cmp_lt_i32_e64 s[0:1], v52, v8
	s_nop 1
	v_cndmask_b32_e64 v4, 0, v4, s[0:1]
	v_cmp_lt_i32_e64 s[0:1], v9, v8
	v_accvgpr_read_b32 v9, a34
	s_nop 0
	v_cndmask_b32_e64 v5, 0, v5, s[0:1]
	v_cmp_lt_i32_e64 s[0:1], v9, v8
	v_accvgpr_read_b32 v9, a33
	s_nop 0
	v_cndmask_b32_e64 v6, 0, v6, s[0:1]
	v_cmp_lt_i32_e64 s[0:1], v9, v8
	v_accvgpr_read_b32 v9, a32
	s_nop 0
	v_cndmask_b32_e64 v7, 0, v7, s[0:1]
	v_cmp_lt_i32_e64 s[0:1], v9, v8
	v_accvgpr_read_b32 v9, a31
	s_nop 0
	v_cndmask_b32_e64 v20, 0, v20, s[0:1]
	v_cmp_lt_i32_e64 s[0:1], v9, v8
	v_accvgpr_read_b32 v9, a30
	s_nop 0
	v_cndmask_b32_e64 v10, 0, v10, s[0:1]
	v_cmp_lt_i32_e64 s[0:1], v9, v8
	v_accvgpr_read_b32 v9, a29
	s_nop 0
	v_cndmask_b32_e64 v3, 0, v3, s[0:1]
	v_cmp_lt_i32_e64 s[0:1], v9, v8
	s_nop 1
	v_cndmask_b32_e64 v2, 0, v2, s[0:1]
.LBB361_571:                            ;   in Loop: Header=BB361_306 Depth=1
	s_or_b64 exec, exec, s[12:13]
	v_lshlrev_b32_e32 v4, 16, v4
	v_mul_f32_e32 v4, v47, v4
	v_and_b32_e32 v8, 0x7f800000, v4
	v_cmp_ne_u32_e64 s[0:1], s15, v8
                                        ; implicit-def: $agpr52
	s_and_saveexec_b64 s[12:13], s[0:1]
	s_xor_b64 s[0:1], exec, s[12:13]
; %bb.572:                              ;   in Loop: Header=BB361_306 Depth=1
	v_bfe_u32 v8, v4, 16, 1
	v_add3_u32 v4, v4, v8, s20
	v_accvgpr_write_b32 a52, v4
                                        ; implicit-def: $vgpr4
; %bb.573:                              ;   in Loop: Header=BB361_306 Depth=1
	s_andn2_saveexec_b64 s[12:13], s[0:1]
; %bb.574:                              ;   in Loop: Header=BB361_306 Depth=1
	v_or_b32_e32 v8, 0x10000, v4
	v_cmp_eq_u32_sdwa s[0:1], v4, v11 src0_sel:WORD_0 src1_sel:DWORD
	s_nop 1
	v_cndmask_b32_e64 v4, v8, v4, s[0:1]
	v_accvgpr_write_b32 a52, v4
; %bb.575:                              ;   in Loop: Header=BB361_306 Depth=1
	s_or_b64 exec, exec, s[12:13]
	v_lshlrev_b32_e32 v4, 16, v5
	v_mul_f32_e32 v4, v56, v4
	v_and_b32_e32 v5, 0x7f800000, v4
	v_cmp_ne_u32_e64 s[0:1], s15, v5
                                        ; implicit-def: $agpr53
	s_and_saveexec_b64 s[12:13], s[0:1]
	s_xor_b64 s[0:1], exec, s[12:13]
; %bb.576:                              ;   in Loop: Header=BB361_306 Depth=1
	v_bfe_u32 v5, v4, 16, 1
	v_add3_u32 v4, v4, v5, s20
	v_accvgpr_write_b32 a53, v4
                                        ; implicit-def: $vgpr4
; %bb.577:                              ;   in Loop: Header=BB361_306 Depth=1
	s_andn2_saveexec_b64 s[12:13], s[0:1]
; %bb.578:                              ;   in Loop: Header=BB361_306 Depth=1
	v_or_b32_e32 v5, 0x10000, v4
	v_cmp_eq_u32_sdwa s[0:1], v4, v11 src0_sel:WORD_0 src1_sel:DWORD
	s_nop 1
	v_cndmask_b32_e64 v4, v5, v4, s[0:1]
	v_accvgpr_write_b32 a53, v4
; %bb.579:                              ;   in Loop: Header=BB361_306 Depth=1
	s_or_b64 exec, exec, s[12:13]
	v_lshlrev_b32_e32 v4, 16, v6
	v_mul_f32_e32 v4, v57, v4
	v_and_b32_e32 v5, 0x7f800000, v4
	v_cmp_ne_u32_e64 s[0:1], s15, v5
                                        ; implicit-def: $agpr54
	s_and_saveexec_b64 s[12:13], s[0:1]
	s_xor_b64 s[0:1], exec, s[12:13]
; %bb.580:                              ;   in Loop: Header=BB361_306 Depth=1
	v_bfe_u32 v5, v4, 16, 1
	v_add3_u32 v4, v4, v5, s20
	v_accvgpr_write_b32 a54, v4
                                        ; implicit-def: $vgpr4
; %bb.581:                              ;   in Loop: Header=BB361_306 Depth=1
	s_andn2_saveexec_b64 s[12:13], s[0:1]
; %bb.582:                              ;   in Loop: Header=BB361_306 Depth=1
	v_or_b32_e32 v5, 0x10000, v4
	v_cmp_eq_u32_sdwa s[0:1], v4, v11 src0_sel:WORD_0 src1_sel:DWORD
	s_nop 1
	v_cndmask_b32_e64 v4, v5, v4, s[0:1]
	v_accvgpr_write_b32 a54, v4
; %bb.583:                              ;   in Loop: Header=BB361_306 Depth=1
	s_or_b64 exec, exec, s[12:13]
	v_lshlrev_b32_e32 v4, 16, v7
	v_mul_f32_e32 v4, v58, v4
	v_and_b32_e32 v5, 0x7f800000, v4
	v_cmp_ne_u32_e64 s[0:1], s15, v5
                                        ; implicit-def: $agpr55
	s_and_saveexec_b64 s[12:13], s[0:1]
	s_xor_b64 s[0:1], exec, s[12:13]
; %bb.584:                              ;   in Loop: Header=BB361_306 Depth=1
	v_bfe_u32 v5, v4, 16, 1
	v_add3_u32 v4, v4, v5, s20
	v_accvgpr_write_b32 a55, v4
                                        ; implicit-def: $vgpr4
; %bb.585:                              ;   in Loop: Header=BB361_306 Depth=1
	s_andn2_saveexec_b64 s[12:13], s[0:1]
; %bb.586:                              ;   in Loop: Header=BB361_306 Depth=1
	v_or_b32_e32 v5, 0x10000, v4
	v_cmp_eq_u32_sdwa s[0:1], v4, v11 src0_sel:WORD_0 src1_sel:DWORD
	s_nop 1
	v_cndmask_b32_e64 v4, v5, v4, s[0:1]
	v_accvgpr_write_b32 a55, v4
; %bb.587:                              ;   in Loop: Header=BB361_306 Depth=1
	s_or_b64 exec, exec, s[12:13]
	v_lshlrev_b32_e32 v4, 16, v20
	v_mul_f32_e32 v4, v59, v4
	v_and_b32_e32 v5, 0x7f800000, v4
	v_cmp_ne_u32_e64 s[0:1], s15, v5
                                        ; implicit-def: $vgpr39
	s_and_saveexec_b64 s[12:13], s[0:1]
	s_xor_b64 s[0:1], exec, s[12:13]
; %bb.588:                              ;   in Loop: Header=BB361_306 Depth=1
	v_bfe_u32 v5, v4, 16, 1
	v_add3_u32 v39, v4, v5, s20
                                        ; implicit-def: $vgpr4
; %bb.589:                              ;   in Loop: Header=BB361_306 Depth=1
	s_andn2_saveexec_b64 s[12:13], s[0:1]
; %bb.590:                              ;   in Loop: Header=BB361_306 Depth=1
	v_or_b32_e32 v5, 0x10000, v4
	v_cmp_eq_u32_sdwa s[0:1], v4, v11 src0_sel:WORD_0 src1_sel:DWORD
	s_nop 1
	v_cndmask_b32_e64 v39, v5, v4, s[0:1]
; %bb.591:                              ;   in Loop: Header=BB361_306 Depth=1
	s_or_b64 exec, exec, s[12:13]
	v_lshlrev_b32_e32 v4, 16, v10
	v_mul_f32_e32 v4, v60, v4
	v_and_b32_e32 v5, 0x7f800000, v4
	v_cmp_ne_u32_e64 s[0:1], s15, v5
                                        ; implicit-def: $vgpr49
	s_and_saveexec_b64 s[12:13], s[0:1]
	s_xor_b64 s[0:1], exec, s[12:13]
; %bb.592:                              ;   in Loop: Header=BB361_306 Depth=1
	v_bfe_u32 v5, v4, 16, 1
	v_add3_u32 v49, v4, v5, s20
                                        ; implicit-def: $vgpr4
; %bb.593:                              ;   in Loop: Header=BB361_306 Depth=1
	s_andn2_saveexec_b64 s[12:13], s[0:1]
; %bb.594:                              ;   in Loop: Header=BB361_306 Depth=1
	v_or_b32_e32 v5, 0x10000, v4
	v_cmp_eq_u32_sdwa s[0:1], v4, v11 src0_sel:WORD_0 src1_sel:DWORD
	s_nop 1
	v_cndmask_b32_e64 v49, v5, v4, s[0:1]
; %bb.595:                              ;   in Loop: Header=BB361_306 Depth=1
	s_or_b64 exec, exec, s[12:13]
	v_lshlrev_b32_e32 v3, 16, v3
	v_mul_f32_e32 v3, v61, v3
	v_and_b32_e32 v4, 0x7f800000, v3
	v_cmp_ne_u32_e64 s[0:1], s15, v4
                                        ; implicit-def: $vgpr50
	s_and_saveexec_b64 s[12:13], s[0:1]
	s_xor_b64 s[0:1], exec, s[12:13]
; %bb.596:                              ;   in Loop: Header=BB361_306 Depth=1
	v_bfe_u32 v4, v3, 16, 1
	v_add3_u32 v50, v3, v4, s20
                                        ; implicit-def: $vgpr3
; %bb.597:                              ;   in Loop: Header=BB361_306 Depth=1
	s_andn2_saveexec_b64 s[12:13], s[0:1]
; %bb.598:                              ;   in Loop: Header=BB361_306 Depth=1
	v_or_b32_e32 v4, 0x10000, v3
	v_cmp_eq_u32_sdwa s[0:1], v3, v11 src0_sel:WORD_0 src1_sel:DWORD
	s_nop 1
	v_cndmask_b32_e64 v50, v4, v3, s[0:1]
; %bb.599:                              ;   in Loop: Header=BB361_306 Depth=1
	s_or_b64 exec, exec, s[12:13]
	v_lshlrev_b32_e32 v2, 16, v2
	v_mul_f32_e32 v2, v35, v2
	v_and_b32_e32 v3, 0x7f800000, v2
	v_cmp_ne_u32_e64 s[0:1], s15, v3
                                        ; implicit-def: $vgpr51
	s_and_saveexec_b64 s[12:13], s[0:1]
	s_xor_b64 s[0:1], exec, s[12:13]
; %bb.600:                              ;   in Loop: Header=BB361_306 Depth=1
	v_bfe_u32 v3, v2, 16, 1
	v_add3_u32 v51, v2, v3, s20
                                        ; implicit-def: $vgpr2
; %bb.601:                              ;   in Loop: Header=BB361_306 Depth=1
	s_andn2_saveexec_b64 s[12:13], s[0:1]
; %bb.602:                              ;   in Loop: Header=BB361_306 Depth=1
	v_or_b32_e32 v3, 0x10000, v2
	v_cmp_eq_u32_sdwa s[0:1], v2, v11 src0_sel:WORD_0 src1_sel:DWORD
	s_nop 1
	v_cndmask_b32_e64 v51, v3, v2, s[0:1]
; %bb.603:                              ;   in Loop: Header=BB361_306 Depth=1
	s_or_b64 exec, exec, s[12:13]
	flat_load_dwordx2 v[2:3], v[0:1] offset:2048
	s_waitcnt vmcnt(0) lgkmcnt(0)
	v_and_b32_e32 v4, 0xff, v2
	v_cvt_f32_fp8_sdwa v4, v4 src0_sel:BYTE_0
	s_nop 0
	v_mul_f32_e32 v5, v48, v4
	v_and_b32_e32 v4, 0x7f800000, v5
	v_cmp_ne_u32_e64 s[0:1], s15, v4
                                        ; implicit-def: $vgpr4
	s_and_saveexec_b64 s[12:13], s[0:1]
	s_xor_b64 s[0:1], exec, s[12:13]
; %bb.604:                              ;   in Loop: Header=BB361_306 Depth=1
	v_bfe_u32 v4, v5, 16, 1
	v_add3_u32 v4, v5, v4, s20
                                        ; implicit-def: $vgpr5
; %bb.605:                              ;   in Loop: Header=BB361_306 Depth=1
	s_andn2_saveexec_b64 s[12:13], s[0:1]
; %bb.606:                              ;   in Loop: Header=BB361_306 Depth=1
	v_or_b32_e32 v4, 0x10000, v5
	v_cmp_eq_u32_sdwa s[0:1], v5, v11 src0_sel:WORD_0 src1_sel:DWORD
	s_nop 1
	v_cndmask_b32_e64 v4, v4, v5, s[0:1]
; %bb.607:                              ;   in Loop: Header=BB361_306 Depth=1
	s_or_b64 exec, exec, s[12:13]
	v_bfe_u32 v5, v2, 8, 8
	v_cvt_f32_fp8_sdwa v5, v5 src0_sel:BYTE_0
	s_nop 0
	v_mul_f32_e32 v6, v48, v5
	v_and_b32_e32 v5, 0x7f800000, v6
	v_cmp_ne_u32_e64 s[0:1], s15, v5
                                        ; implicit-def: $vgpr5
	s_and_saveexec_b64 s[12:13], s[0:1]
	s_xor_b64 s[0:1], exec, s[12:13]
; %bb.608:                              ;   in Loop: Header=BB361_306 Depth=1
	v_bfe_u32 v5, v6, 16, 1
	v_add3_u32 v5, v6, v5, s20
                                        ; implicit-def: $vgpr6
; %bb.609:                              ;   in Loop: Header=BB361_306 Depth=1
	s_andn2_saveexec_b64 s[12:13], s[0:1]
; %bb.610:                              ;   in Loop: Header=BB361_306 Depth=1
	v_or_b32_e32 v5, 0x10000, v6
	v_cmp_eq_u32_sdwa s[0:1], v6, v11 src0_sel:WORD_0 src1_sel:DWORD
	s_nop 1
	v_cndmask_b32_e64 v5, v5, v6, s[0:1]
; %bb.611:                              ;   in Loop: Header=BB361_306 Depth=1
	s_or_b64 exec, exec, s[12:13]
	v_bfe_u32 v6, v2, 16, 8
	v_cvt_f32_fp8_sdwa v6, v6 src0_sel:BYTE_0
	s_nop 0
	v_mul_f32_e32 v7, v48, v6
	v_and_b32_e32 v6, 0x7f800000, v7
	v_cmp_ne_u32_e64 s[0:1], s15, v6
                                        ; implicit-def: $vgpr6
	s_and_saveexec_b64 s[12:13], s[0:1]
	s_xor_b64 s[0:1], exec, s[12:13]
; %bb.612:                              ;   in Loop: Header=BB361_306 Depth=1
	v_bfe_u32 v6, v7, 16, 1
	v_add3_u32 v6, v7, v6, s20
                                        ; implicit-def: $vgpr7
; %bb.613:                              ;   in Loop: Header=BB361_306 Depth=1
	s_andn2_saveexec_b64 s[12:13], s[0:1]
; %bb.614:                              ;   in Loop: Header=BB361_306 Depth=1
	v_or_b32_e32 v6, 0x10000, v7
	v_cmp_eq_u32_sdwa s[0:1], v7, v11 src0_sel:WORD_0 src1_sel:DWORD
	s_nop 1
	v_cndmask_b32_e64 v6, v6, v7, s[0:1]
; %bb.615:                              ;   in Loop: Header=BB361_306 Depth=1
	s_or_b64 exec, exec, s[12:13]
	v_lshrrev_b32_e32 v2, 24, v2
	v_cvt_f32_fp8_sdwa v2, v2 src0_sel:BYTE_0
	s_nop 0
	v_mul_f32_e32 v7, v48, v2
	v_and_b32_e32 v2, 0x7f800000, v7
	v_cmp_ne_u32_e64 s[0:1], s15, v2
                                        ; implicit-def: $vgpr2
	s_and_saveexec_b64 s[12:13], s[0:1]
	s_xor_b64 s[0:1], exec, s[12:13]
; %bb.616:                              ;   in Loop: Header=BB361_306 Depth=1
	v_bfe_u32 v2, v7, 16, 1
	v_add3_u32 v2, v7, v2, s20
                                        ; implicit-def: $vgpr7
; %bb.617:                              ;   in Loop: Header=BB361_306 Depth=1
	s_andn2_saveexec_b64 s[12:13], s[0:1]
; %bb.618:                              ;   in Loop: Header=BB361_306 Depth=1
	v_or_b32_e32 v2, 0x10000, v7
	v_cmp_eq_u32_sdwa s[0:1], v7, v11 src0_sel:WORD_0 src1_sel:DWORD
	s_nop 1
	v_cndmask_b32_e64 v2, v2, v7, s[0:1]
; %bb.619:                              ;   in Loop: Header=BB361_306 Depth=1
	s_or_b64 exec, exec, s[12:13]
	v_and_b32_e32 v7, 0xff, v3
	v_cvt_f32_fp8_sdwa v7, v7 src0_sel:BYTE_0
	s_nop 0
	v_mul_f32_e32 v8, v48, v7
	v_and_b32_e32 v7, 0x7f800000, v8
	v_cmp_ne_u32_e64 s[0:1], s15, v7
                                        ; implicit-def: $vgpr7
	s_and_saveexec_b64 s[12:13], s[0:1]
	s_xor_b64 s[0:1], exec, s[12:13]
; %bb.620:                              ;   in Loop: Header=BB361_306 Depth=1
	v_bfe_u32 v7, v8, 16, 1
	v_add3_u32 v7, v8, v7, s20
                                        ; implicit-def: $vgpr8
; %bb.621:                              ;   in Loop: Header=BB361_306 Depth=1
	s_andn2_saveexec_b64 s[12:13], s[0:1]
; %bb.622:                              ;   in Loop: Header=BB361_306 Depth=1
	v_or_b32_e32 v7, 0x10000, v8
	v_cmp_eq_u32_sdwa s[0:1], v8, v11 src0_sel:WORD_0 src1_sel:DWORD
	s_nop 1
	v_cndmask_b32_e64 v7, v7, v8, s[0:1]
; %bb.623:                              ;   in Loop: Header=BB361_306 Depth=1
	s_or_b64 exec, exec, s[12:13]
	v_bfe_u32 v8, v3, 8, 8
	v_cvt_f32_fp8_sdwa v8, v8 src0_sel:BYTE_0
	s_nop 0
	v_mul_f32_e32 v9, v48, v8
	v_and_b32_e32 v8, 0x7f800000, v9
	v_cmp_ne_u32_e64 s[0:1], s15, v8
                                        ; implicit-def: $vgpr8
	s_and_saveexec_b64 s[12:13], s[0:1]
	s_xor_b64 s[0:1], exec, s[12:13]
; %bb.624:                              ;   in Loop: Header=BB361_306 Depth=1
	v_bfe_u32 v8, v9, 16, 1
	v_add3_u32 v8, v9, v8, s20
                                        ; implicit-def: $vgpr9
; %bb.625:                              ;   in Loop: Header=BB361_306 Depth=1
	s_andn2_saveexec_b64 s[12:13], s[0:1]
; %bb.626:                              ;   in Loop: Header=BB361_306 Depth=1
	v_or_b32_e32 v8, 0x10000, v9
	v_cmp_eq_u32_sdwa s[0:1], v9, v11 src0_sel:WORD_0 src1_sel:DWORD
	s_nop 1
	v_cndmask_b32_e64 v8, v8, v9, s[0:1]
; %bb.627:                              ;   in Loop: Header=BB361_306 Depth=1
	s_or_b64 exec, exec, s[12:13]
	v_bfe_u32 v9, v3, 16, 8
	v_cvt_f32_fp8_sdwa v9, v9 src0_sel:BYTE_0
                                        ; implicit-def: $vgpr20
	s_nop 0
	v_mul_f32_e32 v9, v48, v9
	v_and_b32_e32 v10, 0x7f800000, v9
	v_cmp_ne_u32_e64 s[0:1], s15, v10
	s_and_saveexec_b64 s[12:13], s[0:1]
	s_xor_b64 s[0:1], exec, s[12:13]
; %bb.628:                              ;   in Loop: Header=BB361_306 Depth=1
	v_bfe_u32 v10, v9, 16, 1
	v_add3_u32 v20, v9, v10, s20
                                        ; implicit-def: $vgpr9
; %bb.629:                              ;   in Loop: Header=BB361_306 Depth=1
	s_andn2_saveexec_b64 s[12:13], s[0:1]
; %bb.630:                              ;   in Loop: Header=BB361_306 Depth=1
	v_or_b32_e32 v10, 0x10000, v9
	v_cmp_eq_u32_sdwa s[0:1], v9, v11 src0_sel:WORD_0 src1_sel:DWORD
	s_nop 1
	v_cndmask_b32_e64 v20, v10, v9, s[0:1]
; %bb.631:                              ;   in Loop: Header=BB361_306 Depth=1
	s_or_b64 exec, exec, s[12:13]
	v_lshrrev_b32_e32 v3, 24, v3
	v_cvt_f32_fp8_sdwa v3, v3 src0_sel:BYTE_0
	s_nop 0
	v_mul_f32_e32 v3, v48, v3
	v_and_b32_e32 v9, 0x7f800000, v3
	v_cmp_ne_u32_e64 s[0:1], s15, v9
                                        ; implicit-def: $vgpr9
	s_and_saveexec_b64 s[12:13], s[0:1]
	s_xor_b64 s[0:1], exec, s[12:13]
; %bb.632:                              ;   in Loop: Header=BB361_306 Depth=1
	v_bfe_u32 v9, v3, 16, 1
	v_add3_u32 v9, v3, v9, s20
                                        ; implicit-def: $vgpr3
; %bb.633:                              ;   in Loop: Header=BB361_306 Depth=1
	s_andn2_saveexec_b64 s[12:13], s[0:1]
; %bb.634:                              ;   in Loop: Header=BB361_306 Depth=1
	v_or_b32_e32 v9, 0x10000, v3
	v_cmp_eq_u32_sdwa s[0:1], v3, v11 src0_sel:WORD_0 src1_sel:DWORD
	s_nop 1
	v_cndmask_b32_e64 v9, v9, v3, s[0:1]
; %bb.635:                              ;   in Loop: Header=BB361_306 Depth=1
	s_or_b64 exec, exec, s[12:13]
	v_lshrrev_b32_e32 v10, 16, v8
	v_lshrrev_b32_e32 v21, 16, v7
	;; [unrolled: 1-line block ×8, first 2 shown]
	s_and_saveexec_b64 s[12:13], vcc
	s_cbranch_execz .LBB361_637
; %bb.636:                              ;   in Loop: Header=BB361_306 Depth=1
	scratch_load_dword v8, off, s32 offset:196 ; 4-byte Folded Reload
	v_accvgpr_read_b32 v9, a35
	s_waitcnt vmcnt(0)
	v_cmp_lt_i32_e64 s[0:1], v52, v8
	s_nop 1
	v_cndmask_b32_e64 v4, 0, v4, s[0:1]
	v_cmp_lt_i32_e64 s[0:1], v9, v8
	v_accvgpr_read_b32 v9, a34
	s_nop 0
	v_cndmask_b32_e64 v5, 0, v5, s[0:1]
	v_cmp_lt_i32_e64 s[0:1], v9, v8
	v_accvgpr_read_b32 v9, a33
	;; [unrolled: 4-line block ×6, first 2 shown]
	s_nop 0
	v_cndmask_b32_e64 v3, 0, v3, s[0:1]
	v_cmp_lt_i32_e64 s[0:1], v9, v8
	s_nop 1
	v_cndmask_b32_e64 v2, 0, v2, s[0:1]
.LBB361_637:                            ;   in Loop: Header=BB361_306 Depth=1
	s_or_b64 exec, exec, s[12:13]
	v_lshlrev_b32_e32 v4, 16, v4
	v_mul_f32_e32 v4, v47, v4
	v_and_b32_e32 v8, 0x7f800000, v4
	v_cmp_ne_u32_e64 s[0:1], s15, v8
                                        ; implicit-def: $vgpr20
	s_and_saveexec_b64 s[12:13], s[0:1]
	s_xor_b64 s[0:1], exec, s[12:13]
; %bb.638:                              ;   in Loop: Header=BB361_306 Depth=1
	v_bfe_u32 v8, v4, 16, 1
	v_add3_u32 v20, v4, v8, s20
                                        ; implicit-def: $vgpr4
; %bb.639:                              ;   in Loop: Header=BB361_306 Depth=1
	s_andn2_saveexec_b64 s[12:13], s[0:1]
; %bb.640:                              ;   in Loop: Header=BB361_306 Depth=1
	v_or_b32_e32 v8, 0x10000, v4
	v_cmp_eq_u32_sdwa s[0:1], v4, v11 src0_sel:WORD_0 src1_sel:DWORD
	s_nop 1
	v_cndmask_b32_e64 v20, v8, v4, s[0:1]
; %bb.641:                              ;   in Loop: Header=BB361_306 Depth=1
	s_or_b64 exec, exec, s[12:13]
	v_lshlrev_b32_e32 v4, 16, v5
	v_mul_f32_e32 v4, v56, v4
	v_and_b32_e32 v5, 0x7f800000, v4
	v_cmp_ne_u32_e64 s[0:1], s15, v5
                                        ; implicit-def: $vgpr32
	s_and_saveexec_b64 s[12:13], s[0:1]
	s_xor_b64 s[0:1], exec, s[12:13]
; %bb.642:                              ;   in Loop: Header=BB361_306 Depth=1
	v_bfe_u32 v5, v4, 16, 1
	v_add3_u32 v32, v4, v5, s20
                                        ; implicit-def: $vgpr4
; %bb.643:                              ;   in Loop: Header=BB361_306 Depth=1
	s_andn2_saveexec_b64 s[12:13], s[0:1]
; %bb.644:                              ;   in Loop: Header=BB361_306 Depth=1
	v_or_b32_e32 v5, 0x10000, v4
	v_cmp_eq_u32_sdwa s[0:1], v4, v11 src0_sel:WORD_0 src1_sel:DWORD
	s_nop 1
	v_cndmask_b32_e64 v32, v5, v4, s[0:1]
; %bb.645:                              ;   in Loop: Header=BB361_306 Depth=1
	s_or_b64 exec, exec, s[12:13]
	v_lshlrev_b32_e32 v4, 16, v6
	v_mul_f32_e32 v4, v57, v4
	v_and_b32_e32 v5, 0x7f800000, v4
	v_cmp_ne_u32_e64 s[0:1], s15, v5
                                        ; implicit-def: $vgpr37
	s_and_saveexec_b64 s[12:13], s[0:1]
	s_xor_b64 s[0:1], exec, s[12:13]
; %bb.646:                              ;   in Loop: Header=BB361_306 Depth=1
	v_bfe_u32 v5, v4, 16, 1
	v_add3_u32 v37, v4, v5, s20
                                        ; implicit-def: $vgpr4
; %bb.647:                              ;   in Loop: Header=BB361_306 Depth=1
	s_andn2_saveexec_b64 s[12:13], s[0:1]
; %bb.648:                              ;   in Loop: Header=BB361_306 Depth=1
	v_or_b32_e32 v5, 0x10000, v4
	v_cmp_eq_u32_sdwa s[0:1], v4, v11 src0_sel:WORD_0 src1_sel:DWORD
	s_nop 1
	v_cndmask_b32_e64 v37, v5, v4, s[0:1]
; %bb.649:                              ;   in Loop: Header=BB361_306 Depth=1
	s_or_b64 exec, exec, s[12:13]
	v_lshlrev_b32_e32 v4, 16, v7
	v_mul_f32_e32 v4, v58, v4
	v_and_b32_e32 v5, 0x7f800000, v4
	v_cmp_ne_u32_e64 s[0:1], s15, v5
                                        ; implicit-def: $vgpr38
	s_and_saveexec_b64 s[12:13], s[0:1]
	s_xor_b64 s[0:1], exec, s[12:13]
; %bb.650:                              ;   in Loop: Header=BB361_306 Depth=1
	v_bfe_u32 v5, v4, 16, 1
	v_add3_u32 v38, v4, v5, s20
                                        ; implicit-def: $vgpr4
; %bb.651:                              ;   in Loop: Header=BB361_306 Depth=1
	s_andn2_saveexec_b64 s[12:13], s[0:1]
; %bb.652:                              ;   in Loop: Header=BB361_306 Depth=1
	v_or_b32_e32 v5, 0x10000, v4
	v_cmp_eq_u32_sdwa s[0:1], v4, v11 src0_sel:WORD_0 src1_sel:DWORD
	s_nop 1
	v_cndmask_b32_e64 v38, v5, v4, s[0:1]
; %bb.653:                              ;   in Loop: Header=BB361_306 Depth=1
	s_or_b64 exec, exec, s[12:13]
	v_lshlrev_b32_e32 v4, 16, v21
	v_mul_f32_e32 v5, v59, v4
	v_and_b32_e32 v4, 0x7f800000, v5
	v_cmp_ne_u32_e64 s[0:1], s15, v4
                                        ; implicit-def: $vgpr4
	s_and_saveexec_b64 s[12:13], s[0:1]
	s_xor_b64 s[0:1], exec, s[12:13]
; %bb.654:                              ;   in Loop: Header=BB361_306 Depth=1
	v_bfe_u32 v4, v5, 16, 1
	v_add3_u32 v4, v5, v4, s20
                                        ; implicit-def: $vgpr5
; %bb.655:                              ;   in Loop: Header=BB361_306 Depth=1
	s_andn2_saveexec_b64 s[12:13], s[0:1]
; %bb.656:                              ;   in Loop: Header=BB361_306 Depth=1
	v_or_b32_e32 v4, 0x10000, v5
	v_cmp_eq_u32_sdwa s[0:1], v5, v11 src0_sel:WORD_0 src1_sel:DWORD
	s_nop 1
	v_cndmask_b32_e64 v4, v4, v5, s[0:1]
; %bb.657:                              ;   in Loop: Header=BB361_306 Depth=1
	s_or_b64 exec, exec, s[12:13]
	v_lshlrev_b32_e32 v5, 16, v10
	v_mul_f32_e32 v5, v60, v5
	v_and_b32_e32 v6, 0x7f800000, v5
	v_cmp_ne_u32_e64 s[0:1], s15, v6
                                        ; implicit-def: $vgpr33
	s_and_saveexec_b64 s[12:13], s[0:1]
	s_xor_b64 s[0:1], exec, s[12:13]
; %bb.658:                              ;   in Loop: Header=BB361_306 Depth=1
	v_bfe_u32 v6, v5, 16, 1
	v_add3_u32 v33, v5, v6, s20
                                        ; implicit-def: $vgpr5
; %bb.659:                              ;   in Loop: Header=BB361_306 Depth=1
	s_andn2_saveexec_b64 s[12:13], s[0:1]
; %bb.660:                              ;   in Loop: Header=BB361_306 Depth=1
	v_or_b32_e32 v6, 0x10000, v5
	v_cmp_eq_u32_sdwa s[0:1], v5, v11 src0_sel:WORD_0 src1_sel:DWORD
	s_nop 1
	v_cndmask_b32_e64 v33, v6, v5, s[0:1]
; %bb.661:                              ;   in Loop: Header=BB361_306 Depth=1
	s_or_b64 exec, exec, s[12:13]
	v_lshlrev_b32_e32 v3, 16, v3
	v_mul_f32_e32 v3, v61, v3
	v_and_b32_e32 v5, 0x7f800000, v3
	v_cmp_ne_u32_e64 s[0:1], s15, v5
                                        ; implicit-def: $vgpr34
	s_and_saveexec_b64 s[12:13], s[0:1]
	s_xor_b64 s[0:1], exec, s[12:13]
; %bb.662:                              ;   in Loop: Header=BB361_306 Depth=1
	v_bfe_u32 v5, v3, 16, 1
	v_add3_u32 v34, v3, v5, s20
                                        ; implicit-def: $vgpr3
; %bb.663:                              ;   in Loop: Header=BB361_306 Depth=1
	s_andn2_saveexec_b64 s[12:13], s[0:1]
; %bb.664:                              ;   in Loop: Header=BB361_306 Depth=1
	v_or_b32_e32 v5, 0x10000, v3
	v_cmp_eq_u32_sdwa s[0:1], v3, v11 src0_sel:WORD_0 src1_sel:DWORD
	s_nop 1
	v_cndmask_b32_e64 v34, v5, v3, s[0:1]
; %bb.665:                              ;   in Loop: Header=BB361_306 Depth=1
	s_or_b64 exec, exec, s[12:13]
	v_lshlrev_b32_e32 v2, 16, v2
	v_mul_f32_e32 v2, v35, v2
	v_and_b32_e32 v3, 0x7f800000, v2
	v_cmp_ne_u32_e64 s[0:1], s15, v3
                                        ; implicit-def: $vgpr10
	s_and_saveexec_b64 s[12:13], s[0:1]
	s_xor_b64 s[0:1], exec, s[12:13]
; %bb.666:                              ;   in Loop: Header=BB361_306 Depth=1
	v_bfe_u32 v3, v2, 16, 1
	v_add3_u32 v10, v2, v3, s20
                                        ; implicit-def: $vgpr2
; %bb.667:                              ;   in Loop: Header=BB361_306 Depth=1
	s_andn2_saveexec_b64 s[12:13], s[0:1]
; %bb.668:                              ;   in Loop: Header=BB361_306 Depth=1
	v_or_b32_e32 v3, 0x10000, v2
	v_cmp_eq_u32_sdwa s[0:1], v2, v11 src0_sel:WORD_0 src1_sel:DWORD
	s_nop 1
	v_cndmask_b32_e64 v10, v3, v2, s[0:1]
; %bb.669:                              ;   in Loop: Header=BB361_306 Depth=1
	s_or_b64 exec, exec, s[12:13]
	flat_load_dwordx2 v[2:3], v[0:1] offset:2560
                                        ; implicit-def: $vgpr21
	s_waitcnt vmcnt(0) lgkmcnt(0)
	v_and_b32_e32 v5, 0xff, v2
	v_cvt_f32_fp8_sdwa v5, v5 src0_sel:BYTE_0
	s_nop 0
	v_mul_f32_e32 v5, v48, v5
	v_and_b32_e32 v6, 0x7f800000, v5
	v_cmp_ne_u32_e64 s[0:1], s15, v6
	s_and_saveexec_b64 s[12:13], s[0:1]
	s_xor_b64 s[0:1], exec, s[12:13]
; %bb.670:                              ;   in Loop: Header=BB361_306 Depth=1
	v_bfe_u32 v6, v5, 16, 1
	v_add3_u32 v21, v5, v6, s20
                                        ; implicit-def: $vgpr5
; %bb.671:                              ;   in Loop: Header=BB361_306 Depth=1
	s_andn2_saveexec_b64 s[12:13], s[0:1]
; %bb.672:                              ;   in Loop: Header=BB361_306 Depth=1
	v_or_b32_e32 v6, 0x10000, v5
	v_cmp_eq_u32_sdwa s[0:1], v5, v11 src0_sel:WORD_0 src1_sel:DWORD
	s_nop 1
	v_cndmask_b32_e64 v21, v6, v5, s[0:1]
; %bb.673:                              ;   in Loop: Header=BB361_306 Depth=1
	s_or_b64 exec, exec, s[12:13]
	v_bfe_u32 v5, v2, 8, 8
	v_cvt_f32_fp8_sdwa v5, v5 src0_sel:BYTE_0
	s_nop 0
	v_mul_f32_e32 v6, v48, v5
	v_and_b32_e32 v5, 0x7f800000, v6
	v_cmp_ne_u32_e64 s[0:1], s15, v5
                                        ; implicit-def: $vgpr5
	s_and_saveexec_b64 s[12:13], s[0:1]
	s_xor_b64 s[0:1], exec, s[12:13]
; %bb.674:                              ;   in Loop: Header=BB361_306 Depth=1
	v_bfe_u32 v5, v6, 16, 1
	v_add3_u32 v5, v6, v5, s20
                                        ; implicit-def: $vgpr6
; %bb.675:                              ;   in Loop: Header=BB361_306 Depth=1
	s_andn2_saveexec_b64 s[12:13], s[0:1]
; %bb.676:                              ;   in Loop: Header=BB361_306 Depth=1
	v_or_b32_e32 v5, 0x10000, v6
	v_cmp_eq_u32_sdwa s[0:1], v6, v11 src0_sel:WORD_0 src1_sel:DWORD
	s_nop 1
	v_cndmask_b32_e64 v5, v5, v6, s[0:1]
; %bb.677:                              ;   in Loop: Header=BB361_306 Depth=1
	s_or_b64 exec, exec, s[12:13]
	v_bfe_u32 v6, v2, 16, 8
	v_cvt_f32_fp8_sdwa v6, v6 src0_sel:BYTE_0
	s_nop 0
	v_mul_f32_e32 v7, v48, v6
	v_and_b32_e32 v6, 0x7f800000, v7
	v_cmp_ne_u32_e64 s[0:1], s15, v6
                                        ; implicit-def: $vgpr6
	s_and_saveexec_b64 s[12:13], s[0:1]
	s_xor_b64 s[0:1], exec, s[12:13]
; %bb.678:                              ;   in Loop: Header=BB361_306 Depth=1
	v_bfe_u32 v6, v7, 16, 1
	v_add3_u32 v6, v7, v6, s20
                                        ; implicit-def: $vgpr7
; %bb.679:                              ;   in Loop: Header=BB361_306 Depth=1
	s_andn2_saveexec_b64 s[12:13], s[0:1]
; %bb.680:                              ;   in Loop: Header=BB361_306 Depth=1
	v_or_b32_e32 v6, 0x10000, v7
	v_cmp_eq_u32_sdwa s[0:1], v7, v11 src0_sel:WORD_0 src1_sel:DWORD
	s_nop 1
	v_cndmask_b32_e64 v6, v6, v7, s[0:1]
; %bb.681:                              ;   in Loop: Header=BB361_306 Depth=1
	s_or_b64 exec, exec, s[12:13]
	v_lshrrev_b32_e32 v2, 24, v2
	v_cvt_f32_fp8_sdwa v2, v2 src0_sel:BYTE_0
	s_nop 0
	v_mul_f32_e32 v7, v48, v2
	v_and_b32_e32 v2, 0x7f800000, v7
	v_cmp_ne_u32_e64 s[0:1], s15, v2
                                        ; implicit-def: $vgpr2
	s_and_saveexec_b64 s[12:13], s[0:1]
	s_xor_b64 s[0:1], exec, s[12:13]
; %bb.682:                              ;   in Loop: Header=BB361_306 Depth=1
	v_bfe_u32 v2, v7, 16, 1
	v_add3_u32 v2, v7, v2, s20
                                        ; implicit-def: $vgpr7
; %bb.683:                              ;   in Loop: Header=BB361_306 Depth=1
	s_andn2_saveexec_b64 s[12:13], s[0:1]
; %bb.684:                              ;   in Loop: Header=BB361_306 Depth=1
	v_or_b32_e32 v2, 0x10000, v7
	v_cmp_eq_u32_sdwa s[0:1], v7, v11 src0_sel:WORD_0 src1_sel:DWORD
	s_nop 1
	v_cndmask_b32_e64 v2, v2, v7, s[0:1]
; %bb.685:                              ;   in Loop: Header=BB361_306 Depth=1
	s_or_b64 exec, exec, s[12:13]
	v_and_b32_e32 v7, 0xff, v3
	v_cvt_f32_fp8_sdwa v7, v7 src0_sel:BYTE_0
	s_nop 0
	v_mul_f32_e32 v8, v48, v7
	v_and_b32_e32 v7, 0x7f800000, v8
	v_cmp_ne_u32_e64 s[0:1], s15, v7
                                        ; implicit-def: $vgpr7
	s_and_saveexec_b64 s[12:13], s[0:1]
	s_xor_b64 s[0:1], exec, s[12:13]
; %bb.686:                              ;   in Loop: Header=BB361_306 Depth=1
	v_bfe_u32 v7, v8, 16, 1
	v_add3_u32 v7, v8, v7, s20
                                        ; implicit-def: $vgpr8
; %bb.687:                              ;   in Loop: Header=BB361_306 Depth=1
	s_andn2_saveexec_b64 s[12:13], s[0:1]
; %bb.688:                              ;   in Loop: Header=BB361_306 Depth=1
	v_or_b32_e32 v7, 0x10000, v8
	v_cmp_eq_u32_sdwa s[0:1], v8, v11 src0_sel:WORD_0 src1_sel:DWORD
	s_nop 1
	v_cndmask_b32_e64 v7, v7, v8, s[0:1]
; %bb.689:                              ;   in Loop: Header=BB361_306 Depth=1
	s_or_b64 exec, exec, s[12:13]
	v_bfe_u32 v8, v3, 8, 8
	v_cvt_f32_fp8_sdwa v8, v8 src0_sel:BYTE_0
	s_nop 0
	v_mul_f32_e32 v9, v48, v8
	v_and_b32_e32 v8, 0x7f800000, v9
	v_cmp_ne_u32_e64 s[0:1], s15, v8
                                        ; implicit-def: $vgpr8
	s_and_saveexec_b64 s[12:13], s[0:1]
	s_xor_b64 s[0:1], exec, s[12:13]
; %bb.690:                              ;   in Loop: Header=BB361_306 Depth=1
	v_bfe_u32 v8, v9, 16, 1
	v_add3_u32 v8, v9, v8, s20
                                        ; implicit-def: $vgpr9
; %bb.691:                              ;   in Loop: Header=BB361_306 Depth=1
	s_andn2_saveexec_b64 s[12:13], s[0:1]
; %bb.692:                              ;   in Loop: Header=BB361_306 Depth=1
	v_or_b32_e32 v8, 0x10000, v9
	v_cmp_eq_u32_sdwa s[0:1], v9, v11 src0_sel:WORD_0 src1_sel:DWORD
	s_nop 1
	v_cndmask_b32_e64 v8, v8, v9, s[0:1]
; %bb.693:                              ;   in Loop: Header=BB361_306 Depth=1
	s_or_b64 exec, exec, s[12:13]
	v_bfe_u32 v9, v3, 16, 8
	v_cvt_f32_fp8_sdwa v9, v9 src0_sel:BYTE_0
                                        ; implicit-def: $vgpr27
	s_nop 0
	v_mul_f32_e32 v9, v48, v9
	v_and_b32_e32 v22, 0x7f800000, v9
	v_cmp_ne_u32_e64 s[0:1], s15, v22
	s_and_saveexec_b64 s[12:13], s[0:1]
	s_xor_b64 s[0:1], exec, s[12:13]
; %bb.694:                              ;   in Loop: Header=BB361_306 Depth=1
	v_bfe_u32 v22, v9, 16, 1
	v_add3_u32 v27, v9, v22, s20
                                        ; implicit-def: $vgpr9
; %bb.695:                              ;   in Loop: Header=BB361_306 Depth=1
	s_andn2_saveexec_b64 s[12:13], s[0:1]
; %bb.696:                              ;   in Loop: Header=BB361_306 Depth=1
	v_or_b32_e32 v22, 0x10000, v9
	v_cmp_eq_u32_sdwa s[0:1], v9, v11 src0_sel:WORD_0 src1_sel:DWORD
	s_nop 1
	v_cndmask_b32_e64 v27, v22, v9, s[0:1]
; %bb.697:                              ;   in Loop: Header=BB361_306 Depth=1
	s_or_b64 exec, exec, s[12:13]
	v_lshrrev_b32_e32 v3, 24, v3
	v_cvt_f32_fp8_sdwa v3, v3 src0_sel:BYTE_0
	s_nop 0
	v_mul_f32_e32 v3, v48, v3
	v_and_b32_e32 v9, 0x7f800000, v3
	v_cmp_ne_u32_e64 s[0:1], s15, v9
                                        ; implicit-def: $vgpr9
	s_and_saveexec_b64 s[12:13], s[0:1]
	s_xor_b64 s[0:1], exec, s[12:13]
; %bb.698:                              ;   in Loop: Header=BB361_306 Depth=1
	v_bfe_u32 v9, v3, 16, 1
	v_add3_u32 v9, v3, v9, s20
                                        ; implicit-def: $vgpr3
; %bb.699:                              ;   in Loop: Header=BB361_306 Depth=1
	s_andn2_saveexec_b64 s[12:13], s[0:1]
; %bb.700:                              ;   in Loop: Header=BB361_306 Depth=1
	v_or_b32_e32 v9, 0x10000, v3
	v_cmp_eq_u32_sdwa s[0:1], v3, v11 src0_sel:WORD_0 src1_sel:DWORD
	s_nop 1
	v_cndmask_b32_e64 v9, v9, v3, s[0:1]
; %bb.701:                              ;   in Loop: Header=BB361_306 Depth=1
	s_or_b64 exec, exec, s[12:13]
	v_lshrrev_b32_e32 v26, 16, v8
	v_lshrrev_b32_e32 v22, 16, v7
	;; [unrolled: 1-line block ×8, first 2 shown]
	s_and_saveexec_b64 s[12:13], vcc
	s_cbranch_execz .LBB361_703
; %bb.702:                              ;   in Loop: Header=BB361_306 Depth=1
	scratch_load_dword v9, off, s32 offset:196 ; 4-byte Folded Reload
	v_accvgpr_read_b32 v21, a35
	s_waitcnt vmcnt(0)
	v_cmp_lt_i32_e64 s[0:1], v52, v9
	s_nop 1
	v_cndmask_b32_e64 v8, 0, v8, s[0:1]
	v_cmp_lt_i32_e64 s[0:1], v21, v9
	v_accvgpr_read_b32 v21, a34
	s_nop 0
	v_cndmask_b32_e64 v5, 0, v5, s[0:1]
	v_cmp_lt_i32_e64 s[0:1], v21, v9
	v_accvgpr_read_b32 v21, a33
	;; [unrolled: 4-line block ×6, first 2 shown]
	s_nop 0
	v_cndmask_b32_e64 v3, 0, v3, s[0:1]
	v_cmp_lt_i32_e64 s[0:1], v21, v9
	s_nop 1
	v_cndmask_b32_e64 v2, 0, v2, s[0:1]
.LBB361_703:                            ;   in Loop: Header=BB361_306 Depth=1
	s_or_b64 exec, exec, s[12:13]
	v_lshlrev_b32_e32 v8, 16, v8
	v_mul_f32_e32 v8, v47, v8
	v_and_b32_e32 v9, 0x7f800000, v8
	v_cmp_ne_u32_e64 s[0:1], s15, v9
                                        ; implicit-def: $vgpr30
	s_and_saveexec_b64 s[12:13], s[0:1]
	s_xor_b64 s[0:1], exec, s[12:13]
; %bb.704:                              ;   in Loop: Header=BB361_306 Depth=1
	v_bfe_u32 v9, v8, 16, 1
	v_add3_u32 v30, v8, v9, s20
                                        ; implicit-def: $vgpr8
; %bb.705:                              ;   in Loop: Header=BB361_306 Depth=1
	s_andn2_saveexec_b64 s[12:13], s[0:1]
; %bb.706:                              ;   in Loop: Header=BB361_306 Depth=1
	v_or_b32_e32 v9, 0x10000, v8
	v_cmp_eq_u32_sdwa s[0:1], v8, v11 src0_sel:WORD_0 src1_sel:DWORD
	s_nop 1
	v_cndmask_b32_e64 v30, v9, v8, s[0:1]
; %bb.707:                              ;   in Loop: Header=BB361_306 Depth=1
	s_or_b64 exec, exec, s[12:13]
	v_lshlrev_b32_e32 v5, 16, v5
	v_mul_f32_e32 v5, v56, v5
	v_and_b32_e32 v8, 0x7f800000, v5
	v_cmp_ne_u32_e64 s[0:1], s15, v8
                                        ; implicit-def: $vgpr53
	s_and_saveexec_b64 s[12:13], s[0:1]
	s_xor_b64 s[0:1], exec, s[12:13]
; %bb.708:                              ;   in Loop: Header=BB361_306 Depth=1
	v_bfe_u32 v8, v5, 16, 1
	v_add3_u32 v53, v5, v8, s20
                                        ; implicit-def: $vgpr5
; %bb.709:                              ;   in Loop: Header=BB361_306 Depth=1
	s_andn2_saveexec_b64 s[12:13], s[0:1]
; %bb.710:                              ;   in Loop: Header=BB361_306 Depth=1
	v_or_b32_e32 v8, 0x10000, v5
	v_cmp_eq_u32_sdwa s[0:1], v5, v11 src0_sel:WORD_0 src1_sel:DWORD
	s_nop 1
	v_cndmask_b32_e64 v53, v8, v5, s[0:1]
; %bb.711:                              ;   in Loop: Header=BB361_306 Depth=1
	s_or_b64 exec, exec, s[12:13]
	v_lshlrev_b32_e32 v5, 16, v6
	v_mul_f32_e32 v5, v57, v5
	v_and_b32_e32 v6, 0x7f800000, v5
	v_cmp_ne_u32_e64 s[0:1], s15, v6
                                        ; implicit-def: $vgpr41
	s_and_saveexec_b64 s[12:13], s[0:1]
	s_xor_b64 s[0:1], exec, s[12:13]
; %bb.712:                              ;   in Loop: Header=BB361_306 Depth=1
	v_bfe_u32 v6, v5, 16, 1
	v_add3_u32 v41, v5, v6, s20
                                        ; implicit-def: $vgpr5
; %bb.713:                              ;   in Loop: Header=BB361_306 Depth=1
	s_andn2_saveexec_b64 s[12:13], s[0:1]
; %bb.714:                              ;   in Loop: Header=BB361_306 Depth=1
	v_or_b32_e32 v6, 0x10000, v5
	v_cmp_eq_u32_sdwa s[0:1], v5, v11 src0_sel:WORD_0 src1_sel:DWORD
	s_nop 1
	v_cndmask_b32_e64 v41, v6, v5, s[0:1]
; %bb.715:                              ;   in Loop: Header=BB361_306 Depth=1
	s_or_b64 exec, exec, s[12:13]
	v_lshlrev_b32_e32 v5, 16, v7
	v_mul_f32_e32 v5, v58, v5
	v_and_b32_e32 v6, 0x7f800000, v5
	v_cmp_ne_u32_e64 s[0:1], s15, v6
                                        ; implicit-def: $vgpr54
	s_and_saveexec_b64 s[12:13], s[0:1]
	s_xor_b64 s[0:1], exec, s[12:13]
; %bb.716:                              ;   in Loop: Header=BB361_306 Depth=1
	v_bfe_u32 v6, v5, 16, 1
	v_add3_u32 v54, v5, v6, s20
                                        ; implicit-def: $vgpr5
; %bb.717:                              ;   in Loop: Header=BB361_306 Depth=1
	s_andn2_saveexec_b64 s[12:13], s[0:1]
; %bb.718:                              ;   in Loop: Header=BB361_306 Depth=1
	v_or_b32_e32 v6, 0x10000, v5
	v_cmp_eq_u32_sdwa s[0:1], v5, v11 src0_sel:WORD_0 src1_sel:DWORD
	s_nop 1
	v_cndmask_b32_e64 v54, v6, v5, s[0:1]
; %bb.719:                              ;   in Loop: Header=BB361_306 Depth=1
	s_or_b64 exec, exec, s[12:13]
	v_lshlrev_b32_e32 v5, 16, v22
	v_mul_f32_e32 v5, v59, v5
	v_and_b32_e32 v6, 0x7f800000, v5
	v_cmp_ne_u32_e64 s[0:1], s15, v6
                                        ; implicit-def: $vgpr55
	s_and_saveexec_b64 s[12:13], s[0:1]
	s_xor_b64 s[0:1], exec, s[12:13]
; %bb.720:                              ;   in Loop: Header=BB361_306 Depth=1
	v_bfe_u32 v6, v5, 16, 1
	v_add3_u32 v55, v5, v6, s20
                                        ; implicit-def: $vgpr5
; %bb.721:                              ;   in Loop: Header=BB361_306 Depth=1
	s_andn2_saveexec_b64 s[12:13], s[0:1]
; %bb.722:                              ;   in Loop: Header=BB361_306 Depth=1
	v_or_b32_e32 v6, 0x10000, v5
	v_cmp_eq_u32_sdwa s[0:1], v5, v11 src0_sel:WORD_0 src1_sel:DWORD
	s_nop 1
	v_cndmask_b32_e64 v55, v6, v5, s[0:1]
; %bb.723:                              ;   in Loop: Header=BB361_306 Depth=1
	s_or_b64 exec, exec, s[12:13]
	v_lshlrev_b32_e32 v5, 16, v26
	v_mul_f32_e32 v5, v60, v5
	v_and_b32_e32 v6, 0x7f800000, v5
	v_cmp_ne_u32_e64 s[0:1], s15, v6
                                        ; implicit-def: $vgpr40
	s_and_saveexec_b64 s[12:13], s[0:1]
	s_xor_b64 s[0:1], exec, s[12:13]
; %bb.724:                              ;   in Loop: Header=BB361_306 Depth=1
	v_bfe_u32 v6, v5, 16, 1
	v_add3_u32 v40, v5, v6, s20
                                        ; implicit-def: $vgpr5
; %bb.725:                              ;   in Loop: Header=BB361_306 Depth=1
	s_andn2_saveexec_b64 s[12:13], s[0:1]
; %bb.726:                              ;   in Loop: Header=BB361_306 Depth=1
	v_or_b32_e32 v6, 0x10000, v5
	v_cmp_eq_u32_sdwa s[0:1], v5, v11 src0_sel:WORD_0 src1_sel:DWORD
	s_nop 1
	v_cndmask_b32_e64 v40, v6, v5, s[0:1]
; %bb.727:                              ;   in Loop: Header=BB361_306 Depth=1
	s_or_b64 exec, exec, s[12:13]
	v_lshlrev_b32_e32 v3, 16, v3
	v_mul_f32_e32 v3, v61, v3
	v_and_b32_e32 v5, 0x7f800000, v3
	v_cmp_ne_u32_e64 s[0:1], s15, v5
                                        ; implicit-def: $vgpr44
	s_and_saveexec_b64 s[12:13], s[0:1]
	s_xor_b64 s[0:1], exec, s[12:13]
; %bb.728:                              ;   in Loop: Header=BB361_306 Depth=1
	v_bfe_u32 v5, v3, 16, 1
	v_add3_u32 v44, v3, v5, s20
                                        ; implicit-def: $vgpr3
; %bb.729:                              ;   in Loop: Header=BB361_306 Depth=1
	s_andn2_saveexec_b64 s[12:13], s[0:1]
; %bb.730:                              ;   in Loop: Header=BB361_306 Depth=1
	v_or_b32_e32 v5, 0x10000, v3
	v_cmp_eq_u32_sdwa s[0:1], v3, v11 src0_sel:WORD_0 src1_sel:DWORD
	s_nop 1
	v_cndmask_b32_e64 v44, v5, v3, s[0:1]
; %bb.731:                              ;   in Loop: Header=BB361_306 Depth=1
	s_or_b64 exec, exec, s[12:13]
	v_lshlrev_b32_e32 v2, 16, v2
	v_mul_f32_e32 v2, v35, v2
	v_and_b32_e32 v3, 0x7f800000, v2
	v_cmp_ne_u32_e64 s[0:1], s15, v3
                                        ; implicit-def: $vgpr45
	s_and_saveexec_b64 s[12:13], s[0:1]
	s_xor_b64 s[0:1], exec, s[12:13]
; %bb.732:                              ;   in Loop: Header=BB361_306 Depth=1
	v_bfe_u32 v3, v2, 16, 1
	v_add3_u32 v45, v2, v3, s20
                                        ; implicit-def: $vgpr2
; %bb.733:                              ;   in Loop: Header=BB361_306 Depth=1
	s_andn2_saveexec_b64 s[12:13], s[0:1]
; %bb.734:                              ;   in Loop: Header=BB361_306 Depth=1
	v_or_b32_e32 v3, 0x10000, v2
	v_cmp_eq_u32_sdwa s[0:1], v2, v11 src0_sel:WORD_0 src1_sel:DWORD
	s_nop 1
	v_cndmask_b32_e64 v45, v3, v2, s[0:1]
; %bb.735:                              ;   in Loop: Header=BB361_306 Depth=1
	s_or_b64 exec, exec, s[12:13]
	flat_load_dwordx2 v[2:3], v[0:1] offset:3072
                                        ; implicit-def: $vgpr21
	s_waitcnt vmcnt(0) lgkmcnt(0)
	v_and_b32_e32 v5, 0xff, v2
	v_cvt_f32_fp8_sdwa v5, v5 src0_sel:BYTE_0
	s_nop 0
	v_mul_f32_e32 v5, v48, v5
	v_and_b32_e32 v6, 0x7f800000, v5
	v_cmp_ne_u32_e64 s[0:1], s15, v6
	s_and_saveexec_b64 s[12:13], s[0:1]
	s_xor_b64 s[0:1], exec, s[12:13]
; %bb.736:                              ;   in Loop: Header=BB361_306 Depth=1
	v_bfe_u32 v6, v5, 16, 1
	v_add3_u32 v21, v5, v6, s20
                                        ; implicit-def: $vgpr5
; %bb.737:                              ;   in Loop: Header=BB361_306 Depth=1
	s_andn2_saveexec_b64 s[12:13], s[0:1]
; %bb.738:                              ;   in Loop: Header=BB361_306 Depth=1
	v_or_b32_e32 v6, 0x10000, v5
	v_cmp_eq_u32_sdwa s[0:1], v5, v11 src0_sel:WORD_0 src1_sel:DWORD
	s_nop 1
	v_cndmask_b32_e64 v21, v6, v5, s[0:1]
; %bb.739:                              ;   in Loop: Header=BB361_306 Depth=1
	s_or_b64 exec, exec, s[12:13]
	v_bfe_u32 v5, v2, 8, 8
	v_cvt_f32_fp8_sdwa v5, v5 src0_sel:BYTE_0
	s_nop 0
	v_mul_f32_e32 v6, v48, v5
	v_and_b32_e32 v5, 0x7f800000, v6
	v_cmp_ne_u32_e64 s[0:1], s15, v5
                                        ; implicit-def: $vgpr5
	s_and_saveexec_b64 s[12:13], s[0:1]
	s_xor_b64 s[0:1], exec, s[12:13]
; %bb.740:                              ;   in Loop: Header=BB361_306 Depth=1
	v_bfe_u32 v5, v6, 16, 1
	v_add3_u32 v5, v6, v5, s20
                                        ; implicit-def: $vgpr6
; %bb.741:                              ;   in Loop: Header=BB361_306 Depth=1
	s_andn2_saveexec_b64 s[12:13], s[0:1]
; %bb.742:                              ;   in Loop: Header=BB361_306 Depth=1
	v_or_b32_e32 v5, 0x10000, v6
	v_cmp_eq_u32_sdwa s[0:1], v6, v11 src0_sel:WORD_0 src1_sel:DWORD
	s_nop 1
	v_cndmask_b32_e64 v5, v5, v6, s[0:1]
; %bb.743:                              ;   in Loop: Header=BB361_306 Depth=1
	s_or_b64 exec, exec, s[12:13]
	v_bfe_u32 v6, v2, 16, 8
	v_cvt_f32_fp8_sdwa v6, v6 src0_sel:BYTE_0
	s_nop 0
	v_mul_f32_e32 v7, v48, v6
	v_and_b32_e32 v6, 0x7f800000, v7
	v_cmp_ne_u32_e64 s[0:1], s15, v6
                                        ; implicit-def: $vgpr6
	s_and_saveexec_b64 s[12:13], s[0:1]
	s_xor_b64 s[0:1], exec, s[12:13]
; %bb.744:                              ;   in Loop: Header=BB361_306 Depth=1
	v_bfe_u32 v6, v7, 16, 1
	v_add3_u32 v6, v7, v6, s20
                                        ; implicit-def: $vgpr7
; %bb.745:                              ;   in Loop: Header=BB361_306 Depth=1
	s_andn2_saveexec_b64 s[12:13], s[0:1]
; %bb.746:                              ;   in Loop: Header=BB361_306 Depth=1
	v_or_b32_e32 v6, 0x10000, v7
	v_cmp_eq_u32_sdwa s[0:1], v7, v11 src0_sel:WORD_0 src1_sel:DWORD
	s_nop 1
	v_cndmask_b32_e64 v6, v6, v7, s[0:1]
; %bb.747:                              ;   in Loop: Header=BB361_306 Depth=1
	s_or_b64 exec, exec, s[12:13]
	v_lshrrev_b32_e32 v2, 24, v2
	v_cvt_f32_fp8_sdwa v2, v2 src0_sel:BYTE_0
	s_nop 0
	v_mul_f32_e32 v7, v48, v2
	v_and_b32_e32 v2, 0x7f800000, v7
	v_cmp_ne_u32_e64 s[0:1], s15, v2
                                        ; implicit-def: $vgpr2
	s_and_saveexec_b64 s[12:13], s[0:1]
	s_xor_b64 s[0:1], exec, s[12:13]
; %bb.748:                              ;   in Loop: Header=BB361_306 Depth=1
	v_bfe_u32 v2, v7, 16, 1
	v_add3_u32 v2, v7, v2, s20
                                        ; implicit-def: $vgpr7
; %bb.749:                              ;   in Loop: Header=BB361_306 Depth=1
	s_andn2_saveexec_b64 s[12:13], s[0:1]
; %bb.750:                              ;   in Loop: Header=BB361_306 Depth=1
	v_or_b32_e32 v2, 0x10000, v7
	v_cmp_eq_u32_sdwa s[0:1], v7, v11 src0_sel:WORD_0 src1_sel:DWORD
	s_nop 1
	v_cndmask_b32_e64 v2, v2, v7, s[0:1]
; %bb.751:                              ;   in Loop: Header=BB361_306 Depth=1
	s_or_b64 exec, exec, s[12:13]
	v_and_b32_e32 v7, 0xff, v3
	v_cvt_f32_fp8_sdwa v7, v7 src0_sel:BYTE_0
	s_nop 0
	v_mul_f32_e32 v8, v48, v7
	v_and_b32_e32 v7, 0x7f800000, v8
	v_cmp_ne_u32_e64 s[0:1], s15, v7
                                        ; implicit-def: $vgpr7
	s_and_saveexec_b64 s[12:13], s[0:1]
	s_xor_b64 s[0:1], exec, s[12:13]
; %bb.752:                              ;   in Loop: Header=BB361_306 Depth=1
	v_bfe_u32 v7, v8, 16, 1
	v_add3_u32 v7, v8, v7, s20
                                        ; implicit-def: $vgpr8
; %bb.753:                              ;   in Loop: Header=BB361_306 Depth=1
	s_andn2_saveexec_b64 s[12:13], s[0:1]
; %bb.754:                              ;   in Loop: Header=BB361_306 Depth=1
	v_or_b32_e32 v7, 0x10000, v8
	v_cmp_eq_u32_sdwa s[0:1], v8, v11 src0_sel:WORD_0 src1_sel:DWORD
	s_nop 1
	v_cndmask_b32_e64 v7, v7, v8, s[0:1]
; %bb.755:                              ;   in Loop: Header=BB361_306 Depth=1
	s_or_b64 exec, exec, s[12:13]
	v_bfe_u32 v8, v3, 8, 8
	v_cvt_f32_fp8_sdwa v8, v8 src0_sel:BYTE_0
	s_nop 0
	v_mul_f32_e32 v9, v48, v8
	v_and_b32_e32 v8, 0x7f800000, v9
	v_cmp_ne_u32_e64 s[0:1], s15, v8
                                        ; implicit-def: $vgpr8
	s_and_saveexec_b64 s[12:13], s[0:1]
	s_xor_b64 s[0:1], exec, s[12:13]
; %bb.756:                              ;   in Loop: Header=BB361_306 Depth=1
	v_bfe_u32 v8, v9, 16, 1
	v_add3_u32 v8, v9, v8, s20
                                        ; implicit-def: $vgpr9
; %bb.757:                              ;   in Loop: Header=BB361_306 Depth=1
	s_andn2_saveexec_b64 s[12:13], s[0:1]
; %bb.758:                              ;   in Loop: Header=BB361_306 Depth=1
	v_or_b32_e32 v8, 0x10000, v9
	v_cmp_eq_u32_sdwa s[0:1], v9, v11 src0_sel:WORD_0 src1_sel:DWORD
	s_nop 1
	v_cndmask_b32_e64 v8, v8, v9, s[0:1]
; %bb.759:                              ;   in Loop: Header=BB361_306 Depth=1
	s_or_b64 exec, exec, s[12:13]
	v_bfe_u32 v9, v3, 16, 8
	v_cvt_f32_fp8_sdwa v9, v9 src0_sel:BYTE_0
                                        ; implicit-def: $vgpr26
	s_nop 0
	v_mul_f32_e32 v9, v48, v9
	v_and_b32_e32 v22, 0x7f800000, v9
	v_cmp_ne_u32_e64 s[0:1], s15, v22
	s_and_saveexec_b64 s[12:13], s[0:1]
	s_xor_b64 s[0:1], exec, s[12:13]
; %bb.760:                              ;   in Loop: Header=BB361_306 Depth=1
	v_bfe_u32 v22, v9, 16, 1
	v_add3_u32 v26, v9, v22, s20
                                        ; implicit-def: $vgpr9
; %bb.761:                              ;   in Loop: Header=BB361_306 Depth=1
	s_andn2_saveexec_b64 s[12:13], s[0:1]
; %bb.762:                              ;   in Loop: Header=BB361_306 Depth=1
	v_or_b32_e32 v22, 0x10000, v9
	v_cmp_eq_u32_sdwa s[0:1], v9, v11 src0_sel:WORD_0 src1_sel:DWORD
	s_nop 1
	v_cndmask_b32_e64 v26, v22, v9, s[0:1]
; %bb.763:                              ;   in Loop: Header=BB361_306 Depth=1
	s_or_b64 exec, exec, s[12:13]
	v_lshrrev_b32_e32 v3, 24, v3
	v_cvt_f32_fp8_sdwa v3, v3 src0_sel:BYTE_0
	s_nop 0
	v_mul_f32_e32 v3, v48, v3
	v_and_b32_e32 v9, 0x7f800000, v3
	v_cmp_ne_u32_e64 s[0:1], s15, v9
                                        ; implicit-def: $vgpr9
	s_and_saveexec_b64 s[12:13], s[0:1]
	s_xor_b64 s[0:1], exec, s[12:13]
; %bb.764:                              ;   in Loop: Header=BB361_306 Depth=1
	v_bfe_u32 v9, v3, 16, 1
	v_add3_u32 v9, v3, v9, s20
                                        ; implicit-def: $vgpr3
; %bb.765:                              ;   in Loop: Header=BB361_306 Depth=1
	s_andn2_saveexec_b64 s[12:13], s[0:1]
; %bb.766:                              ;   in Loop: Header=BB361_306 Depth=1
	v_or_b32_e32 v9, 0x10000, v3
	v_cmp_eq_u32_sdwa s[0:1], v3, v11 src0_sel:WORD_0 src1_sel:DWORD
	s_nop 1
	v_cndmask_b32_e64 v9, v9, v3, s[0:1]
; %bb.767:                              ;   in Loop: Header=BB361_306 Depth=1
	s_or_b64 exec, exec, s[12:13]
	v_lshrrev_b32_e32 v27, 16, v8
	v_lshrrev_b32_e32 v22, 16, v7
	;; [unrolled: 1-line block ×8, first 2 shown]
	s_and_saveexec_b64 s[12:13], vcc
	s_cbranch_execz .LBB361_769
; %bb.768:                              ;   in Loop: Header=BB361_306 Depth=1
	scratch_load_dword v5, off, s32 offset:196 ; 4-byte Folded Reload
	v_accvgpr_read_b32 v8, a35
	s_waitcnt vmcnt(0)
	v_cmp_lt_i32_e64 s[0:1], v52, v5
	s_nop 1
	v_cndmask_b32_e64 v2, 0, v2, s[0:1]
	v_cmp_lt_i32_e64 s[0:1], v8, v5
	v_accvgpr_read_b32 v8, a34
	s_nop 0
	v_cndmask_b32_e64 v3, 0, v3, s[0:1]
	v_cmp_lt_i32_e64 s[0:1], v8, v5
	v_accvgpr_read_b32 v8, a33
	;; [unrolled: 4-line block ×6, first 2 shown]
	s_nop 0
	v_cndmask_b32_e64 v21, 0, v21, s[0:1]
	v_cmp_lt_i32_e64 s[0:1], v8, v5
	s_nop 1
	v_cndmask_b32_e64 v43, 0, v43, s[0:1]
.LBB361_769:                            ;   in Loop: Header=BB361_306 Depth=1
	s_or_b64 exec, exec, s[12:13]
	v_lshlrev_b32_e32 v2, 16, v2
	v_mul_f32_e32 v5, v47, v2
	v_and_b32_e32 v2, 0x7f800000, v5
	v_cmp_ne_u32_e64 s[0:1], s15, v2
                                        ; implicit-def: $vgpr2
	s_and_saveexec_b64 s[12:13], s[0:1]
	s_xor_b64 s[0:1], exec, s[12:13]
; %bb.770:                              ;   in Loop: Header=BB361_306 Depth=1
	v_bfe_u32 v2, v5, 16, 1
	v_add3_u32 v2, v5, v2, s20
                                        ; implicit-def: $vgpr5
; %bb.771:                              ;   in Loop: Header=BB361_306 Depth=1
	s_andn2_saveexec_b64 s[12:13], s[0:1]
; %bb.772:                              ;   in Loop: Header=BB361_306 Depth=1
	v_or_b32_e32 v2, 0x10000, v5
	v_cmp_eq_u32_sdwa s[0:1], v5, v11 src0_sel:WORD_0 src1_sel:DWORD
	s_nop 1
	v_cndmask_b32_e64 v2, v2, v5, s[0:1]
; %bb.773:                              ;   in Loop: Header=BB361_306 Depth=1
	s_or_b64 exec, exec, s[12:13]
	v_lshlrev_b32_e32 v3, 16, v3
	v_mul_f32_e32 v5, v56, v3
	v_and_b32_e32 v3, 0x7f800000, v5
	v_cmp_ne_u32_e64 s[0:1], s15, v3
                                        ; implicit-def: $vgpr3
	s_and_saveexec_b64 s[12:13], s[0:1]
	s_xor_b64 s[0:1], exec, s[12:13]
; %bb.774:                              ;   in Loop: Header=BB361_306 Depth=1
	v_bfe_u32 v3, v5, 16, 1
	v_add3_u32 v3, v5, v3, s20
                                        ; implicit-def: $vgpr5
; %bb.775:                              ;   in Loop: Header=BB361_306 Depth=1
	s_andn2_saveexec_b64 s[12:13], s[0:1]
; %bb.776:                              ;   in Loop: Header=BB361_306 Depth=1
	v_or_b32_e32 v3, 0x10000, v5
	v_cmp_eq_u32_sdwa s[0:1], v5, v11 src0_sel:WORD_0 src1_sel:DWORD
	s_nop 1
	v_cndmask_b32_e64 v3, v3, v5, s[0:1]
; %bb.777:                              ;   in Loop: Header=BB361_306 Depth=1
	s_or_b64 exec, exec, s[12:13]
	v_lshlrev_b32_e32 v5, 16, v6
	v_mul_f32_e32 v5, v57, v5
	v_and_b32_e32 v6, 0x7f800000, v5
	v_cmp_ne_u32_e64 s[0:1], s15, v6
                                        ; implicit-def: $vgpr46
	s_and_saveexec_b64 s[12:13], s[0:1]
	s_xor_b64 s[0:1], exec, s[12:13]
; %bb.778:                              ;   in Loop: Header=BB361_306 Depth=1
	v_bfe_u32 v6, v5, 16, 1
	v_add3_u32 v46, v5, v6, s20
                                        ; implicit-def: $vgpr5
; %bb.779:                              ;   in Loop: Header=BB361_306 Depth=1
	s_andn2_saveexec_b64 s[12:13], s[0:1]
; %bb.780:                              ;   in Loop: Header=BB361_306 Depth=1
	v_or_b32_e32 v6, 0x10000, v5
	v_cmp_eq_u32_sdwa s[0:1], v5, v11 src0_sel:WORD_0 src1_sel:DWORD
	s_nop 1
	v_cndmask_b32_e64 v46, v6, v5, s[0:1]
; %bb.781:                              ;   in Loop: Header=BB361_306 Depth=1
	s_or_b64 exec, exec, s[12:13]
	v_lshlrev_b32_e32 v5, 16, v7
	v_mul_f32_e32 v5, v58, v5
	v_and_b32_e32 v6, 0x7f800000, v5
	v_cmp_ne_u32_e64 s[0:1], s15, v6
                                        ; implicit-def: $vgpr31
	s_and_saveexec_b64 s[12:13], s[0:1]
	s_xor_b64 s[0:1], exec, s[12:13]
; %bb.782:                              ;   in Loop: Header=BB361_306 Depth=1
	v_bfe_u32 v6, v5, 16, 1
	v_add3_u32 v31, v5, v6, s20
                                        ; implicit-def: $vgpr5
; %bb.783:                              ;   in Loop: Header=BB361_306 Depth=1
	s_andn2_saveexec_b64 s[12:13], s[0:1]
; %bb.784:                              ;   in Loop: Header=BB361_306 Depth=1
	v_or_b32_e32 v6, 0x10000, v5
	v_cmp_eq_u32_sdwa s[0:1], v5, v11 src0_sel:WORD_0 src1_sel:DWORD
	s_nop 1
	v_cndmask_b32_e64 v31, v6, v5, s[0:1]
; %bb.785:                              ;   in Loop: Header=BB361_306 Depth=1
	s_or_b64 exec, exec, s[12:13]
	v_lshlrev_b32_e32 v5, 16, v22
	v_mul_f32_e32 v5, v59, v5
	v_and_b32_e32 v6, 0x7f800000, v5
	v_cmp_ne_u32_e64 s[0:1], s15, v6
                                        ; implicit-def: $vgpr26
	s_and_saveexec_b64 s[12:13], s[0:1]
	s_xor_b64 s[0:1], exec, s[12:13]
; %bb.786:                              ;   in Loop: Header=BB361_306 Depth=1
	v_bfe_u32 v6, v5, 16, 1
	v_add3_u32 v26, v5, v6, s20
                                        ; implicit-def: $vgpr5
; %bb.787:                              ;   in Loop: Header=BB361_306 Depth=1
	s_andn2_saveexec_b64 s[12:13], s[0:1]
; %bb.788:                              ;   in Loop: Header=BB361_306 Depth=1
	v_or_b32_e32 v6, 0x10000, v5
	v_cmp_eq_u32_sdwa s[0:1], v5, v11 src0_sel:WORD_0 src1_sel:DWORD
	s_nop 1
	v_cndmask_b32_e64 v26, v6, v5, s[0:1]
; %bb.789:                              ;   in Loop: Header=BB361_306 Depth=1
	s_or_b64 exec, exec, s[12:13]
	v_lshlrev_b32_e32 v5, 16, v27
	v_mul_f32_e32 v5, v60, v5
	v_and_b32_e32 v6, 0x7f800000, v5
	v_cmp_ne_u32_e64 s[0:1], s15, v6
                                        ; implicit-def: $vgpr27
	s_and_saveexec_b64 s[12:13], s[0:1]
	s_xor_b64 s[0:1], exec, s[12:13]
; %bb.790:                              ;   in Loop: Header=BB361_306 Depth=1
	v_bfe_u32 v6, v5, 16, 1
	v_add3_u32 v27, v5, v6, s20
                                        ; implicit-def: $vgpr5
; %bb.791:                              ;   in Loop: Header=BB361_306 Depth=1
	s_andn2_saveexec_b64 s[12:13], s[0:1]
; %bb.792:                              ;   in Loop: Header=BB361_306 Depth=1
	v_or_b32_e32 v6, 0x10000, v5
	v_cmp_eq_u32_sdwa s[0:1], v5, v11 src0_sel:WORD_0 src1_sel:DWORD
	s_nop 1
	v_cndmask_b32_e64 v27, v6, v5, s[0:1]
; %bb.793:                              ;   in Loop: Header=BB361_306 Depth=1
	s_or_b64 exec, exec, s[12:13]
	v_lshlrev_b32_e32 v5, 16, v21
	v_mul_f32_e32 v5, v61, v5
	v_and_b32_e32 v6, 0x7f800000, v5
	v_cmp_ne_u32_e64 s[0:1], s15, v6
                                        ; implicit-def: $vgpr21
	s_and_saveexec_b64 s[12:13], s[0:1]
	s_xor_b64 s[0:1], exec, s[12:13]
; %bb.794:                              ;   in Loop: Header=BB361_306 Depth=1
	v_bfe_u32 v6, v5, 16, 1
	v_add3_u32 v21, v5, v6, s20
                                        ; implicit-def: $vgpr5
; %bb.795:                              ;   in Loop: Header=BB361_306 Depth=1
	s_andn2_saveexec_b64 s[12:13], s[0:1]
; %bb.796:                              ;   in Loop: Header=BB361_306 Depth=1
	v_or_b32_e32 v6, 0x10000, v5
	v_cmp_eq_u32_sdwa s[0:1], v5, v11 src0_sel:WORD_0 src1_sel:DWORD
	s_nop 1
	v_cndmask_b32_e64 v21, v6, v5, s[0:1]
; %bb.797:                              ;   in Loop: Header=BB361_306 Depth=1
	s_or_b64 exec, exec, s[12:13]
	v_lshlrev_b32_e32 v5, 16, v43
	v_mul_f32_e32 v5, v35, v5
	v_and_b32_e32 v6, 0x7f800000, v5
	v_cmp_ne_u32_e64 s[0:1], s15, v6
                                        ; implicit-def: $vgpr43
	s_and_saveexec_b64 s[12:13], s[0:1]
	s_xor_b64 s[0:1], exec, s[12:13]
; %bb.798:                              ;   in Loop: Header=BB361_306 Depth=1
	v_bfe_u32 v6, v5, 16, 1
	v_add3_u32 v43, v5, v6, s20
                                        ; implicit-def: $vgpr5
; %bb.799:                              ;   in Loop: Header=BB361_306 Depth=1
	s_andn2_saveexec_b64 s[12:13], s[0:1]
; %bb.800:                              ;   in Loop: Header=BB361_306 Depth=1
	v_or_b32_e32 v6, 0x10000, v5
	v_cmp_eq_u32_sdwa s[0:1], v5, v11 src0_sel:WORD_0 src1_sel:DWORD
	s_nop 1
	v_cndmask_b32_e64 v43, v6, v5, s[0:1]
; %bb.801:                              ;   in Loop: Header=BB361_306 Depth=1
	s_or_b64 exec, exec, s[12:13]
	flat_load_dwordx2 v[0:1], v[0:1] offset:3584
                                        ; implicit-def: $vgpr62
	s_waitcnt vmcnt(0) lgkmcnt(0)
	v_and_b32_e32 v5, 0xff, v0
	v_cvt_f32_fp8_sdwa v5, v5 src0_sel:BYTE_0
	s_nop 0
	v_mul_f32_e32 v5, v48, v5
	v_and_b32_e32 v6, 0x7f800000, v5
	v_cmp_ne_u32_e64 s[0:1], s15, v6
	s_and_saveexec_b64 s[12:13], s[0:1]
	s_xor_b64 s[0:1], exec, s[12:13]
; %bb.802:                              ;   in Loop: Header=BB361_306 Depth=1
	v_bfe_u32 v6, v5, 16, 1
	v_add3_u32 v62, v5, v6, s20
                                        ; implicit-def: $vgpr5
; %bb.803:                              ;   in Loop: Header=BB361_306 Depth=1
	s_andn2_saveexec_b64 s[12:13], s[0:1]
; %bb.804:                              ;   in Loop: Header=BB361_306 Depth=1
	v_or_b32_e32 v6, 0x10000, v5
	v_cmp_eq_u32_sdwa s[0:1], v5, v11 src0_sel:WORD_0 src1_sel:DWORD
	s_nop 1
	v_cndmask_b32_e64 v62, v6, v5, s[0:1]
; %bb.805:                              ;   in Loop: Header=BB361_306 Depth=1
	s_or_b64 exec, exec, s[12:13]
	v_bfe_u32 v5, v0, 8, 8
	v_cvt_f32_fp8_sdwa v5, v5 src0_sel:BYTE_0
	s_nop 0
	v_mul_f32_e32 v6, v48, v5
	v_and_b32_e32 v5, 0x7f800000, v6
	v_cmp_ne_u32_e64 s[0:1], s15, v5
                                        ; implicit-def: $vgpr5
	s_and_saveexec_b64 s[12:13], s[0:1]
	s_xor_b64 s[0:1], exec, s[12:13]
; %bb.806:                              ;   in Loop: Header=BB361_306 Depth=1
	v_bfe_u32 v5, v6, 16, 1
	v_add3_u32 v5, v6, v5, s20
                                        ; implicit-def: $vgpr6
; %bb.807:                              ;   in Loop: Header=BB361_306 Depth=1
	s_andn2_saveexec_b64 s[12:13], s[0:1]
; %bb.808:                              ;   in Loop: Header=BB361_306 Depth=1
	v_or_b32_e32 v5, 0x10000, v6
	v_cmp_eq_u32_sdwa s[0:1], v6, v11 src0_sel:WORD_0 src1_sel:DWORD
	s_nop 1
	v_cndmask_b32_e64 v5, v5, v6, s[0:1]
; %bb.809:                              ;   in Loop: Header=BB361_306 Depth=1
	s_or_b64 exec, exec, s[12:13]
	v_bfe_u32 v6, v0, 16, 8
	v_cvt_f32_fp8_sdwa v6, v6 src0_sel:BYTE_0
                                        ; implicit-def: $vgpr22
	s_nop 0
	v_mul_f32_e32 v6, v48, v6
	v_and_b32_e32 v7, 0x7f800000, v6
	v_cmp_ne_u32_e64 s[0:1], s15, v7
	s_and_saveexec_b64 s[12:13], s[0:1]
	s_xor_b64 s[0:1], exec, s[12:13]
; %bb.810:                              ;   in Loop: Header=BB361_306 Depth=1
	v_bfe_u32 v7, v6, 16, 1
	v_add3_u32 v22, v6, v7, s20
                                        ; implicit-def: $vgpr6
; %bb.811:                              ;   in Loop: Header=BB361_306 Depth=1
	s_andn2_saveexec_b64 s[12:13], s[0:1]
; %bb.812:                              ;   in Loop: Header=BB361_306 Depth=1
	v_or_b32_e32 v7, 0x10000, v6
	v_cmp_eq_u32_sdwa s[0:1], v6, v11 src0_sel:WORD_0 src1_sel:DWORD
	s_nop 1
	v_cndmask_b32_e64 v22, v7, v6, s[0:1]
; %bb.813:                              ;   in Loop: Header=BB361_306 Depth=1
	s_or_b64 exec, exec, s[12:13]
	v_lshrrev_b32_e32 v0, 24, v0
	v_cvt_f32_fp8_sdwa v0, v0 src0_sel:BYTE_0
	s_nop 0
	v_mul_f32_e32 v6, v48, v0
	v_and_b32_e32 v0, 0x7f800000, v6
	v_cmp_ne_u32_e64 s[0:1], s15, v0
                                        ; implicit-def: $vgpr0
	s_and_saveexec_b64 s[12:13], s[0:1]
	s_xor_b64 s[0:1], exec, s[12:13]
; %bb.814:                              ;   in Loop: Header=BB361_306 Depth=1
	v_bfe_u32 v0, v6, 16, 1
	v_add3_u32 v0, v6, v0, s20
                                        ; implicit-def: $vgpr6
; %bb.815:                              ;   in Loop: Header=BB361_306 Depth=1
	s_andn2_saveexec_b64 s[12:13], s[0:1]
; %bb.816:                              ;   in Loop: Header=BB361_306 Depth=1
	v_or_b32_e32 v0, 0x10000, v6
	v_cmp_eq_u32_sdwa s[0:1], v6, v11 src0_sel:WORD_0 src1_sel:DWORD
	s_nop 1
	v_cndmask_b32_e64 v0, v0, v6, s[0:1]
; %bb.817:                              ;   in Loop: Header=BB361_306 Depth=1
	s_or_b64 exec, exec, s[12:13]
	v_and_b32_e32 v6, 0xff, v1
	v_cvt_f32_fp8_sdwa v6, v6 src0_sel:BYTE_0
	s_nop 0
	v_mul_f32_e32 v6, v48, v6
	v_and_b32_e32 v7, 0x7f800000, v6
	v_cmp_ne_u32_e64 s[0:1], s15, v7
                                        ; implicit-def: $vgpr7
	s_and_saveexec_b64 s[12:13], s[0:1]
	s_xor_b64 s[0:1], exec, s[12:13]
; %bb.818:                              ;   in Loop: Header=BB361_306 Depth=1
	v_bfe_u32 v7, v6, 16, 1
	v_add3_u32 v7, v6, v7, s20
                                        ; implicit-def: $vgpr6
; %bb.819:                              ;   in Loop: Header=BB361_306 Depth=1
	s_andn2_saveexec_b64 s[12:13], s[0:1]
; %bb.820:                              ;   in Loop: Header=BB361_306 Depth=1
	v_or_b32_e32 v7, 0x10000, v6
	v_cmp_eq_u32_sdwa s[0:1], v6, v11 src0_sel:WORD_0 src1_sel:DWORD
	s_nop 1
	v_cndmask_b32_e64 v7, v7, v6, s[0:1]
; %bb.821:                              ;   in Loop: Header=BB361_306 Depth=1
	s_or_b64 exec, exec, s[12:13]
	v_bfe_u32 v6, v1, 8, 8
	v_cvt_f32_fp8_sdwa v6, v6 src0_sel:BYTE_0
	s_nop 0
	v_mul_f32_e32 v8, v48, v6
	v_and_b32_e32 v6, 0x7f800000, v8
	v_cmp_ne_u32_e64 s[0:1], s15, v6
                                        ; implicit-def: $vgpr6
	s_and_saveexec_b64 s[12:13], s[0:1]
	s_xor_b64 s[0:1], exec, s[12:13]
; %bb.822:                              ;   in Loop: Header=BB361_306 Depth=1
	v_bfe_u32 v6, v8, 16, 1
	v_add3_u32 v6, v8, v6, s20
                                        ; implicit-def: $vgpr8
; %bb.823:                              ;   in Loop: Header=BB361_306 Depth=1
	s_andn2_saveexec_b64 s[12:13], s[0:1]
; %bb.824:                              ;   in Loop: Header=BB361_306 Depth=1
	v_or_b32_e32 v6, 0x10000, v8
	v_cmp_eq_u32_sdwa s[0:1], v8, v11 src0_sel:WORD_0 src1_sel:DWORD
	s_nop 1
	v_cndmask_b32_e64 v6, v6, v8, s[0:1]
; %bb.825:                              ;   in Loop: Header=BB361_306 Depth=1
	s_or_b64 exec, exec, s[12:13]
	v_bfe_u32 v8, v1, 16, 8
	v_cvt_f32_fp8_sdwa v8, v8 src0_sel:BYTE_0
	s_nop 0
	v_mul_f32_e32 v8, v48, v8
	v_and_b32_e32 v9, 0x7f800000, v8
	v_cmp_ne_u32_e64 s[0:1], s15, v9
                                        ; implicit-def: $vgpr9
	s_and_saveexec_b64 s[12:13], s[0:1]
	s_xor_b64 s[0:1], exec, s[12:13]
; %bb.826:                              ;   in Loop: Header=BB361_306 Depth=1
	v_bfe_u32 v9, v8, 16, 1
	v_add3_u32 v9, v8, v9, s20
                                        ; implicit-def: $vgpr8
; %bb.827:                              ;   in Loop: Header=BB361_306 Depth=1
	s_andn2_saveexec_b64 s[12:13], s[0:1]
; %bb.828:                              ;   in Loop: Header=BB361_306 Depth=1
	v_or_b32_e32 v9, 0x10000, v8
	v_cmp_eq_u32_sdwa s[0:1], v8, v11 src0_sel:WORD_0 src1_sel:DWORD
	s_nop 1
	v_cndmask_b32_e64 v9, v9, v8, s[0:1]
; %bb.829:                              ;   in Loop: Header=BB361_306 Depth=1
	s_or_b64 exec, exec, s[12:13]
	v_lshrrev_b32_e32 v1, 24, v1
	v_cvt_f32_fp8_sdwa v1, v1 src0_sel:BYTE_0
	s_nop 0
	v_mul_f32_e32 v1, v48, v1
	v_and_b32_e32 v8, 0x7f800000, v1
	v_cmp_ne_u32_e64 s[0:1], s15, v8
                                        ; implicit-def: $vgpr48
	s_and_saveexec_b64 s[12:13], s[0:1]
	s_xor_b64 s[0:1], exec, s[12:13]
; %bb.830:                              ;   in Loop: Header=BB361_306 Depth=1
	v_bfe_u32 v8, v1, 16, 1
	v_add3_u32 v48, v1, v8, s20
                                        ; implicit-def: $vgpr1
; %bb.831:                              ;   in Loop: Header=BB361_306 Depth=1
	s_andn2_saveexec_b64 s[12:13], s[0:1]
; %bb.832:                              ;   in Loop: Header=BB361_306 Depth=1
	v_or_b32_e32 v8, 0x10000, v1
	v_cmp_eq_u32_sdwa s[0:1], v1, v11 src0_sel:WORD_0 src1_sel:DWORD
	s_nop 1
	v_cndmask_b32_e64 v48, v8, v1, s[0:1]
; %bb.833:                              ;   in Loop: Header=BB361_306 Depth=1
	s_or_b64 exec, exec, s[12:13]
	v_lshrrev_b32_e32 v6, 16, v6
	v_lshrrev_b32_e32 v7, 16, v7
	;; [unrolled: 1-line block ×8, first 2 shown]
	s_and_saveexec_b64 s[0:1], vcc
	s_cbranch_execz .LBB361_835
; %bb.834:                              ;   in Loop: Header=BB361_306 Depth=1
	scratch_load_dword v9, off, s32 offset:196 ; 4-byte Folded Reload
	v_accvgpr_read_b32 v48, a35
	s_waitcnt vmcnt(0)
	v_cmp_lt_i32_e32 vcc, v52, v9
	s_nop 1
	v_cndmask_b32_e32 v0, 0, v0, vcc
	v_cmp_lt_i32_e32 vcc, v48, v9
	v_accvgpr_read_b32 v48, a34
	s_nop 0
	v_cndmask_b32_e32 v1, 0, v1, vcc
	v_cmp_lt_i32_e32 vcc, v48, v9
	v_accvgpr_read_b32 v48, a33
	;; [unrolled: 4-line block ×6, first 2 shown]
	s_nop 0
	v_cndmask_b32_e32 v5, 0, v5, vcc
	v_cmp_lt_i32_e32 vcc, v48, v9
	s_nop 1
	v_cndmask_b32_e32 v62, 0, v62, vcc
.LBB361_835:                            ;   in Loop: Header=BB361_306 Depth=1
	s_or_b64 exec, exec, s[0:1]
	v_lshlrev_b32_e32 v0, 16, v0
	v_mul_f32_e32 v9, v47, v0
	v_and_b32_e32 v0, 0x7f800000, v9
	v_cmp_ne_u32_e32 vcc, s15, v0
                                        ; implicit-def: $vgpr0
	s_and_saveexec_b64 s[0:1], vcc
	s_xor_b64 s[0:1], exec, s[0:1]
; %bb.836:                              ;   in Loop: Header=BB361_306 Depth=1
	v_bfe_u32 v0, v9, 16, 1
	v_add3_u32 v0, v9, v0, s20
                                        ; implicit-def: $vgpr9
; %bb.837:                              ;   in Loop: Header=BB361_306 Depth=1
	s_andn2_saveexec_b64 s[0:1], s[0:1]
; %bb.838:                              ;   in Loop: Header=BB361_306 Depth=1
	v_or_b32_e32 v0, 0x10000, v9
	v_cmp_eq_u32_sdwa vcc, v9, v11 src0_sel:WORD_0 src1_sel:DWORD
	s_nop 1
	v_cndmask_b32_e32 v0, v0, v9, vcc
; %bb.839:                              ;   in Loop: Header=BB361_306 Depth=1
	s_or_b64 exec, exec, s[0:1]
	v_lshlrev_b32_e32 v1, 16, v1
	v_mul_f32_e32 v9, v56, v1
	v_and_b32_e32 v1, 0x7f800000, v9
	v_cmp_ne_u32_e32 vcc, s15, v1
                                        ; implicit-def: $vgpr1
	s_and_saveexec_b64 s[0:1], vcc
	s_xor_b64 s[0:1], exec, s[0:1]
; %bb.840:                              ;   in Loop: Header=BB361_306 Depth=1
	v_bfe_u32 v1, v9, 16, 1
	v_add3_u32 v1, v9, v1, s20
                                        ; implicit-def: $vgpr9
; %bb.841:                              ;   in Loop: Header=BB361_306 Depth=1
	s_andn2_saveexec_b64 s[0:1], s[0:1]
; %bb.842:                              ;   in Loop: Header=BB361_306 Depth=1
	v_or_b32_e32 v1, 0x10000, v9
	v_cmp_eq_u32_sdwa vcc, v9, v11 src0_sel:WORD_0 src1_sel:DWORD
	s_nop 1
	v_cndmask_b32_e32 v1, v1, v9, vcc
; %bb.843:                              ;   in Loop: Header=BB361_306 Depth=1
	s_or_b64 exec, exec, s[0:1]
	v_lshlrev_b32_e32 v9, 16, v22
	v_mul_f32_e32 v9, v57, v9
	v_and_b32_e32 v22, 0x7f800000, v9
	v_cmp_ne_u32_e32 vcc, s15, v22
                                        ; implicit-def: $vgpr48
	s_and_saveexec_b64 s[0:1], vcc
	s_xor_b64 s[0:1], exec, s[0:1]
; %bb.844:                              ;   in Loop: Header=BB361_306 Depth=1
	v_bfe_u32 v22, v9, 16, 1
	v_add3_u32 v48, v9, v22, s20
                                        ; implicit-def: $vgpr9
; %bb.845:                              ;   in Loop: Header=BB361_306 Depth=1
	s_andn2_saveexec_b64 s[0:1], s[0:1]
; %bb.846:                              ;   in Loop: Header=BB361_306 Depth=1
	v_or_b32_e32 v22, 0x10000, v9
	v_cmp_eq_u32_sdwa vcc, v9, v11 src0_sel:WORD_0 src1_sel:DWORD
	s_nop 1
	v_cndmask_b32_e32 v48, v22, v9, vcc
; %bb.847:                              ;   in Loop: Header=BB361_306 Depth=1
	s_or_b64 exec, exec, s[0:1]
	v_lshlrev_b32_e32 v8, 16, v8
	v_mul_f32_e32 v8, v58, v8
	v_and_b32_e32 v9, 0x7f800000, v8
	v_cmp_ne_u32_e32 vcc, s15, v9
                                        ; implicit-def: $vgpr52
	s_and_saveexec_b64 s[0:1], vcc
	s_xor_b64 s[0:1], exec, s[0:1]
; %bb.848:                              ;   in Loop: Header=BB361_306 Depth=1
	v_bfe_u32 v9, v8, 16, 1
	v_add3_u32 v52, v8, v9, s20
                                        ; implicit-def: $vgpr8
; %bb.849:                              ;   in Loop: Header=BB361_306 Depth=1
	s_andn2_saveexec_b64 s[0:1], s[0:1]
; %bb.850:                              ;   in Loop: Header=BB361_306 Depth=1
	v_or_b32_e32 v9, 0x10000, v8
	v_cmp_eq_u32_sdwa vcc, v8, v11 src0_sel:WORD_0 src1_sel:DWORD
	s_nop 1
	v_cndmask_b32_e32 v52, v9, v8, vcc
; %bb.851:                              ;   in Loop: Header=BB361_306 Depth=1
	s_or_b64 exec, exec, s[0:1]
	v_lshlrev_b32_e32 v7, 16, v7
	v_mul_f32_e32 v7, v59, v7
	v_and_b32_e32 v8, 0x7f800000, v7
	v_cmp_ne_u32_e32 vcc, s15, v8
                                        ; implicit-def: $vgpr47
	s_and_saveexec_b64 s[0:1], vcc
	s_xor_b64 s[0:1], exec, s[0:1]
; %bb.852:                              ;   in Loop: Header=BB361_306 Depth=1
	v_bfe_u32 v8, v7, 16, 1
	v_add3_u32 v47, v7, v8, s20
                                        ; implicit-def: $vgpr7
; %bb.853:                              ;   in Loop: Header=BB361_306 Depth=1
	s_andn2_saveexec_b64 s[0:1], s[0:1]
; %bb.854:                              ;   in Loop: Header=BB361_306 Depth=1
	v_or_b32_e32 v8, 0x10000, v7
	v_cmp_eq_u32_sdwa vcc, v7, v11 src0_sel:WORD_0 src1_sel:DWORD
	s_nop 1
	v_cndmask_b32_e32 v47, v8, v7, vcc
; %bb.855:                              ;   in Loop: Header=BB361_306 Depth=1
	s_or_b64 exec, exec, s[0:1]
	v_lshlrev_b32_e32 v6, 16, v6
	v_mul_f32_e32 v6, v60, v6
	v_and_b32_e32 v7, 0x7f800000, v6
	v_cmp_ne_u32_e32 vcc, s15, v7
                                        ; implicit-def: $vgpr56
	s_and_saveexec_b64 s[0:1], vcc
	s_xor_b64 s[0:1], exec, s[0:1]
; %bb.856:                              ;   in Loop: Header=BB361_306 Depth=1
	v_bfe_u32 v7, v6, 16, 1
	v_add3_u32 v56, v6, v7, s20
                                        ; implicit-def: $vgpr6
; %bb.857:                              ;   in Loop: Header=BB361_306 Depth=1
	s_andn2_saveexec_b64 s[0:1], s[0:1]
; %bb.858:                              ;   in Loop: Header=BB361_306 Depth=1
	v_or_b32_e32 v7, 0x10000, v6
	v_cmp_eq_u32_sdwa vcc, v6, v11 src0_sel:WORD_0 src1_sel:DWORD
	s_nop 1
	v_cndmask_b32_e32 v56, v7, v6, vcc
; %bb.859:                              ;   in Loop: Header=BB361_306 Depth=1
	s_or_b64 exec, exec, s[0:1]
	v_lshlrev_b32_e32 v5, 16, v5
	v_mul_f32_e32 v6, v61, v5
	v_and_b32_e32 v5, 0x7f800000, v6
	v_cmp_ne_u32_e32 vcc, s15, v5
                                        ; implicit-def: $vgpr5
	s_and_saveexec_b64 s[0:1], vcc
	s_xor_b64 s[0:1], exec, s[0:1]
; %bb.860:                              ;   in Loop: Header=BB361_306 Depth=1
	v_bfe_u32 v5, v6, 16, 1
	v_add3_u32 v5, v6, v5, s20
                                        ; implicit-def: $vgpr6
; %bb.861:                              ;   in Loop: Header=BB361_306 Depth=1
	s_andn2_saveexec_b64 s[0:1], s[0:1]
; %bb.862:                              ;   in Loop: Header=BB361_306 Depth=1
	v_or_b32_e32 v5, 0x10000, v6
	v_cmp_eq_u32_sdwa vcc, v6, v11 src0_sel:WORD_0 src1_sel:DWORD
	s_nop 1
	v_cndmask_b32_e32 v5, v5, v6, vcc
; %bb.863:                              ;   in Loop: Header=BB361_306 Depth=1
	s_or_b64 exec, exec, s[0:1]
	v_lshlrev_b32_e32 v6, 16, v62
	v_mul_f32_e32 v7, v35, v6
	v_and_b32_e32 v6, 0x7f800000, v7
	v_cmp_ne_u32_e32 vcc, s15, v6
                                        ; implicit-def: $vgpr6
	s_and_saveexec_b64 s[0:1], vcc
	s_xor_b64 s[0:1], exec, s[0:1]
; %bb.864:                              ;   in Loop: Header=BB361_306 Depth=1
	v_bfe_u32 v6, v7, 16, 1
	v_add3_u32 v6, v7, v6, s20
                                        ; implicit-def: $vgpr7
; %bb.865:                              ;   in Loop: Header=BB361_306 Depth=1
	s_andn2_saveexec_b64 s[0:1], s[0:1]
	s_cbranch_execz .LBB361_304
; %bb.866:                              ;   in Loop: Header=BB361_306 Depth=1
	v_or_b32_e32 v6, 0x10000, v7
	v_cmp_eq_u32_sdwa vcc, v7, v11 src0_sel:WORD_0 src1_sel:DWORD
	s_nop 1
	v_cndmask_b32_e32 v6, v6, v7, vcc
	s_branch .LBB361_304
.LBB361_867:
	s_or_b64 exec, exec, s[6:7]
	v_accvgpr_read_b32 v20, a16
	v_accvgpr_read_b32 v21, a17
	;; [unrolled: 1-line block ×3, first 2 shown]
.LBB361_868:
	s_or_b64 exec, exec, s[4:5]
	ds_bpermute_b32 v0, v20, v24
	ds_bpermute_b32 v1, v20, v25
	;; [unrolled: 1-line block ×4, first 2 shown]
	s_waitcnt lgkmcnt(0)
	s_barrier
	v_pk_add_f32 v[0:1], v[24:25], v[0:1]
	ds_bpermute_b32 v4, v21, v0
	ds_bpermute_b32 v5, v21, v1
	v_pk_add_f32 v[12:13], v[12:13], v[8:9]
	s_waitcnt lgkmcnt(0)
	ds_bpermute_b32 v2, v20, v18
	ds_bpermute_b32 v3, v20, v19
	v_pk_add_f32 v[8:9], v[0:1], v[4:5]
	scratch_load_dword v4, off, s32 offset:252 ; 4-byte Folded Reload
	ds_bpermute_b32 v6, v20, v16
	ds_bpermute_b32 v7, v20, v17
	s_waitcnt lgkmcnt(2)
	v_pk_add_f32 v[2:3], v[18:19], v[2:3]
	ds_bpermute_b32 v10, v21, v2
	ds_bpermute_b32 v11, v21, v3
	s_waitcnt lgkmcnt(2)
	v_pk_add_f32 v[6:7], v[16:17], v[6:7]
	ds_bpermute_b32 v14, v21, v6
	ds_bpermute_b32 v15, v21, v7
	;; [unrolled: 1-line block ×4, first 2 shown]
	s_waitcnt lgkmcnt(4)
	v_pk_add_f32 v[2:3], v[2:3], v[10:11]
	s_waitcnt lgkmcnt(2)
	v_pk_add_f32 v[0:1], v[6:7], v[14:15]
	;; [unrolled: 2-line block ×3, first 2 shown]
	s_waitcnt vmcnt(0)
	v_and_b32_e32 v4, 0x3c3, v4
	v_cmp_eq_u32_e32 vcc, 64, v4
	s_and_saveexec_b64 s[0:1], vcc
	s_cbranch_execz .LBB361_870
; %bb.869:
	s_load_dword s4, s[2:3], 0x0
	s_waitcnt lgkmcnt(0)
	v_add_u32_e32 v4, s4, v42
	ds_write2_b32 v4, v8, v9 offset1:16
	ds_write2_b32 v4, v2, v3 offset0:32 offset1:48
	ds_write2_b32 v4, v0, v1 offset0:64 offset1:80
	ds_write2_b32 v4, v6, v7 offset0:96 offset1:112
.LBB361_870:
	s_or_b64 exec, exec, s[0:1]
	s_waitcnt lgkmcnt(0)
	s_barrier
	scratch_load_dword v4, off, s32 offset:252 ; 4-byte Folded Reload
	s_waitcnt vmcnt(0)
	v_cmp_gt_u32_e32 vcc, 64, v4
	s_mov_b64 s[4:5], exec
	scratch_load_dwordx2 v[10:11], off, s32 offset:304 ; 8-byte Folded Reload
	s_and_b64 s[0:1], s[4:5], vcc
	s_mov_b64 exec, s[0:1]
	s_cbranch_execz .LBB361_881
; %bb.871:
	scratch_load_dword v4, off, s32 offset:252 ; 4-byte Folded Reload
	v_cmp_eq_u32_e64 s[0:1], 0, v22
	s_waitcnt vmcnt(0)
	v_lshrrev_b32_e32 v4, 2, v4
	s_and_saveexec_b64 s[6:7], s[0:1]
	s_cbranch_execnz .LBB361_917
; %bb.872:
	s_or_b64 exec, exec, s[6:7]
	s_and_saveexec_b64 s[6:7], s[0:1]
	s_cbranch_execnz .LBB361_918
.LBB361_873:
	s_or_b64 exec, exec, s[6:7]
	s_and_saveexec_b64 s[6:7], s[0:1]
	s_cbranch_execnz .LBB361_919
.LBB361_874:
	s_or_b64 exec, exec, s[6:7]
	s_and_saveexec_b64 s[6:7], s[0:1]
	s_cbranch_execnz .LBB361_920
.LBB361_875:
	s_or_b64 exec, exec, s[6:7]
	s_and_saveexec_b64 s[6:7], s[0:1]
	s_cbranch_execnz .LBB361_921
.LBB361_876:
	s_or_b64 exec, exec, s[6:7]
	s_and_saveexec_b64 s[6:7], s[0:1]
	s_cbranch_execnz .LBB361_922
.LBB361_877:
	s_or_b64 exec, exec, s[6:7]
	s_and_saveexec_b64 s[6:7], s[0:1]
	s_cbranch_execnz .LBB361_923
.LBB361_878:
	s_or_b64 exec, exec, s[6:7]
	s_and_saveexec_b64 s[6:7], s[0:1]
	s_cbranch_execz .LBB361_880
.LBB361_879:
	s_load_dword s0, s[2:3], 0x0
	s_waitcnt lgkmcnt(0)
	v_lshl_add_u32 v4, v4, 2, s0
	ds_read_b32 v4, v4 offset:448
	s_waitcnt lgkmcnt(0)
	v_add_f32_e32 v7, v7, v4
.LBB361_880:
	s_or_b64 exec, exec, s[6:7]
.LBB361_881:
	s_or_b64 exec, exec, s[4:5]
	s_barrier
	s_and_b64 exec, exec, vcc
	s_cbranch_execz .LBB361_916
; %bb.882:
	v_cmp_eq_u32_e32 vcc, 0, v22
	s_and_b64 exec, exec, vcc
	s_cbranch_execz .LBB361_916
; %bb.883:
	s_mov_b32 s0, 0x7f800000
	v_and_b32_e32 v4, 0x7f800000, v8
	v_cmp_ne_u32_e32 vcc, s0, v4
                                        ; implicit-def: $vgpr4
	s_and_saveexec_b64 s[0:1], vcc
	s_xor_b64 s[0:1], exec, s[0:1]
; %bb.884:
	v_bfe_u32 v4, v8, 16, 1
	s_movk_i32 s2, 0x7fff
	v_add3_u32 v4, v8, v4, s2
; %bb.885:
	s_andn2_saveexec_b64 s[0:1], s[0:1]
; %bb.886:
	v_mov_b32_e32 v4, 0
	v_or_b32_e32 v5, 0x10000, v8
	v_cmp_eq_u32_sdwa vcc, v8, v4 src0_sel:WORD_0 src1_sel:DWORD
	s_nop 1
	v_cndmask_b32_e32 v4, v5, v8, vcc
; %bb.887:
	s_or_b64 exec, exec, s[0:1]
	scratch_load_dword v5, off, s32 offset:252 ; 4-byte Folded Reload
	s_mul_i32 s0, s19, s16
	s_mul_i32 s0, s0, s17
	s_lshl_b32 s0, s0, 7
	s_mul_i32 s2, s18, s19
	s_lshl_b32 s4, s14, 7
	s_ashr_i32 s1, s0, 31
	s_ashr_i32 s3, s2, 31
	;; [unrolled: 1-line block ×3, first 2 shown]
	s_lshl_b64 s[0:1], s[0:1], 1
	s_lshl_b64 s[2:3], s[2:3], 1
	;; [unrolled: 1-line block ×3, first 2 shown]
	s_add_u32 s2, s4, s2
	s_addc_u32 s3, s5, s3
	s_add_u32 s0, s2, s0
	s_addc_u32 s1, s3, s1
	s_waitcnt vmcnt(1)
	v_lshl_add_u64 v[10:11], s[0:1], 0, v[10:11]
	v_mov_b32_e32 v13, 0
	s_mov_b32 s0, 0x7f800000
	s_waitcnt vmcnt(0)
	v_lshrrev_b32_e32 v5, 1, v5
	v_and_b32_e32 v12, 0x1fe, v5
	v_lshl_add_u64 v[10:11], v[10:11], 0, v[12:13]
	flat_store_short_d16_hi v[10:11], v4
	v_and_b32_e32 v4, 0x7f800000, v9
	v_cmp_ne_u32_e32 vcc, s0, v4
                                        ; implicit-def: $vgpr4
	s_and_saveexec_b64 s[0:1], vcc
	s_xor_b64 s[0:1], exec, s[0:1]
; %bb.888:
	v_bfe_u32 v4, v9, 16, 1
	s_movk_i32 s2, 0x7fff
	v_add3_u32 v4, v9, v4, s2
; %bb.889:
	s_andn2_saveexec_b64 s[0:1], s[0:1]
; %bb.890:
	v_mov_b32_e32 v4, 0
	v_or_b32_e32 v5, 0x10000, v9
	v_cmp_eq_u32_sdwa vcc, v9, v4 src0_sel:WORD_0 src1_sel:DWORD
	s_nop 1
	v_cndmask_b32_e32 v4, v5, v9, vcc
; %bb.891:
	s_or_b64 exec, exec, s[0:1]
	flat_store_short_d16_hi v[10:11], v4 offset:32
	s_mov_b32 s0, 0x7f800000
	v_and_b32_e32 v4, 0x7f800000, v2
	v_cmp_ne_u32_e32 vcc, s0, v4
                                        ; implicit-def: $vgpr4
	s_and_saveexec_b64 s[0:1], vcc
	s_xor_b64 s[0:1], exec, s[0:1]
; %bb.892:
	v_bfe_u32 v4, v2, 16, 1
	s_movk_i32 s2, 0x7fff
	v_add3_u32 v4, v2, v4, s2
; %bb.893:
	s_andn2_saveexec_b64 s[0:1], s[0:1]
; %bb.894:
	v_mov_b32_e32 v4, 0
	v_or_b32_e32 v5, 0x10000, v2
	v_cmp_eq_u32_sdwa vcc, v2, v4 src0_sel:WORD_0 src1_sel:DWORD
	s_nop 1
	v_cndmask_b32_e32 v4, v5, v2, vcc
; %bb.895:
	s_or_b64 exec, exec, s[0:1]
	s_mov_b32 s0, 0x7f800000
	v_and_b32_e32 v2, 0x7f800000, v3
	v_cmp_ne_u32_e32 vcc, s0, v2
	flat_store_short_d16_hi v[10:11], v4 offset:64
                                        ; implicit-def: $vgpr2
	s_and_saveexec_b64 s[0:1], vcc
	s_xor_b64 s[0:1], exec, s[0:1]
; %bb.896:
	v_bfe_u32 v2, v3, 16, 1
	s_movk_i32 s2, 0x7fff
	v_add3_u32 v2, v3, v2, s2
; %bb.897:
	s_andn2_saveexec_b64 s[0:1], s[0:1]
; %bb.898:
	v_mov_b32_e32 v2, 0
	v_or_b32_e32 v4, 0x10000, v3
	v_cmp_eq_u32_sdwa vcc, v3, v2 src0_sel:WORD_0 src1_sel:DWORD
	s_nop 1
	v_cndmask_b32_e32 v2, v4, v3, vcc
; %bb.899:
	s_or_b64 exec, exec, s[0:1]
	flat_store_short_d16_hi v[10:11], v2 offset:96
	s_mov_b32 s0, 0x7f800000
	v_and_b32_e32 v2, 0x7f800000, v0
	v_cmp_ne_u32_e32 vcc, s0, v2
                                        ; implicit-def: $vgpr2
	s_and_saveexec_b64 s[0:1], vcc
	s_xor_b64 s[0:1], exec, s[0:1]
; %bb.900:
	v_bfe_u32 v2, v0, 16, 1
	s_movk_i32 s2, 0x7fff
	v_add3_u32 v2, v0, v2, s2
; %bb.901:
	s_andn2_saveexec_b64 s[0:1], s[0:1]
; %bb.902:
	v_mov_b32_e32 v2, 0
	v_or_b32_e32 v3, 0x10000, v0
	v_cmp_eq_u32_sdwa vcc, v0, v2 src0_sel:WORD_0 src1_sel:DWORD
	s_nop 1
	v_cndmask_b32_e32 v2, v3, v0, vcc
; %bb.903:
	s_or_b64 exec, exec, s[0:1]
	s_mov_b32 s0, 0x7f800000
	v_and_b32_e32 v0, 0x7f800000, v1
	v_cmp_ne_u32_e32 vcc, s0, v0
	flat_store_short_d16_hi v[10:11], v2 offset:128
                                        ; implicit-def: $vgpr0
	s_and_saveexec_b64 s[0:1], vcc
	s_xor_b64 s[0:1], exec, s[0:1]
; %bb.904:
	v_bfe_u32 v0, v1, 16, 1
	s_movk_i32 s2, 0x7fff
	v_add3_u32 v0, v1, v0, s2
; %bb.905:
	s_andn2_saveexec_b64 s[0:1], s[0:1]
; %bb.906:
	v_mov_b32_e32 v0, 0
	v_or_b32_e32 v2, 0x10000, v1
	v_cmp_eq_u32_sdwa vcc, v1, v0 src0_sel:WORD_0 src1_sel:DWORD
	s_nop 1
	v_cndmask_b32_e32 v0, v2, v1, vcc
; %bb.907:
	s_or_b64 exec, exec, s[0:1]
	flat_store_short_d16_hi v[10:11], v0 offset:160
	s_mov_b32 s0, 0x7f800000
	v_and_b32_e32 v0, 0x7f800000, v6
	v_cmp_ne_u32_e32 vcc, s0, v0
                                        ; implicit-def: $vgpr0
	s_and_saveexec_b64 s[0:1], vcc
	s_xor_b64 s[0:1], exec, s[0:1]
; %bb.908:
	v_bfe_u32 v0, v6, 16, 1
	s_movk_i32 s2, 0x7fff
	v_add3_u32 v0, v6, v0, s2
; %bb.909:
	s_andn2_saveexec_b64 s[0:1], s[0:1]
; %bb.910:
	v_mov_b32_e32 v0, 0
	v_or_b32_e32 v1, 0x10000, v6
	v_cmp_eq_u32_sdwa vcc, v6, v0 src0_sel:WORD_0 src1_sel:DWORD
	s_nop 1
	v_cndmask_b32_e32 v0, v1, v6, vcc
; %bb.911:
	s_or_b64 exec, exec, s[0:1]
	flat_store_short_d16_hi v[10:11], v0 offset:192
	s_mov_b32 s0, 0x7f800000
	v_and_b32_e32 v0, 0x7f800000, v7
	v_cmp_ne_u32_e32 vcc, s0, v0
                                        ; implicit-def: $vgpr8
	s_and_saveexec_b64 s[0:1], vcc
	s_xor_b64 s[0:1], exec, s[0:1]
; %bb.912:
	v_bfe_u32 v0, v7, 16, 1
	s_movk_i32 s2, 0x7fff
	v_add3_u32 v8, v7, v0, s2
                                        ; implicit-def: $vgpr0_vgpr1_vgpr2_vgpr3_vgpr4_vgpr5_vgpr6_vgpr7
; %bb.913:
	s_andn2_saveexec_b64 s[0:1], s[0:1]
; %bb.914:
	v_mov_b32_e32 v0, 0
	v_or_b32_e32 v1, 0x10000, v7
	v_cmp_eq_u32_sdwa vcc, v7, v0 src0_sel:WORD_0 src1_sel:DWORD
	s_nop 1
	v_cndmask_b32_e32 v8, v1, v7, vcc
; %bb.915:
	s_or_b64 exec, exec, s[0:1]
	flat_store_short_d16_hi v[10:11], v8 offset:224
.LBB361_916:
	s_or_b64 exec, exec, s[10:11]
	scratch_load_dword a63, off, s32 offset:8 ; 4-byte Folded Reload
	scratch_load_dword a62, off, s32 offset:12 ; 4-byte Folded Reload
	;; [unrolled: 1-line block ×47, first 2 shown]
	v_readlane_b32 s30, v63, 2
	v_readlane_b32 s31, v63, 3
	;; [unrolled: 1-line block ×4, first 2 shown]
	s_or_saveexec_b64 s[0:1], -1
	scratch_load_dword v63, off, s32 offset:388 ; 4-byte Folded Reload
	s_mov_b64 exec, s[0:1]
	s_waitcnt vmcnt(0) lgkmcnt(0)
	s_setpc_b64 s[30:31]
.LBB361_917:
	s_load_dword s8, s[2:3], 0x0
	s_waitcnt lgkmcnt(0)
	v_lshl_add_u32 v5, v4, 2, s8
	ds_read_b32 v5, v5
	s_waitcnt lgkmcnt(0)
	v_add_f32_e32 v8, v8, v5
	s_or_b64 exec, exec, s[6:7]
	s_and_saveexec_b64 s[6:7], s[0:1]
	s_cbranch_execz .LBB361_873
.LBB361_918:
	s_load_dword s8, s[2:3], 0x0
	s_waitcnt lgkmcnt(0)
	v_lshl_add_u32 v5, v4, 2, s8
	ds_read_b32 v5, v5 offset:64
	s_waitcnt lgkmcnt(0)
	v_add_f32_e32 v9, v9, v5
	s_or_b64 exec, exec, s[6:7]
	s_and_saveexec_b64 s[6:7], s[0:1]
	s_cbranch_execz .LBB361_874
.LBB361_919:
	s_load_dword s8, s[2:3], 0x0
	s_waitcnt lgkmcnt(0)
	v_lshl_add_u32 v5, v4, 2, s8
	ds_read_b32 v5, v5 offset:128
	s_waitcnt lgkmcnt(0)
	v_add_f32_e32 v2, v2, v5
	s_or_b64 exec, exec, s[6:7]
	s_and_saveexec_b64 s[6:7], s[0:1]
	s_cbranch_execz .LBB361_875
.LBB361_920:
	s_load_dword s8, s[2:3], 0x0
	s_waitcnt lgkmcnt(0)
	v_lshl_add_u32 v5, v4, 2, s8
	ds_read_b32 v5, v5 offset:192
	s_waitcnt lgkmcnt(0)
	v_add_f32_e32 v3, v3, v5
	s_or_b64 exec, exec, s[6:7]
	s_and_saveexec_b64 s[6:7], s[0:1]
	s_cbranch_execz .LBB361_876
.LBB361_921:
	s_load_dword s8, s[2:3], 0x0
	s_waitcnt lgkmcnt(0)
	v_lshl_add_u32 v5, v4, 2, s8
	ds_read_b32 v5, v5 offset:256
	s_waitcnt lgkmcnt(0)
	v_add_f32_e32 v0, v0, v5
	s_or_b64 exec, exec, s[6:7]
	s_and_saveexec_b64 s[6:7], s[0:1]
	s_cbranch_execz .LBB361_877
.LBB361_922:
	s_load_dword s8, s[2:3], 0x0
	s_waitcnt lgkmcnt(0)
	v_lshl_add_u32 v5, v4, 2, s8
	ds_read_b32 v5, v5 offset:320
	s_waitcnt lgkmcnt(0)
	v_add_f32_e32 v1, v1, v5
	s_or_b64 exec, exec, s[6:7]
	s_and_saveexec_b64 s[6:7], s[0:1]
	s_cbranch_execz .LBB361_878
.LBB361_923:
	s_load_dword s8, s[2:3], 0x0
	s_waitcnt lgkmcnt(0)
	v_lshl_add_u32 v5, v4, 2, s8
	ds_read_b32 v5, v5 offset:384
	s_waitcnt lgkmcnt(0)
	v_add_f32_e32 v6, v6, v5
	s_or_b64 exec, exec, s[6:7]
	s_and_saveexec_b64 s[6:7], s[0:1]
	s_cbranch_execnz .LBB361_879
	s_branch .LBB361_880
.Lfunc_end361:
	.size	_ZN4vllm22paged_attention_kernelI14__hip_bfloat16hLi128ELi32ELi128ELNS_18Fp8KVCacheDataTypeE1ELb1ELi512EEEvPfS3_PT_PKS4_PKT0_SA_ifPKiSC_iPKfiiiSE_SE_iiiii, .Lfunc_end361-_ZN4vllm22paged_attention_kernelI14__hip_bfloat16hLi128ELi32ELi128ELNS_18Fp8KVCacheDataTypeE1ELb1ELi512EEEvPfS3_PT_PKS4_PKT0_SA_ifPKiSC_iPKfiiiSE_SE_iiiii
                                        ; -- End function
	.section	.AMDGPU.csdata,"",@progbits
; Function info:
; codeLenInByte = 32808
; NumSgprs: 42
; NumVgprs: 64
; NumAgprs: 64
; TotalNumVgprs: 128
; ScratchSize: 396
; MemoryBound: 0
	.section	.text._ZN4vllm25paged_attention_v2_kernelI14__hip_bfloat16hLi128ELi32ELi128ELNS_18Fp8KVCacheDataTypeE1ELb1ELi512EEEvPfS3_PT_PKS4_PKT0_SA_ifPKiSC_iPKfiiiSE_SE_iiiii,"axG",@progbits,_ZN4vllm25paged_attention_v2_kernelI14__hip_bfloat16hLi128ELi32ELi128ELNS_18Fp8KVCacheDataTypeE1ELb1ELi512EEEvPfS3_PT_PKS4_PKT0_SA_ifPKiSC_iPKfiiiSE_SE_iiiii,comdat
	.protected	_ZN4vllm25paged_attention_v2_kernelI14__hip_bfloat16hLi128ELi32ELi128ELNS_18Fp8KVCacheDataTypeE1ELb1ELi512EEEvPfS3_PT_PKS4_PKT0_SA_ifPKiSC_iPKfiiiSE_SE_iiiii ; -- Begin function _ZN4vllm25paged_attention_v2_kernelI14__hip_bfloat16hLi128ELi32ELi128ELNS_18Fp8KVCacheDataTypeE1ELb1ELi512EEEvPfS3_PT_PKS4_PKT0_SA_ifPKiSC_iPKfiiiSE_SE_iiiii
	.globl	_ZN4vllm25paged_attention_v2_kernelI14__hip_bfloat16hLi128ELi32ELi128ELNS_18Fp8KVCacheDataTypeE1ELb1ELi512EEEvPfS3_PT_PKS4_PKT0_SA_ifPKiSC_iPKfiiiSE_SE_iiiii
	.p2align	8
	.type	_ZN4vllm25paged_attention_v2_kernelI14__hip_bfloat16hLi128ELi32ELi128ELNS_18Fp8KVCacheDataTypeE1ELb1ELi512EEEvPfS3_PT_PKS4_PKT0_SA_ifPKiSC_iPKfiiiSE_SE_iiiii,@function
_ZN4vllm25paged_attention_v2_kernelI14__hip_bfloat16hLi128ELi32ELi128ELNS_18Fp8KVCacheDataTypeE1ELb1ELi512EEEvPfS3_PT_PKS4_PKT0_SA_ifPKiSC_iPKfiiiSE_SE_iiiii: ; @_ZN4vllm25paged_attention_v2_kernelI14__hip_bfloat16hLi128ELi32ELi128ELNS_18Fp8KVCacheDataTypeE1ELb1ELi512EEEvPfS3_PT_PKS4_PKT0_SA_ifPKiSC_iPKfiiiSE_SE_iiiii
; %bb.0:
	s_load_dwordx8 s[24:31], s[0:1], 0x0
	s_load_dwordx8 s[16:23], s[0:1], 0x20
	s_load_dwordx2 s[6:7], s[0:1], 0x40
	s_load_dwordx4 s[44:47], s[0:1], 0x78
	s_load_dword s5, s[0:1], 0x88
	s_load_dwordx2 s[10:11], s[0:1], 0x50
	s_load_dword s33, s[0:1], 0x48
	s_load_dwordx8 s[36:43], s[0:1], 0x58
	s_mov_b32 s32, 0
	s_waitcnt lgkmcnt(0)
	v_mov_b32_e32 v2, s47
	v_mov_b32_e32 v3, s5
	s_add_u32 s8, s0, 0x90
	scratch_store_dwordx2 off, v[2:3], s32
	s_addc_u32 s9, s1, 0
	s_mov_b32 s12, s2
	s_mov_b32 s13, s3
	;; [unrolled: 1-line block ×4, first 2 shown]
	v_mov_b32_e32 v31, v0
	v_mov_b32_e32 v0, s24
	v_mov_b32_e32 v1, s25
	v_mov_b32_e32 v2, s26
	v_mov_b32_e32 v3, s27
	v_mov_b32_e32 v4, s28
	v_mov_b32_e32 v5, s29
	v_mov_b32_e32 v6, s30
	v_mov_b32_e32 v7, s31
	v_mov_b32_e32 v8, s16
	v_mov_b32_e32 v9, s17
	v_mov_b32_e32 v10, s18
	v_mov_b32_e32 v11, s19
	v_mov_b32_e32 v12, s20
	v_mov_b32_e32 v13, s21
	v_mov_b32_e32 v14, s22
	v_mov_b32_e32 v15, s23
	v_mov_b32_e32 v16, s6
	v_mov_b32_e32 v17, s7
	v_mov_b32_e32 v18, s33
	v_mov_b32_e32 v19, s10
	v_mov_b32_e32 v20, s11
	v_mov_b32_e32 v21, s36
	v_mov_b32_e32 v22, s37
	v_mov_b32_e32 v23, s38
	v_mov_b32_e32 v24, s40
	v_mov_b32_e32 v25, s41
	v_mov_b32_e32 v26, s42
	v_mov_b32_e32 v27, s43
	v_mov_b32_e32 v28, s44
	v_mov_b32_e32 v29, s45
	v_mov_b32_e32 v30, s46
	s_getpc_b64 s[0:1]
	s_add_u32 s0, s0, _ZN4vllm22paged_attention_kernelI14__hip_bfloat16hLi128ELi32ELi128ELNS_18Fp8KVCacheDataTypeE1ELb1ELi512EEEvPfS3_PT_PKS4_PKT0_SA_ifPKiSC_iPKfiiiSE_SE_iiiii@rel32@lo+4
	s_addc_u32 s1, s1, _ZN4vllm22paged_attention_kernelI14__hip_bfloat16hLi128ELi32ELi128ELNS_18Fp8KVCacheDataTypeE1ELb1ELi512EEEvPfS3_PT_PKS4_PKT0_SA_ifPKiSC_iPKfiiiSE_SE_iiiii@rel32@hi+12
	s_swappc_b64 s[30:31], s[0:1]
	s_endpgm
	.section	.rodata,"a",@progbits
	.p2align	6, 0x0
	.amdhsa_kernel _ZN4vllm25paged_attention_v2_kernelI14__hip_bfloat16hLi128ELi32ELi128ELNS_18Fp8KVCacheDataTypeE1ELb1ELi512EEEvPfS3_PT_PKS4_PKT0_SA_ifPKiSC_iPKfiiiSE_SE_iiiii
		.amdhsa_group_segment_fixed_size 272
		.amdhsa_private_segment_fixed_size 396
		.amdhsa_kernarg_size 400
		.amdhsa_user_sgpr_count 2
		.amdhsa_user_sgpr_dispatch_ptr 0
		.amdhsa_user_sgpr_queue_ptr 0
		.amdhsa_user_sgpr_kernarg_segment_ptr 1
		.amdhsa_user_sgpr_dispatch_id 0
		.amdhsa_user_sgpr_kernarg_preload_length 0
		.amdhsa_user_sgpr_kernarg_preload_offset 0
		.amdhsa_user_sgpr_private_segment_size 0
		.amdhsa_uses_dynamic_stack 0
		.amdhsa_enable_private_segment 1
		.amdhsa_system_sgpr_workgroup_id_x 1
		.amdhsa_system_sgpr_workgroup_id_y 1
		.amdhsa_system_sgpr_workgroup_id_z 1
		.amdhsa_system_sgpr_workgroup_info 0
		.amdhsa_system_vgpr_workitem_id 0
		.amdhsa_next_free_vgpr 128
		.amdhsa_next_free_sgpr 48
		.amdhsa_accum_offset 64
		.amdhsa_reserve_vcc 1
		.amdhsa_float_round_mode_32 0
		.amdhsa_float_round_mode_16_64 0
		.amdhsa_float_denorm_mode_32 3
		.amdhsa_float_denorm_mode_16_64 3
		.amdhsa_dx10_clamp 1
		.amdhsa_ieee_mode 1
		.amdhsa_fp16_overflow 0
		.amdhsa_tg_split 0
		.amdhsa_exception_fp_ieee_invalid_op 0
		.amdhsa_exception_fp_denorm_src 0
		.amdhsa_exception_fp_ieee_div_zero 0
		.amdhsa_exception_fp_ieee_overflow 0
		.amdhsa_exception_fp_ieee_underflow 0
		.amdhsa_exception_fp_ieee_inexact 0
		.amdhsa_exception_int_div_zero 0
	.end_amdhsa_kernel
	.section	.text._ZN4vllm25paged_attention_v2_kernelI14__hip_bfloat16hLi128ELi32ELi128ELNS_18Fp8KVCacheDataTypeE1ELb1ELi512EEEvPfS3_PT_PKS4_PKT0_SA_ifPKiSC_iPKfiiiSE_SE_iiiii,"axG",@progbits,_ZN4vllm25paged_attention_v2_kernelI14__hip_bfloat16hLi128ELi32ELi128ELNS_18Fp8KVCacheDataTypeE1ELb1ELi512EEEvPfS3_PT_PKS4_PKT0_SA_ifPKiSC_iPKfiiiSE_SE_iiiii,comdat
.Lfunc_end362:
	.size	_ZN4vllm25paged_attention_v2_kernelI14__hip_bfloat16hLi128ELi32ELi128ELNS_18Fp8KVCacheDataTypeE1ELb1ELi512EEEvPfS3_PT_PKS4_PKT0_SA_ifPKiSC_iPKfiiiSE_SE_iiiii, .Lfunc_end362-_ZN4vllm25paged_attention_v2_kernelI14__hip_bfloat16hLi128ELi32ELi128ELNS_18Fp8KVCacheDataTypeE1ELb1ELi512EEEvPfS3_PT_PKS4_PKT0_SA_ifPKiSC_iPKfiiiSE_SE_iiiii
                                        ; -- End function
	.section	.AMDGPU.csdata,"",@progbits
; Kernel info:
; codeLenInByte = 272
; NumSgprs: 54
; NumVgprs: 64
; NumAgprs: 64
; TotalNumVgprs: 128
; ScratchSize: 396
; MemoryBound: 0
; FloatMode: 240
; IeeeMode: 1
; LDSByteSize: 272 bytes/workgroup (compile time only)
; SGPRBlocks: 6
; VGPRBlocks: 15
; NumSGPRsForWavesPerEU: 54
; NumVGPRsForWavesPerEU: 128
; AccumOffset: 64
; Occupancy: 4
; WaveLimiterHint : 1
; COMPUTE_PGM_RSRC2:SCRATCH_EN: 1
; COMPUTE_PGM_RSRC2:USER_SGPR: 2
; COMPUTE_PGM_RSRC2:TRAP_HANDLER: 0
; COMPUTE_PGM_RSRC2:TGID_X_EN: 1
; COMPUTE_PGM_RSRC2:TGID_Y_EN: 1
; COMPUTE_PGM_RSRC2:TGID_Z_EN: 1
; COMPUTE_PGM_RSRC2:TIDIG_COMP_CNT: 0
; COMPUTE_PGM_RSRC3_GFX90A:ACCUM_OFFSET: 15
; COMPUTE_PGM_RSRC3_GFX90A:TG_SPLIT: 0
	.text
	.p2align	2                               ; -- Begin function _ZN4vllm22paged_attention_kernelI14__hip_bfloat16hLi192ELi32ELi128ELNS_18Fp8KVCacheDataTypeE1ELb1ELi512EEEvPfS3_PT_PKS4_PKT0_SA_ifPKiSC_iPKfiiiSE_SE_iiiii
	.type	_ZN4vllm22paged_attention_kernelI14__hip_bfloat16hLi192ELi32ELi128ELNS_18Fp8KVCacheDataTypeE1ELb1ELi512EEEvPfS3_PT_PKS4_PKT0_SA_ifPKiSC_iPKfiiiSE_SE_iiiii,@function
_ZN4vllm22paged_attention_kernelI14__hip_bfloat16hLi192ELi32ELi128ELNS_18Fp8KVCacheDataTypeE1ELb1ELi512EEEvPfS3_PT_PKS4_PKT0_SA_ifPKiSC_iPKfiiiSE_SE_iiiii: ; @_ZN4vllm22paged_attention_kernelI14__hip_bfloat16hLi192ELi32ELi128ELNS_18Fp8KVCacheDataTypeE1ELb1ELi512EEEvPfS3_PT_PKS4_PKT0_SA_ifPKiSC_iPKfiiiSE_SE_iiiii
; %bb.0:
	s_waitcnt vmcnt(0) expcnt(0) lgkmcnt(0)
	s_or_saveexec_b64 s[0:1], -1
	scratch_store_dword off, v63, s32 offset:592 ; 4-byte Folded Spill
	s_mov_b64 exec, s[0:1]
	scratch_store_dword off, v40, s32 offset:192 ; 4-byte Folded Spill
	scratch_store_dword off, v41, s32 offset:188 ; 4-byte Folded Spill
	;; [unrolled: 1-line block ×47, first 2 shown]
	v_writelane_b32 v63, s34, 0
	v_writelane_b32 v63, s35, 1
	;; [unrolled: 1-line block ×10, first 2 shown]
	s_nop 1
	v_writelane_b32 v63, s31, 10
	s_mov_b32 s16, s13
	s_ashr_i32 s17, s13, 31
	scratch_store_dwordx2 off, v[26:27], s32 offset:460 ; 8-byte Folded Spill
	scratch_store_dwordx2 off, v[24:25], s32 offset:468 ; 8-byte Folded Spill
	;; [unrolled: 1-line block ×3, first 2 shown]
	scratch_store_dword off, v13, s32 offset:496 ; 4-byte Folded Spill
	scratch_store_dwordx2 off, v[4:5], s32 offset:508 ; 8-byte Folded Spill
	v_mov_b32_e32 v35, v3
	v_mov_b32_e32 v34, v2
	v_lshl_add_u64 v[2:3], s[16:17], 2, v[16:17]
	v_mov_b32_e32 v27, v1
	v_mov_b32_e32 v26, v0
	scratch_load_dword v0, off, s32 offset:4
	flat_load_dword v1, v[2:3]
	s_nop 0
	scratch_load_dword v2, off, s32
	s_mov_b32 s20, s15
	s_lshl_b32 s15, s14, 9
	v_mov_b32_e32 v33, v20
	v_mov_b32_e32 v32, v19
	;; [unrolled: 1-line block ×4, first 2 shown]
	s_waitcnt vmcnt(0) lgkmcnt(0)
	v_cmp_lt_i32_e32 vcc, s15, v1
	scratch_store_dword off, v1, s32 offset:196 ; 4-byte Folded Spill
	s_and_saveexec_b64 s[10:11], vcc
	s_cbranch_execz .LBB363_1330
; %bb.1:
	v_sub_u32_e32 v1, 0, v12
	v_max_i32_e32 v1, v12, v1
	v_cvt_f32_u32_e32 v3, v1
	s_load_dword s0, s[8:9], 0x10
	s_load_dword s2, s[8:9], 0x0
	v_sub_u32_e32 v5, 0, v1
	v_rcp_iflag_f32_e32 v3, v3
	s_waitcnt lgkmcnt(0)
	s_lshr_b32 s0, s0, 16
	s_cmp_lg_u32 s0, 0
	s_cselect_b64 s[0:1], -1, 0
	v_mul_f32_e32 v3, 0x4f7ffffe, v3
	v_cvt_u32_f32_e32 v3, v3
	s_cmp_lg_u64 s[0:1], 0
	s_addc_u32 s17, s2, 0
	s_abs_i32 s0, s17
	v_mul_lo_u32 v5, v5, v3
	v_mul_hi_u32 v5, v3, v5
	v_add_u32_e32 v3, v3, v5
	v_mul_hi_u32 v3, s0, v3
	v_mul_lo_u32 v5, v3, v1
	v_sub_u32_e32 v5, s0, v5
	v_add_u32_e32 v10, 1, v3
	v_cmp_ge_u32_e32 vcc, v5, v1
	v_xor_b32_e32 v4, s17, v12
	v_ashrrev_i32_e32 v4, 31, v4
	v_cndmask_b32_e32 v3, v3, v10, vcc
	v_sub_u32_e32 v10, v5, v1
	v_cndmask_b32_e32 v5, v5, v10, vcc
	v_add_u32_e32 v10, 1, v3
	v_cmp_ge_u32_e32 vcc, v5, v1
	s_abs_i32 s2, s12
	s_nop 0
	v_cndmask_b32_e32 v1, v3, v10, vcc
	v_xor_b32_e32 v1, v1, v4
	v_sub_u32_e32 v1, v1, v4
	v_sub_u32_e32 v3, 0, v1
	v_max_i32_e32 v3, v1, v3
	v_cvt_f32_u32_e32 v4, v3
	v_sub_u32_e32 v5, 0, v3
	v_cmp_ne_u64_e32 vcc, 0, v[32:33]
	v_rcp_iflag_f32_e32 v4, v4
	s_nop 0
	v_mul_f32_e32 v4, 0x4f7ffffe, v4
	v_cvt_u32_f32_e32 v4, v4
	v_mul_lo_u32 v5, v5, v4
	v_mul_hi_u32 v5, v4, v5
	v_add_u32_e32 v4, v4, v5
	v_mad_u64_u32 v[16:17], s[0:1], s2, v4, 0
	v_mov_b32_e32 v4, 0
	scratch_store_dword off, v4, s32 offset:492 ; 4-byte Folded Spill
	s_and_saveexec_b64 s[0:1], vcc
	s_cbranch_execz .LBB363_3
; %bb.2:
	s_ashr_i32 s13, s12, 31
	v_lshl_add_u64 v[4:5], s[12:13], 2, v[32:33]
	flat_load_dword v4, v[4:5]
	s_waitcnt vmcnt(0) lgkmcnt(0)
	scratch_store_dword off, v4, s32 offset:492 ; 4-byte Folded Spill
.LBB363_3:
	s_or_b64 exec, exec, s[0:1]
	v_and_b32_e32 v5, 0x3ff, v31
	s_ashr_i32 s3, s12, 31
	v_ashrrev_i32_e32 v4, 31, v1
	v_and_b32_e32 v1, 1, v5
	s_movk_i32 s4, 0xc0
	s_mul_i32 s18, s12, 0xc0
	v_cmp_gt_u32_e32 vcc, 48, v5
	v_lshlrev_b32_e32 v20, 3, v5
	scratch_store_dword off, v5, s32 offset:456 ; 4-byte Folded Spill
	s_and_saveexec_b64 s[0:1], vcc
	s_cbranch_execz .LBB363_5
; %bb.4:
	v_mul_lo_u32 v10, s16, v21
	v_ashrrev_i32_e32 v11, 31, v10
	v_lshl_add_u64 v[6:7], v[10:11], 1, v[6:7]
	s_ashr_i32 s19, s18, 31
	v_lshl_add_u64 v[6:7], s[18:19], 1, v[6:7]
	v_mov_b32_e32 v21, 0
	v_lshl_add_u64 v[6:7], v[6:7], 0, v[20:21]
	flat_load_dwordx2 v[6:7], v[6:7]
	s_nop 0
	scratch_load_dword v5, off, s32 offset:456 ; 4-byte Folded Reload
	s_waitcnt vmcnt(0)
	v_lshlrev_b32_e32 v5, 2, v5
	v_and_b32_e32 v5, 0xff8, v5
	v_mad_u32_u24 v5, v1, s4, v5
	s_waitcnt lgkmcnt(0)
	ds_write_b64 v5, v[6:7]
.LBB363_5:
	s_or_b64 exec, exec, s[0:1]
	v_mul_lo_u32 v5, v17, v3
	v_sub_u32_e32 v5, s2, v5
	v_add_u32_e32 v6, 1, v17
	v_cmp_ge_u32_e32 vcc, v5, v3
	v_sub_u32_e32 v7, v5, v3
	v_xor_b32_e32 v4, s3, v4
	v_cndmask_b32_e32 v6, v17, v6, vcc
	v_cndmask_b32_e32 v5, v5, v7, vcc
	v_add_u32_e32 v7, 1, v6
	v_cmp_ge_u32_e32 vcc, v5, v3
	s_waitcnt lgkmcnt(0)
	s_barrier
	v_cndmask_b32_e32 v3, v6, v7, vcc
	v_xor_b32_e32 v3, v3, v4
	v_sub_u32_e32 v6, v3, v4
	scratch_load_dword v4, off, s32 offset:196 ; 4-byte Folded Reload
	v_sub_u32_e32 v5, 0, v2
	v_max_i32_e32 v7, v2, v5
	v_cvt_f32_u32_e32 v5, v7
	scratch_store_dword off, v7, s32 offset:208 ; 4-byte Folded Spill
	v_sub_u32_e32 v7, 0, v7
	v_cmp_gt_i32_e32 vcc, 0, v0
	v_rcp_iflag_f32_e32 v3, v5
                                        ; implicit-def: $vgpr10
	scratch_store_dwordx2 off, v[10:11], s32 offset:220 ; 8-byte Folded Spill
	v_mul_f32_e32 v3, 0x4f7ffffe, v3
	v_cvt_u32_f32_e32 v5, v3
	v_mul_lo_u32 v7, v7, v5
	v_mul_hi_u32 v7, v5, v7
	v_add_u32_e32 v5, v5, v7
	scratch_store_dword off, v5, s32 offset:228 ; 4-byte Folded Spill
	s_waitcnt vmcnt(3)
	v_add_u32_e32 v4, -1, v4
	v_sub_u32_e32 v3, 0, v4
	v_max_i32_e32 v3, v4, v3
	v_mad_u64_u32 v[16:17], s[0:1], v3, v5, 0
	s_and_saveexec_b64 s[0:1], vcc
	s_xor_b64 s[0:1], exec, s[0:1]
	s_cbranch_execz .LBB363_7
; %bb.6:
	v_mad_u64_u32 v[10:11], s[2:3], v28, v12, v[6:7]
	v_mul_lo_u32 v0, v10, v0
	v_sub_u32_e32 v0, 1, v0
	scratch_store_dwordx2 off, v[0:1], s32 offset:220 ; 8-byte Folded Spill
                                        ; implicit-def: $vgpr28
                                        ; implicit-def: $vgpr0
.LBB363_7:
	s_or_saveexec_b64 s[0:1], s[0:1]
	v_ashrrev_i32_e32 v4, 31, v4
	v_ashrrev_i32_e32 v2, 31, v2
	scratch_store_dword off, v2, s32 offset:212 ; 4-byte Folded Spill
	s_xor_b64 exec, exec, s[0:1]
	s_cbranch_execz .LBB363_9
; %bb.8:
	v_mul_lo_u32 v2, s17, v28
	v_add_u32_e32 v2, s12, v2
	v_mad_u64_u32 v[10:11], s[2:3], v2, v0, 1
	scratch_store_dwordx2 off, v[10:11], s32 offset:220 ; 8-byte Folded Spill
.LBB363_9:
	s_or_b64 exec, exec, s[0:1]
	s_load_dword s38, s[8:9], 0x14
	s_load_dword s13, s[8:9], 0x8
	scratch_load_dword v0, off, s32 offset:212 ; 4-byte Folded Reload
	scratch_load_dword v5, off, s32 offset:208 ; 4-byte Folded Reload
	s_lshl_b32 s19, s14, 4
	s_add_i32 s0, s19, 16
	v_mul_lo_u32 v10, s16, v18
	v_mul_lo_u32 v38, v6, v23
	v_ashrrev_i32_e32 v11, 31, v10
	v_ashrrev_i32_e32 v39, 31, v38
	v_sub_u32_e32 v28, 0, v30
	scratch_store_dwordx2 off, v[10:11], s32 offset:516 ; 8-byte Folded Spill
	s_waitcnt vmcnt(2)
	v_xor_b32_e32 v0, v4, v0
	s_waitcnt vmcnt(1)
	v_mul_lo_u32 v2, v17, v5
	v_sub_u32_e32 v2, v3, v2
	v_add_u32_e32 v3, 1, v17
	v_cmp_ge_u32_e32 vcc, v2, v5
	v_sub_u32_e32 v4, v2, v5
	s_nop 0
	v_cndmask_b32_e32 v3, v17, v3, vcc
	v_cndmask_b32_e32 v2, v2, v4, vcc
	v_add_u32_e32 v4, 1, v3
	v_cmp_ge_u32_e32 vcc, v2, v5
	s_nop 1
	v_cndmask_b32_e32 v2, v3, v4, vcc
	v_xor_b32_e32 v2, v2, v0
	v_sub_u32_e32 v0, v2, v0
	scratch_load_dword v2, off, s32 offset:196 ; 4-byte Folded Reload
	v_sub_u32_e32 v0, v0, v29
	scratch_store_dword off, v0, s32 offset:232 ; 4-byte Folded Spill
	v_mov_b32_e32 v4, 0xff7fffff
	s_waitcnt vmcnt(1)
	v_add_u32_e32 v2, 31, v2
	v_ashrrev_i32_e32 v3, 31, v2
	v_lshrrev_b32_e32 v3, 27, v3
	v_add_u32_e32 v2, v2, v3
	v_ashrrev_i32_e32 v31, 5, v2
	scratch_load_dword v2, off, s32 offset:456 ; 4-byte Folded Reload
	v_min_i32_e32 v3, s0, v31
	scratch_store_dword off, v3, s32 offset:216 ; 4-byte Folded Spill
	s_waitcnt vmcnt(1)
	v_lshrrev_b32_e32 v25, 6, v2
	v_or_b32_e32 v2, s19, v25
	v_lshl_add_u32 v0, v25, 5, s15
	v_cmp_lt_i32_e64 s[0:1], v2, v3
	v_ashrrev_i32_e32 v3, 31, v2
	scratch_store_dword off, v0, s32 offset:524 ; 4-byte Folded Spill
	v_mbcnt_lo_u32_b32 v0, -1, 0
	scratch_store_dwordx2 off, v[2:3], s32 offset:200 ; 8-byte Folded Spill
	s_and_saveexec_b64 s[8:9], s[0:1]
	s_cbranch_execz .LBB363_403
; %bb.10:
	scratch_store_dword off, v31, s32 offset:528 ; 4-byte Folded Spill
	scratch_store_dwordx2 off, v[20:21], s32 offset:548 ; 8-byte Folded Spill
	scratch_store_dwordx2 off, v[34:35], s32 offset:556 ; 8-byte Folded Spill
	;; [unrolled: 1-line block ×4, first 2 shown]
	v_mov_b32_e32 v6, v0
	scratch_load_dword v0, off, s32 offset:456 ; 4-byte Folded Reload
	v_lshl_add_u64 v[2:3], v[8:9], 0, v[38:39]
	v_mov_b32_e32 v47, 0
	v_cmp_eq_u32_e64 s[2:3], 0, v1
	scratch_store_dwordx2 off, v[38:39], s32 offset:532 ; 8-byte Folded Spill
	s_ashr_i32 s21, s20, 31
	s_lshl_b64 s[6:7], s[20:21], 2
	s_getpc_b64 s[22:23]
	s_add_u32 s22, s22, llvm.amdgcn.dynlds.offset.table@rel32@lo+4
	s_addc_u32 s23, s23, llvm.amdgcn.dynlds.offset.table@rel32@hi+12
	s_add_u32 s22, s6, s22
	s_addc_u32 s23, s7, s23
	v_lshl_add_u32 v62, v25, 5, s15
	s_mov_b64 s[24:25], 0
	s_mov_b32 s39, 0x7f800000
	s_movk_i32 s40, 0x7fff
	s_mov_b64 s[26:27], 0x1000
	s_mov_b64 s[28:29], 0x1200
	;; [unrolled: 1-line block ×4, first 2 shown]
	s_waitcnt vmcnt(1)
	v_bfe_u32 v7, v0, 1, 5
	v_lshlrev_b32_e32 v46, 4, v7
	v_lshl_add_u64 v[2:3], v[2:3], 0, v[46:47]
	scratch_store_dwordx2 off, v[2:3], s32 offset:484 ; 8-byte Folded Spill
	v_lshlrev_b32_e32 v46, 2, v1
	scratch_store_dword off, v30, s32 offset:580 ; 4-byte Folded Spill
	scratch_store_dword off, v28, s32 offset:540 ; 4-byte Folded Spill
	v_mul_u32_u24_e32 v1, 0xc0, v1
	scratch_store_dword off, v1, s32 offset:244 ; 4-byte Folded Spill
	scratch_load_dword v1, off, s32 offset:492 ; 4-byte Folded Reload
	v_max_i32_e32 v2, v30, v28
	v_cvt_f32_u32_e32 v0, v2
	scratch_store_dword off, v2, s32 offset:252 ; 4-byte Folded Spill
	s_load_dword s21, s[22:23], 0x0
	scratch_store_dwordx2 off, v[14:15], s32 offset:584 ; 8-byte Folded Spill
	v_rcp_iflag_f32_e32 v0, v0
	scratch_store_dword off, v25, s32 offset:544 ; 4-byte Folded Spill
	scratch_store_dword off, v7, s32 offset:500 ; 4-byte Folded Spill
	scratch_load_dwordx2 v[4:5], off, s32 offset:516 ; 8-byte Folded Reload
	v_mul_f32_e32 v0, 0x4f7ffffe, v0
	v_cvt_u32_f32_e32 v0, v0
	s_waitcnt vmcnt(5)
	v_cmp_neq_f32_e64 s[4:5], 0, v1
	v_sub_u32_e32 v1, 0, v2
	scratch_load_dwordx2 v[2:3], off, s32 offset:200 ; 8-byte Folded Reload
	v_mul_lo_u32 v1, v1, v0
	v_mul_hi_u32 v1, v0, v1
	v_add_u32_e32 v0, v0, v1
	scratch_store_dwordx2 off, v[0:1], s32 offset:260 ; 8-byte Folded Spill
	s_waitcnt vmcnt(1)
	v_lshlrev_b64 v[0:1], 2, v[2:3]
	v_lshl_add_u64 v[0:1], v[4:5], 2, v[0:1]
	v_lshl_add_u64 v[0:1], v[14:15], 0, v[0:1]
	v_accvgpr_write_b32 a39, v1
	v_accvgpr_write_b32 a38, v0
	v_lshlrev_b32_e32 v0, 2, v7
	v_lshl_or_b32 v0, v25, 7, v0
	v_accvgpr_write_b32 a35, v0
	scratch_load_dword v0, off, s32 offset:196 ; 4-byte Folded Reload
	s_waitcnt vmcnt(0)
	v_sub_u32_e32 v0, v7, v0
	v_add_u32_e32 v0, 1, v0
	scratch_store_dword off, v0, s32 offset:504 ; 4-byte Folded Spill
	v_mbcnt_hi_u32_b32 v0, -1, v6
	scratch_store_dword off, v0, s32 offset:480 ; 4-byte Folded Spill
	v_mov_b32_e32 v0, 0xff7fffff
	scratch_store_dword off, v0, s32 offset:476 ; 4-byte Folded Spill
	s_branch .LBB363_13
.LBB363_11:                             ;   in Loop: Header=BB363_13 Depth=1
	s_or_b64 exec, exec, s[36:37]
.LBB363_12:                             ;   in Loop: Header=BB363_13 Depth=1
	s_or_b64 exec, exec, s[6:7]
	s_waitcnt lgkmcnt(0)
	v_accvgpr_read_b32 v0, a38
	v_accvgpr_read_b32 v1, a39
	v_lshl_add_u64 v[0:1], v[0:1], 0, 8
	v_accvgpr_write_b32 a39, v1
	v_accvgpr_write_b32 a38, v0
	scratch_load_dword v0, off, s32 offset:216 ; 4-byte Folded Reload
	v_accvgpr_read_b32 v2, a41
	v_add_u32_e32 v2, 2, v2
	v_add_u32_e32 v62, 64, v62
	s_waitcnt vmcnt(0)
	v_cmp_ge_i32_e32 vcc, v2, v0
	v_accvgpr_read_b32 v0, a35
	v_add_u32_e32 v0, 0x100, v0
	s_or_b64 s[24:25], vcc, s[24:25]
	v_accvgpr_write_b32 a35, v0
	s_andn2_b64 exec, exec, s[24:25]
	s_cbranch_execz .LBB363_402
.LBB363_13:                             ; =>This Inner Loop Header: Depth=1
	scratch_load_dword v1, off, s32 offset:212 ; 4-byte Folded Reload
	v_accvgpr_write_b32 a41, v2
	scratch_load_dword v2, off, s32 offset:228 ; 4-byte Folded Reload
	scratch_load_dword v4, off, s32 offset:208 ; 4-byte Folded Reload
	v_ashrrev_i32_e32 v0, 31, v62
	s_waitcnt vmcnt(2)
	v_xor_b32_e32 v0, v0, v1
	v_sub_u32_e32 v1, 0, v62
	v_max_i32_e32 v1, v62, v1
	s_waitcnt vmcnt(1)
	v_mul_hi_u32 v2, v1, v2
	s_waitcnt vmcnt(0)
	v_mul_lo_u32 v3, v2, v4
	v_sub_u32_e32 v1, v1, v3
	v_add_u32_e32 v3, 1, v2
	v_cmp_ge_u32_e32 vcc, v1, v4
	s_nop 1
	v_cndmask_b32_e32 v2, v2, v3, vcc
	v_sub_u32_e32 v3, v1, v4
	v_cndmask_b32_e32 v1, v1, v3, vcc
	v_add_u32_e32 v3, 1, v2
	v_cmp_ge_u32_e32 vcc, v1, v4
	scratch_load_dwordx2 v[4:5], off, s32 offset:260 ; 8-byte Folded Reload
	s_nop 0
	v_cndmask_b32_e32 v1, v2, v3, vcc
	scratch_load_dwordx2 v[2:3], off, s32 offset:220 ; 8-byte Folded Reload
	v_xor_b32_e32 v1, v1, v0
	v_sub_u32_e32 v0, v1, v0
	s_waitcnt vmcnt(0)
	v_add_u32_e32 v1, v0, v2
	v_sub_u32_e32 v3, 0, v1
	v_ashrrev_i32_e32 v2, 31, v1
	v_max_i32_e32 v1, v1, v3
	v_mul_hi_u32 v3, v1, v4
	scratch_load_dword v4, off, s32 offset:252 ; 4-byte Folded Reload
	s_waitcnt vmcnt(0)
	v_mul_lo_u32 v3, v3, v4
	v_sub_u32_e32 v1, v1, v3
	v_sub_u32_e32 v3, v1, v4
	v_cmp_ge_u32_e32 vcc, v1, v4
	s_nop 1
	v_cndmask_b32_e32 v1, v1, v3, vcc
	v_sub_u32_e32 v3, v1, v4
	v_cmp_ge_u32_e32 vcc, v1, v4
	s_nop 1
	v_cndmask_b32_e32 v1, v1, v3, vcc
	v_xor_b32_e32 v1, v1, v2
	v_sub_u32_e32 v1, v1, v2
	v_cmp_ne_u32_e32 vcc, 0, v1
	scratch_load_dword v1, off, s32 offset:232 ; 4-byte Folded Reload
	s_waitcnt vmcnt(0)
	v_cmp_le_i32_e64 s[6:7], v0, v1
	s_and_b64 s[6:7], vcc, s[6:7]
	s_and_b64 s[36:37], s[2:3], s[6:7]
	s_and_saveexec_b64 vcc, s[36:37]
	s_cbranch_execz .LBB363_15
; %bb.14:                               ;   in Loop: Header=BB363_13 Depth=1
	v_accvgpr_read_b32 v0, a35
	s_waitcnt lgkmcnt(0)
	v_add_u32_e32 v0, s21, v0
	v_mov_b32_e32 v1, 0xff7fffff
	ds_write_b32 v0, v1
.LBB363_15:                             ;   in Loop: Header=BB363_13 Depth=1
	s_or_b64 exec, exec, vcc
	s_xor_b64 vcc, s[6:7], -1
	s_and_saveexec_b64 s[6:7], vcc
	s_cbranch_execz .LBB363_12
; %bb.16:                               ;   in Loop: Header=BB363_13 Depth=1
	v_accvgpr_read_b32 v0, a38
	v_accvgpr_read_b32 v1, a39
	flat_load_dword v0, v[0:1]
	s_nop 0
	scratch_load_dwordx2 v[2:3], off, s32 offset:236 ; 8-byte Folded Reload
	scratch_load_dwordx2 v[4:5], off, s32 offset:484 ; 8-byte Folded Reload
	s_waitcnt vmcnt(0) lgkmcnt(0)
	v_mad_i64_i32 v[0:1], vcc, v0, v2, v[4:5]
	v_lshl_add_u64 v[60:61], v[0:1], 0, v[46:47]
	flat_load_dword v11, v[60:61]
	scratch_load_dwordx2 v[0:1], off, s32 offset:468 ; 8-byte Folded Reload
	s_waitcnt vmcnt(0)
	flat_load_dword v10, v[0:1]
	scratch_load_dword v4, off, s32 offset:244 ; 4-byte Folded Reload
	s_waitcnt lgkmcnt(0)
	v_and_b32_e32 v12, 0xff, v11
	v_cvt_f32_fp8_sdwa v12, v12 src0_sel:BYTE_0
	s_waitcnt vmcnt(0)
	ds_read_b128 v[52:55], v4
	ds_read_b128 v[0:3], v4 offset:16
	ds_read_b128 v[36:39], v4 offset:32
	;; [unrolled: 1-line block ×4, first 2 shown]
	v_mul_f32_e32 v12, v10, v12
	v_and_b32_e32 v13, 0x7f800000, v12
	v_cmp_ne_u32_e32 vcc, s39, v13
	ds_read_b32 v5, v4 offset:96
	s_waitcnt lgkmcnt(1)
	scratch_store_dwordx4 off, v[6:9], s32 offset:304 ; 16-byte Folded Spill
	ds_read_b128 v[6:9], v4 offset:80
	ds_read_u16 v4, v4 offset:100
	s_waitcnt lgkmcnt(2)
	scratch_store_dword off, v5, s32 offset:268 ; 4-byte Folded Spill
	s_waitcnt lgkmcnt(1)
	scratch_store_dwordx4 off, v[6:9], s32 offset:284 ; 16-byte Folded Spill
	s_waitcnt lgkmcnt(0)
	scratch_store_dword off, v4, s32 offset:276 ; 4-byte Folded Spill
                                        ; implicit-def: $vgpr4
                                        ; kill: killed $vgpr4
	s_and_saveexec_b64 s[36:37], vcc
	s_xor_b64 vcc, exec, s[36:37]
	s_cbranch_execz .LBB363_18
; %bb.17:                               ;   in Loop: Header=BB363_13 Depth=1
	v_bfe_u32 v13, v12, 16, 1
	v_add3_u32 v4, v12, v13, s40
	scratch_store_dword off, v4, s32 offset:300 ; 4-byte Folded Spill
                                        ; implicit-def: $vgpr12
.LBB363_18:                             ;   in Loop: Header=BB363_13 Depth=1
	s_andn2_saveexec_b64 s[36:37], vcc
	s_cbranch_execz .LBB363_20
; %bb.19:                               ;   in Loop: Header=BB363_13 Depth=1
	v_or_b32_e32 v13, 0x10000, v12
	v_cmp_eq_u32_sdwa vcc, v12, v47 src0_sel:WORD_0 src1_sel:DWORD
	s_nop 1
	v_cndmask_b32_e32 v4, v13, v12, vcc
	scratch_store_dword off, v4, s32 offset:300 ; 4-byte Folded Spill
.LBB363_20:                             ;   in Loop: Header=BB363_13 Depth=1
	s_or_b64 exec, exec, s[36:37]
	v_bfe_u32 v12, v11, 8, 8
	v_cvt_f32_fp8_sdwa v12, v12 src0_sel:BYTE_0
                                        ; implicit-def: $vgpr4
                                        ; kill: killed $vgpr4
	s_nop 0
	v_mul_f32_e32 v12, v10, v12
	v_and_b32_e32 v13, 0x7f800000, v12
	v_cmp_ne_u32_e32 vcc, s39, v13
	s_and_saveexec_b64 s[36:37], vcc
	s_xor_b64 vcc, exec, s[36:37]
	s_cbranch_execz .LBB363_22
; %bb.21:                               ;   in Loop: Header=BB363_13 Depth=1
	v_bfe_u32 v13, v12, 16, 1
	v_add3_u32 v4, v12, v13, s40
	scratch_store_dword off, v4, s32 offset:320 ; 4-byte Folded Spill
                                        ; implicit-def: $vgpr12
.LBB363_22:                             ;   in Loop: Header=BB363_13 Depth=1
	s_andn2_saveexec_b64 s[36:37], vcc
	s_cbranch_execz .LBB363_24
; %bb.23:                               ;   in Loop: Header=BB363_13 Depth=1
	v_or_b32_e32 v13, 0x10000, v12
	v_cmp_eq_u32_sdwa vcc, v12, v47 src0_sel:WORD_0 src1_sel:DWORD
	s_nop 1
	v_cndmask_b32_e32 v4, v13, v12, vcc
	scratch_store_dword off, v4, s32 offset:320 ; 4-byte Folded Spill
.LBB363_24:                             ;   in Loop: Header=BB363_13 Depth=1
	s_or_b64 exec, exec, s[36:37]
	v_bfe_u32 v12, v11, 16, 8
	v_cvt_f32_fp8_sdwa v12, v12 src0_sel:BYTE_0
                                        ; implicit-def: $vgpr4
                                        ; kill: killed $vgpr4
	s_nop 0
	v_mul_f32_e32 v12, v10, v12
	v_and_b32_e32 v13, 0x7f800000, v12
	v_cmp_ne_u32_e32 vcc, s39, v13
	s_and_saveexec_b64 s[36:37], vcc
	s_xor_b64 vcc, exec, s[36:37]
	s_cbranch_execz .LBB363_26
; %bb.25:                               ;   in Loop: Header=BB363_13 Depth=1
	v_bfe_u32 v13, v12, 16, 1
	v_add3_u32 v4, v12, v13, s40
	scratch_store_dword off, v4, s32 offset:328 ; 4-byte Folded Spill
                                        ; implicit-def: $vgpr12
.LBB363_26:                             ;   in Loop: Header=BB363_13 Depth=1
	s_andn2_saveexec_b64 s[36:37], vcc
	s_cbranch_execz .LBB363_28
; %bb.27:                               ;   in Loop: Header=BB363_13 Depth=1
	v_or_b32_e32 v13, 0x10000, v12
	v_cmp_eq_u32_sdwa vcc, v12, v47 src0_sel:WORD_0 src1_sel:DWORD
	s_nop 1
	v_cndmask_b32_e32 v4, v13, v12, vcc
	scratch_store_dword off, v4, s32 offset:328 ; 4-byte Folded Spill
.LBB363_28:                             ;   in Loop: Header=BB363_13 Depth=1
	s_or_b64 exec, exec, s[36:37]
	v_lshrrev_b32_e32 v11, 24, v11
	v_cvt_f32_fp8_sdwa v11, v11 src0_sel:BYTE_0
                                        ; implicit-def: $vgpr4
                                        ; kill: killed $vgpr4
	s_nop 0
	v_mul_f32_e32 v11, v10, v11
	v_and_b32_e32 v12, 0x7f800000, v11
	v_cmp_ne_u32_e32 vcc, s39, v12
	s_and_saveexec_b64 s[36:37], vcc
	s_xor_b64 vcc, exec, s[36:37]
	s_cbranch_execz .LBB363_30
; %bb.29:                               ;   in Loop: Header=BB363_13 Depth=1
	v_bfe_u32 v12, v11, 16, 1
	v_add3_u32 v4, v11, v12, s40
	scratch_store_dword off, v4, s32 offset:336 ; 4-byte Folded Spill
                                        ; implicit-def: $vgpr11
.LBB363_30:                             ;   in Loop: Header=BB363_13 Depth=1
	s_andn2_saveexec_b64 s[36:37], vcc
	s_cbranch_execz .LBB363_32
; %bb.31:                               ;   in Loop: Header=BB363_13 Depth=1
	v_or_b32_e32 v12, 0x10000, v11
	v_cmp_eq_u32_sdwa vcc, v11, v47 src0_sel:WORD_0 src1_sel:DWORD
	s_nop 1
	v_cndmask_b32_e32 v4, v12, v11, vcc
	scratch_store_dword off, v4, s32 offset:336 ; 4-byte Folded Spill
.LBB363_32:                             ;   in Loop: Header=BB363_13 Depth=1
	s_or_b64 exec, exec, s[36:37]
	flat_load_dword v11, v[60:61] offset:8
                                        ; implicit-def: $vgpr4
                                        ; kill: killed $vgpr4
	s_waitcnt vmcnt(0) lgkmcnt(0)
	v_and_b32_e32 v12, 0xff, v11
	v_cvt_f32_fp8_sdwa v12, v12 src0_sel:BYTE_0
	s_nop 0
	v_mul_f32_e32 v12, v10, v12
	v_and_b32_e32 v13, 0x7f800000, v12
	v_cmp_ne_u32_e32 vcc, s39, v13
	s_and_saveexec_b64 s[36:37], vcc
	s_xor_b64 vcc, exec, s[36:37]
	s_cbranch_execz .LBB363_34
; %bb.33:                               ;   in Loop: Header=BB363_13 Depth=1
	v_bfe_u32 v13, v12, 16, 1
	v_add3_u32 v4, v12, v13, s40
	scratch_store_dword off, v4, s32 offset:344 ; 4-byte Folded Spill
                                        ; implicit-def: $vgpr12
.LBB363_34:                             ;   in Loop: Header=BB363_13 Depth=1
	s_andn2_saveexec_b64 s[36:37], vcc
	s_cbranch_execz .LBB363_36
; %bb.35:                               ;   in Loop: Header=BB363_13 Depth=1
	v_or_b32_e32 v13, 0x10000, v12
	v_cmp_eq_u32_sdwa vcc, v12, v47 src0_sel:WORD_0 src1_sel:DWORD
	s_nop 1
	v_cndmask_b32_e32 v4, v13, v12, vcc
	scratch_store_dword off, v4, s32 offset:344 ; 4-byte Folded Spill
.LBB363_36:                             ;   in Loop: Header=BB363_13 Depth=1
	s_or_b64 exec, exec, s[36:37]
	v_bfe_u32 v12, v11, 8, 8
	v_cvt_f32_fp8_sdwa v12, v12 src0_sel:BYTE_0
                                        ; implicit-def: $vgpr4
                                        ; kill: killed $vgpr4
	s_nop 0
	v_mul_f32_e32 v12, v10, v12
	v_and_b32_e32 v13, 0x7f800000, v12
	v_cmp_ne_u32_e32 vcc, s39, v13
	s_and_saveexec_b64 s[36:37], vcc
	s_xor_b64 vcc, exec, s[36:37]
	s_cbranch_execz .LBB363_38
; %bb.37:                               ;   in Loop: Header=BB363_13 Depth=1
	v_bfe_u32 v13, v12, 16, 1
	v_add3_u32 v4, v12, v13, s40
	scratch_store_dword off, v4, s32 offset:352 ; 4-byte Folded Spill
                                        ; implicit-def: $vgpr12
.LBB363_38:                             ;   in Loop: Header=BB363_13 Depth=1
	s_andn2_saveexec_b64 s[36:37], vcc
	s_cbranch_execz .LBB363_40
; %bb.39:                               ;   in Loop: Header=BB363_13 Depth=1
	v_or_b32_e32 v13, 0x10000, v12
	v_cmp_eq_u32_sdwa vcc, v12, v47 src0_sel:WORD_0 src1_sel:DWORD
	s_nop 1
	v_cndmask_b32_e32 v4, v13, v12, vcc
	scratch_store_dword off, v4, s32 offset:352 ; 4-byte Folded Spill
.LBB363_40:                             ;   in Loop: Header=BB363_13 Depth=1
	s_or_b64 exec, exec, s[36:37]
	v_bfe_u32 v12, v11, 16, 8
	v_cvt_f32_fp8_sdwa v12, v12 src0_sel:BYTE_0
                                        ; implicit-def: $vgpr4
                                        ; kill: killed $vgpr4
	s_nop 0
	v_mul_f32_e32 v12, v10, v12
	v_and_b32_e32 v13, 0x7f800000, v12
	v_cmp_ne_u32_e32 vcc, s39, v13
	s_and_saveexec_b64 s[36:37], vcc
	s_xor_b64 vcc, exec, s[36:37]
	s_cbranch_execz .LBB363_42
; %bb.41:                               ;   in Loop: Header=BB363_13 Depth=1
	v_bfe_u32 v13, v12, 16, 1
	v_add3_u32 v4, v12, v13, s40
	scratch_store_dword off, v4, s32 offset:360 ; 4-byte Folded Spill
                                        ; implicit-def: $vgpr12
.LBB363_42:                             ;   in Loop: Header=BB363_13 Depth=1
	s_andn2_saveexec_b64 s[36:37], vcc
	s_cbranch_execz .LBB363_44
; %bb.43:                               ;   in Loop: Header=BB363_13 Depth=1
	v_or_b32_e32 v13, 0x10000, v12
	v_cmp_eq_u32_sdwa vcc, v12, v47 src0_sel:WORD_0 src1_sel:DWORD
	s_nop 1
	v_cndmask_b32_e32 v4, v13, v12, vcc
	scratch_store_dword off, v4, s32 offset:360 ; 4-byte Folded Spill
.LBB363_44:                             ;   in Loop: Header=BB363_13 Depth=1
	s_or_b64 exec, exec, s[36:37]
	v_lshrrev_b32_e32 v11, 24, v11
	v_cvt_f32_fp8_sdwa v11, v11 src0_sel:BYTE_0
                                        ; implicit-def: $vgpr4
                                        ; kill: killed $vgpr4
	s_nop 0
	v_mul_f32_e32 v11, v10, v11
	v_and_b32_e32 v12, 0x7f800000, v11
	v_cmp_ne_u32_e32 vcc, s39, v12
	s_and_saveexec_b64 s[36:37], vcc
	s_xor_b64 vcc, exec, s[36:37]
	s_cbranch_execz .LBB363_46
; %bb.45:                               ;   in Loop: Header=BB363_13 Depth=1
	v_bfe_u32 v12, v11, 16, 1
	v_add3_u32 v4, v11, v12, s40
	scratch_store_dword off, v4, s32 offset:364 ; 4-byte Folded Spill
                                        ; implicit-def: $vgpr11
.LBB363_46:                             ;   in Loop: Header=BB363_13 Depth=1
	s_andn2_saveexec_b64 s[36:37], vcc
	s_cbranch_execz .LBB363_48
; %bb.47:                               ;   in Loop: Header=BB363_13 Depth=1
	v_or_b32_e32 v12, 0x10000, v11
	v_cmp_eq_u32_sdwa vcc, v11, v47 src0_sel:WORD_0 src1_sel:DWORD
	s_nop 1
	v_cndmask_b32_e32 v4, v12, v11, vcc
	scratch_store_dword off, v4, s32 offset:364 ; 4-byte Folded Spill
.LBB363_48:                             ;   in Loop: Header=BB363_13 Depth=1
	s_or_b64 exec, exec, s[36:37]
	flat_load_dword v11, v[60:61] offset:512
                                        ; implicit-def: $vgpr4
                                        ; kill: killed $vgpr4
	s_waitcnt vmcnt(0) lgkmcnt(0)
	v_and_b32_e32 v12, 0xff, v11
	v_cvt_f32_fp8_sdwa v12, v12 src0_sel:BYTE_0
	s_nop 0
	v_mul_f32_e32 v12, v10, v12
	v_and_b32_e32 v13, 0x7f800000, v12
	v_cmp_ne_u32_e32 vcc, s39, v13
	s_and_saveexec_b64 s[36:37], vcc
	s_xor_b64 vcc, exec, s[36:37]
	s_cbranch_execz .LBB363_50
; %bb.49:                               ;   in Loop: Header=BB363_13 Depth=1
	v_bfe_u32 v13, v12, 16, 1
	v_add3_u32 v4, v12, v13, s40
	scratch_store_dword off, v4, s32 offset:368 ; 4-byte Folded Spill
                                        ; implicit-def: $vgpr12
.LBB363_50:                             ;   in Loop: Header=BB363_13 Depth=1
	s_andn2_saveexec_b64 s[36:37], vcc
	s_cbranch_execz .LBB363_52
; %bb.51:                               ;   in Loop: Header=BB363_13 Depth=1
	v_or_b32_e32 v13, 0x10000, v12
	v_cmp_eq_u32_sdwa vcc, v12, v47 src0_sel:WORD_0 src1_sel:DWORD
	s_nop 1
	v_cndmask_b32_e32 v4, v13, v12, vcc
	scratch_store_dword off, v4, s32 offset:368 ; 4-byte Folded Spill
.LBB363_52:                             ;   in Loop: Header=BB363_13 Depth=1
	s_or_b64 exec, exec, s[36:37]
	v_bfe_u32 v12, v11, 8, 8
	v_cvt_f32_fp8_sdwa v12, v12 src0_sel:BYTE_0
                                        ; implicit-def: $vgpr4
                                        ; kill: killed $vgpr4
	s_nop 0
	v_mul_f32_e32 v12, v10, v12
	v_and_b32_e32 v13, 0x7f800000, v12
	v_cmp_ne_u32_e32 vcc, s39, v13
	s_and_saveexec_b64 s[36:37], vcc
	s_xor_b64 vcc, exec, s[36:37]
	s_cbranch_execz .LBB363_54
; %bb.53:                               ;   in Loop: Header=BB363_13 Depth=1
	v_bfe_u32 v13, v12, 16, 1
	v_add3_u32 v4, v12, v13, s40
	scratch_store_dword off, v4, s32 offset:372 ; 4-byte Folded Spill
                                        ; implicit-def: $vgpr12
.LBB363_54:                             ;   in Loop: Header=BB363_13 Depth=1
	s_andn2_saveexec_b64 s[36:37], vcc
	s_cbranch_execz .LBB363_56
; %bb.55:                               ;   in Loop: Header=BB363_13 Depth=1
	v_or_b32_e32 v13, 0x10000, v12
	v_cmp_eq_u32_sdwa vcc, v12, v47 src0_sel:WORD_0 src1_sel:DWORD
	s_nop 1
	v_cndmask_b32_e32 v4, v13, v12, vcc
	scratch_store_dword off, v4, s32 offset:372 ; 4-byte Folded Spill
.LBB363_56:                             ;   in Loop: Header=BB363_13 Depth=1
	s_or_b64 exec, exec, s[36:37]
	v_bfe_u32 v12, v11, 16, 8
	v_cvt_f32_fp8_sdwa v12, v12 src0_sel:BYTE_0
                                        ; implicit-def: $vgpr4
                                        ; kill: killed $vgpr4
	s_nop 0
	v_mul_f32_e32 v12, v10, v12
	v_and_b32_e32 v13, 0x7f800000, v12
	v_cmp_ne_u32_e32 vcc, s39, v13
	s_and_saveexec_b64 s[36:37], vcc
	s_xor_b64 vcc, exec, s[36:37]
	s_cbranch_execz .LBB363_58
; %bb.57:                               ;   in Loop: Header=BB363_13 Depth=1
	v_bfe_u32 v13, v12, 16, 1
	v_add3_u32 v4, v12, v13, s40
	scratch_store_dword off, v4, s32 offset:376 ; 4-byte Folded Spill
                                        ; implicit-def: $vgpr12
.LBB363_58:                             ;   in Loop: Header=BB363_13 Depth=1
	s_andn2_saveexec_b64 s[36:37], vcc
	s_cbranch_execz .LBB363_60
; %bb.59:                               ;   in Loop: Header=BB363_13 Depth=1
	v_or_b32_e32 v13, 0x10000, v12
	v_cmp_eq_u32_sdwa vcc, v12, v47 src0_sel:WORD_0 src1_sel:DWORD
	s_nop 1
	v_cndmask_b32_e32 v4, v13, v12, vcc
	scratch_store_dword off, v4, s32 offset:376 ; 4-byte Folded Spill
.LBB363_60:                             ;   in Loop: Header=BB363_13 Depth=1
	s_or_b64 exec, exec, s[36:37]
	v_lshrrev_b32_e32 v11, 24, v11
	v_cvt_f32_fp8_sdwa v11, v11 src0_sel:BYTE_0
                                        ; implicit-def: $vgpr4
                                        ; kill: killed $vgpr4
	s_nop 0
	v_mul_f32_e32 v11, v10, v11
	v_and_b32_e32 v12, 0x7f800000, v11
	v_cmp_ne_u32_e32 vcc, s39, v12
	s_and_saveexec_b64 s[36:37], vcc
	s_xor_b64 vcc, exec, s[36:37]
	s_cbranch_execz .LBB363_62
; %bb.61:                               ;   in Loop: Header=BB363_13 Depth=1
	v_bfe_u32 v12, v11, 16, 1
	v_add3_u32 v4, v11, v12, s40
	scratch_store_dword off, v4, s32 offset:380 ; 4-byte Folded Spill
                                        ; implicit-def: $vgpr11
.LBB363_62:                             ;   in Loop: Header=BB363_13 Depth=1
	s_andn2_saveexec_b64 s[36:37], vcc
	s_cbranch_execz .LBB363_64
; %bb.63:                               ;   in Loop: Header=BB363_13 Depth=1
	v_or_b32_e32 v12, 0x10000, v11
	v_cmp_eq_u32_sdwa vcc, v11, v47 src0_sel:WORD_0 src1_sel:DWORD
	s_nop 1
	v_cndmask_b32_e32 v4, v12, v11, vcc
	scratch_store_dword off, v4, s32 offset:380 ; 4-byte Folded Spill
.LBB363_64:                             ;   in Loop: Header=BB363_13 Depth=1
	s_or_b64 exec, exec, s[36:37]
	flat_load_dword v11, v[60:61] offset:520
                                        ; implicit-def: $vgpr4
                                        ; kill: killed $vgpr4
	s_waitcnt vmcnt(0) lgkmcnt(0)
	v_and_b32_e32 v12, 0xff, v11
	v_cvt_f32_fp8_sdwa v12, v12 src0_sel:BYTE_0
	s_nop 0
	v_mul_f32_e32 v12, v10, v12
	v_and_b32_e32 v13, 0x7f800000, v12
	v_cmp_ne_u32_e32 vcc, s39, v13
	s_and_saveexec_b64 s[36:37], vcc
	s_xor_b64 vcc, exec, s[36:37]
	s_cbranch_execz .LBB363_66
; %bb.65:                               ;   in Loop: Header=BB363_13 Depth=1
	v_bfe_u32 v13, v12, 16, 1
	v_add3_u32 v4, v12, v13, s40
	scratch_store_dword off, v4, s32 offset:384 ; 4-byte Folded Spill
                                        ; implicit-def: $vgpr12
.LBB363_66:                             ;   in Loop: Header=BB363_13 Depth=1
	s_andn2_saveexec_b64 s[36:37], vcc
	s_cbranch_execz .LBB363_68
; %bb.67:                               ;   in Loop: Header=BB363_13 Depth=1
	v_or_b32_e32 v13, 0x10000, v12
	v_cmp_eq_u32_sdwa vcc, v12, v47 src0_sel:WORD_0 src1_sel:DWORD
	s_nop 1
	v_cndmask_b32_e32 v4, v13, v12, vcc
	scratch_store_dword off, v4, s32 offset:384 ; 4-byte Folded Spill
.LBB363_68:                             ;   in Loop: Header=BB363_13 Depth=1
	s_or_b64 exec, exec, s[36:37]
	v_bfe_u32 v12, v11, 8, 8
	v_cvt_f32_fp8_sdwa v12, v12 src0_sel:BYTE_0
                                        ; implicit-def: $vgpr4
                                        ; kill: killed $vgpr4
	s_nop 0
	v_mul_f32_e32 v12, v10, v12
	v_and_b32_e32 v13, 0x7f800000, v12
	v_cmp_ne_u32_e32 vcc, s39, v13
	s_and_saveexec_b64 s[36:37], vcc
	s_xor_b64 vcc, exec, s[36:37]
	s_cbranch_execz .LBB363_70
; %bb.69:                               ;   in Loop: Header=BB363_13 Depth=1
	v_bfe_u32 v13, v12, 16, 1
	v_add3_u32 v4, v12, v13, s40
	scratch_store_dword off, v4, s32 offset:388 ; 4-byte Folded Spill
                                        ; implicit-def: $vgpr12
.LBB363_70:                             ;   in Loop: Header=BB363_13 Depth=1
	s_andn2_saveexec_b64 s[36:37], vcc
	s_cbranch_execz .LBB363_72
; %bb.71:                               ;   in Loop: Header=BB363_13 Depth=1
	v_or_b32_e32 v13, 0x10000, v12
	v_cmp_eq_u32_sdwa vcc, v12, v47 src0_sel:WORD_0 src1_sel:DWORD
	s_nop 1
	v_cndmask_b32_e32 v4, v13, v12, vcc
	scratch_store_dword off, v4, s32 offset:388 ; 4-byte Folded Spill
.LBB363_72:                             ;   in Loop: Header=BB363_13 Depth=1
	s_or_b64 exec, exec, s[36:37]
	v_bfe_u32 v12, v11, 16, 8
	v_cvt_f32_fp8_sdwa v12, v12 src0_sel:BYTE_0
                                        ; implicit-def: $vgpr4
                                        ; kill: killed $vgpr4
	s_nop 0
	v_mul_f32_e32 v12, v10, v12
	v_and_b32_e32 v13, 0x7f800000, v12
	v_cmp_ne_u32_e32 vcc, s39, v13
	s_and_saveexec_b64 s[36:37], vcc
	s_xor_b64 vcc, exec, s[36:37]
	s_cbranch_execz .LBB363_74
; %bb.73:                               ;   in Loop: Header=BB363_13 Depth=1
	v_bfe_u32 v13, v12, 16, 1
	v_add3_u32 v4, v12, v13, s40
	scratch_store_dword off, v4, s32 offset:392 ; 4-byte Folded Spill
                                        ; implicit-def: $vgpr12
.LBB363_74:                             ;   in Loop: Header=BB363_13 Depth=1
	s_andn2_saveexec_b64 s[36:37], vcc
	s_cbranch_execz .LBB363_76
; %bb.75:                               ;   in Loop: Header=BB363_13 Depth=1
	v_or_b32_e32 v13, 0x10000, v12
	v_cmp_eq_u32_sdwa vcc, v12, v47 src0_sel:WORD_0 src1_sel:DWORD
	s_nop 1
	v_cndmask_b32_e32 v4, v13, v12, vcc
	scratch_store_dword off, v4, s32 offset:392 ; 4-byte Folded Spill
.LBB363_76:                             ;   in Loop: Header=BB363_13 Depth=1
	s_or_b64 exec, exec, s[36:37]
	v_lshrrev_b32_e32 v11, 24, v11
	v_cvt_f32_fp8_sdwa v11, v11 src0_sel:BYTE_0
                                        ; implicit-def: $vgpr4
                                        ; kill: killed $vgpr4
	s_nop 0
	v_mul_f32_e32 v11, v10, v11
	v_and_b32_e32 v12, 0x7f800000, v11
	v_cmp_ne_u32_e32 vcc, s39, v12
	s_and_saveexec_b64 s[36:37], vcc
	s_xor_b64 vcc, exec, s[36:37]
	s_cbranch_execz .LBB363_78
; %bb.77:                               ;   in Loop: Header=BB363_13 Depth=1
	v_bfe_u32 v12, v11, 16, 1
	v_add3_u32 v4, v11, v12, s40
	scratch_store_dword off, v4, s32 offset:396 ; 4-byte Folded Spill
                                        ; implicit-def: $vgpr11
.LBB363_78:                             ;   in Loop: Header=BB363_13 Depth=1
	s_andn2_saveexec_b64 s[36:37], vcc
	s_cbranch_execz .LBB363_80
; %bb.79:                               ;   in Loop: Header=BB363_13 Depth=1
	v_or_b32_e32 v12, 0x10000, v11
	v_cmp_eq_u32_sdwa vcc, v11, v47 src0_sel:WORD_0 src1_sel:DWORD
	s_nop 1
	v_cndmask_b32_e32 v4, v12, v11, vcc
	scratch_store_dword off, v4, s32 offset:396 ; 4-byte Folded Spill
.LBB363_80:                             ;   in Loop: Header=BB363_13 Depth=1
	s_or_b64 exec, exec, s[36:37]
	flat_load_dword v11, v[60:61] offset:1024
                                        ; implicit-def: $vgpr4
                                        ; kill: killed $vgpr4
	s_waitcnt vmcnt(0) lgkmcnt(0)
	v_and_b32_e32 v12, 0xff, v11
	v_cvt_f32_fp8_sdwa v12, v12 src0_sel:BYTE_0
	s_nop 0
	v_mul_f32_e32 v12, v10, v12
	v_and_b32_e32 v13, 0x7f800000, v12
	v_cmp_ne_u32_e32 vcc, s39, v13
	s_and_saveexec_b64 s[36:37], vcc
	s_xor_b64 vcc, exec, s[36:37]
	s_cbranch_execz .LBB363_82
; %bb.81:                               ;   in Loop: Header=BB363_13 Depth=1
	v_bfe_u32 v13, v12, 16, 1
	v_add3_u32 v4, v12, v13, s40
	scratch_store_dword off, v4, s32 offset:400 ; 4-byte Folded Spill
                                        ; implicit-def: $vgpr12
.LBB363_82:                             ;   in Loop: Header=BB363_13 Depth=1
	s_andn2_saveexec_b64 s[36:37], vcc
	s_cbranch_execz .LBB363_84
; %bb.83:                               ;   in Loop: Header=BB363_13 Depth=1
	v_or_b32_e32 v13, 0x10000, v12
	v_cmp_eq_u32_sdwa vcc, v12, v47 src0_sel:WORD_0 src1_sel:DWORD
	s_nop 1
	v_cndmask_b32_e32 v4, v13, v12, vcc
	scratch_store_dword off, v4, s32 offset:400 ; 4-byte Folded Spill
.LBB363_84:                             ;   in Loop: Header=BB363_13 Depth=1
	s_or_b64 exec, exec, s[36:37]
	v_bfe_u32 v12, v11, 8, 8
	v_cvt_f32_fp8_sdwa v12, v12 src0_sel:BYTE_0
                                        ; implicit-def: $vgpr4
                                        ; kill: killed $vgpr4
	s_nop 0
	v_mul_f32_e32 v12, v10, v12
	v_and_b32_e32 v13, 0x7f800000, v12
	v_cmp_ne_u32_e32 vcc, s39, v13
	s_and_saveexec_b64 s[36:37], vcc
	s_xor_b64 vcc, exec, s[36:37]
	s_cbranch_execz .LBB363_86
; %bb.85:                               ;   in Loop: Header=BB363_13 Depth=1
	v_bfe_u32 v13, v12, 16, 1
	v_add3_u32 v4, v12, v13, s40
	scratch_store_dword off, v4, s32 offset:404 ; 4-byte Folded Spill
                                        ; implicit-def: $vgpr12
.LBB363_86:                             ;   in Loop: Header=BB363_13 Depth=1
	s_andn2_saveexec_b64 s[36:37], vcc
	s_cbranch_execz .LBB363_88
; %bb.87:                               ;   in Loop: Header=BB363_13 Depth=1
	v_or_b32_e32 v13, 0x10000, v12
	v_cmp_eq_u32_sdwa vcc, v12, v47 src0_sel:WORD_0 src1_sel:DWORD
	s_nop 1
	v_cndmask_b32_e32 v4, v13, v12, vcc
	scratch_store_dword off, v4, s32 offset:404 ; 4-byte Folded Spill
.LBB363_88:                             ;   in Loop: Header=BB363_13 Depth=1
	s_or_b64 exec, exec, s[36:37]
	v_bfe_u32 v12, v11, 16, 8
	v_cvt_f32_fp8_sdwa v12, v12 src0_sel:BYTE_0
                                        ; implicit-def: $vgpr4
                                        ; kill: killed $vgpr4
	s_nop 0
	v_mul_f32_e32 v12, v10, v12
	v_and_b32_e32 v13, 0x7f800000, v12
	v_cmp_ne_u32_e32 vcc, s39, v13
	s_and_saveexec_b64 s[36:37], vcc
	s_xor_b64 vcc, exec, s[36:37]
	s_cbranch_execz .LBB363_90
; %bb.89:                               ;   in Loop: Header=BB363_13 Depth=1
	v_bfe_u32 v13, v12, 16, 1
	v_add3_u32 v4, v12, v13, s40
	scratch_store_dword off, v4, s32 offset:408 ; 4-byte Folded Spill
                                        ; implicit-def: $vgpr12
.LBB363_90:                             ;   in Loop: Header=BB363_13 Depth=1
	s_andn2_saveexec_b64 s[36:37], vcc
	s_cbranch_execz .LBB363_92
; %bb.91:                               ;   in Loop: Header=BB363_13 Depth=1
	v_or_b32_e32 v13, 0x10000, v12
	v_cmp_eq_u32_sdwa vcc, v12, v47 src0_sel:WORD_0 src1_sel:DWORD
	s_nop 1
	v_cndmask_b32_e32 v4, v13, v12, vcc
	scratch_store_dword off, v4, s32 offset:408 ; 4-byte Folded Spill
.LBB363_92:                             ;   in Loop: Header=BB363_13 Depth=1
	s_or_b64 exec, exec, s[36:37]
	v_lshrrev_b32_e32 v11, 24, v11
	v_cvt_f32_fp8_sdwa v11, v11 src0_sel:BYTE_0
                                        ; implicit-def: $vgpr4
                                        ; kill: killed $vgpr4
	s_nop 0
	v_mul_f32_e32 v11, v10, v11
	v_and_b32_e32 v12, 0x7f800000, v11
	v_cmp_ne_u32_e32 vcc, s39, v12
	s_and_saveexec_b64 s[36:37], vcc
	s_xor_b64 vcc, exec, s[36:37]
	s_cbranch_execz .LBB363_94
; %bb.93:                               ;   in Loop: Header=BB363_13 Depth=1
	v_bfe_u32 v12, v11, 16, 1
	v_add3_u32 v4, v11, v12, s40
	scratch_store_dword off, v4, s32 offset:412 ; 4-byte Folded Spill
                                        ; implicit-def: $vgpr11
.LBB363_94:                             ;   in Loop: Header=BB363_13 Depth=1
	s_andn2_saveexec_b64 s[36:37], vcc
	s_cbranch_execz .LBB363_96
; %bb.95:                               ;   in Loop: Header=BB363_13 Depth=1
	v_or_b32_e32 v12, 0x10000, v11
	v_cmp_eq_u32_sdwa vcc, v11, v47 src0_sel:WORD_0 src1_sel:DWORD
	s_nop 1
	v_cndmask_b32_e32 v4, v12, v11, vcc
	scratch_store_dword off, v4, s32 offset:412 ; 4-byte Folded Spill
.LBB363_96:                             ;   in Loop: Header=BB363_13 Depth=1
	s_or_b64 exec, exec, s[36:37]
	flat_load_dword v11, v[60:61] offset:1032
                                        ; implicit-def: $vgpr4
                                        ; kill: killed $vgpr4
	s_waitcnt vmcnt(0) lgkmcnt(0)
	v_and_b32_e32 v12, 0xff, v11
	v_cvt_f32_fp8_sdwa v12, v12 src0_sel:BYTE_0
	s_nop 0
	v_mul_f32_e32 v12, v10, v12
	v_and_b32_e32 v13, 0x7f800000, v12
	v_cmp_ne_u32_e32 vcc, s39, v13
	s_and_saveexec_b64 s[36:37], vcc
	s_xor_b64 vcc, exec, s[36:37]
	s_cbranch_execz .LBB363_98
; %bb.97:                               ;   in Loop: Header=BB363_13 Depth=1
	v_bfe_u32 v13, v12, 16, 1
	v_add3_u32 v4, v12, v13, s40
	scratch_store_dword off, v4, s32 offset:416 ; 4-byte Folded Spill
                                        ; implicit-def: $vgpr12
.LBB363_98:                             ;   in Loop: Header=BB363_13 Depth=1
	s_andn2_saveexec_b64 s[36:37], vcc
	s_cbranch_execz .LBB363_100
; %bb.99:                               ;   in Loop: Header=BB363_13 Depth=1
	v_or_b32_e32 v13, 0x10000, v12
	v_cmp_eq_u32_sdwa vcc, v12, v47 src0_sel:WORD_0 src1_sel:DWORD
	s_nop 1
	v_cndmask_b32_e32 v4, v13, v12, vcc
	scratch_store_dword off, v4, s32 offset:416 ; 4-byte Folded Spill
.LBB363_100:                            ;   in Loop: Header=BB363_13 Depth=1
	s_or_b64 exec, exec, s[36:37]
	v_bfe_u32 v12, v11, 8, 8
	v_cvt_f32_fp8_sdwa v12, v12 src0_sel:BYTE_0
                                        ; implicit-def: $vgpr4
                                        ; kill: killed $vgpr4
	s_nop 0
	v_mul_f32_e32 v12, v10, v12
	v_and_b32_e32 v13, 0x7f800000, v12
	v_cmp_ne_u32_e32 vcc, s39, v13
	s_and_saveexec_b64 s[36:37], vcc
	s_xor_b64 vcc, exec, s[36:37]
	s_cbranch_execz .LBB363_102
; %bb.101:                              ;   in Loop: Header=BB363_13 Depth=1
	v_bfe_u32 v13, v12, 16, 1
	v_add3_u32 v4, v12, v13, s40
	scratch_store_dword off, v4, s32 offset:420 ; 4-byte Folded Spill
                                        ; implicit-def: $vgpr12
.LBB363_102:                            ;   in Loop: Header=BB363_13 Depth=1
	s_andn2_saveexec_b64 s[36:37], vcc
	s_cbranch_execz .LBB363_104
; %bb.103:                              ;   in Loop: Header=BB363_13 Depth=1
	v_or_b32_e32 v13, 0x10000, v12
	v_cmp_eq_u32_sdwa vcc, v12, v47 src0_sel:WORD_0 src1_sel:DWORD
	s_nop 1
	v_cndmask_b32_e32 v4, v13, v12, vcc
	scratch_store_dword off, v4, s32 offset:420 ; 4-byte Folded Spill
.LBB363_104:                            ;   in Loop: Header=BB363_13 Depth=1
	s_or_b64 exec, exec, s[36:37]
	v_bfe_u32 v12, v11, 16, 8
	v_cvt_f32_fp8_sdwa v12, v12 src0_sel:BYTE_0
                                        ; implicit-def: $vgpr4
                                        ; kill: killed $vgpr4
	s_nop 0
	v_mul_f32_e32 v12, v10, v12
	v_and_b32_e32 v13, 0x7f800000, v12
	v_cmp_ne_u32_e32 vcc, s39, v13
	s_and_saveexec_b64 s[36:37], vcc
	s_xor_b64 vcc, exec, s[36:37]
	s_cbranch_execz .LBB363_106
; %bb.105:                              ;   in Loop: Header=BB363_13 Depth=1
	v_bfe_u32 v13, v12, 16, 1
	v_add3_u32 v4, v12, v13, s40
	scratch_store_dword off, v4, s32 offset:424 ; 4-byte Folded Spill
                                        ; implicit-def: $vgpr12
.LBB363_106:                            ;   in Loop: Header=BB363_13 Depth=1
	s_andn2_saveexec_b64 s[36:37], vcc
	s_cbranch_execz .LBB363_108
; %bb.107:                              ;   in Loop: Header=BB363_13 Depth=1
	v_or_b32_e32 v13, 0x10000, v12
	v_cmp_eq_u32_sdwa vcc, v12, v47 src0_sel:WORD_0 src1_sel:DWORD
	s_nop 1
	v_cndmask_b32_e32 v4, v13, v12, vcc
	scratch_store_dword off, v4, s32 offset:424 ; 4-byte Folded Spill
.LBB363_108:                            ;   in Loop: Header=BB363_13 Depth=1
	s_or_b64 exec, exec, s[36:37]
	v_lshrrev_b32_e32 v11, 24, v11
	v_cvt_f32_fp8_sdwa v11, v11 src0_sel:BYTE_0
                                        ; implicit-def: $vgpr4
                                        ; kill: killed $vgpr4
	s_nop 0
	v_mul_f32_e32 v11, v10, v11
	v_and_b32_e32 v12, 0x7f800000, v11
	v_cmp_ne_u32_e32 vcc, s39, v12
	s_and_saveexec_b64 s[36:37], vcc
	s_xor_b64 vcc, exec, s[36:37]
	s_cbranch_execz .LBB363_110
; %bb.109:                              ;   in Loop: Header=BB363_13 Depth=1
	v_bfe_u32 v12, v11, 16, 1
	v_add3_u32 v4, v11, v12, s40
	scratch_store_dword off, v4, s32 offset:428 ; 4-byte Folded Spill
                                        ; implicit-def: $vgpr11
.LBB363_110:                            ;   in Loop: Header=BB363_13 Depth=1
	s_andn2_saveexec_b64 s[36:37], vcc
	s_cbranch_execz .LBB363_112
; %bb.111:                              ;   in Loop: Header=BB363_13 Depth=1
	v_or_b32_e32 v12, 0x10000, v11
	v_cmp_eq_u32_sdwa vcc, v11, v47 src0_sel:WORD_0 src1_sel:DWORD
	s_nop 1
	v_cndmask_b32_e32 v4, v12, v11, vcc
	scratch_store_dword off, v4, s32 offset:428 ; 4-byte Folded Spill
.LBB363_112:                            ;   in Loop: Header=BB363_13 Depth=1
	s_or_b64 exec, exec, s[36:37]
	flat_load_dword v11, v[60:61] offset:1536
                                        ; implicit-def: $vgpr4
                                        ; kill: killed $vgpr4
	s_waitcnt vmcnt(0) lgkmcnt(0)
	v_and_b32_e32 v12, 0xff, v11
	v_cvt_f32_fp8_sdwa v12, v12 src0_sel:BYTE_0
	s_nop 0
	v_mul_f32_e32 v12, v10, v12
	v_and_b32_e32 v13, 0x7f800000, v12
	v_cmp_ne_u32_e32 vcc, s39, v13
	s_and_saveexec_b64 s[36:37], vcc
	s_xor_b64 vcc, exec, s[36:37]
	s_cbranch_execz .LBB363_114
; %bb.113:                              ;   in Loop: Header=BB363_13 Depth=1
	v_bfe_u32 v13, v12, 16, 1
	v_add3_u32 v4, v12, v13, s40
	scratch_store_dword off, v4, s32 offset:432 ; 4-byte Folded Spill
                                        ; implicit-def: $vgpr12
.LBB363_114:                            ;   in Loop: Header=BB363_13 Depth=1
	s_andn2_saveexec_b64 s[36:37], vcc
	s_cbranch_execz .LBB363_116
; %bb.115:                              ;   in Loop: Header=BB363_13 Depth=1
	v_or_b32_e32 v13, 0x10000, v12
	v_cmp_eq_u32_sdwa vcc, v12, v47 src0_sel:WORD_0 src1_sel:DWORD
	s_nop 1
	v_cndmask_b32_e32 v4, v13, v12, vcc
	scratch_store_dword off, v4, s32 offset:432 ; 4-byte Folded Spill
.LBB363_116:                            ;   in Loop: Header=BB363_13 Depth=1
	s_or_b64 exec, exec, s[36:37]
	v_bfe_u32 v12, v11, 8, 8
	v_cvt_f32_fp8_sdwa v12, v12 src0_sel:BYTE_0
                                        ; implicit-def: $vgpr4
                                        ; kill: killed $vgpr4
	s_nop 0
	v_mul_f32_e32 v12, v10, v12
	v_and_b32_e32 v13, 0x7f800000, v12
	v_cmp_ne_u32_e32 vcc, s39, v13
	s_and_saveexec_b64 s[36:37], vcc
	s_xor_b64 vcc, exec, s[36:37]
	s_cbranch_execz .LBB363_118
; %bb.117:                              ;   in Loop: Header=BB363_13 Depth=1
	v_bfe_u32 v13, v12, 16, 1
	v_add3_u32 v4, v12, v13, s40
	scratch_store_dword off, v4, s32 offset:436 ; 4-byte Folded Spill
                                        ; implicit-def: $vgpr12
.LBB363_118:                            ;   in Loop: Header=BB363_13 Depth=1
	s_andn2_saveexec_b64 s[36:37], vcc
	s_cbranch_execz .LBB363_120
; %bb.119:                              ;   in Loop: Header=BB363_13 Depth=1
	v_or_b32_e32 v13, 0x10000, v12
	v_cmp_eq_u32_sdwa vcc, v12, v47 src0_sel:WORD_0 src1_sel:DWORD
	s_nop 1
	v_cndmask_b32_e32 v4, v13, v12, vcc
	scratch_store_dword off, v4, s32 offset:436 ; 4-byte Folded Spill
.LBB363_120:                            ;   in Loop: Header=BB363_13 Depth=1
	s_or_b64 exec, exec, s[36:37]
	v_bfe_u32 v12, v11, 16, 8
	v_cvt_f32_fp8_sdwa v12, v12 src0_sel:BYTE_0
                                        ; implicit-def: $vgpr4
                                        ; kill: killed $vgpr4
	s_nop 0
	v_mul_f32_e32 v12, v10, v12
	v_and_b32_e32 v13, 0x7f800000, v12
	v_cmp_ne_u32_e32 vcc, s39, v13
	s_and_saveexec_b64 s[36:37], vcc
	s_xor_b64 vcc, exec, s[36:37]
	s_cbranch_execz .LBB363_122
; %bb.121:                              ;   in Loop: Header=BB363_13 Depth=1
	v_bfe_u32 v13, v12, 16, 1
	v_add3_u32 v4, v12, v13, s40
	scratch_store_dword off, v4, s32 offset:440 ; 4-byte Folded Spill
                                        ; implicit-def: $vgpr12
.LBB363_122:                            ;   in Loop: Header=BB363_13 Depth=1
	s_andn2_saveexec_b64 s[36:37], vcc
	s_cbranch_execz .LBB363_124
; %bb.123:                              ;   in Loop: Header=BB363_13 Depth=1
	v_or_b32_e32 v13, 0x10000, v12
	v_cmp_eq_u32_sdwa vcc, v12, v47 src0_sel:WORD_0 src1_sel:DWORD
	s_nop 1
	v_cndmask_b32_e32 v4, v13, v12, vcc
	scratch_store_dword off, v4, s32 offset:440 ; 4-byte Folded Spill
.LBB363_124:                            ;   in Loop: Header=BB363_13 Depth=1
	s_or_b64 exec, exec, s[36:37]
	v_lshrrev_b32_e32 v11, 24, v11
	v_cvt_f32_fp8_sdwa v11, v11 src0_sel:BYTE_0
                                        ; implicit-def: $vgpr4
                                        ; kill: killed $vgpr4
	s_nop 0
	v_mul_f32_e32 v11, v10, v11
	v_and_b32_e32 v12, 0x7f800000, v11
	v_cmp_ne_u32_e32 vcc, s39, v12
	s_and_saveexec_b64 s[36:37], vcc
	s_xor_b64 vcc, exec, s[36:37]
	s_cbranch_execz .LBB363_126
; %bb.125:                              ;   in Loop: Header=BB363_13 Depth=1
	v_bfe_u32 v12, v11, 16, 1
	v_add3_u32 v4, v11, v12, s40
	scratch_store_dword off, v4, s32 offset:444 ; 4-byte Folded Spill
                                        ; implicit-def: $vgpr11
.LBB363_126:                            ;   in Loop: Header=BB363_13 Depth=1
	s_andn2_saveexec_b64 s[36:37], vcc
	s_cbranch_execz .LBB363_128
; %bb.127:                              ;   in Loop: Header=BB363_13 Depth=1
	v_or_b32_e32 v12, 0x10000, v11
	v_cmp_eq_u32_sdwa vcc, v11, v47 src0_sel:WORD_0 src1_sel:DWORD
	s_nop 1
	v_cndmask_b32_e32 v4, v12, v11, vcc
	scratch_store_dword off, v4, s32 offset:444 ; 4-byte Folded Spill
.LBB363_128:                            ;   in Loop: Header=BB363_13 Depth=1
	s_or_b64 exec, exec, s[36:37]
	flat_load_dword v11, v[60:61] offset:1544
                                        ; implicit-def: $vgpr4
                                        ; kill: killed $vgpr4
	s_waitcnt vmcnt(0) lgkmcnt(0)
	v_and_b32_e32 v12, 0xff, v11
	v_cvt_f32_fp8_sdwa v12, v12 src0_sel:BYTE_0
	s_nop 0
	v_mul_f32_e32 v12, v10, v12
	v_and_b32_e32 v13, 0x7f800000, v12
	v_cmp_ne_u32_e32 vcc, s39, v13
	s_and_saveexec_b64 s[36:37], vcc
	s_xor_b64 vcc, exec, s[36:37]
	s_cbranch_execz .LBB363_130
; %bb.129:                              ;   in Loop: Header=BB363_13 Depth=1
	v_bfe_u32 v13, v12, 16, 1
	v_add3_u32 v4, v12, v13, s40
	scratch_store_dword off, v4, s32 offset:448 ; 4-byte Folded Spill
                                        ; implicit-def: $vgpr12
.LBB363_130:                            ;   in Loop: Header=BB363_13 Depth=1
	s_andn2_saveexec_b64 s[36:37], vcc
	s_cbranch_execz .LBB363_132
; %bb.131:                              ;   in Loop: Header=BB363_13 Depth=1
	v_or_b32_e32 v13, 0x10000, v12
	v_cmp_eq_u32_sdwa vcc, v12, v47 src0_sel:WORD_0 src1_sel:DWORD
	s_nop 1
	v_cndmask_b32_e32 v4, v13, v12, vcc
	scratch_store_dword off, v4, s32 offset:448 ; 4-byte Folded Spill
.LBB363_132:                            ;   in Loop: Header=BB363_13 Depth=1
	s_or_b64 exec, exec, s[36:37]
	v_bfe_u32 v12, v11, 8, 8
	v_cvt_f32_fp8_sdwa v12, v12 src0_sel:BYTE_0
                                        ; implicit-def: $vgpr4
                                        ; kill: killed $vgpr4
	s_nop 0
	v_mul_f32_e32 v12, v10, v12
	v_and_b32_e32 v13, 0x7f800000, v12
	v_cmp_ne_u32_e32 vcc, s39, v13
	s_and_saveexec_b64 s[36:37], vcc
	s_xor_b64 vcc, exec, s[36:37]
	s_cbranch_execz .LBB363_134
; %bb.133:                              ;   in Loop: Header=BB363_13 Depth=1
	v_bfe_u32 v13, v12, 16, 1
	v_add3_u32 v4, v12, v13, s40
	scratch_store_dword off, v4, s32 offset:452 ; 4-byte Folded Spill
                                        ; implicit-def: $vgpr12
.LBB363_134:                            ;   in Loop: Header=BB363_13 Depth=1
	s_andn2_saveexec_b64 s[36:37], vcc
	s_cbranch_execz .LBB363_136
; %bb.135:                              ;   in Loop: Header=BB363_13 Depth=1
	v_or_b32_e32 v13, 0x10000, v12
	v_cmp_eq_u32_sdwa vcc, v12, v47 src0_sel:WORD_0 src1_sel:DWORD
	s_nop 1
	v_cndmask_b32_e32 v4, v13, v12, vcc
	scratch_store_dword off, v4, s32 offset:452 ; 4-byte Folded Spill
.LBB363_136:                            ;   in Loop: Header=BB363_13 Depth=1
	s_or_b64 exec, exec, s[36:37]
	v_bfe_u32 v12, v11, 16, 8
	v_cvt_f32_fp8_sdwa v12, v12 src0_sel:BYTE_0
                                        ; implicit-def: $agpr4
	s_nop 0
	v_mul_f32_e32 v12, v10, v12
	v_and_b32_e32 v13, 0x7f800000, v12
	v_cmp_ne_u32_e32 vcc, s39, v13
	s_and_saveexec_b64 s[36:37], vcc
	s_xor_b64 vcc, exec, s[36:37]
; %bb.137:                              ;   in Loop: Header=BB363_13 Depth=1
	v_bfe_u32 v13, v12, 16, 1
	v_add3_u32 v4, v12, v13, s40
	v_accvgpr_write_b32 a4, v4
                                        ; implicit-def: $vgpr12
; %bb.138:                              ;   in Loop: Header=BB363_13 Depth=1
	s_andn2_saveexec_b64 s[36:37], vcc
; %bb.139:                              ;   in Loop: Header=BB363_13 Depth=1
	v_or_b32_e32 v13, 0x10000, v12
	v_cmp_eq_u32_sdwa vcc, v12, v47 src0_sel:WORD_0 src1_sel:DWORD
	s_nop 1
	v_cndmask_b32_e32 v4, v13, v12, vcc
	v_accvgpr_write_b32 a4, v4
; %bb.140:                              ;   in Loop: Header=BB363_13 Depth=1
	s_or_b64 exec, exec, s[36:37]
	v_lshrrev_b32_e32 v11, 24, v11
	v_cvt_f32_fp8_sdwa v11, v11 src0_sel:BYTE_0
                                        ; implicit-def: $agpr5
	s_nop 0
	v_mul_f32_e32 v11, v10, v11
	v_and_b32_e32 v12, 0x7f800000, v11
	v_cmp_ne_u32_e32 vcc, s39, v12
	s_and_saveexec_b64 s[36:37], vcc
	s_xor_b64 vcc, exec, s[36:37]
; %bb.141:                              ;   in Loop: Header=BB363_13 Depth=1
	v_bfe_u32 v12, v11, 16, 1
	v_add3_u32 v4, v11, v12, s40
	v_accvgpr_write_b32 a5, v4
                                        ; implicit-def: $vgpr11
; %bb.142:                              ;   in Loop: Header=BB363_13 Depth=1
	s_andn2_saveexec_b64 s[36:37], vcc
; %bb.143:                              ;   in Loop: Header=BB363_13 Depth=1
	v_or_b32_e32 v12, 0x10000, v11
	v_cmp_eq_u32_sdwa vcc, v11, v47 src0_sel:WORD_0 src1_sel:DWORD
	s_nop 1
	v_cndmask_b32_e32 v4, v12, v11, vcc
	v_accvgpr_write_b32 a5, v4
; %bb.144:                              ;   in Loop: Header=BB363_13 Depth=1
	s_or_b64 exec, exec, s[36:37]
	flat_load_dword v11, v[60:61] offset:2048
                                        ; implicit-def: $agpr2
	s_waitcnt vmcnt(0) lgkmcnt(0)
	v_and_b32_e32 v12, 0xff, v11
	v_cvt_f32_fp8_sdwa v12, v12 src0_sel:BYTE_0
	s_nop 0
	v_mul_f32_e32 v12, v10, v12
	v_and_b32_e32 v13, 0x7f800000, v12
	v_cmp_ne_u32_e32 vcc, s39, v13
	s_and_saveexec_b64 s[36:37], vcc
	s_xor_b64 vcc, exec, s[36:37]
; %bb.145:                              ;   in Loop: Header=BB363_13 Depth=1
	v_bfe_u32 v13, v12, 16, 1
	v_add3_u32 v4, v12, v13, s40
	v_accvgpr_write_b32 a2, v4
                                        ; implicit-def: $vgpr12
; %bb.146:                              ;   in Loop: Header=BB363_13 Depth=1
	s_andn2_saveexec_b64 s[36:37], vcc
; %bb.147:                              ;   in Loop: Header=BB363_13 Depth=1
	v_or_b32_e32 v13, 0x10000, v12
	v_cmp_eq_u32_sdwa vcc, v12, v47 src0_sel:WORD_0 src1_sel:DWORD
	s_nop 1
	v_cndmask_b32_e32 v4, v13, v12, vcc
	v_accvgpr_write_b32 a2, v4
; %bb.148:                              ;   in Loop: Header=BB363_13 Depth=1
	s_or_b64 exec, exec, s[36:37]
	v_bfe_u32 v12, v11, 8, 8
	v_cvt_f32_fp8_sdwa v12, v12 src0_sel:BYTE_0
                                        ; implicit-def: $agpr0
	s_nop 0
	v_mul_f32_e32 v12, v10, v12
	v_and_b32_e32 v13, 0x7f800000, v12
	v_cmp_ne_u32_e32 vcc, s39, v13
	s_and_saveexec_b64 s[36:37], vcc
	s_xor_b64 vcc, exec, s[36:37]
; %bb.149:                              ;   in Loop: Header=BB363_13 Depth=1
	v_bfe_u32 v13, v12, 16, 1
	v_add3_u32 v4, v12, v13, s40
	v_accvgpr_write_b32 a0, v4
                                        ; implicit-def: $vgpr12
; %bb.150:                              ;   in Loop: Header=BB363_13 Depth=1
	s_andn2_saveexec_b64 s[36:37], vcc
; %bb.151:                              ;   in Loop: Header=BB363_13 Depth=1
	v_or_b32_e32 v13, 0x10000, v12
	v_cmp_eq_u32_sdwa vcc, v12, v47 src0_sel:WORD_0 src1_sel:DWORD
	s_nop 1
	v_cndmask_b32_e32 v4, v13, v12, vcc
	v_accvgpr_write_b32 a0, v4
; %bb.152:                              ;   in Loop: Header=BB363_13 Depth=1
	s_or_b64 exec, exec, s[36:37]
	v_bfe_u32 v12, v11, 16, 8
	v_cvt_f32_fp8_sdwa v12, v12 src0_sel:BYTE_0
                                        ; implicit-def: $agpr1
	s_nop 0
	v_mul_f32_e32 v12, v10, v12
	v_and_b32_e32 v13, 0x7f800000, v12
	v_cmp_ne_u32_e32 vcc, s39, v13
	s_and_saveexec_b64 s[36:37], vcc
	s_xor_b64 vcc, exec, s[36:37]
; %bb.153:                              ;   in Loop: Header=BB363_13 Depth=1
	v_bfe_u32 v13, v12, 16, 1
	v_add3_u32 v4, v12, v13, s40
	v_accvgpr_write_b32 a1, v4
                                        ; implicit-def: $vgpr12
; %bb.154:                              ;   in Loop: Header=BB363_13 Depth=1
	s_andn2_saveexec_b64 s[36:37], vcc
; %bb.155:                              ;   in Loop: Header=BB363_13 Depth=1
	v_or_b32_e32 v13, 0x10000, v12
	v_cmp_eq_u32_sdwa vcc, v12, v47 src0_sel:WORD_0 src1_sel:DWORD
	s_nop 1
	v_cndmask_b32_e32 v4, v13, v12, vcc
	v_accvgpr_write_b32 a1, v4
; %bb.156:                              ;   in Loop: Header=BB363_13 Depth=1
	s_or_b64 exec, exec, s[36:37]
	v_lshrrev_b32_e32 v11, 24, v11
	v_cvt_f32_fp8_sdwa v11, v11 src0_sel:BYTE_0
                                        ; implicit-def: $agpr30
	s_nop 0
	v_mul_f32_e32 v11, v10, v11
	v_and_b32_e32 v12, 0x7f800000, v11
	v_cmp_ne_u32_e32 vcc, s39, v12
	s_and_saveexec_b64 s[36:37], vcc
	s_xor_b64 vcc, exec, s[36:37]
; %bb.157:                              ;   in Loop: Header=BB363_13 Depth=1
	v_bfe_u32 v12, v11, 16, 1
	v_add3_u32 v4, v11, v12, s40
	v_accvgpr_write_b32 a30, v4
                                        ; implicit-def: $vgpr11
; %bb.158:                              ;   in Loop: Header=BB363_13 Depth=1
	s_andn2_saveexec_b64 s[36:37], vcc
; %bb.159:                              ;   in Loop: Header=BB363_13 Depth=1
	v_or_b32_e32 v12, 0x10000, v11
	v_cmp_eq_u32_sdwa vcc, v11, v47 src0_sel:WORD_0 src1_sel:DWORD
	s_nop 1
	v_cndmask_b32_e32 v4, v12, v11, vcc
	v_accvgpr_write_b32 a30, v4
; %bb.160:                              ;   in Loop: Header=BB363_13 Depth=1
	s_or_b64 exec, exec, s[36:37]
	flat_load_dword v11, v[60:61] offset:2056
                                        ; implicit-def: $agpr37
	s_waitcnt vmcnt(0) lgkmcnt(0)
	v_and_b32_e32 v12, 0xff, v11
	v_cvt_f32_fp8_sdwa v12, v12 src0_sel:BYTE_0
	s_nop 0
	v_mul_f32_e32 v12, v10, v12
	v_and_b32_e32 v13, 0x7f800000, v12
	v_cmp_ne_u32_e32 vcc, s39, v13
	s_and_saveexec_b64 s[36:37], vcc
	s_xor_b64 vcc, exec, s[36:37]
; %bb.161:                              ;   in Loop: Header=BB363_13 Depth=1
	v_bfe_u32 v13, v12, 16, 1
	v_add3_u32 v4, v12, v13, s40
	v_accvgpr_write_b32 a37, v4
                                        ; implicit-def: $vgpr12
; %bb.162:                              ;   in Loop: Header=BB363_13 Depth=1
	s_andn2_saveexec_b64 s[36:37], vcc
; %bb.163:                              ;   in Loop: Header=BB363_13 Depth=1
	v_or_b32_e32 v13, 0x10000, v12
	v_cmp_eq_u32_sdwa vcc, v12, v47 src0_sel:WORD_0 src1_sel:DWORD
	s_nop 1
	v_cndmask_b32_e32 v4, v13, v12, vcc
	v_accvgpr_write_b32 a37, v4
; %bb.164:                              ;   in Loop: Header=BB363_13 Depth=1
	s_or_b64 exec, exec, s[36:37]
	v_bfe_u32 v12, v11, 8, 8
	v_cvt_f32_fp8_sdwa v12, v12 src0_sel:BYTE_0
                                        ; implicit-def: $agpr40
	s_nop 0
	v_mul_f32_e32 v12, v10, v12
	v_and_b32_e32 v13, 0x7f800000, v12
	v_cmp_ne_u32_e32 vcc, s39, v13
	s_and_saveexec_b64 s[36:37], vcc
	s_xor_b64 vcc, exec, s[36:37]
; %bb.165:                              ;   in Loop: Header=BB363_13 Depth=1
	v_bfe_u32 v13, v12, 16, 1
	v_add3_u32 v4, v12, v13, s40
	v_accvgpr_write_b32 a40, v4
                                        ; implicit-def: $vgpr12
; %bb.166:                              ;   in Loop: Header=BB363_13 Depth=1
	s_andn2_saveexec_b64 s[36:37], vcc
; %bb.167:                              ;   in Loop: Header=BB363_13 Depth=1
	v_or_b32_e32 v13, 0x10000, v12
	v_cmp_eq_u32_sdwa vcc, v12, v47 src0_sel:WORD_0 src1_sel:DWORD
	s_nop 1
	v_cndmask_b32_e32 v4, v13, v12, vcc
	v_accvgpr_write_b32 a40, v4
; %bb.168:                              ;   in Loop: Header=BB363_13 Depth=1
	s_or_b64 exec, exec, s[36:37]
	v_bfe_u32 v12, v11, 16, 8
	v_cvt_f32_fp8_sdwa v12, v12 src0_sel:BYTE_0
                                        ; implicit-def: $agpr25
	s_nop 0
	v_mul_f32_e32 v12, v10, v12
	v_and_b32_e32 v13, 0x7f800000, v12
	v_cmp_ne_u32_e32 vcc, s39, v13
	s_and_saveexec_b64 s[36:37], vcc
	s_xor_b64 vcc, exec, s[36:37]
; %bb.169:                              ;   in Loop: Header=BB363_13 Depth=1
	v_bfe_u32 v13, v12, 16, 1
	v_add3_u32 v4, v12, v13, s40
	v_accvgpr_write_b32 a25, v4
                                        ; implicit-def: $vgpr12
; %bb.170:                              ;   in Loop: Header=BB363_13 Depth=1
	s_andn2_saveexec_b64 s[36:37], vcc
; %bb.171:                              ;   in Loop: Header=BB363_13 Depth=1
	v_or_b32_e32 v13, 0x10000, v12
	v_cmp_eq_u32_sdwa vcc, v12, v47 src0_sel:WORD_0 src1_sel:DWORD
	s_nop 1
	v_cndmask_b32_e32 v4, v13, v12, vcc
	v_accvgpr_write_b32 a25, v4
; %bb.172:                              ;   in Loop: Header=BB363_13 Depth=1
	s_or_b64 exec, exec, s[36:37]
	v_lshrrev_b32_e32 v11, 24, v11
	v_cvt_f32_fp8_sdwa v11, v11 src0_sel:BYTE_0
                                        ; implicit-def: $agpr34
	s_nop 0
	v_mul_f32_e32 v11, v10, v11
	v_and_b32_e32 v12, 0x7f800000, v11
	v_cmp_ne_u32_e32 vcc, s39, v12
	s_and_saveexec_b64 s[36:37], vcc
	s_xor_b64 vcc, exec, s[36:37]
; %bb.173:                              ;   in Loop: Header=BB363_13 Depth=1
	v_bfe_u32 v12, v11, 16, 1
	v_add3_u32 v4, v11, v12, s40
	v_accvgpr_write_b32 a34, v4
                                        ; implicit-def: $vgpr11
; %bb.174:                              ;   in Loop: Header=BB363_13 Depth=1
	s_andn2_saveexec_b64 s[36:37], vcc
; %bb.175:                              ;   in Loop: Header=BB363_13 Depth=1
	v_or_b32_e32 v12, 0x10000, v11
	v_cmp_eq_u32_sdwa vcc, v11, v47 src0_sel:WORD_0 src1_sel:DWORD
	s_nop 1
	v_cndmask_b32_e32 v4, v12, v11, vcc
	v_accvgpr_write_b32 a34, v4
; %bb.176:                              ;   in Loop: Header=BB363_13 Depth=1
	s_or_b64 exec, exec, s[36:37]
	flat_load_dword v11, v[60:61] offset:2560
                                        ; implicit-def: $agpr31
	s_waitcnt vmcnt(0) lgkmcnt(0)
	v_and_b32_e32 v12, 0xff, v11
	v_cvt_f32_fp8_sdwa v12, v12 src0_sel:BYTE_0
	s_nop 0
	v_mul_f32_e32 v12, v10, v12
	v_and_b32_e32 v13, 0x7f800000, v12
	v_cmp_ne_u32_e32 vcc, s39, v13
	s_and_saveexec_b64 s[36:37], vcc
	s_xor_b64 vcc, exec, s[36:37]
; %bb.177:                              ;   in Loop: Header=BB363_13 Depth=1
	v_bfe_u32 v13, v12, 16, 1
	v_add3_u32 v4, v12, v13, s40
	v_accvgpr_write_b32 a31, v4
                                        ; implicit-def: $vgpr12
; %bb.178:                              ;   in Loop: Header=BB363_13 Depth=1
	s_andn2_saveexec_b64 s[36:37], vcc
; %bb.179:                              ;   in Loop: Header=BB363_13 Depth=1
	v_or_b32_e32 v13, 0x10000, v12
	v_cmp_eq_u32_sdwa vcc, v12, v47 src0_sel:WORD_0 src1_sel:DWORD
	s_nop 1
	v_cndmask_b32_e32 v4, v13, v12, vcc
	v_accvgpr_write_b32 a31, v4
; %bb.180:                              ;   in Loop: Header=BB363_13 Depth=1
	s_or_b64 exec, exec, s[36:37]
	v_bfe_u32 v12, v11, 8, 8
	v_cvt_f32_fp8_sdwa v12, v12 src0_sel:BYTE_0
                                        ; implicit-def: $agpr32
	s_nop 0
	v_mul_f32_e32 v12, v10, v12
	v_and_b32_e32 v13, 0x7f800000, v12
	v_cmp_ne_u32_e32 vcc, s39, v13
	s_and_saveexec_b64 s[36:37], vcc
	s_xor_b64 vcc, exec, s[36:37]
; %bb.181:                              ;   in Loop: Header=BB363_13 Depth=1
	v_bfe_u32 v13, v12, 16, 1
	v_add3_u32 v4, v12, v13, s40
	v_accvgpr_write_b32 a32, v4
                                        ; implicit-def: $vgpr12
; %bb.182:                              ;   in Loop: Header=BB363_13 Depth=1
	s_andn2_saveexec_b64 s[36:37], vcc
; %bb.183:                              ;   in Loop: Header=BB363_13 Depth=1
	v_or_b32_e32 v13, 0x10000, v12
	v_cmp_eq_u32_sdwa vcc, v12, v47 src0_sel:WORD_0 src1_sel:DWORD
	s_nop 1
	v_cndmask_b32_e32 v4, v13, v12, vcc
	v_accvgpr_write_b32 a32, v4
; %bb.184:                              ;   in Loop: Header=BB363_13 Depth=1
	s_or_b64 exec, exec, s[36:37]
	v_bfe_u32 v12, v11, 16, 8
	v_cvt_f32_fp8_sdwa v12, v12 src0_sel:BYTE_0
                                        ; implicit-def: $agpr33
	s_nop 0
	v_mul_f32_e32 v12, v10, v12
	v_and_b32_e32 v13, 0x7f800000, v12
	v_cmp_ne_u32_e32 vcc, s39, v13
	s_and_saveexec_b64 s[36:37], vcc
	s_xor_b64 vcc, exec, s[36:37]
; %bb.185:                              ;   in Loop: Header=BB363_13 Depth=1
	v_bfe_u32 v13, v12, 16, 1
	v_add3_u32 v4, v12, v13, s40
	v_accvgpr_write_b32 a33, v4
                                        ; implicit-def: $vgpr12
; %bb.186:                              ;   in Loop: Header=BB363_13 Depth=1
	s_andn2_saveexec_b64 s[36:37], vcc
; %bb.187:                              ;   in Loop: Header=BB363_13 Depth=1
	v_or_b32_e32 v13, 0x10000, v12
	v_cmp_eq_u32_sdwa vcc, v12, v47 src0_sel:WORD_0 src1_sel:DWORD
	s_nop 1
	v_cndmask_b32_e32 v4, v13, v12, vcc
	v_accvgpr_write_b32 a33, v4
; %bb.188:                              ;   in Loop: Header=BB363_13 Depth=1
	s_or_b64 exec, exec, s[36:37]
	v_lshrrev_b32_e32 v11, 24, v11
	v_cvt_f32_fp8_sdwa v11, v11 src0_sel:BYTE_0
                                        ; implicit-def: $agpr28
	s_nop 0
	v_mul_f32_e32 v11, v10, v11
	v_and_b32_e32 v12, 0x7f800000, v11
	v_cmp_ne_u32_e32 vcc, s39, v12
	s_and_saveexec_b64 s[36:37], vcc
	s_xor_b64 vcc, exec, s[36:37]
; %bb.189:                              ;   in Loop: Header=BB363_13 Depth=1
	v_bfe_u32 v12, v11, 16, 1
	v_add3_u32 v4, v11, v12, s40
	v_accvgpr_write_b32 a28, v4
                                        ; implicit-def: $vgpr11
; %bb.190:                              ;   in Loop: Header=BB363_13 Depth=1
	s_andn2_saveexec_b64 s[36:37], vcc
; %bb.191:                              ;   in Loop: Header=BB363_13 Depth=1
	v_or_b32_e32 v12, 0x10000, v11
	v_cmp_eq_u32_sdwa vcc, v11, v47 src0_sel:WORD_0 src1_sel:DWORD
	s_nop 1
	v_cndmask_b32_e32 v4, v12, v11, vcc
	v_accvgpr_write_b32 a28, v4
; %bb.192:                              ;   in Loop: Header=BB363_13 Depth=1
	s_or_b64 exec, exec, s[36:37]
	flat_load_dword v11, v[60:61] offset:2568
                                        ; implicit-def: $agpr8
	s_waitcnt vmcnt(0) lgkmcnt(0)
	v_and_b32_e32 v12, 0xff, v11
	v_cvt_f32_fp8_sdwa v12, v12 src0_sel:BYTE_0
	s_nop 0
	v_mul_f32_e32 v12, v10, v12
	v_and_b32_e32 v13, 0x7f800000, v12
	v_cmp_ne_u32_e32 vcc, s39, v13
	s_and_saveexec_b64 s[36:37], vcc
	s_xor_b64 vcc, exec, s[36:37]
; %bb.193:                              ;   in Loop: Header=BB363_13 Depth=1
	v_bfe_u32 v13, v12, 16, 1
	v_add3_u32 v4, v12, v13, s40
	v_accvgpr_write_b32 a8, v4
                                        ; implicit-def: $vgpr12
; %bb.194:                              ;   in Loop: Header=BB363_13 Depth=1
	s_andn2_saveexec_b64 s[36:37], vcc
; %bb.195:                              ;   in Loop: Header=BB363_13 Depth=1
	v_or_b32_e32 v13, 0x10000, v12
	v_cmp_eq_u32_sdwa vcc, v12, v47 src0_sel:WORD_0 src1_sel:DWORD
	s_nop 1
	v_cndmask_b32_e32 v4, v13, v12, vcc
	v_accvgpr_write_b32 a8, v4
; %bb.196:                              ;   in Loop: Header=BB363_13 Depth=1
	s_or_b64 exec, exec, s[36:37]
	v_bfe_u32 v12, v11, 8, 8
	v_cvt_f32_fp8_sdwa v12, v12 src0_sel:BYTE_0
                                        ; implicit-def: $agpr24
	s_nop 0
	v_mul_f32_e32 v12, v10, v12
	v_and_b32_e32 v13, 0x7f800000, v12
	v_cmp_ne_u32_e32 vcc, s39, v13
	s_and_saveexec_b64 s[36:37], vcc
	s_xor_b64 vcc, exec, s[36:37]
; %bb.197:                              ;   in Loop: Header=BB363_13 Depth=1
	v_bfe_u32 v13, v12, 16, 1
	v_add3_u32 v4, v12, v13, s40
	v_accvgpr_write_b32 a24, v4
                                        ; implicit-def: $vgpr12
; %bb.198:                              ;   in Loop: Header=BB363_13 Depth=1
	s_andn2_saveexec_b64 s[36:37], vcc
; %bb.199:                              ;   in Loop: Header=BB363_13 Depth=1
	v_or_b32_e32 v13, 0x10000, v12
	v_cmp_eq_u32_sdwa vcc, v12, v47 src0_sel:WORD_0 src1_sel:DWORD
	s_nop 1
	v_cndmask_b32_e32 v4, v13, v12, vcc
	v_accvgpr_write_b32 a24, v4
; %bb.200:                              ;   in Loop: Header=BB363_13 Depth=1
	s_or_b64 exec, exec, s[36:37]
	v_bfe_u32 v12, v11, 16, 8
	v_cvt_f32_fp8_sdwa v12, v12 src0_sel:BYTE_0
                                        ; implicit-def: $agpr29
	s_nop 0
	v_mul_f32_e32 v12, v10, v12
	v_and_b32_e32 v13, 0x7f800000, v12
	v_cmp_ne_u32_e32 vcc, s39, v13
	s_and_saveexec_b64 s[36:37], vcc
	s_xor_b64 vcc, exec, s[36:37]
; %bb.201:                              ;   in Loop: Header=BB363_13 Depth=1
	v_bfe_u32 v13, v12, 16, 1
	v_add3_u32 v4, v12, v13, s40
	v_accvgpr_write_b32 a29, v4
                                        ; implicit-def: $vgpr12
; %bb.202:                              ;   in Loop: Header=BB363_13 Depth=1
	s_andn2_saveexec_b64 s[36:37], vcc
; %bb.203:                              ;   in Loop: Header=BB363_13 Depth=1
	v_or_b32_e32 v13, 0x10000, v12
	v_cmp_eq_u32_sdwa vcc, v12, v47 src0_sel:WORD_0 src1_sel:DWORD
	s_nop 1
	v_cndmask_b32_e32 v4, v13, v12, vcc
	v_accvgpr_write_b32 a29, v4
; %bb.204:                              ;   in Loop: Header=BB363_13 Depth=1
	s_or_b64 exec, exec, s[36:37]
	v_lshrrev_b32_e32 v11, 24, v11
	v_cvt_f32_fp8_sdwa v11, v11 src0_sel:BYTE_0
                                        ; implicit-def: $agpr36
	s_nop 0
	v_mul_f32_e32 v11, v10, v11
	v_and_b32_e32 v12, 0x7f800000, v11
	v_cmp_ne_u32_e32 vcc, s39, v12
	s_and_saveexec_b64 s[36:37], vcc
	s_xor_b64 vcc, exec, s[36:37]
; %bb.205:                              ;   in Loop: Header=BB363_13 Depth=1
	v_bfe_u32 v12, v11, 16, 1
	v_add3_u32 v4, v11, v12, s40
	v_accvgpr_write_b32 a36, v4
                                        ; implicit-def: $vgpr11
; %bb.206:                              ;   in Loop: Header=BB363_13 Depth=1
	s_andn2_saveexec_b64 s[36:37], vcc
; %bb.207:                              ;   in Loop: Header=BB363_13 Depth=1
	v_or_b32_e32 v12, 0x10000, v11
	v_cmp_eq_u32_sdwa vcc, v11, v47 src0_sel:WORD_0 src1_sel:DWORD
	s_nop 1
	v_cndmask_b32_e32 v4, v12, v11, vcc
	v_accvgpr_write_b32 a36, v4
; %bb.208:                              ;   in Loop: Header=BB363_13 Depth=1
	s_or_b64 exec, exec, s[36:37]
	flat_load_dword v11, v[60:61] offset:3072
                                        ; implicit-def: $agpr10
	s_waitcnt vmcnt(0) lgkmcnt(0)
	v_and_b32_e32 v12, 0xff, v11
	v_cvt_f32_fp8_sdwa v12, v12 src0_sel:BYTE_0
	s_nop 0
	v_mul_f32_e32 v12, v10, v12
	v_and_b32_e32 v13, 0x7f800000, v12
	v_cmp_ne_u32_e32 vcc, s39, v13
	s_and_saveexec_b64 s[36:37], vcc
	s_xor_b64 vcc, exec, s[36:37]
; %bb.209:                              ;   in Loop: Header=BB363_13 Depth=1
	v_bfe_u32 v13, v12, 16, 1
	v_add3_u32 v4, v12, v13, s40
	v_accvgpr_write_b32 a10, v4
                                        ; implicit-def: $vgpr12
; %bb.210:                              ;   in Loop: Header=BB363_13 Depth=1
	s_andn2_saveexec_b64 s[36:37], vcc
; %bb.211:                              ;   in Loop: Header=BB363_13 Depth=1
	v_or_b32_e32 v13, 0x10000, v12
	v_cmp_eq_u32_sdwa vcc, v12, v47 src0_sel:WORD_0 src1_sel:DWORD
	s_nop 1
	v_cndmask_b32_e32 v4, v13, v12, vcc
	v_accvgpr_write_b32 a10, v4
; %bb.212:                              ;   in Loop: Header=BB363_13 Depth=1
	s_or_b64 exec, exec, s[36:37]
	v_bfe_u32 v12, v11, 8, 8
	v_cvt_f32_fp8_sdwa v12, v12 src0_sel:BYTE_0
                                        ; implicit-def: $agpr3
	s_nop 0
	v_mul_f32_e32 v12, v10, v12
	v_and_b32_e32 v13, 0x7f800000, v12
	v_cmp_ne_u32_e32 vcc, s39, v13
	s_and_saveexec_b64 s[36:37], vcc
	s_xor_b64 vcc, exec, s[36:37]
; %bb.213:                              ;   in Loop: Header=BB363_13 Depth=1
	v_bfe_u32 v13, v12, 16, 1
	v_add3_u32 v4, v12, v13, s40
	v_accvgpr_write_b32 a3, v4
                                        ; implicit-def: $vgpr12
; %bb.214:                              ;   in Loop: Header=BB363_13 Depth=1
	s_andn2_saveexec_b64 s[36:37], vcc
; %bb.215:                              ;   in Loop: Header=BB363_13 Depth=1
	v_or_b32_e32 v13, 0x10000, v12
	v_cmp_eq_u32_sdwa vcc, v12, v47 src0_sel:WORD_0 src1_sel:DWORD
	s_nop 1
	v_cndmask_b32_e32 v4, v13, v12, vcc
	v_accvgpr_write_b32 a3, v4
; %bb.216:                              ;   in Loop: Header=BB363_13 Depth=1
	s_or_b64 exec, exec, s[36:37]
	v_bfe_u32 v12, v11, 16, 8
	v_cvt_f32_fp8_sdwa v12, v12 src0_sel:BYTE_0
                                        ; implicit-def: $agpr6
	s_nop 0
	v_mul_f32_e32 v12, v10, v12
	v_and_b32_e32 v13, 0x7f800000, v12
	v_cmp_ne_u32_e32 vcc, s39, v13
	s_and_saveexec_b64 s[36:37], vcc
	s_xor_b64 vcc, exec, s[36:37]
; %bb.217:                              ;   in Loop: Header=BB363_13 Depth=1
	v_bfe_u32 v13, v12, 16, 1
	v_add3_u32 v4, v12, v13, s40
	v_accvgpr_write_b32 a6, v4
                                        ; implicit-def: $vgpr12
; %bb.218:                              ;   in Loop: Header=BB363_13 Depth=1
	s_andn2_saveexec_b64 s[36:37], vcc
; %bb.219:                              ;   in Loop: Header=BB363_13 Depth=1
	v_or_b32_e32 v13, 0x10000, v12
	v_cmp_eq_u32_sdwa vcc, v12, v47 src0_sel:WORD_0 src1_sel:DWORD
	s_nop 1
	v_cndmask_b32_e32 v4, v13, v12, vcc
	v_accvgpr_write_b32 a6, v4
; %bb.220:                              ;   in Loop: Header=BB363_13 Depth=1
	s_or_b64 exec, exec, s[36:37]
	v_lshrrev_b32_e32 v11, 24, v11
	v_cvt_f32_fp8_sdwa v11, v11 src0_sel:BYTE_0
                                        ; implicit-def: $agpr43
	s_nop 0
	v_mul_f32_e32 v11, v10, v11
	v_and_b32_e32 v12, 0x7f800000, v11
	v_cmp_ne_u32_e32 vcc, s39, v12
	s_and_saveexec_b64 s[36:37], vcc
	s_xor_b64 vcc, exec, s[36:37]
; %bb.221:                              ;   in Loop: Header=BB363_13 Depth=1
	v_bfe_u32 v12, v11, 16, 1
	v_add3_u32 v4, v11, v12, s40
	v_accvgpr_write_b32 a43, v4
                                        ; implicit-def: $vgpr11
; %bb.222:                              ;   in Loop: Header=BB363_13 Depth=1
	s_andn2_saveexec_b64 s[36:37], vcc
; %bb.223:                              ;   in Loop: Header=BB363_13 Depth=1
	v_or_b32_e32 v12, 0x10000, v11
	v_cmp_eq_u32_sdwa vcc, v11, v47 src0_sel:WORD_0 src1_sel:DWORD
	s_nop 1
	v_cndmask_b32_e32 v4, v12, v11, vcc
	v_accvgpr_write_b32 a43, v4
; %bb.224:                              ;   in Loop: Header=BB363_13 Depth=1
	s_or_b64 exec, exec, s[36:37]
	flat_load_dword v11, v[60:61] offset:3080
                                        ; implicit-def: $agpr44
	s_waitcnt vmcnt(0) lgkmcnt(0)
	v_and_b32_e32 v12, 0xff, v11
	v_cvt_f32_fp8_sdwa v12, v12 src0_sel:BYTE_0
	s_nop 0
	v_mul_f32_e32 v12, v10, v12
	v_and_b32_e32 v13, 0x7f800000, v12
	v_cmp_ne_u32_e32 vcc, s39, v13
	s_and_saveexec_b64 s[36:37], vcc
	s_xor_b64 vcc, exec, s[36:37]
; %bb.225:                              ;   in Loop: Header=BB363_13 Depth=1
	v_bfe_u32 v13, v12, 16, 1
	v_add3_u32 v4, v12, v13, s40
	v_accvgpr_write_b32 a44, v4
                                        ; implicit-def: $vgpr12
; %bb.226:                              ;   in Loop: Header=BB363_13 Depth=1
	s_andn2_saveexec_b64 s[36:37], vcc
; %bb.227:                              ;   in Loop: Header=BB363_13 Depth=1
	v_or_b32_e32 v13, 0x10000, v12
	v_cmp_eq_u32_sdwa vcc, v12, v47 src0_sel:WORD_0 src1_sel:DWORD
	s_nop 1
	v_cndmask_b32_e32 v4, v13, v12, vcc
	v_accvgpr_write_b32 a44, v4
; %bb.228:                              ;   in Loop: Header=BB363_13 Depth=1
	s_or_b64 exec, exec, s[36:37]
	v_bfe_u32 v12, v11, 8, 8
	v_cvt_f32_fp8_sdwa v12, v12 src0_sel:BYTE_0
                                        ; implicit-def: $agpr45
	s_nop 0
	v_mul_f32_e32 v12, v10, v12
	v_and_b32_e32 v13, 0x7f800000, v12
	v_cmp_ne_u32_e32 vcc, s39, v13
	s_and_saveexec_b64 s[36:37], vcc
	s_xor_b64 vcc, exec, s[36:37]
; %bb.229:                              ;   in Loop: Header=BB363_13 Depth=1
	v_bfe_u32 v13, v12, 16, 1
	v_add3_u32 v4, v12, v13, s40
	v_accvgpr_write_b32 a45, v4
                                        ; implicit-def: $vgpr12
; %bb.230:                              ;   in Loop: Header=BB363_13 Depth=1
	s_andn2_saveexec_b64 s[36:37], vcc
; %bb.231:                              ;   in Loop: Header=BB363_13 Depth=1
	v_or_b32_e32 v13, 0x10000, v12
	v_cmp_eq_u32_sdwa vcc, v12, v47 src0_sel:WORD_0 src1_sel:DWORD
	s_nop 1
	v_cndmask_b32_e32 v4, v13, v12, vcc
	v_accvgpr_write_b32 a45, v4
; %bb.232:                              ;   in Loop: Header=BB363_13 Depth=1
	s_or_b64 exec, exec, s[36:37]
	v_bfe_u32 v12, v11, 16, 8
	v_cvt_f32_fp8_sdwa v12, v12 src0_sel:BYTE_0
                                        ; implicit-def: $agpr42
	s_nop 0
	v_mul_f32_e32 v12, v10, v12
	v_and_b32_e32 v13, 0x7f800000, v12
	v_cmp_ne_u32_e32 vcc, s39, v13
	s_and_saveexec_b64 s[36:37], vcc
	s_xor_b64 vcc, exec, s[36:37]
; %bb.233:                              ;   in Loop: Header=BB363_13 Depth=1
	v_bfe_u32 v13, v12, 16, 1
	v_add3_u32 v4, v12, v13, s40
	v_accvgpr_write_b32 a42, v4
                                        ; implicit-def: $vgpr12
; %bb.234:                              ;   in Loop: Header=BB363_13 Depth=1
	s_andn2_saveexec_b64 s[36:37], vcc
; %bb.235:                              ;   in Loop: Header=BB363_13 Depth=1
	v_or_b32_e32 v13, 0x10000, v12
	v_cmp_eq_u32_sdwa vcc, v12, v47 src0_sel:WORD_0 src1_sel:DWORD
	s_nop 1
	v_cndmask_b32_e32 v4, v13, v12, vcc
	v_accvgpr_write_b32 a42, v4
; %bb.236:                              ;   in Loop: Header=BB363_13 Depth=1
	s_or_b64 exec, exec, s[36:37]
	v_lshrrev_b32_e32 v11, 24, v11
	v_cvt_f32_fp8_sdwa v11, v11 src0_sel:BYTE_0
                                        ; implicit-def: $agpr11
	s_nop 0
	v_mul_f32_e32 v11, v10, v11
	v_and_b32_e32 v12, 0x7f800000, v11
	v_cmp_ne_u32_e32 vcc, s39, v12
	s_and_saveexec_b64 s[36:37], vcc
	s_xor_b64 vcc, exec, s[36:37]
; %bb.237:                              ;   in Loop: Header=BB363_13 Depth=1
	v_bfe_u32 v12, v11, 16, 1
	v_add3_u32 v4, v11, v12, s40
	v_accvgpr_write_b32 a11, v4
                                        ; implicit-def: $vgpr11
; %bb.238:                              ;   in Loop: Header=BB363_13 Depth=1
	s_andn2_saveexec_b64 s[36:37], vcc
; %bb.239:                              ;   in Loop: Header=BB363_13 Depth=1
	v_or_b32_e32 v12, 0x10000, v11
	v_cmp_eq_u32_sdwa vcc, v11, v47 src0_sel:WORD_0 src1_sel:DWORD
	s_nop 1
	v_cndmask_b32_e32 v4, v12, v11, vcc
	v_accvgpr_write_b32 a11, v4
; %bb.240:                              ;   in Loop: Header=BB363_13 Depth=1
	s_or_b64 exec, exec, s[36:37]
	flat_load_dword v11, v[60:61] offset:3584
                                        ; implicit-def: $agpr47
	s_waitcnt vmcnt(0) lgkmcnt(0)
	v_and_b32_e32 v12, 0xff, v11
	v_cvt_f32_fp8_sdwa v12, v12 src0_sel:BYTE_0
	s_nop 0
	v_mul_f32_e32 v12, v10, v12
	v_and_b32_e32 v13, 0x7f800000, v12
	v_cmp_ne_u32_e32 vcc, s39, v13
	s_and_saveexec_b64 s[36:37], vcc
	s_xor_b64 vcc, exec, s[36:37]
; %bb.241:                              ;   in Loop: Header=BB363_13 Depth=1
	v_bfe_u32 v13, v12, 16, 1
	v_add3_u32 v4, v12, v13, s40
	v_accvgpr_write_b32 a47, v4
                                        ; implicit-def: $vgpr12
; %bb.242:                              ;   in Loop: Header=BB363_13 Depth=1
	s_andn2_saveexec_b64 s[36:37], vcc
; %bb.243:                              ;   in Loop: Header=BB363_13 Depth=1
	v_or_b32_e32 v13, 0x10000, v12
	v_cmp_eq_u32_sdwa vcc, v12, v47 src0_sel:WORD_0 src1_sel:DWORD
	s_nop 1
	v_cndmask_b32_e32 v4, v13, v12, vcc
	v_accvgpr_write_b32 a47, v4
; %bb.244:                              ;   in Loop: Header=BB363_13 Depth=1
	s_or_b64 exec, exec, s[36:37]
	v_bfe_u32 v12, v11, 8, 8
	v_cvt_f32_fp8_sdwa v12, v12 src0_sel:BYTE_0
                                        ; implicit-def: $agpr48
	s_nop 0
	v_mul_f32_e32 v12, v10, v12
	v_and_b32_e32 v13, 0x7f800000, v12
	v_cmp_ne_u32_e32 vcc, s39, v13
	s_and_saveexec_b64 s[36:37], vcc
	s_xor_b64 vcc, exec, s[36:37]
; %bb.245:                              ;   in Loop: Header=BB363_13 Depth=1
	v_bfe_u32 v13, v12, 16, 1
	v_add3_u32 v4, v12, v13, s40
	v_accvgpr_write_b32 a48, v4
                                        ; implicit-def: $vgpr12
; %bb.246:                              ;   in Loop: Header=BB363_13 Depth=1
	s_andn2_saveexec_b64 s[36:37], vcc
; %bb.247:                              ;   in Loop: Header=BB363_13 Depth=1
	v_or_b32_e32 v13, 0x10000, v12
	v_cmp_eq_u32_sdwa vcc, v12, v47 src0_sel:WORD_0 src1_sel:DWORD
	s_nop 1
	v_cndmask_b32_e32 v4, v13, v12, vcc
	v_accvgpr_write_b32 a48, v4
; %bb.248:                              ;   in Loop: Header=BB363_13 Depth=1
	s_or_b64 exec, exec, s[36:37]
	v_bfe_u32 v12, v11, 16, 8
	v_cvt_f32_fp8_sdwa v12, v12 src0_sel:BYTE_0
                                        ; implicit-def: $agpr49
	s_nop 0
	v_mul_f32_e32 v12, v10, v12
	v_and_b32_e32 v13, 0x7f800000, v12
	v_cmp_ne_u32_e32 vcc, s39, v13
	s_and_saveexec_b64 s[36:37], vcc
	s_xor_b64 vcc, exec, s[36:37]
; %bb.249:                              ;   in Loop: Header=BB363_13 Depth=1
	v_bfe_u32 v13, v12, 16, 1
	v_add3_u32 v4, v12, v13, s40
	v_accvgpr_write_b32 a49, v4
                                        ; implicit-def: $vgpr12
; %bb.250:                              ;   in Loop: Header=BB363_13 Depth=1
	s_andn2_saveexec_b64 s[36:37], vcc
; %bb.251:                              ;   in Loop: Header=BB363_13 Depth=1
	v_or_b32_e32 v13, 0x10000, v12
	v_cmp_eq_u32_sdwa vcc, v12, v47 src0_sel:WORD_0 src1_sel:DWORD
	s_nop 1
	v_cndmask_b32_e32 v4, v13, v12, vcc
	v_accvgpr_write_b32 a49, v4
; %bb.252:                              ;   in Loop: Header=BB363_13 Depth=1
	s_or_b64 exec, exec, s[36:37]
	v_lshrrev_b32_e32 v11, 24, v11
	v_cvt_f32_fp8_sdwa v11, v11 src0_sel:BYTE_0
                                        ; implicit-def: $agpr46
	s_nop 0
	v_mul_f32_e32 v11, v10, v11
	v_and_b32_e32 v12, 0x7f800000, v11
	v_cmp_ne_u32_e32 vcc, s39, v12
	s_and_saveexec_b64 s[36:37], vcc
	s_xor_b64 vcc, exec, s[36:37]
; %bb.253:                              ;   in Loop: Header=BB363_13 Depth=1
	v_bfe_u32 v12, v11, 16, 1
	v_add3_u32 v4, v11, v12, s40
	v_accvgpr_write_b32 a46, v4
                                        ; implicit-def: $vgpr11
; %bb.254:                              ;   in Loop: Header=BB363_13 Depth=1
	s_andn2_saveexec_b64 s[36:37], vcc
; %bb.255:                              ;   in Loop: Header=BB363_13 Depth=1
	v_or_b32_e32 v12, 0x10000, v11
	v_cmp_eq_u32_sdwa vcc, v11, v47 src0_sel:WORD_0 src1_sel:DWORD
	s_nop 1
	v_cndmask_b32_e32 v4, v12, v11, vcc
	v_accvgpr_write_b32 a46, v4
; %bb.256:                              ;   in Loop: Header=BB363_13 Depth=1
	s_or_b64 exec, exec, s[36:37]
	flat_load_dword v11, v[60:61] offset:3592
                                        ; implicit-def: $agpr50
	s_waitcnt vmcnt(0) lgkmcnt(0)
	v_and_b32_e32 v12, 0xff, v11
	v_cvt_f32_fp8_sdwa v12, v12 src0_sel:BYTE_0
	s_nop 0
	v_mul_f32_e32 v12, v10, v12
	v_and_b32_e32 v13, 0x7f800000, v12
	v_cmp_ne_u32_e32 vcc, s39, v13
	s_and_saveexec_b64 s[36:37], vcc
	s_xor_b64 vcc, exec, s[36:37]
; %bb.257:                              ;   in Loop: Header=BB363_13 Depth=1
	v_bfe_u32 v13, v12, 16, 1
	v_add3_u32 v4, v12, v13, s40
	v_accvgpr_write_b32 a50, v4
                                        ; implicit-def: $vgpr12
; %bb.258:                              ;   in Loop: Header=BB363_13 Depth=1
	s_andn2_saveexec_b64 s[36:37], vcc
; %bb.259:                              ;   in Loop: Header=BB363_13 Depth=1
	v_or_b32_e32 v13, 0x10000, v12
	v_cmp_eq_u32_sdwa vcc, v12, v47 src0_sel:WORD_0 src1_sel:DWORD
	s_nop 1
	v_cndmask_b32_e32 v4, v13, v12, vcc
	v_accvgpr_write_b32 a50, v4
; %bb.260:                              ;   in Loop: Header=BB363_13 Depth=1
	s_or_b64 exec, exec, s[36:37]
	v_bfe_u32 v12, v11, 8, 8
	v_cvt_f32_fp8_sdwa v12, v12 src0_sel:BYTE_0
                                        ; implicit-def: $agpr51
	s_nop 0
	v_mul_f32_e32 v12, v10, v12
	v_and_b32_e32 v13, 0x7f800000, v12
	v_cmp_ne_u32_e32 vcc, s39, v13
	s_and_saveexec_b64 s[36:37], vcc
	s_xor_b64 vcc, exec, s[36:37]
; %bb.261:                              ;   in Loop: Header=BB363_13 Depth=1
	v_bfe_u32 v13, v12, 16, 1
	v_add3_u32 v4, v12, v13, s40
	v_accvgpr_write_b32 a51, v4
                                        ; implicit-def: $vgpr12
; %bb.262:                              ;   in Loop: Header=BB363_13 Depth=1
	s_andn2_saveexec_b64 s[36:37], vcc
; %bb.263:                              ;   in Loop: Header=BB363_13 Depth=1
	v_or_b32_e32 v13, 0x10000, v12
	v_cmp_eq_u32_sdwa vcc, v12, v47 src0_sel:WORD_0 src1_sel:DWORD
	s_nop 1
	v_cndmask_b32_e32 v4, v13, v12, vcc
	v_accvgpr_write_b32 a51, v4
; %bb.264:                              ;   in Loop: Header=BB363_13 Depth=1
	s_or_b64 exec, exec, s[36:37]
	v_bfe_u32 v12, v11, 16, 8
	v_cvt_f32_fp8_sdwa v12, v12 src0_sel:BYTE_0
                                        ; implicit-def: $agpr52
	s_nop 0
	v_mul_f32_e32 v12, v10, v12
	v_and_b32_e32 v13, 0x7f800000, v12
	v_cmp_ne_u32_e32 vcc, s39, v13
	s_and_saveexec_b64 s[36:37], vcc
	s_xor_b64 vcc, exec, s[36:37]
; %bb.265:                              ;   in Loop: Header=BB363_13 Depth=1
	v_bfe_u32 v13, v12, 16, 1
	v_add3_u32 v4, v12, v13, s40
	v_accvgpr_write_b32 a52, v4
                                        ; implicit-def: $vgpr12
; %bb.266:                              ;   in Loop: Header=BB363_13 Depth=1
	s_andn2_saveexec_b64 s[36:37], vcc
; %bb.267:                              ;   in Loop: Header=BB363_13 Depth=1
	v_or_b32_e32 v13, 0x10000, v12
	v_cmp_eq_u32_sdwa vcc, v12, v47 src0_sel:WORD_0 src1_sel:DWORD
	s_nop 1
	v_cndmask_b32_e32 v4, v13, v12, vcc
	v_accvgpr_write_b32 a52, v4
; %bb.268:                              ;   in Loop: Header=BB363_13 Depth=1
	s_or_b64 exec, exec, s[36:37]
	v_lshrrev_b32_e32 v11, 24, v11
	v_cvt_f32_fp8_sdwa v11, v11 src0_sel:BYTE_0
                                        ; implicit-def: $agpr53
	s_nop 0
	v_mul_f32_e32 v11, v10, v11
	v_and_b32_e32 v12, 0x7f800000, v11
	v_cmp_ne_u32_e32 vcc, s39, v12
	s_and_saveexec_b64 s[36:37], vcc
	s_xor_b64 vcc, exec, s[36:37]
; %bb.269:                              ;   in Loop: Header=BB363_13 Depth=1
	v_bfe_u32 v12, v11, 16, 1
	v_add3_u32 v4, v11, v12, s40
	v_accvgpr_write_b32 a53, v4
                                        ; implicit-def: $vgpr11
; %bb.270:                              ;   in Loop: Header=BB363_13 Depth=1
	s_andn2_saveexec_b64 s[36:37], vcc
; %bb.271:                              ;   in Loop: Header=BB363_13 Depth=1
	v_or_b32_e32 v12, 0x10000, v11
	v_cmp_eq_u32_sdwa vcc, v11, v47 src0_sel:WORD_0 src1_sel:DWORD
	s_nop 1
	v_cndmask_b32_e32 v4, v12, v11, vcc
	v_accvgpr_write_b32 a53, v4
; %bb.272:                              ;   in Loop: Header=BB363_13 Depth=1
	s_or_b64 exec, exec, s[36:37]
	v_add_co_u32_e32 v12, vcc, 0x1000, v60
                                        ; implicit-def: $agpr54
	s_nop 1
	v_addc_co_u32_e32 v13, vcc, 0, v61, vcc
	flat_load_dword v11, v[12:13]
	s_waitcnt vmcnt(0) lgkmcnt(0)
	v_and_b32_e32 v12, 0xff, v11
	v_cvt_f32_fp8_sdwa v12, v12 src0_sel:BYTE_0
	s_nop 0
	v_mul_f32_e32 v12, v10, v12
	v_and_b32_e32 v13, 0x7f800000, v12
	v_cmp_ne_u32_e32 vcc, s39, v13
	s_and_saveexec_b64 s[36:37], vcc
	s_xor_b64 vcc, exec, s[36:37]
; %bb.273:                              ;   in Loop: Header=BB363_13 Depth=1
	v_bfe_u32 v13, v12, 16, 1
	v_add3_u32 v4, v12, v13, s40
	v_accvgpr_write_b32 a54, v4
                                        ; implicit-def: $vgpr12
; %bb.274:                              ;   in Loop: Header=BB363_13 Depth=1
	s_andn2_saveexec_b64 s[36:37], vcc
; %bb.275:                              ;   in Loop: Header=BB363_13 Depth=1
	v_or_b32_e32 v13, 0x10000, v12
	v_cmp_eq_u32_sdwa vcc, v12, v47 src0_sel:WORD_0 src1_sel:DWORD
	s_nop 1
	v_cndmask_b32_e32 v4, v13, v12, vcc
	v_accvgpr_write_b32 a54, v4
; %bb.276:                              ;   in Loop: Header=BB363_13 Depth=1
	s_or_b64 exec, exec, s[36:37]
	v_bfe_u32 v12, v11, 8, 8
	v_cvt_f32_fp8_sdwa v12, v12 src0_sel:BYTE_0
                                        ; implicit-def: $agpr55
	s_nop 0
	v_mul_f32_e32 v12, v10, v12
	v_and_b32_e32 v13, 0x7f800000, v12
	v_cmp_ne_u32_e32 vcc, s39, v13
	s_and_saveexec_b64 s[36:37], vcc
	s_xor_b64 vcc, exec, s[36:37]
; %bb.277:                              ;   in Loop: Header=BB363_13 Depth=1
	v_bfe_u32 v13, v12, 16, 1
	v_add3_u32 v4, v12, v13, s40
	v_accvgpr_write_b32 a55, v4
                                        ; implicit-def: $vgpr12
; %bb.278:                              ;   in Loop: Header=BB363_13 Depth=1
	s_andn2_saveexec_b64 s[36:37], vcc
; %bb.279:                              ;   in Loop: Header=BB363_13 Depth=1
	v_or_b32_e32 v13, 0x10000, v12
	v_cmp_eq_u32_sdwa vcc, v12, v47 src0_sel:WORD_0 src1_sel:DWORD
	s_nop 1
	v_cndmask_b32_e32 v4, v13, v12, vcc
	v_accvgpr_write_b32 a55, v4
; %bb.280:                              ;   in Loop: Header=BB363_13 Depth=1
	s_or_b64 exec, exec, s[36:37]
	v_bfe_u32 v12, v11, 16, 8
	v_cvt_f32_fp8_sdwa v12, v12 src0_sel:BYTE_0
                                        ; implicit-def: $agpr56
	s_nop 0
	v_mul_f32_e32 v12, v10, v12
	v_and_b32_e32 v13, 0x7f800000, v12
	v_cmp_ne_u32_e32 vcc, s39, v13
	s_and_saveexec_b64 s[36:37], vcc
	s_xor_b64 vcc, exec, s[36:37]
; %bb.281:                              ;   in Loop: Header=BB363_13 Depth=1
	v_bfe_u32 v13, v12, 16, 1
	v_add3_u32 v4, v12, v13, s40
	v_accvgpr_write_b32 a56, v4
                                        ; implicit-def: $vgpr12
; %bb.282:                              ;   in Loop: Header=BB363_13 Depth=1
	s_andn2_saveexec_b64 s[36:37], vcc
; %bb.283:                              ;   in Loop: Header=BB363_13 Depth=1
	v_or_b32_e32 v13, 0x10000, v12
	v_cmp_eq_u32_sdwa vcc, v12, v47 src0_sel:WORD_0 src1_sel:DWORD
	s_nop 1
	v_cndmask_b32_e32 v4, v13, v12, vcc
	v_accvgpr_write_b32 a56, v4
; %bb.284:                              ;   in Loop: Header=BB363_13 Depth=1
	s_or_b64 exec, exec, s[36:37]
	v_lshrrev_b32_e32 v11, 24, v11
	v_cvt_f32_fp8_sdwa v11, v11 src0_sel:BYTE_0
                                        ; implicit-def: $agpr57
	s_nop 0
	v_mul_f32_e32 v11, v10, v11
	v_and_b32_e32 v12, 0x7f800000, v11
	v_cmp_ne_u32_e32 vcc, s39, v12
	s_and_saveexec_b64 s[36:37], vcc
	s_xor_b64 vcc, exec, s[36:37]
; %bb.285:                              ;   in Loop: Header=BB363_13 Depth=1
	v_bfe_u32 v12, v11, 16, 1
	v_add3_u32 v4, v11, v12, s40
	v_accvgpr_write_b32 a57, v4
                                        ; implicit-def: $vgpr11
; %bb.286:                              ;   in Loop: Header=BB363_13 Depth=1
	s_andn2_saveexec_b64 s[36:37], vcc
; %bb.287:                              ;   in Loop: Header=BB363_13 Depth=1
	v_or_b32_e32 v12, 0x10000, v11
	v_cmp_eq_u32_sdwa vcc, v11, v47 src0_sel:WORD_0 src1_sel:DWORD
	s_nop 1
	v_cndmask_b32_e32 v4, v12, v11, vcc
	v_accvgpr_write_b32 a57, v4
; %bb.288:                              ;   in Loop: Header=BB363_13 Depth=1
	s_or_b64 exec, exec, s[36:37]
	v_lshl_add_u64 v[12:13], v[60:61], 0, s[26:27]
	flat_load_dword v11, v[12:13] offset:8
                                        ; implicit-def: $agpr58
	s_waitcnt vmcnt(0) lgkmcnt(0)
	v_and_b32_e32 v12, 0xff, v11
	v_cvt_f32_fp8_sdwa v12, v12 src0_sel:BYTE_0
	s_nop 0
	v_mul_f32_e32 v12, v10, v12
	v_and_b32_e32 v13, 0x7f800000, v12
	v_cmp_ne_u32_e32 vcc, s39, v13
	s_and_saveexec_b64 s[36:37], vcc
	s_xor_b64 vcc, exec, s[36:37]
; %bb.289:                              ;   in Loop: Header=BB363_13 Depth=1
	v_bfe_u32 v13, v12, 16, 1
	v_add3_u32 v4, v12, v13, s40
	v_accvgpr_write_b32 a58, v4
                                        ; implicit-def: $vgpr12
; %bb.290:                              ;   in Loop: Header=BB363_13 Depth=1
	s_andn2_saveexec_b64 s[36:37], vcc
; %bb.291:                              ;   in Loop: Header=BB363_13 Depth=1
	v_or_b32_e32 v13, 0x10000, v12
	v_cmp_eq_u32_sdwa vcc, v12, v47 src0_sel:WORD_0 src1_sel:DWORD
	s_nop 1
	v_cndmask_b32_e32 v4, v13, v12, vcc
	v_accvgpr_write_b32 a58, v4
; %bb.292:                              ;   in Loop: Header=BB363_13 Depth=1
	s_or_b64 exec, exec, s[36:37]
	v_bfe_u32 v12, v11, 8, 8
	v_cvt_f32_fp8_sdwa v12, v12 src0_sel:BYTE_0
                                        ; implicit-def: $agpr59
	s_nop 0
	v_mul_f32_e32 v12, v10, v12
	v_and_b32_e32 v13, 0x7f800000, v12
	v_cmp_ne_u32_e32 vcc, s39, v13
	s_and_saveexec_b64 s[36:37], vcc
	s_xor_b64 vcc, exec, s[36:37]
; %bb.293:                              ;   in Loop: Header=BB363_13 Depth=1
	v_bfe_u32 v13, v12, 16, 1
	v_add3_u32 v4, v12, v13, s40
	v_accvgpr_write_b32 a59, v4
                                        ; implicit-def: $vgpr12
; %bb.294:                              ;   in Loop: Header=BB363_13 Depth=1
	s_andn2_saveexec_b64 s[36:37], vcc
; %bb.295:                              ;   in Loop: Header=BB363_13 Depth=1
	v_or_b32_e32 v13, 0x10000, v12
	v_cmp_eq_u32_sdwa vcc, v12, v47 src0_sel:WORD_0 src1_sel:DWORD
	s_nop 1
	v_cndmask_b32_e32 v4, v13, v12, vcc
	v_accvgpr_write_b32 a59, v4
; %bb.296:                              ;   in Loop: Header=BB363_13 Depth=1
	s_or_b64 exec, exec, s[36:37]
	v_bfe_u32 v12, v11, 16, 8
	v_cvt_f32_fp8_sdwa v12, v12 src0_sel:BYTE_0
                                        ; implicit-def: $agpr60
	s_nop 0
	v_mul_f32_e32 v12, v10, v12
	v_and_b32_e32 v13, 0x7f800000, v12
	v_cmp_ne_u32_e32 vcc, s39, v13
	s_and_saveexec_b64 s[36:37], vcc
	s_xor_b64 vcc, exec, s[36:37]
; %bb.297:                              ;   in Loop: Header=BB363_13 Depth=1
	v_bfe_u32 v13, v12, 16, 1
	v_add3_u32 v4, v12, v13, s40
	v_accvgpr_write_b32 a60, v4
                                        ; implicit-def: $vgpr12
; %bb.298:                              ;   in Loop: Header=BB363_13 Depth=1
	s_andn2_saveexec_b64 s[36:37], vcc
; %bb.299:                              ;   in Loop: Header=BB363_13 Depth=1
	v_or_b32_e32 v13, 0x10000, v12
	v_cmp_eq_u32_sdwa vcc, v12, v47 src0_sel:WORD_0 src1_sel:DWORD
	s_nop 1
	v_cndmask_b32_e32 v4, v13, v12, vcc
	v_accvgpr_write_b32 a60, v4
; %bb.300:                              ;   in Loop: Header=BB363_13 Depth=1
	s_or_b64 exec, exec, s[36:37]
	v_lshrrev_b32_e32 v11, 24, v11
	v_cvt_f32_fp8_sdwa v11, v11 src0_sel:BYTE_0
                                        ; implicit-def: $agpr61
	s_nop 0
	v_mul_f32_e32 v12, v10, v11
	v_and_b32_e32 v11, 0x7f800000, v12
	v_cmp_ne_u32_e32 vcc, s39, v11
	s_and_saveexec_b64 s[36:37], vcc
	s_xor_b64 vcc, exec, s[36:37]
; %bb.301:                              ;   in Loop: Header=BB363_13 Depth=1
	v_bfe_u32 v11, v12, 16, 1
	v_add3_u32 v4, v12, v11, s40
	v_accvgpr_write_b32 a61, v4
                                        ; implicit-def: $vgpr12
; %bb.302:                              ;   in Loop: Header=BB363_13 Depth=1
	s_andn2_saveexec_b64 s[36:37], vcc
; %bb.303:                              ;   in Loop: Header=BB363_13 Depth=1
	v_or_b32_e32 v11, 0x10000, v12
	v_cmp_eq_u32_sdwa vcc, v12, v47 src0_sel:WORD_0 src1_sel:DWORD
	s_nop 1
	v_cndmask_b32_e32 v4, v11, v12, vcc
	v_accvgpr_write_b32 a61, v4
; %bb.304:                              ;   in Loop: Header=BB363_13 Depth=1
	s_or_b64 exec, exec, s[36:37]
	v_add_co_u32_e32 v12, vcc, 0x1000, v60
                                        ; implicit-def: $agpr62
	s_nop 1
	v_addc_co_u32_e32 v13, vcc, 0, v61, vcc
	flat_load_dword v12, v[12:13] offset:512
	s_waitcnt vmcnt(0) lgkmcnt(0)
	v_and_b32_e32 v13, 0xff, v12
	v_cvt_f32_fp8_sdwa v13, v13 src0_sel:BYTE_0
	s_nop 0
	v_mul_f32_e32 v13, v10, v13
	v_and_b32_e32 v14, 0x7f800000, v13
	v_cmp_ne_u32_e32 vcc, s39, v14
	s_and_saveexec_b64 s[36:37], vcc
	s_xor_b64 vcc, exec, s[36:37]
; %bb.305:                              ;   in Loop: Header=BB363_13 Depth=1
	v_bfe_u32 v14, v13, 16, 1
	v_add3_u32 v4, v13, v14, s40
	v_accvgpr_write_b32 a62, v4
                                        ; implicit-def: $vgpr13
; %bb.306:                              ;   in Loop: Header=BB363_13 Depth=1
	s_andn2_saveexec_b64 s[36:37], vcc
; %bb.307:                              ;   in Loop: Header=BB363_13 Depth=1
	v_or_b32_e32 v14, 0x10000, v13
	v_cmp_eq_u32_sdwa vcc, v13, v47 src0_sel:WORD_0 src1_sel:DWORD
	s_nop 1
	v_cndmask_b32_e32 v4, v14, v13, vcc
	v_accvgpr_write_b32 a62, v4
; %bb.308:                              ;   in Loop: Header=BB363_13 Depth=1
	s_or_b64 exec, exec, s[36:37]
	v_bfe_u32 v13, v12, 8, 8
	v_cvt_f32_fp8_sdwa v13, v13 src0_sel:BYTE_0
                                        ; implicit-def: $agpr63
	s_nop 0
	v_mul_f32_e32 v13, v10, v13
	v_and_b32_e32 v14, 0x7f800000, v13
	v_cmp_ne_u32_e32 vcc, s39, v14
	s_and_saveexec_b64 s[36:37], vcc
	s_xor_b64 vcc, exec, s[36:37]
; %bb.309:                              ;   in Loop: Header=BB363_13 Depth=1
	v_bfe_u32 v14, v13, 16, 1
	v_add3_u32 v4, v13, v14, s40
	v_accvgpr_write_b32 a63, v4
                                        ; implicit-def: $vgpr13
; %bb.310:                              ;   in Loop: Header=BB363_13 Depth=1
	s_andn2_saveexec_b64 s[36:37], vcc
; %bb.311:                              ;   in Loop: Header=BB363_13 Depth=1
	v_or_b32_e32 v14, 0x10000, v13
	v_cmp_eq_u32_sdwa vcc, v13, v47 src0_sel:WORD_0 src1_sel:DWORD
	s_nop 1
	v_cndmask_b32_e32 v4, v14, v13, vcc
	v_accvgpr_write_b32 a63, v4
; %bb.312:                              ;   in Loop: Header=BB363_13 Depth=1
	s_or_b64 exec, exec, s[36:37]
	v_bfe_u32 v13, v12, 16, 8
	v_cvt_f32_fp8_sdwa v13, v13 src0_sel:BYTE_0
                                        ; implicit-def: $agpr9
	s_nop 0
	v_mul_f32_e32 v13, v10, v13
	v_and_b32_e32 v14, 0x7f800000, v13
	v_cmp_ne_u32_e32 vcc, s39, v14
	s_and_saveexec_b64 s[36:37], vcc
	s_xor_b64 vcc, exec, s[36:37]
; %bb.313:                              ;   in Loop: Header=BB363_13 Depth=1
	v_bfe_u32 v14, v13, 16, 1
	v_add3_u32 v4, v13, v14, s40
	v_accvgpr_write_b32 a9, v4
                                        ; implicit-def: $vgpr13
; %bb.314:                              ;   in Loop: Header=BB363_13 Depth=1
	s_andn2_saveexec_b64 s[36:37], vcc
; %bb.315:                              ;   in Loop: Header=BB363_13 Depth=1
	v_or_b32_e32 v14, 0x10000, v13
	v_cmp_eq_u32_sdwa vcc, v13, v47 src0_sel:WORD_0 src1_sel:DWORD
	s_nop 1
	v_cndmask_b32_e32 v4, v14, v13, vcc
	v_accvgpr_write_b32 a9, v4
; %bb.316:                              ;   in Loop: Header=BB363_13 Depth=1
	s_or_b64 exec, exec, s[36:37]
	v_lshrrev_b32_e32 v12, 24, v12
	v_cvt_f32_fp8_sdwa v12, v12 src0_sel:BYTE_0
                                        ; implicit-def: $agpr26
	s_nop 0
	v_mul_f32_e32 v12, v10, v12
	v_and_b32_e32 v13, 0x7f800000, v12
	v_cmp_ne_u32_e32 vcc, s39, v13
	s_and_saveexec_b64 s[36:37], vcc
	s_xor_b64 vcc, exec, s[36:37]
; %bb.317:                              ;   in Loop: Header=BB363_13 Depth=1
	v_bfe_u32 v13, v12, 16, 1
	v_add3_u32 v4, v12, v13, s40
	v_accvgpr_write_b32 a26, v4
                                        ; implicit-def: $vgpr12
; %bb.318:                              ;   in Loop: Header=BB363_13 Depth=1
	s_andn2_saveexec_b64 s[36:37], vcc
; %bb.319:                              ;   in Loop: Header=BB363_13 Depth=1
	v_or_b32_e32 v13, 0x10000, v12
	v_cmp_eq_u32_sdwa vcc, v12, v47 src0_sel:WORD_0 src1_sel:DWORD
	s_nop 1
	v_cndmask_b32_e32 v4, v13, v12, vcc
	v_accvgpr_write_b32 a26, v4
; %bb.320:                              ;   in Loop: Header=BB363_13 Depth=1
	s_or_b64 exec, exec, s[36:37]
	v_lshl_add_u64 v[12:13], v[60:61], 0, s[28:29]
	flat_load_dword v14, v[12:13] offset:8
                                        ; implicit-def: $agpr27
	s_waitcnt vmcnt(0) lgkmcnt(0)
	v_and_b32_e32 v12, 0xff, v14
	v_cvt_f32_fp8_sdwa v12, v12 src0_sel:BYTE_0
	s_nop 0
	v_mul_f32_e32 v12, v10, v12
	v_and_b32_e32 v13, 0x7f800000, v12
	v_cmp_ne_u32_e32 vcc, s39, v13
	s_and_saveexec_b64 s[36:37], vcc
	s_xor_b64 vcc, exec, s[36:37]
; %bb.321:                              ;   in Loop: Header=BB363_13 Depth=1
	v_bfe_u32 v13, v12, 16, 1
	v_add3_u32 v4, v12, v13, s40
	v_accvgpr_write_b32 a27, v4
                                        ; implicit-def: $vgpr12
; %bb.322:                              ;   in Loop: Header=BB363_13 Depth=1
	s_andn2_saveexec_b64 s[36:37], vcc
; %bb.323:                              ;   in Loop: Header=BB363_13 Depth=1
	v_or_b32_e32 v13, 0x10000, v12
	v_cmp_eq_u32_sdwa vcc, v12, v47 src0_sel:WORD_0 src1_sel:DWORD
	s_nop 1
	v_cndmask_b32_e32 v4, v13, v12, vcc
	v_accvgpr_write_b32 a27, v4
; %bb.324:                              ;   in Loop: Header=BB363_13 Depth=1
	s_or_b64 exec, exec, s[36:37]
	v_bfe_u32 v12, v14, 8, 8
	v_cvt_f32_fp8_sdwa v12, v12 src0_sel:BYTE_0
                                        ; implicit-def: $agpr21
	s_nop 0
	v_mul_f32_e32 v12, v10, v12
	v_and_b32_e32 v15, 0x7f800000, v12
	v_cmp_ne_u32_e32 vcc, s39, v15
	s_and_saveexec_b64 s[36:37], vcc
	s_xor_b64 vcc, exec, s[36:37]
; %bb.325:                              ;   in Loop: Header=BB363_13 Depth=1
	v_bfe_u32 v15, v12, 16, 1
	v_add3_u32 v4, v12, v15, s40
	v_accvgpr_write_b32 a21, v4
                                        ; implicit-def: $vgpr12
; %bb.326:                              ;   in Loop: Header=BB363_13 Depth=1
	s_andn2_saveexec_b64 s[36:37], vcc
; %bb.327:                              ;   in Loop: Header=BB363_13 Depth=1
	v_or_b32_e32 v15, 0x10000, v12
	v_cmp_eq_u32_sdwa vcc, v12, v47 src0_sel:WORD_0 src1_sel:DWORD
	s_nop 1
	v_cndmask_b32_e32 v4, v15, v12, vcc
	v_accvgpr_write_b32 a21, v4
; %bb.328:                              ;   in Loop: Header=BB363_13 Depth=1
	s_or_b64 exec, exec, s[36:37]
	v_bfe_u32 v12, v14, 16, 8
	v_cvt_f32_fp8_sdwa v12, v12 src0_sel:BYTE_0
                                        ; implicit-def: $agpr15
	s_nop 0
	v_mul_f32_e32 v15, v10, v12
	v_and_b32_e32 v12, 0x7f800000, v15
	v_cmp_ne_u32_e32 vcc, s39, v12
	s_and_saveexec_b64 s[36:37], vcc
	s_xor_b64 vcc, exec, s[36:37]
; %bb.329:                              ;   in Loop: Header=BB363_13 Depth=1
	v_bfe_u32 v12, v15, 16, 1
	v_add3_u32 v4, v15, v12, s40
	v_accvgpr_write_b32 a15, v4
                                        ; implicit-def: $vgpr15
; %bb.330:                              ;   in Loop: Header=BB363_13 Depth=1
	s_andn2_saveexec_b64 s[36:37], vcc
; %bb.331:                              ;   in Loop: Header=BB363_13 Depth=1
	v_or_b32_e32 v12, 0x10000, v15
	v_cmp_eq_u32_sdwa vcc, v15, v47 src0_sel:WORD_0 src1_sel:DWORD
	s_nop 1
	v_cndmask_b32_e32 v4, v12, v15, vcc
	v_accvgpr_write_b32 a15, v4
; %bb.332:                              ;   in Loop: Header=BB363_13 Depth=1
	s_or_b64 exec, exec, s[36:37]
	v_lshrrev_b32_e32 v14, 24, v14
	v_cvt_f32_fp8_sdwa v14, v14 src0_sel:BYTE_0
                                        ; implicit-def: $agpr7
	s_nop 0
	v_mul_f32_e32 v14, v10, v14
	v_and_b32_e32 v15, 0x7f800000, v14
	v_cmp_ne_u32_e32 vcc, s39, v15
	s_and_saveexec_b64 s[36:37], vcc
	s_xor_b64 vcc, exec, s[36:37]
; %bb.333:                              ;   in Loop: Header=BB363_13 Depth=1
	v_bfe_u32 v15, v14, 16, 1
	v_add3_u32 v4, v14, v15, s40
	v_accvgpr_write_b32 a7, v4
                                        ; implicit-def: $vgpr14
; %bb.334:                              ;   in Loop: Header=BB363_13 Depth=1
	s_andn2_saveexec_b64 s[36:37], vcc
; %bb.335:                              ;   in Loop: Header=BB363_13 Depth=1
	v_or_b32_e32 v15, 0x10000, v14
	v_cmp_eq_u32_sdwa vcc, v14, v47 src0_sel:WORD_0 src1_sel:DWORD
	s_nop 1
	v_cndmask_b32_e32 v4, v15, v14, vcc
	v_accvgpr_write_b32 a7, v4
; %bb.336:                              ;   in Loop: Header=BB363_13 Depth=1
	s_or_b64 exec, exec, s[36:37]
	v_add_co_u32_e32 v24, vcc, 0x1000, v60
                                        ; implicit-def: $agpr14
	s_nop 1
	v_addc_co_u32_e32 v25, vcc, 0, v61, vcc
	flat_load_dword v21, v[24:25] offset:1024
	s_waitcnt vmcnt(0) lgkmcnt(0)
	v_and_b32_e32 v14, 0xff, v21
	v_cvt_f32_fp8_sdwa v14, v14 src0_sel:BYTE_0
	s_nop 0
	v_mul_f32_e32 v24, v10, v14
	v_and_b32_e32 v14, 0x7f800000, v24
	v_cmp_ne_u32_e32 vcc, s39, v14
	s_and_saveexec_b64 s[36:37], vcc
	s_xor_b64 vcc, exec, s[36:37]
; %bb.337:                              ;   in Loop: Header=BB363_13 Depth=1
	v_bfe_u32 v14, v24, 16, 1
	v_add3_u32 v4, v24, v14, s40
	v_accvgpr_write_b32 a14, v4
                                        ; implicit-def: $vgpr24
; %bb.338:                              ;   in Loop: Header=BB363_13 Depth=1
	s_andn2_saveexec_b64 s[36:37], vcc
; %bb.339:                              ;   in Loop: Header=BB363_13 Depth=1
	v_or_b32_e32 v14, 0x10000, v24
	v_cmp_eq_u32_sdwa vcc, v24, v47 src0_sel:WORD_0 src1_sel:DWORD
	s_nop 1
	v_cndmask_b32_e32 v4, v14, v24, vcc
	v_accvgpr_write_b32 a14, v4
; %bb.340:                              ;   in Loop: Header=BB363_13 Depth=1
	s_or_b64 exec, exec, s[36:37]
	v_bfe_u32 v24, v21, 8, 8
	v_cvt_f32_fp8_sdwa v24, v24 src0_sel:BYTE_0
                                        ; implicit-def: $agpr22
	s_nop 0
	v_mul_f32_e32 v24, v10, v24
	v_and_b32_e32 v25, 0x7f800000, v24
	v_cmp_ne_u32_e32 vcc, s39, v25
	s_and_saveexec_b64 s[36:37], vcc
	s_xor_b64 vcc, exec, s[36:37]
; %bb.341:                              ;   in Loop: Header=BB363_13 Depth=1
	v_bfe_u32 v25, v24, 16, 1
	v_add3_u32 v4, v24, v25, s40
	v_accvgpr_write_b32 a22, v4
                                        ; implicit-def: $vgpr24
; %bb.342:                              ;   in Loop: Header=BB363_13 Depth=1
	s_andn2_saveexec_b64 s[36:37], vcc
; %bb.343:                              ;   in Loop: Header=BB363_13 Depth=1
	v_or_b32_e32 v25, 0x10000, v24
	v_cmp_eq_u32_sdwa vcc, v24, v47 src0_sel:WORD_0 src1_sel:DWORD
	s_nop 1
	v_cndmask_b32_e32 v4, v25, v24, vcc
	v_accvgpr_write_b32 a22, v4
; %bb.344:                              ;   in Loop: Header=BB363_13 Depth=1
	s_or_b64 exec, exec, s[36:37]
	v_bfe_u32 v24, v21, 16, 8
	v_cvt_f32_fp8_sdwa v24, v24 src0_sel:BYTE_0
                                        ; implicit-def: $agpr23
	s_nop 0
	v_mul_f32_e32 v24, v10, v24
	v_and_b32_e32 v25, 0x7f800000, v24
	v_cmp_ne_u32_e32 vcc, s39, v25
	s_and_saveexec_b64 s[36:37], vcc
	s_xor_b64 vcc, exec, s[36:37]
; %bb.345:                              ;   in Loop: Header=BB363_13 Depth=1
	v_bfe_u32 v25, v24, 16, 1
	v_add3_u32 v4, v24, v25, s40
	v_accvgpr_write_b32 a23, v4
                                        ; implicit-def: $vgpr24
; %bb.346:                              ;   in Loop: Header=BB363_13 Depth=1
	s_andn2_saveexec_b64 s[36:37], vcc
; %bb.347:                              ;   in Loop: Header=BB363_13 Depth=1
	v_or_b32_e32 v25, 0x10000, v24
	v_cmp_eq_u32_sdwa vcc, v24, v47 src0_sel:WORD_0 src1_sel:DWORD
	s_nop 1
	v_cndmask_b32_e32 v4, v25, v24, vcc
	v_accvgpr_write_b32 a23, v4
; %bb.348:                              ;   in Loop: Header=BB363_13 Depth=1
	s_or_b64 exec, exec, s[36:37]
	v_lshrrev_b32_e32 v21, 24, v21
	v_cvt_f32_fp8_sdwa v21, v21 src0_sel:BYTE_0
                                        ; implicit-def: $agpr20
	s_nop 0
	v_mul_f32_e32 v21, v10, v21
	v_and_b32_e32 v24, 0x7f800000, v21
	v_cmp_ne_u32_e32 vcc, s39, v24
	s_and_saveexec_b64 s[36:37], vcc
	s_xor_b64 vcc, exec, s[36:37]
; %bb.349:                              ;   in Loop: Header=BB363_13 Depth=1
	v_bfe_u32 v24, v21, 16, 1
	v_add3_u32 v4, v21, v24, s40
	v_accvgpr_write_b32 a20, v4
                                        ; implicit-def: $vgpr21
; %bb.350:                              ;   in Loop: Header=BB363_13 Depth=1
	s_andn2_saveexec_b64 s[36:37], vcc
; %bb.351:                              ;   in Loop: Header=BB363_13 Depth=1
	v_or_b32_e32 v24, 0x10000, v21
	v_cmp_eq_u32_sdwa vcc, v21, v47 src0_sel:WORD_0 src1_sel:DWORD
	s_nop 1
	v_cndmask_b32_e32 v4, v24, v21, vcc
	v_accvgpr_write_b32 a20, v4
; %bb.352:                              ;   in Loop: Header=BB363_13 Depth=1
	s_or_b64 exec, exec, s[36:37]
	v_lshl_add_u64 v[24:25], v[60:61], 0, s[30:31]
	flat_load_dword v24, v[24:25] offset:8
                                        ; implicit-def: $agpr12
	s_waitcnt vmcnt(0) lgkmcnt(0)
	v_and_b32_e32 v21, 0xff, v24
	v_cvt_f32_fp8_sdwa v21, v21 src0_sel:BYTE_0
	s_nop 0
	v_mul_f32_e32 v25, v10, v21
	v_and_b32_e32 v21, 0x7f800000, v25
	v_cmp_ne_u32_e32 vcc, s39, v21
	s_and_saveexec_b64 s[36:37], vcc
	s_xor_b64 vcc, exec, s[36:37]
; %bb.353:                              ;   in Loop: Header=BB363_13 Depth=1
	v_bfe_u32 v21, v25, 16, 1
	v_add3_u32 v4, v25, v21, s40
	v_accvgpr_write_b32 a12, v4
                                        ; implicit-def: $vgpr25
; %bb.354:                              ;   in Loop: Header=BB363_13 Depth=1
	s_andn2_saveexec_b64 s[36:37], vcc
; %bb.355:                              ;   in Loop: Header=BB363_13 Depth=1
	v_or_b32_e32 v21, 0x10000, v25
	v_cmp_eq_u32_sdwa vcc, v25, v47 src0_sel:WORD_0 src1_sel:DWORD
	s_nop 1
	v_cndmask_b32_e32 v4, v21, v25, vcc
	v_accvgpr_write_b32 a12, v4
; %bb.356:                              ;   in Loop: Header=BB363_13 Depth=1
	s_or_b64 exec, exec, s[36:37]
	v_bfe_u32 v25, v24, 8, 8
	v_cvt_f32_fp8_sdwa v25, v25 src0_sel:BYTE_0
                                        ; implicit-def: $agpr13
	s_nop 0
	v_mul_f32_e32 v25, v10, v25
	v_and_b32_e32 v26, 0x7f800000, v25
	v_cmp_ne_u32_e32 vcc, s39, v26
	s_and_saveexec_b64 s[36:37], vcc
	s_xor_b64 vcc, exec, s[36:37]
; %bb.357:                              ;   in Loop: Header=BB363_13 Depth=1
	v_bfe_u32 v26, v25, 16, 1
	v_add3_u32 v4, v25, v26, s40
	v_accvgpr_write_b32 a13, v4
                                        ; implicit-def: $vgpr25
; %bb.358:                              ;   in Loop: Header=BB363_13 Depth=1
	s_andn2_saveexec_b64 s[36:37], vcc
; %bb.359:                              ;   in Loop: Header=BB363_13 Depth=1
	v_or_b32_e32 v26, 0x10000, v25
	v_cmp_eq_u32_sdwa vcc, v25, v47 src0_sel:WORD_0 src1_sel:DWORD
	s_nop 1
	v_cndmask_b32_e32 v4, v26, v25, vcc
	v_accvgpr_write_b32 a13, v4
; %bb.360:                              ;   in Loop: Header=BB363_13 Depth=1
	s_or_b64 exec, exec, s[36:37]
	v_bfe_u32 v25, v24, 16, 8
	v_cvt_f32_fp8_sdwa v25, v25 src0_sel:BYTE_0
                                        ; implicit-def: $agpr18
	s_nop 0
	v_mul_f32_e32 v25, v10, v25
	v_and_b32_e32 v26, 0x7f800000, v25
	v_cmp_ne_u32_e32 vcc, s39, v26
	s_and_saveexec_b64 s[36:37], vcc
	s_xor_b64 vcc, exec, s[36:37]
; %bb.361:                              ;   in Loop: Header=BB363_13 Depth=1
	v_bfe_u32 v26, v25, 16, 1
	v_add3_u32 v4, v25, v26, s40
	v_accvgpr_write_b32 a18, v4
                                        ; implicit-def: $vgpr25
; %bb.362:                              ;   in Loop: Header=BB363_13 Depth=1
	s_andn2_saveexec_b64 s[36:37], vcc
; %bb.363:                              ;   in Loop: Header=BB363_13 Depth=1
	v_or_b32_e32 v26, 0x10000, v25
	v_cmp_eq_u32_sdwa vcc, v25, v47 src0_sel:WORD_0 src1_sel:DWORD
	s_nop 1
	v_cndmask_b32_e32 v4, v26, v25, vcc
	v_accvgpr_write_b32 a18, v4
; %bb.364:                              ;   in Loop: Header=BB363_13 Depth=1
	s_or_b64 exec, exec, s[36:37]
	v_lshrrev_b32_e32 v24, 24, v24
	v_cvt_f32_fp8_sdwa v24, v24 src0_sel:BYTE_0
                                        ; implicit-def: $agpr19
	s_nop 0
	v_mul_f32_e32 v24, v10, v24
	v_and_b32_e32 v25, 0x7f800000, v24
	v_cmp_ne_u32_e32 vcc, s39, v25
	s_and_saveexec_b64 s[36:37], vcc
	s_xor_b64 vcc, exec, s[36:37]
; %bb.365:                              ;   in Loop: Header=BB363_13 Depth=1
	v_bfe_u32 v25, v24, 16, 1
	v_add3_u32 v4, v24, v25, s40
	v_accvgpr_write_b32 a19, v4
                                        ; implicit-def: $vgpr24
; %bb.366:                              ;   in Loop: Header=BB363_13 Depth=1
	s_andn2_saveexec_b64 s[36:37], vcc
; %bb.367:                              ;   in Loop: Header=BB363_13 Depth=1
	v_or_b32_e32 v25, 0x10000, v24
	v_cmp_eq_u32_sdwa vcc, v24, v47 src0_sel:WORD_0 src1_sel:DWORD
	s_nop 1
	v_cndmask_b32_e32 v4, v25, v24, vcc
	v_accvgpr_write_b32 a19, v4
; %bb.368:                              ;   in Loop: Header=BB363_13 Depth=1
	s_or_b64 exec, exec, s[36:37]
	v_add_co_u32_e32 v24, vcc, 0x1000, v60
                                        ; implicit-def: $agpr16
	s_nop 1
	v_addc_co_u32_e32 v25, vcc, 0, v61, vcc
	flat_load_dword v26, v[24:25] offset:1536
	s_waitcnt vmcnt(0) lgkmcnt(0)
	v_and_b32_e32 v24, 0xff, v26
	v_cvt_f32_fp8_sdwa v24, v24 src0_sel:BYTE_0
	s_nop 0
	v_mul_f32_e32 v24, v10, v24
	v_and_b32_e32 v25, 0x7f800000, v24
	v_cmp_ne_u32_e32 vcc, s39, v25
	s_and_saveexec_b64 s[36:37], vcc
	s_xor_b64 vcc, exec, s[36:37]
; %bb.369:                              ;   in Loop: Header=BB363_13 Depth=1
	v_bfe_u32 v25, v24, 16, 1
	v_add3_u32 v4, v24, v25, s40
	v_accvgpr_write_b32 a16, v4
                                        ; implicit-def: $vgpr24
; %bb.370:                              ;   in Loop: Header=BB363_13 Depth=1
	s_andn2_saveexec_b64 s[36:37], vcc
; %bb.371:                              ;   in Loop: Header=BB363_13 Depth=1
	v_or_b32_e32 v25, 0x10000, v24
	v_cmp_eq_u32_sdwa vcc, v24, v47 src0_sel:WORD_0 src1_sel:DWORD
	s_nop 1
	v_cndmask_b32_e32 v4, v25, v24, vcc
	v_accvgpr_write_b32 a16, v4
; %bb.372:                              ;   in Loop: Header=BB363_13 Depth=1
	s_or_b64 exec, exec, s[36:37]
	v_bfe_u32 v24, v26, 8, 8
	v_cvt_f32_fp8_sdwa v24, v24 src0_sel:BYTE_0
                                        ; implicit-def: $agpr17
	s_nop 0
	v_mul_f32_e32 v24, v10, v24
	v_and_b32_e32 v25, 0x7f800000, v24
	v_cmp_ne_u32_e32 vcc, s39, v25
	s_and_saveexec_b64 s[36:37], vcc
	s_xor_b64 vcc, exec, s[36:37]
; %bb.373:                              ;   in Loop: Header=BB363_13 Depth=1
	v_bfe_u32 v25, v24, 16, 1
	v_add3_u32 v4, v24, v25, s40
	v_accvgpr_write_b32 a17, v4
                                        ; implicit-def: $vgpr24
; %bb.374:                              ;   in Loop: Header=BB363_13 Depth=1
	s_andn2_saveexec_b64 s[36:37], vcc
; %bb.375:                              ;   in Loop: Header=BB363_13 Depth=1
	v_or_b32_e32 v25, 0x10000, v24
	v_cmp_eq_u32_sdwa vcc, v24, v47 src0_sel:WORD_0 src1_sel:DWORD
	s_nop 1
	v_cndmask_b32_e32 v4, v25, v24, vcc
	v_accvgpr_write_b32 a17, v4
; %bb.376:                              ;   in Loop: Header=BB363_13 Depth=1
	s_or_b64 exec, exec, s[36:37]
	v_bfe_u32 v24, v26, 16, 8
	v_cvt_f32_fp8_sdwa v24, v24 src0_sel:BYTE_0
                                        ; implicit-def: $vgpr42
	s_nop 0
	v_mul_f32_e32 v50, v10, v24
	v_and_b32_e32 v24, 0x7f800000, v50
	v_cmp_ne_u32_e32 vcc, s39, v24
	s_and_saveexec_b64 s[36:37], vcc
	s_xor_b64 vcc, exec, s[36:37]
; %bb.377:                              ;   in Loop: Header=BB363_13 Depth=1
	v_bfe_u32 v24, v50, 16, 1
	v_add3_u32 v42, v50, v24, s40
                                        ; implicit-def: $vgpr50
; %bb.378:                              ;   in Loop: Header=BB363_13 Depth=1
	s_andn2_saveexec_b64 s[36:37], vcc
; %bb.379:                              ;   in Loop: Header=BB363_13 Depth=1
	v_or_b32_e32 v24, 0x10000, v50
	v_cmp_eq_u32_sdwa vcc, v50, v47 src0_sel:WORD_0 src1_sel:DWORD
	s_nop 1
	v_cndmask_b32_e32 v42, v24, v50, vcc
; %bb.380:                              ;   in Loop: Header=BB363_13 Depth=1
	s_or_b64 exec, exec, s[36:37]
	v_lshrrev_b32_e32 v26, 24, v26
	v_cvt_f32_fp8_sdwa v26, v26 src0_sel:BYTE_0
                                        ; implicit-def: $vgpr6
	s_nop 0
	v_mul_f32_e32 v50, v10, v26
	v_and_b32_e32 v26, 0x7f800000, v50
	v_cmp_ne_u32_e32 vcc, s39, v26
	s_and_saveexec_b64 s[36:37], vcc
	s_xor_b64 vcc, exec, s[36:37]
; %bb.381:                              ;   in Loop: Header=BB363_13 Depth=1
	v_bfe_u32 v26, v50, 16, 1
	v_add3_u32 v6, v50, v26, s40
                                        ; implicit-def: $vgpr50
; %bb.382:                              ;   in Loop: Header=BB363_13 Depth=1
	s_andn2_saveexec_b64 s[36:37], vcc
; %bb.383:                              ;   in Loop: Header=BB363_13 Depth=1
	v_or_b32_e32 v26, 0x10000, v50
	v_cmp_eq_u32_sdwa vcc, v50, v47 src0_sel:WORD_0 src1_sel:DWORD
	s_nop 1
	v_cndmask_b32_e32 v6, v26, v50, vcc
; %bb.384:                              ;   in Loop: Header=BB363_13 Depth=1
	s_or_b64 exec, exec, s[36:37]
	v_lshl_add_u64 v[50:51], v[60:61], 0, s[34:35]
	flat_load_dword v50, v[50:51] offset:8
	s_waitcnt vmcnt(0) lgkmcnt(0)
	v_and_b32_e32 v51, 0xff, v50
	v_cvt_f32_fp8_sdwa v51, v51 src0_sel:BYTE_0
	s_nop 0
	v_mul_f32_e32 v51, v10, v51
	v_and_b32_e32 v44, 0x7f800000, v51
	v_cmp_ne_u32_e32 vcc, s39, v44
                                        ; implicit-def: $vgpr44
	s_and_saveexec_b64 s[36:37], vcc
	s_xor_b64 vcc, exec, s[36:37]
; %bb.385:                              ;   in Loop: Header=BB363_13 Depth=1
	v_bfe_u32 v44, v51, 16, 1
	v_add3_u32 v44, v51, v44, s40
                                        ; implicit-def: $vgpr51
; %bb.386:                              ;   in Loop: Header=BB363_13 Depth=1
	s_andn2_saveexec_b64 s[36:37], vcc
; %bb.387:                              ;   in Loop: Header=BB363_13 Depth=1
	v_or_b32_e32 v44, 0x10000, v51
	v_cmp_eq_u32_sdwa vcc, v51, v47 src0_sel:WORD_0 src1_sel:DWORD
	s_nop 1
	v_cndmask_b32_e32 v44, v44, v51, vcc
; %bb.388:                              ;   in Loop: Header=BB363_13 Depth=1
	s_or_b64 exec, exec, s[36:37]
	v_bfe_u32 v51, v50, 8, 8
	v_cvt_f32_fp8_sdwa v51, v51 src0_sel:BYTE_0
	s_nop 0
	v_mul_f32_e32 v51, v10, v51
	v_and_b32_e32 v45, 0x7f800000, v51
	v_cmp_ne_u32_e32 vcc, s39, v45
                                        ; implicit-def: $vgpr45
	s_and_saveexec_b64 s[36:37], vcc
	s_xor_b64 vcc, exec, s[36:37]
; %bb.389:                              ;   in Loop: Header=BB363_13 Depth=1
	v_bfe_u32 v45, v51, 16, 1
	v_add3_u32 v45, v51, v45, s40
                                        ; implicit-def: $vgpr51
; %bb.390:                              ;   in Loop: Header=BB363_13 Depth=1
	s_andn2_saveexec_b64 s[36:37], vcc
; %bb.391:                              ;   in Loop: Header=BB363_13 Depth=1
	v_or_b32_e32 v45, 0x10000, v51
	v_cmp_eq_u32_sdwa vcc, v51, v47 src0_sel:WORD_0 src1_sel:DWORD
	s_nop 1
	v_cndmask_b32_e32 v45, v45, v51, vcc
; %bb.392:                              ;   in Loop: Header=BB363_13 Depth=1
	s_or_b64 exec, exec, s[36:37]
	v_bfe_u32 v51, v50, 16, 8
	v_cvt_f32_fp8_sdwa v51, v51 src0_sel:BYTE_0
	s_nop 0
	v_mul_f32_e32 v51, v10, v51
	v_and_b32_e32 v60, 0x7f800000, v51
	v_cmp_ne_u32_e32 vcc, s39, v60
                                        ; implicit-def: $vgpr60
	s_and_saveexec_b64 s[36:37], vcc
	s_xor_b64 vcc, exec, s[36:37]
; %bb.393:                              ;   in Loop: Header=BB363_13 Depth=1
	v_bfe_u32 v60, v51, 16, 1
	v_add3_u32 v60, v51, v60, s40
                                        ; implicit-def: $vgpr51
; %bb.394:                              ;   in Loop: Header=BB363_13 Depth=1
	s_andn2_saveexec_b64 s[36:37], vcc
; %bb.395:                              ;   in Loop: Header=BB363_13 Depth=1
	v_or_b32_e32 v60, 0x10000, v51
	v_cmp_eq_u32_sdwa vcc, v51, v47 src0_sel:WORD_0 src1_sel:DWORD
	s_nop 1
	v_cndmask_b32_e32 v60, v60, v51, vcc
; %bb.396:                              ;   in Loop: Header=BB363_13 Depth=1
	s_or_b64 exec, exec, s[36:37]
	v_lshrrev_b32_e32 v50, 24, v50
	v_cvt_f32_fp8_sdwa v50, v50 src0_sel:BYTE_0
                                        ; implicit-def: $vgpr61
	s_nop 0
	v_mul_f32_e32 v10, v10, v50
	v_and_b32_e32 v50, 0x7f800000, v10
	v_cmp_ne_u32_e32 vcc, s39, v50
	s_and_saveexec_b64 s[36:37], vcc
	s_xor_b64 vcc, exec, s[36:37]
; %bb.397:                              ;   in Loop: Header=BB363_13 Depth=1
	v_bfe_u32 v50, v10, 16, 1
	v_add3_u32 v61, v10, v50, s40
                                        ; implicit-def: $vgpr10
; %bb.398:                              ;   in Loop: Header=BB363_13 Depth=1
	s_andn2_saveexec_b64 s[36:37], vcc
; %bb.399:                              ;   in Loop: Header=BB363_13 Depth=1
	v_or_b32_e32 v50, 0x10000, v10
	v_cmp_eq_u32_sdwa vcc, v10, v47 src0_sel:WORD_0 src1_sel:DWORD
	s_nop 1
	v_cndmask_b32_e32 v61, v50, v10, vcc
; %bb.400:                              ;   in Loop: Header=BB363_13 Depth=1
	s_or_b64 exec, exec, s[36:37]
	v_lshlrev_b32_e32 v30, 16, v0
	v_lshlrev_b32_e32 v20, 16, v1
	v_lshlrev_b32_e32 v11, 16, v2
	v_lshlrev_b32_e32 v23, 16, v3
	v_and_b32_e32 v43, 0xffff0000, v0
	v_and_b32_e32 v58, 0xffff0000, v1
	;; [unrolled: 1-line block ×4, first 2 shown]
	v_mov_b64_e32 v[0:1], v[16:17]
	v_mov_b64_e32 v[2:3], v[18:19]
	v_lshlrev_b32_e32 v19, 16, v2
	v_lshlrev_b32_e32 v33, 16, v3
	v_and_b32_e32 v34, 0xffff0000, v0
	v_and_b32_e32 v35, 0xffff0000, v1
	;; [unrolled: 1-line block ×4, first 2 shown]
	scratch_load_dwordx4 v[0:3], off, s32 offset:304 ; 16-byte Folded Reload
	scratch_load_dwordx4 v[24:27], off, s32 offset:284 ; 16-byte Folded Reload
	v_lshlrev_b32_e32 v14, 16, v39
	v_and_b32_e32 v8, 0xffff0000, v39
	v_lshlrev_b32_e32 v39, 16, v17
	v_lshlrev_b32_e32 v40, 16, v36
	v_and_b32_e32 v56, 0xffff0000, v36
	v_lshlrev_b32_e32 v10, 16, v54
	v_lshlrev_b32_e32 v50, 16, v52
	;; [unrolled: 1-line block ×3, first 2 shown]
	v_and_b32_e32 v57, 0xffff0000, v37
	v_and_b32_e32 v54, 0xffff0000, v54
	;; [unrolled: 1-line block ×3, first 2 shown]
	v_lshlrev_b32_e32 v22, 16, v55
	v_lshlrev_b32_e32 v51, 16, v53
	v_and_b32_e32 v55, 0xffff0000, v55
	v_lshlrev_b32_e32 v15, 16, v38
	v_and_b32_e32 v7, 0xffff0000, v38
	v_and_b32_e32 v53, 0xffff0000, v53
	v_lshlrev_b32_e32 v9, 16, v16
	s_waitcnt vmcnt(1)
	v_lshlrev_b32_e32 v48, 16, v0
	s_waitcnt vmcnt(0)
	v_lshlrev_b32_e32 v17, 16, v24
	v_and_b32_e32 v18, 0xffff0000, v24
	scratch_load_dword v24, off, s32 offset:344 ; 4-byte Folded Reload
	v_and_b32_e32 v29, 0xffff0000, v0
	v_lshlrev_b32_e32 v49, 16, v1
	v_and_b32_e32 v41, 0xffff0000, v1
	v_lshlrev_b32_e32 v28, 16, v2
	;; [unrolled: 2-line block ×6, first 2 shown]
	v_and_b32_e32 v26, 0xffff0000, v27
	s_waitcnt vmcnt(0)
	v_and_b32_e32 v36, 0xffff0000, v24
	scratch_load_dword v24, off, s32 offset:300 ; 4-byte Folded Reload
	v_mul_f32_e32 v10, v10, v36
	s_waitcnt vmcnt(0)
	v_and_b32_e32 v36, 0xffff0000, v24
	scratch_load_dword v24, off, s32 offset:352 ; 4-byte Folded Reload
	v_fmac_f32_e32 v10, v50, v36
	s_waitcnt vmcnt(0)
	v_and_b32_e32 v36, 0xffff0000, v24
	scratch_load_dword v24, off, s32 offset:320 ; 4-byte Folded Reload
	v_mul_f32_e32 v36, v54, v36
	s_waitcnt vmcnt(0)
	v_and_b32_e32 v37, 0xffff0000, v24
	scratch_load_dword v24, off, s32 offset:360 ; 4-byte Folded Reload
	v_fmac_f32_e32 v36, v52, v37
	s_waitcnt vmcnt(0)
	v_and_b32_e32 v37, 0xffff0000, v24
	v_mul_f32_e32 v37, v22, v37
	scratch_load_dword v22, off, s32 offset:328 ; 4-byte Folded Reload
	s_waitcnt vmcnt(0)
	v_and_b32_e32 v22, 0xffff0000, v22
	v_fmac_f32_e32 v37, v51, v22
	scratch_load_dword v22, off, s32 offset:364 ; 4-byte Folded Reload
	s_waitcnt vmcnt(0)
	v_and_b32_e32 v22, 0xffff0000, v22
	v_mul_f32_e32 v38, v55, v22
	scratch_load_dword v22, off, s32 offset:336 ; 4-byte Folded Reload
	s_waitcnt vmcnt(0)
	v_and_b32_e32 v22, 0xffff0000, v22
	v_fmac_f32_e32 v38, v53, v22
	scratch_load_dword v22, off, s32 offset:368 ; 4-byte Folded Reload
	s_waitcnt vmcnt(0)
	v_and_b32_e32 v22, 0xffff0000, v22
	v_fmac_f32_e32 v10, v30, v22
	;; [unrolled: 4-line block ×10, first 2 shown]
	scratch_load_dword v11, off, s32 offset:404 ; 4-byte Folded Reload
	v_and_b32_e32 v40, 0xffff0000, v61
	s_waitcnt vmcnt(0)
	v_and_b32_e32 v11, 0xffff0000, v11
	v_fmac_f32_e32 v36, v56, v11
	scratch_load_dword v11, off, s32 offset:408 ; 4-byte Folded Reload
	s_waitcnt vmcnt(0)
	v_and_b32_e32 v11, 0xffff0000, v11
	v_fmac_f32_e32 v37, v12, v11
	scratch_load_dword v11, off, s32 offset:412 ; 4-byte Folded Reload
	;; [unrolled: 4-line block ×11, first 2 shown]
	scratch_load_dword v35, off, s32 offset:268 ; 4-byte Folded Reload
	s_waitcnt vmcnt(1)
	v_and_b32_e32 v7, 0xffff0000, v7
	v_fmac_f32_e32 v10, v19, v7
	scratch_load_dword v7, off, s32 offset:452 ; 4-byte Folded Reload
	s_waitcnt vmcnt(0)
	v_and_b32_e32 v7, 0xffff0000, v7
	v_fmac_f32_e32 v36, v31, v7
	v_accvgpr_read_b32 v7, a4
	v_and_b32_e32 v7, 0xffff0000, v7
	v_fmac_f32_e32 v37, v33, v7
	v_accvgpr_read_b32 v7, a5
	;; [unrolled: 3-line block ×16, first 2 shown]
	v_and_b32_e32 v0, 0xffff0000, v0
	v_fmac_f32_e32 v36, v1, v0
	v_and_b32_e32 v0, 0xffff0000, v45
	v_accvgpr_write_b32 a0, v0
	v_and_b32_e32 v0, 0xffff0000, v44
	v_accvgpr_write_b32 a1, v0
	v_and_b32_e32 v0, 0xffff0000, v42
	v_accvgpr_write_b32 a4, v0
	v_and_b32_e32 v0, 0xffff0000, v6
	v_accvgpr_read_b32 v6, a6
	v_and_b32_e32 v7, 0xffff0000, v6
	v_accvgpr_read_b32 v6, a43
	;; [unrolled: 2-line block ×6, first 2 shown]
	v_and_b32_e32 v18, 0xffff0000, v6
	scratch_load_dword v6, off, s32 offset:276 ; 4-byte Folded Reload
	scratch_load_dword v11, off, s32 offset:244 ; 4-byte Folded Reload
	v_fmac_f32_e32 v37, v16, v17
	v_lshlrev_b32_e32 v16, 16, v35
	v_accvgpr_read_b32 v4, a59
	v_and_b32_e32 v30, 0xffff0000, v4
	v_accvgpr_read_b32 v4, a58
	v_and_b32_e32 v22, 0xffff0000, v4
	;; [unrolled: 2-line block ×6, first 2 shown]
	v_accvgpr_read_b32 v4, a52
	v_accvgpr_write_b32 a2, v0
	v_accvgpr_read_b32 v0, a17
	v_and_b32_e32 v57, 0xffff0000, v4
	v_accvgpr_read_b32 v4, a53
	v_and_b32_e32 v39, 0xffff0000, v0
	;; [unrolled: 2-line block ×9, first 2 shown]
	v_accvgpr_read_b32 v4, a46
	v_fmac_f32_e32 v38, v26, v18
	v_fmac_f32_e32 v10, v16, v9
	v_and_b32_e32 v25, 0xffff0000, v0
	v_accvgpr_read_b32 v0, a12
	v_and_b32_e32 v58, 0xffff0000, v4
	v_accvgpr_read_b32 v4, a48
	;; [unrolled: 2-line block ×8, first 2 shown]
	v_accvgpr_read_b32 v5, a44
	v_and_b32_e32 v51, 0xffff0000, v0
	v_accvgpr_read_b32 v0, a14
	v_and_b32_e32 v33, 0xffff0000, v4
	;; [unrolled: 2-line block ×3, first 2 shown]
	v_and_b32_e32 v21, 0xffff0000, v0
	v_accvgpr_read_b32 v0, a15
	v_and_b32_e32 v4, 0xffff0000, v4
	v_and_b32_e32 v52, 0xffff0000, v0
	v_accvgpr_read_b32 v0, a7
	v_and_b32_e32 v14, 0xffff0000, v0
	v_accvgpr_read_b32 v0, a21
	v_and_b32_e32 v15, 0xffff0000, v0
	v_accvgpr_read_b32 v0, a27
	v_and_b32_e32 v13, 0xffff0000, v0
	v_accvgpr_read_b32 v0, a9
	v_and_b32_e32 v3, 0xffff0000, v0
	v_accvgpr_read_b32 v0, a26
	v_and_b32_e32 v12, 0xffff0000, v0
	v_accvgpr_read_b32 v0, a63
	v_and_b32_e32 v2, 0xffff0000, v0
	v_accvgpr_read_b32 v0, a62
	v_and_b32_e32 v1, 0xffff0000, v0
	v_accvgpr_read_b32 v0, a60
	s_waitcnt vmcnt(1)
	v_lshlrev_b32_e32 v29, 16, v6
	v_and_b32_e32 v6, 0xffff0000, v35
	scratch_load_dword v35, off, s32 offset:480 ; 4-byte Folded Reload
	s_waitcnt vmcnt(1)
	ds_read_b128 v[16:19], v11 offset:102
	v_fmac_f32_e32 v36, v6, v8
	v_fmac_f32_e32 v37, v29, v7
	ds_read_b128 v[6:9], v11 offset:118
	v_and_b32_e32 v20, 0xffff0000, v0
	s_waitcnt lgkmcnt(1)
	v_lshlrev_b32_e32 v29, 16, v16
	v_and_b32_e32 v16, 0xffff0000, v16
	v_fmac_f32_e32 v10, v16, v5
	v_lshlrev_b32_e32 v5, 16, v17
	v_fmac_f32_e32 v38, v29, v28
	v_fmac_f32_e32 v36, v5, v4
	v_and_b32_e32 v4, 0xffff0000, v17
	v_lshlrev_b32_e32 v5, 16, v18
	v_fmac_f32_e32 v37, v4, v34
	v_and_b32_e32 v4, 0xffff0000, v18
	v_fmac_f32_e32 v38, v5, v33
	v_lshlrev_b32_e32 v5, 16, v19
	v_fmac_f32_e32 v10, v4, v32
	v_and_b32_e32 v4, 0xffff0000, v19
	v_fmac_f32_e32 v36, v5, v48
	s_waitcnt lgkmcnt(0)
	v_lshlrev_b32_e32 v5, 16, v6
	v_fmac_f32_e32 v37, v4, v59
	v_and_b32_e32 v4, 0xffff0000, v6
	v_fmac_f32_e32 v38, v5, v58
	v_lshlrev_b32_e32 v5, 16, v7
	v_fmac_f32_e32 v10, v4, v43
	v_and_b32_e32 v4, 0xffff0000, v7
	v_fmac_f32_e32 v36, v5, v23
	;; [unrolled: 4-line block ×4, first 2 shown]
	v_fmac_f32_e32 v37, v4, v54
	v_accvgpr_read_b32 v0, a61
	v_and_b32_e32 v0, 0xffff0000, v0
	v_and_b32_e32 v44, 0xffff0000, v60
	s_waitcnt vmcnt(0)
	v_and_b32_e32 v29, 64, v35
	v_xor_b32_e32 v28, 1, v35
	v_add_u32_e32 v29, 64, v29
	v_cmp_lt_i32_e32 vcc, v28, v29
	s_nop 1
	v_cndmask_b32_e32 v28, v35, v28, vcc
	ds_read_b128 v[32:35], v11 offset:134
	ds_read_b128 v[16:19], v11 offset:150
	ds_read_b64 v[6:7], v11 offset:182
	v_lshlrev_b32_e32 v55, 2, v28
	s_waitcnt lgkmcnt(2)
	v_lshlrev_b32_e32 v5, 16, v32
	v_and_b32_e32 v4, 0xffff0000, v32
	v_fmac_f32_e32 v38, v5, v53
	v_lshlrev_b32_e32 v5, 16, v33
	v_fmac_f32_e32 v10, v4, v22
	v_and_b32_e32 v4, 0xffff0000, v33
	v_fmac_f32_e32 v36, v5, v30
	v_lshlrev_b32_e32 v5, 16, v34
	v_fmac_f32_e32 v37, v4, v20
	;; [unrolled: 4-line block ×3, first 2 shown]
	v_and_b32_e32 v0, 0xffff0000, v35
	s_waitcnt lgkmcnt(1)
	v_lshlrev_b32_e32 v1, 16, v16
	v_fmac_f32_e32 v36, v5, v2
	v_fmac_f32_e32 v37, v0, v3
	v_fmac_f32_e32 v38, v1, v12
	v_and_b32_e32 v0, 0xffff0000, v16
	v_lshlrev_b32_e32 v1, 16, v17
	v_fmac_f32_e32 v10, v0, v13
	v_fmac_f32_e32 v36, v1, v15
	v_and_b32_e32 v0, 0xffff0000, v17
	v_lshlrev_b32_e32 v1, 16, v18
	v_fmac_f32_e32 v37, v0, v52
	v_fmac_f32_e32 v38, v1, v14
	ds_read_b128 v[0:3], v11 offset:166
	v_and_b32_e32 v4, 0xffff0000, v18
	v_lshlrev_b32_e32 v5, 16, v19
	v_fmac_f32_e32 v10, v4, v21
	v_fmac_f32_e32 v36, v5, v51
	v_and_b32_e32 v4, 0xffff0000, v19
	s_waitcnt lgkmcnt(0)
	v_lshlrev_b32_e32 v5, 16, v0
	v_and_b32_e32 v0, 0xffff0000, v0
	v_fmac_f32_e32 v37, v4, v50
	v_fmac_f32_e32 v10, v0, v24
	v_and_b32_e32 v0, 0xffff0000, v1
	v_fmac_f32_e32 v38, v5, v31
	v_lshlrev_b32_e32 v4, 16, v1
	v_lshlrev_b32_e32 v1, 16, v2
	v_fmac_f32_e32 v37, v0, v27
	v_and_b32_e32 v0, 0xffff0000, v2
	v_fmac_f32_e32 v36, v4, v25
	v_fmac_f32_e32 v38, v1, v49
	v_lshlrev_b32_e32 v1, 16, v3
	v_fmac_f32_e32 v10, v0, v42
	v_and_b32_e32 v0, 0xffff0000, v3
	v_accvgpr_read_b32 v2, a4
	v_fmac_f32_e32 v36, v1, v39
	v_lshlrev_b32_e32 v1, 16, v6
	v_fmac_f32_e32 v37, v0, v2
	v_accvgpr_read_b32 v0, a2
	v_fmac_f32_e32 v38, v1, v0
	ds_read_u16 v1, v11 offset:190
	v_and_b32_e32 v0, 0xffff0000, v6
	v_accvgpr_read_b32 v3, a1
	v_lshlrev_b32_e32 v2, 16, v7
	v_fmac_f32_e32 v10, v0, v3
	v_accvgpr_read_b32 v0, a0
	v_fmac_f32_e32 v36, v2, v0
	v_and_b32_e32 v0, 0xffff0000, v7
	s_waitcnt lgkmcnt(0)
	v_lshlrev_b32_e32 v1, 16, v1
	v_fmac_f32_e32 v37, v0, v44
	v_add_f32_e32 v0, v10, v36
	v_fmac_f32_e32 v38, v1, v40
	v_add_f32_e32 v0, v0, v37
	v_add_f32_e32 v0, v38, v0
	ds_bpermute_b32 v1, v55, v0
	s_and_saveexec_b64 s[36:37], s[2:3]
	s_cbranch_execz .LBB363_11
; %bb.401:                              ;   in Loop: Header=BB363_13 Depth=1
	scratch_load_dword v2, off, s32 offset:504 ; 4-byte Folded Reload
	scratch_load_dword v4, off, s32 offset:492 ; 4-byte Folded Reload
	s_waitcnt lgkmcnt(0)
	v_add_f32_e32 v0, v0, v1
	scratch_load_dword v1, off, s32 offset:496 ; 4-byte Folded Reload
	scratch_load_dword v3, off, s32 offset:500 ; 4-byte Folded Reload
	s_load_dword vcc_lo, s[22:23], 0x0
	s_waitcnt vmcnt(3)
	v_add_u32_e32 v2, v2, v62
	v_cvt_f32_i32_e32 v2, v2
	s_waitcnt vmcnt(2)
	v_mul_f32_e32 v2, v4, v2
	v_cndmask_b32_e64 v2, 0, v2, s[4:5]
	s_waitcnt vmcnt(1)
	v_fmac_f32_e32 v2, v0, v1
	scratch_load_dword v1, off, s32 offset:476 ; 4-byte Folded Reload
	scratch_load_dword v0, off, s32 offset:196 ; 4-byte Folded Reload
	s_waitcnt vmcnt(2)
	v_add_u32_e32 v3, v3, v62
	v_accvgpr_read_b32 v4, a35
	s_waitcnt lgkmcnt(0)
	v_add_u32_e32 v4, vcc_lo, v4
	s_waitcnt vmcnt(0)
	v_cmp_lt_i32_e32 vcc, v3, v0
	s_nop 1
	v_cndmask_b32_e32 v0, 0, v2, vcc
	ds_write_b32 v4, v0
	v_max_f32_e32 v0, v1, v1
	v_max_f32_e32 v0, v0, v2
	v_cndmask_b32_e32 v1, v1, v0, vcc
	scratch_store_dword off, v1, s32 offset:476 ; 4-byte Folded Spill
	s_branch .LBB363_11
.LBB363_402:
	s_or_b64 exec, exec, s[24:25]
	scratch_load_dwordx2 v[14:15], off, s32 offset:584 ; 8-byte Folded Reload
	scratch_load_dword v30, off, s32 offset:580 ; 4-byte Folded Reload
	scratch_load_dwordx2 v[36:37], off, s32 offset:572 ; 8-byte Folded Reload
	scratch_load_dwordx2 v[26:27], off, s32 offset:564 ; 8-byte Folded Reload
	;; [unrolled: 1-line block ×4, first 2 shown]
	scratch_load_dword v25, off, s32 offset:544 ; 4-byte Folded Reload
	scratch_load_dword v28, off, s32 offset:540 ; 4-byte Folded Reload
	;; [unrolled: 1-line block ×3, first 2 shown]
	scratch_load_dwordx2 v[38:39], off, s32 offset:532 ; 8-byte Folded Reload
	scratch_load_dword v4, off, s32 offset:476 ; 4-byte Folded Reload
	v_mbcnt_lo_u32_b32 v0, -1, 0
.LBB363_403:
	s_or_b64 exec, exec, s[8:9]
	v_mbcnt_hi_u32_b32 v0, -1, v0
	v_and_b32_e32 v1, 64, v0
	v_add_u32_e32 v1, 64, v1
	v_xor_b32_e32 v2, 32, v0
	v_cmp_lt_i32_e32 vcc, v2, v1
	v_xor_b32_e32 v5, 16, v0
	v_xor_b32_e32 v6, 8, v0
	v_cndmask_b32_e32 v2, v0, v2, vcc
	v_lshlrev_b32_e32 v2, 2, v2
	s_waitcnt vmcnt(0)
	ds_bpermute_b32 v3, v2, v4
	v_max_f32_e32 v4, v4, v4
	v_cmp_lt_i32_e32 vcc, v5, v1
	v_xor_b32_e32 v7, 4, v0
	v_xor_b32_e32 v8, 2, v0
	s_waitcnt lgkmcnt(0)
	v_max_f32_e32 v3, v3, v3
	v_max_f32_e32 v4, v4, v3
	v_cndmask_b32_e32 v3, v0, v5, vcc
	v_lshlrev_b32_e32 v3, 2, v3
	ds_bpermute_b32 v5, v3, v4
	v_cmp_lt_i32_e32 vcc, v6, v1
	s_lshr_b32 s24, s38, 16
	s_waitcnt lgkmcnt(0)
	v_max_f32_e32 v5, v5, v5
	v_max_f32_e32 v5, v4, v5
	v_cndmask_b32_e32 v4, v0, v6, vcc
	v_lshlrev_b32_e32 v4, 2, v4
	ds_bpermute_b32 v6, v4, v5
	v_cmp_lt_i32_e32 vcc, v7, v1
	s_waitcnt lgkmcnt(0)
	v_max_f32_e32 v6, v6, v6
	v_max_f32_e32 v6, v5, v6
	v_cndmask_b32_e32 v5, v0, v7, vcc
	v_lshlrev_b32_e32 v5, 2, v5
	ds_bpermute_b32 v7, v5, v6
	v_cmp_lt_i32_e32 vcc, v8, v1
	s_waitcnt lgkmcnt(0)
	v_max_f32_e32 v7, v7, v7
	v_max_f32_e32 v7, v6, v7
	v_cndmask_b32_e32 v6, v0, v8, vcc
	v_lshlrev_b32_e32 v21, 2, v6
	scratch_load_dword v6, off, s32 offset:456 ; 4-byte Folded Reload
	ds_bpermute_b32 v8, v21, v7
	s_waitcnt vmcnt(0)
	v_and_b32_e32 v22, 63, v6
	v_cmp_eq_u32_e32 vcc, 0, v22
	v_lshlrev_b32_e32 v6, 2, v25
	s_and_saveexec_b64 s[2:3], vcc
	s_cbranch_execz .LBB363_405
; %bb.404:
	s_waitcnt lgkmcnt(0)
	v_max_f32_e32 v8, v8, v8
	v_max_f32_e32 v7, v7, v7
	;; [unrolled: 1-line block ×3, first 2 shown]
	ds_write_b32 v6, v7 offset:384
.LBB363_405:
	s_or_b64 exec, exec, s[2:3]
	v_cmp_gt_u32_e64 s[2:3], 2, v22
	s_waitcnt lgkmcnt(0)
	v_mov_b32_e32 v8, 0xff7fffff
	v_lshlrev_b32_e32 v7, 2, v22
	s_barrier
	s_and_saveexec_b64 s[4:5], s[2:3]
	s_cbranch_execz .LBB363_407
; %bb.406:
	ds_read_b32 v8, v7 offset:384
.LBB363_407:
	s_or_b64 exec, exec, s[4:5]
	v_xor_b32_e32 v9, 1, v0
	v_cmp_lt_i32_e64 s[4:5], v9, v1
	s_nop 1
	v_cndmask_b32_e64 v1, v0, v9, s[4:5]
	scratch_load_dword v9, off, s32 offset:216 ; 4-byte Folded Reload
	v_lshlrev_b32_e32 v24, 2, v1
	s_waitcnt lgkmcnt(0)
	ds_bpermute_b32 v1, v24, v8
	v_max_f32_e32 v8, v8, v8
	v_lshlrev_b32_e32 v0, 2, v0
	s_waitcnt lgkmcnt(0)
	v_max_f32_e32 v1, v1, v1
	v_max_f32_e32 v1, v8, v1
	s_waitcnt vmcnt(0)
	v_subrev_u32_e32 v9, s19, v9
	v_lshl_add_u32 v10, v9, 5, s15
	v_and_b32_e32 v9, 0x100, v0
	ds_bpermute_b32 v0, v9, v1
	scratch_load_dword v1, off, s32 offset:196 ; 4-byte Folded Reload
	s_waitcnt vmcnt(0)
	v_min_i32_e32 v8, v10, v1
	scratch_load_dword v10, off, s32 offset:456 ; 4-byte Folded Reload
	v_subrev_u32_e32 v1, s15, v8
	s_waitcnt vmcnt(0)
	v_cmp_lt_i32_e64 s[4:5], v10, v1
	v_mov_b32_e32 v10, 0
	s_and_saveexec_b64 s[8:9], s[4:5]
	s_cbranch_execz .LBB363_411
; %bb.408:
	scratch_load_dword v12, off, s32 offset:456 ; 4-byte Folded Reload
	s_ashr_i32 s21, s20, 31
	s_lshl_b64 s[6:7], s[20:21], 2
	s_getpc_b64 s[22:23]
	s_add_u32 s22, s22, llvm.amdgcn.dynlds.offset.table@rel32@lo+4
	s_addc_u32 s23, s23, llvm.amdgcn.dynlds.offset.table@rel32@hi+12
	s_add_u32 s6, s6, s22
	s_addc_u32 s7, s7, s23
	s_load_dword s6, s[6:7], 0x0
	s_mov_b64 s[22:23], 0
	v_mov_b32_e32 v10, 0
	s_waitcnt vmcnt(0) lgkmcnt(0)
	v_lshl_add_u32 v11, v12, 2, s6
.LBB363_409:                            ; =>This Inner Loop Header: Depth=1
	ds_read_b32 v13, v11
	v_add_u32_e32 v12, 0x80, v12
	v_cmp_ge_i32_e64 s[6:7], v12, v1
	s_or_b64 s[22:23], s[6:7], s[22:23]
	s_waitcnt lgkmcnt(0)
	v_sub_f32_e32 v13, v13, v0
	v_mul_f32_e32 v13, 0x3fb8aa3b, v13
	v_exp_f32_e32 v13, v13
	ds_write_b32 v11, v13
	v_add_f32_e32 v10, v10, v13
	v_add_u32_e32 v11, 0x200, v11
	s_andn2_b64 exec, exec, s[22:23]
	s_cbranch_execnz .LBB363_409
; %bb.410:
	s_or_b64 exec, exec, s[22:23]
.LBB363_411:
	s_or_b64 exec, exec, s[8:9]
	ds_bpermute_b32 v2, v2, v10
	s_waitcnt lgkmcnt(0)
	v_add_f32_e32 v2, v10, v2
	ds_bpermute_b32 v3, v3, v2
	s_waitcnt lgkmcnt(0)
	v_add_f32_e32 v2, v2, v3
	;; [unrolled: 3-line block ×6, first 2 shown]
	s_and_saveexec_b64 s[6:7], vcc
	s_cbranch_execz .LBB363_413
; %bb.412:
	ds_write_b32 v6, v2 offset:392
.LBB363_413:
	s_or_b64 exec, exec, s[6:7]
	s_waitcnt lgkmcnt(0)
	s_barrier
	s_and_saveexec_b64 s[6:7], s[2:3]
	s_cbranch_execz .LBB363_415
; %bb.414:
	ds_read_b32 v2, v7 offset:392
.LBB363_415:
	s_or_b64 exec, exec, s[6:7]
	s_waitcnt lgkmcnt(0)
	ds_bpermute_b32 v3, v24, v2
	s_waitcnt lgkmcnt(0)
	v_add_f32_e32 v2, v2, v3
	ds_bpermute_b32 v2, v9, v2
	s_and_saveexec_b64 s[2:3], s[4:5]
	s_cbranch_execz .LBB363_428
; %bb.416:
	s_waitcnt lgkmcnt(0)
	v_add_f32_e32 v3, 0x358637bd, v2
	v_div_scale_f32 v4, s[4:5], v3, v3, 1.0
	v_rcp_f32_e32 v5, v4
	v_div_scale_f32 v6, vcc, 1.0, v3, 1.0
	s_movk_i32 s4, 0x7f
	v_fma_f32 v7, -v4, v5, 1.0
	v_fmac_f32_e32 v5, v7, v5
	v_mul_f32_e32 v7, v6, v5
	v_fma_f32 v9, -v4, v7, v6
	v_fmac_f32_e32 v7, v9, v5
	v_fma_f32 v4, -v4, v7, v6
	v_div_fmas_f32 v4, v4, v5, v7
	scratch_load_dword v5, off, s32 offset:456 ; 4-byte Folded Reload
	v_div_fixup_f32 v6, v4, v3, 1.0
	s_mov_b64 s[6:7], -1
	s_waitcnt vmcnt(0)
	v_xad_u32 v3, v5, -1, v8
	v_subrev_u32_e32 v4, s15, v3
	v_cmp_lt_u32_e32 vcc, s4, v4
	v_mov_b32_e32 v3, v5
	s_and_saveexec_b64 s[4:5], vcc
	s_cbranch_execz .LBB363_425
; %bb.417:
	v_lshrrev_b32_e32 v3, 7, v4
	v_add_u32_e32 v5, -1, v3
	v_lshrrev_b32_e32 v4, 1, v5
	v_mov_b32_e32 v7, v6
	v_add_u32_e32 v4, 1, v4
	v_cmp_lt_u32_e32 vcc, 13, v5
	v_mov_b32_e32 v9, 0
	s_and_saveexec_b64 s[6:7], vcc
	s_cbranch_execz .LBB363_421
; %bb.418:
	scratch_load_dword v8, off, s32 offset:456 ; 4-byte Folded Reload
	s_ashr_i32 s21, s20, 31
	s_lshl_b64 s[8:9], s[20:21], 2
	s_getpc_b64 s[22:23]
	s_add_u32 s22, s22, llvm.amdgcn.dynlds.offset.table@rel32@lo+4
	s_addc_u32 s23, s23, llvm.amdgcn.dynlds.offset.table@rel32@hi+12
	s_add_u32 s8, s8, s22
	s_addc_u32 s9, s9, s23
	s_load_dword s8, s[8:9], 0x0
	v_and_b32_e32 v5, -8, v4
	s_mov_b32 s15, 0
	s_waitcnt vmcnt(0) lgkmcnt(0)
	v_lshl_add_u32 v8, v8, 2, s8
	s_mov_b64 s[8:9], 0
.LBB363_419:                            ; =>This Inner Loop Header: Depth=1
	ds_read2st64_b32 v[10:11], v8 offset1:2
	ds_read2st64_b32 v[12:13], v8 offset0:4 offset1:6
	ds_read2st64_b32 v[18:19], v8 offset0:8 offset1:10
	ds_read2st64_b32 v[16:17], v8 offset0:12 offset1:14
	v_add_u32_e32 v5, -8, v5
	s_waitcnt lgkmcnt(3)
	v_pk_mul_f32 v[10:11], v[6:7], v[10:11]
	s_waitcnt lgkmcnt(2)
	v_pk_mul_f32 v[12:13], v[6:7], v[12:13]
	ds_write2st64_b32 v8, v10, v11 offset1:2
	ds_write2st64_b32 v8, v12, v13 offset0:4 offset1:6
	ds_read2st64_b32 v[12:13], v8 offset0:16 offset1:18
	s_waitcnt lgkmcnt(4)
	v_pk_mul_f32 v[10:11], v[6:7], v[18:19]
	ds_write2st64_b32 v8, v10, v11 offset0:8 offset1:10
	s_waitcnt lgkmcnt(4)
	v_pk_mul_f32 v[10:11], v[6:7], v[16:17]
	ds_write2st64_b32 v8, v10, v11 offset0:12 offset1:14
	ds_read2st64_b32 v[10:11], v8 offset0:20 offset1:22
	s_waitcnt lgkmcnt(3)
	v_pk_mul_f32 v[12:13], v[6:7], v[12:13]
	ds_read2st64_b32 v[16:17], v8 offset0:24 offset1:26
	ds_write2st64_b32 v8, v12, v13 offset0:16 offset1:18
	ds_read2st64_b32 v[12:13], v8 offset0:28 offset1:30
	s_waitcnt lgkmcnt(3)
	v_pk_mul_f32 v[10:11], v[6:7], v[10:11]
	ds_write2st64_b32 v8, v10, v11 offset0:20 offset1:22
	s_waitcnt lgkmcnt(3)
	v_pk_mul_f32 v[10:11], v[6:7], v[16:17]
	ds_write2st64_b32 v8, v10, v11 offset0:24 offset1:26
	s_waitcnt lgkmcnt(2)
	v_pk_mul_f32 v[10:11], v[6:7], v[12:13]
	s_add_i32 s15, s15, 16
	v_cmp_eq_u32_e32 vcc, 0, v5
	ds_write2st64_b32 v8, v10, v11 offset0:28 offset1:30
	v_add_u32_e32 v8, 0x2000, v8
	s_or_b64 s[8:9], vcc, s[8:9]
	v_mov_b32_e32 v9, s15
	s_andn2_b64 exec, exec, s[8:9]
	s_cbranch_execnz .LBB363_419
; %bb.420:
	s_or_b64 exec, exec, s[8:9]
.LBB363_421:
	s_or_b64 exec, exec, s[6:7]
	v_and_b32_e32 v4, 7, v4
	v_cmp_ne_u32_e32 vcc, 0, v4
	s_and_saveexec_b64 s[6:7], vcc
	s_cbranch_execz .LBB363_424
; %bb.422:
	scratch_load_dword v8, off, s32 offset:456 ; 4-byte Folded Reload
	s_ashr_i32 s21, s20, 31
	s_lshl_b64 s[8:9], s[20:21], 2
	s_getpc_b64 s[22:23]
	s_add_u32 s22, s22, llvm.amdgcn.dynlds.offset.table@rel32@lo+4
	s_addc_u32 s23, s23, llvm.amdgcn.dynlds.offset.table@rel32@hi+12
	s_add_u32 s8, s8, s22
	s_addc_u32 s9, s9, s23
	s_load_dword s8, s[8:9], 0x0
	v_lshlrev_b32_e32 v5, 9, v9
	s_waitcnt vmcnt(0)
	v_lshlrev_b32_e32 v8, 2, v8
	s_waitcnt lgkmcnt(0)
	v_add3_u32 v5, v5, v8, s8
	s_mov_b64 s[8:9], 0
.LBB363_423:                            ; =>This Inner Loop Header: Depth=1
	ds_read2st64_b32 v[8:9], v5 offset1:2
	v_add_u32_e32 v4, -1, v4
	v_cmp_eq_u32_e32 vcc, 0, v4
	s_or_b64 s[8:9], vcc, s[8:9]
	s_waitcnt lgkmcnt(0)
	v_pk_mul_f32 v[8:9], v[6:7], v[8:9]
	ds_write2st64_b32 v5, v8, v9 offset1:2
	v_add_u32_e32 v5, 0x400, v5
	s_andn2_b64 exec, exec, s[8:9]
	s_cbranch_execnz .LBB363_423
.LBB363_424:
	s_or_b64 exec, exec, s[6:7]
	v_add_u32_e32 v4, 1, v3
	scratch_load_dword v3, off, s32 offset:456 ; 4-byte Folded Reload
	v_and_b32_e32 v5, 0x3fffffe, v4
	v_cmp_ne_u32_e32 vcc, v4, v5
	s_orn2_b64 s[6:7], vcc, exec
	s_waitcnt vmcnt(0)
	v_lshl_add_u32 v3, v5, 7, v3
.LBB363_425:
	s_or_b64 exec, exec, s[4:5]
	s_and_b64 exec, exec, s[6:7]
	s_cbranch_execz .LBB363_428
; %bb.426:
	s_ashr_i32 s21, s20, 31
	s_lshl_b64 s[4:5], s[20:21], 2
	s_getpc_b64 s[6:7]
	s_add_u32 s6, s6, llvm.amdgcn.dynlds.offset.table@rel32@lo+4
	s_addc_u32 s7, s7, llvm.amdgcn.dynlds.offset.table@rel32@hi+12
	s_add_u32 s4, s4, s6
	s_addc_u32 s5, s5, s7
	s_load_dword s4, s[4:5], 0x0
	s_waitcnt lgkmcnt(0)
	v_lshl_add_u32 v4, v3, 2, s4
	s_mov_b64 s[4:5], 0
.LBB363_427:                            ; =>This Inner Loop Header: Depth=1
	ds_read_b32 v5, v4
	v_add_u32_e32 v3, 0x80, v3
	v_cmp_ge_i32_e32 vcc, v3, v1
	s_or_b64 s[4:5], vcc, s[4:5]
	s_waitcnt lgkmcnt(0)
	v_mul_f32_e32 v5, v6, v5
	ds_write_b32 v4, v5
	v_add_u32_e32 v4, 0x200, v4
	s_andn2_b64 exec, exec, s[4:5]
	s_cbranch_execnz .LBB363_427
.LBB363_428:
	s_or_b64 exec, exec, s[2:3]
	s_waitcnt lgkmcnt(0)
	s_barrier
	scratch_load_dword v1, off, s32 offset:456 ; 4-byte Folded Reload
	v_cmp_ne_u16_e64 s[2:3], s24, 0
	s_cmp_lg_u64 s[2:3], 0
	s_addc_u32 s19, s13, 0
	s_waitcnt vmcnt(0)
	v_cmp_eq_u32_e32 vcc, 0, v1
	s_and_saveexec_b64 s[2:3], vcc
	s_cbranch_execz .LBB363_430
; %bb.429:
	s_mul_i32 s4, s19, s16
	s_mul_i32 s4, s4, s17
	;; [unrolled: 1-line block ×3, first 2 shown]
	s_ashr_i32 s5, s4, 31
	s_ashr_i32 s7, s6, 31
	;; [unrolled: 1-line block ×3, first 2 shown]
	s_lshl_b64 s[4:5], s[4:5], 2
	s_lshl_b64 s[6:7], s[6:7], 2
	;; [unrolled: 1-line block ×3, first 2 shown]
	s_add_u32 s6, s8, s6
	s_addc_u32 s7, s9, s7
	s_add_u32 s4, s6, s4
	s_addc_u32 s5, s7, s5
	v_lshl_add_u64 v[4:5], s[4:5], 0, v[34:35]
	flat_store_dword v[4:5], v0
	v_lshl_add_u64 v[0:1], s[4:5], 0, v[26:27]
	flat_store_dword v[0:1], v2
.LBB363_430:
	s_or_b64 exec, exec, s[2:3]
	scratch_load_dword v0, off, s32 offset:456 ; 4-byte Folded Reload
	s_ashr_i32 s21, s20, 31
	s_lshl_b64 s[2:3], s[20:21], 2
	s_getpc_b64 s[4:5]
	s_add_u32 s4, s4, llvm.amdgcn.dynlds.offset.table@rel32@lo+4
	s_addc_u32 s5, s5, llvm.amdgcn.dynlds.offset.table@rel32@hi+12
	s_add_u32 s2, s2, s4
	s_addc_u32 s3, s3, s5
	v_mov_b32_e32 v34, 0
	v_mov_b32_e32 v35, 0
	;; [unrolled: 1-line block ×12, first 2 shown]
	s_waitcnt vmcnt(0)
	v_and_b32_e32 v23, 3, v0
	s_and_saveexec_b64 s[4:5], s[0:1]
	s_cbranch_execz .LBB363_1260
; %bb.431:
	v_and_b32_e32 v0, 24, v20
	scratch_store_dword off, v24, s32 offset:360 ; 4-byte Folded Spill
	scratch_store_dword off, v21, s32 offset:364 ; 4-byte Folded Spill
	;; [unrolled: 1-line block ×4, first 2 shown]
	v_lshl_add_u64 v[0:1], v[36:37], 0, v[38:39]
	scratch_store_dwordx2 off, v[0:1], s32 offset:320 ; 8-byte Folded Spill
	v_add_u32_e32 v0, -1, v31
	v_max_i32_e32 v40, v30, v28
	scratch_store_dword off, v0, s32 offset:304 ; 4-byte Folded Spill
	v_cvt_f32_u32_e32 v0, v40
	v_and_b32_e32 v36, 0x1f8, v20
	v_mov_b32_e32 v37, 0
	v_sub_u32_e32 v1, 0, v40
	v_rcp_iflag_f32_e32 v0, v0
	v_or_b32_e32 v2, 0x1000, v36
	v_mov_b32_e32 v3, v37
	scratch_store_dwordx2 off, v[2:3], s32 offset:328 ; 8-byte Folded Spill
	v_mul_f32_e32 v0, 0x4f7ffffe, v0
	v_cvt_u32_f32_e32 v0, v0
	v_or_b32_e32 v2, 0x1200, v36
	scratch_store_dwordx2 off, v[2:3], s32 offset:336 ; 8-byte Folded Spill
	v_or_b32_e32 v2, 0x1400, v36
	v_mul_lo_u32 v1, v1, v0
	v_mul_hi_u32 v1, v0, v1
	v_add_u32_e32 v0, v0, v1
	scratch_store_dwordx2 off, v[2:3], s32 offset:344 ; 8-byte Folded Spill
	v_or_b32_e32 v2, 0x1600, v36
	scratch_store_dwordx2 off, v[0:1], s32 offset:276 ; 8-byte Folded Spill
	scratch_load_dwordx2 v[0:1], off, s32 offset:200 ; 8-byte Folded Reload
	s_load_dword s0, s[2:3], 0x0
	scratch_store_dwordx2 off, v[2:3], s32 offset:352 ; 8-byte Folded Spill
	scratch_load_dwordx2 v[2:3], off, s32 offset:516 ; 8-byte Folded Reload
	s_mov_b64 s[6:7], 0
	scratch_store_dword off, v23, s32 offset:372 ; 4-byte Folded Spill
	s_mov_b32 s15, 0x7f800000
	s_movk_i32 s20, 0x7fff
	v_mov_b32_e32 v33, v37
	v_mov_b32_e32 v32, v37
	;; [unrolled: 1-line block ×4, first 2 shown]
	s_waitcnt vmcnt(0)
	v_lshlrev_b64 v[0:1], 2, v[0:1]
	v_lshl_add_u64 v[0:1], v[2:3], 2, v[0:1]
	v_lshl_add_u64 v[14:15], v[14:15], 0, v[0:1]
	v_lshlrev_b32_e32 v0, 5, v23
	v_lshl_or_b32 v0, v25, 7, v0
	s_waitcnt lgkmcnt(0)
	v_add_u32_e32 v29, s0, v0
	v_mov_b32_e32 v1, v37
	v_mov_b32_e32 v0, v37
	scratch_store_dwordx2 off, v[0:1], s32 offset:268 ; 8-byte Folded Spill
	scratch_store_dwordx2 off, v[0:1], s32 offset:244 ; 8-byte Folded Spill
	;; [unrolled: 1-line block ×4, first 2 shown]
	scratch_load_dword v1, off, s32 offset:524 ; 4-byte Folded Reload
	s_branch .LBB363_434
.LBB363_432:                            ;   in Loop: Header=BB363_434 Depth=1
	s_or_b64 exec, exec, s[0:1]
	v_and_b32_e32 v3, 0xffff0000, v3
	v_and_b32_e32 v2, 0xffff0000, v2
	v_add_f32_e32 v2, v2, v3
	v_and_b32_e32 v3, 0xffff0000, v20
	v_and_b32_e32 v5, 0xffff0000, v5
	v_add_f32_e32 v3, v5, v3
	v_add_f32_e32 v2, v2, v3
	v_and_b32_e32 v3, 0xffff0000, v13
	v_and_b32_e32 v5, 0xffff0000, v12
	scratch_load_dwordx2 v[12:13], off, s32 offset:268 ; 8-byte Folded Reload
	v_add_f32_e32 v3, v5, v3
	v_add_f32_e32 v2, v2, v3
	v_and_b32_e32 v3, 0xffff0000, v28
	v_and_b32_e32 v5, 0xffff0000, v16
	v_add_f32_e32 v3, v3, v5
	v_add_f32_e32 v2, v2, v3
	v_and_b32_e32 v3, 0xffff0000, v54
	v_and_b32_e32 v5, 0xffff0000, v52
	;; [unrolled: 1-line block ×3, first 2 shown]
	v_accvgpr_read_b32 v8, a39
	v_and_b32_e32 v8, 0xffff0000, v8
	v_and_b32_e32 v0, 0xffff0000, v0
	s_waitcnt vmcnt(0)
	v_add_f32_e32 v12, v12, v2
	v_and_b32_e32 v2, 0xffff0000, v46
	v_add_f32_e32 v2, v3, v2
	v_and_b32_e32 v3, 0xffff0000, v21
	v_add_f32_e32 v3, v5, v3
	v_add_f32_e32 v2, v2, v3
	v_and_b32_e32 v3, 0xffff0000, v7
	v_and_b32_e32 v5, 0xffff0000, v6
	scratch_load_dwordx2 v[6:7], off, s32 offset:244 ; 8-byte Folded Reload
	scratch_load_dwordx2 v[20:21], off, s32 offset:260 ; 8-byte Folded Reload
	v_add_f32_e32 v3, v5, v3
	v_add_f32_e32 v2, v2, v3
	v_and_b32_e32 v3, 0xffff0000, v43
	v_and_b32_e32 v5, 0xffff0000, v62
	v_add_f32_e32 v3, v3, v5
	v_add_f32_e32 v2, v2, v3
	v_and_b32_e32 v3, 0xffff0000, v41
	v_and_b32_e32 v5, 0xffff0000, v50
	s_waitcnt vmcnt(1)
	v_add_f32_e32 v7, v7, v2
	v_and_b32_e32 v2, 0xffff0000, v49
	v_add_f32_e32 v2, v3, v2
	v_and_b32_e32 v3, 0xffff0000, v53
	v_add_f32_e32 v3, v5, v3
	v_add_f32_e32 v2, v2, v3
	v_and_b32_e32 v3, 0xffff0000, v47
	v_and_b32_e32 v5, 0xffff0000, v51
	v_add_f32_e32 v3, v5, v3
	v_add_f32_e32 v2, v2, v3
	v_and_b32_e32 v3, 0xffff0000, v44
	v_add_f32_e32 v3, v3, v4
	v_add_f32_e32 v2, v2, v3
	;; [unrolled: 1-line block ×3, first 2 shown]
	scratch_store_dwordx2 off, v[6:7], s32 offset:244 ; 8-byte Folded Spill
	scratch_load_dwordx2 v[6:7], off, s32 offset:252 ; 8-byte Folded Reload
	v_and_b32_e32 v2, 0xffff0000, v45
	v_and_b32_e32 v3, 0xffff0000, v9
	v_add_f32_e32 v2, v3, v2
	v_and_b32_e32 v3, 0xffff0000, v57
	v_and_b32_e32 v4, 0xffff0000, v56
	v_add_f32_e32 v3, v4, v3
	v_add_f32_e32 v2, v2, v3
	v_and_b32_e32 v3, 0xffff0000, v59
	v_and_b32_e32 v4, 0xffff0000, v58
	v_add_f32_e32 v3, v4, v3
	;; [unrolled: 4-line block ×3, first 2 shown]
	v_add_f32_e32 v2, v2, v3
	v_and_b32_e32 v3, 0xffff0000, v42
	v_accvgpr_read_b32 v4, a26
	v_and_b32_e32 v4, 0xffff0000, v4
	v_accvgpr_read_b32 v5, a35
	;; [unrolled: 2-line block ×3, first 2 shown]
	v_and_b32_e32 v9, 0xffff0000, v9
	s_waitcnt vmcnt(0)
	v_add_f32_e32 v7, v7, v2
	v_accvgpr_read_b32 v2, a25
	v_and_b32_e32 v2, 0xffff0000, v2
	v_add_f32_e32 v2, v3, v2
	v_accvgpr_read_b32 v3, a27
	v_and_b32_e32 v3, 0xffff0000, v3
	v_add_f32_e32 v3, v4, v3
	v_add_f32_e32 v2, v2, v3
	v_accvgpr_read_b32 v3, a21
	v_accvgpr_read_b32 v4, a20
	v_and_b32_e32 v3, 0xffff0000, v3
	v_and_b32_e32 v4, 0xffff0000, v4
	v_add_f32_e32 v3, v4, v3
	v_add_f32_e32 v2, v2, v3
	v_accvgpr_read_b32 v3, a14
	v_and_b32_e32 v3, 0xffff0000, v3
	v_and_b32_e32 v4, 0xffff0000, v22
	v_add_f32_e32 v3, v3, v4
	v_add_f32_e32 v2, v2, v3
	;; [unrolled: 1-line block ×3, first 2 shown]
	v_accvgpr_read_b32 v2, a3
	v_accvgpr_read_b32 v3, a11
	v_and_b32_e32 v2, 0xffff0000, v2
	v_and_b32_e32 v3, 0xffff0000, v3
	v_add_f32_e32 v2, v3, v2
	v_accvgpr_read_b32 v3, a10
	v_accvgpr_read_b32 v4, a9
	v_and_b32_e32 v3, 0xffff0000, v3
	v_and_b32_e32 v4, 0xffff0000, v4
	v_add_f32_e32 v3, v4, v3
	v_add_f32_e32 v2, v2, v3
	v_accvgpr_read_b32 v3, a40
	v_accvgpr_read_b32 v4, a6
	v_and_b32_e32 v3, 0xffff0000, v3
	v_and_b32_e32 v4, 0xffff0000, v4
	v_add_f32_e32 v3, v4, v3
	;; [unrolled: 6-line block ×3, first 2 shown]
	scratch_store_dwordx2 off, v[6:7], s32 offset:252 ; 8-byte Folded Spill
	v_add_f32_e32 v2, v2, v3
	v_accvgpr_read_b32 v4, a36
	v_accvgpr_read_b32 v6, a34
	;; [unrolled: 1-line block ×3, first 2 shown]
	v_add_f32_e32 v21, v21, v2
	v_accvgpr_read_b32 v2, a38
	v_accvgpr_read_b32 v3, a37
	v_and_b32_e32 v4, 0xffff0000, v4
	v_and_b32_e32 v6, 0xffff0000, v6
	v_and_b32_e32 v7, 0xffff0000, v7
	v_and_b32_e32 v2, 0xffff0000, v2
	v_and_b32_e32 v3, 0xffff0000, v3
	v_add_f32_e32 v6, v7, v6
	v_add_f32_e32 v4, v5, v4
	;; [unrolled: 1-line block ×7, first 2 shown]
	v_accvgpr_read_b32 v4, a4
	v_accvgpr_read_b32 v5, a30
	;; [unrolled: 1-line block ×4, first 2 shown]
	v_add_f32_e32 v20, v20, v2
	v_accvgpr_read_b32 v2, a28
	v_accvgpr_read_b32 v3, a5
	v_and_b32_e32 v4, 0xffff0000, v4
	v_and_b32_e32 v5, 0xffff0000, v5
	;; [unrolled: 1-line block ×6, first 2 shown]
	v_add_f32_e32 v6, v7, v6
	v_add_f32_e32 v4, v5, v4
	;; [unrolled: 1-line block ×5, first 2 shown]
	v_accvgpr_read_b32 v4, a16
	v_accvgpr_read_b32 v5, a18
	;; [unrolled: 1-line block ×4, first 2 shown]
	v_and_b32_e32 v4, 0xffff0000, v4
	v_and_b32_e32 v5, 0xffff0000, v5
	;; [unrolled: 1-line block ×4, first 2 shown]
	v_add_f32_e32 v6, v7, v6
	v_add_f32_e32 v4, v5, v4
	;; [unrolled: 1-line block ×3, first 2 shown]
	v_accvgpr_read_b32 v6, a55
	v_accvgpr_read_b32 v7, a54
	v_and_b32_e32 v6, 0xffff0000, v6
	v_and_b32_e32 v7, 0xffff0000, v7
	v_add_f32_e32 v6, v7, v6
	scratch_load_dword v7, off, s32 offset:284 ; 4-byte Folded Reload
	v_accvgpr_read_b32 v8, a29
	v_accvgpr_read_b32 v9, a32
	v_and_b32_e32 v8, 0xffff0000, v8
	v_and_b32_e32 v9, 0xffff0000, v9
	v_add_f32_e32 v3, v8, v9
	v_add_f32_e32 v2, v2, v3
	v_add_f32_e32 v33, v33, v2
	v_accvgpr_read_b32 v2, a17
	v_accvgpr_read_b32 v3, a15
	v_and_b32_e32 v2, 0xffff0000, v2
	v_and_b32_e32 v3, 0xffff0000, v3
	v_accvgpr_read_b32 v8, a0
	v_accvgpr_read_b32 v9, a1
	v_and_b32_e32 v8, 0xffff0000, v8
	v_and_b32_e32 v9, 0xffff0000, v9
	v_add_f32_e32 v2, v3, v2
	v_add_f32_e32 v2, v4, v2
	;; [unrolled: 1-line block ×4, first 2 shown]
	v_accvgpr_read_b32 v4, a57
	v_accvgpr_read_b32 v5, a56
	v_add_f32_e32 v32, v32, v2
	v_accvgpr_read_b32 v2, a59
	v_accvgpr_read_b32 v3, a58
	v_and_b32_e32 v4, 0xffff0000, v4
	v_and_b32_e32 v5, 0xffff0000, v5
	;; [unrolled: 1-line block ×4, first 2 shown]
	v_accvgpr_read_b32 v8, a60
	v_accvgpr_read_b32 v9, a61
	v_add_f32_e32 v4, v5, v4
	v_and_b32_e32 v8, 0xffff0000, v8
	v_and_b32_e32 v9, 0xffff0000, v9
	v_add_f32_e32 v4, v6, v4
	v_add_f32_e32 v2, v3, v2
	;; [unrolled: 1-line block ×5, first 2 shown]
	v_accvgpr_read_b32 v4, a42
	v_accvgpr_read_b32 v5, a41
	;; [unrolled: 1-line block ×3, first 2 shown]
	v_add_f32_e32 v35, v35, v2
	v_accvgpr_read_b32 v2, a44
	v_accvgpr_read_b32 v3, a43
	v_and_b32_e32 v4, 0xffff0000, v4
	v_and_b32_e32 v5, 0xffff0000, v5
	;; [unrolled: 1-line block ×5, first 2 shown]
	v_accvgpr_read_b32 v8, a45
	v_accvgpr_read_b32 v9, a46
	v_add_f32_e32 v4, v5, v4
	v_and_b32_e32 v8, 0xffff0000, v8
	v_and_b32_e32 v9, 0xffff0000, v9
	v_add_f32_e32 v2, v3, v2
	v_add_f32_e32 v3, v8, v9
	v_and_b32_e32 v5, 0xffff0000, v27
	scratch_store_dwordx2 off, v[20:21], s32 offset:260 ; 8-byte Folded Spill
	s_waitcnt vmcnt(1)
	v_and_b32_e32 v7, 0xffff0000, v7
	v_add_f32_e32 v6, v7, v6
	v_add_f32_e32 v4, v6, v4
	;; [unrolled: 1-line block ×4, first 2 shown]
	v_and_b32_e32 v7, 0xffff0000, v11
	v_and_b32_e32 v6, 0xffff0000, v1
	;; [unrolled: 1-line block ×3, first 2 shown]
	v_add_f32_e32 v34, v34, v2
	v_and_b32_e32 v3, 0xffff0000, v18
	v_and_b32_e32 v2, 0xffff0000, v26
	;; [unrolled: 1-line block ×3, first 2 shown]
	v_pk_add_f32 v[0:1], v[0:1], v[6:7]
	v_pk_add_f32 v[2:3], v[4:5], v[2:3]
	v_add_f32_e32 v0, v0, v1
	v_add_f32_e32 v0, v0, v2
	v_add_f32_e32 v0, v0, v3
	v_add_f32_e32 v13, v13, v0
	scratch_store_dwordx2 off, v[12:13], s32 offset:268 ; 8-byte Folded Spill
.LBB363_433:                            ;   in Loop: Header=BB363_434 Depth=1
	s_or_b64 exec, exec, s[8:9]
	scratch_load_dwordx2 v[2:3], off, s32 offset:200 ; 8-byte Folded Reload
	v_accvgpr_read_b32 v1, a13
	v_add_u32_e32 v1, 64, v1
	v_lshl_add_u64 v[14:15], v[14:15], 0, 8
	v_add_u32_e32 v29, 0x100, v29
	s_waitcnt vmcnt(0)
	v_add_u32_e32 v2, 2, v2
	v_mov_b32_e32 v0, v2
	scratch_store_dwordx2 off, v[0:1], s32 offset:200 ; 8-byte Folded Spill
	scratch_load_dword v0, off, s32 offset:216 ; 4-byte Folded Reload
	s_waitcnt vmcnt(0)
	v_cmp_ge_i32_e32 vcc, v2, v0
	s_or_b64 s[6:7], vcc, s[6:7]
	s_andn2_b64 exec, exec, s[6:7]
	s_cbranch_execz .LBB363_1259
.LBB363_434:                            ; =>This Inner Loop Header: Depth=1
	s_waitcnt vmcnt(0)
	v_ashrrev_i32_e32 v0, 31, v1
	v_mov_b32_e32 v2, v1
	scratch_load_dword v1, off, s32 offset:212 ; 4-byte Folded Reload
	scratch_load_dword v4, off, s32 offset:208 ; 4-byte Folded Reload
	v_accvgpr_write_b32 a13, v2
	s_waitcnt vmcnt(1)
	v_xor_b32_e32 v0, v0, v1
	v_sub_u32_e32 v1, 0, v2
	v_max_i32_e32 v1, v2, v1
	scratch_load_dword v2, off, s32 offset:228 ; 4-byte Folded Reload
	s_waitcnt vmcnt(0)
	v_mul_hi_u32 v2, v1, v2
	v_mul_lo_u32 v3, v2, v4
	v_sub_u32_e32 v1, v1, v3
	v_add_u32_e32 v3, 1, v2
	v_cmp_ge_u32_e32 vcc, v1, v4
	s_nop 1
	v_cndmask_b32_e32 v2, v2, v3, vcc
	v_sub_u32_e32 v3, v1, v4
	v_cndmask_b32_e32 v1, v1, v3, vcc
	v_add_u32_e32 v3, 1, v2
	v_cmp_ge_u32_e32 vcc, v1, v4
	scratch_load_dwordx2 v[4:5], off, s32 offset:276 ; 8-byte Folded Reload
	s_nop 0
	v_cndmask_b32_e32 v1, v2, v3, vcc
	scratch_load_dwordx2 v[2:3], off, s32 offset:220 ; 8-byte Folded Reload
	v_xor_b32_e32 v1, v1, v0
	v_sub_u32_e32 v0, v1, v0
	s_waitcnt vmcnt(0)
	v_add_u32_e32 v1, v0, v2
	v_sub_u32_e32 v3, 0, v1
	v_ashrrev_i32_e32 v2, 31, v1
	v_max_i32_e32 v1, v1, v3
	v_mul_hi_u32 v3, v1, v4
	v_mul_lo_u32 v3, v3, v40
	v_sub_u32_e32 v1, v1, v3
	v_sub_u32_e32 v3, v1, v40
	v_cmp_ge_u32_e32 vcc, v1, v40
	s_nop 1
	v_cndmask_b32_e32 v1, v1, v3, vcc
	v_sub_u32_e32 v3, v1, v40
	v_cmp_ge_u32_e32 vcc, v1, v40
	s_nop 1
	v_cndmask_b32_e32 v1, v1, v3, vcc
	v_xor_b32_e32 v1, v1, v2
	v_sub_u32_e32 v1, v1, v2
	v_cmp_eq_u32_e32 vcc, 0, v1
	scratch_load_dword v1, off, s32 offset:232 ; 4-byte Folded Reload
	s_waitcnt vmcnt(0)
	v_cmp_gt_i32_e64 s[0:1], v0, v1
	s_or_b64 s[0:1], vcc, s[0:1]
	s_and_saveexec_b64 s[8:9], s[0:1]
	s_cbranch_execz .LBB363_433
; %bb.435:                              ;   in Loop: Header=BB363_434 Depth=1
	flat_load_dword v16, v[14:15]
	ds_read2_b64 v[6:9], v29 offset1:1
	ds_read2_b64 v[0:3], v29 offset0:2 offset1:3
                                        ; implicit-def: $vgpr10
	s_waitcnt lgkmcnt(0)
	v_and_b32_e32 v4, 0x7f800000, v6
	v_cmp_ne_u32_e32 vcc, s15, v4
	s_and_saveexec_b64 s[0:1], vcc
	s_xor_b64 s[0:1], exec, s[0:1]
; %bb.436:                              ;   in Loop: Header=BB363_434 Depth=1
	v_bfe_u32 v4, v6, 16, 1
	v_add3_u32 v10, v6, v4, s20
; %bb.437:                              ;   in Loop: Header=BB363_434 Depth=1
	s_andn2_saveexec_b64 s[0:1], s[0:1]
; %bb.438:                              ;   in Loop: Header=BB363_434 Depth=1
	v_or_b32_e32 v4, 0x10000, v6
	v_cmp_eq_u32_sdwa vcc, v6, v37 src0_sel:WORD_0 src1_sel:DWORD
	s_nop 1
	v_cndmask_b32_e32 v10, v4, v6, vcc
; %bb.439:                              ;   in Loop: Header=BB363_434 Depth=1
	s_or_b64 exec, exec, s[0:1]
	v_and_b32_e32 v4, 0x7f800000, v7
	v_cmp_ne_u32_e32 vcc, s15, v4
                                        ; implicit-def: $vgpr11
	s_and_saveexec_b64 s[0:1], vcc
	s_xor_b64 s[0:1], exec, s[0:1]
; %bb.440:                              ;   in Loop: Header=BB363_434 Depth=1
	v_bfe_u32 v4, v7, 16, 1
	v_add3_u32 v11, v7, v4, s20
; %bb.441:                              ;   in Loop: Header=BB363_434 Depth=1
	s_andn2_saveexec_b64 s[0:1], s[0:1]
; %bb.442:                              ;   in Loop: Header=BB363_434 Depth=1
	v_or_b32_e32 v4, 0x10000, v7
	v_cmp_eq_u32_sdwa vcc, v7, v37 src0_sel:WORD_0 src1_sel:DWORD
	s_nop 1
	v_cndmask_b32_e32 v11, v4, v7, vcc
; %bb.443:                              ;   in Loop: Header=BB363_434 Depth=1
	s_or_b64 exec, exec, s[0:1]
	v_and_b32_e32 v4, 0x7f800000, v8
	v_cmp_ne_u32_e32 vcc, s15, v4
                                        ; implicit-def: $vgpr13
	s_and_saveexec_b64 s[0:1], vcc
	s_xor_b64 s[0:1], exec, s[0:1]
; %bb.444:                              ;   in Loop: Header=BB363_434 Depth=1
	v_bfe_u32 v4, v8, 16, 1
	v_add3_u32 v13, v8, v4, s20
; %bb.445:                              ;   in Loop: Header=BB363_434 Depth=1
	s_andn2_saveexec_b64 s[0:1], s[0:1]
; %bb.446:                              ;   in Loop: Header=BB363_434 Depth=1
	v_or_b32_e32 v4, 0x10000, v8
	v_cmp_eq_u32_sdwa vcc, v8, v37 src0_sel:WORD_0 src1_sel:DWORD
	s_nop 1
	v_cndmask_b32_e32 v13, v4, v8, vcc
; %bb.447:                              ;   in Loop: Header=BB363_434 Depth=1
	s_or_b64 exec, exec, s[0:1]
	v_and_b32_e32 v4, 0x7f800000, v9
	v_cmp_ne_u32_e32 vcc, s15, v4
                                        ; implicit-def: $vgpr12
	s_and_saveexec_b64 s[0:1], vcc
	s_xor_b64 s[0:1], exec, s[0:1]
; %bb.448:                              ;   in Loop: Header=BB363_434 Depth=1
	v_bfe_u32 v4, v9, 16, 1
	v_add3_u32 v12, v9, v4, s20
                                        ; implicit-def: $vgpr6_vgpr7_vgpr8_vgpr9
; %bb.449:                              ;   in Loop: Header=BB363_434 Depth=1
	s_andn2_saveexec_b64 s[0:1], s[0:1]
; %bb.450:                              ;   in Loop: Header=BB363_434 Depth=1
	v_or_b32_e32 v4, 0x10000, v9
	v_cmp_eq_u32_sdwa vcc, v9, v37 src0_sel:WORD_0 src1_sel:DWORD
	s_nop 1
	v_cndmask_b32_e32 v12, v4, v9, vcc
; %bb.451:                              ;   in Loop: Header=BB363_434 Depth=1
	s_or_b64 exec, exec, s[0:1]
	v_and_b32_e32 v4, 0x7f800000, v0
	v_cmp_ne_u32_e32 vcc, s15, v4
                                        ; implicit-def: $vgpr9
	s_and_saveexec_b64 s[0:1], vcc
	s_xor_b64 s[0:1], exec, s[0:1]
; %bb.452:                              ;   in Loop: Header=BB363_434 Depth=1
	v_bfe_u32 v4, v0, 16, 1
	v_add3_u32 v9, v0, v4, s20
; %bb.453:                              ;   in Loop: Header=BB363_434 Depth=1
	s_andn2_saveexec_b64 s[0:1], s[0:1]
; %bb.454:                              ;   in Loop: Header=BB363_434 Depth=1
	v_or_b32_e32 v4, 0x10000, v0
	v_cmp_eq_u32_sdwa vcc, v0, v37 src0_sel:WORD_0 src1_sel:DWORD
	s_nop 1
	v_cndmask_b32_e32 v9, v4, v0, vcc
; %bb.455:                              ;   in Loop: Header=BB363_434 Depth=1
	s_or_b64 exec, exec, s[0:1]
	v_and_b32_e32 v0, 0x7f800000, v1
	v_cmp_ne_u32_e32 vcc, s15, v0
                                        ; implicit-def: $vgpr8
	s_and_saveexec_b64 s[0:1], vcc
	s_xor_b64 s[0:1], exec, s[0:1]
; %bb.456:                              ;   in Loop: Header=BB363_434 Depth=1
	v_bfe_u32 v0, v1, 16, 1
	v_add3_u32 v8, v1, v0, s20
; %bb.457:                              ;   in Loop: Header=BB363_434 Depth=1
	s_andn2_saveexec_b64 s[0:1], s[0:1]
; %bb.458:                              ;   in Loop: Header=BB363_434 Depth=1
	v_or_b32_e32 v0, 0x10000, v1
	v_cmp_eq_u32_sdwa vcc, v1, v37 src0_sel:WORD_0 src1_sel:DWORD
	s_nop 1
	v_cndmask_b32_e32 v8, v0, v1, vcc
; %bb.459:                              ;   in Loop: Header=BB363_434 Depth=1
	s_or_b64 exec, exec, s[0:1]
	v_and_b32_e32 v0, 0x7f800000, v2
	v_cmp_ne_u32_e32 vcc, s15, v0
                                        ; implicit-def: $vgpr5
	s_and_saveexec_b64 s[0:1], vcc
	s_xor_b64 s[0:1], exec, s[0:1]
; %bb.460:                              ;   in Loop: Header=BB363_434 Depth=1
	v_bfe_u32 v0, v2, 16, 1
	v_add3_u32 v5, v2, v0, s20
; %bb.461:                              ;   in Loop: Header=BB363_434 Depth=1
	s_andn2_saveexec_b64 s[0:1], s[0:1]
; %bb.462:                              ;   in Loop: Header=BB363_434 Depth=1
	v_or_b32_e32 v0, 0x10000, v2
	v_cmp_eq_u32_sdwa vcc, v2, v37 src0_sel:WORD_0 src1_sel:DWORD
	s_nop 1
	v_cndmask_b32_e32 v5, v0, v2, vcc
; %bb.463:                              ;   in Loop: Header=BB363_434 Depth=1
	s_or_b64 exec, exec, s[0:1]
	v_and_b32_e32 v0, 0x7f800000, v3
	v_cmp_ne_u32_e32 vcc, s15, v0
                                        ; implicit-def: $vgpr4
	s_and_saveexec_b64 s[0:1], vcc
	s_xor_b64 s[0:1], exec, s[0:1]
; %bb.464:                              ;   in Loop: Header=BB363_434 Depth=1
	v_bfe_u32 v0, v3, 16, 1
	v_add3_u32 v4, v3, v0, s20
                                        ; implicit-def: $vgpr0_vgpr1_vgpr2_vgpr3
; %bb.465:                              ;   in Loop: Header=BB363_434 Depth=1
	s_andn2_saveexec_b64 s[0:1], s[0:1]
; %bb.466:                              ;   in Loop: Header=BB363_434 Depth=1
	v_or_b32_e32 v0, 0x10000, v3
	v_cmp_eq_u32_sdwa vcc, v3, v37 src0_sel:WORD_0 src1_sel:DWORD
	s_nop 1
	v_cndmask_b32_e32 v4, v0, v3, vcc
; %bb.467:                              ;   in Loop: Header=BB363_434 Depth=1
	s_or_b64 exec, exec, s[0:1]
	scratch_load_dwordx2 v[2:3], off, s32 offset:320 ; 8-byte Folded Reload
	scratch_load_dwordx2 v[0:1], off, s32 offset:236 ; 8-byte Folded Reload
	s_waitcnt vmcnt(0)
	v_mad_i64_i32 v[0:1], s[0:1], v16, v0, v[2:3]
	v_lshl_add_u64 v[2:3], v[0:1], 0, v[36:37]
	flat_load_dwordx2 v[6:7], v[2:3]
	scratch_load_dwordx2 v[16:17], off, s32 offset:460 ; 8-byte Folded Reload
	s_waitcnt vmcnt(0)
	flat_load_dword v60, v[16:17]
	s_waitcnt lgkmcnt(0)
	v_and_b32_e32 v16, 0xff, v6
	v_cvt_f32_fp8_sdwa v16, v16 src0_sel:BYTE_0
	s_waitcnt vmcnt(0)
	v_mul_f32_e32 v17, v60, v16
	v_and_b32_e32 v16, 0x7f800000, v17
	v_cmp_ne_u32_e32 vcc, s15, v16
                                        ; implicit-def: $vgpr16
	s_and_saveexec_b64 s[0:1], vcc
	s_xor_b64 s[0:1], exec, s[0:1]
; %bb.468:                              ;   in Loop: Header=BB363_434 Depth=1
	v_bfe_u32 v16, v17, 16, 1
	v_add3_u32 v16, v17, v16, s20
                                        ; implicit-def: $vgpr17
; %bb.469:                              ;   in Loop: Header=BB363_434 Depth=1
	s_andn2_saveexec_b64 s[0:1], s[0:1]
; %bb.470:                              ;   in Loop: Header=BB363_434 Depth=1
	v_or_b32_e32 v16, 0x10000, v17
	v_cmp_eq_u32_sdwa vcc, v17, v37 src0_sel:WORD_0 src1_sel:DWORD
	s_nop 1
	v_cndmask_b32_e32 v16, v16, v17, vcc
; %bb.471:                              ;   in Loop: Header=BB363_434 Depth=1
	s_or_b64 exec, exec, s[0:1]
	v_bfe_u32 v17, v6, 8, 8
	v_cvt_f32_fp8_sdwa v17, v17 src0_sel:BYTE_0
	s_nop 0
	v_mul_f32_e32 v18, v60, v17
	v_and_b32_e32 v17, 0x7f800000, v18
	v_cmp_ne_u32_e32 vcc, s15, v17
                                        ; implicit-def: $vgpr17
	s_and_saveexec_b64 s[0:1], vcc
	s_xor_b64 s[0:1], exec, s[0:1]
; %bb.472:                              ;   in Loop: Header=BB363_434 Depth=1
	v_bfe_u32 v17, v18, 16, 1
	v_add3_u32 v17, v18, v17, s20
                                        ; implicit-def: $vgpr18
; %bb.473:                              ;   in Loop: Header=BB363_434 Depth=1
	s_andn2_saveexec_b64 s[0:1], s[0:1]
; %bb.474:                              ;   in Loop: Header=BB363_434 Depth=1
	v_or_b32_e32 v17, 0x10000, v18
	v_cmp_eq_u32_sdwa vcc, v18, v37 src0_sel:WORD_0 src1_sel:DWORD
	s_nop 1
	v_cndmask_b32_e32 v17, v17, v18, vcc
; %bb.475:                              ;   in Loop: Header=BB363_434 Depth=1
	s_or_b64 exec, exec, s[0:1]
	v_bfe_u32 v18, v6, 16, 8
	v_cvt_f32_fp8_sdwa v18, v18 src0_sel:BYTE_0
	s_nop 0
	v_mul_f32_e32 v18, v60, v18
	v_and_b32_e32 v19, 0x7f800000, v18
	v_cmp_ne_u32_e32 vcc, s15, v19
                                        ; implicit-def: $vgpr19
	s_and_saveexec_b64 s[0:1], vcc
	s_xor_b64 s[0:1], exec, s[0:1]
; %bb.476:                              ;   in Loop: Header=BB363_434 Depth=1
	v_bfe_u32 v19, v18, 16, 1
	v_add3_u32 v19, v18, v19, s20
                                        ; implicit-def: $vgpr18
; %bb.477:                              ;   in Loop: Header=BB363_434 Depth=1
	s_andn2_saveexec_b64 s[0:1], s[0:1]
; %bb.478:                              ;   in Loop: Header=BB363_434 Depth=1
	v_or_b32_e32 v19, 0x10000, v18
	v_cmp_eq_u32_sdwa vcc, v18, v37 src0_sel:WORD_0 src1_sel:DWORD
	s_nop 1
	v_cndmask_b32_e32 v19, v19, v18, vcc
; %bb.479:                              ;   in Loop: Header=BB363_434 Depth=1
	s_or_b64 exec, exec, s[0:1]
	v_lshrrev_b32_e32 v6, 24, v6
	v_cvt_f32_fp8_sdwa v6, v6 src0_sel:BYTE_0
	s_nop 0
	v_mul_f32_e32 v18, v60, v6
	v_and_b32_e32 v6, 0x7f800000, v18
	v_cmp_ne_u32_e32 vcc, s15, v6
                                        ; implicit-def: $vgpr6
	s_and_saveexec_b64 s[0:1], vcc
	s_xor_b64 s[0:1], exec, s[0:1]
; %bb.480:                              ;   in Loop: Header=BB363_434 Depth=1
	v_bfe_u32 v6, v18, 16, 1
	v_add3_u32 v6, v18, v6, s20
                                        ; implicit-def: $vgpr18
; %bb.481:                              ;   in Loop: Header=BB363_434 Depth=1
	s_andn2_saveexec_b64 s[0:1], s[0:1]
; %bb.482:                              ;   in Loop: Header=BB363_434 Depth=1
	v_or_b32_e32 v6, 0x10000, v18
	v_cmp_eq_u32_sdwa vcc, v18, v37 src0_sel:WORD_0 src1_sel:DWORD
	s_nop 1
	v_cndmask_b32_e32 v6, v6, v18, vcc
; %bb.483:                              ;   in Loop: Header=BB363_434 Depth=1
	s_or_b64 exec, exec, s[0:1]
	v_and_b32_e32 v18, 0xff, v7
	v_cvt_f32_fp8_sdwa v18, v18 src0_sel:BYTE_0
	s_nop 0
	v_mul_f32_e32 v18, v60, v18
	v_and_b32_e32 v20, 0x7f800000, v18
	v_cmp_ne_u32_e32 vcc, s15, v20
                                        ; implicit-def: $vgpr20
	s_and_saveexec_b64 s[0:1], vcc
	s_xor_b64 s[0:1], exec, s[0:1]
; %bb.484:                              ;   in Loop: Header=BB363_434 Depth=1
	v_bfe_u32 v20, v18, 16, 1
	v_add3_u32 v20, v18, v20, s20
                                        ; implicit-def: $vgpr18
; %bb.485:                              ;   in Loop: Header=BB363_434 Depth=1
	s_andn2_saveexec_b64 s[0:1], s[0:1]
; %bb.486:                              ;   in Loop: Header=BB363_434 Depth=1
	v_or_b32_e32 v20, 0x10000, v18
	v_cmp_eq_u32_sdwa vcc, v18, v37 src0_sel:WORD_0 src1_sel:DWORD
	s_nop 1
	v_cndmask_b32_e32 v20, v20, v18, vcc
; %bb.487:                              ;   in Loop: Header=BB363_434 Depth=1
	s_or_b64 exec, exec, s[0:1]
	v_bfe_u32 v18, v7, 8, 8
	v_cvt_f32_fp8_sdwa v18, v18 src0_sel:BYTE_0
	s_nop 0
	v_mul_f32_e32 v21, v60, v18
	v_and_b32_e32 v18, 0x7f800000, v21
	v_cmp_ne_u32_e32 vcc, s15, v18
                                        ; implicit-def: $vgpr18
	s_and_saveexec_b64 s[0:1], vcc
	s_xor_b64 s[0:1], exec, s[0:1]
; %bb.488:                              ;   in Loop: Header=BB363_434 Depth=1
	v_bfe_u32 v18, v21, 16, 1
	v_add3_u32 v18, v21, v18, s20
                                        ; implicit-def: $vgpr21
; %bb.489:                              ;   in Loop: Header=BB363_434 Depth=1
	s_andn2_saveexec_b64 s[0:1], s[0:1]
; %bb.490:                              ;   in Loop: Header=BB363_434 Depth=1
	v_or_b32_e32 v18, 0x10000, v21
	v_cmp_eq_u32_sdwa vcc, v21, v37 src0_sel:WORD_0 src1_sel:DWORD
	s_nop 1
	v_cndmask_b32_e32 v18, v18, v21, vcc
; %bb.491:                              ;   in Loop: Header=BB363_434 Depth=1
	s_or_b64 exec, exec, s[0:1]
	v_bfe_u32 v21, v7, 16, 8
	v_cvt_f32_fp8_sdwa v21, v21 src0_sel:BYTE_0
	s_nop 0
	v_mul_f32_e32 v21, v60, v21
	v_and_b32_e32 v22, 0x7f800000, v21
	v_cmp_ne_u32_e32 vcc, s15, v22
                                        ; implicit-def: $vgpr22
	s_and_saveexec_b64 s[0:1], vcc
	s_xor_b64 s[0:1], exec, s[0:1]
; %bb.492:                              ;   in Loop: Header=BB363_434 Depth=1
	v_bfe_u32 v22, v21, 16, 1
	v_add3_u32 v22, v21, v22, s20
                                        ; implicit-def: $vgpr21
; %bb.493:                              ;   in Loop: Header=BB363_434 Depth=1
	s_andn2_saveexec_b64 s[0:1], s[0:1]
; %bb.494:                              ;   in Loop: Header=BB363_434 Depth=1
	v_or_b32_e32 v22, 0x10000, v21
	v_cmp_eq_u32_sdwa vcc, v21, v37 src0_sel:WORD_0 src1_sel:DWORD
	s_nop 1
	v_cndmask_b32_e32 v22, v22, v21, vcc
; %bb.495:                              ;   in Loop: Header=BB363_434 Depth=1
	s_or_b64 exec, exec, s[0:1]
	v_lshrrev_b32_e32 v7, 24, v7
	v_cvt_f32_fp8_sdwa v7, v7 src0_sel:BYTE_0
                                        ; implicit-def: $vgpr23
	s_nop 0
	v_mul_f32_e32 v7, v60, v7
	v_and_b32_e32 v21, 0x7f800000, v7
	v_cmp_ne_u32_e32 vcc, s15, v21
	s_and_saveexec_b64 s[0:1], vcc
	s_xor_b64 s[0:1], exec, s[0:1]
; %bb.496:                              ;   in Loop: Header=BB363_434 Depth=1
	v_bfe_u32 v21, v7, 16, 1
	v_add3_u32 v23, v7, v21, s20
                                        ; implicit-def: $vgpr7
; %bb.497:                              ;   in Loop: Header=BB363_434 Depth=1
	s_andn2_saveexec_b64 s[0:1], s[0:1]
; %bb.498:                              ;   in Loop: Header=BB363_434 Depth=1
	v_or_b32_e32 v21, 0x10000, v7
	v_cmp_eq_u32_sdwa vcc, v7, v37 src0_sel:WORD_0 src1_sel:DWORD
	s_nop 1
	v_cndmask_b32_e32 v23, v21, v7, vcc
; %bb.499:                              ;   in Loop: Header=BB363_434 Depth=1
	s_or_b64 exec, exec, s[0:1]
	scratch_load_dword v7, off, s32 offset:304 ; 4-byte Folded Reload
	scratch_load_dwordx2 v[24:25], off, s32 offset:200 ; 8-byte Folded Reload
	scratch_load_dword v21, off, s32 offset:300 ; 4-byte Folded Reload
	v_lshrrev_b32_e32 v18, 16, v18
	v_lshrrev_b32_e32 v20, 16, v20
	;; [unrolled: 1-line block ×5, first 2 shown]
	s_waitcnt vmcnt(1)
	v_cmp_eq_u32_e32 vcc, v7, v24
	v_accvgpr_read_b32 v7, a13
	s_waitcnt vmcnt(0)
	v_add_u32_e32 v55, v21, v7
	v_lshrrev_b32_e32 v7, 16, v22
	v_add_u32_e32 v22, 1, v55
	v_accvgpr_write_b32 a53, v22
	v_add_u32_e32 v22, 2, v55
	v_accvgpr_write_b32 a52, v22
	;; [unrolled: 2-line block ×6, first 2 shown]
	v_add_u32_e32 v22, 7, v55
	v_lshrrev_b32_e32 v21, 16, v6
	v_lshrrev_b32_e32 v6, 16, v23
	v_accvgpr_write_b32 a47, v22
	s_and_saveexec_b64 s[12:13], vcc
	s_cbranch_execz .LBB363_501
; %bb.500:                              ;   in Loop: Header=BB363_434 Depth=1
	scratch_load_dword v23, off, s32 offset:196 ; 4-byte Folded Reload
	v_accvgpr_read_b32 v22, a53
	s_waitcnt vmcnt(0)
	v_cmp_lt_i32_e64 s[0:1], v55, v23
	s_nop 1
	v_cndmask_b32_e64 v16, 0, v16, s[0:1]
	v_cmp_lt_i32_e64 s[0:1], v22, v23
	v_accvgpr_read_b32 v22, a52
	s_nop 0
	v_cndmask_b32_e64 v17, 0, v17, s[0:1]
	v_cmp_lt_i32_e64 s[0:1], v22, v23
	v_accvgpr_read_b32 v22, a51
	;; [unrolled: 4-line block ×6, first 2 shown]
	s_nop 0
	v_cndmask_b32_e64 v7, 0, v7, s[0:1]
	v_cmp_lt_i32_e64 s[0:1], v22, v23
	s_nop 1
	v_cndmask_b32_e64 v6, 0, v6, s[0:1]
.LBB363_501:                            ;   in Loop: Header=BB363_434 Depth=1
	s_or_b64 exec, exec, s[12:13]
	v_and_b32_e32 v10, 0xffff0000, v10
	v_lshlrev_b32_e32 v16, 16, v16
	v_mul_f32_e32 v16, v10, v16
	v_and_b32_e32 v22, 0x7f800000, v16
	v_cmp_ne_u32_e64 s[0:1], s15, v22
                                        ; implicit-def: $vgpr22
                                        ; kill: killed $vgpr22
	s_and_saveexec_b64 s[12:13], s[0:1]
	s_xor_b64 s[0:1], exec, s[12:13]
	s_cbranch_execz .LBB363_503
; %bb.502:                              ;   in Loop: Header=BB363_434 Depth=1
	v_bfe_u32 v22, v16, 16, 1
	v_add3_u32 v16, v16, v22, s20
	scratch_store_dword off, v16, s32 offset:284 ; 4-byte Folded Spill
                                        ; implicit-def: $vgpr16
.LBB363_503:                            ;   in Loop: Header=BB363_434 Depth=1
	s_andn2_saveexec_b64 s[12:13], s[0:1]
	s_cbranch_execz .LBB363_505
; %bb.504:                              ;   in Loop: Header=BB363_434 Depth=1
	v_or_b32_e32 v22, 0x10000, v16
	v_cmp_eq_u32_sdwa s[0:1], v16, v37 src0_sel:WORD_0 src1_sel:DWORD
	s_nop 1
	v_cndmask_b32_e64 v16, v22, v16, s[0:1]
	scratch_store_dword off, v16, s32 offset:284 ; 4-byte Folded Spill
.LBB363_505:                            ;   in Loop: Header=BB363_434 Depth=1
	s_or_b64 exec, exec, s[12:13]
	v_and_b32_e32 v11, 0xffff0000, v11
	v_lshlrev_b32_e32 v16, 16, v17
	v_mul_f32_e32 v16, v11, v16
	v_and_b32_e32 v17, 0x7f800000, v16
	v_cmp_ne_u32_e64 s[0:1], s15, v17
                                        ; implicit-def: $agpr31
	s_and_saveexec_b64 s[12:13], s[0:1]
	s_xor_b64 s[0:1], exec, s[12:13]
; %bb.506:                              ;   in Loop: Header=BB363_434 Depth=1
	v_bfe_u32 v17, v16, 16, 1
	v_add3_u32 v16, v16, v17, s20
	v_accvgpr_write_b32 a31, v16
                                        ; implicit-def: $vgpr16
; %bb.507:                              ;   in Loop: Header=BB363_434 Depth=1
	s_andn2_saveexec_b64 s[12:13], s[0:1]
; %bb.508:                              ;   in Loop: Header=BB363_434 Depth=1
	v_or_b32_e32 v17, 0x10000, v16
	v_cmp_eq_u32_sdwa s[0:1], v16, v37 src0_sel:WORD_0 src1_sel:DWORD
	s_nop 1
	v_cndmask_b32_e64 v16, v17, v16, s[0:1]
	v_accvgpr_write_b32 a31, v16
; %bb.509:                              ;   in Loop: Header=BB363_434 Depth=1
	s_or_b64 exec, exec, s[12:13]
	v_and_b32_e32 v30, 0xffff0000, v13
	v_lshlrev_b32_e32 v13, 16, v19
	v_mul_f32_e32 v13, v30, v13
	v_and_b32_e32 v16, 0x7f800000, v13
	v_cmp_ne_u32_e64 s[0:1], s15, v16
                                        ; implicit-def: $agpr41
	s_and_saveexec_b64 s[12:13], s[0:1]
	s_xor_b64 s[0:1], exec, s[12:13]
; %bb.510:                              ;   in Loop: Header=BB363_434 Depth=1
	v_bfe_u32 v16, v13, 16, 1
	v_add3_u32 v13, v13, v16, s20
	v_accvgpr_write_b32 a41, v13
                                        ; implicit-def: $vgpr13
; %bb.511:                              ;   in Loop: Header=BB363_434 Depth=1
	s_andn2_saveexec_b64 s[12:13], s[0:1]
; %bb.512:                              ;   in Loop: Header=BB363_434 Depth=1
	v_or_b32_e32 v16, 0x10000, v13
	v_cmp_eq_u32_sdwa s[0:1], v13, v37 src0_sel:WORD_0 src1_sel:DWORD
	s_nop 1
	v_cndmask_b32_e64 v13, v16, v13, s[0:1]
	v_accvgpr_write_b32 a41, v13
; %bb.513:                              ;   in Loop: Header=BB363_434 Depth=1
	s_or_b64 exec, exec, s[12:13]
	v_and_b32_e32 v31, 0xffff0000, v12
	v_lshlrev_b32_e32 v12, 16, v21
	v_mul_f32_e32 v12, v31, v12
	v_and_b32_e32 v13, 0x7f800000, v12
	v_cmp_ne_u32_e64 s[0:1], s15, v13
                                        ; implicit-def: $agpr42
	s_and_saveexec_b64 s[12:13], s[0:1]
	s_xor_b64 s[0:1], exec, s[12:13]
; %bb.514:                              ;   in Loop: Header=BB363_434 Depth=1
	v_bfe_u32 v13, v12, 16, 1
	v_add3_u32 v12, v12, v13, s20
	v_accvgpr_write_b32 a42, v12
                                        ; implicit-def: $vgpr12
; %bb.515:                              ;   in Loop: Header=BB363_434 Depth=1
	s_andn2_saveexec_b64 s[12:13], s[0:1]
; %bb.516:                              ;   in Loop: Header=BB363_434 Depth=1
	v_or_b32_e32 v13, 0x10000, v12
	v_cmp_eq_u32_sdwa s[0:1], v12, v37 src0_sel:WORD_0 src1_sel:DWORD
	s_nop 1
	v_cndmask_b32_e64 v12, v13, v12, s[0:1]
	v_accvgpr_write_b32 a42, v12
; %bb.517:                              ;   in Loop: Header=BB363_434 Depth=1
	s_or_b64 exec, exec, s[12:13]
	v_and_b32_e32 v26, 0xffff0000, v9
	v_lshlrev_b32_e32 v9, 16, v20
	v_mul_f32_e32 v9, v26, v9
	v_and_b32_e32 v12, 0x7f800000, v9
	v_cmp_ne_u32_e64 s[0:1], s15, v12
                                        ; implicit-def: $agpr43
	s_and_saveexec_b64 s[12:13], s[0:1]
	s_xor_b64 s[0:1], exec, s[12:13]
; %bb.518:                              ;   in Loop: Header=BB363_434 Depth=1
	v_bfe_u32 v12, v9, 16, 1
	v_add3_u32 v9, v9, v12, s20
	v_accvgpr_write_b32 a43, v9
                                        ; implicit-def: $vgpr9
; %bb.519:                              ;   in Loop: Header=BB363_434 Depth=1
	s_andn2_saveexec_b64 s[12:13], s[0:1]
; %bb.520:                              ;   in Loop: Header=BB363_434 Depth=1
	v_or_b32_e32 v12, 0x10000, v9
	v_cmp_eq_u32_sdwa s[0:1], v9, v37 src0_sel:WORD_0 src1_sel:DWORD
	s_nop 1
	v_cndmask_b32_e64 v9, v12, v9, s[0:1]
	v_accvgpr_write_b32 a43, v9
; %bb.521:                              ;   in Loop: Header=BB363_434 Depth=1
	s_or_b64 exec, exec, s[12:13]
	v_and_b32_e32 v27, 0xffff0000, v8
	v_lshlrev_b32_e32 v8, 16, v18
	v_mul_f32_e32 v8, v27, v8
	v_and_b32_e32 v9, 0x7f800000, v8
	v_cmp_ne_u32_e64 s[0:1], s15, v9
                                        ; implicit-def: $agpr44
	s_and_saveexec_b64 s[12:13], s[0:1]
	s_xor_b64 s[0:1], exec, s[12:13]
; %bb.522:                              ;   in Loop: Header=BB363_434 Depth=1
	v_bfe_u32 v9, v8, 16, 1
	v_add3_u32 v8, v8, v9, s20
	v_accvgpr_write_b32 a44, v8
                                        ; implicit-def: $vgpr8
; %bb.523:                              ;   in Loop: Header=BB363_434 Depth=1
	s_andn2_saveexec_b64 s[12:13], s[0:1]
; %bb.524:                              ;   in Loop: Header=BB363_434 Depth=1
	v_or_b32_e32 v9, 0x10000, v8
	v_cmp_eq_u32_sdwa s[0:1], v8, v37 src0_sel:WORD_0 src1_sel:DWORD
	s_nop 1
	v_cndmask_b32_e64 v8, v9, v8, s[0:1]
	v_accvgpr_write_b32 a44, v8
; %bb.525:                              ;   in Loop: Header=BB363_434 Depth=1
	s_or_b64 exec, exec, s[12:13]
	v_and_b32_e32 v38, 0xffff0000, v5
	v_lshlrev_b32_e32 v5, 16, v7
	v_mul_f32_e32 v5, v38, v5
	v_and_b32_e32 v7, 0x7f800000, v5
	v_cmp_ne_u32_e64 s[0:1], s15, v7
                                        ; implicit-def: $agpr45
	s_and_saveexec_b64 s[12:13], s[0:1]
	s_xor_b64 s[0:1], exec, s[12:13]
; %bb.526:                              ;   in Loop: Header=BB363_434 Depth=1
	v_bfe_u32 v7, v5, 16, 1
	v_add3_u32 v5, v5, v7, s20
	v_accvgpr_write_b32 a45, v5
                                        ; implicit-def: $vgpr5
; %bb.527:                              ;   in Loop: Header=BB363_434 Depth=1
	s_andn2_saveexec_b64 s[12:13], s[0:1]
; %bb.528:                              ;   in Loop: Header=BB363_434 Depth=1
	v_or_b32_e32 v7, 0x10000, v5
	v_cmp_eq_u32_sdwa s[0:1], v5, v37 src0_sel:WORD_0 src1_sel:DWORD
	s_nop 1
	v_cndmask_b32_e64 v5, v7, v5, s[0:1]
	v_accvgpr_write_b32 a45, v5
; %bb.529:                              ;   in Loop: Header=BB363_434 Depth=1
	s_or_b64 exec, exec, s[12:13]
	v_and_b32_e32 v39, 0xffff0000, v4
	v_lshlrev_b32_e32 v4, 16, v6
	v_mul_f32_e32 v4, v39, v4
	v_and_b32_e32 v5, 0x7f800000, v4
	v_cmp_ne_u32_e64 s[0:1], s15, v5
                                        ; implicit-def: $agpr46
	s_and_saveexec_b64 s[12:13], s[0:1]
	s_xor_b64 s[0:1], exec, s[12:13]
; %bb.530:                              ;   in Loop: Header=BB363_434 Depth=1
	v_bfe_u32 v5, v4, 16, 1
	v_add3_u32 v4, v4, v5, s20
	v_accvgpr_write_b32 a46, v4
                                        ; implicit-def: $vgpr4
; %bb.531:                              ;   in Loop: Header=BB363_434 Depth=1
	s_andn2_saveexec_b64 s[12:13], s[0:1]
; %bb.532:                              ;   in Loop: Header=BB363_434 Depth=1
	v_or_b32_e32 v5, 0x10000, v4
	v_cmp_eq_u32_sdwa s[0:1], v4, v37 src0_sel:WORD_0 src1_sel:DWORD
	s_nop 1
	v_cndmask_b32_e64 v4, v5, v4, s[0:1]
	v_accvgpr_write_b32 a46, v4
; %bb.533:                              ;   in Loop: Header=BB363_434 Depth=1
	s_or_b64 exec, exec, s[12:13]
	flat_load_dwordx2 v[6:7], v[2:3] offset:512
	s_waitcnt vmcnt(0) lgkmcnt(0)
	v_and_b32_e32 v4, 0xff, v6
	v_cvt_f32_fp8_sdwa v4, v4 src0_sel:BYTE_0
	s_nop 0
	v_mul_f32_e32 v5, v60, v4
	v_and_b32_e32 v4, 0x7f800000, v5
	v_cmp_ne_u32_e64 s[0:1], s15, v4
                                        ; implicit-def: $vgpr4
	s_and_saveexec_b64 s[12:13], s[0:1]
	s_xor_b64 s[0:1], exec, s[12:13]
; %bb.534:                              ;   in Loop: Header=BB363_434 Depth=1
	v_bfe_u32 v4, v5, 16, 1
	v_add3_u32 v4, v5, v4, s20
                                        ; implicit-def: $vgpr5
; %bb.535:                              ;   in Loop: Header=BB363_434 Depth=1
	s_andn2_saveexec_b64 s[12:13], s[0:1]
; %bb.536:                              ;   in Loop: Header=BB363_434 Depth=1
	v_or_b32_e32 v4, 0x10000, v5
	v_cmp_eq_u32_sdwa s[0:1], v5, v37 src0_sel:WORD_0 src1_sel:DWORD
	s_nop 1
	v_cndmask_b32_e64 v4, v4, v5, s[0:1]
; %bb.537:                              ;   in Loop: Header=BB363_434 Depth=1
	s_or_b64 exec, exec, s[12:13]
	v_bfe_u32 v5, v6, 8, 8
	v_cvt_f32_fp8_sdwa v5, v5 src0_sel:BYTE_0
	s_nop 0
	v_mul_f32_e32 v8, v60, v5
	v_and_b32_e32 v5, 0x7f800000, v8
	v_cmp_ne_u32_e64 s[0:1], s15, v5
                                        ; implicit-def: $vgpr5
	s_and_saveexec_b64 s[12:13], s[0:1]
	s_xor_b64 s[0:1], exec, s[12:13]
; %bb.538:                              ;   in Loop: Header=BB363_434 Depth=1
	v_bfe_u32 v5, v8, 16, 1
	v_add3_u32 v5, v8, v5, s20
                                        ; implicit-def: $vgpr8
; %bb.539:                              ;   in Loop: Header=BB363_434 Depth=1
	s_andn2_saveexec_b64 s[12:13], s[0:1]
; %bb.540:                              ;   in Loop: Header=BB363_434 Depth=1
	v_or_b32_e32 v5, 0x10000, v8
	v_cmp_eq_u32_sdwa s[0:1], v8, v37 src0_sel:WORD_0 src1_sel:DWORD
	s_nop 1
	v_cndmask_b32_e64 v5, v5, v8, s[0:1]
; %bb.541:                              ;   in Loop: Header=BB363_434 Depth=1
	s_or_b64 exec, exec, s[12:13]
	v_bfe_u32 v8, v6, 16, 8
	v_cvt_f32_fp8_sdwa v8, v8 src0_sel:BYTE_0
	s_nop 0
	v_mul_f32_e32 v9, v60, v8
	v_and_b32_e32 v8, 0x7f800000, v9
	v_cmp_ne_u32_e64 s[0:1], s15, v8
                                        ; implicit-def: $vgpr8
	s_and_saveexec_b64 s[12:13], s[0:1]
	s_xor_b64 s[0:1], exec, s[12:13]
; %bb.542:                              ;   in Loop: Header=BB363_434 Depth=1
	v_bfe_u32 v8, v9, 16, 1
	v_add3_u32 v8, v9, v8, s20
                                        ; implicit-def: $vgpr9
; %bb.543:                              ;   in Loop: Header=BB363_434 Depth=1
	s_andn2_saveexec_b64 s[12:13], s[0:1]
; %bb.544:                              ;   in Loop: Header=BB363_434 Depth=1
	v_or_b32_e32 v8, 0x10000, v9
	v_cmp_eq_u32_sdwa s[0:1], v9, v37 src0_sel:WORD_0 src1_sel:DWORD
	s_nop 1
	v_cndmask_b32_e64 v8, v8, v9, s[0:1]
; %bb.545:                              ;   in Loop: Header=BB363_434 Depth=1
	s_or_b64 exec, exec, s[12:13]
	v_lshrrev_b32_e32 v6, 24, v6
	v_cvt_f32_fp8_sdwa v6, v6 src0_sel:BYTE_0
	s_nop 0
	v_mul_f32_e32 v6, v60, v6
	v_and_b32_e32 v9, 0x7f800000, v6
	v_cmp_ne_u32_e64 s[0:1], s15, v9
                                        ; implicit-def: $vgpr9
	s_and_saveexec_b64 s[12:13], s[0:1]
	s_xor_b64 s[0:1], exec, s[12:13]
; %bb.546:                              ;   in Loop: Header=BB363_434 Depth=1
	v_bfe_u32 v9, v6, 16, 1
	v_add3_u32 v9, v6, v9, s20
                                        ; implicit-def: $vgpr6
; %bb.547:                              ;   in Loop: Header=BB363_434 Depth=1
	s_andn2_saveexec_b64 s[12:13], s[0:1]
; %bb.548:                              ;   in Loop: Header=BB363_434 Depth=1
	v_or_b32_e32 v9, 0x10000, v6
	v_cmp_eq_u32_sdwa s[0:1], v6, v37 src0_sel:WORD_0 src1_sel:DWORD
	s_nop 1
	v_cndmask_b32_e64 v9, v9, v6, s[0:1]
; %bb.549:                              ;   in Loop: Header=BB363_434 Depth=1
	s_or_b64 exec, exec, s[12:13]
	v_and_b32_e32 v6, 0xff, v7
	v_cvt_f32_fp8_sdwa v6, v6 src0_sel:BYTE_0
	s_nop 0
	v_mul_f32_e32 v6, v60, v6
	v_and_b32_e32 v12, 0x7f800000, v6
	v_cmp_ne_u32_e64 s[0:1], s15, v12
                                        ; implicit-def: $vgpr12
	s_and_saveexec_b64 s[12:13], s[0:1]
	s_xor_b64 s[0:1], exec, s[12:13]
; %bb.550:                              ;   in Loop: Header=BB363_434 Depth=1
	v_bfe_u32 v12, v6, 16, 1
	v_add3_u32 v12, v6, v12, s20
                                        ; implicit-def: $vgpr6
; %bb.551:                              ;   in Loop: Header=BB363_434 Depth=1
	s_andn2_saveexec_b64 s[12:13], s[0:1]
; %bb.552:                              ;   in Loop: Header=BB363_434 Depth=1
	v_or_b32_e32 v12, 0x10000, v6
	v_cmp_eq_u32_sdwa s[0:1], v6, v37 src0_sel:WORD_0 src1_sel:DWORD
	s_nop 1
	v_cndmask_b32_e64 v12, v12, v6, s[0:1]
; %bb.553:                              ;   in Loop: Header=BB363_434 Depth=1
	s_or_b64 exec, exec, s[12:13]
	v_bfe_u32 v6, v7, 8, 8
	v_cvt_f32_fp8_sdwa v6, v6 src0_sel:BYTE_0
	s_nop 0
	v_mul_f32_e32 v13, v60, v6
	v_and_b32_e32 v6, 0x7f800000, v13
	v_cmp_ne_u32_e64 s[0:1], s15, v6
                                        ; implicit-def: $vgpr6
	s_and_saveexec_b64 s[12:13], s[0:1]
	s_xor_b64 s[0:1], exec, s[12:13]
; %bb.554:                              ;   in Loop: Header=BB363_434 Depth=1
	v_bfe_u32 v6, v13, 16, 1
	v_add3_u32 v6, v13, v6, s20
                                        ; implicit-def: $vgpr13
; %bb.555:                              ;   in Loop: Header=BB363_434 Depth=1
	s_andn2_saveexec_b64 s[12:13], s[0:1]
; %bb.556:                              ;   in Loop: Header=BB363_434 Depth=1
	v_or_b32_e32 v6, 0x10000, v13
	v_cmp_eq_u32_sdwa s[0:1], v13, v37 src0_sel:WORD_0 src1_sel:DWORD
	s_nop 1
	v_cndmask_b32_e64 v6, v6, v13, s[0:1]
; %bb.557:                              ;   in Loop: Header=BB363_434 Depth=1
	s_or_b64 exec, exec, s[12:13]
	v_bfe_u32 v13, v7, 16, 8
	v_cvt_f32_fp8_sdwa v13, v13 src0_sel:BYTE_0
	s_nop 0
	v_mul_f32_e32 v16, v60, v13
	v_and_b32_e32 v13, 0x7f800000, v16
	v_cmp_ne_u32_e64 s[0:1], s15, v13
                                        ; implicit-def: $vgpr13
	s_and_saveexec_b64 s[12:13], s[0:1]
	s_xor_b64 s[0:1], exec, s[12:13]
; %bb.558:                              ;   in Loop: Header=BB363_434 Depth=1
	v_bfe_u32 v13, v16, 16, 1
	v_add3_u32 v13, v16, v13, s20
                                        ; implicit-def: $vgpr16
; %bb.559:                              ;   in Loop: Header=BB363_434 Depth=1
	s_andn2_saveexec_b64 s[12:13], s[0:1]
; %bb.560:                              ;   in Loop: Header=BB363_434 Depth=1
	v_or_b32_e32 v13, 0x10000, v16
	v_cmp_eq_u32_sdwa s[0:1], v16, v37 src0_sel:WORD_0 src1_sel:DWORD
	s_nop 1
	v_cndmask_b32_e64 v13, v13, v16, s[0:1]
; %bb.561:                              ;   in Loop: Header=BB363_434 Depth=1
	s_or_b64 exec, exec, s[12:13]
	v_lshrrev_b32_e32 v7, 24, v7
	v_cvt_f32_fp8_sdwa v7, v7 src0_sel:BYTE_0
                                        ; implicit-def: $vgpr17
	s_nop 0
	v_mul_f32_e32 v7, v60, v7
	v_and_b32_e32 v16, 0x7f800000, v7
	v_cmp_ne_u32_e64 s[0:1], s15, v16
	s_and_saveexec_b64 s[12:13], s[0:1]
	s_xor_b64 s[0:1], exec, s[12:13]
; %bb.562:                              ;   in Loop: Header=BB363_434 Depth=1
	v_bfe_u32 v16, v7, 16, 1
	v_add3_u32 v17, v7, v16, s20
                                        ; implicit-def: $vgpr7
; %bb.563:                              ;   in Loop: Header=BB363_434 Depth=1
	s_andn2_saveexec_b64 s[12:13], s[0:1]
; %bb.564:                              ;   in Loop: Header=BB363_434 Depth=1
	v_or_b32_e32 v16, 0x10000, v7
	v_cmp_eq_u32_sdwa s[0:1], v7, v37 src0_sel:WORD_0 src1_sel:DWORD
	s_nop 1
	v_cndmask_b32_e64 v17, v16, v7, s[0:1]
; %bb.565:                              ;   in Loop: Header=BB363_434 Depth=1
	s_or_b64 exec, exec, s[12:13]
	v_lshrrev_b32_e32 v6, 16, v6
	v_lshrrev_b32_e32 v7, 16, v12
	;; [unrolled: 1-line block ×8, first 2 shown]
	s_and_saveexec_b64 s[12:13], vcc
	s_cbranch_execz .LBB363_567
; %bb.566:                              ;   in Loop: Header=BB363_434 Depth=1
	scratch_load_dword v17, off, s32 offset:196 ; 4-byte Folded Reload
	v_accvgpr_read_b32 v13, a53
	s_waitcnt vmcnt(0)
	v_cmp_lt_i32_e64 s[0:1], v55, v17
	s_nop 1
	v_cndmask_b32_e64 v16, 0, v16, s[0:1]
	v_cmp_lt_i32_e64 s[0:1], v13, v17
	v_accvgpr_read_b32 v13, a52
	s_nop 0
	v_cndmask_b32_e64 v12, 0, v12, s[0:1]
	v_cmp_lt_i32_e64 s[0:1], v13, v17
	v_accvgpr_read_b32 v13, a51
	;; [unrolled: 4-line block ×6, first 2 shown]
	s_nop 0
	v_cndmask_b32_e64 v5, 0, v5, s[0:1]
	v_cmp_lt_i32_e64 s[0:1], v13, v17
	s_nop 1
	v_cndmask_b32_e64 v4, 0, v4, s[0:1]
.LBB363_567:                            ;   in Loop: Header=BB363_434 Depth=1
	s_or_b64 exec, exec, s[12:13]
	v_lshlrev_b32_e32 v13, 16, v16
	v_mul_f32_e32 v13, v10, v13
	v_and_b32_e32 v16, 0x7f800000, v13
	v_cmp_ne_u32_e64 s[0:1], s15, v16
                                        ; implicit-def: $agpr54
	s_and_saveexec_b64 s[12:13], s[0:1]
	s_xor_b64 s[0:1], exec, s[12:13]
; %bb.568:                              ;   in Loop: Header=BB363_434 Depth=1
	v_bfe_u32 v16, v13, 16, 1
	v_add3_u32 v13, v13, v16, s20
	v_accvgpr_write_b32 a54, v13
                                        ; implicit-def: $vgpr13
; %bb.569:                              ;   in Loop: Header=BB363_434 Depth=1
	s_andn2_saveexec_b64 s[12:13], s[0:1]
; %bb.570:                              ;   in Loop: Header=BB363_434 Depth=1
	v_or_b32_e32 v16, 0x10000, v13
	v_cmp_eq_u32_sdwa s[0:1], v13, v37 src0_sel:WORD_0 src1_sel:DWORD
	s_nop 1
	v_cndmask_b32_e64 v13, v16, v13, s[0:1]
	v_accvgpr_write_b32 a54, v13
; %bb.571:                              ;   in Loop: Header=BB363_434 Depth=1
	s_or_b64 exec, exec, s[12:13]
	v_lshlrev_b32_e32 v12, 16, v12
	v_mul_f32_e32 v12, v11, v12
	v_and_b32_e32 v13, 0x7f800000, v12
	v_cmp_ne_u32_e64 s[0:1], s15, v13
                                        ; implicit-def: $agpr55
	s_and_saveexec_b64 s[12:13], s[0:1]
	s_xor_b64 s[0:1], exec, s[12:13]
; %bb.572:                              ;   in Loop: Header=BB363_434 Depth=1
	v_bfe_u32 v13, v12, 16, 1
	v_add3_u32 v12, v12, v13, s20
	v_accvgpr_write_b32 a55, v12
                                        ; implicit-def: $vgpr12
; %bb.573:                              ;   in Loop: Header=BB363_434 Depth=1
	s_andn2_saveexec_b64 s[12:13], s[0:1]
; %bb.574:                              ;   in Loop: Header=BB363_434 Depth=1
	v_or_b32_e32 v13, 0x10000, v12
	v_cmp_eq_u32_sdwa s[0:1], v12, v37 src0_sel:WORD_0 src1_sel:DWORD
	s_nop 1
	v_cndmask_b32_e64 v12, v13, v12, s[0:1]
	v_accvgpr_write_b32 a55, v12
; %bb.575:                              ;   in Loop: Header=BB363_434 Depth=1
	s_or_b64 exec, exec, s[12:13]
	v_lshlrev_b32_e32 v8, 16, v8
	v_mul_f32_e32 v8, v30, v8
	v_and_b32_e32 v12, 0x7f800000, v8
	v_cmp_ne_u32_e64 s[0:1], s15, v12
                                        ; implicit-def: $agpr56
	s_and_saveexec_b64 s[12:13], s[0:1]
	s_xor_b64 s[0:1], exec, s[12:13]
; %bb.576:                              ;   in Loop: Header=BB363_434 Depth=1
	v_bfe_u32 v12, v8, 16, 1
	v_add3_u32 v8, v8, v12, s20
	v_accvgpr_write_b32 a56, v8
                                        ; implicit-def: $vgpr8
; %bb.577:                              ;   in Loop: Header=BB363_434 Depth=1
	s_andn2_saveexec_b64 s[12:13], s[0:1]
; %bb.578:                              ;   in Loop: Header=BB363_434 Depth=1
	v_or_b32_e32 v12, 0x10000, v8
	v_cmp_eq_u32_sdwa s[0:1], v8, v37 src0_sel:WORD_0 src1_sel:DWORD
	s_nop 1
	v_cndmask_b32_e64 v8, v12, v8, s[0:1]
	v_accvgpr_write_b32 a56, v8
; %bb.579:                              ;   in Loop: Header=BB363_434 Depth=1
	s_or_b64 exec, exec, s[12:13]
	v_lshlrev_b32_e32 v8, 16, v9
	v_mul_f32_e32 v8, v31, v8
	v_and_b32_e32 v9, 0x7f800000, v8
	v_cmp_ne_u32_e64 s[0:1], s15, v9
                                        ; implicit-def: $agpr57
	s_and_saveexec_b64 s[12:13], s[0:1]
	s_xor_b64 s[0:1], exec, s[12:13]
; %bb.580:                              ;   in Loop: Header=BB363_434 Depth=1
	v_bfe_u32 v9, v8, 16, 1
	v_add3_u32 v8, v8, v9, s20
	v_accvgpr_write_b32 a57, v8
                                        ; implicit-def: $vgpr8
; %bb.581:                              ;   in Loop: Header=BB363_434 Depth=1
	s_andn2_saveexec_b64 s[12:13], s[0:1]
; %bb.582:                              ;   in Loop: Header=BB363_434 Depth=1
	v_or_b32_e32 v9, 0x10000, v8
	v_cmp_eq_u32_sdwa s[0:1], v8, v37 src0_sel:WORD_0 src1_sel:DWORD
	s_nop 1
	v_cndmask_b32_e64 v8, v9, v8, s[0:1]
	v_accvgpr_write_b32 a57, v8
; %bb.583:                              ;   in Loop: Header=BB363_434 Depth=1
	s_or_b64 exec, exec, s[12:13]
	v_lshlrev_b32_e32 v7, 16, v7
	v_mul_f32_e32 v7, v26, v7
	v_and_b32_e32 v8, 0x7f800000, v7
	v_cmp_ne_u32_e64 s[0:1], s15, v8
                                        ; implicit-def: $agpr58
	s_and_saveexec_b64 s[12:13], s[0:1]
	s_xor_b64 s[0:1], exec, s[12:13]
; %bb.584:                              ;   in Loop: Header=BB363_434 Depth=1
	v_bfe_u32 v8, v7, 16, 1
	v_add3_u32 v7, v7, v8, s20
	v_accvgpr_write_b32 a58, v7
                                        ; implicit-def: $vgpr7
; %bb.585:                              ;   in Loop: Header=BB363_434 Depth=1
	s_andn2_saveexec_b64 s[12:13], s[0:1]
; %bb.586:                              ;   in Loop: Header=BB363_434 Depth=1
	v_or_b32_e32 v8, 0x10000, v7
	v_cmp_eq_u32_sdwa s[0:1], v7, v37 src0_sel:WORD_0 src1_sel:DWORD
	s_nop 1
	v_cndmask_b32_e64 v7, v8, v7, s[0:1]
	v_accvgpr_write_b32 a58, v7
; %bb.587:                              ;   in Loop: Header=BB363_434 Depth=1
	s_or_b64 exec, exec, s[12:13]
	v_lshlrev_b32_e32 v6, 16, v6
	v_mul_f32_e32 v6, v27, v6
	v_and_b32_e32 v7, 0x7f800000, v6
	v_cmp_ne_u32_e64 s[0:1], s15, v7
                                        ; implicit-def: $agpr59
	s_and_saveexec_b64 s[12:13], s[0:1]
	s_xor_b64 s[0:1], exec, s[12:13]
; %bb.588:                              ;   in Loop: Header=BB363_434 Depth=1
	v_bfe_u32 v7, v6, 16, 1
	v_add3_u32 v6, v6, v7, s20
	v_accvgpr_write_b32 a59, v6
                                        ; implicit-def: $vgpr6
; %bb.589:                              ;   in Loop: Header=BB363_434 Depth=1
	s_andn2_saveexec_b64 s[12:13], s[0:1]
; %bb.590:                              ;   in Loop: Header=BB363_434 Depth=1
	v_or_b32_e32 v7, 0x10000, v6
	v_cmp_eq_u32_sdwa s[0:1], v6, v37 src0_sel:WORD_0 src1_sel:DWORD
	s_nop 1
	v_cndmask_b32_e64 v6, v7, v6, s[0:1]
	v_accvgpr_write_b32 a59, v6
; %bb.591:                              ;   in Loop: Header=BB363_434 Depth=1
	s_or_b64 exec, exec, s[12:13]
	v_lshlrev_b32_e32 v5, 16, v5
	v_mul_f32_e32 v5, v38, v5
	v_and_b32_e32 v6, 0x7f800000, v5
	v_cmp_ne_u32_e64 s[0:1], s15, v6
                                        ; implicit-def: $agpr60
	s_and_saveexec_b64 s[12:13], s[0:1]
	s_xor_b64 s[0:1], exec, s[12:13]
; %bb.592:                              ;   in Loop: Header=BB363_434 Depth=1
	v_bfe_u32 v6, v5, 16, 1
	v_add3_u32 v5, v5, v6, s20
	v_accvgpr_write_b32 a60, v5
                                        ; implicit-def: $vgpr5
; %bb.593:                              ;   in Loop: Header=BB363_434 Depth=1
	s_andn2_saveexec_b64 s[12:13], s[0:1]
; %bb.594:                              ;   in Loop: Header=BB363_434 Depth=1
	v_or_b32_e32 v6, 0x10000, v5
	v_cmp_eq_u32_sdwa s[0:1], v5, v37 src0_sel:WORD_0 src1_sel:DWORD
	s_nop 1
	v_cndmask_b32_e64 v5, v6, v5, s[0:1]
	v_accvgpr_write_b32 a60, v5
; %bb.595:                              ;   in Loop: Header=BB363_434 Depth=1
	s_or_b64 exec, exec, s[12:13]
	v_lshlrev_b32_e32 v4, 16, v4
	v_mul_f32_e32 v4, v39, v4
	v_and_b32_e32 v5, 0x7f800000, v4
	v_cmp_ne_u32_e64 s[0:1], s15, v5
                                        ; implicit-def: $agpr61
	s_and_saveexec_b64 s[12:13], s[0:1]
	s_xor_b64 s[0:1], exec, s[12:13]
; %bb.596:                              ;   in Loop: Header=BB363_434 Depth=1
	v_bfe_u32 v5, v4, 16, 1
	v_add3_u32 v4, v4, v5, s20
	v_accvgpr_write_b32 a61, v4
                                        ; implicit-def: $vgpr4
; %bb.597:                              ;   in Loop: Header=BB363_434 Depth=1
	s_andn2_saveexec_b64 s[12:13], s[0:1]
; %bb.598:                              ;   in Loop: Header=BB363_434 Depth=1
	v_or_b32_e32 v5, 0x10000, v4
	v_cmp_eq_u32_sdwa s[0:1], v4, v37 src0_sel:WORD_0 src1_sel:DWORD
	s_nop 1
	v_cndmask_b32_e64 v4, v5, v4, s[0:1]
	v_accvgpr_write_b32 a61, v4
; %bb.599:                              ;   in Loop: Header=BB363_434 Depth=1
	s_or_b64 exec, exec, s[12:13]
	flat_load_dwordx2 v[6:7], v[2:3] offset:1024
	s_waitcnt vmcnt(0) lgkmcnt(0)
	v_and_b32_e32 v4, 0xff, v6
	v_cvt_f32_fp8_sdwa v4, v4 src0_sel:BYTE_0
	s_nop 0
	v_mul_f32_e32 v5, v60, v4
	v_and_b32_e32 v4, 0x7f800000, v5
	v_cmp_ne_u32_e64 s[0:1], s15, v4
                                        ; implicit-def: $vgpr4
	s_and_saveexec_b64 s[12:13], s[0:1]
	s_xor_b64 s[0:1], exec, s[12:13]
; %bb.600:                              ;   in Loop: Header=BB363_434 Depth=1
	v_bfe_u32 v4, v5, 16, 1
	v_add3_u32 v4, v5, v4, s20
                                        ; implicit-def: $vgpr5
; %bb.601:                              ;   in Loop: Header=BB363_434 Depth=1
	s_andn2_saveexec_b64 s[12:13], s[0:1]
; %bb.602:                              ;   in Loop: Header=BB363_434 Depth=1
	v_or_b32_e32 v4, 0x10000, v5
	v_cmp_eq_u32_sdwa s[0:1], v5, v37 src0_sel:WORD_0 src1_sel:DWORD
	s_nop 1
	v_cndmask_b32_e64 v4, v4, v5, s[0:1]
; %bb.603:                              ;   in Loop: Header=BB363_434 Depth=1
	s_or_b64 exec, exec, s[12:13]
	v_bfe_u32 v5, v6, 8, 8
	v_cvt_f32_fp8_sdwa v5, v5 src0_sel:BYTE_0
	s_nop 0
	v_mul_f32_e32 v8, v60, v5
	v_and_b32_e32 v5, 0x7f800000, v8
	v_cmp_ne_u32_e64 s[0:1], s15, v5
                                        ; implicit-def: $vgpr5
	s_and_saveexec_b64 s[12:13], s[0:1]
	s_xor_b64 s[0:1], exec, s[12:13]
; %bb.604:                              ;   in Loop: Header=BB363_434 Depth=1
	v_bfe_u32 v5, v8, 16, 1
	v_add3_u32 v5, v8, v5, s20
                                        ; implicit-def: $vgpr8
; %bb.605:                              ;   in Loop: Header=BB363_434 Depth=1
	s_andn2_saveexec_b64 s[12:13], s[0:1]
; %bb.606:                              ;   in Loop: Header=BB363_434 Depth=1
	v_or_b32_e32 v5, 0x10000, v8
	v_cmp_eq_u32_sdwa s[0:1], v8, v37 src0_sel:WORD_0 src1_sel:DWORD
	s_nop 1
	v_cndmask_b32_e64 v5, v5, v8, s[0:1]
; %bb.607:                              ;   in Loop: Header=BB363_434 Depth=1
	s_or_b64 exec, exec, s[12:13]
	v_bfe_u32 v8, v6, 16, 8
	v_cvt_f32_fp8_sdwa v8, v8 src0_sel:BYTE_0
	s_nop 0
	v_mul_f32_e32 v9, v60, v8
	v_and_b32_e32 v8, 0x7f800000, v9
	v_cmp_ne_u32_e64 s[0:1], s15, v8
                                        ; implicit-def: $vgpr8
	s_and_saveexec_b64 s[12:13], s[0:1]
	s_xor_b64 s[0:1], exec, s[12:13]
; %bb.608:                              ;   in Loop: Header=BB363_434 Depth=1
	v_bfe_u32 v8, v9, 16, 1
	v_add3_u32 v8, v9, v8, s20
                                        ; implicit-def: $vgpr9
; %bb.609:                              ;   in Loop: Header=BB363_434 Depth=1
	s_andn2_saveexec_b64 s[12:13], s[0:1]
; %bb.610:                              ;   in Loop: Header=BB363_434 Depth=1
	v_or_b32_e32 v8, 0x10000, v9
	v_cmp_eq_u32_sdwa s[0:1], v9, v37 src0_sel:WORD_0 src1_sel:DWORD
	s_nop 1
	v_cndmask_b32_e64 v8, v8, v9, s[0:1]
; %bb.611:                              ;   in Loop: Header=BB363_434 Depth=1
	s_or_b64 exec, exec, s[12:13]
	v_lshrrev_b32_e32 v6, 24, v6
	v_cvt_f32_fp8_sdwa v6, v6 src0_sel:BYTE_0
	s_nop 0
	v_mul_f32_e32 v6, v60, v6
	v_and_b32_e32 v9, 0x7f800000, v6
	v_cmp_ne_u32_e64 s[0:1], s15, v9
                                        ; implicit-def: $vgpr9
	s_and_saveexec_b64 s[12:13], s[0:1]
	s_xor_b64 s[0:1], exec, s[12:13]
; %bb.612:                              ;   in Loop: Header=BB363_434 Depth=1
	v_bfe_u32 v9, v6, 16, 1
	v_add3_u32 v9, v6, v9, s20
                                        ; implicit-def: $vgpr6
; %bb.613:                              ;   in Loop: Header=BB363_434 Depth=1
	s_andn2_saveexec_b64 s[12:13], s[0:1]
; %bb.614:                              ;   in Loop: Header=BB363_434 Depth=1
	v_or_b32_e32 v9, 0x10000, v6
	v_cmp_eq_u32_sdwa s[0:1], v6, v37 src0_sel:WORD_0 src1_sel:DWORD
	s_nop 1
	v_cndmask_b32_e64 v9, v9, v6, s[0:1]
; %bb.615:                              ;   in Loop: Header=BB363_434 Depth=1
	s_or_b64 exec, exec, s[12:13]
	v_and_b32_e32 v6, 0xff, v7
	v_cvt_f32_fp8_sdwa v6, v6 src0_sel:BYTE_0
	s_nop 0
	v_mul_f32_e32 v6, v60, v6
	v_and_b32_e32 v12, 0x7f800000, v6
	v_cmp_ne_u32_e64 s[0:1], s15, v12
                                        ; implicit-def: $vgpr12
	s_and_saveexec_b64 s[12:13], s[0:1]
	s_xor_b64 s[0:1], exec, s[12:13]
; %bb.616:                              ;   in Loop: Header=BB363_434 Depth=1
	v_bfe_u32 v12, v6, 16, 1
	v_add3_u32 v12, v6, v12, s20
                                        ; implicit-def: $vgpr6
; %bb.617:                              ;   in Loop: Header=BB363_434 Depth=1
	s_andn2_saveexec_b64 s[12:13], s[0:1]
; %bb.618:                              ;   in Loop: Header=BB363_434 Depth=1
	v_or_b32_e32 v12, 0x10000, v6
	v_cmp_eq_u32_sdwa s[0:1], v6, v37 src0_sel:WORD_0 src1_sel:DWORD
	s_nop 1
	v_cndmask_b32_e64 v12, v12, v6, s[0:1]
; %bb.619:                              ;   in Loop: Header=BB363_434 Depth=1
	s_or_b64 exec, exec, s[12:13]
	v_bfe_u32 v6, v7, 8, 8
	v_cvt_f32_fp8_sdwa v6, v6 src0_sel:BYTE_0
	s_nop 0
	v_mul_f32_e32 v13, v60, v6
	v_and_b32_e32 v6, 0x7f800000, v13
	v_cmp_ne_u32_e64 s[0:1], s15, v6
                                        ; implicit-def: $vgpr6
	s_and_saveexec_b64 s[12:13], s[0:1]
	s_xor_b64 s[0:1], exec, s[12:13]
; %bb.620:                              ;   in Loop: Header=BB363_434 Depth=1
	v_bfe_u32 v6, v13, 16, 1
	v_add3_u32 v6, v13, v6, s20
                                        ; implicit-def: $vgpr13
; %bb.621:                              ;   in Loop: Header=BB363_434 Depth=1
	s_andn2_saveexec_b64 s[12:13], s[0:1]
; %bb.622:                              ;   in Loop: Header=BB363_434 Depth=1
	v_or_b32_e32 v6, 0x10000, v13
	v_cmp_eq_u32_sdwa s[0:1], v13, v37 src0_sel:WORD_0 src1_sel:DWORD
	s_nop 1
	v_cndmask_b32_e64 v6, v6, v13, s[0:1]
; %bb.623:                              ;   in Loop: Header=BB363_434 Depth=1
	s_or_b64 exec, exec, s[12:13]
	v_bfe_u32 v13, v7, 16, 8
	v_cvt_f32_fp8_sdwa v13, v13 src0_sel:BYTE_0
	s_nop 0
	v_mul_f32_e32 v16, v60, v13
	v_and_b32_e32 v13, 0x7f800000, v16
	v_cmp_ne_u32_e64 s[0:1], s15, v13
                                        ; implicit-def: $vgpr13
	s_and_saveexec_b64 s[12:13], s[0:1]
	s_xor_b64 s[0:1], exec, s[12:13]
; %bb.624:                              ;   in Loop: Header=BB363_434 Depth=1
	v_bfe_u32 v13, v16, 16, 1
	v_add3_u32 v13, v16, v13, s20
                                        ; implicit-def: $vgpr16
; %bb.625:                              ;   in Loop: Header=BB363_434 Depth=1
	s_andn2_saveexec_b64 s[12:13], s[0:1]
; %bb.626:                              ;   in Loop: Header=BB363_434 Depth=1
	v_or_b32_e32 v13, 0x10000, v16
	v_cmp_eq_u32_sdwa s[0:1], v16, v37 src0_sel:WORD_0 src1_sel:DWORD
	s_nop 1
	v_cndmask_b32_e64 v13, v13, v16, s[0:1]
; %bb.627:                              ;   in Loop: Header=BB363_434 Depth=1
	s_or_b64 exec, exec, s[12:13]
	v_lshrrev_b32_e32 v7, 24, v7
	v_cvt_f32_fp8_sdwa v7, v7 src0_sel:BYTE_0
                                        ; implicit-def: $vgpr17
	s_nop 0
	v_mul_f32_e32 v7, v60, v7
	v_and_b32_e32 v16, 0x7f800000, v7
	v_cmp_ne_u32_e64 s[0:1], s15, v16
	s_and_saveexec_b64 s[12:13], s[0:1]
	s_xor_b64 s[0:1], exec, s[12:13]
; %bb.628:                              ;   in Loop: Header=BB363_434 Depth=1
	v_bfe_u32 v16, v7, 16, 1
	v_add3_u32 v17, v7, v16, s20
                                        ; implicit-def: $vgpr7
; %bb.629:                              ;   in Loop: Header=BB363_434 Depth=1
	s_andn2_saveexec_b64 s[12:13], s[0:1]
; %bb.630:                              ;   in Loop: Header=BB363_434 Depth=1
	v_or_b32_e32 v16, 0x10000, v7
	v_cmp_eq_u32_sdwa s[0:1], v7, v37 src0_sel:WORD_0 src1_sel:DWORD
	s_nop 1
	v_cndmask_b32_e64 v17, v16, v7, s[0:1]
; %bb.631:                              ;   in Loop: Header=BB363_434 Depth=1
	s_or_b64 exec, exec, s[12:13]
	v_lshrrev_b32_e32 v6, 16, v6
	v_lshrrev_b32_e32 v7, 16, v12
	;; [unrolled: 1-line block ×8, first 2 shown]
	s_and_saveexec_b64 s[12:13], vcc
	s_cbranch_execz .LBB363_633
; %bb.632:                              ;   in Loop: Header=BB363_434 Depth=1
	scratch_load_dword v17, off, s32 offset:196 ; 4-byte Folded Reload
	v_accvgpr_read_b32 v13, a53
	s_waitcnt vmcnt(0)
	v_cmp_lt_i32_e64 s[0:1], v55, v17
	s_nop 1
	v_cndmask_b32_e64 v16, 0, v16, s[0:1]
	v_cmp_lt_i32_e64 s[0:1], v13, v17
	v_accvgpr_read_b32 v13, a52
	s_nop 0
	v_cndmask_b32_e64 v12, 0, v12, s[0:1]
	v_cmp_lt_i32_e64 s[0:1], v13, v17
	v_accvgpr_read_b32 v13, a51
	;; [unrolled: 4-line block ×6, first 2 shown]
	s_nop 0
	v_cndmask_b32_e64 v5, 0, v5, s[0:1]
	v_cmp_lt_i32_e64 s[0:1], v13, v17
	s_nop 1
	v_cndmask_b32_e64 v4, 0, v4, s[0:1]
.LBB363_633:                            ;   in Loop: Header=BB363_434 Depth=1
	s_or_b64 exec, exec, s[12:13]
	v_lshlrev_b32_e32 v13, 16, v16
	v_mul_f32_e32 v13, v10, v13
	v_and_b32_e32 v16, 0x7f800000, v13
	v_cmp_ne_u32_e64 s[0:1], s15, v16
                                        ; implicit-def: $agpr62
	s_and_saveexec_b64 s[12:13], s[0:1]
	s_xor_b64 s[0:1], exec, s[12:13]
; %bb.634:                              ;   in Loop: Header=BB363_434 Depth=1
	v_bfe_u32 v16, v13, 16, 1
	v_add3_u32 v13, v13, v16, s20
	v_accvgpr_write_b32 a62, v13
                                        ; implicit-def: $vgpr13
; %bb.635:                              ;   in Loop: Header=BB363_434 Depth=1
	s_andn2_saveexec_b64 s[12:13], s[0:1]
; %bb.636:                              ;   in Loop: Header=BB363_434 Depth=1
	v_or_b32_e32 v16, 0x10000, v13
	v_cmp_eq_u32_sdwa s[0:1], v13, v37 src0_sel:WORD_0 src1_sel:DWORD
	s_nop 1
	v_cndmask_b32_e64 v13, v16, v13, s[0:1]
	v_accvgpr_write_b32 a62, v13
; %bb.637:                              ;   in Loop: Header=BB363_434 Depth=1
	s_or_b64 exec, exec, s[12:13]
	v_lshlrev_b32_e32 v12, 16, v12
	v_mul_f32_e32 v12, v11, v12
	v_and_b32_e32 v13, 0x7f800000, v12
	v_cmp_ne_u32_e64 s[0:1], s15, v13
                                        ; implicit-def: $agpr63
	s_and_saveexec_b64 s[12:13], s[0:1]
	s_xor_b64 s[0:1], exec, s[12:13]
; %bb.638:                              ;   in Loop: Header=BB363_434 Depth=1
	v_bfe_u32 v13, v12, 16, 1
	v_add3_u32 v12, v12, v13, s20
	v_accvgpr_write_b32 a63, v12
                                        ; implicit-def: $vgpr12
; %bb.639:                              ;   in Loop: Header=BB363_434 Depth=1
	s_andn2_saveexec_b64 s[12:13], s[0:1]
; %bb.640:                              ;   in Loop: Header=BB363_434 Depth=1
	v_or_b32_e32 v13, 0x10000, v12
	v_cmp_eq_u32_sdwa s[0:1], v12, v37 src0_sel:WORD_0 src1_sel:DWORD
	s_nop 1
	v_cndmask_b32_e64 v12, v13, v12, s[0:1]
	v_accvgpr_write_b32 a63, v12
; %bb.641:                              ;   in Loop: Header=BB363_434 Depth=1
	s_or_b64 exec, exec, s[12:13]
	v_lshlrev_b32_e32 v8, 16, v8
	v_mul_f32_e32 v8, v30, v8
	v_and_b32_e32 v12, 0x7f800000, v8
	v_cmp_ne_u32_e64 s[0:1], s15, v12
                                        ; implicit-def: $agpr18
	s_and_saveexec_b64 s[12:13], s[0:1]
	s_xor_b64 s[0:1], exec, s[12:13]
; %bb.642:                              ;   in Loop: Header=BB363_434 Depth=1
	v_bfe_u32 v12, v8, 16, 1
	v_add3_u32 v8, v8, v12, s20
	v_accvgpr_write_b32 a18, v8
                                        ; implicit-def: $vgpr8
; %bb.643:                              ;   in Loop: Header=BB363_434 Depth=1
	s_andn2_saveexec_b64 s[12:13], s[0:1]
; %bb.644:                              ;   in Loop: Header=BB363_434 Depth=1
	v_or_b32_e32 v12, 0x10000, v8
	v_cmp_eq_u32_sdwa s[0:1], v8, v37 src0_sel:WORD_0 src1_sel:DWORD
	s_nop 1
	v_cndmask_b32_e64 v8, v12, v8, s[0:1]
	v_accvgpr_write_b32 a18, v8
; %bb.645:                              ;   in Loop: Header=BB363_434 Depth=1
	s_or_b64 exec, exec, s[12:13]
	v_lshlrev_b32_e32 v8, 16, v9
	v_mul_f32_e32 v8, v31, v8
	v_and_b32_e32 v9, 0x7f800000, v8
	v_cmp_ne_u32_e64 s[0:1], s15, v9
                                        ; implicit-def: $agpr16
	s_and_saveexec_b64 s[12:13], s[0:1]
	s_xor_b64 s[0:1], exec, s[12:13]
; %bb.646:                              ;   in Loop: Header=BB363_434 Depth=1
	v_bfe_u32 v9, v8, 16, 1
	v_add3_u32 v8, v8, v9, s20
	v_accvgpr_write_b32 a16, v8
                                        ; implicit-def: $vgpr8
; %bb.647:                              ;   in Loop: Header=BB363_434 Depth=1
	s_andn2_saveexec_b64 s[12:13], s[0:1]
; %bb.648:                              ;   in Loop: Header=BB363_434 Depth=1
	v_or_b32_e32 v9, 0x10000, v8
	v_cmp_eq_u32_sdwa s[0:1], v8, v37 src0_sel:WORD_0 src1_sel:DWORD
	s_nop 1
	v_cndmask_b32_e64 v8, v9, v8, s[0:1]
	v_accvgpr_write_b32 a16, v8
; %bb.649:                              ;   in Loop: Header=BB363_434 Depth=1
	s_or_b64 exec, exec, s[12:13]
	v_lshlrev_b32_e32 v7, 16, v7
	v_mul_f32_e32 v7, v26, v7
	v_and_b32_e32 v8, 0x7f800000, v7
	v_cmp_ne_u32_e64 s[0:1], s15, v8
                                        ; implicit-def: $agpr15
	s_and_saveexec_b64 s[12:13], s[0:1]
	s_xor_b64 s[0:1], exec, s[12:13]
; %bb.650:                              ;   in Loop: Header=BB363_434 Depth=1
	v_bfe_u32 v8, v7, 16, 1
	v_add3_u32 v7, v7, v8, s20
	v_accvgpr_write_b32 a15, v7
                                        ; implicit-def: $vgpr7
; %bb.651:                              ;   in Loop: Header=BB363_434 Depth=1
	s_andn2_saveexec_b64 s[12:13], s[0:1]
; %bb.652:                              ;   in Loop: Header=BB363_434 Depth=1
	v_or_b32_e32 v8, 0x10000, v7
	v_cmp_eq_u32_sdwa s[0:1], v7, v37 src0_sel:WORD_0 src1_sel:DWORD
	s_nop 1
	v_cndmask_b32_e64 v7, v8, v7, s[0:1]
	v_accvgpr_write_b32 a15, v7
; %bb.653:                              ;   in Loop: Header=BB363_434 Depth=1
	s_or_b64 exec, exec, s[12:13]
	v_lshlrev_b32_e32 v6, 16, v6
	v_mul_f32_e32 v6, v27, v6
	v_and_b32_e32 v7, 0x7f800000, v6
	v_cmp_ne_u32_e64 s[0:1], s15, v7
                                        ; implicit-def: $agpr17
	s_and_saveexec_b64 s[12:13], s[0:1]
	s_xor_b64 s[0:1], exec, s[12:13]
; %bb.654:                              ;   in Loop: Header=BB363_434 Depth=1
	v_bfe_u32 v7, v6, 16, 1
	v_add3_u32 v6, v6, v7, s20
	v_accvgpr_write_b32 a17, v6
                                        ; implicit-def: $vgpr6
; %bb.655:                              ;   in Loop: Header=BB363_434 Depth=1
	s_andn2_saveexec_b64 s[12:13], s[0:1]
; %bb.656:                              ;   in Loop: Header=BB363_434 Depth=1
	v_or_b32_e32 v7, 0x10000, v6
	v_cmp_eq_u32_sdwa s[0:1], v6, v37 src0_sel:WORD_0 src1_sel:DWORD
	s_nop 1
	v_cndmask_b32_e64 v6, v7, v6, s[0:1]
	v_accvgpr_write_b32 a17, v6
; %bb.657:                              ;   in Loop: Header=BB363_434 Depth=1
	s_or_b64 exec, exec, s[12:13]
	v_lshlrev_b32_e32 v5, 16, v5
	v_mul_f32_e32 v5, v38, v5
	v_and_b32_e32 v6, 0x7f800000, v5
	v_cmp_ne_u32_e64 s[0:1], s15, v6
                                        ; implicit-def: $agpr0
	s_and_saveexec_b64 s[12:13], s[0:1]
	s_xor_b64 s[0:1], exec, s[12:13]
; %bb.658:                              ;   in Loop: Header=BB363_434 Depth=1
	v_bfe_u32 v6, v5, 16, 1
	v_add3_u32 v5, v5, v6, s20
	v_accvgpr_write_b32 a0, v5
                                        ; implicit-def: $vgpr5
; %bb.659:                              ;   in Loop: Header=BB363_434 Depth=1
	s_andn2_saveexec_b64 s[12:13], s[0:1]
; %bb.660:                              ;   in Loop: Header=BB363_434 Depth=1
	v_or_b32_e32 v6, 0x10000, v5
	v_cmp_eq_u32_sdwa s[0:1], v5, v37 src0_sel:WORD_0 src1_sel:DWORD
	s_nop 1
	v_cndmask_b32_e64 v5, v6, v5, s[0:1]
	v_accvgpr_write_b32 a0, v5
; %bb.661:                              ;   in Loop: Header=BB363_434 Depth=1
	s_or_b64 exec, exec, s[12:13]
	v_lshlrev_b32_e32 v4, 16, v4
	v_mul_f32_e32 v4, v39, v4
	v_and_b32_e32 v5, 0x7f800000, v4
	v_cmp_ne_u32_e64 s[0:1], s15, v5
                                        ; implicit-def: $agpr1
	s_and_saveexec_b64 s[12:13], s[0:1]
	s_xor_b64 s[0:1], exec, s[12:13]
; %bb.662:                              ;   in Loop: Header=BB363_434 Depth=1
	v_bfe_u32 v5, v4, 16, 1
	v_add3_u32 v4, v4, v5, s20
	v_accvgpr_write_b32 a1, v4
                                        ; implicit-def: $vgpr4
; %bb.663:                              ;   in Loop: Header=BB363_434 Depth=1
	s_andn2_saveexec_b64 s[12:13], s[0:1]
; %bb.664:                              ;   in Loop: Header=BB363_434 Depth=1
	v_or_b32_e32 v5, 0x10000, v4
	v_cmp_eq_u32_sdwa s[0:1], v4, v37 src0_sel:WORD_0 src1_sel:DWORD
	s_nop 1
	v_cndmask_b32_e64 v4, v5, v4, s[0:1]
	v_accvgpr_write_b32 a1, v4
; %bb.665:                              ;   in Loop: Header=BB363_434 Depth=1
	s_or_b64 exec, exec, s[12:13]
	flat_load_dwordx2 v[6:7], v[2:3] offset:1536
	s_waitcnt vmcnt(0) lgkmcnt(0)
	v_and_b32_e32 v4, 0xff, v6
	v_cvt_f32_fp8_sdwa v4, v4 src0_sel:BYTE_0
	s_nop 0
	v_mul_f32_e32 v5, v60, v4
	v_and_b32_e32 v4, 0x7f800000, v5
	v_cmp_ne_u32_e64 s[0:1], s15, v4
                                        ; implicit-def: $vgpr4
	s_and_saveexec_b64 s[12:13], s[0:1]
	s_xor_b64 s[0:1], exec, s[12:13]
; %bb.666:                              ;   in Loop: Header=BB363_434 Depth=1
	v_bfe_u32 v4, v5, 16, 1
	v_add3_u32 v4, v5, v4, s20
                                        ; implicit-def: $vgpr5
; %bb.667:                              ;   in Loop: Header=BB363_434 Depth=1
	s_andn2_saveexec_b64 s[12:13], s[0:1]
; %bb.668:                              ;   in Loop: Header=BB363_434 Depth=1
	v_or_b32_e32 v4, 0x10000, v5
	v_cmp_eq_u32_sdwa s[0:1], v5, v37 src0_sel:WORD_0 src1_sel:DWORD
	s_nop 1
	v_cndmask_b32_e64 v4, v4, v5, s[0:1]
; %bb.669:                              ;   in Loop: Header=BB363_434 Depth=1
	s_or_b64 exec, exec, s[12:13]
	v_bfe_u32 v5, v6, 8, 8
	v_cvt_f32_fp8_sdwa v5, v5 src0_sel:BYTE_0
	s_nop 0
	v_mul_f32_e32 v8, v60, v5
	v_and_b32_e32 v5, 0x7f800000, v8
	v_cmp_ne_u32_e64 s[0:1], s15, v5
                                        ; implicit-def: $vgpr5
	s_and_saveexec_b64 s[12:13], s[0:1]
	s_xor_b64 s[0:1], exec, s[12:13]
; %bb.670:                              ;   in Loop: Header=BB363_434 Depth=1
	v_bfe_u32 v5, v8, 16, 1
	v_add3_u32 v5, v8, v5, s20
                                        ; implicit-def: $vgpr8
; %bb.671:                              ;   in Loop: Header=BB363_434 Depth=1
	s_andn2_saveexec_b64 s[12:13], s[0:1]
; %bb.672:                              ;   in Loop: Header=BB363_434 Depth=1
	v_or_b32_e32 v5, 0x10000, v8
	v_cmp_eq_u32_sdwa s[0:1], v8, v37 src0_sel:WORD_0 src1_sel:DWORD
	s_nop 1
	v_cndmask_b32_e64 v5, v5, v8, s[0:1]
; %bb.673:                              ;   in Loop: Header=BB363_434 Depth=1
	s_or_b64 exec, exec, s[12:13]
	v_bfe_u32 v8, v6, 16, 8
	v_cvt_f32_fp8_sdwa v8, v8 src0_sel:BYTE_0
	s_nop 0
	v_mul_f32_e32 v9, v60, v8
	v_and_b32_e32 v8, 0x7f800000, v9
	v_cmp_ne_u32_e64 s[0:1], s15, v8
                                        ; implicit-def: $vgpr8
	s_and_saveexec_b64 s[12:13], s[0:1]
	s_xor_b64 s[0:1], exec, s[12:13]
; %bb.674:                              ;   in Loop: Header=BB363_434 Depth=1
	v_bfe_u32 v8, v9, 16, 1
	v_add3_u32 v8, v9, v8, s20
                                        ; implicit-def: $vgpr9
; %bb.675:                              ;   in Loop: Header=BB363_434 Depth=1
	s_andn2_saveexec_b64 s[12:13], s[0:1]
; %bb.676:                              ;   in Loop: Header=BB363_434 Depth=1
	v_or_b32_e32 v8, 0x10000, v9
	v_cmp_eq_u32_sdwa s[0:1], v9, v37 src0_sel:WORD_0 src1_sel:DWORD
	s_nop 1
	v_cndmask_b32_e64 v8, v8, v9, s[0:1]
; %bb.677:                              ;   in Loop: Header=BB363_434 Depth=1
	s_or_b64 exec, exec, s[12:13]
	v_lshrrev_b32_e32 v6, 24, v6
	v_cvt_f32_fp8_sdwa v6, v6 src0_sel:BYTE_0
	s_nop 0
	v_mul_f32_e32 v6, v60, v6
	v_and_b32_e32 v9, 0x7f800000, v6
	v_cmp_ne_u32_e64 s[0:1], s15, v9
                                        ; implicit-def: $vgpr9
	s_and_saveexec_b64 s[12:13], s[0:1]
	s_xor_b64 s[0:1], exec, s[12:13]
; %bb.678:                              ;   in Loop: Header=BB363_434 Depth=1
	v_bfe_u32 v9, v6, 16, 1
	v_add3_u32 v9, v6, v9, s20
                                        ; implicit-def: $vgpr6
; %bb.679:                              ;   in Loop: Header=BB363_434 Depth=1
	s_andn2_saveexec_b64 s[12:13], s[0:1]
; %bb.680:                              ;   in Loop: Header=BB363_434 Depth=1
	v_or_b32_e32 v9, 0x10000, v6
	v_cmp_eq_u32_sdwa s[0:1], v6, v37 src0_sel:WORD_0 src1_sel:DWORD
	s_nop 1
	v_cndmask_b32_e64 v9, v9, v6, s[0:1]
; %bb.681:                              ;   in Loop: Header=BB363_434 Depth=1
	s_or_b64 exec, exec, s[12:13]
	v_and_b32_e32 v6, 0xff, v7
	v_cvt_f32_fp8_sdwa v6, v6 src0_sel:BYTE_0
	s_nop 0
	v_mul_f32_e32 v6, v60, v6
	v_and_b32_e32 v12, 0x7f800000, v6
	v_cmp_ne_u32_e64 s[0:1], s15, v12
                                        ; implicit-def: $vgpr12
	s_and_saveexec_b64 s[12:13], s[0:1]
	s_xor_b64 s[0:1], exec, s[12:13]
; %bb.682:                              ;   in Loop: Header=BB363_434 Depth=1
	v_bfe_u32 v12, v6, 16, 1
	v_add3_u32 v12, v6, v12, s20
                                        ; implicit-def: $vgpr6
; %bb.683:                              ;   in Loop: Header=BB363_434 Depth=1
	s_andn2_saveexec_b64 s[12:13], s[0:1]
; %bb.684:                              ;   in Loop: Header=BB363_434 Depth=1
	v_or_b32_e32 v12, 0x10000, v6
	v_cmp_eq_u32_sdwa s[0:1], v6, v37 src0_sel:WORD_0 src1_sel:DWORD
	s_nop 1
	v_cndmask_b32_e64 v12, v12, v6, s[0:1]
; %bb.685:                              ;   in Loop: Header=BB363_434 Depth=1
	s_or_b64 exec, exec, s[12:13]
	v_bfe_u32 v6, v7, 8, 8
	v_cvt_f32_fp8_sdwa v6, v6 src0_sel:BYTE_0
	s_nop 0
	v_mul_f32_e32 v13, v60, v6
	v_and_b32_e32 v6, 0x7f800000, v13
	v_cmp_ne_u32_e64 s[0:1], s15, v6
                                        ; implicit-def: $vgpr6
	s_and_saveexec_b64 s[12:13], s[0:1]
	s_xor_b64 s[0:1], exec, s[12:13]
; %bb.686:                              ;   in Loop: Header=BB363_434 Depth=1
	v_bfe_u32 v6, v13, 16, 1
	v_add3_u32 v6, v13, v6, s20
                                        ; implicit-def: $vgpr13
; %bb.687:                              ;   in Loop: Header=BB363_434 Depth=1
	s_andn2_saveexec_b64 s[12:13], s[0:1]
; %bb.688:                              ;   in Loop: Header=BB363_434 Depth=1
	v_or_b32_e32 v6, 0x10000, v13
	v_cmp_eq_u32_sdwa s[0:1], v13, v37 src0_sel:WORD_0 src1_sel:DWORD
	s_nop 1
	v_cndmask_b32_e64 v6, v6, v13, s[0:1]
; %bb.689:                              ;   in Loop: Header=BB363_434 Depth=1
	s_or_b64 exec, exec, s[12:13]
	v_bfe_u32 v13, v7, 16, 8
	v_cvt_f32_fp8_sdwa v13, v13 src0_sel:BYTE_0
	s_nop 0
	v_mul_f32_e32 v16, v60, v13
	v_and_b32_e32 v13, 0x7f800000, v16
	v_cmp_ne_u32_e64 s[0:1], s15, v13
                                        ; implicit-def: $vgpr13
	s_and_saveexec_b64 s[12:13], s[0:1]
	s_xor_b64 s[0:1], exec, s[12:13]
; %bb.690:                              ;   in Loop: Header=BB363_434 Depth=1
	v_bfe_u32 v13, v16, 16, 1
	v_add3_u32 v13, v16, v13, s20
                                        ; implicit-def: $vgpr16
; %bb.691:                              ;   in Loop: Header=BB363_434 Depth=1
	s_andn2_saveexec_b64 s[12:13], s[0:1]
; %bb.692:                              ;   in Loop: Header=BB363_434 Depth=1
	v_or_b32_e32 v13, 0x10000, v16
	v_cmp_eq_u32_sdwa s[0:1], v16, v37 src0_sel:WORD_0 src1_sel:DWORD
	s_nop 1
	v_cndmask_b32_e64 v13, v13, v16, s[0:1]
; %bb.693:                              ;   in Loop: Header=BB363_434 Depth=1
	s_or_b64 exec, exec, s[12:13]
	v_lshrrev_b32_e32 v7, 24, v7
	v_cvt_f32_fp8_sdwa v7, v7 src0_sel:BYTE_0
                                        ; implicit-def: $vgpr17
	s_nop 0
	v_mul_f32_e32 v7, v60, v7
	v_and_b32_e32 v16, 0x7f800000, v7
	v_cmp_ne_u32_e64 s[0:1], s15, v16
	s_and_saveexec_b64 s[12:13], s[0:1]
	s_xor_b64 s[0:1], exec, s[12:13]
; %bb.694:                              ;   in Loop: Header=BB363_434 Depth=1
	v_bfe_u32 v16, v7, 16, 1
	v_add3_u32 v17, v7, v16, s20
                                        ; implicit-def: $vgpr7
; %bb.695:                              ;   in Loop: Header=BB363_434 Depth=1
	s_andn2_saveexec_b64 s[12:13], s[0:1]
; %bb.696:                              ;   in Loop: Header=BB363_434 Depth=1
	v_or_b32_e32 v16, 0x10000, v7
	v_cmp_eq_u32_sdwa s[0:1], v7, v37 src0_sel:WORD_0 src1_sel:DWORD
	s_nop 1
	v_cndmask_b32_e64 v17, v16, v7, s[0:1]
; %bb.697:                              ;   in Loop: Header=BB363_434 Depth=1
	s_or_b64 exec, exec, s[12:13]
	v_lshrrev_b32_e32 v6, 16, v6
	v_lshrrev_b32_e32 v7, 16, v12
	;; [unrolled: 1-line block ×8, first 2 shown]
	s_and_saveexec_b64 s[12:13], vcc
	s_cbranch_execz .LBB363_699
; %bb.698:                              ;   in Loop: Header=BB363_434 Depth=1
	scratch_load_dword v17, off, s32 offset:196 ; 4-byte Folded Reload
	v_accvgpr_read_b32 v13, a53
	s_waitcnt vmcnt(0)
	v_cmp_lt_i32_e64 s[0:1], v55, v17
	s_nop 1
	v_cndmask_b32_e64 v16, 0, v16, s[0:1]
	v_cmp_lt_i32_e64 s[0:1], v13, v17
	v_accvgpr_read_b32 v13, a52
	s_nop 0
	v_cndmask_b32_e64 v12, 0, v12, s[0:1]
	v_cmp_lt_i32_e64 s[0:1], v13, v17
	v_accvgpr_read_b32 v13, a51
	;; [unrolled: 4-line block ×6, first 2 shown]
	s_nop 0
	v_cndmask_b32_e64 v5, 0, v5, s[0:1]
	v_cmp_lt_i32_e64 s[0:1], v13, v17
	s_nop 1
	v_cndmask_b32_e64 v4, 0, v4, s[0:1]
.LBB363_699:                            ;   in Loop: Header=BB363_434 Depth=1
	s_or_b64 exec, exec, s[12:13]
	v_lshlrev_b32_e32 v13, 16, v16
	v_mul_f32_e32 v13, v10, v13
	v_and_b32_e32 v16, 0x7f800000, v13
	v_cmp_ne_u32_e64 s[0:1], s15, v16
                                        ; implicit-def: $agpr2
	s_and_saveexec_b64 s[12:13], s[0:1]
	s_xor_b64 s[0:1], exec, s[12:13]
; %bb.700:                              ;   in Loop: Header=BB363_434 Depth=1
	v_bfe_u32 v16, v13, 16, 1
	v_add3_u32 v13, v13, v16, s20
	v_accvgpr_write_b32 a2, v13
                                        ; implicit-def: $vgpr13
; %bb.701:                              ;   in Loop: Header=BB363_434 Depth=1
	s_andn2_saveexec_b64 s[12:13], s[0:1]
; %bb.702:                              ;   in Loop: Header=BB363_434 Depth=1
	v_or_b32_e32 v16, 0x10000, v13
	v_cmp_eq_u32_sdwa s[0:1], v13, v37 src0_sel:WORD_0 src1_sel:DWORD
	s_nop 1
	v_cndmask_b32_e64 v13, v16, v13, s[0:1]
	v_accvgpr_write_b32 a2, v13
; %bb.703:                              ;   in Loop: Header=BB363_434 Depth=1
	s_or_b64 exec, exec, s[12:13]
	v_lshlrev_b32_e32 v12, 16, v12
	v_mul_f32_e32 v12, v11, v12
	v_and_b32_e32 v13, 0x7f800000, v12
	v_cmp_ne_u32_e64 s[0:1], s15, v13
                                        ; implicit-def: $agpr19
	s_and_saveexec_b64 s[12:13], s[0:1]
	s_xor_b64 s[0:1], exec, s[12:13]
; %bb.704:                              ;   in Loop: Header=BB363_434 Depth=1
	v_bfe_u32 v13, v12, 16, 1
	v_add3_u32 v12, v12, v13, s20
	v_accvgpr_write_b32 a19, v12
                                        ; implicit-def: $vgpr12
; %bb.705:                              ;   in Loop: Header=BB363_434 Depth=1
	s_andn2_saveexec_b64 s[12:13], s[0:1]
; %bb.706:                              ;   in Loop: Header=BB363_434 Depth=1
	v_or_b32_e32 v13, 0x10000, v12
	v_cmp_eq_u32_sdwa s[0:1], v12, v37 src0_sel:WORD_0 src1_sel:DWORD
	s_nop 1
	v_cndmask_b32_e64 v12, v13, v12, s[0:1]
	v_accvgpr_write_b32 a19, v12
; %bb.707:                              ;   in Loop: Header=BB363_434 Depth=1
	s_or_b64 exec, exec, s[12:13]
	v_lshlrev_b32_e32 v8, 16, v8
	v_mul_f32_e32 v8, v30, v8
	v_and_b32_e32 v12, 0x7f800000, v8
	v_cmp_ne_u32_e64 s[0:1], s15, v12
                                        ; implicit-def: $agpr30
	s_and_saveexec_b64 s[12:13], s[0:1]
	s_xor_b64 s[0:1], exec, s[12:13]
; %bb.708:                              ;   in Loop: Header=BB363_434 Depth=1
	v_bfe_u32 v12, v8, 16, 1
	v_add3_u32 v8, v8, v12, s20
	v_accvgpr_write_b32 a30, v8
                                        ; implicit-def: $vgpr8
; %bb.709:                              ;   in Loop: Header=BB363_434 Depth=1
	s_andn2_saveexec_b64 s[12:13], s[0:1]
; %bb.710:                              ;   in Loop: Header=BB363_434 Depth=1
	v_or_b32_e32 v12, 0x10000, v8
	v_cmp_eq_u32_sdwa s[0:1], v8, v37 src0_sel:WORD_0 src1_sel:DWORD
	s_nop 1
	v_cndmask_b32_e64 v8, v12, v8, s[0:1]
	v_accvgpr_write_b32 a30, v8
; %bb.711:                              ;   in Loop: Header=BB363_434 Depth=1
	s_or_b64 exec, exec, s[12:13]
	v_lshlrev_b32_e32 v8, 16, v9
	v_mul_f32_e32 v8, v31, v8
	v_and_b32_e32 v9, 0x7f800000, v8
	v_cmp_ne_u32_e64 s[0:1], s15, v9
                                        ; implicit-def: $agpr4
	s_and_saveexec_b64 s[12:13], s[0:1]
	s_xor_b64 s[0:1], exec, s[12:13]
; %bb.712:                              ;   in Loop: Header=BB363_434 Depth=1
	v_bfe_u32 v9, v8, 16, 1
	v_add3_u32 v8, v8, v9, s20
	v_accvgpr_write_b32 a4, v8
                                        ; implicit-def: $vgpr8
; %bb.713:                              ;   in Loop: Header=BB363_434 Depth=1
	s_andn2_saveexec_b64 s[12:13], s[0:1]
; %bb.714:                              ;   in Loop: Header=BB363_434 Depth=1
	v_or_b32_e32 v9, 0x10000, v8
	v_cmp_eq_u32_sdwa s[0:1], v8, v37 src0_sel:WORD_0 src1_sel:DWORD
	s_nop 1
	v_cndmask_b32_e64 v8, v9, v8, s[0:1]
	v_accvgpr_write_b32 a4, v8
; %bb.715:                              ;   in Loop: Header=BB363_434 Depth=1
	s_or_b64 exec, exec, s[12:13]
	v_lshlrev_b32_e32 v7, 16, v7
	v_mul_f32_e32 v7, v26, v7
	v_and_b32_e32 v8, 0x7f800000, v7
	v_cmp_ne_u32_e64 s[0:1], s15, v8
                                        ; implicit-def: $agpr5
	s_and_saveexec_b64 s[12:13], s[0:1]
	s_xor_b64 s[0:1], exec, s[12:13]
; %bb.716:                              ;   in Loop: Header=BB363_434 Depth=1
	v_bfe_u32 v8, v7, 16, 1
	v_add3_u32 v7, v7, v8, s20
	v_accvgpr_write_b32 a5, v7
                                        ; implicit-def: $vgpr7
; %bb.717:                              ;   in Loop: Header=BB363_434 Depth=1
	s_andn2_saveexec_b64 s[12:13], s[0:1]
; %bb.718:                              ;   in Loop: Header=BB363_434 Depth=1
	v_or_b32_e32 v8, 0x10000, v7
	v_cmp_eq_u32_sdwa s[0:1], v7, v37 src0_sel:WORD_0 src1_sel:DWORD
	s_nop 1
	v_cndmask_b32_e64 v7, v8, v7, s[0:1]
	v_accvgpr_write_b32 a5, v7
; %bb.719:                              ;   in Loop: Header=BB363_434 Depth=1
	s_or_b64 exec, exec, s[12:13]
	v_lshlrev_b32_e32 v6, 16, v6
	v_mul_f32_e32 v6, v27, v6
	v_and_b32_e32 v7, 0x7f800000, v6
	v_cmp_ne_u32_e64 s[0:1], s15, v7
                                        ; implicit-def: $agpr28
	s_and_saveexec_b64 s[12:13], s[0:1]
	s_xor_b64 s[0:1], exec, s[12:13]
; %bb.720:                              ;   in Loop: Header=BB363_434 Depth=1
	v_bfe_u32 v7, v6, 16, 1
	v_add3_u32 v6, v6, v7, s20
	v_accvgpr_write_b32 a28, v6
                                        ; implicit-def: $vgpr6
; %bb.721:                              ;   in Loop: Header=BB363_434 Depth=1
	s_andn2_saveexec_b64 s[12:13], s[0:1]
; %bb.722:                              ;   in Loop: Header=BB363_434 Depth=1
	v_or_b32_e32 v7, 0x10000, v6
	v_cmp_eq_u32_sdwa s[0:1], v6, v37 src0_sel:WORD_0 src1_sel:DWORD
	s_nop 1
	v_cndmask_b32_e64 v6, v7, v6, s[0:1]
	v_accvgpr_write_b32 a28, v6
; %bb.723:                              ;   in Loop: Header=BB363_434 Depth=1
	s_or_b64 exec, exec, s[12:13]
	v_lshlrev_b32_e32 v5, 16, v5
	v_mul_f32_e32 v5, v38, v5
	v_and_b32_e32 v6, 0x7f800000, v5
	v_cmp_ne_u32_e64 s[0:1], s15, v6
                                        ; implicit-def: $agpr29
	s_and_saveexec_b64 s[12:13], s[0:1]
	s_xor_b64 s[0:1], exec, s[12:13]
; %bb.724:                              ;   in Loop: Header=BB363_434 Depth=1
	v_bfe_u32 v6, v5, 16, 1
	v_add3_u32 v5, v5, v6, s20
	v_accvgpr_write_b32 a29, v5
                                        ; implicit-def: $vgpr5
; %bb.725:                              ;   in Loop: Header=BB363_434 Depth=1
	s_andn2_saveexec_b64 s[12:13], s[0:1]
; %bb.726:                              ;   in Loop: Header=BB363_434 Depth=1
	v_or_b32_e32 v6, 0x10000, v5
	v_cmp_eq_u32_sdwa s[0:1], v5, v37 src0_sel:WORD_0 src1_sel:DWORD
	s_nop 1
	v_cndmask_b32_e64 v5, v6, v5, s[0:1]
	v_accvgpr_write_b32 a29, v5
; %bb.727:                              ;   in Loop: Header=BB363_434 Depth=1
	s_or_b64 exec, exec, s[12:13]
	v_lshlrev_b32_e32 v4, 16, v4
	v_mul_f32_e32 v4, v39, v4
	v_and_b32_e32 v5, 0x7f800000, v4
	v_cmp_ne_u32_e64 s[0:1], s15, v5
                                        ; implicit-def: $agpr32
	s_and_saveexec_b64 s[12:13], s[0:1]
	s_xor_b64 s[0:1], exec, s[12:13]
; %bb.728:                              ;   in Loop: Header=BB363_434 Depth=1
	v_bfe_u32 v5, v4, 16, 1
	v_add3_u32 v4, v4, v5, s20
	v_accvgpr_write_b32 a32, v4
                                        ; implicit-def: $vgpr4
; %bb.729:                              ;   in Loop: Header=BB363_434 Depth=1
	s_andn2_saveexec_b64 s[12:13], s[0:1]
; %bb.730:                              ;   in Loop: Header=BB363_434 Depth=1
	v_or_b32_e32 v5, 0x10000, v4
	v_cmp_eq_u32_sdwa s[0:1], v4, v37 src0_sel:WORD_0 src1_sel:DWORD
	s_nop 1
	v_cndmask_b32_e64 v4, v5, v4, s[0:1]
	v_accvgpr_write_b32 a32, v4
; %bb.731:                              ;   in Loop: Header=BB363_434 Depth=1
	s_or_b64 exec, exec, s[12:13]
	flat_load_dwordx2 v[6:7], v[2:3] offset:2048
	s_waitcnt vmcnt(0) lgkmcnt(0)
	v_and_b32_e32 v4, 0xff, v6
	v_cvt_f32_fp8_sdwa v4, v4 src0_sel:BYTE_0
	s_nop 0
	v_mul_f32_e32 v5, v60, v4
	v_and_b32_e32 v4, 0x7f800000, v5
	v_cmp_ne_u32_e64 s[0:1], s15, v4
                                        ; implicit-def: $vgpr4
	s_and_saveexec_b64 s[12:13], s[0:1]
	s_xor_b64 s[0:1], exec, s[12:13]
; %bb.732:                              ;   in Loop: Header=BB363_434 Depth=1
	v_bfe_u32 v4, v5, 16, 1
	v_add3_u32 v4, v5, v4, s20
                                        ; implicit-def: $vgpr5
; %bb.733:                              ;   in Loop: Header=BB363_434 Depth=1
	s_andn2_saveexec_b64 s[12:13], s[0:1]
; %bb.734:                              ;   in Loop: Header=BB363_434 Depth=1
	v_or_b32_e32 v4, 0x10000, v5
	v_cmp_eq_u32_sdwa s[0:1], v5, v37 src0_sel:WORD_0 src1_sel:DWORD
	s_nop 1
	v_cndmask_b32_e64 v4, v4, v5, s[0:1]
; %bb.735:                              ;   in Loop: Header=BB363_434 Depth=1
	s_or_b64 exec, exec, s[12:13]
	v_bfe_u32 v5, v6, 8, 8
	v_cvt_f32_fp8_sdwa v5, v5 src0_sel:BYTE_0
	s_nop 0
	v_mul_f32_e32 v8, v60, v5
	v_and_b32_e32 v5, 0x7f800000, v8
	v_cmp_ne_u32_e64 s[0:1], s15, v5
                                        ; implicit-def: $vgpr5
	s_and_saveexec_b64 s[12:13], s[0:1]
	s_xor_b64 s[0:1], exec, s[12:13]
; %bb.736:                              ;   in Loop: Header=BB363_434 Depth=1
	v_bfe_u32 v5, v8, 16, 1
	v_add3_u32 v5, v8, v5, s20
                                        ; implicit-def: $vgpr8
; %bb.737:                              ;   in Loop: Header=BB363_434 Depth=1
	s_andn2_saveexec_b64 s[12:13], s[0:1]
; %bb.738:                              ;   in Loop: Header=BB363_434 Depth=1
	v_or_b32_e32 v5, 0x10000, v8
	v_cmp_eq_u32_sdwa s[0:1], v8, v37 src0_sel:WORD_0 src1_sel:DWORD
	s_nop 1
	v_cndmask_b32_e64 v5, v5, v8, s[0:1]
; %bb.739:                              ;   in Loop: Header=BB363_434 Depth=1
	s_or_b64 exec, exec, s[12:13]
	v_bfe_u32 v8, v6, 16, 8
	v_cvt_f32_fp8_sdwa v8, v8 src0_sel:BYTE_0
	s_nop 0
	v_mul_f32_e32 v9, v60, v8
	v_and_b32_e32 v8, 0x7f800000, v9
	v_cmp_ne_u32_e64 s[0:1], s15, v8
                                        ; implicit-def: $vgpr8
	s_and_saveexec_b64 s[12:13], s[0:1]
	s_xor_b64 s[0:1], exec, s[12:13]
; %bb.740:                              ;   in Loop: Header=BB363_434 Depth=1
	v_bfe_u32 v8, v9, 16, 1
	v_add3_u32 v8, v9, v8, s20
                                        ; implicit-def: $vgpr9
; %bb.741:                              ;   in Loop: Header=BB363_434 Depth=1
	s_andn2_saveexec_b64 s[12:13], s[0:1]
; %bb.742:                              ;   in Loop: Header=BB363_434 Depth=1
	v_or_b32_e32 v8, 0x10000, v9
	v_cmp_eq_u32_sdwa s[0:1], v9, v37 src0_sel:WORD_0 src1_sel:DWORD
	s_nop 1
	v_cndmask_b32_e64 v8, v8, v9, s[0:1]
; %bb.743:                              ;   in Loop: Header=BB363_434 Depth=1
	s_or_b64 exec, exec, s[12:13]
	v_lshrrev_b32_e32 v6, 24, v6
	v_cvt_f32_fp8_sdwa v6, v6 src0_sel:BYTE_0
	s_nop 0
	v_mul_f32_e32 v6, v60, v6
	v_and_b32_e32 v9, 0x7f800000, v6
	v_cmp_ne_u32_e64 s[0:1], s15, v9
                                        ; implicit-def: $vgpr9
	s_and_saveexec_b64 s[12:13], s[0:1]
	s_xor_b64 s[0:1], exec, s[12:13]
; %bb.744:                              ;   in Loop: Header=BB363_434 Depth=1
	v_bfe_u32 v9, v6, 16, 1
	v_add3_u32 v9, v6, v9, s20
                                        ; implicit-def: $vgpr6
; %bb.745:                              ;   in Loop: Header=BB363_434 Depth=1
	s_andn2_saveexec_b64 s[12:13], s[0:1]
; %bb.746:                              ;   in Loop: Header=BB363_434 Depth=1
	v_or_b32_e32 v9, 0x10000, v6
	v_cmp_eq_u32_sdwa s[0:1], v6, v37 src0_sel:WORD_0 src1_sel:DWORD
	s_nop 1
	v_cndmask_b32_e64 v9, v9, v6, s[0:1]
; %bb.747:                              ;   in Loop: Header=BB363_434 Depth=1
	s_or_b64 exec, exec, s[12:13]
	v_and_b32_e32 v6, 0xff, v7
	v_cvt_f32_fp8_sdwa v6, v6 src0_sel:BYTE_0
	s_nop 0
	v_mul_f32_e32 v6, v60, v6
	v_and_b32_e32 v12, 0x7f800000, v6
	v_cmp_ne_u32_e64 s[0:1], s15, v12
                                        ; implicit-def: $vgpr12
	s_and_saveexec_b64 s[12:13], s[0:1]
	s_xor_b64 s[0:1], exec, s[12:13]
; %bb.748:                              ;   in Loop: Header=BB363_434 Depth=1
	v_bfe_u32 v12, v6, 16, 1
	v_add3_u32 v12, v6, v12, s20
                                        ; implicit-def: $vgpr6
; %bb.749:                              ;   in Loop: Header=BB363_434 Depth=1
	s_andn2_saveexec_b64 s[12:13], s[0:1]
; %bb.750:                              ;   in Loop: Header=BB363_434 Depth=1
	v_or_b32_e32 v12, 0x10000, v6
	v_cmp_eq_u32_sdwa s[0:1], v6, v37 src0_sel:WORD_0 src1_sel:DWORD
	s_nop 1
	v_cndmask_b32_e64 v12, v12, v6, s[0:1]
; %bb.751:                              ;   in Loop: Header=BB363_434 Depth=1
	s_or_b64 exec, exec, s[12:13]
	v_bfe_u32 v6, v7, 8, 8
	v_cvt_f32_fp8_sdwa v6, v6 src0_sel:BYTE_0
	s_nop 0
	v_mul_f32_e32 v13, v60, v6
	v_and_b32_e32 v6, 0x7f800000, v13
	v_cmp_ne_u32_e64 s[0:1], s15, v6
                                        ; implicit-def: $vgpr6
	s_and_saveexec_b64 s[12:13], s[0:1]
	s_xor_b64 s[0:1], exec, s[12:13]
; %bb.752:                              ;   in Loop: Header=BB363_434 Depth=1
	v_bfe_u32 v6, v13, 16, 1
	v_add3_u32 v6, v13, v6, s20
                                        ; implicit-def: $vgpr13
; %bb.753:                              ;   in Loop: Header=BB363_434 Depth=1
	s_andn2_saveexec_b64 s[12:13], s[0:1]
; %bb.754:                              ;   in Loop: Header=BB363_434 Depth=1
	v_or_b32_e32 v6, 0x10000, v13
	v_cmp_eq_u32_sdwa s[0:1], v13, v37 src0_sel:WORD_0 src1_sel:DWORD
	s_nop 1
	v_cndmask_b32_e64 v6, v6, v13, s[0:1]
; %bb.755:                              ;   in Loop: Header=BB363_434 Depth=1
	s_or_b64 exec, exec, s[12:13]
	v_bfe_u32 v13, v7, 16, 8
	v_cvt_f32_fp8_sdwa v13, v13 src0_sel:BYTE_0
	s_nop 0
	v_mul_f32_e32 v16, v60, v13
	v_and_b32_e32 v13, 0x7f800000, v16
	v_cmp_ne_u32_e64 s[0:1], s15, v13
                                        ; implicit-def: $vgpr13
	s_and_saveexec_b64 s[12:13], s[0:1]
	s_xor_b64 s[0:1], exec, s[12:13]
; %bb.756:                              ;   in Loop: Header=BB363_434 Depth=1
	v_bfe_u32 v13, v16, 16, 1
	v_add3_u32 v13, v16, v13, s20
                                        ; implicit-def: $vgpr16
; %bb.757:                              ;   in Loop: Header=BB363_434 Depth=1
	s_andn2_saveexec_b64 s[12:13], s[0:1]
; %bb.758:                              ;   in Loop: Header=BB363_434 Depth=1
	v_or_b32_e32 v13, 0x10000, v16
	v_cmp_eq_u32_sdwa s[0:1], v16, v37 src0_sel:WORD_0 src1_sel:DWORD
	s_nop 1
	v_cndmask_b32_e64 v13, v13, v16, s[0:1]
; %bb.759:                              ;   in Loop: Header=BB363_434 Depth=1
	s_or_b64 exec, exec, s[12:13]
	v_lshrrev_b32_e32 v7, 24, v7
	v_cvt_f32_fp8_sdwa v7, v7 src0_sel:BYTE_0
                                        ; implicit-def: $vgpr17
	s_nop 0
	v_mul_f32_e32 v7, v60, v7
	v_and_b32_e32 v16, 0x7f800000, v7
	v_cmp_ne_u32_e64 s[0:1], s15, v16
	s_and_saveexec_b64 s[12:13], s[0:1]
	s_xor_b64 s[0:1], exec, s[12:13]
; %bb.760:                              ;   in Loop: Header=BB363_434 Depth=1
	v_bfe_u32 v16, v7, 16, 1
	v_add3_u32 v17, v7, v16, s20
                                        ; implicit-def: $vgpr7
; %bb.761:                              ;   in Loop: Header=BB363_434 Depth=1
	s_andn2_saveexec_b64 s[12:13], s[0:1]
; %bb.762:                              ;   in Loop: Header=BB363_434 Depth=1
	v_or_b32_e32 v16, 0x10000, v7
	v_cmp_eq_u32_sdwa s[0:1], v7, v37 src0_sel:WORD_0 src1_sel:DWORD
	s_nop 1
	v_cndmask_b32_e64 v17, v16, v7, s[0:1]
; %bb.763:                              ;   in Loop: Header=BB363_434 Depth=1
	s_or_b64 exec, exec, s[12:13]
	v_lshrrev_b32_e32 v6, 16, v6
	v_lshrrev_b32_e32 v7, 16, v12
	;; [unrolled: 1-line block ×8, first 2 shown]
	s_and_saveexec_b64 s[12:13], vcc
	s_cbranch_execz .LBB363_765
; %bb.764:                              ;   in Loop: Header=BB363_434 Depth=1
	scratch_load_dword v17, off, s32 offset:196 ; 4-byte Folded Reload
	v_accvgpr_read_b32 v13, a53
	s_waitcnt vmcnt(0)
	v_cmp_lt_i32_e64 s[0:1], v55, v17
	s_nop 1
	v_cndmask_b32_e64 v16, 0, v16, s[0:1]
	v_cmp_lt_i32_e64 s[0:1], v13, v17
	v_accvgpr_read_b32 v13, a52
	s_nop 0
	v_cndmask_b32_e64 v12, 0, v12, s[0:1]
	v_cmp_lt_i32_e64 s[0:1], v13, v17
	v_accvgpr_read_b32 v13, a51
	s_nop 0
	v_cndmask_b32_e64 v8, 0, v8, s[0:1]
	v_cmp_lt_i32_e64 s[0:1], v13, v17
	v_accvgpr_read_b32 v13, a50
	s_nop 0
	v_cndmask_b32_e64 v9, 0, v9, s[0:1]
	v_cmp_lt_i32_e64 s[0:1], v13, v17
	v_accvgpr_read_b32 v13, a49
	s_nop 0
	v_cndmask_b32_e64 v7, 0, v7, s[0:1]
	v_cmp_lt_i32_e64 s[0:1], v13, v17
	v_accvgpr_read_b32 v13, a48
	s_nop 0
	v_cndmask_b32_e64 v6, 0, v6, s[0:1]
	v_cmp_lt_i32_e64 s[0:1], v13, v17
	v_accvgpr_read_b32 v13, a47
	s_nop 0
	v_cndmask_b32_e64 v5, 0, v5, s[0:1]
	v_cmp_lt_i32_e64 s[0:1], v13, v17
	s_nop 1
	v_cndmask_b32_e64 v4, 0, v4, s[0:1]
.LBB363_765:                            ;   in Loop: Header=BB363_434 Depth=1
	s_or_b64 exec, exec, s[12:13]
	v_lshlrev_b32_e32 v13, 16, v16
	v_mul_f32_e32 v13, v10, v13
	v_and_b32_e32 v16, 0x7f800000, v13
	v_cmp_ne_u32_e64 s[0:1], s15, v16
                                        ; implicit-def: $agpr33
	s_and_saveexec_b64 s[12:13], s[0:1]
	s_xor_b64 s[0:1], exec, s[12:13]
; %bb.766:                              ;   in Loop: Header=BB363_434 Depth=1
	v_bfe_u32 v16, v13, 16, 1
	v_add3_u32 v13, v13, v16, s20
	v_accvgpr_write_b32 a33, v13
                                        ; implicit-def: $vgpr13
; %bb.767:                              ;   in Loop: Header=BB363_434 Depth=1
	s_andn2_saveexec_b64 s[12:13], s[0:1]
; %bb.768:                              ;   in Loop: Header=BB363_434 Depth=1
	v_or_b32_e32 v16, 0x10000, v13
	v_cmp_eq_u32_sdwa s[0:1], v13, v37 src0_sel:WORD_0 src1_sel:DWORD
	s_nop 1
	v_cndmask_b32_e64 v13, v16, v13, s[0:1]
	v_accvgpr_write_b32 a33, v13
; %bb.769:                              ;   in Loop: Header=BB363_434 Depth=1
	s_or_b64 exec, exec, s[12:13]
	v_lshlrev_b32_e32 v12, 16, v12
	v_mul_f32_e32 v12, v11, v12
	v_and_b32_e32 v13, 0x7f800000, v12
	v_cmp_ne_u32_e64 s[0:1], s15, v13
                                        ; implicit-def: $agpr34
	s_and_saveexec_b64 s[12:13], s[0:1]
	s_xor_b64 s[0:1], exec, s[12:13]
; %bb.770:                              ;   in Loop: Header=BB363_434 Depth=1
	v_bfe_u32 v13, v12, 16, 1
	v_add3_u32 v12, v12, v13, s20
	v_accvgpr_write_b32 a34, v12
                                        ; implicit-def: $vgpr12
; %bb.771:                              ;   in Loop: Header=BB363_434 Depth=1
	s_andn2_saveexec_b64 s[12:13], s[0:1]
; %bb.772:                              ;   in Loop: Header=BB363_434 Depth=1
	v_or_b32_e32 v13, 0x10000, v12
	v_cmp_eq_u32_sdwa s[0:1], v12, v37 src0_sel:WORD_0 src1_sel:DWORD
	s_nop 1
	v_cndmask_b32_e64 v12, v13, v12, s[0:1]
	v_accvgpr_write_b32 a34, v12
; %bb.773:                              ;   in Loop: Header=BB363_434 Depth=1
	s_or_b64 exec, exec, s[12:13]
	v_lshlrev_b32_e32 v8, 16, v8
	v_mul_f32_e32 v8, v30, v8
	v_and_b32_e32 v12, 0x7f800000, v8
	v_cmp_ne_u32_e64 s[0:1], s15, v12
                                        ; implicit-def: $agpr35
	s_and_saveexec_b64 s[12:13], s[0:1]
	s_xor_b64 s[0:1], exec, s[12:13]
; %bb.774:                              ;   in Loop: Header=BB363_434 Depth=1
	v_bfe_u32 v12, v8, 16, 1
	v_add3_u32 v8, v8, v12, s20
	v_accvgpr_write_b32 a35, v8
                                        ; implicit-def: $vgpr8
; %bb.775:                              ;   in Loop: Header=BB363_434 Depth=1
	s_andn2_saveexec_b64 s[12:13], s[0:1]
; %bb.776:                              ;   in Loop: Header=BB363_434 Depth=1
	v_or_b32_e32 v12, 0x10000, v8
	v_cmp_eq_u32_sdwa s[0:1], v8, v37 src0_sel:WORD_0 src1_sel:DWORD
	s_nop 1
	v_cndmask_b32_e64 v8, v12, v8, s[0:1]
	v_accvgpr_write_b32 a35, v8
; %bb.777:                              ;   in Loop: Header=BB363_434 Depth=1
	s_or_b64 exec, exec, s[12:13]
	v_lshlrev_b32_e32 v8, 16, v9
	v_mul_f32_e32 v8, v31, v8
	v_and_b32_e32 v9, 0x7f800000, v8
	v_cmp_ne_u32_e64 s[0:1], s15, v9
                                        ; implicit-def: $agpr36
	s_and_saveexec_b64 s[12:13], s[0:1]
	s_xor_b64 s[0:1], exec, s[12:13]
; %bb.778:                              ;   in Loop: Header=BB363_434 Depth=1
	v_bfe_u32 v9, v8, 16, 1
	v_add3_u32 v8, v8, v9, s20
	v_accvgpr_write_b32 a36, v8
                                        ; implicit-def: $vgpr8
; %bb.779:                              ;   in Loop: Header=BB363_434 Depth=1
	s_andn2_saveexec_b64 s[12:13], s[0:1]
; %bb.780:                              ;   in Loop: Header=BB363_434 Depth=1
	v_or_b32_e32 v9, 0x10000, v8
	v_cmp_eq_u32_sdwa s[0:1], v8, v37 src0_sel:WORD_0 src1_sel:DWORD
	s_nop 1
	v_cndmask_b32_e64 v8, v9, v8, s[0:1]
	v_accvgpr_write_b32 a36, v8
; %bb.781:                              ;   in Loop: Header=BB363_434 Depth=1
	s_or_b64 exec, exec, s[12:13]
	v_lshlrev_b32_e32 v7, 16, v7
	v_mul_f32_e32 v7, v26, v7
	v_and_b32_e32 v8, 0x7f800000, v7
	v_cmp_ne_u32_e64 s[0:1], s15, v8
                                        ; implicit-def: $agpr37
	s_and_saveexec_b64 s[12:13], s[0:1]
	s_xor_b64 s[0:1], exec, s[12:13]
; %bb.782:                              ;   in Loop: Header=BB363_434 Depth=1
	v_bfe_u32 v8, v7, 16, 1
	v_add3_u32 v7, v7, v8, s20
	v_accvgpr_write_b32 a37, v7
                                        ; implicit-def: $vgpr7
; %bb.783:                              ;   in Loop: Header=BB363_434 Depth=1
	s_andn2_saveexec_b64 s[12:13], s[0:1]
; %bb.784:                              ;   in Loop: Header=BB363_434 Depth=1
	v_or_b32_e32 v8, 0x10000, v7
	v_cmp_eq_u32_sdwa s[0:1], v7, v37 src0_sel:WORD_0 src1_sel:DWORD
	s_nop 1
	v_cndmask_b32_e64 v7, v8, v7, s[0:1]
	v_accvgpr_write_b32 a37, v7
; %bb.785:                              ;   in Loop: Header=BB363_434 Depth=1
	s_or_b64 exec, exec, s[12:13]
	v_lshlrev_b32_e32 v6, 16, v6
	v_mul_f32_e32 v6, v27, v6
	v_and_b32_e32 v7, 0x7f800000, v6
	v_cmp_ne_u32_e64 s[0:1], s15, v7
                                        ; implicit-def: $agpr38
	s_and_saveexec_b64 s[12:13], s[0:1]
	s_xor_b64 s[0:1], exec, s[12:13]
; %bb.786:                              ;   in Loop: Header=BB363_434 Depth=1
	v_bfe_u32 v7, v6, 16, 1
	v_add3_u32 v6, v6, v7, s20
	v_accvgpr_write_b32 a38, v6
                                        ; implicit-def: $vgpr6
; %bb.787:                              ;   in Loop: Header=BB363_434 Depth=1
	s_andn2_saveexec_b64 s[12:13], s[0:1]
; %bb.788:                              ;   in Loop: Header=BB363_434 Depth=1
	v_or_b32_e32 v7, 0x10000, v6
	v_cmp_eq_u32_sdwa s[0:1], v6, v37 src0_sel:WORD_0 src1_sel:DWORD
	s_nop 1
	v_cndmask_b32_e64 v6, v7, v6, s[0:1]
	v_accvgpr_write_b32 a38, v6
; %bb.789:                              ;   in Loop: Header=BB363_434 Depth=1
	s_or_b64 exec, exec, s[12:13]
	v_lshlrev_b32_e32 v5, 16, v5
	v_mul_f32_e32 v5, v38, v5
	v_and_b32_e32 v6, 0x7f800000, v5
	v_cmp_ne_u32_e64 s[0:1], s15, v6
                                        ; implicit-def: $agpr39
	s_and_saveexec_b64 s[12:13], s[0:1]
	s_xor_b64 s[0:1], exec, s[12:13]
; %bb.790:                              ;   in Loop: Header=BB363_434 Depth=1
	v_bfe_u32 v6, v5, 16, 1
	v_add3_u32 v5, v5, v6, s20
	v_accvgpr_write_b32 a39, v5
                                        ; implicit-def: $vgpr5
; %bb.791:                              ;   in Loop: Header=BB363_434 Depth=1
	s_andn2_saveexec_b64 s[12:13], s[0:1]
; %bb.792:                              ;   in Loop: Header=BB363_434 Depth=1
	v_or_b32_e32 v6, 0x10000, v5
	v_cmp_eq_u32_sdwa s[0:1], v5, v37 src0_sel:WORD_0 src1_sel:DWORD
	s_nop 1
	v_cndmask_b32_e64 v5, v6, v5, s[0:1]
	v_accvgpr_write_b32 a39, v5
; %bb.793:                              ;   in Loop: Header=BB363_434 Depth=1
	s_or_b64 exec, exec, s[12:13]
	v_lshlrev_b32_e32 v4, 16, v4
	v_mul_f32_e32 v4, v39, v4
	v_and_b32_e32 v5, 0x7f800000, v4
	v_cmp_ne_u32_e64 s[0:1], s15, v5
                                        ; implicit-def: $agpr7
	s_and_saveexec_b64 s[12:13], s[0:1]
	s_xor_b64 s[0:1], exec, s[12:13]
; %bb.794:                              ;   in Loop: Header=BB363_434 Depth=1
	v_bfe_u32 v5, v4, 16, 1
	v_add3_u32 v4, v4, v5, s20
	v_accvgpr_write_b32 a7, v4
                                        ; implicit-def: $vgpr4
; %bb.795:                              ;   in Loop: Header=BB363_434 Depth=1
	s_andn2_saveexec_b64 s[12:13], s[0:1]
; %bb.796:                              ;   in Loop: Header=BB363_434 Depth=1
	v_or_b32_e32 v5, 0x10000, v4
	v_cmp_eq_u32_sdwa s[0:1], v4, v37 src0_sel:WORD_0 src1_sel:DWORD
	s_nop 1
	v_cndmask_b32_e64 v4, v5, v4, s[0:1]
	v_accvgpr_write_b32 a7, v4
; %bb.797:                              ;   in Loop: Header=BB363_434 Depth=1
	s_or_b64 exec, exec, s[12:13]
	flat_load_dwordx2 v[6:7], v[2:3] offset:2560
	s_waitcnt vmcnt(0) lgkmcnt(0)
	v_and_b32_e32 v4, 0xff, v6
	v_cvt_f32_fp8_sdwa v4, v4 src0_sel:BYTE_0
	s_nop 0
	v_mul_f32_e32 v5, v60, v4
	v_and_b32_e32 v4, 0x7f800000, v5
	v_cmp_ne_u32_e64 s[0:1], s15, v4
                                        ; implicit-def: $vgpr4
	s_and_saveexec_b64 s[12:13], s[0:1]
	s_xor_b64 s[0:1], exec, s[12:13]
; %bb.798:                              ;   in Loop: Header=BB363_434 Depth=1
	v_bfe_u32 v4, v5, 16, 1
	v_add3_u32 v4, v5, v4, s20
                                        ; implicit-def: $vgpr5
; %bb.799:                              ;   in Loop: Header=BB363_434 Depth=1
	s_andn2_saveexec_b64 s[12:13], s[0:1]
; %bb.800:                              ;   in Loop: Header=BB363_434 Depth=1
	v_or_b32_e32 v4, 0x10000, v5
	v_cmp_eq_u32_sdwa s[0:1], v5, v37 src0_sel:WORD_0 src1_sel:DWORD
	s_nop 1
	v_cndmask_b32_e64 v4, v4, v5, s[0:1]
; %bb.801:                              ;   in Loop: Header=BB363_434 Depth=1
	s_or_b64 exec, exec, s[12:13]
	v_bfe_u32 v5, v6, 8, 8
	v_cvt_f32_fp8_sdwa v5, v5 src0_sel:BYTE_0
	s_nop 0
	v_mul_f32_e32 v8, v60, v5
	v_and_b32_e32 v5, 0x7f800000, v8
	v_cmp_ne_u32_e64 s[0:1], s15, v5
                                        ; implicit-def: $vgpr5
	s_and_saveexec_b64 s[12:13], s[0:1]
	s_xor_b64 s[0:1], exec, s[12:13]
; %bb.802:                              ;   in Loop: Header=BB363_434 Depth=1
	v_bfe_u32 v5, v8, 16, 1
	v_add3_u32 v5, v8, v5, s20
                                        ; implicit-def: $vgpr8
; %bb.803:                              ;   in Loop: Header=BB363_434 Depth=1
	s_andn2_saveexec_b64 s[12:13], s[0:1]
; %bb.804:                              ;   in Loop: Header=BB363_434 Depth=1
	v_or_b32_e32 v5, 0x10000, v8
	v_cmp_eq_u32_sdwa s[0:1], v8, v37 src0_sel:WORD_0 src1_sel:DWORD
	s_nop 1
	v_cndmask_b32_e64 v5, v5, v8, s[0:1]
; %bb.805:                              ;   in Loop: Header=BB363_434 Depth=1
	s_or_b64 exec, exec, s[12:13]
	v_bfe_u32 v8, v6, 16, 8
	v_cvt_f32_fp8_sdwa v8, v8 src0_sel:BYTE_0
	s_nop 0
	v_mul_f32_e32 v9, v60, v8
	v_and_b32_e32 v8, 0x7f800000, v9
	v_cmp_ne_u32_e64 s[0:1], s15, v8
                                        ; implicit-def: $vgpr8
	s_and_saveexec_b64 s[12:13], s[0:1]
	s_xor_b64 s[0:1], exec, s[12:13]
; %bb.806:                              ;   in Loop: Header=BB363_434 Depth=1
	v_bfe_u32 v8, v9, 16, 1
	v_add3_u32 v8, v9, v8, s20
                                        ; implicit-def: $vgpr9
; %bb.807:                              ;   in Loop: Header=BB363_434 Depth=1
	s_andn2_saveexec_b64 s[12:13], s[0:1]
; %bb.808:                              ;   in Loop: Header=BB363_434 Depth=1
	v_or_b32_e32 v8, 0x10000, v9
	v_cmp_eq_u32_sdwa s[0:1], v9, v37 src0_sel:WORD_0 src1_sel:DWORD
	s_nop 1
	v_cndmask_b32_e64 v8, v8, v9, s[0:1]
; %bb.809:                              ;   in Loop: Header=BB363_434 Depth=1
	s_or_b64 exec, exec, s[12:13]
	v_lshrrev_b32_e32 v6, 24, v6
	v_cvt_f32_fp8_sdwa v6, v6 src0_sel:BYTE_0
	s_nop 0
	v_mul_f32_e32 v6, v60, v6
	v_and_b32_e32 v9, 0x7f800000, v6
	v_cmp_ne_u32_e64 s[0:1], s15, v9
                                        ; implicit-def: $vgpr9
	s_and_saveexec_b64 s[12:13], s[0:1]
	s_xor_b64 s[0:1], exec, s[12:13]
; %bb.810:                              ;   in Loop: Header=BB363_434 Depth=1
	v_bfe_u32 v9, v6, 16, 1
	v_add3_u32 v9, v6, v9, s20
                                        ; implicit-def: $vgpr6
; %bb.811:                              ;   in Loop: Header=BB363_434 Depth=1
	s_andn2_saveexec_b64 s[12:13], s[0:1]
; %bb.812:                              ;   in Loop: Header=BB363_434 Depth=1
	v_or_b32_e32 v9, 0x10000, v6
	v_cmp_eq_u32_sdwa s[0:1], v6, v37 src0_sel:WORD_0 src1_sel:DWORD
	s_nop 1
	v_cndmask_b32_e64 v9, v9, v6, s[0:1]
; %bb.813:                              ;   in Loop: Header=BB363_434 Depth=1
	s_or_b64 exec, exec, s[12:13]
	v_and_b32_e32 v6, 0xff, v7
	v_cvt_f32_fp8_sdwa v6, v6 src0_sel:BYTE_0
	s_nop 0
	v_mul_f32_e32 v6, v60, v6
	v_and_b32_e32 v12, 0x7f800000, v6
	v_cmp_ne_u32_e64 s[0:1], s15, v12
                                        ; implicit-def: $vgpr12
	s_and_saveexec_b64 s[12:13], s[0:1]
	s_xor_b64 s[0:1], exec, s[12:13]
; %bb.814:                              ;   in Loop: Header=BB363_434 Depth=1
	v_bfe_u32 v12, v6, 16, 1
	v_add3_u32 v12, v6, v12, s20
                                        ; implicit-def: $vgpr6
; %bb.815:                              ;   in Loop: Header=BB363_434 Depth=1
	s_andn2_saveexec_b64 s[12:13], s[0:1]
; %bb.816:                              ;   in Loop: Header=BB363_434 Depth=1
	v_or_b32_e32 v12, 0x10000, v6
	v_cmp_eq_u32_sdwa s[0:1], v6, v37 src0_sel:WORD_0 src1_sel:DWORD
	s_nop 1
	v_cndmask_b32_e64 v12, v12, v6, s[0:1]
; %bb.817:                              ;   in Loop: Header=BB363_434 Depth=1
	s_or_b64 exec, exec, s[12:13]
	v_bfe_u32 v6, v7, 8, 8
	v_cvt_f32_fp8_sdwa v6, v6 src0_sel:BYTE_0
	s_nop 0
	v_mul_f32_e32 v13, v60, v6
	v_and_b32_e32 v6, 0x7f800000, v13
	v_cmp_ne_u32_e64 s[0:1], s15, v6
                                        ; implicit-def: $vgpr6
	s_and_saveexec_b64 s[12:13], s[0:1]
	s_xor_b64 s[0:1], exec, s[12:13]
; %bb.818:                              ;   in Loop: Header=BB363_434 Depth=1
	v_bfe_u32 v6, v13, 16, 1
	v_add3_u32 v6, v13, v6, s20
                                        ; implicit-def: $vgpr13
; %bb.819:                              ;   in Loop: Header=BB363_434 Depth=1
	s_andn2_saveexec_b64 s[12:13], s[0:1]
; %bb.820:                              ;   in Loop: Header=BB363_434 Depth=1
	v_or_b32_e32 v6, 0x10000, v13
	v_cmp_eq_u32_sdwa s[0:1], v13, v37 src0_sel:WORD_0 src1_sel:DWORD
	s_nop 1
	v_cndmask_b32_e64 v6, v6, v13, s[0:1]
; %bb.821:                              ;   in Loop: Header=BB363_434 Depth=1
	s_or_b64 exec, exec, s[12:13]
	v_bfe_u32 v13, v7, 16, 8
	v_cvt_f32_fp8_sdwa v13, v13 src0_sel:BYTE_0
	s_nop 0
	v_mul_f32_e32 v16, v60, v13
	v_and_b32_e32 v13, 0x7f800000, v16
	v_cmp_ne_u32_e64 s[0:1], s15, v13
                                        ; implicit-def: $vgpr13
	s_and_saveexec_b64 s[12:13], s[0:1]
	s_xor_b64 s[0:1], exec, s[12:13]
; %bb.822:                              ;   in Loop: Header=BB363_434 Depth=1
	v_bfe_u32 v13, v16, 16, 1
	v_add3_u32 v13, v16, v13, s20
                                        ; implicit-def: $vgpr16
; %bb.823:                              ;   in Loop: Header=BB363_434 Depth=1
	s_andn2_saveexec_b64 s[12:13], s[0:1]
; %bb.824:                              ;   in Loop: Header=BB363_434 Depth=1
	v_or_b32_e32 v13, 0x10000, v16
	v_cmp_eq_u32_sdwa s[0:1], v16, v37 src0_sel:WORD_0 src1_sel:DWORD
	s_nop 1
	v_cndmask_b32_e64 v13, v13, v16, s[0:1]
; %bb.825:                              ;   in Loop: Header=BB363_434 Depth=1
	s_or_b64 exec, exec, s[12:13]
	v_lshrrev_b32_e32 v7, 24, v7
	v_cvt_f32_fp8_sdwa v7, v7 src0_sel:BYTE_0
                                        ; implicit-def: $vgpr17
	s_nop 0
	v_mul_f32_e32 v7, v60, v7
	v_and_b32_e32 v16, 0x7f800000, v7
	v_cmp_ne_u32_e64 s[0:1], s15, v16
	s_and_saveexec_b64 s[12:13], s[0:1]
	s_xor_b64 s[0:1], exec, s[12:13]
; %bb.826:                              ;   in Loop: Header=BB363_434 Depth=1
	v_bfe_u32 v16, v7, 16, 1
	v_add3_u32 v17, v7, v16, s20
                                        ; implicit-def: $vgpr7
; %bb.827:                              ;   in Loop: Header=BB363_434 Depth=1
	s_andn2_saveexec_b64 s[12:13], s[0:1]
; %bb.828:                              ;   in Loop: Header=BB363_434 Depth=1
	v_or_b32_e32 v16, 0x10000, v7
	v_cmp_eq_u32_sdwa s[0:1], v7, v37 src0_sel:WORD_0 src1_sel:DWORD
	s_nop 1
	v_cndmask_b32_e64 v17, v16, v7, s[0:1]
; %bb.829:                              ;   in Loop: Header=BB363_434 Depth=1
	s_or_b64 exec, exec, s[12:13]
	v_lshrrev_b32_e32 v6, 16, v6
	v_lshrrev_b32_e32 v7, 16, v12
	v_lshrrev_b32_e32 v9, 16, v9
	v_lshrrev_b32_e32 v8, 16, v8
	v_lshrrev_b32_e32 v12, 16, v5
	v_lshrrev_b32_e32 v16, 16, v4
	v_lshrrev_b32_e32 v5, 16, v13
	v_lshrrev_b32_e32 v4, 16, v17
	s_and_saveexec_b64 s[12:13], vcc
	s_cbranch_execz .LBB363_831
; %bb.830:                              ;   in Loop: Header=BB363_434 Depth=1
	scratch_load_dword v17, off, s32 offset:196 ; 4-byte Folded Reload
	v_accvgpr_read_b32 v13, a53
	s_waitcnt vmcnt(0)
	v_cmp_lt_i32_e64 s[0:1], v55, v17
	s_nop 1
	v_cndmask_b32_e64 v16, 0, v16, s[0:1]
	v_cmp_lt_i32_e64 s[0:1], v13, v17
	v_accvgpr_read_b32 v13, a52
	s_nop 0
	v_cndmask_b32_e64 v12, 0, v12, s[0:1]
	v_cmp_lt_i32_e64 s[0:1], v13, v17
	v_accvgpr_read_b32 v13, a51
	;; [unrolled: 4-line block ×6, first 2 shown]
	s_nop 0
	v_cndmask_b32_e64 v5, 0, v5, s[0:1]
	v_cmp_lt_i32_e64 s[0:1], v13, v17
	s_nop 1
	v_cndmask_b32_e64 v4, 0, v4, s[0:1]
.LBB363_831:                            ;   in Loop: Header=BB363_434 Depth=1
	s_or_b64 exec, exec, s[12:13]
	v_lshlrev_b32_e32 v13, 16, v16
	v_mul_f32_e32 v13, v10, v13
	v_and_b32_e32 v16, 0x7f800000, v13
	v_cmp_ne_u32_e64 s[0:1], s15, v16
                                        ; implicit-def: $agpr11
	s_and_saveexec_b64 s[12:13], s[0:1]
	s_xor_b64 s[0:1], exec, s[12:13]
; %bb.832:                              ;   in Loop: Header=BB363_434 Depth=1
	v_bfe_u32 v16, v13, 16, 1
	v_add3_u32 v13, v13, v16, s20
	v_accvgpr_write_b32 a11, v13
                                        ; implicit-def: $vgpr13
; %bb.833:                              ;   in Loop: Header=BB363_434 Depth=1
	s_andn2_saveexec_b64 s[12:13], s[0:1]
; %bb.834:                              ;   in Loop: Header=BB363_434 Depth=1
	v_or_b32_e32 v16, 0x10000, v13
	v_cmp_eq_u32_sdwa s[0:1], v13, v37 src0_sel:WORD_0 src1_sel:DWORD
	s_nop 1
	v_cndmask_b32_e64 v13, v16, v13, s[0:1]
	v_accvgpr_write_b32 a11, v13
; %bb.835:                              ;   in Loop: Header=BB363_434 Depth=1
	s_or_b64 exec, exec, s[12:13]
	v_lshlrev_b32_e32 v12, 16, v12
	v_mul_f32_e32 v12, v11, v12
	v_and_b32_e32 v13, 0x7f800000, v12
	v_cmp_ne_u32_e64 s[0:1], s15, v13
                                        ; implicit-def: $agpr3
	s_and_saveexec_b64 s[12:13], s[0:1]
	s_xor_b64 s[0:1], exec, s[12:13]
; %bb.836:                              ;   in Loop: Header=BB363_434 Depth=1
	v_bfe_u32 v13, v12, 16, 1
	v_add3_u32 v12, v12, v13, s20
	v_accvgpr_write_b32 a3, v12
                                        ; implicit-def: $vgpr12
; %bb.837:                              ;   in Loop: Header=BB363_434 Depth=1
	s_andn2_saveexec_b64 s[12:13], s[0:1]
; %bb.838:                              ;   in Loop: Header=BB363_434 Depth=1
	v_or_b32_e32 v13, 0x10000, v12
	v_cmp_eq_u32_sdwa s[0:1], v12, v37 src0_sel:WORD_0 src1_sel:DWORD
	s_nop 1
	v_cndmask_b32_e64 v12, v13, v12, s[0:1]
	v_accvgpr_write_b32 a3, v12
; %bb.839:                              ;   in Loop: Header=BB363_434 Depth=1
	s_or_b64 exec, exec, s[12:13]
	v_lshlrev_b32_e32 v8, 16, v8
	v_mul_f32_e32 v8, v30, v8
	v_and_b32_e32 v12, 0x7f800000, v8
	v_cmp_ne_u32_e64 s[0:1], s15, v12
                                        ; implicit-def: $agpr9
	s_and_saveexec_b64 s[12:13], s[0:1]
	s_xor_b64 s[0:1], exec, s[12:13]
; %bb.840:                              ;   in Loop: Header=BB363_434 Depth=1
	v_bfe_u32 v12, v8, 16, 1
	v_add3_u32 v8, v8, v12, s20
	v_accvgpr_write_b32 a9, v8
                                        ; implicit-def: $vgpr8
; %bb.841:                              ;   in Loop: Header=BB363_434 Depth=1
	s_andn2_saveexec_b64 s[12:13], s[0:1]
; %bb.842:                              ;   in Loop: Header=BB363_434 Depth=1
	v_or_b32_e32 v12, 0x10000, v8
	v_cmp_eq_u32_sdwa s[0:1], v8, v37 src0_sel:WORD_0 src1_sel:DWORD
	s_nop 1
	v_cndmask_b32_e64 v8, v12, v8, s[0:1]
	v_accvgpr_write_b32 a9, v8
; %bb.843:                              ;   in Loop: Header=BB363_434 Depth=1
	s_or_b64 exec, exec, s[12:13]
	v_lshlrev_b32_e32 v8, 16, v9
	v_mul_f32_e32 v8, v31, v8
	v_and_b32_e32 v9, 0x7f800000, v8
	v_cmp_ne_u32_e64 s[0:1], s15, v9
                                        ; implicit-def: $agpr10
	s_and_saveexec_b64 s[12:13], s[0:1]
	s_xor_b64 s[0:1], exec, s[12:13]
; %bb.844:                              ;   in Loop: Header=BB363_434 Depth=1
	v_bfe_u32 v9, v8, 16, 1
	v_add3_u32 v8, v8, v9, s20
	v_accvgpr_write_b32 a10, v8
                                        ; implicit-def: $vgpr8
; %bb.845:                              ;   in Loop: Header=BB363_434 Depth=1
	s_andn2_saveexec_b64 s[12:13], s[0:1]
; %bb.846:                              ;   in Loop: Header=BB363_434 Depth=1
	v_or_b32_e32 v9, 0x10000, v8
	v_cmp_eq_u32_sdwa s[0:1], v8, v37 src0_sel:WORD_0 src1_sel:DWORD
	s_nop 1
	v_cndmask_b32_e64 v8, v9, v8, s[0:1]
	v_accvgpr_write_b32 a10, v8
; %bb.847:                              ;   in Loop: Header=BB363_434 Depth=1
	s_or_b64 exec, exec, s[12:13]
	v_lshlrev_b32_e32 v7, 16, v7
	v_mul_f32_e32 v7, v26, v7
	v_and_b32_e32 v8, 0x7f800000, v7
	v_cmp_ne_u32_e64 s[0:1], s15, v8
                                        ; implicit-def: $agpr6
	s_and_saveexec_b64 s[12:13], s[0:1]
	s_xor_b64 s[0:1], exec, s[12:13]
; %bb.848:                              ;   in Loop: Header=BB363_434 Depth=1
	v_bfe_u32 v8, v7, 16, 1
	v_add3_u32 v7, v7, v8, s20
	v_accvgpr_write_b32 a6, v7
                                        ; implicit-def: $vgpr7
; %bb.849:                              ;   in Loop: Header=BB363_434 Depth=1
	s_andn2_saveexec_b64 s[12:13], s[0:1]
; %bb.850:                              ;   in Loop: Header=BB363_434 Depth=1
	v_or_b32_e32 v8, 0x10000, v7
	v_cmp_eq_u32_sdwa s[0:1], v7, v37 src0_sel:WORD_0 src1_sel:DWORD
	s_nop 1
	v_cndmask_b32_e64 v7, v8, v7, s[0:1]
	v_accvgpr_write_b32 a6, v7
; %bb.851:                              ;   in Loop: Header=BB363_434 Depth=1
	s_or_b64 exec, exec, s[12:13]
	v_lshlrev_b32_e32 v6, 16, v6
	v_mul_f32_e32 v6, v27, v6
	v_and_b32_e32 v7, 0x7f800000, v6
	v_cmp_ne_u32_e64 s[0:1], s15, v7
                                        ; implicit-def: $agpr40
	s_and_saveexec_b64 s[12:13], s[0:1]
	s_xor_b64 s[0:1], exec, s[12:13]
; %bb.852:                              ;   in Loop: Header=BB363_434 Depth=1
	v_bfe_u32 v7, v6, 16, 1
	v_add3_u32 v6, v6, v7, s20
	v_accvgpr_write_b32 a40, v6
                                        ; implicit-def: $vgpr6
; %bb.853:                              ;   in Loop: Header=BB363_434 Depth=1
	s_andn2_saveexec_b64 s[12:13], s[0:1]
; %bb.854:                              ;   in Loop: Header=BB363_434 Depth=1
	v_or_b32_e32 v7, 0x10000, v6
	v_cmp_eq_u32_sdwa s[0:1], v6, v37 src0_sel:WORD_0 src1_sel:DWORD
	s_nop 1
	v_cndmask_b32_e64 v6, v7, v6, s[0:1]
	v_accvgpr_write_b32 a40, v6
; %bb.855:                              ;   in Loop: Header=BB363_434 Depth=1
	s_or_b64 exec, exec, s[12:13]
	v_lshlrev_b32_e32 v5, 16, v5
	v_mul_f32_e32 v5, v38, v5
	v_and_b32_e32 v6, 0x7f800000, v5
	v_cmp_ne_u32_e64 s[0:1], s15, v6
                                        ; implicit-def: $agpr22
	s_and_saveexec_b64 s[12:13], s[0:1]
	s_xor_b64 s[0:1], exec, s[12:13]
; %bb.856:                              ;   in Loop: Header=BB363_434 Depth=1
	v_bfe_u32 v6, v5, 16, 1
	v_add3_u32 v5, v5, v6, s20
	v_accvgpr_write_b32 a22, v5
                                        ; implicit-def: $vgpr5
; %bb.857:                              ;   in Loop: Header=BB363_434 Depth=1
	s_andn2_saveexec_b64 s[12:13], s[0:1]
; %bb.858:                              ;   in Loop: Header=BB363_434 Depth=1
	v_or_b32_e32 v6, 0x10000, v5
	v_cmp_eq_u32_sdwa s[0:1], v5, v37 src0_sel:WORD_0 src1_sel:DWORD
	s_nop 1
	v_cndmask_b32_e64 v5, v6, v5, s[0:1]
	v_accvgpr_write_b32 a22, v5
; %bb.859:                              ;   in Loop: Header=BB363_434 Depth=1
	s_or_b64 exec, exec, s[12:13]
	v_lshlrev_b32_e32 v4, 16, v4
	v_mul_f32_e32 v4, v39, v4
	v_and_b32_e32 v5, 0x7f800000, v4
	v_cmp_ne_u32_e64 s[0:1], s15, v5
                                        ; implicit-def: $agpr23
	s_and_saveexec_b64 s[12:13], s[0:1]
	s_xor_b64 s[0:1], exec, s[12:13]
; %bb.860:                              ;   in Loop: Header=BB363_434 Depth=1
	v_bfe_u32 v5, v4, 16, 1
	v_add3_u32 v4, v4, v5, s20
	v_accvgpr_write_b32 a23, v4
                                        ; implicit-def: $vgpr4
; %bb.861:                              ;   in Loop: Header=BB363_434 Depth=1
	s_andn2_saveexec_b64 s[12:13], s[0:1]
; %bb.862:                              ;   in Loop: Header=BB363_434 Depth=1
	v_or_b32_e32 v5, 0x10000, v4
	v_cmp_eq_u32_sdwa s[0:1], v4, v37 src0_sel:WORD_0 src1_sel:DWORD
	s_nop 1
	v_cndmask_b32_e64 v4, v5, v4, s[0:1]
	v_accvgpr_write_b32 a23, v4
; %bb.863:                              ;   in Loop: Header=BB363_434 Depth=1
	s_or_b64 exec, exec, s[12:13]
	flat_load_dwordx2 v[6:7], v[2:3] offset:3072
	s_waitcnt vmcnt(0) lgkmcnt(0)
	v_and_b32_e32 v4, 0xff, v6
	v_cvt_f32_fp8_sdwa v4, v4 src0_sel:BYTE_0
	s_nop 0
	v_mul_f32_e32 v5, v60, v4
	v_and_b32_e32 v4, 0x7f800000, v5
	v_cmp_ne_u32_e64 s[0:1], s15, v4
                                        ; implicit-def: $vgpr4
	s_and_saveexec_b64 s[12:13], s[0:1]
	s_xor_b64 s[0:1], exec, s[12:13]
; %bb.864:                              ;   in Loop: Header=BB363_434 Depth=1
	v_bfe_u32 v4, v5, 16, 1
	v_add3_u32 v4, v5, v4, s20
                                        ; implicit-def: $vgpr5
; %bb.865:                              ;   in Loop: Header=BB363_434 Depth=1
	s_andn2_saveexec_b64 s[12:13], s[0:1]
; %bb.866:                              ;   in Loop: Header=BB363_434 Depth=1
	v_or_b32_e32 v4, 0x10000, v5
	v_cmp_eq_u32_sdwa s[0:1], v5, v37 src0_sel:WORD_0 src1_sel:DWORD
	s_nop 1
	v_cndmask_b32_e64 v4, v4, v5, s[0:1]
; %bb.867:                              ;   in Loop: Header=BB363_434 Depth=1
	s_or_b64 exec, exec, s[12:13]
	v_bfe_u32 v5, v6, 8, 8
	v_cvt_f32_fp8_sdwa v5, v5 src0_sel:BYTE_0
	s_nop 0
	v_mul_f32_e32 v8, v60, v5
	v_and_b32_e32 v5, 0x7f800000, v8
	v_cmp_ne_u32_e64 s[0:1], s15, v5
                                        ; implicit-def: $vgpr5
	s_and_saveexec_b64 s[12:13], s[0:1]
	s_xor_b64 s[0:1], exec, s[12:13]
; %bb.868:                              ;   in Loop: Header=BB363_434 Depth=1
	v_bfe_u32 v5, v8, 16, 1
	v_add3_u32 v5, v8, v5, s20
                                        ; implicit-def: $vgpr8
; %bb.869:                              ;   in Loop: Header=BB363_434 Depth=1
	s_andn2_saveexec_b64 s[12:13], s[0:1]
; %bb.870:                              ;   in Loop: Header=BB363_434 Depth=1
	v_or_b32_e32 v5, 0x10000, v8
	v_cmp_eq_u32_sdwa s[0:1], v8, v37 src0_sel:WORD_0 src1_sel:DWORD
	s_nop 1
	v_cndmask_b32_e64 v5, v5, v8, s[0:1]
; %bb.871:                              ;   in Loop: Header=BB363_434 Depth=1
	s_or_b64 exec, exec, s[12:13]
	v_bfe_u32 v8, v6, 16, 8
	v_cvt_f32_fp8_sdwa v8, v8 src0_sel:BYTE_0
	s_nop 0
	v_mul_f32_e32 v9, v60, v8
	v_and_b32_e32 v8, 0x7f800000, v9
	v_cmp_ne_u32_e64 s[0:1], s15, v8
                                        ; implicit-def: $vgpr8
	s_and_saveexec_b64 s[12:13], s[0:1]
	s_xor_b64 s[0:1], exec, s[12:13]
; %bb.872:                              ;   in Loop: Header=BB363_434 Depth=1
	v_bfe_u32 v8, v9, 16, 1
	v_add3_u32 v8, v9, v8, s20
                                        ; implicit-def: $vgpr9
; %bb.873:                              ;   in Loop: Header=BB363_434 Depth=1
	s_andn2_saveexec_b64 s[12:13], s[0:1]
; %bb.874:                              ;   in Loop: Header=BB363_434 Depth=1
	v_or_b32_e32 v8, 0x10000, v9
	v_cmp_eq_u32_sdwa s[0:1], v9, v37 src0_sel:WORD_0 src1_sel:DWORD
	s_nop 1
	v_cndmask_b32_e64 v8, v8, v9, s[0:1]
; %bb.875:                              ;   in Loop: Header=BB363_434 Depth=1
	s_or_b64 exec, exec, s[12:13]
	v_lshrrev_b32_e32 v6, 24, v6
	v_cvt_f32_fp8_sdwa v6, v6 src0_sel:BYTE_0
	s_nop 0
	v_mul_f32_e32 v6, v60, v6
	v_and_b32_e32 v9, 0x7f800000, v6
	v_cmp_ne_u32_e64 s[0:1], s15, v9
                                        ; implicit-def: $vgpr9
	s_and_saveexec_b64 s[12:13], s[0:1]
	s_xor_b64 s[0:1], exec, s[12:13]
; %bb.876:                              ;   in Loop: Header=BB363_434 Depth=1
	v_bfe_u32 v9, v6, 16, 1
	v_add3_u32 v9, v6, v9, s20
                                        ; implicit-def: $vgpr6
; %bb.877:                              ;   in Loop: Header=BB363_434 Depth=1
	s_andn2_saveexec_b64 s[12:13], s[0:1]
; %bb.878:                              ;   in Loop: Header=BB363_434 Depth=1
	v_or_b32_e32 v9, 0x10000, v6
	v_cmp_eq_u32_sdwa s[0:1], v6, v37 src0_sel:WORD_0 src1_sel:DWORD
	s_nop 1
	v_cndmask_b32_e64 v9, v9, v6, s[0:1]
; %bb.879:                              ;   in Loop: Header=BB363_434 Depth=1
	s_or_b64 exec, exec, s[12:13]
	v_and_b32_e32 v6, 0xff, v7
	v_cvt_f32_fp8_sdwa v6, v6 src0_sel:BYTE_0
	s_nop 0
	v_mul_f32_e32 v6, v60, v6
	v_and_b32_e32 v12, 0x7f800000, v6
	v_cmp_ne_u32_e64 s[0:1], s15, v12
                                        ; implicit-def: $vgpr12
	s_and_saveexec_b64 s[12:13], s[0:1]
	s_xor_b64 s[0:1], exec, s[12:13]
; %bb.880:                              ;   in Loop: Header=BB363_434 Depth=1
	v_bfe_u32 v12, v6, 16, 1
	v_add3_u32 v12, v6, v12, s20
                                        ; implicit-def: $vgpr6
; %bb.881:                              ;   in Loop: Header=BB363_434 Depth=1
	s_andn2_saveexec_b64 s[12:13], s[0:1]
; %bb.882:                              ;   in Loop: Header=BB363_434 Depth=1
	v_or_b32_e32 v12, 0x10000, v6
	v_cmp_eq_u32_sdwa s[0:1], v6, v37 src0_sel:WORD_0 src1_sel:DWORD
	s_nop 1
	v_cndmask_b32_e64 v12, v12, v6, s[0:1]
; %bb.883:                              ;   in Loop: Header=BB363_434 Depth=1
	s_or_b64 exec, exec, s[12:13]
	v_bfe_u32 v6, v7, 8, 8
	v_cvt_f32_fp8_sdwa v6, v6 src0_sel:BYTE_0
	s_nop 0
	v_mul_f32_e32 v13, v60, v6
	v_and_b32_e32 v6, 0x7f800000, v13
	v_cmp_ne_u32_e64 s[0:1], s15, v6
                                        ; implicit-def: $vgpr6
	s_and_saveexec_b64 s[12:13], s[0:1]
	s_xor_b64 s[0:1], exec, s[12:13]
; %bb.884:                              ;   in Loop: Header=BB363_434 Depth=1
	v_bfe_u32 v6, v13, 16, 1
	v_add3_u32 v6, v13, v6, s20
                                        ; implicit-def: $vgpr13
; %bb.885:                              ;   in Loop: Header=BB363_434 Depth=1
	s_andn2_saveexec_b64 s[12:13], s[0:1]
; %bb.886:                              ;   in Loop: Header=BB363_434 Depth=1
	v_or_b32_e32 v6, 0x10000, v13
	v_cmp_eq_u32_sdwa s[0:1], v13, v37 src0_sel:WORD_0 src1_sel:DWORD
	s_nop 1
	v_cndmask_b32_e64 v6, v6, v13, s[0:1]
; %bb.887:                              ;   in Loop: Header=BB363_434 Depth=1
	s_or_b64 exec, exec, s[12:13]
	v_bfe_u32 v13, v7, 16, 8
	v_cvt_f32_fp8_sdwa v13, v13 src0_sel:BYTE_0
	s_nop 0
	v_mul_f32_e32 v16, v60, v13
	v_and_b32_e32 v13, 0x7f800000, v16
	v_cmp_ne_u32_e64 s[0:1], s15, v13
                                        ; implicit-def: $vgpr13
	s_and_saveexec_b64 s[12:13], s[0:1]
	s_xor_b64 s[0:1], exec, s[12:13]
; %bb.888:                              ;   in Loop: Header=BB363_434 Depth=1
	v_bfe_u32 v13, v16, 16, 1
	v_add3_u32 v13, v16, v13, s20
                                        ; implicit-def: $vgpr16
; %bb.889:                              ;   in Loop: Header=BB363_434 Depth=1
	s_andn2_saveexec_b64 s[12:13], s[0:1]
; %bb.890:                              ;   in Loop: Header=BB363_434 Depth=1
	v_or_b32_e32 v13, 0x10000, v16
	v_cmp_eq_u32_sdwa s[0:1], v16, v37 src0_sel:WORD_0 src1_sel:DWORD
	s_nop 1
	v_cndmask_b32_e64 v13, v13, v16, s[0:1]
; %bb.891:                              ;   in Loop: Header=BB363_434 Depth=1
	s_or_b64 exec, exec, s[12:13]
	v_lshrrev_b32_e32 v7, 24, v7
	v_cvt_f32_fp8_sdwa v7, v7 src0_sel:BYTE_0
                                        ; implicit-def: $vgpr17
	s_nop 0
	v_mul_f32_e32 v7, v60, v7
	v_and_b32_e32 v16, 0x7f800000, v7
	v_cmp_ne_u32_e64 s[0:1], s15, v16
	s_and_saveexec_b64 s[12:13], s[0:1]
	s_xor_b64 s[0:1], exec, s[12:13]
; %bb.892:                              ;   in Loop: Header=BB363_434 Depth=1
	v_bfe_u32 v16, v7, 16, 1
	v_add3_u32 v17, v7, v16, s20
                                        ; implicit-def: $vgpr7
; %bb.893:                              ;   in Loop: Header=BB363_434 Depth=1
	s_andn2_saveexec_b64 s[12:13], s[0:1]
; %bb.894:                              ;   in Loop: Header=BB363_434 Depth=1
	v_or_b32_e32 v16, 0x10000, v7
	v_cmp_eq_u32_sdwa s[0:1], v7, v37 src0_sel:WORD_0 src1_sel:DWORD
	s_nop 1
	v_cndmask_b32_e64 v17, v16, v7, s[0:1]
; %bb.895:                              ;   in Loop: Header=BB363_434 Depth=1
	s_or_b64 exec, exec, s[12:13]
	v_lshrrev_b32_e32 v6, 16, v6
	v_lshrrev_b32_e32 v7, 16, v12
	;; [unrolled: 1-line block ×8, first 2 shown]
	s_and_saveexec_b64 s[12:13], vcc
	s_cbranch_execz .LBB363_897
; %bb.896:                              ;   in Loop: Header=BB363_434 Depth=1
	scratch_load_dword v17, off, s32 offset:196 ; 4-byte Folded Reload
	v_accvgpr_read_b32 v13, a53
	s_waitcnt vmcnt(0)
	v_cmp_lt_i32_e64 s[0:1], v55, v17
	s_nop 1
	v_cndmask_b32_e64 v16, 0, v16, s[0:1]
	v_cmp_lt_i32_e64 s[0:1], v13, v17
	v_accvgpr_read_b32 v13, a52
	s_nop 0
	v_cndmask_b32_e64 v12, 0, v12, s[0:1]
	v_cmp_lt_i32_e64 s[0:1], v13, v17
	v_accvgpr_read_b32 v13, a51
	;; [unrolled: 4-line block ×6, first 2 shown]
	s_nop 0
	v_cndmask_b32_e64 v5, 0, v5, s[0:1]
	v_cmp_lt_i32_e64 s[0:1], v13, v17
	s_nop 1
	v_cndmask_b32_e64 v4, 0, v4, s[0:1]
.LBB363_897:                            ;   in Loop: Header=BB363_434 Depth=1
	s_or_b64 exec, exec, s[12:13]
	v_lshlrev_b32_e32 v13, 16, v16
	v_mul_f32_e32 v13, v10, v13
	v_and_b32_e32 v16, 0x7f800000, v13
	v_cmp_ne_u32_e64 s[0:1], s15, v16
                                        ; implicit-def: $vgpr42
	s_and_saveexec_b64 s[12:13], s[0:1]
	s_xor_b64 s[0:1], exec, s[12:13]
; %bb.898:                              ;   in Loop: Header=BB363_434 Depth=1
	v_bfe_u32 v16, v13, 16, 1
	v_add3_u32 v42, v13, v16, s20
                                        ; implicit-def: $vgpr13
; %bb.899:                              ;   in Loop: Header=BB363_434 Depth=1
	s_andn2_saveexec_b64 s[12:13], s[0:1]
; %bb.900:                              ;   in Loop: Header=BB363_434 Depth=1
	v_or_b32_e32 v16, 0x10000, v13
	v_cmp_eq_u32_sdwa s[0:1], v13, v37 src0_sel:WORD_0 src1_sel:DWORD
	s_nop 1
	v_cndmask_b32_e64 v42, v16, v13, s[0:1]
; %bb.901:                              ;   in Loop: Header=BB363_434 Depth=1
	s_or_b64 exec, exec, s[12:13]
	v_lshlrev_b32_e32 v12, 16, v12
	v_mul_f32_e32 v12, v11, v12
	v_and_b32_e32 v13, 0x7f800000, v12
	v_cmp_ne_u32_e64 s[0:1], s15, v13
                                        ; implicit-def: $agpr25
	s_and_saveexec_b64 s[12:13], s[0:1]
	s_xor_b64 s[0:1], exec, s[12:13]
; %bb.902:                              ;   in Loop: Header=BB363_434 Depth=1
	v_bfe_u32 v13, v12, 16, 1
	v_add3_u32 v12, v12, v13, s20
	v_accvgpr_write_b32 a25, v12
                                        ; implicit-def: $vgpr12
; %bb.903:                              ;   in Loop: Header=BB363_434 Depth=1
	s_andn2_saveexec_b64 s[12:13], s[0:1]
; %bb.904:                              ;   in Loop: Header=BB363_434 Depth=1
	v_or_b32_e32 v13, 0x10000, v12
	v_cmp_eq_u32_sdwa s[0:1], v12, v37 src0_sel:WORD_0 src1_sel:DWORD
	s_nop 1
	v_cndmask_b32_e64 v12, v13, v12, s[0:1]
	v_accvgpr_write_b32 a25, v12
; %bb.905:                              ;   in Loop: Header=BB363_434 Depth=1
	s_or_b64 exec, exec, s[12:13]
	v_lshlrev_b32_e32 v8, 16, v8
	v_mul_f32_e32 v8, v30, v8
	v_and_b32_e32 v12, 0x7f800000, v8
	v_cmp_ne_u32_e64 s[0:1], s15, v12
                                        ; implicit-def: $agpr26
	s_and_saveexec_b64 s[12:13], s[0:1]
	s_xor_b64 s[0:1], exec, s[12:13]
; %bb.906:                              ;   in Loop: Header=BB363_434 Depth=1
	v_bfe_u32 v12, v8, 16, 1
	v_add3_u32 v8, v8, v12, s20
	v_accvgpr_write_b32 a26, v8
                                        ; implicit-def: $vgpr8
; %bb.907:                              ;   in Loop: Header=BB363_434 Depth=1
	s_andn2_saveexec_b64 s[12:13], s[0:1]
; %bb.908:                              ;   in Loop: Header=BB363_434 Depth=1
	v_or_b32_e32 v12, 0x10000, v8
	v_cmp_eq_u32_sdwa s[0:1], v8, v37 src0_sel:WORD_0 src1_sel:DWORD
	s_nop 1
	v_cndmask_b32_e64 v8, v12, v8, s[0:1]
	v_accvgpr_write_b32 a26, v8
; %bb.909:                              ;   in Loop: Header=BB363_434 Depth=1
	s_or_b64 exec, exec, s[12:13]
	v_lshlrev_b32_e32 v8, 16, v9
	v_mul_f32_e32 v8, v31, v8
	v_and_b32_e32 v9, 0x7f800000, v8
	v_cmp_ne_u32_e64 s[0:1], s15, v9
                                        ; implicit-def: $agpr27
	s_and_saveexec_b64 s[12:13], s[0:1]
	s_xor_b64 s[0:1], exec, s[12:13]
; %bb.910:                              ;   in Loop: Header=BB363_434 Depth=1
	v_bfe_u32 v9, v8, 16, 1
	v_add3_u32 v8, v8, v9, s20
	v_accvgpr_write_b32 a27, v8
                                        ; implicit-def: $vgpr8
; %bb.911:                              ;   in Loop: Header=BB363_434 Depth=1
	s_andn2_saveexec_b64 s[12:13], s[0:1]
; %bb.912:                              ;   in Loop: Header=BB363_434 Depth=1
	v_or_b32_e32 v9, 0x10000, v8
	v_cmp_eq_u32_sdwa s[0:1], v8, v37 src0_sel:WORD_0 src1_sel:DWORD
	s_nop 1
	v_cndmask_b32_e64 v8, v9, v8, s[0:1]
	v_accvgpr_write_b32 a27, v8
; %bb.913:                              ;   in Loop: Header=BB363_434 Depth=1
	s_or_b64 exec, exec, s[12:13]
	v_lshlrev_b32_e32 v7, 16, v7
	v_mul_f32_e32 v7, v26, v7
	v_and_b32_e32 v8, 0x7f800000, v7
	v_cmp_ne_u32_e64 s[0:1], s15, v8
                                        ; implicit-def: $agpr20
	s_and_saveexec_b64 s[12:13], s[0:1]
	s_xor_b64 s[0:1], exec, s[12:13]
; %bb.914:                              ;   in Loop: Header=BB363_434 Depth=1
	v_bfe_u32 v8, v7, 16, 1
	v_add3_u32 v7, v7, v8, s20
	v_accvgpr_write_b32 a20, v7
                                        ; implicit-def: $vgpr7
; %bb.915:                              ;   in Loop: Header=BB363_434 Depth=1
	s_andn2_saveexec_b64 s[12:13], s[0:1]
; %bb.916:                              ;   in Loop: Header=BB363_434 Depth=1
	v_or_b32_e32 v8, 0x10000, v7
	v_cmp_eq_u32_sdwa s[0:1], v7, v37 src0_sel:WORD_0 src1_sel:DWORD
	s_nop 1
	v_cndmask_b32_e64 v7, v8, v7, s[0:1]
	v_accvgpr_write_b32 a20, v7
; %bb.917:                              ;   in Loop: Header=BB363_434 Depth=1
	s_or_b64 exec, exec, s[12:13]
	v_lshlrev_b32_e32 v6, 16, v6
	v_mul_f32_e32 v6, v27, v6
	v_and_b32_e32 v7, 0x7f800000, v6
	v_cmp_ne_u32_e64 s[0:1], s15, v7
                                        ; implicit-def: $agpr21
	s_and_saveexec_b64 s[12:13], s[0:1]
	s_xor_b64 s[0:1], exec, s[12:13]
; %bb.918:                              ;   in Loop: Header=BB363_434 Depth=1
	v_bfe_u32 v7, v6, 16, 1
	v_add3_u32 v6, v6, v7, s20
	v_accvgpr_write_b32 a21, v6
                                        ; implicit-def: $vgpr6
; %bb.919:                              ;   in Loop: Header=BB363_434 Depth=1
	s_andn2_saveexec_b64 s[12:13], s[0:1]
; %bb.920:                              ;   in Loop: Header=BB363_434 Depth=1
	v_or_b32_e32 v7, 0x10000, v6
	v_cmp_eq_u32_sdwa s[0:1], v6, v37 src0_sel:WORD_0 src1_sel:DWORD
	s_nop 1
	v_cndmask_b32_e64 v6, v7, v6, s[0:1]
	v_accvgpr_write_b32 a21, v6
; %bb.921:                              ;   in Loop: Header=BB363_434 Depth=1
	s_or_b64 exec, exec, s[12:13]
	v_lshlrev_b32_e32 v5, 16, v5
	v_mul_f32_e32 v5, v38, v5
	v_and_b32_e32 v6, 0x7f800000, v5
	v_cmp_ne_u32_e64 s[0:1], s15, v6
                                        ; implicit-def: $agpr14
	s_and_saveexec_b64 s[12:13], s[0:1]
	s_xor_b64 s[0:1], exec, s[12:13]
; %bb.922:                              ;   in Loop: Header=BB363_434 Depth=1
	v_bfe_u32 v6, v5, 16, 1
	v_add3_u32 v5, v5, v6, s20
	v_accvgpr_write_b32 a14, v5
                                        ; implicit-def: $vgpr5
; %bb.923:                              ;   in Loop: Header=BB363_434 Depth=1
	s_andn2_saveexec_b64 s[12:13], s[0:1]
; %bb.924:                              ;   in Loop: Header=BB363_434 Depth=1
	v_or_b32_e32 v6, 0x10000, v5
	v_cmp_eq_u32_sdwa s[0:1], v5, v37 src0_sel:WORD_0 src1_sel:DWORD
	s_nop 1
	v_cndmask_b32_e64 v5, v6, v5, s[0:1]
	v_accvgpr_write_b32 a14, v5
; %bb.925:                              ;   in Loop: Header=BB363_434 Depth=1
	s_or_b64 exec, exec, s[12:13]
	v_lshlrev_b32_e32 v4, 16, v4
	v_mul_f32_e32 v4, v39, v4
	v_and_b32_e32 v5, 0x7f800000, v4
	v_cmp_ne_u32_e64 s[0:1], s15, v5
                                        ; implicit-def: $vgpr22
	s_and_saveexec_b64 s[12:13], s[0:1]
	s_xor_b64 s[0:1], exec, s[12:13]
; %bb.926:                              ;   in Loop: Header=BB363_434 Depth=1
	v_bfe_u32 v5, v4, 16, 1
	v_add3_u32 v22, v4, v5, s20
                                        ; implicit-def: $vgpr4
; %bb.927:                              ;   in Loop: Header=BB363_434 Depth=1
	s_andn2_saveexec_b64 s[12:13], s[0:1]
; %bb.928:                              ;   in Loop: Header=BB363_434 Depth=1
	v_or_b32_e32 v5, 0x10000, v4
	v_cmp_eq_u32_sdwa s[0:1], v4, v37 src0_sel:WORD_0 src1_sel:DWORD
	s_nop 1
	v_cndmask_b32_e64 v22, v5, v4, s[0:1]
; %bb.929:                              ;   in Loop: Header=BB363_434 Depth=1
	s_or_b64 exec, exec, s[12:13]
	flat_load_dwordx2 v[2:3], v[2:3] offset:3584
	s_waitcnt vmcnt(0) lgkmcnt(0)
	v_and_b32_e32 v4, 0xff, v2
	v_cvt_f32_fp8_sdwa v4, v4 src0_sel:BYTE_0
	s_nop 0
	v_mul_f32_e32 v5, v60, v4
	v_and_b32_e32 v4, 0x7f800000, v5
	v_cmp_ne_u32_e64 s[0:1], s15, v4
                                        ; implicit-def: $vgpr4
	s_and_saveexec_b64 s[12:13], s[0:1]
	s_xor_b64 s[0:1], exec, s[12:13]
; %bb.930:                              ;   in Loop: Header=BB363_434 Depth=1
	v_bfe_u32 v4, v5, 16, 1
	v_add3_u32 v4, v5, v4, s20
                                        ; implicit-def: $vgpr5
; %bb.931:                              ;   in Loop: Header=BB363_434 Depth=1
	s_andn2_saveexec_b64 s[12:13], s[0:1]
; %bb.932:                              ;   in Loop: Header=BB363_434 Depth=1
	v_or_b32_e32 v4, 0x10000, v5
	v_cmp_eq_u32_sdwa s[0:1], v5, v37 src0_sel:WORD_0 src1_sel:DWORD
	s_nop 1
	v_cndmask_b32_e64 v4, v4, v5, s[0:1]
; %bb.933:                              ;   in Loop: Header=BB363_434 Depth=1
	s_or_b64 exec, exec, s[12:13]
	v_bfe_u32 v5, v2, 8, 8
	v_cvt_f32_fp8_sdwa v5, v5 src0_sel:BYTE_0
	s_nop 0
	v_mul_f32_e32 v6, v60, v5
	v_and_b32_e32 v5, 0x7f800000, v6
	v_cmp_ne_u32_e64 s[0:1], s15, v5
                                        ; implicit-def: $vgpr5
	s_and_saveexec_b64 s[12:13], s[0:1]
	s_xor_b64 s[0:1], exec, s[12:13]
; %bb.934:                              ;   in Loop: Header=BB363_434 Depth=1
	v_bfe_u32 v5, v6, 16, 1
	v_add3_u32 v5, v6, v5, s20
                                        ; implicit-def: $vgpr6
; %bb.935:                              ;   in Loop: Header=BB363_434 Depth=1
	s_andn2_saveexec_b64 s[12:13], s[0:1]
; %bb.936:                              ;   in Loop: Header=BB363_434 Depth=1
	v_or_b32_e32 v5, 0x10000, v6
	v_cmp_eq_u32_sdwa s[0:1], v6, v37 src0_sel:WORD_0 src1_sel:DWORD
	s_nop 1
	v_cndmask_b32_e64 v5, v5, v6, s[0:1]
; %bb.937:                              ;   in Loop: Header=BB363_434 Depth=1
	s_or_b64 exec, exec, s[12:13]
	v_bfe_u32 v6, v2, 16, 8
	v_cvt_f32_fp8_sdwa v6, v6 src0_sel:BYTE_0
	s_nop 0
	v_mul_f32_e32 v6, v60, v6
	v_and_b32_e32 v7, 0x7f800000, v6
	v_cmp_ne_u32_e64 s[0:1], s15, v7
                                        ; implicit-def: $vgpr7
	s_and_saveexec_b64 s[12:13], s[0:1]
	s_xor_b64 s[0:1], exec, s[12:13]
; %bb.938:                              ;   in Loop: Header=BB363_434 Depth=1
	v_bfe_u32 v7, v6, 16, 1
	v_add3_u32 v7, v6, v7, s20
                                        ; implicit-def: $vgpr6
; %bb.939:                              ;   in Loop: Header=BB363_434 Depth=1
	s_andn2_saveexec_b64 s[12:13], s[0:1]
; %bb.940:                              ;   in Loop: Header=BB363_434 Depth=1
	v_or_b32_e32 v7, 0x10000, v6
	v_cmp_eq_u32_sdwa s[0:1], v6, v37 src0_sel:WORD_0 src1_sel:DWORD
	s_nop 1
	v_cndmask_b32_e64 v7, v7, v6, s[0:1]
; %bb.941:                              ;   in Loop: Header=BB363_434 Depth=1
	s_or_b64 exec, exec, s[12:13]
	v_lshrrev_b32_e32 v2, 24, v2
	v_cvt_f32_fp8_sdwa v2, v2 src0_sel:BYTE_0
	s_nop 0
	v_mul_f32_e32 v6, v60, v2
	v_and_b32_e32 v2, 0x7f800000, v6
	v_cmp_ne_u32_e64 s[0:1], s15, v2
                                        ; implicit-def: $vgpr2
	s_and_saveexec_b64 s[12:13], s[0:1]
	s_xor_b64 s[0:1], exec, s[12:13]
; %bb.942:                              ;   in Loop: Header=BB363_434 Depth=1
	v_bfe_u32 v2, v6, 16, 1
	v_add3_u32 v2, v6, v2, s20
                                        ; implicit-def: $vgpr6
; %bb.943:                              ;   in Loop: Header=BB363_434 Depth=1
	s_andn2_saveexec_b64 s[12:13], s[0:1]
; %bb.944:                              ;   in Loop: Header=BB363_434 Depth=1
	v_or_b32_e32 v2, 0x10000, v6
	v_cmp_eq_u32_sdwa s[0:1], v6, v37 src0_sel:WORD_0 src1_sel:DWORD
	s_nop 1
	v_cndmask_b32_e64 v2, v2, v6, s[0:1]
; %bb.945:                              ;   in Loop: Header=BB363_434 Depth=1
	s_or_b64 exec, exec, s[12:13]
	v_and_b32_e32 v6, 0xff, v3
	v_cvt_f32_fp8_sdwa v6, v6 src0_sel:BYTE_0
	s_nop 0
	v_mul_f32_e32 v6, v60, v6
	v_and_b32_e32 v8, 0x7f800000, v6
	v_cmp_ne_u32_e64 s[0:1], s15, v8
                                        ; implicit-def: $vgpr8
	s_and_saveexec_b64 s[12:13], s[0:1]
	s_xor_b64 s[0:1], exec, s[12:13]
; %bb.946:                              ;   in Loop: Header=BB363_434 Depth=1
	v_bfe_u32 v8, v6, 16, 1
	v_add3_u32 v8, v6, v8, s20
                                        ; implicit-def: $vgpr6
; %bb.947:                              ;   in Loop: Header=BB363_434 Depth=1
	s_andn2_saveexec_b64 s[12:13], s[0:1]
; %bb.948:                              ;   in Loop: Header=BB363_434 Depth=1
	v_or_b32_e32 v8, 0x10000, v6
	v_cmp_eq_u32_sdwa s[0:1], v6, v37 src0_sel:WORD_0 src1_sel:DWORD
	s_nop 1
	v_cndmask_b32_e64 v8, v8, v6, s[0:1]
; %bb.949:                              ;   in Loop: Header=BB363_434 Depth=1
	s_or_b64 exec, exec, s[12:13]
	v_bfe_u32 v6, v3, 8, 8
	v_cvt_f32_fp8_sdwa v6, v6 src0_sel:BYTE_0
	s_nop 0
	v_mul_f32_e32 v9, v60, v6
	v_and_b32_e32 v6, 0x7f800000, v9
	v_cmp_ne_u32_e64 s[0:1], s15, v6
                                        ; implicit-def: $vgpr6
	s_and_saveexec_b64 s[12:13], s[0:1]
	s_xor_b64 s[0:1], exec, s[12:13]
; %bb.950:                              ;   in Loop: Header=BB363_434 Depth=1
	v_bfe_u32 v6, v9, 16, 1
	v_add3_u32 v6, v9, v6, s20
                                        ; implicit-def: $vgpr9
; %bb.951:                              ;   in Loop: Header=BB363_434 Depth=1
	s_andn2_saveexec_b64 s[12:13], s[0:1]
; %bb.952:                              ;   in Loop: Header=BB363_434 Depth=1
	v_or_b32_e32 v6, 0x10000, v9
	v_cmp_eq_u32_sdwa s[0:1], v9, v37 src0_sel:WORD_0 src1_sel:DWORD
	s_nop 1
	v_cndmask_b32_e64 v6, v6, v9, s[0:1]
; %bb.953:                              ;   in Loop: Header=BB363_434 Depth=1
	s_or_b64 exec, exec, s[12:13]
	v_bfe_u32 v9, v3, 16, 8
	v_cvt_f32_fp8_sdwa v9, v9 src0_sel:BYTE_0
	s_nop 0
	v_mul_f32_e32 v12, v60, v9
	v_and_b32_e32 v9, 0x7f800000, v12
	v_cmp_ne_u32_e64 s[0:1], s15, v9
                                        ; implicit-def: $vgpr9
	s_and_saveexec_b64 s[12:13], s[0:1]
	s_xor_b64 s[0:1], exec, s[12:13]
; %bb.954:                              ;   in Loop: Header=BB363_434 Depth=1
	v_bfe_u32 v9, v12, 16, 1
	v_add3_u32 v9, v12, v9, s20
                                        ; implicit-def: $vgpr12
; %bb.955:                              ;   in Loop: Header=BB363_434 Depth=1
	s_andn2_saveexec_b64 s[12:13], s[0:1]
; %bb.956:                              ;   in Loop: Header=BB363_434 Depth=1
	v_or_b32_e32 v9, 0x10000, v12
	v_cmp_eq_u32_sdwa s[0:1], v12, v37 src0_sel:WORD_0 src1_sel:DWORD
	s_nop 1
	v_cndmask_b32_e64 v9, v9, v12, s[0:1]
; %bb.957:                              ;   in Loop: Header=BB363_434 Depth=1
	s_or_b64 exec, exec, s[12:13]
	v_lshrrev_b32_e32 v3, 24, v3
	v_cvt_f32_fp8_sdwa v3, v3 src0_sel:BYTE_0
                                        ; implicit-def: $vgpr13
	s_nop 0
	v_mul_f32_e32 v3, v60, v3
	v_and_b32_e32 v12, 0x7f800000, v3
	v_cmp_ne_u32_e64 s[0:1], s15, v12
	s_and_saveexec_b64 s[12:13], s[0:1]
	s_xor_b64 s[0:1], exec, s[12:13]
; %bb.958:                              ;   in Loop: Header=BB363_434 Depth=1
	v_bfe_u32 v12, v3, 16, 1
	v_add3_u32 v13, v3, v12, s20
                                        ; implicit-def: $vgpr3
; %bb.959:                              ;   in Loop: Header=BB363_434 Depth=1
	s_andn2_saveexec_b64 s[12:13], s[0:1]
; %bb.960:                              ;   in Loop: Header=BB363_434 Depth=1
	v_or_b32_e32 v12, 0x10000, v3
	v_cmp_eq_u32_sdwa s[0:1], v3, v37 src0_sel:WORD_0 src1_sel:DWORD
	s_nop 1
	v_cndmask_b32_e64 v13, v12, v3, s[0:1]
; %bb.961:                              ;   in Loop: Header=BB363_434 Depth=1
	s_or_b64 exec, exec, s[12:13]
	v_lshrrev_b32_e32 v6, 16, v6
	v_lshrrev_b32_e32 v8, 16, v8
	;; [unrolled: 1-line block ×8, first 2 shown]
	s_and_saveexec_b64 s[12:13], vcc
	s_cbranch_execz .LBB363_963
; %bb.962:                              ;   in Loop: Header=BB363_434 Depth=1
	scratch_load_dword v13, off, s32 offset:196 ; 4-byte Folded Reload
	v_accvgpr_read_b32 v9, a53
	s_waitcnt vmcnt(0)
	v_cmp_lt_i32_e64 s[0:1], v55, v13
	s_nop 1
	v_cndmask_b32_e64 v4, 0, v4, s[0:1]
	v_cmp_lt_i32_e64 s[0:1], v9, v13
	v_accvgpr_read_b32 v9, a52
	s_nop 0
	v_cndmask_b32_e64 v5, 0, v5, s[0:1]
	v_cmp_lt_i32_e64 s[0:1], v9, v13
	v_accvgpr_read_b32 v9, a51
	;; [unrolled: 4-line block ×6, first 2 shown]
	s_nop 0
	v_cndmask_b32_e64 v3, 0, v3, s[0:1]
	v_cmp_lt_i32_e64 s[0:1], v9, v13
	s_nop 1
	v_cndmask_b32_e64 v2, 0, v2, s[0:1]
.LBB363_963:                            ;   in Loop: Header=BB363_434 Depth=1
	s_or_b64 exec, exec, s[12:13]
	v_lshlrev_b32_e32 v4, 16, v4
	v_mul_f32_e32 v4, v10, v4
	v_and_b32_e32 v9, 0x7f800000, v4
	v_cmp_ne_u32_e64 s[0:1], s15, v9
                                        ; implicit-def: $vgpr9
	s_and_saveexec_b64 s[12:13], s[0:1]
	s_xor_b64 s[0:1], exec, s[12:13]
; %bb.964:                              ;   in Loop: Header=BB363_434 Depth=1
	v_bfe_u32 v9, v4, 16, 1
	v_add3_u32 v9, v4, v9, s20
                                        ; implicit-def: $vgpr4
; %bb.965:                              ;   in Loop: Header=BB363_434 Depth=1
	s_andn2_saveexec_b64 s[12:13], s[0:1]
; %bb.966:                              ;   in Loop: Header=BB363_434 Depth=1
	v_or_b32_e32 v9, 0x10000, v4
	v_cmp_eq_u32_sdwa s[0:1], v4, v37 src0_sel:WORD_0 src1_sel:DWORD
	s_nop 1
	v_cndmask_b32_e64 v9, v9, v4, s[0:1]
; %bb.967:                              ;   in Loop: Header=BB363_434 Depth=1
	s_or_b64 exec, exec, s[12:13]
	v_lshlrev_b32_e32 v4, 16, v5
	v_mul_f32_e32 v4, v11, v4
	v_and_b32_e32 v5, 0x7f800000, v4
	v_cmp_ne_u32_e64 s[0:1], s15, v5
                                        ; implicit-def: $vgpr45
	s_and_saveexec_b64 s[12:13], s[0:1]
	s_xor_b64 s[0:1], exec, s[12:13]
; %bb.968:                              ;   in Loop: Header=BB363_434 Depth=1
	v_bfe_u32 v5, v4, 16, 1
	v_add3_u32 v45, v4, v5, s20
                                        ; implicit-def: $vgpr4
; %bb.969:                              ;   in Loop: Header=BB363_434 Depth=1
	s_andn2_saveexec_b64 s[12:13], s[0:1]
; %bb.970:                              ;   in Loop: Header=BB363_434 Depth=1
	v_or_b32_e32 v5, 0x10000, v4
	v_cmp_eq_u32_sdwa s[0:1], v4, v37 src0_sel:WORD_0 src1_sel:DWORD
	s_nop 1
	v_cndmask_b32_e64 v45, v5, v4, s[0:1]
; %bb.971:                              ;   in Loop: Header=BB363_434 Depth=1
	s_or_b64 exec, exec, s[12:13]
	v_lshlrev_b32_e32 v4, 16, v7
	v_mul_f32_e32 v4, v30, v4
	v_and_b32_e32 v5, 0x7f800000, v4
	v_cmp_ne_u32_e64 s[0:1], s15, v5
                                        ; implicit-def: $vgpr56
	s_and_saveexec_b64 s[12:13], s[0:1]
	s_xor_b64 s[0:1], exec, s[12:13]
; %bb.972:                              ;   in Loop: Header=BB363_434 Depth=1
	v_bfe_u32 v5, v4, 16, 1
	v_add3_u32 v56, v4, v5, s20
                                        ; implicit-def: $vgpr4
; %bb.973:                              ;   in Loop: Header=BB363_434 Depth=1
	s_andn2_saveexec_b64 s[12:13], s[0:1]
; %bb.974:                              ;   in Loop: Header=BB363_434 Depth=1
	v_or_b32_e32 v5, 0x10000, v4
	v_cmp_eq_u32_sdwa s[0:1], v4, v37 src0_sel:WORD_0 src1_sel:DWORD
	s_nop 1
	v_cndmask_b32_e64 v56, v5, v4, s[0:1]
; %bb.975:                              ;   in Loop: Header=BB363_434 Depth=1
	s_or_b64 exec, exec, s[12:13]
	v_lshlrev_b32_e32 v4, 16, v12
	v_mul_f32_e32 v4, v31, v4
	v_and_b32_e32 v5, 0x7f800000, v4
	v_cmp_ne_u32_e64 s[0:1], s15, v5
                                        ; implicit-def: $vgpr57
	s_and_saveexec_b64 s[12:13], s[0:1]
	s_xor_b64 s[0:1], exec, s[12:13]
; %bb.976:                              ;   in Loop: Header=BB363_434 Depth=1
	v_bfe_u32 v5, v4, 16, 1
	v_add3_u32 v57, v4, v5, s20
                                        ; implicit-def: $vgpr4
; %bb.977:                              ;   in Loop: Header=BB363_434 Depth=1
	s_andn2_saveexec_b64 s[12:13], s[0:1]
; %bb.978:                              ;   in Loop: Header=BB363_434 Depth=1
	v_or_b32_e32 v5, 0x10000, v4
	v_cmp_eq_u32_sdwa s[0:1], v4, v37 src0_sel:WORD_0 src1_sel:DWORD
	s_nop 1
	v_cndmask_b32_e64 v57, v5, v4, s[0:1]
; %bb.979:                              ;   in Loop: Header=BB363_434 Depth=1
	s_or_b64 exec, exec, s[12:13]
	v_lshlrev_b32_e32 v4, 16, v8
	v_mul_f32_e32 v4, v26, v4
	v_and_b32_e32 v5, 0x7f800000, v4
	v_cmp_ne_u32_e64 s[0:1], s15, v5
                                        ; implicit-def: $vgpr58
	s_and_saveexec_b64 s[12:13], s[0:1]
	s_xor_b64 s[0:1], exec, s[12:13]
; %bb.980:                              ;   in Loop: Header=BB363_434 Depth=1
	v_bfe_u32 v5, v4, 16, 1
	v_add3_u32 v58, v4, v5, s20
                                        ; implicit-def: $vgpr4
; %bb.981:                              ;   in Loop: Header=BB363_434 Depth=1
	s_andn2_saveexec_b64 s[12:13], s[0:1]
; %bb.982:                              ;   in Loop: Header=BB363_434 Depth=1
	v_or_b32_e32 v5, 0x10000, v4
	v_cmp_eq_u32_sdwa s[0:1], v4, v37 src0_sel:WORD_0 src1_sel:DWORD
	s_nop 1
	v_cndmask_b32_e64 v58, v5, v4, s[0:1]
; %bb.983:                              ;   in Loop: Header=BB363_434 Depth=1
	s_or_b64 exec, exec, s[12:13]
	v_lshlrev_b32_e32 v4, 16, v6
	v_mul_f32_e32 v4, v27, v4
	v_and_b32_e32 v5, 0x7f800000, v4
	v_cmp_ne_u32_e64 s[0:1], s15, v5
                                        ; implicit-def: $vgpr59
	s_and_saveexec_b64 s[12:13], s[0:1]
	s_xor_b64 s[0:1], exec, s[12:13]
; %bb.984:                              ;   in Loop: Header=BB363_434 Depth=1
	v_bfe_u32 v5, v4, 16, 1
	v_add3_u32 v59, v4, v5, s20
                                        ; implicit-def: $vgpr4
; %bb.985:                              ;   in Loop: Header=BB363_434 Depth=1
	s_andn2_saveexec_b64 s[12:13], s[0:1]
; %bb.986:                              ;   in Loop: Header=BB363_434 Depth=1
	v_or_b32_e32 v5, 0x10000, v4
	v_cmp_eq_u32_sdwa s[0:1], v4, v37 src0_sel:WORD_0 src1_sel:DWORD
	s_nop 1
	v_cndmask_b32_e64 v59, v5, v4, s[0:1]
; %bb.987:                              ;   in Loop: Header=BB363_434 Depth=1
	s_or_b64 exec, exec, s[12:13]
	v_lshlrev_b32_e32 v3, 16, v3
	v_mul_f32_e32 v3, v38, v3
	v_and_b32_e32 v4, 0x7f800000, v3
	v_cmp_ne_u32_e64 s[0:1], s15, v4
                                        ; implicit-def: $vgpr61
	s_and_saveexec_b64 s[12:13], s[0:1]
	s_xor_b64 s[0:1], exec, s[12:13]
; %bb.988:                              ;   in Loop: Header=BB363_434 Depth=1
	v_bfe_u32 v4, v3, 16, 1
	v_add3_u32 v61, v3, v4, s20
                                        ; implicit-def: $vgpr3
; %bb.989:                              ;   in Loop: Header=BB363_434 Depth=1
	s_andn2_saveexec_b64 s[12:13], s[0:1]
; %bb.990:                              ;   in Loop: Header=BB363_434 Depth=1
	v_or_b32_e32 v4, 0x10000, v3
	v_cmp_eq_u32_sdwa s[0:1], v3, v37 src0_sel:WORD_0 src1_sel:DWORD
	s_nop 1
	v_cndmask_b32_e64 v61, v4, v3, s[0:1]
; %bb.991:                              ;   in Loop: Header=BB363_434 Depth=1
	s_or_b64 exec, exec, s[12:13]
	v_lshlrev_b32_e32 v2, 16, v2
	v_mul_f32_e32 v2, v39, v2
	v_and_b32_e32 v3, 0x7f800000, v2
	v_cmp_ne_u32_e64 s[0:1], s15, v3
                                        ; implicit-def: $vgpr48
	s_and_saveexec_b64 s[12:13], s[0:1]
	s_xor_b64 s[0:1], exec, s[12:13]
; %bb.992:                              ;   in Loop: Header=BB363_434 Depth=1
	v_bfe_u32 v3, v2, 16, 1
	v_add3_u32 v48, v2, v3, s20
                                        ; implicit-def: $vgpr2
; %bb.993:                              ;   in Loop: Header=BB363_434 Depth=1
	s_andn2_saveexec_b64 s[12:13], s[0:1]
; %bb.994:                              ;   in Loop: Header=BB363_434 Depth=1
	v_or_b32_e32 v3, 0x10000, v2
	v_cmp_eq_u32_sdwa s[0:1], v2, v37 src0_sel:WORD_0 src1_sel:DWORD
	s_nop 1
	v_cndmask_b32_e64 v48, v3, v2, s[0:1]
; %bb.995:                              ;   in Loop: Header=BB363_434 Depth=1
	s_or_b64 exec, exec, s[12:13]
	scratch_load_dwordx2 v[2:3], off, s32 offset:328 ; 8-byte Folded Reload
	s_waitcnt vmcnt(0)
	v_lshl_add_u64 v[2:3], v[0:1], 0, v[2:3]
	flat_load_dwordx2 v[2:3], v[2:3]
	s_waitcnt vmcnt(0) lgkmcnt(0)
	v_and_b32_e32 v4, 0xff, v2
	v_cvt_f32_fp8_sdwa v4, v4 src0_sel:BYTE_0
	s_nop 0
	v_mul_f32_e32 v5, v60, v4
	v_and_b32_e32 v4, 0x7f800000, v5
	v_cmp_ne_u32_e64 s[0:1], s15, v4
                                        ; implicit-def: $vgpr4
	s_and_saveexec_b64 s[12:13], s[0:1]
	s_xor_b64 s[0:1], exec, s[12:13]
; %bb.996:                              ;   in Loop: Header=BB363_434 Depth=1
	v_bfe_u32 v4, v5, 16, 1
	v_add3_u32 v4, v5, v4, s20
                                        ; implicit-def: $vgpr5
; %bb.997:                              ;   in Loop: Header=BB363_434 Depth=1
	s_andn2_saveexec_b64 s[12:13], s[0:1]
; %bb.998:                              ;   in Loop: Header=BB363_434 Depth=1
	v_or_b32_e32 v4, 0x10000, v5
	v_cmp_eq_u32_sdwa s[0:1], v5, v37 src0_sel:WORD_0 src1_sel:DWORD
	s_nop 1
	v_cndmask_b32_e64 v4, v4, v5, s[0:1]
; %bb.999:                              ;   in Loop: Header=BB363_434 Depth=1
	s_or_b64 exec, exec, s[12:13]
	v_bfe_u32 v5, v2, 8, 8
	v_cvt_f32_fp8_sdwa v5, v5 src0_sel:BYTE_0
	s_nop 0
	v_mul_f32_e32 v6, v60, v5
	v_and_b32_e32 v5, 0x7f800000, v6
	v_cmp_ne_u32_e64 s[0:1], s15, v5
                                        ; implicit-def: $vgpr5
	s_and_saveexec_b64 s[12:13], s[0:1]
	s_xor_b64 s[0:1], exec, s[12:13]
; %bb.1000:                             ;   in Loop: Header=BB363_434 Depth=1
	v_bfe_u32 v5, v6, 16, 1
	v_add3_u32 v5, v6, v5, s20
                                        ; implicit-def: $vgpr6
; %bb.1001:                             ;   in Loop: Header=BB363_434 Depth=1
	s_andn2_saveexec_b64 s[12:13], s[0:1]
; %bb.1002:                             ;   in Loop: Header=BB363_434 Depth=1
	v_or_b32_e32 v5, 0x10000, v6
	v_cmp_eq_u32_sdwa s[0:1], v6, v37 src0_sel:WORD_0 src1_sel:DWORD
	s_nop 1
	v_cndmask_b32_e64 v5, v5, v6, s[0:1]
; %bb.1003:                             ;   in Loop: Header=BB363_434 Depth=1
	s_or_b64 exec, exec, s[12:13]
	v_bfe_u32 v6, v2, 16, 8
	v_cvt_f32_fp8_sdwa v6, v6 src0_sel:BYTE_0
	s_nop 0
	v_mul_f32_e32 v6, v60, v6
	v_and_b32_e32 v7, 0x7f800000, v6
	v_cmp_ne_u32_e64 s[0:1], s15, v7
                                        ; implicit-def: $vgpr7
	s_and_saveexec_b64 s[12:13], s[0:1]
	s_xor_b64 s[0:1], exec, s[12:13]
; %bb.1004:                             ;   in Loop: Header=BB363_434 Depth=1
	v_bfe_u32 v7, v6, 16, 1
	v_add3_u32 v7, v6, v7, s20
                                        ; implicit-def: $vgpr6
; %bb.1005:                             ;   in Loop: Header=BB363_434 Depth=1
	s_andn2_saveexec_b64 s[12:13], s[0:1]
; %bb.1006:                             ;   in Loop: Header=BB363_434 Depth=1
	v_or_b32_e32 v7, 0x10000, v6
	v_cmp_eq_u32_sdwa s[0:1], v6, v37 src0_sel:WORD_0 src1_sel:DWORD
	s_nop 1
	v_cndmask_b32_e64 v7, v7, v6, s[0:1]
; %bb.1007:                             ;   in Loop: Header=BB363_434 Depth=1
	s_or_b64 exec, exec, s[12:13]
	v_lshrrev_b32_e32 v2, 24, v2
	v_cvt_f32_fp8_sdwa v2, v2 src0_sel:BYTE_0
	s_nop 0
	v_mul_f32_e32 v6, v60, v2
	v_and_b32_e32 v2, 0x7f800000, v6
	v_cmp_ne_u32_e64 s[0:1], s15, v2
                                        ; implicit-def: $vgpr2
	s_and_saveexec_b64 s[12:13], s[0:1]
	s_xor_b64 s[0:1], exec, s[12:13]
; %bb.1008:                             ;   in Loop: Header=BB363_434 Depth=1
	v_bfe_u32 v2, v6, 16, 1
	v_add3_u32 v2, v6, v2, s20
                                        ; implicit-def: $vgpr6
; %bb.1009:                             ;   in Loop: Header=BB363_434 Depth=1
	s_andn2_saveexec_b64 s[12:13], s[0:1]
; %bb.1010:                             ;   in Loop: Header=BB363_434 Depth=1
	v_or_b32_e32 v2, 0x10000, v6
	v_cmp_eq_u32_sdwa s[0:1], v6, v37 src0_sel:WORD_0 src1_sel:DWORD
	s_nop 1
	v_cndmask_b32_e64 v2, v2, v6, s[0:1]
; %bb.1011:                             ;   in Loop: Header=BB363_434 Depth=1
	s_or_b64 exec, exec, s[12:13]
	v_and_b32_e32 v6, 0xff, v3
	v_cvt_f32_fp8_sdwa v6, v6 src0_sel:BYTE_0
	s_nop 0
	v_mul_f32_e32 v6, v60, v6
	v_and_b32_e32 v8, 0x7f800000, v6
	v_cmp_ne_u32_e64 s[0:1], s15, v8
                                        ; implicit-def: $vgpr8
	s_and_saveexec_b64 s[12:13], s[0:1]
	s_xor_b64 s[0:1], exec, s[12:13]
; %bb.1012:                             ;   in Loop: Header=BB363_434 Depth=1
	v_bfe_u32 v8, v6, 16, 1
	v_add3_u32 v8, v6, v8, s20
                                        ; implicit-def: $vgpr6
; %bb.1013:                             ;   in Loop: Header=BB363_434 Depth=1
	s_andn2_saveexec_b64 s[12:13], s[0:1]
; %bb.1014:                             ;   in Loop: Header=BB363_434 Depth=1
	v_or_b32_e32 v8, 0x10000, v6
	v_cmp_eq_u32_sdwa s[0:1], v6, v37 src0_sel:WORD_0 src1_sel:DWORD
	s_nop 1
	v_cndmask_b32_e64 v8, v8, v6, s[0:1]
; %bb.1015:                             ;   in Loop: Header=BB363_434 Depth=1
	s_or_b64 exec, exec, s[12:13]
	v_bfe_u32 v6, v3, 8, 8
	v_cvt_f32_fp8_sdwa v6, v6 src0_sel:BYTE_0
	s_nop 0
	v_mul_f32_e32 v12, v60, v6
	v_and_b32_e32 v6, 0x7f800000, v12
	v_cmp_ne_u32_e64 s[0:1], s15, v6
                                        ; implicit-def: $vgpr6
	s_and_saveexec_b64 s[12:13], s[0:1]
	s_xor_b64 s[0:1], exec, s[12:13]
; %bb.1016:                             ;   in Loop: Header=BB363_434 Depth=1
	v_bfe_u32 v6, v12, 16, 1
	v_add3_u32 v6, v12, v6, s20
                                        ; implicit-def: $vgpr12
; %bb.1017:                             ;   in Loop: Header=BB363_434 Depth=1
	s_andn2_saveexec_b64 s[12:13], s[0:1]
; %bb.1018:                             ;   in Loop: Header=BB363_434 Depth=1
	v_or_b32_e32 v6, 0x10000, v12
	v_cmp_eq_u32_sdwa s[0:1], v12, v37 src0_sel:WORD_0 src1_sel:DWORD
	s_nop 1
	v_cndmask_b32_e64 v6, v6, v12, s[0:1]
; %bb.1019:                             ;   in Loop: Header=BB363_434 Depth=1
	s_or_b64 exec, exec, s[12:13]
	v_bfe_u32 v12, v3, 16, 8
	v_cvt_f32_fp8_sdwa v12, v12 src0_sel:BYTE_0
	s_nop 0
	v_mul_f32_e32 v12, v60, v12
	v_and_b32_e32 v13, 0x7f800000, v12
	v_cmp_ne_u32_e64 s[0:1], s15, v13
                                        ; implicit-def: $vgpr13
	s_and_saveexec_b64 s[12:13], s[0:1]
	s_xor_b64 s[0:1], exec, s[12:13]
; %bb.1020:                             ;   in Loop: Header=BB363_434 Depth=1
	v_bfe_u32 v13, v12, 16, 1
	v_add3_u32 v13, v12, v13, s20
                                        ; implicit-def: $vgpr12
; %bb.1021:                             ;   in Loop: Header=BB363_434 Depth=1
	s_andn2_saveexec_b64 s[12:13], s[0:1]
; %bb.1022:                             ;   in Loop: Header=BB363_434 Depth=1
	v_or_b32_e32 v13, 0x10000, v12
	v_cmp_eq_u32_sdwa s[0:1], v12, v37 src0_sel:WORD_0 src1_sel:DWORD
	s_nop 1
	v_cndmask_b32_e64 v13, v13, v12, s[0:1]
; %bb.1023:                             ;   in Loop: Header=BB363_434 Depth=1
	s_or_b64 exec, exec, s[12:13]
	v_lshrrev_b32_e32 v3, 24, v3
	v_cvt_f32_fp8_sdwa v3, v3 src0_sel:BYTE_0
                                        ; implicit-def: $vgpr16
	s_nop 0
	v_mul_f32_e32 v3, v60, v3
	v_and_b32_e32 v12, 0x7f800000, v3
	v_cmp_ne_u32_e64 s[0:1], s15, v12
	s_and_saveexec_b64 s[12:13], s[0:1]
	s_xor_b64 s[0:1], exec, s[12:13]
; %bb.1024:                             ;   in Loop: Header=BB363_434 Depth=1
	v_bfe_u32 v12, v3, 16, 1
	v_add3_u32 v16, v3, v12, s20
                                        ; implicit-def: $vgpr3
; %bb.1025:                             ;   in Loop: Header=BB363_434 Depth=1
	s_andn2_saveexec_b64 s[12:13], s[0:1]
; %bb.1026:                             ;   in Loop: Header=BB363_434 Depth=1
	v_or_b32_e32 v12, 0x10000, v3
	v_cmp_eq_u32_sdwa s[0:1], v3, v37 src0_sel:WORD_0 src1_sel:DWORD
	s_nop 1
	v_cndmask_b32_e64 v16, v12, v3, s[0:1]
; %bb.1027:                             ;   in Loop: Header=BB363_434 Depth=1
	s_or_b64 exec, exec, s[12:13]
	v_lshrrev_b32_e32 v6, 16, v6
	v_lshrrev_b32_e32 v8, 16, v8
	;; [unrolled: 1-line block ×8, first 2 shown]
	s_and_saveexec_b64 s[12:13], vcc
	s_cbranch_execz .LBB363_1029
; %bb.1028:                             ;   in Loop: Header=BB363_434 Depth=1
	scratch_load_dword v16, off, s32 offset:196 ; 4-byte Folded Reload
	v_accvgpr_read_b32 v13, a53
	s_waitcnt vmcnt(0)
	v_cmp_lt_i32_e64 s[0:1], v55, v16
	s_nop 1
	v_cndmask_b32_e64 v4, 0, v4, s[0:1]
	v_cmp_lt_i32_e64 s[0:1], v13, v16
	v_accvgpr_read_b32 v13, a52
	s_nop 0
	v_cndmask_b32_e64 v5, 0, v5, s[0:1]
	v_cmp_lt_i32_e64 s[0:1], v13, v16
	v_accvgpr_read_b32 v13, a51
	;; [unrolled: 4-line block ×6, first 2 shown]
	s_nop 0
	v_cndmask_b32_e64 v3, 0, v3, s[0:1]
	v_cmp_lt_i32_e64 s[0:1], v13, v16
	s_nop 1
	v_cndmask_b32_e64 v2, 0, v2, s[0:1]
.LBB363_1029:                           ;   in Loop: Header=BB363_434 Depth=1
	s_or_b64 exec, exec, s[12:13]
	v_lshlrev_b32_e32 v4, 16, v4
	v_mul_f32_e32 v4, v10, v4
	v_and_b32_e32 v13, 0x7f800000, v4
	v_cmp_ne_u32_e64 s[0:1], s15, v13
                                        ; implicit-def: $vgpr41
	s_and_saveexec_b64 s[12:13], s[0:1]
	s_xor_b64 s[0:1], exec, s[12:13]
; %bb.1030:                             ;   in Loop: Header=BB363_434 Depth=1
	v_bfe_u32 v13, v4, 16, 1
	v_add3_u32 v41, v4, v13, s20
                                        ; implicit-def: $vgpr4
; %bb.1031:                             ;   in Loop: Header=BB363_434 Depth=1
	s_andn2_saveexec_b64 s[12:13], s[0:1]
; %bb.1032:                             ;   in Loop: Header=BB363_434 Depth=1
	v_or_b32_e32 v13, 0x10000, v4
	v_cmp_eq_u32_sdwa s[0:1], v4, v37 src0_sel:WORD_0 src1_sel:DWORD
	s_nop 1
	v_cndmask_b32_e64 v41, v13, v4, s[0:1]
; %bb.1033:                             ;   in Loop: Header=BB363_434 Depth=1
	s_or_b64 exec, exec, s[12:13]
	v_lshlrev_b32_e32 v4, 16, v5
	v_mul_f32_e32 v4, v11, v4
	v_and_b32_e32 v5, 0x7f800000, v4
	v_cmp_ne_u32_e64 s[0:1], s15, v5
                                        ; implicit-def: $vgpr49
	s_and_saveexec_b64 s[12:13], s[0:1]
	s_xor_b64 s[0:1], exec, s[12:13]
; %bb.1034:                             ;   in Loop: Header=BB363_434 Depth=1
	v_bfe_u32 v5, v4, 16, 1
	v_add3_u32 v49, v4, v5, s20
                                        ; implicit-def: $vgpr4
; %bb.1035:                             ;   in Loop: Header=BB363_434 Depth=1
	s_andn2_saveexec_b64 s[12:13], s[0:1]
; %bb.1036:                             ;   in Loop: Header=BB363_434 Depth=1
	v_or_b32_e32 v5, 0x10000, v4
	v_cmp_eq_u32_sdwa s[0:1], v4, v37 src0_sel:WORD_0 src1_sel:DWORD
	s_nop 1
	v_cndmask_b32_e64 v49, v5, v4, s[0:1]
; %bb.1037:                             ;   in Loop: Header=BB363_434 Depth=1
	s_or_b64 exec, exec, s[12:13]
	v_lshlrev_b32_e32 v4, 16, v7
	v_mul_f32_e32 v4, v30, v4
	v_and_b32_e32 v5, 0x7f800000, v4
	v_cmp_ne_u32_e64 s[0:1], s15, v5
                                        ; implicit-def: $vgpr50
	s_and_saveexec_b64 s[12:13], s[0:1]
	s_xor_b64 s[0:1], exec, s[12:13]
; %bb.1038:                             ;   in Loop: Header=BB363_434 Depth=1
	v_bfe_u32 v5, v4, 16, 1
	v_add3_u32 v50, v4, v5, s20
                                        ; implicit-def: $vgpr4
; %bb.1039:                             ;   in Loop: Header=BB363_434 Depth=1
	s_andn2_saveexec_b64 s[12:13], s[0:1]
; %bb.1040:                             ;   in Loop: Header=BB363_434 Depth=1
	v_or_b32_e32 v5, 0x10000, v4
	v_cmp_eq_u32_sdwa s[0:1], v4, v37 src0_sel:WORD_0 src1_sel:DWORD
	s_nop 1
	v_cndmask_b32_e64 v50, v5, v4, s[0:1]
; %bb.1041:                             ;   in Loop: Header=BB363_434 Depth=1
	s_or_b64 exec, exec, s[12:13]
	v_lshlrev_b32_e32 v4, 16, v12
	v_mul_f32_e32 v4, v31, v4
	v_and_b32_e32 v5, 0x7f800000, v4
	v_cmp_ne_u32_e64 s[0:1], s15, v5
                                        ; implicit-def: $vgpr53
	s_and_saveexec_b64 s[12:13], s[0:1]
	s_xor_b64 s[0:1], exec, s[12:13]
; %bb.1042:                             ;   in Loop: Header=BB363_434 Depth=1
	v_bfe_u32 v5, v4, 16, 1
	v_add3_u32 v53, v4, v5, s20
                                        ; implicit-def: $vgpr4
; %bb.1043:                             ;   in Loop: Header=BB363_434 Depth=1
	s_andn2_saveexec_b64 s[12:13], s[0:1]
; %bb.1044:                             ;   in Loop: Header=BB363_434 Depth=1
	v_or_b32_e32 v5, 0x10000, v4
	v_cmp_eq_u32_sdwa s[0:1], v4, v37 src0_sel:WORD_0 src1_sel:DWORD
	s_nop 1
	v_cndmask_b32_e64 v53, v5, v4, s[0:1]
; %bb.1045:                             ;   in Loop: Header=BB363_434 Depth=1
	s_or_b64 exec, exec, s[12:13]
	v_lshlrev_b32_e32 v4, 16, v8
	v_mul_f32_e32 v4, v26, v4
	v_and_b32_e32 v5, 0x7f800000, v4
	v_cmp_ne_u32_e64 s[0:1], s15, v5
                                        ; implicit-def: $vgpr51
	s_and_saveexec_b64 s[12:13], s[0:1]
	s_xor_b64 s[0:1], exec, s[12:13]
; %bb.1046:                             ;   in Loop: Header=BB363_434 Depth=1
	v_bfe_u32 v5, v4, 16, 1
	v_add3_u32 v51, v4, v5, s20
                                        ; implicit-def: $vgpr4
; %bb.1047:                             ;   in Loop: Header=BB363_434 Depth=1
	s_andn2_saveexec_b64 s[12:13], s[0:1]
; %bb.1048:                             ;   in Loop: Header=BB363_434 Depth=1
	v_or_b32_e32 v5, 0x10000, v4
	v_cmp_eq_u32_sdwa s[0:1], v4, v37 src0_sel:WORD_0 src1_sel:DWORD
	s_nop 1
	v_cndmask_b32_e64 v51, v5, v4, s[0:1]
; %bb.1049:                             ;   in Loop: Header=BB363_434 Depth=1
	s_or_b64 exec, exec, s[12:13]
	v_lshlrev_b32_e32 v4, 16, v6
	v_mul_f32_e32 v4, v27, v4
	v_and_b32_e32 v5, 0x7f800000, v4
	v_cmp_ne_u32_e64 s[0:1], s15, v5
                                        ; implicit-def: $vgpr47
	s_and_saveexec_b64 s[12:13], s[0:1]
	s_xor_b64 s[0:1], exec, s[12:13]
; %bb.1050:                             ;   in Loop: Header=BB363_434 Depth=1
	v_bfe_u32 v5, v4, 16, 1
	v_add3_u32 v47, v4, v5, s20
                                        ; implicit-def: $vgpr4
; %bb.1051:                             ;   in Loop: Header=BB363_434 Depth=1
	s_andn2_saveexec_b64 s[12:13], s[0:1]
; %bb.1052:                             ;   in Loop: Header=BB363_434 Depth=1
	v_or_b32_e32 v5, 0x10000, v4
	v_cmp_eq_u32_sdwa s[0:1], v4, v37 src0_sel:WORD_0 src1_sel:DWORD
	s_nop 1
	v_cndmask_b32_e64 v47, v5, v4, s[0:1]
; %bb.1053:                             ;   in Loop: Header=BB363_434 Depth=1
	s_or_b64 exec, exec, s[12:13]
	v_lshlrev_b32_e32 v3, 16, v3
	v_mul_f32_e32 v3, v38, v3
	v_and_b32_e32 v4, 0x7f800000, v3
	v_cmp_ne_u32_e64 s[0:1], s15, v4
                                        ; implicit-def: $vgpr44
	s_and_saveexec_b64 s[12:13], s[0:1]
	s_xor_b64 s[0:1], exec, s[12:13]
; %bb.1054:                             ;   in Loop: Header=BB363_434 Depth=1
	v_bfe_u32 v4, v3, 16, 1
	v_add3_u32 v44, v3, v4, s20
                                        ; implicit-def: $vgpr3
; %bb.1055:                             ;   in Loop: Header=BB363_434 Depth=1
	s_andn2_saveexec_b64 s[12:13], s[0:1]
; %bb.1056:                             ;   in Loop: Header=BB363_434 Depth=1
	v_or_b32_e32 v4, 0x10000, v3
	v_cmp_eq_u32_sdwa s[0:1], v3, v37 src0_sel:WORD_0 src1_sel:DWORD
	s_nop 1
	v_cndmask_b32_e64 v44, v4, v3, s[0:1]
; %bb.1057:                             ;   in Loop: Header=BB363_434 Depth=1
	s_or_b64 exec, exec, s[12:13]
	v_lshlrev_b32_e32 v2, 16, v2
	v_mul_f32_e32 v2, v39, v2
	v_and_b32_e32 v3, 0x7f800000, v2
	v_cmp_ne_u32_e64 s[0:1], s15, v3
                                        ; implicit-def: $vgpr4
	s_and_saveexec_b64 s[12:13], s[0:1]
	s_xor_b64 s[0:1], exec, s[12:13]
; %bb.1058:                             ;   in Loop: Header=BB363_434 Depth=1
	v_bfe_u32 v3, v2, 16, 1
	v_add3_u32 v4, v2, v3, s20
                                        ; implicit-def: $vgpr2
; %bb.1059:                             ;   in Loop: Header=BB363_434 Depth=1
	s_andn2_saveexec_b64 s[12:13], s[0:1]
; %bb.1060:                             ;   in Loop: Header=BB363_434 Depth=1
	v_or_b32_e32 v3, 0x10000, v2
	v_cmp_eq_u32_sdwa s[0:1], v2, v37 src0_sel:WORD_0 src1_sel:DWORD
	s_nop 1
	v_cndmask_b32_e64 v4, v3, v2, s[0:1]
; %bb.1061:                             ;   in Loop: Header=BB363_434 Depth=1
	s_or_b64 exec, exec, s[12:13]
	scratch_load_dwordx2 v[2:3], off, s32 offset:336 ; 8-byte Folded Reload
	s_waitcnt vmcnt(0)
	v_lshl_add_u64 v[2:3], v[0:1], 0, v[2:3]
	flat_load_dwordx2 v[2:3], v[2:3]
	s_waitcnt vmcnt(0) lgkmcnt(0)
	v_and_b32_e32 v5, 0xff, v2
	v_cvt_f32_fp8_sdwa v5, v5 src0_sel:BYTE_0
	s_nop 0
	v_mul_f32_e32 v6, v60, v5
	v_and_b32_e32 v5, 0x7f800000, v6
	v_cmp_ne_u32_e64 s[0:1], s15, v5
                                        ; implicit-def: $vgpr5
	s_and_saveexec_b64 s[12:13], s[0:1]
	s_xor_b64 s[0:1], exec, s[12:13]
; %bb.1062:                             ;   in Loop: Header=BB363_434 Depth=1
	v_bfe_u32 v5, v6, 16, 1
	v_add3_u32 v5, v6, v5, s20
                                        ; implicit-def: $vgpr6
; %bb.1063:                             ;   in Loop: Header=BB363_434 Depth=1
	s_andn2_saveexec_b64 s[12:13], s[0:1]
; %bb.1064:                             ;   in Loop: Header=BB363_434 Depth=1
	v_or_b32_e32 v5, 0x10000, v6
	v_cmp_eq_u32_sdwa s[0:1], v6, v37 src0_sel:WORD_0 src1_sel:DWORD
	s_nop 1
	v_cndmask_b32_e64 v5, v5, v6, s[0:1]
; %bb.1065:                             ;   in Loop: Header=BB363_434 Depth=1
	s_or_b64 exec, exec, s[12:13]
	v_bfe_u32 v6, v2, 8, 8
	v_cvt_f32_fp8_sdwa v6, v6 src0_sel:BYTE_0
	s_nop 0
	v_mul_f32_e32 v7, v60, v6
	v_and_b32_e32 v6, 0x7f800000, v7
	v_cmp_ne_u32_e64 s[0:1], s15, v6
                                        ; implicit-def: $vgpr6
	s_and_saveexec_b64 s[12:13], s[0:1]
	s_xor_b64 s[0:1], exec, s[12:13]
; %bb.1066:                             ;   in Loop: Header=BB363_434 Depth=1
	v_bfe_u32 v6, v7, 16, 1
	v_add3_u32 v6, v7, v6, s20
                                        ; implicit-def: $vgpr7
; %bb.1067:                             ;   in Loop: Header=BB363_434 Depth=1
	s_andn2_saveexec_b64 s[12:13], s[0:1]
; %bb.1068:                             ;   in Loop: Header=BB363_434 Depth=1
	v_or_b32_e32 v6, 0x10000, v7
	v_cmp_eq_u32_sdwa s[0:1], v7, v37 src0_sel:WORD_0 src1_sel:DWORD
	s_nop 1
	v_cndmask_b32_e64 v6, v6, v7, s[0:1]
; %bb.1069:                             ;   in Loop: Header=BB363_434 Depth=1
	s_or_b64 exec, exec, s[12:13]
	v_bfe_u32 v7, v2, 16, 8
	v_cvt_f32_fp8_sdwa v7, v7 src0_sel:BYTE_0
                                        ; implicit-def: $vgpr12
	s_nop 0
	v_mul_f32_e32 v7, v60, v7
	v_and_b32_e32 v8, 0x7f800000, v7
	v_cmp_ne_u32_e64 s[0:1], s15, v8
	s_and_saveexec_b64 s[12:13], s[0:1]
	s_xor_b64 s[0:1], exec, s[12:13]
; %bb.1070:                             ;   in Loop: Header=BB363_434 Depth=1
	v_bfe_u32 v8, v7, 16, 1
	v_add3_u32 v12, v7, v8, s20
                                        ; implicit-def: $vgpr7
; %bb.1071:                             ;   in Loop: Header=BB363_434 Depth=1
	s_andn2_saveexec_b64 s[12:13], s[0:1]
; %bb.1072:                             ;   in Loop: Header=BB363_434 Depth=1
	v_or_b32_e32 v8, 0x10000, v7
	v_cmp_eq_u32_sdwa s[0:1], v7, v37 src0_sel:WORD_0 src1_sel:DWORD
	s_nop 1
	v_cndmask_b32_e64 v12, v8, v7, s[0:1]
; %bb.1073:                             ;   in Loop: Header=BB363_434 Depth=1
	s_or_b64 exec, exec, s[12:13]
	v_lshrrev_b32_e32 v2, 24, v2
	v_cvt_f32_fp8_sdwa v2, v2 src0_sel:BYTE_0
	s_nop 0
	v_mul_f32_e32 v7, v60, v2
	v_and_b32_e32 v2, 0x7f800000, v7
	v_cmp_ne_u32_e64 s[0:1], s15, v2
                                        ; implicit-def: $vgpr2
	s_and_saveexec_b64 s[12:13], s[0:1]
	s_xor_b64 s[0:1], exec, s[12:13]
; %bb.1074:                             ;   in Loop: Header=BB363_434 Depth=1
	v_bfe_u32 v2, v7, 16, 1
	v_add3_u32 v2, v7, v2, s20
                                        ; implicit-def: $vgpr7
; %bb.1075:                             ;   in Loop: Header=BB363_434 Depth=1
	s_andn2_saveexec_b64 s[12:13], s[0:1]
; %bb.1076:                             ;   in Loop: Header=BB363_434 Depth=1
	v_or_b32_e32 v2, 0x10000, v7
	v_cmp_eq_u32_sdwa s[0:1], v7, v37 src0_sel:WORD_0 src1_sel:DWORD
	s_nop 1
	v_cndmask_b32_e64 v2, v2, v7, s[0:1]
; %bb.1077:                             ;   in Loop: Header=BB363_434 Depth=1
	s_or_b64 exec, exec, s[12:13]
	v_and_b32_e32 v7, 0xff, v3
	v_cvt_f32_fp8_sdwa v7, v7 src0_sel:BYTE_0
	s_nop 0
	v_mul_f32_e32 v7, v60, v7
	v_and_b32_e32 v8, 0x7f800000, v7
	v_cmp_ne_u32_e64 s[0:1], s15, v8
                                        ; implicit-def: $vgpr8
	s_and_saveexec_b64 s[12:13], s[0:1]
	s_xor_b64 s[0:1], exec, s[12:13]
; %bb.1078:                             ;   in Loop: Header=BB363_434 Depth=1
	v_bfe_u32 v8, v7, 16, 1
	v_add3_u32 v8, v7, v8, s20
                                        ; implicit-def: $vgpr7
; %bb.1079:                             ;   in Loop: Header=BB363_434 Depth=1
	s_andn2_saveexec_b64 s[12:13], s[0:1]
; %bb.1080:                             ;   in Loop: Header=BB363_434 Depth=1
	v_or_b32_e32 v8, 0x10000, v7
	v_cmp_eq_u32_sdwa s[0:1], v7, v37 src0_sel:WORD_0 src1_sel:DWORD
	s_nop 1
	v_cndmask_b32_e64 v8, v8, v7, s[0:1]
; %bb.1081:                             ;   in Loop: Header=BB363_434 Depth=1
	s_or_b64 exec, exec, s[12:13]
	v_bfe_u32 v7, v3, 8, 8
	v_cvt_f32_fp8_sdwa v7, v7 src0_sel:BYTE_0
	s_nop 0
	v_mul_f32_e32 v13, v60, v7
	v_and_b32_e32 v7, 0x7f800000, v13
	v_cmp_ne_u32_e64 s[0:1], s15, v7
                                        ; implicit-def: $vgpr7
	s_and_saveexec_b64 s[12:13], s[0:1]
	s_xor_b64 s[0:1], exec, s[12:13]
; %bb.1082:                             ;   in Loop: Header=BB363_434 Depth=1
	v_bfe_u32 v7, v13, 16, 1
	v_add3_u32 v7, v13, v7, s20
                                        ; implicit-def: $vgpr13
; %bb.1083:                             ;   in Loop: Header=BB363_434 Depth=1
	s_andn2_saveexec_b64 s[12:13], s[0:1]
; %bb.1084:                             ;   in Loop: Header=BB363_434 Depth=1
	v_or_b32_e32 v7, 0x10000, v13
	v_cmp_eq_u32_sdwa s[0:1], v13, v37 src0_sel:WORD_0 src1_sel:DWORD
	s_nop 1
	v_cndmask_b32_e64 v7, v7, v13, s[0:1]
; %bb.1085:                             ;   in Loop: Header=BB363_434 Depth=1
	s_or_b64 exec, exec, s[12:13]
	v_bfe_u32 v13, v3, 16, 8
	v_cvt_f32_fp8_sdwa v13, v13 src0_sel:BYTE_0
	s_nop 0
	v_mul_f32_e32 v13, v60, v13
	v_and_b32_e32 v16, 0x7f800000, v13
	v_cmp_ne_u32_e64 s[0:1], s15, v16
                                        ; implicit-def: $vgpr16
	s_and_saveexec_b64 s[12:13], s[0:1]
	s_xor_b64 s[0:1], exec, s[12:13]
; %bb.1086:                             ;   in Loop: Header=BB363_434 Depth=1
	v_bfe_u32 v16, v13, 16, 1
	v_add3_u32 v16, v13, v16, s20
                                        ; implicit-def: $vgpr13
; %bb.1087:                             ;   in Loop: Header=BB363_434 Depth=1
	s_andn2_saveexec_b64 s[12:13], s[0:1]
; %bb.1088:                             ;   in Loop: Header=BB363_434 Depth=1
	v_or_b32_e32 v16, 0x10000, v13
	v_cmp_eq_u32_sdwa s[0:1], v13, v37 src0_sel:WORD_0 src1_sel:DWORD
	s_nop 1
	v_cndmask_b32_e64 v16, v16, v13, s[0:1]
; %bb.1089:                             ;   in Loop: Header=BB363_434 Depth=1
	s_or_b64 exec, exec, s[12:13]
	v_lshrrev_b32_e32 v3, 24, v3
	v_cvt_f32_fp8_sdwa v3, v3 src0_sel:BYTE_0
                                        ; implicit-def: $vgpr17
	s_nop 0
	v_mul_f32_e32 v3, v60, v3
	v_and_b32_e32 v13, 0x7f800000, v3
	v_cmp_ne_u32_e64 s[0:1], s15, v13
	s_and_saveexec_b64 s[12:13], s[0:1]
	s_xor_b64 s[0:1], exec, s[12:13]
; %bb.1090:                             ;   in Loop: Header=BB363_434 Depth=1
	v_bfe_u32 v13, v3, 16, 1
	v_add3_u32 v17, v3, v13, s20
                                        ; implicit-def: $vgpr3
; %bb.1091:                             ;   in Loop: Header=BB363_434 Depth=1
	s_andn2_saveexec_b64 s[12:13], s[0:1]
; %bb.1092:                             ;   in Loop: Header=BB363_434 Depth=1
	v_or_b32_e32 v13, 0x10000, v3
	v_cmp_eq_u32_sdwa s[0:1], v3, v37 src0_sel:WORD_0 src1_sel:DWORD
	s_nop 1
	v_cndmask_b32_e64 v17, v13, v3, s[0:1]
; %bb.1093:                             ;   in Loop: Header=BB363_434 Depth=1
	s_or_b64 exec, exec, s[12:13]
	v_lshrrev_b32_e32 v7, 16, v7
	v_lshrrev_b32_e32 v8, 16, v8
	;; [unrolled: 1-line block ×8, first 2 shown]
	s_and_saveexec_b64 s[12:13], vcc
	s_cbranch_execz .LBB363_1095
; %bb.1094:                             ;   in Loop: Header=BB363_434 Depth=1
	scratch_load_dword v17, off, s32 offset:196 ; 4-byte Folded Reload
	v_accvgpr_read_b32 v16, a53
	s_waitcnt vmcnt(0)
	v_cmp_lt_i32_e64 s[0:1], v55, v17
	s_nop 1
	v_cndmask_b32_e64 v5, 0, v5, s[0:1]
	v_cmp_lt_i32_e64 s[0:1], v16, v17
	v_accvgpr_read_b32 v16, a52
	s_nop 0
	v_cndmask_b32_e64 v6, 0, v6, s[0:1]
	v_cmp_lt_i32_e64 s[0:1], v16, v17
	v_accvgpr_read_b32 v16, a51
	s_nop 0
	v_cndmask_b32_e64 v12, 0, v12, s[0:1]
	v_cmp_lt_i32_e64 s[0:1], v16, v17
	v_accvgpr_read_b32 v16, a50
	s_nop 0
	v_cndmask_b32_e64 v13, 0, v13, s[0:1]
	v_cmp_lt_i32_e64 s[0:1], v16, v17
	v_accvgpr_read_b32 v16, a49
	s_nop 0
	v_cndmask_b32_e64 v8, 0, v8, s[0:1]
	v_cmp_lt_i32_e64 s[0:1], v16, v17
	v_accvgpr_read_b32 v16, a48
	s_nop 0
	v_cndmask_b32_e64 v7, 0, v7, s[0:1]
	v_cmp_lt_i32_e64 s[0:1], v16, v17
	v_accvgpr_read_b32 v16, a47
	s_nop 0
	v_cndmask_b32_e64 v3, 0, v3, s[0:1]
	v_cmp_lt_i32_e64 s[0:1], v16, v17
	s_nop 1
	v_cndmask_b32_e64 v2, 0, v2, s[0:1]
.LBB363_1095:                           ;   in Loop: Header=BB363_434 Depth=1
	s_or_b64 exec, exec, s[12:13]
	v_lshlrev_b32_e32 v5, 16, v5
	v_mul_f32_e32 v5, v10, v5
	v_and_b32_e32 v16, 0x7f800000, v5
	v_cmp_ne_u32_e64 s[0:1], s15, v16
                                        ; implicit-def: $vgpr54
	s_and_saveexec_b64 s[12:13], s[0:1]
	s_xor_b64 s[0:1], exec, s[12:13]
; %bb.1096:                             ;   in Loop: Header=BB363_434 Depth=1
	v_bfe_u32 v16, v5, 16, 1
	v_add3_u32 v54, v5, v16, s20
                                        ; implicit-def: $vgpr5
; %bb.1097:                             ;   in Loop: Header=BB363_434 Depth=1
	s_andn2_saveexec_b64 s[12:13], s[0:1]
; %bb.1098:                             ;   in Loop: Header=BB363_434 Depth=1
	v_or_b32_e32 v16, 0x10000, v5
	v_cmp_eq_u32_sdwa s[0:1], v5, v37 src0_sel:WORD_0 src1_sel:DWORD
	s_nop 1
	v_cndmask_b32_e64 v54, v16, v5, s[0:1]
; %bb.1099:                             ;   in Loop: Header=BB363_434 Depth=1
	s_or_b64 exec, exec, s[12:13]
	v_lshlrev_b32_e32 v5, 16, v6
	v_mul_f32_e32 v5, v11, v5
	v_and_b32_e32 v6, 0x7f800000, v5
	v_cmp_ne_u32_e64 s[0:1], s15, v6
                                        ; implicit-def: $vgpr46
	s_and_saveexec_b64 s[12:13], s[0:1]
	s_xor_b64 s[0:1], exec, s[12:13]
; %bb.1100:                             ;   in Loop: Header=BB363_434 Depth=1
	v_bfe_u32 v6, v5, 16, 1
	v_add3_u32 v46, v5, v6, s20
                                        ; implicit-def: $vgpr5
; %bb.1101:                             ;   in Loop: Header=BB363_434 Depth=1
	s_andn2_saveexec_b64 s[12:13], s[0:1]
; %bb.1102:                             ;   in Loop: Header=BB363_434 Depth=1
	v_or_b32_e32 v6, 0x10000, v5
	v_cmp_eq_u32_sdwa s[0:1], v5, v37 src0_sel:WORD_0 src1_sel:DWORD
	s_nop 1
	v_cndmask_b32_e64 v46, v6, v5, s[0:1]
; %bb.1103:                             ;   in Loop: Header=BB363_434 Depth=1
	s_or_b64 exec, exec, s[12:13]
	v_lshlrev_b32_e32 v5, 16, v12
	v_mul_f32_e32 v5, v30, v5
	v_and_b32_e32 v6, 0x7f800000, v5
	v_cmp_ne_u32_e64 s[0:1], s15, v6
                                        ; implicit-def: $vgpr52
	s_and_saveexec_b64 s[12:13], s[0:1]
	s_xor_b64 s[0:1], exec, s[12:13]
; %bb.1104:                             ;   in Loop: Header=BB363_434 Depth=1
	v_bfe_u32 v6, v5, 16, 1
	v_add3_u32 v52, v5, v6, s20
                                        ; implicit-def: $vgpr5
; %bb.1105:                             ;   in Loop: Header=BB363_434 Depth=1
	s_andn2_saveexec_b64 s[12:13], s[0:1]
; %bb.1106:                             ;   in Loop: Header=BB363_434 Depth=1
	v_or_b32_e32 v6, 0x10000, v5
	v_cmp_eq_u32_sdwa s[0:1], v5, v37 src0_sel:WORD_0 src1_sel:DWORD
	s_nop 1
	v_cndmask_b32_e64 v52, v6, v5, s[0:1]
; %bb.1107:                             ;   in Loop: Header=BB363_434 Depth=1
	s_or_b64 exec, exec, s[12:13]
	v_lshlrev_b32_e32 v5, 16, v13
	v_mul_f32_e32 v5, v31, v5
	v_and_b32_e32 v6, 0x7f800000, v5
	v_cmp_ne_u32_e64 s[0:1], s15, v6
                                        ; implicit-def: $vgpr21
	s_and_saveexec_b64 s[12:13], s[0:1]
	s_xor_b64 s[0:1], exec, s[12:13]
; %bb.1108:                             ;   in Loop: Header=BB363_434 Depth=1
	v_bfe_u32 v6, v5, 16, 1
	v_add3_u32 v21, v5, v6, s20
                                        ; implicit-def: $vgpr5
; %bb.1109:                             ;   in Loop: Header=BB363_434 Depth=1
	s_andn2_saveexec_b64 s[12:13], s[0:1]
; %bb.1110:                             ;   in Loop: Header=BB363_434 Depth=1
	v_or_b32_e32 v6, 0x10000, v5
	v_cmp_eq_u32_sdwa s[0:1], v5, v37 src0_sel:WORD_0 src1_sel:DWORD
	s_nop 1
	v_cndmask_b32_e64 v21, v6, v5, s[0:1]
; %bb.1111:                             ;   in Loop: Header=BB363_434 Depth=1
	s_or_b64 exec, exec, s[12:13]
	v_lshlrev_b32_e32 v5, 16, v8
	v_mul_f32_e32 v5, v26, v5
	v_and_b32_e32 v6, 0x7f800000, v5
	v_cmp_ne_u32_e64 s[0:1], s15, v6
                                        ; implicit-def: $vgpr6
	s_and_saveexec_b64 s[12:13], s[0:1]
	s_xor_b64 s[0:1], exec, s[12:13]
; %bb.1112:                             ;   in Loop: Header=BB363_434 Depth=1
	v_bfe_u32 v6, v5, 16, 1
	v_add3_u32 v6, v5, v6, s20
                                        ; implicit-def: $vgpr5
; %bb.1113:                             ;   in Loop: Header=BB363_434 Depth=1
	s_andn2_saveexec_b64 s[12:13], s[0:1]
; %bb.1114:                             ;   in Loop: Header=BB363_434 Depth=1
	v_or_b32_e32 v6, 0x10000, v5
	v_cmp_eq_u32_sdwa s[0:1], v5, v37 src0_sel:WORD_0 src1_sel:DWORD
	s_nop 1
	v_cndmask_b32_e64 v6, v6, v5, s[0:1]
; %bb.1115:                             ;   in Loop: Header=BB363_434 Depth=1
	s_or_b64 exec, exec, s[12:13]
	v_lshlrev_b32_e32 v5, 16, v7
	v_mul_f32_e32 v5, v27, v5
	v_and_b32_e32 v7, 0x7f800000, v5
	v_cmp_ne_u32_e64 s[0:1], s15, v7
                                        ; implicit-def: $vgpr7
	s_and_saveexec_b64 s[12:13], s[0:1]
	s_xor_b64 s[0:1], exec, s[12:13]
; %bb.1116:                             ;   in Loop: Header=BB363_434 Depth=1
	v_bfe_u32 v7, v5, 16, 1
	v_add3_u32 v7, v5, v7, s20
                                        ; implicit-def: $vgpr5
; %bb.1117:                             ;   in Loop: Header=BB363_434 Depth=1
	s_andn2_saveexec_b64 s[12:13], s[0:1]
; %bb.1118:                             ;   in Loop: Header=BB363_434 Depth=1
	v_or_b32_e32 v7, 0x10000, v5
	v_cmp_eq_u32_sdwa s[0:1], v5, v37 src0_sel:WORD_0 src1_sel:DWORD
	s_nop 1
	v_cndmask_b32_e64 v7, v7, v5, s[0:1]
; %bb.1119:                             ;   in Loop: Header=BB363_434 Depth=1
	s_or_b64 exec, exec, s[12:13]
	v_lshlrev_b32_e32 v3, 16, v3
	v_mul_f32_e32 v3, v38, v3
	v_and_b32_e32 v5, 0x7f800000, v3
	v_cmp_ne_u32_e64 s[0:1], s15, v5
                                        ; implicit-def: $vgpr43
	s_and_saveexec_b64 s[12:13], s[0:1]
	s_xor_b64 s[0:1], exec, s[12:13]
; %bb.1120:                             ;   in Loop: Header=BB363_434 Depth=1
	v_bfe_u32 v5, v3, 16, 1
	v_add3_u32 v43, v3, v5, s20
                                        ; implicit-def: $vgpr3
; %bb.1121:                             ;   in Loop: Header=BB363_434 Depth=1
	s_andn2_saveexec_b64 s[12:13], s[0:1]
; %bb.1122:                             ;   in Loop: Header=BB363_434 Depth=1
	v_or_b32_e32 v5, 0x10000, v3
	v_cmp_eq_u32_sdwa s[0:1], v3, v37 src0_sel:WORD_0 src1_sel:DWORD
	s_nop 1
	v_cndmask_b32_e64 v43, v5, v3, s[0:1]
; %bb.1123:                             ;   in Loop: Header=BB363_434 Depth=1
	s_or_b64 exec, exec, s[12:13]
	v_lshlrev_b32_e32 v2, 16, v2
	v_mul_f32_e32 v2, v39, v2
	v_and_b32_e32 v3, 0x7f800000, v2
	v_cmp_ne_u32_e64 s[0:1], s15, v3
                                        ; implicit-def: $vgpr62
	s_and_saveexec_b64 s[12:13], s[0:1]
	s_xor_b64 s[0:1], exec, s[12:13]
; %bb.1124:                             ;   in Loop: Header=BB363_434 Depth=1
	v_bfe_u32 v3, v2, 16, 1
	v_add3_u32 v62, v2, v3, s20
                                        ; implicit-def: $vgpr2
; %bb.1125:                             ;   in Loop: Header=BB363_434 Depth=1
	s_andn2_saveexec_b64 s[12:13], s[0:1]
; %bb.1126:                             ;   in Loop: Header=BB363_434 Depth=1
	v_or_b32_e32 v3, 0x10000, v2
	v_cmp_eq_u32_sdwa s[0:1], v2, v37 src0_sel:WORD_0 src1_sel:DWORD
	s_nop 1
	v_cndmask_b32_e64 v62, v3, v2, s[0:1]
; %bb.1127:                             ;   in Loop: Header=BB363_434 Depth=1
	s_or_b64 exec, exec, s[12:13]
	scratch_load_dwordx2 v[2:3], off, s32 offset:344 ; 8-byte Folded Reload
	s_waitcnt vmcnt(0)
	v_lshl_add_u64 v[2:3], v[0:1], 0, v[2:3]
	flat_load_dwordx2 v[2:3], v[2:3]
	s_waitcnt vmcnt(0) lgkmcnt(0)
	v_and_b32_e32 v5, 0xff, v2
	v_cvt_f32_fp8_sdwa v5, v5 src0_sel:BYTE_0
	s_nop 0
	v_mul_f32_e32 v8, v60, v5
	v_and_b32_e32 v5, 0x7f800000, v8
	v_cmp_ne_u32_e64 s[0:1], s15, v5
                                        ; implicit-def: $vgpr5
	s_and_saveexec_b64 s[12:13], s[0:1]
	s_xor_b64 s[0:1], exec, s[12:13]
; %bb.1128:                             ;   in Loop: Header=BB363_434 Depth=1
	v_bfe_u32 v5, v8, 16, 1
	v_add3_u32 v5, v8, v5, s20
                                        ; implicit-def: $vgpr8
; %bb.1129:                             ;   in Loop: Header=BB363_434 Depth=1
	s_andn2_saveexec_b64 s[12:13], s[0:1]
; %bb.1130:                             ;   in Loop: Header=BB363_434 Depth=1
	v_or_b32_e32 v5, 0x10000, v8
	v_cmp_eq_u32_sdwa s[0:1], v8, v37 src0_sel:WORD_0 src1_sel:DWORD
	s_nop 1
	v_cndmask_b32_e64 v5, v5, v8, s[0:1]
; %bb.1131:                             ;   in Loop: Header=BB363_434 Depth=1
	s_or_b64 exec, exec, s[12:13]
	v_bfe_u32 v8, v2, 8, 8
	v_cvt_f32_fp8_sdwa v8, v8 src0_sel:BYTE_0
	s_nop 0
	v_mul_f32_e32 v8, v60, v8
	v_and_b32_e32 v12, 0x7f800000, v8
	v_cmp_ne_u32_e64 s[0:1], s15, v12
                                        ; implicit-def: $vgpr12
	s_and_saveexec_b64 s[12:13], s[0:1]
	s_xor_b64 s[0:1], exec, s[12:13]
; %bb.1132:                             ;   in Loop: Header=BB363_434 Depth=1
	v_bfe_u32 v12, v8, 16, 1
	v_add3_u32 v12, v8, v12, s20
                                        ; implicit-def: $vgpr8
; %bb.1133:                             ;   in Loop: Header=BB363_434 Depth=1
	s_andn2_saveexec_b64 s[12:13], s[0:1]
; %bb.1134:                             ;   in Loop: Header=BB363_434 Depth=1
	v_or_b32_e32 v12, 0x10000, v8
	v_cmp_eq_u32_sdwa s[0:1], v8, v37 src0_sel:WORD_0 src1_sel:DWORD
	s_nop 1
	v_cndmask_b32_e64 v12, v12, v8, s[0:1]
; %bb.1135:                             ;   in Loop: Header=BB363_434 Depth=1
	s_or_b64 exec, exec, s[12:13]
	v_bfe_u32 v8, v2, 16, 8
	v_cvt_f32_fp8_sdwa v8, v8 src0_sel:BYTE_0
                                        ; implicit-def: $vgpr16
	s_nop 0
	v_mul_f32_e32 v8, v60, v8
	v_and_b32_e32 v13, 0x7f800000, v8
	v_cmp_ne_u32_e64 s[0:1], s15, v13
	s_and_saveexec_b64 s[12:13], s[0:1]
	s_xor_b64 s[0:1], exec, s[12:13]
; %bb.1136:                             ;   in Loop: Header=BB363_434 Depth=1
	v_bfe_u32 v13, v8, 16, 1
	v_add3_u32 v16, v8, v13, s20
                                        ; implicit-def: $vgpr8
; %bb.1137:                             ;   in Loop: Header=BB363_434 Depth=1
	s_andn2_saveexec_b64 s[12:13], s[0:1]
; %bb.1138:                             ;   in Loop: Header=BB363_434 Depth=1
	v_or_b32_e32 v13, 0x10000, v8
	v_cmp_eq_u32_sdwa s[0:1], v8, v37 src0_sel:WORD_0 src1_sel:DWORD
	s_nop 1
	v_cndmask_b32_e64 v16, v13, v8, s[0:1]
; %bb.1139:                             ;   in Loop: Header=BB363_434 Depth=1
	s_or_b64 exec, exec, s[12:13]
	v_lshrrev_b32_e32 v2, 24, v2
	v_cvt_f32_fp8_sdwa v2, v2 src0_sel:BYTE_0
	s_nop 0
	v_mul_f32_e32 v8, v60, v2
	v_and_b32_e32 v2, 0x7f800000, v8
	v_cmp_ne_u32_e64 s[0:1], s15, v2
                                        ; implicit-def: $vgpr2
	s_and_saveexec_b64 s[12:13], s[0:1]
	s_xor_b64 s[0:1], exec, s[12:13]
; %bb.1140:                             ;   in Loop: Header=BB363_434 Depth=1
	v_bfe_u32 v2, v8, 16, 1
	v_add3_u32 v2, v8, v2, s20
                                        ; implicit-def: $vgpr8
; %bb.1141:                             ;   in Loop: Header=BB363_434 Depth=1
	s_andn2_saveexec_b64 s[12:13], s[0:1]
; %bb.1142:                             ;   in Loop: Header=BB363_434 Depth=1
	v_or_b32_e32 v2, 0x10000, v8
	v_cmp_eq_u32_sdwa s[0:1], v8, v37 src0_sel:WORD_0 src1_sel:DWORD
	s_nop 1
	v_cndmask_b32_e64 v2, v2, v8, s[0:1]
; %bb.1143:                             ;   in Loop: Header=BB363_434 Depth=1
	s_or_b64 exec, exec, s[12:13]
	v_and_b32_e32 v8, 0xff, v3
	v_cvt_f32_fp8_sdwa v8, v8 src0_sel:BYTE_0
	s_nop 0
	v_mul_f32_e32 v13, v60, v8
	v_and_b32_e32 v8, 0x7f800000, v13
	v_cmp_ne_u32_e64 s[0:1], s15, v8
                                        ; implicit-def: $vgpr8
	s_and_saveexec_b64 s[12:13], s[0:1]
	s_xor_b64 s[0:1], exec, s[12:13]
; %bb.1144:                             ;   in Loop: Header=BB363_434 Depth=1
	v_bfe_u32 v8, v13, 16, 1
	v_add3_u32 v8, v13, v8, s20
                                        ; implicit-def: $vgpr13
; %bb.1145:                             ;   in Loop: Header=BB363_434 Depth=1
	s_andn2_saveexec_b64 s[12:13], s[0:1]
; %bb.1146:                             ;   in Loop: Header=BB363_434 Depth=1
	v_or_b32_e32 v8, 0x10000, v13
	v_cmp_eq_u32_sdwa s[0:1], v13, v37 src0_sel:WORD_0 src1_sel:DWORD
	s_nop 1
	v_cndmask_b32_e64 v8, v8, v13, s[0:1]
; %bb.1147:                             ;   in Loop: Header=BB363_434 Depth=1
	s_or_b64 exec, exec, s[12:13]
	v_bfe_u32 v13, v3, 8, 8
	v_cvt_f32_fp8_sdwa v13, v13 src0_sel:BYTE_0
	s_nop 0
	v_mul_f32_e32 v17, v60, v13
	v_and_b32_e32 v13, 0x7f800000, v17
	v_cmp_ne_u32_e64 s[0:1], s15, v13
                                        ; implicit-def: $vgpr13
	s_and_saveexec_b64 s[12:13], s[0:1]
	s_xor_b64 s[0:1], exec, s[12:13]
; %bb.1148:                             ;   in Loop: Header=BB363_434 Depth=1
	v_bfe_u32 v13, v17, 16, 1
	v_add3_u32 v13, v17, v13, s20
                                        ; implicit-def: $vgpr17
; %bb.1149:                             ;   in Loop: Header=BB363_434 Depth=1
	s_andn2_saveexec_b64 s[12:13], s[0:1]
; %bb.1150:                             ;   in Loop: Header=BB363_434 Depth=1
	v_or_b32_e32 v13, 0x10000, v17
	v_cmp_eq_u32_sdwa s[0:1], v17, v37 src0_sel:WORD_0 src1_sel:DWORD
	s_nop 1
	v_cndmask_b32_e64 v13, v13, v17, s[0:1]
; %bb.1151:                             ;   in Loop: Header=BB363_434 Depth=1
	s_or_b64 exec, exec, s[12:13]
	v_bfe_u32 v17, v3, 16, 8
	v_cvt_f32_fp8_sdwa v17, v17 src0_sel:BYTE_0
	s_nop 0
	v_mul_f32_e32 v18, v60, v17
	v_and_b32_e32 v17, 0x7f800000, v18
	v_cmp_ne_u32_e64 s[0:1], s15, v17
                                        ; implicit-def: $vgpr17
	s_and_saveexec_b64 s[12:13], s[0:1]
	s_xor_b64 s[0:1], exec, s[12:13]
; %bb.1152:                             ;   in Loop: Header=BB363_434 Depth=1
	v_bfe_u32 v17, v18, 16, 1
	v_add3_u32 v17, v18, v17, s20
                                        ; implicit-def: $vgpr18
; %bb.1153:                             ;   in Loop: Header=BB363_434 Depth=1
	s_andn2_saveexec_b64 s[12:13], s[0:1]
; %bb.1154:                             ;   in Loop: Header=BB363_434 Depth=1
	v_or_b32_e32 v17, 0x10000, v18
	v_cmp_eq_u32_sdwa s[0:1], v18, v37 src0_sel:WORD_0 src1_sel:DWORD
	s_nop 1
	v_cndmask_b32_e64 v17, v17, v18, s[0:1]
; %bb.1155:                             ;   in Loop: Header=BB363_434 Depth=1
	s_or_b64 exec, exec, s[12:13]
	v_lshrrev_b32_e32 v3, 24, v3
	v_cvt_f32_fp8_sdwa v3, v3 src0_sel:BYTE_0
                                        ; implicit-def: $vgpr20
	s_nop 0
	v_mul_f32_e32 v3, v60, v3
	v_and_b32_e32 v18, 0x7f800000, v3
	v_cmp_ne_u32_e64 s[0:1], s15, v18
	s_and_saveexec_b64 s[12:13], s[0:1]
	s_xor_b64 s[0:1], exec, s[12:13]
; %bb.1156:                             ;   in Loop: Header=BB363_434 Depth=1
	v_bfe_u32 v18, v3, 16, 1
	v_add3_u32 v20, v3, v18, s20
                                        ; implicit-def: $vgpr3
; %bb.1157:                             ;   in Loop: Header=BB363_434 Depth=1
	s_andn2_saveexec_b64 s[12:13], s[0:1]
; %bb.1158:                             ;   in Loop: Header=BB363_434 Depth=1
	v_or_b32_e32 v18, 0x10000, v3
	v_cmp_eq_u32_sdwa s[0:1], v3, v37 src0_sel:WORD_0 src1_sel:DWORD
	s_nop 1
	v_cndmask_b32_e64 v20, v18, v3, s[0:1]
; %bb.1159:                             ;   in Loop: Header=BB363_434 Depth=1
	s_or_b64 exec, exec, s[12:13]
	v_lshrrev_b32_e32 v13, 16, v13
	v_lshrrev_b32_e32 v8, 16, v8
	;; [unrolled: 1-line block ×8, first 2 shown]
	s_and_saveexec_b64 s[12:13], vcc
	s_cbranch_execz .LBB363_1161
; %bb.1160:                             ;   in Loop: Header=BB363_434 Depth=1
	scratch_load_dword v12, off, s32 offset:196 ; 4-byte Folded Reload
	v_accvgpr_read_b32 v5, a53
	s_waitcnt vmcnt(0)
	v_cmp_lt_i32_e64 s[0:1], v55, v12
	s_nop 1
	v_cndmask_b32_e64 v2, 0, v2, s[0:1]
	v_cmp_lt_i32_e64 s[0:1], v5, v12
	v_accvgpr_read_b32 v5, a52
	s_nop 0
	v_cndmask_b32_e64 v3, 0, v3, s[0:1]
	v_cmp_lt_i32_e64 s[0:1], v5, v12
	v_accvgpr_read_b32 v5, a51
	;; [unrolled: 4-line block ×6, first 2 shown]
	s_nop 0
	v_cndmask_b32_e64 v17, 0, v17, s[0:1]
	v_cmp_lt_i32_e64 s[0:1], v5, v12
	s_nop 1
	v_cndmask_b32_e64 v16, 0, v16, s[0:1]
.LBB363_1161:                           ;   in Loop: Header=BB363_434 Depth=1
	s_or_b64 exec, exec, s[12:13]
	v_lshlrev_b32_e32 v2, 16, v2
	v_mul_f32_e32 v5, v10, v2
	v_and_b32_e32 v2, 0x7f800000, v5
	v_cmp_ne_u32_e64 s[0:1], s15, v2
                                        ; implicit-def: $vgpr2
	s_and_saveexec_b64 s[12:13], s[0:1]
	s_xor_b64 s[0:1], exec, s[12:13]
; %bb.1162:                             ;   in Loop: Header=BB363_434 Depth=1
	v_bfe_u32 v2, v5, 16, 1
	v_add3_u32 v2, v5, v2, s20
                                        ; implicit-def: $vgpr5
; %bb.1163:                             ;   in Loop: Header=BB363_434 Depth=1
	s_andn2_saveexec_b64 s[12:13], s[0:1]
; %bb.1164:                             ;   in Loop: Header=BB363_434 Depth=1
	v_or_b32_e32 v2, 0x10000, v5
	v_cmp_eq_u32_sdwa s[0:1], v5, v37 src0_sel:WORD_0 src1_sel:DWORD
	s_nop 1
	v_cndmask_b32_e64 v2, v2, v5, s[0:1]
; %bb.1165:                             ;   in Loop: Header=BB363_434 Depth=1
	s_or_b64 exec, exec, s[12:13]
	v_lshlrev_b32_e32 v3, 16, v3
	v_mul_f32_e32 v5, v11, v3
	v_and_b32_e32 v3, 0x7f800000, v5
	v_cmp_ne_u32_e64 s[0:1], s15, v3
                                        ; implicit-def: $vgpr3
	s_and_saveexec_b64 s[12:13], s[0:1]
	s_xor_b64 s[0:1], exec, s[12:13]
; %bb.1166:                             ;   in Loop: Header=BB363_434 Depth=1
	v_bfe_u32 v3, v5, 16, 1
	v_add3_u32 v3, v5, v3, s20
                                        ; implicit-def: $vgpr5
; %bb.1167:                             ;   in Loop: Header=BB363_434 Depth=1
	s_andn2_saveexec_b64 s[12:13], s[0:1]
; %bb.1168:                             ;   in Loop: Header=BB363_434 Depth=1
	v_or_b32_e32 v3, 0x10000, v5
	v_cmp_eq_u32_sdwa s[0:1], v5, v37 src0_sel:WORD_0 src1_sel:DWORD
	s_nop 1
	v_cndmask_b32_e64 v3, v3, v5, s[0:1]
; %bb.1169:                             ;   in Loop: Header=BB363_434 Depth=1
	s_or_b64 exec, exec, s[12:13]
	v_lshlrev_b32_e32 v5, 16, v19
	v_mul_f32_e32 v12, v30, v5
	v_and_b32_e32 v5, 0x7f800000, v12
	v_cmp_ne_u32_e64 s[0:1], s15, v5
                                        ; implicit-def: $vgpr5
	s_and_saveexec_b64 s[12:13], s[0:1]
	s_xor_b64 s[0:1], exec, s[12:13]
; %bb.1170:                             ;   in Loop: Header=BB363_434 Depth=1
	v_bfe_u32 v5, v12, 16, 1
	v_add3_u32 v5, v12, v5, s20
                                        ; implicit-def: $vgpr12
; %bb.1171:                             ;   in Loop: Header=BB363_434 Depth=1
	s_andn2_saveexec_b64 s[12:13], s[0:1]
; %bb.1172:                             ;   in Loop: Header=BB363_434 Depth=1
	v_or_b32_e32 v5, 0x10000, v12
	v_cmp_eq_u32_sdwa s[0:1], v12, v37 src0_sel:WORD_0 src1_sel:DWORD
	s_nop 1
	v_cndmask_b32_e64 v5, v5, v12, s[0:1]
; %bb.1173:                             ;   in Loop: Header=BB363_434 Depth=1
	s_or_b64 exec, exec, s[12:13]
	v_lshlrev_b32_e32 v12, 16, v18
	v_mul_f32_e32 v12, v31, v12
	v_and_b32_e32 v18, 0x7f800000, v12
	v_cmp_ne_u32_e64 s[0:1], s15, v18
                                        ; implicit-def: $vgpr20
	s_and_saveexec_b64 s[12:13], s[0:1]
	s_xor_b64 s[0:1], exec, s[12:13]
; %bb.1174:                             ;   in Loop: Header=BB363_434 Depth=1
	v_bfe_u32 v18, v12, 16, 1
	v_add3_u32 v20, v12, v18, s20
                                        ; implicit-def: $vgpr12
; %bb.1175:                             ;   in Loop: Header=BB363_434 Depth=1
	s_andn2_saveexec_b64 s[12:13], s[0:1]
; %bb.1176:                             ;   in Loop: Header=BB363_434 Depth=1
	v_or_b32_e32 v18, 0x10000, v12
	v_cmp_eq_u32_sdwa s[0:1], v12, v37 src0_sel:WORD_0 src1_sel:DWORD
	s_nop 1
	v_cndmask_b32_e64 v20, v18, v12, s[0:1]
; %bb.1177:                             ;   in Loop: Header=BB363_434 Depth=1
	s_or_b64 exec, exec, s[12:13]
	v_lshlrev_b32_e32 v8, 16, v8
	v_mul_f32_e32 v8, v26, v8
	v_and_b32_e32 v12, 0x7f800000, v8
	v_cmp_ne_u32_e64 s[0:1], s15, v12
                                        ; implicit-def: $vgpr12
	s_and_saveexec_b64 s[12:13], s[0:1]
	s_xor_b64 s[0:1], exec, s[12:13]
; %bb.1178:                             ;   in Loop: Header=BB363_434 Depth=1
	v_bfe_u32 v12, v8, 16, 1
	v_add3_u32 v12, v8, v12, s20
                                        ; implicit-def: $vgpr8
; %bb.1179:                             ;   in Loop: Header=BB363_434 Depth=1
	s_andn2_saveexec_b64 s[12:13], s[0:1]
; %bb.1180:                             ;   in Loop: Header=BB363_434 Depth=1
	v_or_b32_e32 v12, 0x10000, v8
	v_cmp_eq_u32_sdwa s[0:1], v8, v37 src0_sel:WORD_0 src1_sel:DWORD
	s_nop 1
	v_cndmask_b32_e64 v12, v12, v8, s[0:1]
; %bb.1181:                             ;   in Loop: Header=BB363_434 Depth=1
	s_or_b64 exec, exec, s[12:13]
	v_lshlrev_b32_e32 v8, 16, v13
	v_mul_f32_e32 v8, v27, v8
	v_and_b32_e32 v13, 0x7f800000, v8
	v_cmp_ne_u32_e64 s[0:1], s15, v13
                                        ; implicit-def: $vgpr13
	s_and_saveexec_b64 s[12:13], s[0:1]
	s_xor_b64 s[0:1], exec, s[12:13]
; %bb.1182:                             ;   in Loop: Header=BB363_434 Depth=1
	v_bfe_u32 v13, v8, 16, 1
	v_add3_u32 v13, v8, v13, s20
                                        ; implicit-def: $vgpr8
; %bb.1183:                             ;   in Loop: Header=BB363_434 Depth=1
	s_andn2_saveexec_b64 s[12:13], s[0:1]
; %bb.1184:                             ;   in Loop: Header=BB363_434 Depth=1
	v_or_b32_e32 v13, 0x10000, v8
	v_cmp_eq_u32_sdwa s[0:1], v8, v37 src0_sel:WORD_0 src1_sel:DWORD
	s_nop 1
	v_cndmask_b32_e64 v13, v13, v8, s[0:1]
; %bb.1185:                             ;   in Loop: Header=BB363_434 Depth=1
	s_or_b64 exec, exec, s[12:13]
	v_lshlrev_b32_e32 v8, 16, v17
	v_mul_f32_e32 v8, v38, v8
	v_and_b32_e32 v17, 0x7f800000, v8
	v_cmp_ne_u32_e64 s[0:1], s15, v17
                                        ; implicit-def: $vgpr28
	s_and_saveexec_b64 s[12:13], s[0:1]
	s_xor_b64 s[0:1], exec, s[12:13]
; %bb.1186:                             ;   in Loop: Header=BB363_434 Depth=1
	v_bfe_u32 v17, v8, 16, 1
	v_add3_u32 v28, v8, v17, s20
                                        ; implicit-def: $vgpr8
; %bb.1187:                             ;   in Loop: Header=BB363_434 Depth=1
	s_andn2_saveexec_b64 s[12:13], s[0:1]
; %bb.1188:                             ;   in Loop: Header=BB363_434 Depth=1
	v_or_b32_e32 v17, 0x10000, v8
	v_cmp_eq_u32_sdwa s[0:1], v8, v37 src0_sel:WORD_0 src1_sel:DWORD
	s_nop 1
	v_cndmask_b32_e64 v28, v17, v8, s[0:1]
; %bb.1189:                             ;   in Loop: Header=BB363_434 Depth=1
	s_or_b64 exec, exec, s[12:13]
	v_lshlrev_b32_e32 v8, 16, v16
	v_mul_f32_e32 v8, v39, v8
	v_and_b32_e32 v16, 0x7f800000, v8
	v_cmp_ne_u32_e64 s[0:1], s15, v16
                                        ; implicit-def: $vgpr16
	s_and_saveexec_b64 s[12:13], s[0:1]
	s_xor_b64 s[0:1], exec, s[12:13]
; %bb.1190:                             ;   in Loop: Header=BB363_434 Depth=1
	v_bfe_u32 v16, v8, 16, 1
	v_add3_u32 v16, v8, v16, s20
                                        ; implicit-def: $vgpr8
; %bb.1191:                             ;   in Loop: Header=BB363_434 Depth=1
	s_andn2_saveexec_b64 s[12:13], s[0:1]
; %bb.1192:                             ;   in Loop: Header=BB363_434 Depth=1
	v_or_b32_e32 v16, 0x10000, v8
	v_cmp_eq_u32_sdwa s[0:1], v8, v37 src0_sel:WORD_0 src1_sel:DWORD
	s_nop 1
	v_cndmask_b32_e64 v16, v16, v8, s[0:1]
; %bb.1193:                             ;   in Loop: Header=BB363_434 Depth=1
	s_or_b64 exec, exec, s[12:13]
	scratch_load_dwordx2 v[18:19], off, s32 offset:352 ; 8-byte Folded Reload
	s_waitcnt vmcnt(0)
	v_lshl_add_u64 v[0:1], v[0:1], 0, v[18:19]
	flat_load_dwordx2 v[0:1], v[0:1]
	s_waitcnt vmcnt(0) lgkmcnt(0)
	v_and_b32_e32 v8, 0xff, v0
	v_cvt_f32_fp8_sdwa v8, v8 src0_sel:BYTE_0
	s_nop 0
	v_mul_f32_e32 v8, v60, v8
	v_and_b32_e32 v17, 0x7f800000, v8
	v_cmp_ne_u32_e64 s[0:1], s15, v17
                                        ; implicit-def: $vgpr17
	s_and_saveexec_b64 s[12:13], s[0:1]
	s_xor_b64 s[0:1], exec, s[12:13]
; %bb.1194:                             ;   in Loop: Header=BB363_434 Depth=1
	v_bfe_u32 v17, v8, 16, 1
	v_add3_u32 v17, v8, v17, s20
                                        ; implicit-def: $vgpr8
; %bb.1195:                             ;   in Loop: Header=BB363_434 Depth=1
	s_andn2_saveexec_b64 s[12:13], s[0:1]
; %bb.1196:                             ;   in Loop: Header=BB363_434 Depth=1
	v_or_b32_e32 v17, 0x10000, v8
	v_cmp_eq_u32_sdwa s[0:1], v8, v37 src0_sel:WORD_0 src1_sel:DWORD
	s_nop 1
	v_cndmask_b32_e64 v17, v17, v8, s[0:1]
; %bb.1197:                             ;   in Loop: Header=BB363_434 Depth=1
	s_or_b64 exec, exec, s[12:13]
	v_bfe_u32 v8, v0, 8, 8
	v_cvt_f32_fp8_sdwa v8, v8 src0_sel:BYTE_0
	s_nop 0
	v_mul_f32_e32 v8, v60, v8
	v_and_b32_e32 v18, 0x7f800000, v8
	v_cmp_ne_u32_e64 s[0:1], s15, v18
                                        ; implicit-def: $vgpr18
	s_and_saveexec_b64 s[12:13], s[0:1]
	s_xor_b64 s[0:1], exec, s[12:13]
; %bb.1198:                             ;   in Loop: Header=BB363_434 Depth=1
	v_bfe_u32 v18, v8, 16, 1
	v_add3_u32 v18, v8, v18, s20
                                        ; implicit-def: $vgpr8
; %bb.1199:                             ;   in Loop: Header=BB363_434 Depth=1
	s_andn2_saveexec_b64 s[12:13], s[0:1]
; %bb.1200:                             ;   in Loop: Header=BB363_434 Depth=1
	v_or_b32_e32 v18, 0x10000, v8
	v_cmp_eq_u32_sdwa s[0:1], v8, v37 src0_sel:WORD_0 src1_sel:DWORD
	s_nop 1
	v_cndmask_b32_e64 v18, v18, v8, s[0:1]
; %bb.1201:                             ;   in Loop: Header=BB363_434 Depth=1
	s_or_b64 exec, exec, s[12:13]
	v_bfe_u32 v8, v0, 16, 8
	v_cvt_f32_fp8_sdwa v8, v8 src0_sel:BYTE_0
	s_nop 0
	v_mul_f32_e32 v19, v60, v8
	v_and_b32_e32 v8, 0x7f800000, v19
	v_cmp_ne_u32_e64 s[0:1], s15, v8
                                        ; implicit-def: $vgpr8
	s_and_saveexec_b64 s[12:13], s[0:1]
	s_xor_b64 s[0:1], exec, s[12:13]
; %bb.1202:                             ;   in Loop: Header=BB363_434 Depth=1
	v_bfe_u32 v8, v19, 16, 1
	v_add3_u32 v8, v19, v8, s20
                                        ; implicit-def: $vgpr19
; %bb.1203:                             ;   in Loop: Header=BB363_434 Depth=1
	s_andn2_saveexec_b64 s[12:13], s[0:1]
; %bb.1204:                             ;   in Loop: Header=BB363_434 Depth=1
	v_or_b32_e32 v8, 0x10000, v19
	v_cmp_eq_u32_sdwa s[0:1], v19, v37 src0_sel:WORD_0 src1_sel:DWORD
	s_nop 1
	v_cndmask_b32_e64 v8, v8, v19, s[0:1]
; %bb.1205:                             ;   in Loop: Header=BB363_434 Depth=1
	s_or_b64 exec, exec, s[12:13]
	v_lshrrev_b32_e32 v0, 24, v0
	v_cvt_f32_fp8_sdwa v0, v0 src0_sel:BYTE_0
	s_nop 0
	v_mul_f32_e32 v19, v60, v0
	v_and_b32_e32 v0, 0x7f800000, v19
	v_cmp_ne_u32_e64 s[0:1], s15, v0
                                        ; implicit-def: $vgpr0
	s_and_saveexec_b64 s[12:13], s[0:1]
	s_xor_b64 s[0:1], exec, s[12:13]
; %bb.1206:                             ;   in Loop: Header=BB363_434 Depth=1
	v_bfe_u32 v0, v19, 16, 1
	v_add3_u32 v0, v19, v0, s20
                                        ; implicit-def: $vgpr19
; %bb.1207:                             ;   in Loop: Header=BB363_434 Depth=1
	s_andn2_saveexec_b64 s[12:13], s[0:1]
; %bb.1208:                             ;   in Loop: Header=BB363_434 Depth=1
	v_or_b32_e32 v0, 0x10000, v19
	v_cmp_eq_u32_sdwa s[0:1], v19, v37 src0_sel:WORD_0 src1_sel:DWORD
	s_nop 1
	v_cndmask_b32_e64 v0, v0, v19, s[0:1]
; %bb.1209:                             ;   in Loop: Header=BB363_434 Depth=1
	s_or_b64 exec, exec, s[12:13]
	v_and_b32_e32 v19, 0xff, v1
	v_cvt_f32_fp8_sdwa v19, v19 src0_sel:BYTE_0
	s_nop 0
	v_mul_f32_e32 v19, v60, v19
	v_and_b32_e32 v23, 0x7f800000, v19
	v_cmp_ne_u32_e64 s[0:1], s15, v23
                                        ; implicit-def: $vgpr23
	s_and_saveexec_b64 s[12:13], s[0:1]
	s_xor_b64 s[0:1], exec, s[12:13]
; %bb.1210:                             ;   in Loop: Header=BB363_434 Depth=1
	v_bfe_u32 v23, v19, 16, 1
	v_add3_u32 v23, v19, v23, s20
                                        ; implicit-def: $vgpr19
; %bb.1211:                             ;   in Loop: Header=BB363_434 Depth=1
	s_andn2_saveexec_b64 s[12:13], s[0:1]
; %bb.1212:                             ;   in Loop: Header=BB363_434 Depth=1
	v_or_b32_e32 v23, 0x10000, v19
	v_cmp_eq_u32_sdwa s[0:1], v19, v37 src0_sel:WORD_0 src1_sel:DWORD
	s_nop 1
	v_cndmask_b32_e64 v23, v23, v19, s[0:1]
; %bb.1213:                             ;   in Loop: Header=BB363_434 Depth=1
	s_or_b64 exec, exec, s[12:13]
	v_bfe_u32 v19, v1, 8, 8
	v_cvt_f32_fp8_sdwa v19, v19 src0_sel:BYTE_0
	s_nop 0
	v_mul_f32_e32 v24, v60, v19
	v_and_b32_e32 v19, 0x7f800000, v24
	v_cmp_ne_u32_e64 s[0:1], s15, v19
                                        ; implicit-def: $vgpr19
	s_and_saveexec_b64 s[12:13], s[0:1]
	s_xor_b64 s[0:1], exec, s[12:13]
; %bb.1214:                             ;   in Loop: Header=BB363_434 Depth=1
	v_bfe_u32 v19, v24, 16, 1
	v_add3_u32 v19, v24, v19, s20
                                        ; implicit-def: $vgpr24
; %bb.1215:                             ;   in Loop: Header=BB363_434 Depth=1
	s_andn2_saveexec_b64 s[12:13], s[0:1]
; %bb.1216:                             ;   in Loop: Header=BB363_434 Depth=1
	v_or_b32_e32 v19, 0x10000, v24
	v_cmp_eq_u32_sdwa s[0:1], v24, v37 src0_sel:WORD_0 src1_sel:DWORD
	s_nop 1
	v_cndmask_b32_e64 v19, v19, v24, s[0:1]
; %bb.1217:                             ;   in Loop: Header=BB363_434 Depth=1
	s_or_b64 exec, exec, s[12:13]
	v_bfe_u32 v24, v1, 16, 8
	v_cvt_f32_fp8_sdwa v24, v24 src0_sel:BYTE_0
	s_nop 0
	v_mul_f32_e32 v24, v60, v24
	v_and_b32_e32 v25, 0x7f800000, v24
	v_cmp_ne_u32_e64 s[0:1], s15, v25
                                        ; implicit-def: $vgpr25
	s_and_saveexec_b64 s[12:13], s[0:1]
	s_xor_b64 s[0:1], exec, s[12:13]
; %bb.1218:                             ;   in Loop: Header=BB363_434 Depth=1
	v_bfe_u32 v25, v24, 16, 1
	v_add3_u32 v25, v24, v25, s20
                                        ; implicit-def: $vgpr24
; %bb.1219:                             ;   in Loop: Header=BB363_434 Depth=1
	s_andn2_saveexec_b64 s[12:13], s[0:1]
; %bb.1220:                             ;   in Loop: Header=BB363_434 Depth=1
	v_or_b32_e32 v25, 0x10000, v24
	v_cmp_eq_u32_sdwa s[0:1], v24, v37 src0_sel:WORD_0 src1_sel:DWORD
	s_nop 1
	v_cndmask_b32_e64 v25, v25, v24, s[0:1]
; %bb.1221:                             ;   in Loop: Header=BB363_434 Depth=1
	s_or_b64 exec, exec, s[12:13]
	v_lshrrev_b32_e32 v1, 24, v1
	v_cvt_f32_fp8_sdwa v1, v1 src0_sel:BYTE_0
	s_nop 0
	v_mul_f32_e32 v1, v60, v1
	v_and_b32_e32 v24, 0x7f800000, v1
	v_cmp_ne_u32_e64 s[0:1], s15, v24
                                        ; implicit-def: $vgpr60
	s_and_saveexec_b64 s[12:13], s[0:1]
	s_xor_b64 s[0:1], exec, s[12:13]
; %bb.1222:                             ;   in Loop: Header=BB363_434 Depth=1
	v_bfe_u32 v24, v1, 16, 1
	v_add3_u32 v60, v1, v24, s20
                                        ; implicit-def: $vgpr1
; %bb.1223:                             ;   in Loop: Header=BB363_434 Depth=1
	s_andn2_saveexec_b64 s[12:13], s[0:1]
; %bb.1224:                             ;   in Loop: Header=BB363_434 Depth=1
	v_or_b32_e32 v24, 0x10000, v1
	v_cmp_eq_u32_sdwa s[0:1], v1, v37 src0_sel:WORD_0 src1_sel:DWORD
	s_nop 1
	v_cndmask_b32_e64 v60, v24, v1, s[0:1]
; %bb.1225:                             ;   in Loop: Header=BB363_434 Depth=1
	s_or_b64 exec, exec, s[12:13]
	v_lshrrev_b32_e32 v19, 16, v19
	v_lshrrev_b32_e32 v23, 16, v23
	;; [unrolled: 1-line block ×8, first 2 shown]
	s_and_saveexec_b64 s[0:1], vcc
	s_cbranch_execz .LBB363_1227
; %bb.1226:                             ;   in Loop: Header=BB363_434 Depth=1
	scratch_load_dword v25, off, s32 offset:196 ; 4-byte Folded Reload
	v_accvgpr_read_b32 v17, a53
	s_waitcnt vmcnt(0)
	v_cmp_lt_i32_e32 vcc, v55, v25
	s_nop 1
	v_cndmask_b32_e32 v0, 0, v0, vcc
	v_cmp_lt_i32_e32 vcc, v17, v25
	v_accvgpr_read_b32 v17, a52
	s_nop 0
	v_cndmask_b32_e32 v1, 0, v1, vcc
	v_cmp_lt_i32_e32 vcc, v17, v25
	v_accvgpr_read_b32 v17, a51
	;; [unrolled: 4-line block ×6, first 2 shown]
	s_nop 0
	v_cndmask_b32_e32 v18, 0, v18, vcc
	v_cmp_lt_i32_e32 vcc, v17, v25
	s_nop 1
	v_cndmask_b32_e32 v60, 0, v60, vcc
.LBB363_1227:                           ;   in Loop: Header=BB363_434 Depth=1
	s_or_b64 exec, exec, s[0:1]
	v_lshlrev_b32_e32 v0, 16, v0
	v_mul_f32_e32 v10, v10, v0
	v_and_b32_e32 v0, 0x7f800000, v10
	v_cmp_ne_u32_e32 vcc, s15, v0
                                        ; implicit-def: $vgpr0
	s_and_saveexec_b64 s[0:1], vcc
	s_xor_b64 s[0:1], exec, s[0:1]
; %bb.1228:                             ;   in Loop: Header=BB363_434 Depth=1
	v_bfe_u32 v0, v10, 16, 1
	v_add3_u32 v0, v10, v0, s20
                                        ; implicit-def: $vgpr10
; %bb.1229:                             ;   in Loop: Header=BB363_434 Depth=1
	s_andn2_saveexec_b64 s[0:1], s[0:1]
; %bb.1230:                             ;   in Loop: Header=BB363_434 Depth=1
	v_or_b32_e32 v0, 0x10000, v10
	v_cmp_eq_u32_sdwa vcc, v10, v37 src0_sel:WORD_0 src1_sel:DWORD
	s_nop 1
	v_cndmask_b32_e32 v0, v0, v10, vcc
; %bb.1231:                             ;   in Loop: Header=BB363_434 Depth=1
	s_or_b64 exec, exec, s[0:1]
	v_lshlrev_b32_e32 v1, 16, v1
	v_mul_f32_e32 v10, v11, v1
	v_and_b32_e32 v1, 0x7f800000, v10
	v_cmp_ne_u32_e32 vcc, s15, v1
                                        ; implicit-def: $vgpr1
	s_and_saveexec_b64 s[0:1], vcc
	s_xor_b64 s[0:1], exec, s[0:1]
; %bb.1232:                             ;   in Loop: Header=BB363_434 Depth=1
	v_bfe_u32 v1, v10, 16, 1
	v_add3_u32 v1, v10, v1, s20
                                        ; implicit-def: $vgpr10
; %bb.1233:                             ;   in Loop: Header=BB363_434 Depth=1
	s_andn2_saveexec_b64 s[0:1], s[0:1]
; %bb.1234:                             ;   in Loop: Header=BB363_434 Depth=1
	v_or_b32_e32 v1, 0x10000, v10
	v_cmp_eq_u32_sdwa vcc, v10, v37 src0_sel:WORD_0 src1_sel:DWORD
	s_nop 1
	v_cndmask_b32_e32 v1, v1, v10, vcc
; %bb.1235:                             ;   in Loop: Header=BB363_434 Depth=1
	s_or_b64 exec, exec, s[0:1]
	v_lshlrev_b32_e32 v8, 16, v8
	v_mul_f32_e32 v8, v30, v8
	v_and_b32_e32 v10, 0x7f800000, v8
	v_cmp_ne_u32_e32 vcc, s15, v10
                                        ; implicit-def: $vgpr10
	s_and_saveexec_b64 s[0:1], vcc
	s_xor_b64 s[0:1], exec, s[0:1]
; %bb.1236:                             ;   in Loop: Header=BB363_434 Depth=1
	v_bfe_u32 v10, v8, 16, 1
	v_add3_u32 v10, v8, v10, s20
                                        ; implicit-def: $vgpr8
; %bb.1237:                             ;   in Loop: Header=BB363_434 Depth=1
	s_andn2_saveexec_b64 s[0:1], s[0:1]
; %bb.1238:                             ;   in Loop: Header=BB363_434 Depth=1
	v_or_b32_e32 v10, 0x10000, v8
	v_cmp_eq_u32_sdwa vcc, v8, v37 src0_sel:WORD_0 src1_sel:DWORD
	s_nop 1
	v_cndmask_b32_e32 v10, v10, v8, vcc
; %bb.1239:                             ;   in Loop: Header=BB363_434 Depth=1
	s_or_b64 exec, exec, s[0:1]
	v_lshlrev_b32_e32 v8, 16, v24
	v_mul_f32_e32 v8, v31, v8
	v_and_b32_e32 v11, 0x7f800000, v8
	v_cmp_ne_u32_e32 vcc, s15, v11
                                        ; implicit-def: $vgpr11
	s_and_saveexec_b64 s[0:1], vcc
	s_xor_b64 s[0:1], exec, s[0:1]
; %bb.1240:                             ;   in Loop: Header=BB363_434 Depth=1
	v_bfe_u32 v11, v8, 16, 1
	v_add3_u32 v11, v8, v11, s20
                                        ; implicit-def: $vgpr8
; %bb.1241:                             ;   in Loop: Header=BB363_434 Depth=1
	s_andn2_saveexec_b64 s[0:1], s[0:1]
; %bb.1242:                             ;   in Loop: Header=BB363_434 Depth=1
	v_or_b32_e32 v11, 0x10000, v8
	v_cmp_eq_u32_sdwa vcc, v8, v37 src0_sel:WORD_0 src1_sel:DWORD
	s_nop 1
	v_cndmask_b32_e32 v11, v11, v8, vcc
; %bb.1243:                             ;   in Loop: Header=BB363_434 Depth=1
	s_or_b64 exec, exec, s[0:1]
	v_lshlrev_b32_e32 v8, 16, v23
	v_mul_f32_e32 v8, v26, v8
	v_and_b32_e32 v17, 0x7f800000, v8
	v_cmp_ne_u32_e32 vcc, s15, v17
                                        ; implicit-def: $vgpr17
	s_and_saveexec_b64 s[0:1], vcc
	s_xor_b64 s[0:1], exec, s[0:1]
; %bb.1244:                             ;   in Loop: Header=BB363_434 Depth=1
	v_bfe_u32 v17, v8, 16, 1
	v_add3_u32 v17, v8, v17, s20
                                        ; implicit-def: $vgpr8
; %bb.1245:                             ;   in Loop: Header=BB363_434 Depth=1
	s_andn2_saveexec_b64 s[0:1], s[0:1]
; %bb.1246:                             ;   in Loop: Header=BB363_434 Depth=1
	v_or_b32_e32 v17, 0x10000, v8
	v_cmp_eq_u32_sdwa vcc, v8, v37 src0_sel:WORD_0 src1_sel:DWORD
	s_nop 1
	v_cndmask_b32_e32 v17, v17, v8, vcc
; %bb.1247:                             ;   in Loop: Header=BB363_434 Depth=1
	s_or_b64 exec, exec, s[0:1]
	v_lshlrev_b32_e32 v8, 16, v19
	v_mul_f32_e32 v8, v27, v8
	v_and_b32_e32 v19, 0x7f800000, v8
	v_cmp_ne_u32_e32 vcc, s15, v19
                                        ; implicit-def: $vgpr26
	s_and_saveexec_b64 s[0:1], vcc
	s_xor_b64 s[0:1], exec, s[0:1]
; %bb.1248:                             ;   in Loop: Header=BB363_434 Depth=1
	v_bfe_u32 v19, v8, 16, 1
	v_add3_u32 v26, v8, v19, s20
                                        ; implicit-def: $vgpr8
; %bb.1249:                             ;   in Loop: Header=BB363_434 Depth=1
	s_andn2_saveexec_b64 s[0:1], s[0:1]
; %bb.1250:                             ;   in Loop: Header=BB363_434 Depth=1
	v_or_b32_e32 v19, 0x10000, v8
	v_cmp_eq_u32_sdwa vcc, v8, v37 src0_sel:WORD_0 src1_sel:DWORD
	s_nop 1
	v_cndmask_b32_e32 v26, v19, v8, vcc
; %bb.1251:                             ;   in Loop: Header=BB363_434 Depth=1
	s_or_b64 exec, exec, s[0:1]
	v_lshlrev_b32_e32 v8, 16, v18
	v_mul_f32_e32 v8, v38, v8
	v_and_b32_e32 v18, 0x7f800000, v8
	v_cmp_ne_u32_e32 vcc, s15, v18
                                        ; implicit-def: $vgpr27
	s_and_saveexec_b64 s[0:1], vcc
	s_xor_b64 s[0:1], exec, s[0:1]
; %bb.1252:                             ;   in Loop: Header=BB363_434 Depth=1
	v_bfe_u32 v18, v8, 16, 1
	v_add3_u32 v27, v8, v18, s20
                                        ; implicit-def: $vgpr8
; %bb.1253:                             ;   in Loop: Header=BB363_434 Depth=1
	s_andn2_saveexec_b64 s[0:1], s[0:1]
; %bb.1254:                             ;   in Loop: Header=BB363_434 Depth=1
	v_or_b32_e32 v18, 0x10000, v8
	v_cmp_eq_u32_sdwa vcc, v8, v37 src0_sel:WORD_0 src1_sel:DWORD
	s_nop 1
	v_cndmask_b32_e32 v27, v18, v8, vcc
; %bb.1255:                             ;   in Loop: Header=BB363_434 Depth=1
	s_or_b64 exec, exec, s[0:1]
	v_lshlrev_b32_e32 v8, 16, v60
	v_mul_f32_e32 v8, v39, v8
	v_and_b32_e32 v18, 0x7f800000, v8
	v_cmp_ne_u32_e32 vcc, s15, v18
                                        ; implicit-def: $vgpr18
	s_and_saveexec_b64 s[0:1], vcc
	s_xor_b64 s[0:1], exec, s[0:1]
; %bb.1256:                             ;   in Loop: Header=BB363_434 Depth=1
	v_bfe_u32 v18, v8, 16, 1
	v_add3_u32 v18, v8, v18, s20
                                        ; implicit-def: $vgpr8
; %bb.1257:                             ;   in Loop: Header=BB363_434 Depth=1
	s_andn2_saveexec_b64 s[0:1], s[0:1]
	s_cbranch_execz .LBB363_432
; %bb.1258:                             ;   in Loop: Header=BB363_434 Depth=1
	v_or_b32_e32 v18, 0x10000, v8
	v_cmp_eq_u32_sdwa vcc, v8, v37 src0_sel:WORD_0 src1_sel:DWORD
	s_nop 1
	v_cndmask_b32_e32 v18, v18, v8, vcc
	s_branch .LBB363_432
.LBB363_1259:
	s_or_b64 exec, exec, s[6:7]
	scratch_load_dword v22, off, s32 offset:368 ; 4-byte Folded Reload
	scratch_load_dword v21, off, s32 offset:364 ; 4-byte Folded Reload
	;; [unrolled: 1-line block ×4, first 2 shown]
	scratch_load_dwordx2 v[26:27], off, s32 offset:268 ; 8-byte Folded Reload
	scratch_load_dwordx2 v[16:17], off, s32 offset:244 ; 8-byte Folded Reload
	;; [unrolled: 1-line block ×4, first 2 shown]
.LBB363_1260:
	s_or_b64 exec, exec, s[4:5]
	s_waitcnt vmcnt(0)
	ds_bpermute_b32 v0, v21, v34
	ds_bpermute_b32 v1, v21, v35
	;; [unrolled: 1-line block ×6, first 2 shown]
	s_waitcnt lgkmcnt(0)
	v_pk_add_f32 v[0:1], v[34:35], v[0:1]
	ds_bpermute_b32 v4, v24, v0
	ds_bpermute_b32 v5, v24, v1
	v_pk_add_f32 v[2:3], v[32:33], v[2:3]
	ds_bpermute_b32 v8, v24, v2
	ds_bpermute_b32 v9, v24, v3
	s_waitcnt lgkmcnt(0)
	v_pk_add_f32 v[14:15], v[0:1], v[4:5]
	ds_bpermute_b32 v4, v21, v12
	ds_bpermute_b32 v5, v21, v13
	v_pk_add_f32 v[0:1], v[10:11], v[6:7]
	ds_bpermute_b32 v6, v24, v0
	ds_bpermute_b32 v10, v21, v16
	;; [unrolled: 1-line block ×3, first 2 shown]
	s_waitcnt lgkmcnt(3)
	v_pk_add_f32 v[4:5], v[12:13], v[4:5]
	ds_bpermute_b32 v7, v24, v1
	ds_bpermute_b32 v12, v24, v4
	;; [unrolled: 1-line block ×3, first 2 shown]
	s_waitcnt lgkmcnt(3)
	v_pk_add_f32 v[16:17], v[16:17], v[10:11]
	v_pk_add_f32 v[10:11], v[2:3], v[8:9]
	s_waitcnt lgkmcnt(2)
	v_pk_add_f32 v[8:9], v[0:1], v[6:7]
	s_barrier
	s_waitcnt lgkmcnt(0)
	v_pk_add_f32 v[6:7], v[4:5], v[12:13]
	scratch_load_dword v4, off, s32 offset:456 ; 4-byte Folded Reload
	ds_bpermute_b32 v20, v21, v26
	ds_bpermute_b32 v21, v21, v27
	;; [unrolled: 1-line block ×4, first 2 shown]
	s_waitcnt lgkmcnt(2)
	v_pk_add_f32 v[2:3], v[26:27], v[20:21]
	ds_bpermute_b32 v12, v24, v2
	ds_bpermute_b32 v13, v24, v3
	s_waitcnt lgkmcnt(2)
	v_pk_add_f32 v[0:1], v[16:17], v[18:19]
	s_waitcnt vmcnt(0)
	v_and_b32_e32 v4, 0x3c3, v4
	v_cmp_ne_u32_e32 vcc, 64, v4
	s_and_saveexec_b64 s[0:1], vcc
	s_xor_b64 s[0:1], exec, s[0:1]
; %bb.1261:
                                        ; implicit-def: $vgpr22
; %bb.1262:
	s_or_saveexec_b64 s[0:1], s[0:1]
	s_waitcnt lgkmcnt(0)
	v_pk_add_f32 v[2:3], v[2:3], v[12:13]
	s_xor_b64 exec, exec, s[0:1]
	s_cbranch_execz .LBB363_1264
; %bb.1263:
	s_load_dword s4, s[2:3], 0x0
	s_waitcnt lgkmcnt(0)
	v_add_u32_e32 v4, s4, v22
	ds_write2_b32 v4, v14, v15 offset1:16
	ds_write2_b32 v4, v10, v11 offset0:32 offset1:48
	ds_write2_b32 v4, v8, v9 offset0:64 offset1:80
	;; [unrolled: 1-line block ×5, first 2 shown]
.LBB363_1264:
	s_or_b64 exec, exec, s[0:1]
	s_waitcnt lgkmcnt(0)
	s_barrier
	scratch_load_dword v4, off, s32 offset:456 ; 4-byte Folded Reload
	s_waitcnt vmcnt(0)
	v_cmp_gt_u32_e32 vcc, 64, v4
	v_cmp_lt_u32_e64 s[0:1], 63, v4
	s_and_saveexec_b64 s[4:5], s[0:1]
	s_xor_b64 s[0:1], exec, s[4:5]
	s_andn2_saveexec_b64 s[4:5], s[0:1]
	s_cbranch_execz .LBB363_1279
; %bb.1265:
	scratch_load_dword v4, off, s32 offset:456 ; 4-byte Folded Reload
	v_cmp_eq_u32_e64 s[0:1], 0, v23
	s_waitcnt vmcnt(0)
	v_lshrrev_b32_e32 v4, 2, v4
	s_and_saveexec_b64 s[6:7], s[0:1]
	s_cbranch_execnz .LBB363_1331
; %bb.1266:
	s_or_b64 exec, exec, s[6:7]
	s_and_saveexec_b64 s[6:7], s[0:1]
	s_cbranch_execnz .LBB363_1332
.LBB363_1267:
	s_or_b64 exec, exec, s[6:7]
	s_and_saveexec_b64 s[6:7], s[0:1]
	s_cbranch_execnz .LBB363_1333
.LBB363_1268:
	s_or_b64 exec, exec, s[6:7]
	s_and_saveexec_b64 s[6:7], s[0:1]
	s_cbranch_execnz .LBB363_1334
.LBB363_1269:
	s_or_b64 exec, exec, s[6:7]
	s_and_saveexec_b64 s[6:7], s[0:1]
	s_cbranch_execnz .LBB363_1335
.LBB363_1270:
	s_or_b64 exec, exec, s[6:7]
	s_and_saveexec_b64 s[6:7], s[0:1]
	s_cbranch_execnz .LBB363_1336
.LBB363_1271:
	s_or_b64 exec, exec, s[6:7]
	s_and_saveexec_b64 s[6:7], s[0:1]
	s_cbranch_execnz .LBB363_1337
.LBB363_1272:
	s_or_b64 exec, exec, s[6:7]
	s_and_saveexec_b64 s[6:7], s[0:1]
	s_cbranch_execnz .LBB363_1338
.LBB363_1273:
	s_or_b64 exec, exec, s[6:7]
	s_and_saveexec_b64 s[6:7], s[0:1]
	s_cbranch_execnz .LBB363_1339
.LBB363_1274:
	s_or_b64 exec, exec, s[6:7]
	s_and_saveexec_b64 s[6:7], s[0:1]
	s_cbranch_execnz .LBB363_1340
.LBB363_1275:
	s_or_b64 exec, exec, s[6:7]
	s_and_saveexec_b64 s[6:7], s[0:1]
	s_cbranch_execnz .LBB363_1341
.LBB363_1276:
	s_or_b64 exec, exec, s[6:7]
	s_and_saveexec_b64 s[6:7], s[0:1]
	s_cbranch_execz .LBB363_1278
.LBB363_1277:
	s_load_dword s0, s[2:3], 0x0
	s_waitcnt lgkmcnt(0)
	v_lshl_add_u32 v4, v4, 2, s0
	ds_read_b32 v4, v4 offset:704
	s_waitcnt lgkmcnt(0)
	v_add_f32_e32 v3, v4, v3
.LBB363_1278:
	s_or_b64 exec, exec, s[6:7]
.LBB363_1279:
	s_or_b64 exec, exec, s[4:5]
	s_barrier
	s_and_b64 exec, exec, vcc
	s_cbranch_execz .LBB363_1330
; %bb.1280:
	v_cmp_eq_u32_e32 vcc, 0, v23
	s_and_b64 exec, exec, vcc
	s_cbranch_execz .LBB363_1330
; %bb.1281:
	s_mov_b32 s0, 0x7f800000
	v_and_b32_e32 v4, 0x7f800000, v14
	v_cmp_ne_u32_e32 vcc, s0, v4
                                        ; implicit-def: $vgpr12
	s_and_saveexec_b64 s[0:1], vcc
	s_xor_b64 s[0:1], exec, s[0:1]
; %bb.1282:
	v_bfe_u32 v4, v14, 16, 1
	s_movk_i32 s2, 0x7fff
	v_add3_u32 v12, v14, v4, s2
; %bb.1283:
	s_andn2_saveexec_b64 s[0:1], s[0:1]
; %bb.1284:
	v_mov_b32_e32 v4, 0
	v_or_b32_e32 v5, 0x10000, v14
	v_cmp_eq_u32_sdwa vcc, v14, v4 src0_sel:WORD_0 src1_sel:DWORD
	s_nop 1
	v_cndmask_b32_e32 v12, v5, v14, vcc
; %bb.1285:
	s_or_b64 exec, exec, s[0:1]
	scratch_load_dwordx2 v[4:5], off, s32 offset:508 ; 8-byte Folded Reload
	scratch_load_dword v13, off, s32 offset:456 ; 4-byte Folded Reload
	s_mul_i32 s0, s19, s16
	s_mul_i32 s0, s0, s17
	s_mulk_i32 s0, 0xc0
	s_mul_i32 s2, s18, s19
	s_mul_i32 s4, s14, 0xc0
	s_ashr_i32 s1, s0, 31
	s_ashr_i32 s3, s2, 31
	;; [unrolled: 1-line block ×3, first 2 shown]
	s_lshl_b64 s[0:1], s[0:1], 1
	s_lshl_b64 s[2:3], s[2:3], 1
	;; [unrolled: 1-line block ×3, first 2 shown]
	s_add_u32 s2, s4, s2
	s_addc_u32 s3, s5, s3
	s_add_u32 s0, s2, s0
	s_addc_u32 s1, s3, s1
	v_mov_b32_e32 v17, 0
	s_waitcnt vmcnt(1)
	v_lshl_add_u64 v[4:5], s[0:1], 0, v[4:5]
	s_waitcnt vmcnt(0)
	v_lshrrev_b32_e32 v13, 1, v13
	v_and_b32_e32 v16, 0x1fe, v13
	v_lshl_add_u64 v[4:5], v[4:5], 0, v[16:17]
	flat_store_short_d16_hi v[4:5], v12
	s_mov_b32 s0, 0x7f800000
	v_and_b32_e32 v12, 0x7f800000, v15
	v_cmp_ne_u32_e32 vcc, s0, v12
                                        ; implicit-def: $vgpr12
	s_and_saveexec_b64 s[0:1], vcc
	s_xor_b64 s[0:1], exec, s[0:1]
; %bb.1286:
	v_bfe_u32 v12, v15, 16, 1
	s_movk_i32 s2, 0x7fff
	v_add3_u32 v12, v15, v12, s2
                                        ; implicit-def: $vgpr14_vgpr15
; %bb.1287:
	s_andn2_saveexec_b64 s[0:1], s[0:1]
; %bb.1288:
	v_mov_b32_e32 v12, 0
	v_or_b32_e32 v13, 0x10000, v15
	v_cmp_eq_u32_sdwa vcc, v15, v12 src0_sel:WORD_0 src1_sel:DWORD
	s_nop 1
	v_cndmask_b32_e32 v12, v13, v15, vcc
; %bb.1289:
	s_or_b64 exec, exec, s[0:1]
	flat_store_short_d16_hi v[4:5], v12 offset:32
	s_mov_b32 s0, 0x7f800000
	v_and_b32_e32 v12, 0x7f800000, v10
	v_cmp_ne_u32_e32 vcc, s0, v12
                                        ; implicit-def: $vgpr12
	s_and_saveexec_b64 s[0:1], vcc
	s_xor_b64 s[0:1], exec, s[0:1]
; %bb.1290:
	v_bfe_u32 v12, v10, 16, 1
	s_movk_i32 s2, 0x7fff
	v_add3_u32 v12, v10, v12, s2
; %bb.1291:
	s_andn2_saveexec_b64 s[0:1], s[0:1]
; %bb.1292:
	v_mov_b32_e32 v12, 0
	v_or_b32_e32 v13, 0x10000, v10
	v_cmp_eq_u32_sdwa vcc, v10, v12 src0_sel:WORD_0 src1_sel:DWORD
	s_nop 1
	v_cndmask_b32_e32 v12, v13, v10, vcc
; %bb.1293:
	s_or_b64 exec, exec, s[0:1]
	s_mov_b32 s0, 0x7f800000
	v_and_b32_e32 v10, 0x7f800000, v11
	v_cmp_ne_u32_e32 vcc, s0, v10
	flat_store_short_d16_hi v[4:5], v12 offset:64
                                        ; implicit-def: $vgpr12
	s_and_saveexec_b64 s[0:1], vcc
	s_xor_b64 s[0:1], exec, s[0:1]
; %bb.1294:
	v_bfe_u32 v10, v11, 16, 1
	s_movk_i32 s2, 0x7fff
	v_add3_u32 v12, v11, v10, s2
                                        ; implicit-def: $vgpr10_vgpr11
; %bb.1295:
	s_andn2_saveexec_b64 s[0:1], s[0:1]
; %bb.1296:
	v_mov_b32_e32 v10, 0
	v_or_b32_e32 v12, 0x10000, v11
	v_cmp_eq_u32_sdwa vcc, v11, v10 src0_sel:WORD_0 src1_sel:DWORD
	s_nop 1
	v_cndmask_b32_e32 v12, v12, v11, vcc
; %bb.1297:
	s_or_b64 exec, exec, s[0:1]
	s_mov_b32 s0, 0x7f800000
	v_and_b32_e32 v10, 0x7f800000, v8
	v_cmp_ne_u32_e32 vcc, s0, v10
	flat_store_short_d16_hi v[4:5], v12 offset:96
                                        ; implicit-def: $vgpr10
	s_and_saveexec_b64 s[0:1], vcc
	s_xor_b64 s[0:1], exec, s[0:1]
; %bb.1298:
	v_bfe_u32 v10, v8, 16, 1
	s_movk_i32 s2, 0x7fff
	v_add3_u32 v10, v8, v10, s2
; %bb.1299:
	s_andn2_saveexec_b64 s[0:1], s[0:1]
; %bb.1300:
	v_mov_b32_e32 v10, 0
	v_or_b32_e32 v11, 0x10000, v8
	v_cmp_eq_u32_sdwa vcc, v8, v10 src0_sel:WORD_0 src1_sel:DWORD
	s_nop 1
	v_cndmask_b32_e32 v10, v11, v8, vcc
; %bb.1301:
	s_or_b64 exec, exec, s[0:1]
	s_mov_b32 s0, 0x7f800000
	v_and_b32_e32 v8, 0x7f800000, v9
	v_cmp_ne_u32_e32 vcc, s0, v8
	flat_store_short_d16_hi v[4:5], v10 offset:128
                                        ; implicit-def: $vgpr10
	s_and_saveexec_b64 s[0:1], vcc
	s_xor_b64 s[0:1], exec, s[0:1]
; %bb.1302:
	v_bfe_u32 v8, v9, 16, 1
	s_movk_i32 s2, 0x7fff
	v_add3_u32 v10, v9, v8, s2
                                        ; implicit-def: $vgpr8_vgpr9
; %bb.1303:
	s_andn2_saveexec_b64 s[0:1], s[0:1]
; %bb.1304:
	v_mov_b32_e32 v8, 0
	v_or_b32_e32 v10, 0x10000, v9
	v_cmp_eq_u32_sdwa vcc, v9, v8 src0_sel:WORD_0 src1_sel:DWORD
	s_nop 1
	v_cndmask_b32_e32 v10, v10, v9, vcc
; %bb.1305:
	s_or_b64 exec, exec, s[0:1]
	s_mov_b32 s0, 0x7f800000
	v_and_b32_e32 v8, 0x7f800000, v6
	v_cmp_ne_u32_e32 vcc, s0, v8
	flat_store_short_d16_hi v[4:5], v10 offset:160
                                        ; implicit-def: $vgpr8
	s_and_saveexec_b64 s[0:1], vcc
	s_xor_b64 s[0:1], exec, s[0:1]
; %bb.1306:
	v_bfe_u32 v8, v6, 16, 1
	s_movk_i32 s2, 0x7fff
	v_add3_u32 v8, v6, v8, s2
; %bb.1307:
	s_andn2_saveexec_b64 s[0:1], s[0:1]
; %bb.1308:
	v_mov_b32_e32 v8, 0
	v_or_b32_e32 v9, 0x10000, v6
	v_cmp_eq_u32_sdwa vcc, v6, v8 src0_sel:WORD_0 src1_sel:DWORD
	s_nop 1
	v_cndmask_b32_e32 v8, v9, v6, vcc
; %bb.1309:
	s_or_b64 exec, exec, s[0:1]
	s_mov_b32 s0, 0x7f800000
	v_and_b32_e32 v6, 0x7f800000, v7
	v_cmp_ne_u32_e32 vcc, s0, v6
	flat_store_short_d16_hi v[4:5], v8 offset:192
                                        ; implicit-def: $vgpr8
	s_and_saveexec_b64 s[0:1], vcc
	s_xor_b64 s[0:1], exec, s[0:1]
; %bb.1310:
	v_bfe_u32 v6, v7, 16, 1
	s_movk_i32 s2, 0x7fff
	v_add3_u32 v8, v7, v6, s2
                                        ; implicit-def: $vgpr6_vgpr7
; %bb.1311:
	s_andn2_saveexec_b64 s[0:1], s[0:1]
; %bb.1312:
	v_mov_b32_e32 v6, 0
	v_or_b32_e32 v8, 0x10000, v7
	v_cmp_eq_u32_sdwa vcc, v7, v6 src0_sel:WORD_0 src1_sel:DWORD
	s_nop 1
	v_cndmask_b32_e32 v8, v8, v7, vcc
; %bb.1313:
	s_or_b64 exec, exec, s[0:1]
	s_mov_b32 s0, 0x7f800000
	v_and_b32_e32 v6, 0x7f800000, v0
	v_cmp_ne_u32_e32 vcc, s0, v6
	flat_store_short_d16_hi v[4:5], v8 offset:224
                                        ; implicit-def: $vgpr6
	s_and_saveexec_b64 s[0:1], vcc
	s_xor_b64 s[0:1], exec, s[0:1]
; %bb.1314:
	v_bfe_u32 v6, v0, 16, 1
	s_movk_i32 s2, 0x7fff
	v_add3_u32 v6, v0, v6, s2
; %bb.1315:
	s_andn2_saveexec_b64 s[0:1], s[0:1]
; %bb.1316:
	v_mov_b32_e32 v6, 0
	v_or_b32_e32 v7, 0x10000, v0
	v_cmp_eq_u32_sdwa vcc, v0, v6 src0_sel:WORD_0 src1_sel:DWORD
	s_nop 1
	v_cndmask_b32_e32 v6, v7, v0, vcc
; %bb.1317:
	s_or_b64 exec, exec, s[0:1]
	s_mov_b32 s0, 0x7f800000
	v_and_b32_e32 v0, 0x7f800000, v1
	v_cmp_ne_u32_e32 vcc, s0, v0
	flat_store_short_d16_hi v[4:5], v6 offset:256
                                        ; implicit-def: $vgpr6
	s_and_saveexec_b64 s[0:1], vcc
	s_xor_b64 s[0:1], exec, s[0:1]
; %bb.1318:
	v_bfe_u32 v0, v1, 16, 1
	s_movk_i32 s2, 0x7fff
	v_add3_u32 v6, v1, v0, s2
                                        ; implicit-def: $vgpr0_vgpr1
; %bb.1319:
	s_andn2_saveexec_b64 s[0:1], s[0:1]
; %bb.1320:
	v_mov_b32_e32 v0, 0
	v_or_b32_e32 v6, 0x10000, v1
	v_cmp_eq_u32_sdwa vcc, v1, v0 src0_sel:WORD_0 src1_sel:DWORD
	s_nop 1
	v_cndmask_b32_e32 v6, v6, v1, vcc
; %bb.1321:
	s_or_b64 exec, exec, s[0:1]
	s_mov_b32 s0, 0x7f800000
	v_and_b32_e32 v0, 0x7f800000, v2
	v_cmp_ne_u32_e32 vcc, s0, v0
	flat_store_short_d16_hi v[4:5], v6 offset:288
                                        ; implicit-def: $vgpr0
	s_and_saveexec_b64 s[0:1], vcc
	s_xor_b64 s[0:1], exec, s[0:1]
; %bb.1322:
	v_bfe_u32 v0, v2, 16, 1
	s_movk_i32 s2, 0x7fff
	v_add3_u32 v0, v2, v0, s2
; %bb.1323:
	s_andn2_saveexec_b64 s[0:1], s[0:1]
; %bb.1324:
	v_mov_b32_e32 v0, 0
	v_or_b32_e32 v1, 0x10000, v2
	v_cmp_eq_u32_sdwa vcc, v2, v0 src0_sel:WORD_0 src1_sel:DWORD
	s_nop 1
	v_cndmask_b32_e32 v0, v1, v2, vcc
; %bb.1325:
	s_or_b64 exec, exec, s[0:1]
	flat_store_short_d16_hi v[4:5], v0 offset:320
	s_mov_b32 s0, 0x7f800000
	v_and_b32_e32 v0, 0x7f800000, v3
	v_cmp_ne_u32_e32 vcc, s0, v0
                                        ; implicit-def: $vgpr0
	s_and_saveexec_b64 s[0:1], vcc
	s_xor_b64 s[0:1], exec, s[0:1]
; %bb.1326:
	v_bfe_u32 v0, v3, 16, 1
	s_movk_i32 s2, 0x7fff
	v_add3_u32 v0, v3, v0, s2
                                        ; implicit-def: $vgpr2_vgpr3
; %bb.1327:
	s_andn2_saveexec_b64 s[0:1], s[0:1]
; %bb.1328:
	v_mov_b32_e32 v0, 0
	v_or_b32_e32 v1, 0x10000, v3
	v_cmp_eq_u32_sdwa vcc, v3, v0 src0_sel:WORD_0 src1_sel:DWORD
	s_nop 1
	v_cndmask_b32_e32 v0, v1, v3, vcc
; %bb.1329:
	s_or_b64 exec, exec, s[0:1]
	flat_store_short_d16_hi v[4:5], v0 offset:352
.LBB363_1330:
	s_or_b64 exec, exec, s[10:11]
	scratch_load_dword a63, off, s32 offset:8 ; 4-byte Folded Reload
	scratch_load_dword a62, off, s32 offset:12 ; 4-byte Folded Reload
	;; [unrolled: 1-line block ×47, first 2 shown]
	v_readlane_b32 s30, v63, 9
	v_readlane_b32 s31, v63, 10
	;; [unrolled: 1-line block ×11, first 2 shown]
	s_or_saveexec_b64 s[0:1], -1
	scratch_load_dword v63, off, s32 offset:592 ; 4-byte Folded Reload
	s_mov_b64 exec, s[0:1]
	s_waitcnt vmcnt(0) lgkmcnt(0)
	s_setpc_b64 s[30:31]
.LBB363_1331:
	s_load_dword s8, s[2:3], 0x0
	s_waitcnt lgkmcnt(0)
	v_lshl_add_u32 v5, v4, 2, s8
	ds_read_b32 v5, v5
	s_waitcnt lgkmcnt(0)
	v_add_f32_e32 v14, v5, v14
	s_or_b64 exec, exec, s[6:7]
	s_and_saveexec_b64 s[6:7], s[0:1]
	s_cbranch_execz .LBB363_1267
.LBB363_1332:
	s_load_dword s8, s[2:3], 0x0
	s_waitcnt lgkmcnt(0)
	v_lshl_add_u32 v5, v4, 2, s8
	ds_read_b32 v5, v5 offset:64
	s_waitcnt lgkmcnt(0)
	v_add_f32_e32 v15, v5, v15
	s_or_b64 exec, exec, s[6:7]
	s_and_saveexec_b64 s[6:7], s[0:1]
	s_cbranch_execz .LBB363_1268
.LBB363_1333:
	s_load_dword s8, s[2:3], 0x0
	s_waitcnt lgkmcnt(0)
	v_lshl_add_u32 v5, v4, 2, s8
	ds_read_b32 v5, v5 offset:128
	s_waitcnt lgkmcnt(0)
	v_add_f32_e32 v10, v5, v10
	s_or_b64 exec, exec, s[6:7]
	s_and_saveexec_b64 s[6:7], s[0:1]
	s_cbranch_execz .LBB363_1269
.LBB363_1334:
	s_load_dword s8, s[2:3], 0x0
	s_waitcnt lgkmcnt(0)
	v_lshl_add_u32 v5, v4, 2, s8
	ds_read_b32 v5, v5 offset:192
	s_waitcnt lgkmcnt(0)
	v_add_f32_e32 v11, v5, v11
	s_or_b64 exec, exec, s[6:7]
	s_and_saveexec_b64 s[6:7], s[0:1]
	s_cbranch_execz .LBB363_1270
.LBB363_1335:
	s_load_dword s8, s[2:3], 0x0
	s_waitcnt lgkmcnt(0)
	v_lshl_add_u32 v5, v4, 2, s8
	ds_read_b32 v5, v5 offset:256
	s_waitcnt lgkmcnt(0)
	v_add_f32_e32 v8, v5, v8
	s_or_b64 exec, exec, s[6:7]
	s_and_saveexec_b64 s[6:7], s[0:1]
	s_cbranch_execz .LBB363_1271
.LBB363_1336:
	s_load_dword s8, s[2:3], 0x0
	s_waitcnt lgkmcnt(0)
	v_lshl_add_u32 v5, v4, 2, s8
	ds_read_b32 v5, v5 offset:320
	s_waitcnt lgkmcnt(0)
	v_add_f32_e32 v9, v5, v9
	s_or_b64 exec, exec, s[6:7]
	s_and_saveexec_b64 s[6:7], s[0:1]
	s_cbranch_execz .LBB363_1272
.LBB363_1337:
	s_load_dword s8, s[2:3], 0x0
	s_waitcnt lgkmcnt(0)
	v_lshl_add_u32 v5, v4, 2, s8
	ds_read_b32 v5, v5 offset:384
	s_waitcnt lgkmcnt(0)
	v_add_f32_e32 v6, v5, v6
	s_or_b64 exec, exec, s[6:7]
	s_and_saveexec_b64 s[6:7], s[0:1]
	s_cbranch_execz .LBB363_1273
.LBB363_1338:
	s_load_dword s8, s[2:3], 0x0
	s_waitcnt lgkmcnt(0)
	v_lshl_add_u32 v5, v4, 2, s8
	ds_read_b32 v5, v5 offset:448
	s_waitcnt lgkmcnt(0)
	v_add_f32_e32 v7, v5, v7
	s_or_b64 exec, exec, s[6:7]
	s_and_saveexec_b64 s[6:7], s[0:1]
	s_cbranch_execz .LBB363_1274
.LBB363_1339:
	s_load_dword s8, s[2:3], 0x0
	s_waitcnt lgkmcnt(0)
	v_lshl_add_u32 v5, v4, 2, s8
	ds_read_b32 v5, v5 offset:512
	s_waitcnt lgkmcnt(0)
	v_add_f32_e32 v0, v5, v0
	s_or_b64 exec, exec, s[6:7]
	s_and_saveexec_b64 s[6:7], s[0:1]
	s_cbranch_execz .LBB363_1275
.LBB363_1340:
	s_load_dword s8, s[2:3], 0x0
	s_waitcnt lgkmcnt(0)
	v_lshl_add_u32 v5, v4, 2, s8
	ds_read_b32 v5, v5 offset:576
	s_waitcnt lgkmcnt(0)
	v_add_f32_e32 v1, v5, v1
	s_or_b64 exec, exec, s[6:7]
	s_and_saveexec_b64 s[6:7], s[0:1]
	s_cbranch_execz .LBB363_1276
.LBB363_1341:
	s_load_dword s8, s[2:3], 0x0
	s_waitcnt lgkmcnt(0)
	v_lshl_add_u32 v5, v4, 2, s8
	ds_read_b32 v5, v5 offset:640
	s_waitcnt lgkmcnt(0)
	v_add_f32_e32 v2, v5, v2
	s_or_b64 exec, exec, s[6:7]
	s_and_saveexec_b64 s[6:7], s[0:1]
	s_cbranch_execnz .LBB363_1277
	s_branch .LBB363_1278
.Lfunc_end363:
	.size	_ZN4vllm22paged_attention_kernelI14__hip_bfloat16hLi192ELi32ELi128ELNS_18Fp8KVCacheDataTypeE1ELb1ELi512EEEvPfS3_PT_PKS4_PKT0_SA_ifPKiSC_iPKfiiiSE_SE_iiiii, .Lfunc_end363-_ZN4vllm22paged_attention_kernelI14__hip_bfloat16hLi192ELi32ELi128ELNS_18Fp8KVCacheDataTypeE1ELb1ELi512EEEvPfS3_PT_PKS4_PKT0_SA_ifPKiSC_iPKfiiiSE_SE_iiiii
                                        ; -- End function
	.section	.AMDGPU.csdata,"",@progbits
; Function info:
; codeLenInByte = 46584
; NumSgprs: 50
; NumVgprs: 64
; NumAgprs: 64
; TotalNumVgprs: 128
; ScratchSize: 600
; MemoryBound: 0
	.section	.text._ZN4vllm25paged_attention_v2_kernelI14__hip_bfloat16hLi192ELi32ELi128ELNS_18Fp8KVCacheDataTypeE1ELb1ELi512EEEvPfS3_PT_PKS4_PKT0_SA_ifPKiSC_iPKfiiiSE_SE_iiiii,"axG",@progbits,_ZN4vllm25paged_attention_v2_kernelI14__hip_bfloat16hLi192ELi32ELi128ELNS_18Fp8KVCacheDataTypeE1ELb1ELi512EEEvPfS3_PT_PKS4_PKT0_SA_ifPKiSC_iPKfiiiSE_SE_iiiii,comdat
	.protected	_ZN4vllm25paged_attention_v2_kernelI14__hip_bfloat16hLi192ELi32ELi128ELNS_18Fp8KVCacheDataTypeE1ELb1ELi512EEEvPfS3_PT_PKS4_PKT0_SA_ifPKiSC_iPKfiiiSE_SE_iiiii ; -- Begin function _ZN4vllm25paged_attention_v2_kernelI14__hip_bfloat16hLi192ELi32ELi128ELNS_18Fp8KVCacheDataTypeE1ELb1ELi512EEEvPfS3_PT_PKS4_PKT0_SA_ifPKiSC_iPKfiiiSE_SE_iiiii
	.globl	_ZN4vllm25paged_attention_v2_kernelI14__hip_bfloat16hLi192ELi32ELi128ELNS_18Fp8KVCacheDataTypeE1ELb1ELi512EEEvPfS3_PT_PKS4_PKT0_SA_ifPKiSC_iPKfiiiSE_SE_iiiii
	.p2align	8
	.type	_ZN4vllm25paged_attention_v2_kernelI14__hip_bfloat16hLi192ELi32ELi128ELNS_18Fp8KVCacheDataTypeE1ELb1ELi512EEEvPfS3_PT_PKS4_PKT0_SA_ifPKiSC_iPKfiiiSE_SE_iiiii,@function
_ZN4vllm25paged_attention_v2_kernelI14__hip_bfloat16hLi192ELi32ELi128ELNS_18Fp8KVCacheDataTypeE1ELb1ELi512EEEvPfS3_PT_PKS4_PKT0_SA_ifPKiSC_iPKfiiiSE_SE_iiiii: ; @_ZN4vllm25paged_attention_v2_kernelI14__hip_bfloat16hLi192ELi32ELi128ELNS_18Fp8KVCacheDataTypeE1ELb1ELi512EEEvPfS3_PT_PKS4_PKT0_SA_ifPKiSC_iPKfiiiSE_SE_iiiii
; %bb.0:
	s_load_dwordx8 s[24:31], s[0:1], 0x0
	s_load_dwordx8 s[16:23], s[0:1], 0x20
	s_load_dwordx2 s[6:7], s[0:1], 0x40
	s_load_dwordx4 s[44:47], s[0:1], 0x78
	s_load_dword s5, s[0:1], 0x88
	s_load_dwordx2 s[10:11], s[0:1], 0x50
	s_load_dword s33, s[0:1], 0x48
	s_load_dwordx8 s[36:43], s[0:1], 0x58
	s_mov_b32 s32, 0
	s_waitcnt lgkmcnt(0)
	v_mov_b32_e32 v2, s47
	v_mov_b32_e32 v3, s5
	s_add_u32 s8, s0, 0x90
	scratch_store_dwordx2 off, v[2:3], s32
	s_addc_u32 s9, s1, 0
	s_mov_b32 s12, s2
	s_mov_b32 s13, s3
	;; [unrolled: 1-line block ×4, first 2 shown]
	v_mov_b32_e32 v31, v0
	v_mov_b32_e32 v0, s24
	;; [unrolled: 1-line block ×32, first 2 shown]
	s_getpc_b64 s[0:1]
	s_add_u32 s0, s0, _ZN4vllm22paged_attention_kernelI14__hip_bfloat16hLi192ELi32ELi128ELNS_18Fp8KVCacheDataTypeE1ELb1ELi512EEEvPfS3_PT_PKS4_PKT0_SA_ifPKiSC_iPKfiiiSE_SE_iiiii@rel32@lo+4
	s_addc_u32 s1, s1, _ZN4vllm22paged_attention_kernelI14__hip_bfloat16hLi192ELi32ELi128ELNS_18Fp8KVCacheDataTypeE1ELb1ELi512EEEvPfS3_PT_PKS4_PKT0_SA_ifPKiSC_iPKfiiiSE_SE_iiiii@rel32@hi+12
	s_swappc_b64 s[30:31], s[0:1]
	s_endpgm
	.section	.rodata,"a",@progbits
	.p2align	6, 0x0
	.amdhsa_kernel _ZN4vllm25paged_attention_v2_kernelI14__hip_bfloat16hLi192ELi32ELi128ELNS_18Fp8KVCacheDataTypeE1ELb1ELi512EEEvPfS3_PT_PKS4_PKT0_SA_ifPKiSC_iPKfiiiSE_SE_iiiii
		.amdhsa_group_segment_fixed_size 400
		.amdhsa_private_segment_fixed_size 600
		.amdhsa_kernarg_size 400
		.amdhsa_user_sgpr_count 2
		.amdhsa_user_sgpr_dispatch_ptr 0
		.amdhsa_user_sgpr_queue_ptr 0
		.amdhsa_user_sgpr_kernarg_segment_ptr 1
		.amdhsa_user_sgpr_dispatch_id 0
		.amdhsa_user_sgpr_kernarg_preload_length 0
		.amdhsa_user_sgpr_kernarg_preload_offset 0
		.amdhsa_user_sgpr_private_segment_size 0
		.amdhsa_uses_dynamic_stack 0
		.amdhsa_enable_private_segment 1
		.amdhsa_system_sgpr_workgroup_id_x 1
		.amdhsa_system_sgpr_workgroup_id_y 1
		.amdhsa_system_sgpr_workgroup_id_z 1
		.amdhsa_system_sgpr_workgroup_info 0
		.amdhsa_system_vgpr_workitem_id 0
		.amdhsa_next_free_vgpr 128
		.amdhsa_next_free_sgpr 48
		.amdhsa_accum_offset 64
		.amdhsa_reserve_vcc 1
		.amdhsa_float_round_mode_32 0
		.amdhsa_float_round_mode_16_64 0
		.amdhsa_float_denorm_mode_32 3
		.amdhsa_float_denorm_mode_16_64 3
		.amdhsa_dx10_clamp 1
		.amdhsa_ieee_mode 1
		.amdhsa_fp16_overflow 0
		.amdhsa_tg_split 0
		.amdhsa_exception_fp_ieee_invalid_op 0
		.amdhsa_exception_fp_denorm_src 0
		.amdhsa_exception_fp_ieee_div_zero 0
		.amdhsa_exception_fp_ieee_overflow 0
		.amdhsa_exception_fp_ieee_underflow 0
		.amdhsa_exception_fp_ieee_inexact 0
		.amdhsa_exception_int_div_zero 0
	.end_amdhsa_kernel
	.section	.text._ZN4vllm25paged_attention_v2_kernelI14__hip_bfloat16hLi192ELi32ELi128ELNS_18Fp8KVCacheDataTypeE1ELb1ELi512EEEvPfS3_PT_PKS4_PKT0_SA_ifPKiSC_iPKfiiiSE_SE_iiiii,"axG",@progbits,_ZN4vllm25paged_attention_v2_kernelI14__hip_bfloat16hLi192ELi32ELi128ELNS_18Fp8KVCacheDataTypeE1ELb1ELi512EEEvPfS3_PT_PKS4_PKT0_SA_ifPKiSC_iPKfiiiSE_SE_iiiii,comdat
.Lfunc_end364:
	.size	_ZN4vllm25paged_attention_v2_kernelI14__hip_bfloat16hLi192ELi32ELi128ELNS_18Fp8KVCacheDataTypeE1ELb1ELi512EEEvPfS3_PT_PKS4_PKT0_SA_ifPKiSC_iPKfiiiSE_SE_iiiii, .Lfunc_end364-_ZN4vllm25paged_attention_v2_kernelI14__hip_bfloat16hLi192ELi32ELi128ELNS_18Fp8KVCacheDataTypeE1ELb1ELi512EEEvPfS3_PT_PKS4_PKT0_SA_ifPKiSC_iPKfiiiSE_SE_iiiii
                                        ; -- End function
	.section	.AMDGPU.csdata,"",@progbits
; Kernel info:
; codeLenInByte = 272
; NumSgprs: 54
; NumVgprs: 64
; NumAgprs: 64
; TotalNumVgprs: 128
; ScratchSize: 600
; MemoryBound: 0
; FloatMode: 240
; IeeeMode: 1
; LDSByteSize: 400 bytes/workgroup (compile time only)
; SGPRBlocks: 6
; VGPRBlocks: 15
; NumSGPRsForWavesPerEU: 54
; NumVGPRsForWavesPerEU: 128
; AccumOffset: 64
; Occupancy: 4
; WaveLimiterHint : 1
; COMPUTE_PGM_RSRC2:SCRATCH_EN: 1
; COMPUTE_PGM_RSRC2:USER_SGPR: 2
; COMPUTE_PGM_RSRC2:TRAP_HANDLER: 0
; COMPUTE_PGM_RSRC2:TGID_X_EN: 1
; COMPUTE_PGM_RSRC2:TGID_Y_EN: 1
; COMPUTE_PGM_RSRC2:TGID_Z_EN: 1
; COMPUTE_PGM_RSRC2:TIDIG_COMP_CNT: 0
; COMPUTE_PGM_RSRC3_GFX90A:ACCUM_OFFSET: 15
; COMPUTE_PGM_RSRC3_GFX90A:TG_SPLIT: 0
	.text
	.p2align	2                               ; -- Begin function _ZN4vllm22paged_attention_kernelI14__hip_bfloat16hLi256ELi32ELi128ELNS_18Fp8KVCacheDataTypeE1ELb1ELi512EEEvPfS3_PT_PKS4_PKT0_SA_ifPKiSC_iPKfiiiSE_SE_iiiii
	.type	_ZN4vllm22paged_attention_kernelI14__hip_bfloat16hLi256ELi32ELi128ELNS_18Fp8KVCacheDataTypeE1ELb1ELi512EEEvPfS3_PT_PKS4_PKT0_SA_ifPKiSC_iPKfiiiSE_SE_iiiii,@function
_ZN4vllm22paged_attention_kernelI14__hip_bfloat16hLi256ELi32ELi128ELNS_18Fp8KVCacheDataTypeE1ELb1ELi512EEEvPfS3_PT_PKS4_PKT0_SA_ifPKiSC_iPKfiiiSE_SE_iiiii: ; @_ZN4vllm22paged_attention_kernelI14__hip_bfloat16hLi256ELi32ELi128ELNS_18Fp8KVCacheDataTypeE1ELb1ELi512EEEvPfS3_PT_PKS4_PKT0_SA_ifPKiSC_iPKfiiiSE_SE_iiiii
; %bb.0:
	s_waitcnt vmcnt(0) expcnt(0) lgkmcnt(0)
	s_or_saveexec_b64 s[0:1], -1
	scratch_store_dword off, v63, s32 offset:976 ; 4-byte Folded Spill
	s_mov_b64 exec, s[0:1]
	scratch_store_dword off, v40, s32 offset:192 ; 4-byte Folded Spill
	scratch_store_dword off, v41, s32 offset:188 ; 4-byte Folded Spill
	;; [unrolled: 1-line block ×47, first 2 shown]
	v_writelane_b32 v63, s34, 0
	v_writelane_b32 v63, s35, 1
	;; [unrolled: 1-line block ×22, first 2 shown]
	s_nop 1
	v_writelane_b32 v63, s31, 22
	s_mov_b32 s18, s13
	s_ashr_i32 s19, s13, 31
	scratch_store_dwordx2 off, v[26:27], s32 offset:848 ; 8-byte Folded Spill
	scratch_store_dwordx2 off, v[24:25], s32 offset:856 ; 8-byte Folded Spill
	;; [unrolled: 1-line block ×3, first 2 shown]
	scratch_store_dword off, v13, s32 offset:880 ; 4-byte Folded Spill
	scratch_store_dwordx2 off, v[4:5], s32 offset:892 ; 8-byte Folded Spill
	v_mov_b32_e32 v39, v3
	v_mov_b32_e32 v38, v2
	v_lshl_add_u64 v[2:3], s[18:19], 2, v[16:17]
	v_mov_b32_e32 v37, v1
	v_mov_b32_e32 v36, v0
	scratch_load_dword v0, off, s32 offset:4
	flat_load_dword v1, v[2:3]
	s_nop 0
	scratch_load_dword v2, off, s32
	s_mov_b32 s22, s15
	s_lshl_b32 s15, s14, 9
	v_mov_b32_e32 v33, v20
	v_mov_b32_e32 v32, v19
	;; [unrolled: 1-line block ×4, first 2 shown]
	s_waitcnt vmcnt(0) lgkmcnt(0)
	v_cmp_lt_i32_e32 vcc, s15, v1
	scratch_store_dword off, v1, s32 offset:196 ; 4-byte Folded Spill
	s_and_saveexec_b64 s[16:17], vcc
	s_cbranch_execz .LBB365_1742
; %bb.1:
	v_sub_u32_e32 v1, 0, v12
	v_max_i32_e32 v1, v12, v1
	v_cvt_f32_u32_e32 v3, v1
	s_load_dword s0, s[8:9], 0x10
	s_load_dword s2, s[8:9], 0x0
	v_sub_u32_e32 v5, 0, v1
	v_rcp_iflag_f32_e32 v3, v3
	s_waitcnt lgkmcnt(0)
	s_lshr_b32 s0, s0, 16
	s_cmp_lg_u32 s0, 0
	s_cselect_b64 s[0:1], -1, 0
	v_mul_f32_e32 v3, 0x4f7ffffe, v3
	v_cvt_u32_f32_e32 v3, v3
	s_cmp_lg_u64 s[0:1], 0
	s_addc_u32 s19, s2, 0
	s_abs_i32 s0, s19
	v_mul_lo_u32 v5, v5, v3
	v_mul_hi_u32 v5, v3, v5
	v_add_u32_e32 v3, v3, v5
	v_mul_hi_u32 v3, s0, v3
	v_mul_lo_u32 v5, v3, v1
	v_sub_u32_e32 v5, s0, v5
	v_add_u32_e32 v10, 1, v3
	v_cmp_ge_u32_e32 vcc, v5, v1
	v_xor_b32_e32 v4, s19, v12
	v_ashrrev_i32_e32 v4, 31, v4
	v_cndmask_b32_e32 v3, v3, v10, vcc
	v_sub_u32_e32 v10, v5, v1
	v_cndmask_b32_e32 v5, v5, v10, vcc
	v_add_u32_e32 v10, 1, v3
	v_cmp_ge_u32_e32 vcc, v5, v1
	s_abs_i32 s6, s12
	s_nop 0
	v_cndmask_b32_e32 v1, v3, v10, vcc
	v_xor_b32_e32 v1, v1, v4
	v_sub_u32_e32 v1, v1, v4
	v_sub_u32_e32 v3, 0, v1
	v_max_i32_e32 v3, v1, v3
	v_cvt_f32_u32_e32 v4, v3
	v_sub_u32_e32 v5, 0, v3
	v_cmp_ne_u64_e32 vcc, 0, v[32:33]
	v_rcp_iflag_f32_e32 v4, v4
	s_nop 0
	v_mul_f32_e32 v4, 0x4f7ffffe, v4
	v_cvt_u32_f32_e32 v4, v4
	v_mul_lo_u32 v5, v5, v4
	v_mul_hi_u32 v5, v4, v5
	v_add_u32_e32 v4, v4, v5
	v_mad_u64_u32 v[16:17], s[0:1], s6, v4, 0
	v_mov_b32_e32 v4, 0
	scratch_store_dword off, v4, s32 offset:876 ; 4-byte Folded Spill
	s_and_saveexec_b64 s[0:1], vcc
	s_cbranch_execz .LBB365_3
; %bb.2:
	s_ashr_i32 s13, s12, 31
	v_lshl_add_u64 v[4:5], s[12:13], 2, v[32:33]
	flat_load_dword v4, v[4:5]
	s_waitcnt vmcnt(0) lgkmcnt(0)
	scratch_store_dword off, v4, s32 offset:876 ; 4-byte Folded Spill
.LBB365_3:
	s_or_b64 exec, exec, s[0:1]
	v_and_b32_e32 v5, 0x3ff, v31
	s_ashr_i32 s7, s12, 31
	v_ashrrev_i32_e32 v4, 31, v1
	v_and_b32_e32 v1, 1, v5
	s_lshl_b32 s20, s12, 8
	v_cmp_lt_u32_e64 s[2:3], 63, v5
	v_cmp_gt_u32_e64 s[0:1], 64, v5
	v_lshlrev_b32_e32 v24, 3, v5
	scratch_store_dword off, v5, s32 offset:844 ; 4-byte Folded Spill
	s_and_saveexec_b64 s[4:5], s[0:1]
	s_cbranch_execz .LBB365_5
; %bb.4:
	v_mul_lo_u32 v10, s18, v21
	v_ashrrev_i32_e32 v11, 31, v10
	v_lshl_add_u64 v[6:7], v[10:11], 1, v[6:7]
	s_ashr_i32 s21, s20, 31
	v_lshl_add_u64 v[6:7], s[20:21], 1, v[6:7]
	v_mov_b32_e32 v25, 0
	v_lshl_add_u64 v[6:7], v[6:7], 0, v[24:25]
	flat_load_dwordx2 v[6:7], v[6:7]
	s_nop 0
	scratch_load_dword v5, off, s32 offset:844 ; 4-byte Folded Reload
	s_waitcnt vmcnt(0)
	v_lshlrev_b32_e32 v5, 2, v5
	v_and_b32_e32 v5, 0xff8, v5
	v_lshl_add_u32 v5, v1, 8, v5
	s_waitcnt lgkmcnt(0)
	ds_write_b64 v5, v[6:7]
.LBB365_5:
	s_or_b64 exec, exec, s[4:5]
	v_mul_lo_u32 v5, v17, v3
	v_sub_u32_e32 v5, s6, v5
	v_add_u32_e32 v6, 1, v17
	v_cmp_ge_u32_e32 vcc, v5, v3
	v_sub_u32_e32 v7, v5, v3
	v_xor_b32_e32 v4, s7, v4
	v_cndmask_b32_e32 v6, v17, v6, vcc
	v_cndmask_b32_e32 v5, v5, v7, vcc
	v_add_u32_e32 v7, 1, v6
	v_cmp_ge_u32_e32 vcc, v5, v3
	s_waitcnt lgkmcnt(0)
	s_barrier
	v_cndmask_b32_e32 v3, v6, v7, vcc
	v_xor_b32_e32 v3, v3, v4
	v_sub_u32_e32 v6, v3, v4
	scratch_load_dword v4, off, s32 offset:196 ; 4-byte Folded Reload
	v_sub_u32_e32 v5, 0, v2
	v_max_i32_e32 v7, v2, v5
	v_cvt_f32_u32_e32 v5, v7
	scratch_store_dword off, v7, s32 offset:224 ; 4-byte Folded Spill
	v_sub_u32_e32 v7, 0, v7
	v_cmp_gt_i32_e32 vcc, 0, v0
	v_rcp_iflag_f32_e32 v3, v5
                                        ; implicit-def: $vgpr10
	scratch_store_dwordx2 off, v[10:11], s32 offset:236 ; 8-byte Folded Spill
	v_mul_f32_e32 v3, 0x4f7ffffe, v3
	v_cvt_u32_f32_e32 v5, v3
	v_mul_lo_u32 v7, v7, v5
	v_mul_hi_u32 v7, v5, v7
	v_add_u32_e32 v5, v5, v7
	scratch_store_dword off, v5, s32 offset:244 ; 4-byte Folded Spill
	s_waitcnt vmcnt(3)
	v_add_u32_e32 v4, -1, v4
	v_sub_u32_e32 v3, 0, v4
	v_max_i32_e32 v3, v4, v3
	v_mad_u64_u32 v[16:17], s[4:5], v3, v5, 0
	s_and_saveexec_b64 s[4:5], vcc
	s_xor_b64 s[4:5], exec, s[4:5]
	s_cbranch_execz .LBB365_7
; %bb.6:
	v_mad_u64_u32 v[10:11], s[6:7], v28, v12, v[6:7]
	v_mul_lo_u32 v0, v10, v0
	v_sub_u32_e32 v0, 1, v0
	scratch_store_dwordx2 off, v[0:1], s32 offset:236 ; 8-byte Folded Spill
                                        ; implicit-def: $vgpr28
                                        ; implicit-def: $vgpr0
.LBB365_7:
	s_or_saveexec_b64 s[4:5], s[4:5]
	v_ashrrev_i32_e32 v4, 31, v4
	v_ashrrev_i32_e32 v2, 31, v2
	scratch_store_dword off, v2, s32 offset:228 ; 4-byte Folded Spill
	s_xor_b64 exec, exec, s[4:5]
	s_cbranch_execz .LBB365_9
; %bb.8:
	v_mul_lo_u32 v2, s19, v28
	v_add_u32_e32 v2, s12, v2
	v_mad_u64_u32 v[10:11], s[6:7], v2, v0, 1
	scratch_store_dwordx2 off, v[10:11], s32 offset:236 ; 8-byte Folded Spill
.LBB365_9:
	s_or_b64 exec, exec, s[4:5]
	s_load_dword s50, s[8:9], 0x14
	s_load_dword s13, s[8:9], 0x8
	scratch_load_dword v0, off, s32 offset:228 ; 4-byte Folded Reload
	scratch_load_dword v5, off, s32 offset:224 ; 4-byte Folded Reload
	s_lshl_b32 s21, s14, 4
	s_add_i32 s4, s21, 16
	v_mul_lo_u32 v10, s18, v18
	v_mul_lo_u32 v48, v6, v23
	v_ashrrev_i32_e32 v11, 31, v10
	v_ashrrev_i32_e32 v49, 31, v48
	scratch_store_dwordx2 off, v[10:11], s32 offset:900 ; 8-byte Folded Spill
	s_waitcnt vmcnt(2)
	v_xor_b32_e32 v0, v4, v0
	s_waitcnt vmcnt(1)
	v_mul_lo_u32 v2, v17, v5
	v_sub_u32_e32 v2, v3, v2
	v_add_u32_e32 v3, 1, v17
	v_cmp_ge_u32_e32 vcc, v2, v5
	v_sub_u32_e32 v4, v2, v5
	s_nop 0
	v_cndmask_b32_e32 v3, v17, v3, vcc
	v_cndmask_b32_e32 v2, v2, v4, vcc
	v_add_u32_e32 v4, 1, v3
	v_cmp_ge_u32_e32 vcc, v2, v5
	s_nop 1
	v_cndmask_b32_e32 v2, v3, v4, vcc
	v_xor_b32_e32 v2, v2, v0
	v_sub_u32_e32 v0, v2, v0
	scratch_load_dword v2, off, s32 offset:196 ; 4-byte Folded Reload
	v_sub_u32_e32 v0, v0, v29
	scratch_store_dword off, v0, s32 offset:248 ; 4-byte Folded Spill
	v_sub_u32_e32 v0, 0, v30
	scratch_store_dword off, v0, s32 offset:908 ; 4-byte Folded Spill
	s_waitcnt vmcnt(2)
	v_add_u32_e32 v2, 31, v2
	v_ashrrev_i32_e32 v3, 31, v2
	v_lshrrev_b32_e32 v3, 27, v3
	v_add_u32_e32 v2, v2, v3
	v_ashrrev_i32_e32 v31, 5, v2
	scratch_load_dword v2, off, s32 offset:844 ; 4-byte Folded Reload
	v_min_i32_e32 v3, s4, v31
	scratch_store_dword off, v3, s32 offset:232 ; 4-byte Folded Spill
	s_waitcnt vmcnt(1)
	v_lshrrev_b32_e32 v22, 6, v2
	v_or_b32_e32 v2, s21, v22
	v_cmp_lt_i32_e64 s[4:5], v2, v3
	v_mov_b32_e32 v3, 0xff7fffff
	v_lshl_add_u32 v0, v22, 5, s15
	scratch_store_dword off, v3, s32 offset:840 ; 4-byte Folded Spill
	v_ashrrev_i32_e32 v3, 31, v2
	scratch_store_dword off, v0, s32 offset:912 ; 4-byte Folded Spill
	v_mbcnt_lo_u32_b32 v0, -1, 0
	scratch_store_dwordx2 off, v[2:3], s32 offset:200 ; 8-byte Folded Spill
	s_and_saveexec_b64 s[24:25], s[4:5]
	s_cbranch_execz .LBB365_531
; %bb.10:
	scratch_store_dword off, v31, s32 offset:916 ; 4-byte Folded Spill
	scratch_store_dwordx2 off, v[24:25], s32 offset:932 ; 8-byte Folded Spill
	scratch_store_dwordx2 off, v[38:39], s32 offset:940 ; 8-byte Folded Spill
	scratch_store_dwordx2 off, v[36:37], s32 offset:948 ; 8-byte Folded Spill
	scratch_store_dwordx2 off, v[34:35], s32 offset:956 ; 8-byte Folded Spill
	v_mov_b32_e32 v6, v0
	scratch_load_dword v0, off, s32 offset:844 ; 4-byte Folded Reload
	v_lshl_add_u64 v[2:3], v[8:9], 0, v[48:49]
	v_mov_b32_e32 v5, 0
	v_cmp_eq_u32_e64 s[6:7], 0, v1
	v_lshlrev_b32_e32 v52, 8, v1
	s_ashr_i32 s23, s22, 31
	s_lshl_b64 s[10:11], s[22:23], 2
	s_getpc_b64 s[26:27]
	s_add_u32 s26, s26, llvm.amdgcn.dynlds.offset.table@rel32@lo+4
	s_addc_u32 s27, s27, llvm.amdgcn.dynlds.offset.table@rel32@hi+12
	s_add_u32 s26, s10, s26
	s_addc_u32 s27, s11, s27
	s_load_dword s23, s[26:27], 0x0
	s_mov_b64 s[28:29], 0
	s_mov_b32 s51, 0x7f800000
	s_movk_i32 s52, 0x7fff
	s_mov_b64 s[30:31], 0x1000
	s_mov_b64 s[34:35], 0x1200
	;; [unrolled: 1-line block ×8, first 2 shown]
	scratch_store_dwordx2 off, v[48:49], s32 offset:920 ; 8-byte Folded Spill
	scratch_store_dword off, v30, s32 offset:964 ; 4-byte Folded Spill
	scratch_store_dwordx2 off, v[14:15], s32 offset:968 ; 8-byte Folded Spill
	scratch_store_dword off, v22, s32 offset:928 ; 4-byte Folded Spill
	s_waitcnt vmcnt(4)
	v_bfe_u32 v7, v0, 1, 5
	v_lshlrev_b32_e32 v4, 4, v7
	scratch_load_dword v0, off, s32 offset:908 ; 4-byte Folded Reload
	v_lshl_add_u64 v[2:3], v[2:3], 0, v[4:5]
	v_lshlrev_b32_e32 v4, 2, v1
	scratch_load_dword v1, off, s32 offset:876 ; 4-byte Folded Reload
	v_accvgpr_write_b32 a29, v5
	scratch_store_dwordx2 off, v[2:3], s32 offset:868 ; 8-byte Folded Spill
	v_accvgpr_write_b32 a28, v4
	scratch_store_dword off, v7, s32 offset:884 ; 4-byte Folded Spill
	scratch_load_dwordx2 v[4:5], off, s32 offset:900 ; 8-byte Folded Reload
	s_waitcnt vmcnt(4)
	v_max_i32_e32 v2, v30, v0
	v_cvt_f32_u32_e32 v0, v2
	scratch_store_dword off, v2, s32 offset:268 ; 4-byte Folded Spill
	s_waitcnt vmcnt(4)
	v_cmp_neq_f32_e64 s[8:9], 0, v1
	v_sub_u32_e32 v1, 0, v2
	scratch_load_dwordx2 v[2:3], off, s32 offset:200 ; 8-byte Folded Reload
	v_rcp_iflag_f32_e32 v0, v0
	s_nop 0
	v_mul_f32_e32 v0, 0x4f7ffffe, v0
	v_cvt_u32_f32_e32 v0, v0
	v_mul_lo_u32 v1, v1, v0
	v_mul_hi_u32 v1, v0, v1
	v_add_u32_e32 v0, v0, v1
	scratch_store_dwordx2 off, v[0:1], s32 offset:276 ; 8-byte Folded Spill
	s_waitcnt vmcnt(1)
	v_lshlrev_b64 v[0:1], 2, v[2:3]
	v_lshl_add_u64 v[0:1], v[4:5], 2, v[0:1]
	v_lshl_add_u64 v[0:1], v[14:15], 0, v[0:1]
	scratch_store_dwordx2 off, v[0:1], s32 offset:208 ; 8-byte Folded Spill
	v_lshlrev_b32_e32 v0, 2, v7
	v_lshl_or_b32 v0, v22, 7, v0
	v_accvgpr_write_b32 a17, v0
	scratch_load_dword v0, off, s32 offset:196 ; 4-byte Folded Reload
	v_lshl_add_u32 v1, v22, 5, s15
	s_waitcnt vmcnt(0)
	v_sub_u32_e32 v0, v7, v0
	v_add_u32_e32 v0, 1, v0
	scratch_store_dword off, v0, s32 offset:888 ; 4-byte Folded Spill
	v_mbcnt_hi_u32_b32 v0, -1, v6
	scratch_store_dword off, v0, s32 offset:864 ; 4-byte Folded Spill
	v_mov_b32_e32 v0, 0xff7fffff
	scratch_store_dword off, v0, s32 offset:840 ; 4-byte Folded Spill
	s_branch .LBB365_13
.LBB365_11:                             ;   in Loop: Header=BB365_13 Depth=1
	s_or_b64 exec, exec, s[48:49]
.LBB365_12:                             ;   in Loop: Header=BB365_13 Depth=1
	s_or_b64 exec, exec, s[10:11]
	scratch_load_dword v2, off, s32 offset:252 ; 4-byte Folded Reload
	s_waitcnt lgkmcnt(0)
	scratch_load_dwordx2 v[0:1], off, s32 offset:208 ; 8-byte Folded Reload
	s_waitcnt vmcnt(1)
	v_add_u32_e32 v2, 2, v2
	s_waitcnt vmcnt(0)
	v_lshl_add_u64 v[0:1], v[0:1], 0, 8
	scratch_store_dwordx2 off, v[0:1], s32 offset:208 ; 8-byte Folded Spill
	scratch_load_dword v1, off, s32 offset:216 ; 4-byte Folded Reload
	s_nop 0
	scratch_load_dword v0, off, s32 offset:232 ; 4-byte Folded Reload
	s_waitcnt vmcnt(1)
	v_add_u32_e32 v1, 64, v1
	s_waitcnt vmcnt(0)
	v_cmp_ge_i32_e32 vcc, v2, v0
	v_accvgpr_read_b32 v0, a17
	v_add_u32_e32 v0, 0x100, v0
	s_or_b64 s[28:29], vcc, s[28:29]
	v_accvgpr_write_b32 a17, v0
	s_andn2_b64 exec, exec, s[28:29]
	s_cbranch_execz .LBB365_530
.LBB365_13:                             ; =>This Inner Loop Header: Depth=1
	scratch_store_dword off, v2, s32 offset:252 ; 4-byte Folded Spill
	v_ashrrev_i32_e32 v0, 31, v1
	v_mov_b32_e32 v2, v1
	scratch_load_dword v1, off, s32 offset:228 ; 4-byte Folded Reload
	scratch_load_dword v4, off, s32 offset:224 ; 4-byte Folded Reload
	s_waitcnt vmcnt(1)
	v_xor_b32_e32 v0, v0, v1
	v_sub_u32_e32 v1, 0, v2
	scratch_store_dword off, v2, s32 offset:216 ; 4-byte Folded Spill
	v_max_i32_e32 v1, v2, v1
	scratch_load_dword v2, off, s32 offset:244 ; 4-byte Folded Reload
	s_waitcnt vmcnt(0)
	v_mul_hi_u32 v2, v1, v2
	v_mul_lo_u32 v3, v2, v4
	v_sub_u32_e32 v1, v1, v3
	v_add_u32_e32 v3, 1, v2
	v_cmp_ge_u32_e32 vcc, v1, v4
	s_nop 1
	v_cndmask_b32_e32 v2, v2, v3, vcc
	v_sub_u32_e32 v3, v1, v4
	v_cndmask_b32_e32 v1, v1, v3, vcc
	v_add_u32_e32 v3, 1, v2
	v_cmp_ge_u32_e32 vcc, v1, v4
	scratch_load_dwordx2 v[4:5], off, s32 offset:276 ; 8-byte Folded Reload
	s_nop 0
	v_cndmask_b32_e32 v1, v2, v3, vcc
	scratch_load_dwordx2 v[2:3], off, s32 offset:236 ; 8-byte Folded Reload
	v_xor_b32_e32 v1, v1, v0
	v_sub_u32_e32 v0, v1, v0
	s_waitcnt vmcnt(0)
	v_add_u32_e32 v1, v0, v2
	v_sub_u32_e32 v3, 0, v1
	v_ashrrev_i32_e32 v2, 31, v1
	v_max_i32_e32 v1, v1, v3
	v_mul_hi_u32 v3, v1, v4
	scratch_load_dword v4, off, s32 offset:268 ; 4-byte Folded Reload
	s_waitcnt vmcnt(0)
	v_mul_lo_u32 v3, v3, v4
	v_sub_u32_e32 v1, v1, v3
	v_sub_u32_e32 v3, v1, v4
	v_cmp_ge_u32_e32 vcc, v1, v4
	s_nop 1
	v_cndmask_b32_e32 v1, v1, v3, vcc
	v_sub_u32_e32 v3, v1, v4
	v_cmp_ge_u32_e32 vcc, v1, v4
	s_nop 1
	v_cndmask_b32_e32 v1, v1, v3, vcc
	v_xor_b32_e32 v1, v1, v2
	v_sub_u32_e32 v1, v1, v2
	v_cmp_ne_u32_e32 vcc, 0, v1
	scratch_load_dword v1, off, s32 offset:248 ; 4-byte Folded Reload
	s_waitcnt vmcnt(0)
	v_cmp_le_i32_e64 s[10:11], v0, v1
	s_and_b64 s[10:11], vcc, s[10:11]
	s_and_b64 s[48:49], s[6:7], s[10:11]
	s_and_saveexec_b64 vcc, s[48:49]
	s_cbranch_execz .LBB365_15
; %bb.14:                               ;   in Loop: Header=BB365_13 Depth=1
	v_accvgpr_read_b32 v0, a17
	s_waitcnt lgkmcnt(0)
	v_add_u32_e32 v0, s23, v0
	v_mov_b32_e32 v1, 0xff7fffff
	ds_write_b32 v0, v1
.LBB365_15:                             ;   in Loop: Header=BB365_13 Depth=1
	s_or_b64 exec, exec, vcc
	s_xor_b64 vcc, s[10:11], -1
	s_and_saveexec_b64 s[10:11], vcc
	s_cbranch_execz .LBB365_12
; %bb.16:                               ;   in Loop: Header=BB365_13 Depth=1
	scratch_load_dwordx2 v[0:1], off, s32 offset:208 ; 8-byte Folded Reload
	s_waitcnt vmcnt(0)
	flat_load_dword v0, v[0:1]
	s_nop 0
	scratch_load_dwordx2 v[2:3], off, s32 offset:260 ; 8-byte Folded Reload
	scratch_load_dwordx2 v[4:5], off, s32 offset:868 ; 8-byte Folded Reload
	s_waitcnt vmcnt(0) lgkmcnt(0)
	v_mad_i64_i32 v[0:1], vcc, v0, v2, v[4:5]
	v_accvgpr_read_b32 v2, a28
	v_accvgpr_read_b32 v3, a29
	v_lshl_add_u64 v[60:61], v[0:1], 0, v[2:3]
	flat_load_dword v0, v[60:61]
	scratch_load_dwordx2 v[2:3], off, s32 offset:856 ; 8-byte Folded Reload
	s_waitcnt vmcnt(0) lgkmcnt(0)
	v_and_b32_e32 v1, 0xff, v0
	flat_load_dword v22, v[2:3]
	ds_read_b128 v[38:41], v52
	ds_read_b128 v[2:5], v52 offset:16
	v_cvt_f32_fp8_sdwa v1, v1 src0_sel:BYTE_0
	s_waitcnt lgkmcnt(0)
	scratch_store_dwordx4 off, v[2:5], s32 offset:356 ; 16-byte Folded Spill
	ds_read_b128 v[2:5], v52 offset:32
	s_waitcnt lgkmcnt(0)
	scratch_store_dwordx4 off, v[2:5], s32 offset:340 ; 16-byte Folded Spill
	ds_read_b128 v[2:5], v52 offset:48
	;; [unrolled: 3-line block ×4, first 2 shown]
	s_waitcnt lgkmcnt(0)
	scratch_store_dwordx4 off, v[2:5], s32 offset:292 ; 16-byte Folded Spill
	ds_read_b32 v54, v52 offset:96
	ds_read_u16 v2, v52 offset:100
	s_waitcnt lgkmcnt(0)
	scratch_store_dword off, v2, s32 offset:284 ; 4-byte Folded Spill
	s_waitcnt vmcnt(0)
	v_mul_f32_e32 v1, v22, v1
	v_and_b32_e32 v2, 0x7f800000, v1
	v_cmp_ne_u32_e32 vcc, s51, v2
                                        ; implicit-def: $vgpr2
                                        ; kill: killed $vgpr2
	s_and_saveexec_b64 s[48:49], vcc
	s_xor_b64 vcc, exec, s[48:49]
	s_cbranch_execz .LBB365_18
; %bb.17:                               ;   in Loop: Header=BB365_13 Depth=1
	v_bfe_u32 v2, v1, 16, 1
	v_add3_u32 v1, v1, v2, s52
	scratch_store_dword off, v1, s32 offset:372 ; 4-byte Folded Spill
                                        ; implicit-def: $vgpr1
.LBB365_18:                             ;   in Loop: Header=BB365_13 Depth=1
	s_andn2_saveexec_b64 s[48:49], vcc
	s_cbranch_execz .LBB365_20
; %bb.19:                               ;   in Loop: Header=BB365_13 Depth=1
	v_accvgpr_read_b32 v4, a28
	v_accvgpr_read_b32 v5, a29
	v_or_b32_e32 v2, 0x10000, v1
	v_cmp_eq_u32_sdwa vcc, v1, v5 src0_sel:WORD_0 src1_sel:DWORD
	s_nop 1
	v_cndmask_b32_e32 v1, v2, v1, vcc
	scratch_store_dword off, v1, s32 offset:372 ; 4-byte Folded Spill
.LBB365_20:                             ;   in Loop: Header=BB365_13 Depth=1
	s_or_b64 exec, exec, s[48:49]
	v_bfe_u32 v1, v0, 8, 8
	v_cvt_f32_fp8_sdwa v1, v1 src0_sel:BYTE_0
	s_nop 0
	v_mul_f32_e32 v1, v22, v1
	v_and_b32_e32 v2, 0x7f800000, v1
	v_cmp_ne_u32_e32 vcc, s51, v2
                                        ; implicit-def: $vgpr2
                                        ; kill: killed $vgpr2
	s_and_saveexec_b64 s[48:49], vcc
	s_xor_b64 vcc, exec, s[48:49]
	s_cbranch_execz .LBB365_22
; %bb.21:                               ;   in Loop: Header=BB365_13 Depth=1
	v_bfe_u32 v2, v1, 16, 1
	v_add3_u32 v1, v1, v2, s52
	scratch_store_dword off, v1, s32 offset:376 ; 4-byte Folded Spill
                                        ; implicit-def: $vgpr1
.LBB365_22:                             ;   in Loop: Header=BB365_13 Depth=1
	s_andn2_saveexec_b64 s[48:49], vcc
	s_cbranch_execz .LBB365_24
; %bb.23:                               ;   in Loop: Header=BB365_13 Depth=1
	v_accvgpr_read_b32 v4, a28
	v_accvgpr_read_b32 v5, a29
	v_or_b32_e32 v2, 0x10000, v1
	v_cmp_eq_u32_sdwa vcc, v1, v5 src0_sel:WORD_0 src1_sel:DWORD
	s_nop 1
	v_cndmask_b32_e32 v1, v2, v1, vcc
	scratch_store_dword off, v1, s32 offset:376 ; 4-byte Folded Spill
.LBB365_24:                             ;   in Loop: Header=BB365_13 Depth=1
	s_or_b64 exec, exec, s[48:49]
	v_bfe_u32 v1, v0, 16, 8
	v_cvt_f32_fp8_sdwa v1, v1 src0_sel:BYTE_0
	s_nop 0
	v_mul_f32_e32 v1, v22, v1
	v_and_b32_e32 v2, 0x7f800000, v1
	v_cmp_ne_u32_e32 vcc, s51, v2
                                        ; implicit-def: $vgpr2
                                        ; kill: killed $vgpr2
	s_and_saveexec_b64 s[48:49], vcc
	s_xor_b64 vcc, exec, s[48:49]
	s_cbranch_execz .LBB365_26
; %bb.25:                               ;   in Loop: Header=BB365_13 Depth=1
	v_bfe_u32 v2, v1, 16, 1
	v_add3_u32 v1, v1, v2, s52
	scratch_store_dword off, v1, s32 offset:380 ; 4-byte Folded Spill
                                        ; implicit-def: $vgpr1
.LBB365_26:                             ;   in Loop: Header=BB365_13 Depth=1
	s_andn2_saveexec_b64 s[48:49], vcc
	s_cbranch_execz .LBB365_28
; %bb.27:                               ;   in Loop: Header=BB365_13 Depth=1
	v_accvgpr_read_b32 v4, a28
	v_accvgpr_read_b32 v5, a29
	v_or_b32_e32 v2, 0x10000, v1
	v_cmp_eq_u32_sdwa vcc, v1, v5 src0_sel:WORD_0 src1_sel:DWORD
	s_nop 1
	v_cndmask_b32_e32 v1, v2, v1, vcc
	scratch_store_dword off, v1, s32 offset:380 ; 4-byte Folded Spill
.LBB365_28:                             ;   in Loop: Header=BB365_13 Depth=1
	s_or_b64 exec, exec, s[48:49]
	v_lshrrev_b32_e32 v0, 24, v0
	v_cvt_f32_fp8_sdwa v0, v0 src0_sel:BYTE_0
	s_nop 0
	v_mul_f32_e32 v0, v22, v0
	v_and_b32_e32 v1, 0x7f800000, v0
	v_cmp_ne_u32_e32 vcc, s51, v1
                                        ; implicit-def: $vgpr1
                                        ; kill: killed $vgpr1
	s_and_saveexec_b64 s[48:49], vcc
	s_xor_b64 vcc, exec, s[48:49]
	s_cbranch_execz .LBB365_30
; %bb.29:                               ;   in Loop: Header=BB365_13 Depth=1
	v_bfe_u32 v1, v0, 16, 1
	v_add3_u32 v0, v0, v1, s52
	scratch_store_dword off, v0, s32 offset:384 ; 4-byte Folded Spill
                                        ; implicit-def: $vgpr0
.LBB365_30:                             ;   in Loop: Header=BB365_13 Depth=1
	s_andn2_saveexec_b64 s[48:49], vcc
	s_cbranch_execz .LBB365_32
; %bb.31:                               ;   in Loop: Header=BB365_13 Depth=1
	v_accvgpr_read_b32 v2, a28
	v_accvgpr_read_b32 v3, a29
	v_or_b32_e32 v1, 0x10000, v0
	v_cmp_eq_u32_sdwa vcc, v0, v3 src0_sel:WORD_0 src1_sel:DWORD
	s_nop 1
	v_cndmask_b32_e32 v0, v1, v0, vcc
	scratch_store_dword off, v0, s32 offset:384 ; 4-byte Folded Spill
.LBB365_32:                             ;   in Loop: Header=BB365_13 Depth=1
	s_or_b64 exec, exec, s[48:49]
	flat_load_dword v0, v[60:61] offset:8
	s_waitcnt vmcnt(0) lgkmcnt(0)
	v_and_b32_e32 v1, 0xff, v0
	v_cvt_f32_fp8_sdwa v1, v1 src0_sel:BYTE_0
	s_nop 0
	v_mul_f32_e32 v1, v22, v1
	v_and_b32_e32 v2, 0x7f800000, v1
	v_cmp_ne_u32_e32 vcc, s51, v2
                                        ; implicit-def: $vgpr2
                                        ; kill: killed $vgpr2
	s_and_saveexec_b64 s[48:49], vcc
	s_xor_b64 vcc, exec, s[48:49]
	s_cbranch_execz .LBB365_34
; %bb.33:                               ;   in Loop: Header=BB365_13 Depth=1
	v_bfe_u32 v2, v1, 16, 1
	v_add3_u32 v1, v1, v2, s52
	scratch_store_dword off, v1, s32 offset:388 ; 4-byte Folded Spill
                                        ; implicit-def: $vgpr1
.LBB365_34:                             ;   in Loop: Header=BB365_13 Depth=1
	s_andn2_saveexec_b64 s[48:49], vcc
	s_cbranch_execz .LBB365_36
; %bb.35:                               ;   in Loop: Header=BB365_13 Depth=1
	v_accvgpr_read_b32 v4, a28
	v_accvgpr_read_b32 v5, a29
	v_or_b32_e32 v2, 0x10000, v1
	v_cmp_eq_u32_sdwa vcc, v1, v5 src0_sel:WORD_0 src1_sel:DWORD
	s_nop 1
	v_cndmask_b32_e32 v1, v2, v1, vcc
	scratch_store_dword off, v1, s32 offset:388 ; 4-byte Folded Spill
.LBB365_36:                             ;   in Loop: Header=BB365_13 Depth=1
	s_or_b64 exec, exec, s[48:49]
	v_bfe_u32 v1, v0, 8, 8
	v_cvt_f32_fp8_sdwa v1, v1 src0_sel:BYTE_0
	s_nop 0
	v_mul_f32_e32 v1, v22, v1
	v_and_b32_e32 v2, 0x7f800000, v1
	v_cmp_ne_u32_e32 vcc, s51, v2
                                        ; implicit-def: $vgpr2
                                        ; kill: killed $vgpr2
	s_and_saveexec_b64 s[48:49], vcc
	s_xor_b64 vcc, exec, s[48:49]
	s_cbranch_execz .LBB365_38
; %bb.37:                               ;   in Loop: Header=BB365_13 Depth=1
	v_bfe_u32 v2, v1, 16, 1
	v_add3_u32 v1, v1, v2, s52
	scratch_store_dword off, v1, s32 offset:392 ; 4-byte Folded Spill
                                        ; implicit-def: $vgpr1
.LBB365_38:                             ;   in Loop: Header=BB365_13 Depth=1
	s_andn2_saveexec_b64 s[48:49], vcc
	s_cbranch_execz .LBB365_40
; %bb.39:                               ;   in Loop: Header=BB365_13 Depth=1
	v_accvgpr_read_b32 v4, a28
	v_accvgpr_read_b32 v5, a29
	v_or_b32_e32 v2, 0x10000, v1
	v_cmp_eq_u32_sdwa vcc, v1, v5 src0_sel:WORD_0 src1_sel:DWORD
	s_nop 1
	v_cndmask_b32_e32 v1, v2, v1, vcc
	scratch_store_dword off, v1, s32 offset:392 ; 4-byte Folded Spill
.LBB365_40:                             ;   in Loop: Header=BB365_13 Depth=1
	s_or_b64 exec, exec, s[48:49]
	v_bfe_u32 v1, v0, 16, 8
	v_cvt_f32_fp8_sdwa v1, v1 src0_sel:BYTE_0
	s_nop 0
	v_mul_f32_e32 v1, v22, v1
	v_and_b32_e32 v2, 0x7f800000, v1
	v_cmp_ne_u32_e32 vcc, s51, v2
                                        ; implicit-def: $vgpr2
                                        ; kill: killed $vgpr2
	s_and_saveexec_b64 s[48:49], vcc
	s_xor_b64 vcc, exec, s[48:49]
	s_cbranch_execz .LBB365_42
; %bb.41:                               ;   in Loop: Header=BB365_13 Depth=1
	v_bfe_u32 v2, v1, 16, 1
	v_add3_u32 v1, v1, v2, s52
	scratch_store_dword off, v1, s32 offset:396 ; 4-byte Folded Spill
                                        ; implicit-def: $vgpr1
.LBB365_42:                             ;   in Loop: Header=BB365_13 Depth=1
	s_andn2_saveexec_b64 s[48:49], vcc
	s_cbranch_execz .LBB365_44
; %bb.43:                               ;   in Loop: Header=BB365_13 Depth=1
	v_accvgpr_read_b32 v4, a28
	v_accvgpr_read_b32 v5, a29
	v_or_b32_e32 v2, 0x10000, v1
	v_cmp_eq_u32_sdwa vcc, v1, v5 src0_sel:WORD_0 src1_sel:DWORD
	s_nop 1
	v_cndmask_b32_e32 v1, v2, v1, vcc
	scratch_store_dword off, v1, s32 offset:396 ; 4-byte Folded Spill
.LBB365_44:                             ;   in Loop: Header=BB365_13 Depth=1
	s_or_b64 exec, exec, s[48:49]
	v_lshrrev_b32_e32 v0, 24, v0
	v_cvt_f32_fp8_sdwa v0, v0 src0_sel:BYTE_0
	s_nop 0
	v_mul_f32_e32 v0, v22, v0
	v_and_b32_e32 v1, 0x7f800000, v0
	v_cmp_ne_u32_e32 vcc, s51, v1
                                        ; implicit-def: $vgpr1
                                        ; kill: killed $vgpr1
	s_and_saveexec_b64 s[48:49], vcc
	s_xor_b64 vcc, exec, s[48:49]
	s_cbranch_execz .LBB365_46
; %bb.45:                               ;   in Loop: Header=BB365_13 Depth=1
	v_bfe_u32 v1, v0, 16, 1
	v_add3_u32 v0, v0, v1, s52
	scratch_store_dword off, v0, s32 offset:400 ; 4-byte Folded Spill
                                        ; implicit-def: $vgpr0
.LBB365_46:                             ;   in Loop: Header=BB365_13 Depth=1
	s_andn2_saveexec_b64 s[48:49], vcc
	s_cbranch_execz .LBB365_48
; %bb.47:                               ;   in Loop: Header=BB365_13 Depth=1
	v_accvgpr_read_b32 v2, a28
	v_accvgpr_read_b32 v3, a29
	v_or_b32_e32 v1, 0x10000, v0
	v_cmp_eq_u32_sdwa vcc, v0, v3 src0_sel:WORD_0 src1_sel:DWORD
	s_nop 1
	v_cndmask_b32_e32 v0, v1, v0, vcc
	scratch_store_dword off, v0, s32 offset:400 ; 4-byte Folded Spill
.LBB365_48:                             ;   in Loop: Header=BB365_13 Depth=1
	s_or_b64 exec, exec, s[48:49]
	flat_load_dword v0, v[60:61] offset:512
	s_waitcnt vmcnt(0) lgkmcnt(0)
	v_and_b32_e32 v1, 0xff, v0
	v_cvt_f32_fp8_sdwa v1, v1 src0_sel:BYTE_0
	s_nop 0
	v_mul_f32_e32 v1, v22, v1
	v_and_b32_e32 v2, 0x7f800000, v1
	v_cmp_ne_u32_e32 vcc, s51, v2
                                        ; implicit-def: $vgpr2
                                        ; kill: killed $vgpr2
	s_and_saveexec_b64 s[48:49], vcc
	s_xor_b64 vcc, exec, s[48:49]
	s_cbranch_execz .LBB365_50
; %bb.49:                               ;   in Loop: Header=BB365_13 Depth=1
	v_bfe_u32 v2, v1, 16, 1
	v_add3_u32 v1, v1, v2, s52
	scratch_store_dword off, v1, s32 offset:404 ; 4-byte Folded Spill
                                        ; implicit-def: $vgpr1
.LBB365_50:                             ;   in Loop: Header=BB365_13 Depth=1
	s_andn2_saveexec_b64 s[48:49], vcc
	s_cbranch_execz .LBB365_52
; %bb.51:                               ;   in Loop: Header=BB365_13 Depth=1
	v_accvgpr_read_b32 v4, a28
	v_accvgpr_read_b32 v5, a29
	v_or_b32_e32 v2, 0x10000, v1
	v_cmp_eq_u32_sdwa vcc, v1, v5 src0_sel:WORD_0 src1_sel:DWORD
	s_nop 1
	v_cndmask_b32_e32 v1, v2, v1, vcc
	scratch_store_dword off, v1, s32 offset:404 ; 4-byte Folded Spill
.LBB365_52:                             ;   in Loop: Header=BB365_13 Depth=1
	s_or_b64 exec, exec, s[48:49]
	v_bfe_u32 v1, v0, 8, 8
	v_cvt_f32_fp8_sdwa v1, v1 src0_sel:BYTE_0
	s_nop 0
	v_mul_f32_e32 v1, v22, v1
	v_and_b32_e32 v2, 0x7f800000, v1
	v_cmp_ne_u32_e32 vcc, s51, v2
                                        ; implicit-def: $vgpr2
                                        ; kill: killed $vgpr2
	s_and_saveexec_b64 s[48:49], vcc
	s_xor_b64 vcc, exec, s[48:49]
	s_cbranch_execz .LBB365_54
; %bb.53:                               ;   in Loop: Header=BB365_13 Depth=1
	v_bfe_u32 v2, v1, 16, 1
	v_add3_u32 v1, v1, v2, s52
	scratch_store_dword off, v1, s32 offset:408 ; 4-byte Folded Spill
                                        ; implicit-def: $vgpr1
.LBB365_54:                             ;   in Loop: Header=BB365_13 Depth=1
	s_andn2_saveexec_b64 s[48:49], vcc
	s_cbranch_execz .LBB365_56
; %bb.55:                               ;   in Loop: Header=BB365_13 Depth=1
	v_accvgpr_read_b32 v4, a28
	v_accvgpr_read_b32 v5, a29
	v_or_b32_e32 v2, 0x10000, v1
	v_cmp_eq_u32_sdwa vcc, v1, v5 src0_sel:WORD_0 src1_sel:DWORD
	s_nop 1
	v_cndmask_b32_e32 v1, v2, v1, vcc
	scratch_store_dword off, v1, s32 offset:408 ; 4-byte Folded Spill
.LBB365_56:                             ;   in Loop: Header=BB365_13 Depth=1
	s_or_b64 exec, exec, s[48:49]
	v_bfe_u32 v1, v0, 16, 8
	v_cvt_f32_fp8_sdwa v1, v1 src0_sel:BYTE_0
	s_nop 0
	v_mul_f32_e32 v1, v22, v1
	v_and_b32_e32 v2, 0x7f800000, v1
	v_cmp_ne_u32_e32 vcc, s51, v2
                                        ; implicit-def: $vgpr2
                                        ; kill: killed $vgpr2
	s_and_saveexec_b64 s[48:49], vcc
	s_xor_b64 vcc, exec, s[48:49]
	s_cbranch_execz .LBB365_58
; %bb.57:                               ;   in Loop: Header=BB365_13 Depth=1
	v_bfe_u32 v2, v1, 16, 1
	v_add3_u32 v1, v1, v2, s52
	scratch_store_dword off, v1, s32 offset:416 ; 4-byte Folded Spill
                                        ; implicit-def: $vgpr1
.LBB365_58:                             ;   in Loop: Header=BB365_13 Depth=1
	s_andn2_saveexec_b64 s[48:49], vcc
	s_cbranch_execz .LBB365_60
; %bb.59:                               ;   in Loop: Header=BB365_13 Depth=1
	v_accvgpr_read_b32 v4, a28
	v_accvgpr_read_b32 v5, a29
	v_or_b32_e32 v2, 0x10000, v1
	v_cmp_eq_u32_sdwa vcc, v1, v5 src0_sel:WORD_0 src1_sel:DWORD
	s_nop 1
	v_cndmask_b32_e32 v1, v2, v1, vcc
	scratch_store_dword off, v1, s32 offset:416 ; 4-byte Folded Spill
.LBB365_60:                             ;   in Loop: Header=BB365_13 Depth=1
	s_or_b64 exec, exec, s[48:49]
	v_lshrrev_b32_e32 v0, 24, v0
	v_cvt_f32_fp8_sdwa v0, v0 src0_sel:BYTE_0
	s_nop 0
	v_mul_f32_e32 v0, v22, v0
	v_and_b32_e32 v1, 0x7f800000, v0
	v_cmp_ne_u32_e32 vcc, s51, v1
                                        ; implicit-def: $vgpr1
                                        ; kill: killed $vgpr1
	s_and_saveexec_b64 s[48:49], vcc
	s_xor_b64 vcc, exec, s[48:49]
	s_cbranch_execz .LBB365_62
; %bb.61:                               ;   in Loop: Header=BB365_13 Depth=1
	v_bfe_u32 v1, v0, 16, 1
	v_add3_u32 v0, v0, v1, s52
	scratch_store_dword off, v0, s32 offset:412 ; 4-byte Folded Spill
                                        ; implicit-def: $vgpr0
.LBB365_62:                             ;   in Loop: Header=BB365_13 Depth=1
	s_andn2_saveexec_b64 s[48:49], vcc
	s_cbranch_execz .LBB365_64
; %bb.63:                               ;   in Loop: Header=BB365_13 Depth=1
	v_accvgpr_read_b32 v2, a28
	v_accvgpr_read_b32 v3, a29
	v_or_b32_e32 v1, 0x10000, v0
	v_cmp_eq_u32_sdwa vcc, v0, v3 src0_sel:WORD_0 src1_sel:DWORD
	s_nop 1
	v_cndmask_b32_e32 v0, v1, v0, vcc
	scratch_store_dword off, v0, s32 offset:412 ; 4-byte Folded Spill
.LBB365_64:                             ;   in Loop: Header=BB365_13 Depth=1
	s_or_b64 exec, exec, s[48:49]
	flat_load_dword v0, v[60:61] offset:520
	s_waitcnt vmcnt(0) lgkmcnt(0)
	v_and_b32_e32 v1, 0xff, v0
	v_cvt_f32_fp8_sdwa v1, v1 src0_sel:BYTE_0
	s_nop 0
	v_mul_f32_e32 v1, v22, v1
	v_and_b32_e32 v2, 0x7f800000, v1
	v_cmp_ne_u32_e32 vcc, s51, v2
                                        ; implicit-def: $vgpr2
                                        ; kill: killed $vgpr2
	s_and_saveexec_b64 s[48:49], vcc
	s_xor_b64 vcc, exec, s[48:49]
	s_cbranch_execz .LBB365_66
; %bb.65:                               ;   in Loop: Header=BB365_13 Depth=1
	v_bfe_u32 v2, v1, 16, 1
	v_add3_u32 v1, v1, v2, s52
	scratch_store_dword off, v1, s32 offset:420 ; 4-byte Folded Spill
                                        ; implicit-def: $vgpr1
.LBB365_66:                             ;   in Loop: Header=BB365_13 Depth=1
	s_andn2_saveexec_b64 s[48:49], vcc
	s_cbranch_execz .LBB365_68
; %bb.67:                               ;   in Loop: Header=BB365_13 Depth=1
	v_accvgpr_read_b32 v4, a28
	v_accvgpr_read_b32 v5, a29
	v_or_b32_e32 v2, 0x10000, v1
	v_cmp_eq_u32_sdwa vcc, v1, v5 src0_sel:WORD_0 src1_sel:DWORD
	s_nop 1
	v_cndmask_b32_e32 v1, v2, v1, vcc
	scratch_store_dword off, v1, s32 offset:420 ; 4-byte Folded Spill
.LBB365_68:                             ;   in Loop: Header=BB365_13 Depth=1
	s_or_b64 exec, exec, s[48:49]
	v_bfe_u32 v1, v0, 8, 8
	v_cvt_f32_fp8_sdwa v1, v1 src0_sel:BYTE_0
	s_nop 0
	v_mul_f32_e32 v1, v22, v1
	v_and_b32_e32 v2, 0x7f800000, v1
	v_cmp_ne_u32_e32 vcc, s51, v2
                                        ; implicit-def: $vgpr2
                                        ; kill: killed $vgpr2
	s_and_saveexec_b64 s[48:49], vcc
	s_xor_b64 vcc, exec, s[48:49]
	s_cbranch_execz .LBB365_70
; %bb.69:                               ;   in Loop: Header=BB365_13 Depth=1
	v_bfe_u32 v2, v1, 16, 1
	v_add3_u32 v1, v1, v2, s52
	scratch_store_dword off, v1, s32 offset:428 ; 4-byte Folded Spill
                                        ; implicit-def: $vgpr1
.LBB365_70:                             ;   in Loop: Header=BB365_13 Depth=1
	s_andn2_saveexec_b64 s[48:49], vcc
	s_cbranch_execz .LBB365_72
; %bb.71:                               ;   in Loop: Header=BB365_13 Depth=1
	v_accvgpr_read_b32 v4, a28
	v_accvgpr_read_b32 v5, a29
	v_or_b32_e32 v2, 0x10000, v1
	v_cmp_eq_u32_sdwa vcc, v1, v5 src0_sel:WORD_0 src1_sel:DWORD
	s_nop 1
	v_cndmask_b32_e32 v1, v2, v1, vcc
	scratch_store_dword off, v1, s32 offset:428 ; 4-byte Folded Spill
.LBB365_72:                             ;   in Loop: Header=BB365_13 Depth=1
	s_or_b64 exec, exec, s[48:49]
	v_bfe_u32 v1, v0, 16, 8
	v_cvt_f32_fp8_sdwa v1, v1 src0_sel:BYTE_0
	s_nop 0
	v_mul_f32_e32 v1, v22, v1
	v_and_b32_e32 v2, 0x7f800000, v1
	v_cmp_ne_u32_e32 vcc, s51, v2
                                        ; implicit-def: $vgpr2
                                        ; kill: killed $vgpr2
	s_and_saveexec_b64 s[48:49], vcc
	s_xor_b64 vcc, exec, s[48:49]
	s_cbranch_execz .LBB365_74
; %bb.73:                               ;   in Loop: Header=BB365_13 Depth=1
	v_bfe_u32 v2, v1, 16, 1
	v_add3_u32 v1, v1, v2, s52
	scratch_store_dword off, v1, s32 offset:432 ; 4-byte Folded Spill
                                        ; implicit-def: $vgpr1
.LBB365_74:                             ;   in Loop: Header=BB365_13 Depth=1
	s_andn2_saveexec_b64 s[48:49], vcc
	s_cbranch_execz .LBB365_76
; %bb.75:                               ;   in Loop: Header=BB365_13 Depth=1
	v_accvgpr_read_b32 v4, a28
	v_accvgpr_read_b32 v5, a29
	v_or_b32_e32 v2, 0x10000, v1
	v_cmp_eq_u32_sdwa vcc, v1, v5 src0_sel:WORD_0 src1_sel:DWORD
	s_nop 1
	v_cndmask_b32_e32 v1, v2, v1, vcc
	scratch_store_dword off, v1, s32 offset:432 ; 4-byte Folded Spill
.LBB365_76:                             ;   in Loop: Header=BB365_13 Depth=1
	s_or_b64 exec, exec, s[48:49]
	v_lshrrev_b32_e32 v0, 24, v0
	v_cvt_f32_fp8_sdwa v0, v0 src0_sel:BYTE_0
	s_nop 0
	v_mul_f32_e32 v0, v22, v0
	v_and_b32_e32 v1, 0x7f800000, v0
	v_cmp_ne_u32_e32 vcc, s51, v1
                                        ; implicit-def: $vgpr1
                                        ; kill: killed $vgpr1
	s_and_saveexec_b64 s[48:49], vcc
	s_xor_b64 vcc, exec, s[48:49]
	s_cbranch_execz .LBB365_78
; %bb.77:                               ;   in Loop: Header=BB365_13 Depth=1
	v_bfe_u32 v1, v0, 16, 1
	v_add3_u32 v0, v0, v1, s52
	scratch_store_dword off, v0, s32 offset:436 ; 4-byte Folded Spill
                                        ; implicit-def: $vgpr0
.LBB365_78:                             ;   in Loop: Header=BB365_13 Depth=1
	s_andn2_saveexec_b64 s[48:49], vcc
	s_cbranch_execz .LBB365_80
; %bb.79:                               ;   in Loop: Header=BB365_13 Depth=1
	v_accvgpr_read_b32 v2, a28
	v_accvgpr_read_b32 v3, a29
	v_or_b32_e32 v1, 0x10000, v0
	v_cmp_eq_u32_sdwa vcc, v0, v3 src0_sel:WORD_0 src1_sel:DWORD
	s_nop 1
	v_cndmask_b32_e32 v0, v1, v0, vcc
	scratch_store_dword off, v0, s32 offset:436 ; 4-byte Folded Spill
.LBB365_80:                             ;   in Loop: Header=BB365_13 Depth=1
	s_or_b64 exec, exec, s[48:49]
	flat_load_dword v0, v[60:61] offset:1024
	s_waitcnt vmcnt(0) lgkmcnt(0)
	v_and_b32_e32 v1, 0xff, v0
	v_cvt_f32_fp8_sdwa v1, v1 src0_sel:BYTE_0
	s_nop 0
	v_mul_f32_e32 v1, v22, v1
	v_and_b32_e32 v2, 0x7f800000, v1
	v_cmp_ne_u32_e32 vcc, s51, v2
                                        ; implicit-def: $vgpr2
                                        ; kill: killed $vgpr2
	s_and_saveexec_b64 s[48:49], vcc
	s_xor_b64 vcc, exec, s[48:49]
	s_cbranch_execz .LBB365_82
; %bb.81:                               ;   in Loop: Header=BB365_13 Depth=1
	v_bfe_u32 v2, v1, 16, 1
	v_add3_u32 v1, v1, v2, s52
	scratch_store_dword off, v1, s32 offset:440 ; 4-byte Folded Spill
                                        ; implicit-def: $vgpr1
.LBB365_82:                             ;   in Loop: Header=BB365_13 Depth=1
	s_andn2_saveexec_b64 s[48:49], vcc
	s_cbranch_execz .LBB365_84
; %bb.83:                               ;   in Loop: Header=BB365_13 Depth=1
	v_accvgpr_read_b32 v4, a28
	v_accvgpr_read_b32 v5, a29
	v_or_b32_e32 v2, 0x10000, v1
	v_cmp_eq_u32_sdwa vcc, v1, v5 src0_sel:WORD_0 src1_sel:DWORD
	s_nop 1
	v_cndmask_b32_e32 v1, v2, v1, vcc
	scratch_store_dword off, v1, s32 offset:440 ; 4-byte Folded Spill
.LBB365_84:                             ;   in Loop: Header=BB365_13 Depth=1
	s_or_b64 exec, exec, s[48:49]
	v_bfe_u32 v1, v0, 8, 8
	v_cvt_f32_fp8_sdwa v1, v1 src0_sel:BYTE_0
	s_nop 0
	v_mul_f32_e32 v1, v22, v1
	v_and_b32_e32 v2, 0x7f800000, v1
	v_cmp_ne_u32_e32 vcc, s51, v2
                                        ; implicit-def: $vgpr2
                                        ; kill: killed $vgpr2
	s_and_saveexec_b64 s[48:49], vcc
	s_xor_b64 vcc, exec, s[48:49]
	s_cbranch_execz .LBB365_86
; %bb.85:                               ;   in Loop: Header=BB365_13 Depth=1
	v_bfe_u32 v2, v1, 16, 1
	v_add3_u32 v1, v1, v2, s52
	scratch_store_dword off, v1, s32 offset:456 ; 4-byte Folded Spill
                                        ; implicit-def: $vgpr1
.LBB365_86:                             ;   in Loop: Header=BB365_13 Depth=1
	s_andn2_saveexec_b64 s[48:49], vcc
	s_cbranch_execz .LBB365_88
; %bb.87:                               ;   in Loop: Header=BB365_13 Depth=1
	v_accvgpr_read_b32 v4, a28
	v_accvgpr_read_b32 v5, a29
	v_or_b32_e32 v2, 0x10000, v1
	v_cmp_eq_u32_sdwa vcc, v1, v5 src0_sel:WORD_0 src1_sel:DWORD
	s_nop 1
	v_cndmask_b32_e32 v1, v2, v1, vcc
	scratch_store_dword off, v1, s32 offset:456 ; 4-byte Folded Spill
.LBB365_88:                             ;   in Loop: Header=BB365_13 Depth=1
	s_or_b64 exec, exec, s[48:49]
	v_bfe_u32 v1, v0, 16, 8
	v_cvt_f32_fp8_sdwa v1, v1 src0_sel:BYTE_0
	s_nop 0
	v_mul_f32_e32 v1, v22, v1
	v_and_b32_e32 v2, 0x7f800000, v1
	v_cmp_ne_u32_e32 vcc, s51, v2
                                        ; implicit-def: $vgpr2
                                        ; kill: killed $vgpr2
	s_and_saveexec_b64 s[48:49], vcc
	s_xor_b64 vcc, exec, s[48:49]
	s_cbranch_execz .LBB365_90
; %bb.89:                               ;   in Loop: Header=BB365_13 Depth=1
	v_bfe_u32 v2, v1, 16, 1
	v_add3_u32 v1, v1, v2, s52
	scratch_store_dword off, v1, s32 offset:468 ; 4-byte Folded Spill
                                        ; implicit-def: $vgpr1
.LBB365_90:                             ;   in Loop: Header=BB365_13 Depth=1
	s_andn2_saveexec_b64 s[48:49], vcc
	s_cbranch_execz .LBB365_92
; %bb.91:                               ;   in Loop: Header=BB365_13 Depth=1
	v_accvgpr_read_b32 v4, a28
	v_accvgpr_read_b32 v5, a29
	v_or_b32_e32 v2, 0x10000, v1
	v_cmp_eq_u32_sdwa vcc, v1, v5 src0_sel:WORD_0 src1_sel:DWORD
	s_nop 1
	v_cndmask_b32_e32 v1, v2, v1, vcc
	scratch_store_dword off, v1, s32 offset:468 ; 4-byte Folded Spill
.LBB365_92:                             ;   in Loop: Header=BB365_13 Depth=1
	s_or_b64 exec, exec, s[48:49]
	v_lshrrev_b32_e32 v0, 24, v0
	v_cvt_f32_fp8_sdwa v0, v0 src0_sel:BYTE_0
	s_nop 0
	v_mul_f32_e32 v0, v22, v0
	v_and_b32_e32 v1, 0x7f800000, v0
	v_cmp_ne_u32_e32 vcc, s51, v1
                                        ; implicit-def: $vgpr1
                                        ; kill: killed $vgpr1
	s_and_saveexec_b64 s[48:49], vcc
	s_xor_b64 vcc, exec, s[48:49]
	s_cbranch_execz .LBB365_94
; %bb.93:                               ;   in Loop: Header=BB365_13 Depth=1
	v_bfe_u32 v1, v0, 16, 1
	v_add3_u32 v0, v0, v1, s52
	scratch_store_dword off, v0, s32 offset:476 ; 4-byte Folded Spill
                                        ; implicit-def: $vgpr0
.LBB365_94:                             ;   in Loop: Header=BB365_13 Depth=1
	s_andn2_saveexec_b64 s[48:49], vcc
	s_cbranch_execz .LBB365_96
; %bb.95:                               ;   in Loop: Header=BB365_13 Depth=1
	v_accvgpr_read_b32 v2, a28
	v_accvgpr_read_b32 v3, a29
	v_or_b32_e32 v1, 0x10000, v0
	v_cmp_eq_u32_sdwa vcc, v0, v3 src0_sel:WORD_0 src1_sel:DWORD
	s_nop 1
	v_cndmask_b32_e32 v0, v1, v0, vcc
	scratch_store_dword off, v0, s32 offset:476 ; 4-byte Folded Spill
.LBB365_96:                             ;   in Loop: Header=BB365_13 Depth=1
	s_or_b64 exec, exec, s[48:49]
	flat_load_dword v0, v[60:61] offset:1032
	s_waitcnt vmcnt(0) lgkmcnt(0)
	v_and_b32_e32 v1, 0xff, v0
	v_cvt_f32_fp8_sdwa v1, v1 src0_sel:BYTE_0
	s_nop 0
	v_mul_f32_e32 v1, v22, v1
	v_and_b32_e32 v2, 0x7f800000, v1
	v_cmp_ne_u32_e32 vcc, s51, v2
                                        ; implicit-def: $vgpr2
                                        ; kill: killed $vgpr2
	s_and_saveexec_b64 s[48:49], vcc
	s_xor_b64 vcc, exec, s[48:49]
	s_cbranch_execz .LBB365_98
; %bb.97:                               ;   in Loop: Header=BB365_13 Depth=1
	v_bfe_u32 v2, v1, 16, 1
	v_add3_u32 v1, v1, v2, s52
	scratch_store_dword off, v1, s32 offset:480 ; 4-byte Folded Spill
                                        ; implicit-def: $vgpr1
.LBB365_98:                             ;   in Loop: Header=BB365_13 Depth=1
	s_andn2_saveexec_b64 s[48:49], vcc
	s_cbranch_execz .LBB365_100
; %bb.99:                               ;   in Loop: Header=BB365_13 Depth=1
	v_accvgpr_read_b32 v4, a28
	v_accvgpr_read_b32 v5, a29
	v_or_b32_e32 v2, 0x10000, v1
	v_cmp_eq_u32_sdwa vcc, v1, v5 src0_sel:WORD_0 src1_sel:DWORD
	s_nop 1
	v_cndmask_b32_e32 v1, v2, v1, vcc
	scratch_store_dword off, v1, s32 offset:480 ; 4-byte Folded Spill
.LBB365_100:                            ;   in Loop: Header=BB365_13 Depth=1
	s_or_b64 exec, exec, s[48:49]
	v_bfe_u32 v1, v0, 8, 8
	v_cvt_f32_fp8_sdwa v1, v1 src0_sel:BYTE_0
	s_nop 0
	v_mul_f32_e32 v1, v22, v1
	v_and_b32_e32 v2, 0x7f800000, v1
	v_cmp_ne_u32_e32 vcc, s51, v2
                                        ; implicit-def: $vgpr2
                                        ; kill: killed $vgpr2
	s_and_saveexec_b64 s[48:49], vcc
	s_xor_b64 vcc, exec, s[48:49]
	s_cbranch_execz .LBB365_102
; %bb.101:                              ;   in Loop: Header=BB365_13 Depth=1
	v_bfe_u32 v2, v1, 16, 1
	v_add3_u32 v1, v1, v2, s52
	scratch_store_dword off, v1, s32 offset:520 ; 4-byte Folded Spill
                                        ; implicit-def: $vgpr1
.LBB365_102:                            ;   in Loop: Header=BB365_13 Depth=1
	s_andn2_saveexec_b64 s[48:49], vcc
	s_cbranch_execz .LBB365_104
; %bb.103:                              ;   in Loop: Header=BB365_13 Depth=1
	v_accvgpr_read_b32 v4, a28
	v_accvgpr_read_b32 v5, a29
	v_or_b32_e32 v2, 0x10000, v1
	v_cmp_eq_u32_sdwa vcc, v1, v5 src0_sel:WORD_0 src1_sel:DWORD
	s_nop 1
	v_cndmask_b32_e32 v1, v2, v1, vcc
	scratch_store_dword off, v1, s32 offset:520 ; 4-byte Folded Spill
.LBB365_104:                            ;   in Loop: Header=BB365_13 Depth=1
	s_or_b64 exec, exec, s[48:49]
	v_bfe_u32 v1, v0, 16, 8
	v_cvt_f32_fp8_sdwa v1, v1 src0_sel:BYTE_0
	s_nop 0
	v_mul_f32_e32 v1, v22, v1
	v_and_b32_e32 v2, 0x7f800000, v1
	v_cmp_ne_u32_e32 vcc, s51, v2
                                        ; implicit-def: $vgpr2
                                        ; kill: killed $vgpr2
	s_and_saveexec_b64 s[48:49], vcc
	s_xor_b64 vcc, exec, s[48:49]
	s_cbranch_execz .LBB365_106
; %bb.105:                              ;   in Loop: Header=BB365_13 Depth=1
	v_bfe_u32 v2, v1, 16, 1
	v_add3_u32 v1, v1, v2, s52
	scratch_store_dword off, v1, s32 offset:544 ; 4-byte Folded Spill
                                        ; implicit-def: $vgpr1
.LBB365_106:                            ;   in Loop: Header=BB365_13 Depth=1
	s_andn2_saveexec_b64 s[48:49], vcc
	s_cbranch_execz .LBB365_108
; %bb.107:                              ;   in Loop: Header=BB365_13 Depth=1
	v_accvgpr_read_b32 v4, a28
	v_accvgpr_read_b32 v5, a29
	v_or_b32_e32 v2, 0x10000, v1
	v_cmp_eq_u32_sdwa vcc, v1, v5 src0_sel:WORD_0 src1_sel:DWORD
	s_nop 1
	v_cndmask_b32_e32 v1, v2, v1, vcc
	scratch_store_dword off, v1, s32 offset:544 ; 4-byte Folded Spill
.LBB365_108:                            ;   in Loop: Header=BB365_13 Depth=1
	s_or_b64 exec, exec, s[48:49]
	v_lshrrev_b32_e32 v0, 24, v0
	v_cvt_f32_fp8_sdwa v0, v0 src0_sel:BYTE_0
	s_nop 0
	v_mul_f32_e32 v0, v22, v0
	v_and_b32_e32 v1, 0x7f800000, v0
	v_cmp_ne_u32_e32 vcc, s51, v1
                                        ; implicit-def: $vgpr1
                                        ; kill: killed $vgpr1
	s_and_saveexec_b64 s[48:49], vcc
	s_xor_b64 vcc, exec, s[48:49]
	s_cbranch_execz .LBB365_110
; %bb.109:                              ;   in Loop: Header=BB365_13 Depth=1
	v_bfe_u32 v1, v0, 16, 1
	v_add3_u32 v0, v0, v1, s52
	scratch_store_dword off, v0, s32 offset:580 ; 4-byte Folded Spill
                                        ; implicit-def: $vgpr0
.LBB365_110:                            ;   in Loop: Header=BB365_13 Depth=1
	s_andn2_saveexec_b64 s[48:49], vcc
	s_cbranch_execz .LBB365_112
; %bb.111:                              ;   in Loop: Header=BB365_13 Depth=1
	v_accvgpr_read_b32 v2, a28
	v_accvgpr_read_b32 v3, a29
	v_or_b32_e32 v1, 0x10000, v0
	v_cmp_eq_u32_sdwa vcc, v0, v3 src0_sel:WORD_0 src1_sel:DWORD
	s_nop 1
	v_cndmask_b32_e32 v0, v1, v0, vcc
	scratch_store_dword off, v0, s32 offset:580 ; 4-byte Folded Spill
.LBB365_112:                            ;   in Loop: Header=BB365_13 Depth=1
	s_or_b64 exec, exec, s[48:49]
	flat_load_dword v0, v[60:61] offset:1536
	s_waitcnt vmcnt(0) lgkmcnt(0)
	v_and_b32_e32 v1, 0xff, v0
	v_cvt_f32_fp8_sdwa v1, v1 src0_sel:BYTE_0
	s_nop 0
	v_mul_f32_e32 v1, v22, v1
	v_and_b32_e32 v2, 0x7f800000, v1
	v_cmp_ne_u32_e32 vcc, s51, v2
                                        ; implicit-def: $vgpr2
                                        ; kill: killed $vgpr2
	s_and_saveexec_b64 s[48:49], vcc
	s_xor_b64 vcc, exec, s[48:49]
	s_cbranch_execz .LBB365_114
; %bb.113:                              ;   in Loop: Header=BB365_13 Depth=1
	v_bfe_u32 v2, v1, 16, 1
	v_add3_u32 v1, v1, v2, s52
	scratch_store_dword off, v1, s32 offset:592 ; 4-byte Folded Spill
                                        ; implicit-def: $vgpr1
.LBB365_114:                            ;   in Loop: Header=BB365_13 Depth=1
	s_andn2_saveexec_b64 s[48:49], vcc
	s_cbranch_execz .LBB365_116
; %bb.115:                              ;   in Loop: Header=BB365_13 Depth=1
	v_accvgpr_read_b32 v4, a28
	v_accvgpr_read_b32 v5, a29
	v_or_b32_e32 v2, 0x10000, v1
	v_cmp_eq_u32_sdwa vcc, v1, v5 src0_sel:WORD_0 src1_sel:DWORD
	s_nop 1
	v_cndmask_b32_e32 v1, v2, v1, vcc
	scratch_store_dword off, v1, s32 offset:592 ; 4-byte Folded Spill
.LBB365_116:                            ;   in Loop: Header=BB365_13 Depth=1
	s_or_b64 exec, exec, s[48:49]
	v_bfe_u32 v1, v0, 8, 8
	v_cvt_f32_fp8_sdwa v1, v1 src0_sel:BYTE_0
	s_nop 0
	v_mul_f32_e32 v1, v22, v1
	v_and_b32_e32 v2, 0x7f800000, v1
	v_cmp_ne_u32_e32 vcc, s51, v2
                                        ; implicit-def: $vgpr2
                                        ; kill: killed $vgpr2
	s_and_saveexec_b64 s[48:49], vcc
	s_xor_b64 vcc, exec, s[48:49]
	s_cbranch_execz .LBB365_118
; %bb.117:                              ;   in Loop: Header=BB365_13 Depth=1
	v_bfe_u32 v2, v1, 16, 1
	v_add3_u32 v1, v1, v2, s52
	scratch_store_dword off, v1, s32 offset:600 ; 4-byte Folded Spill
                                        ; implicit-def: $vgpr1
.LBB365_118:                            ;   in Loop: Header=BB365_13 Depth=1
	s_andn2_saveexec_b64 s[48:49], vcc
	s_cbranch_execz .LBB365_120
; %bb.119:                              ;   in Loop: Header=BB365_13 Depth=1
	v_accvgpr_read_b32 v4, a28
	v_accvgpr_read_b32 v5, a29
	v_or_b32_e32 v2, 0x10000, v1
	v_cmp_eq_u32_sdwa vcc, v1, v5 src0_sel:WORD_0 src1_sel:DWORD
	s_nop 1
	v_cndmask_b32_e32 v1, v2, v1, vcc
	scratch_store_dword off, v1, s32 offset:600 ; 4-byte Folded Spill
.LBB365_120:                            ;   in Loop: Header=BB365_13 Depth=1
	s_or_b64 exec, exec, s[48:49]
	v_bfe_u32 v1, v0, 16, 8
	v_cvt_f32_fp8_sdwa v1, v1 src0_sel:BYTE_0
	s_nop 0
	v_mul_f32_e32 v1, v22, v1
	v_and_b32_e32 v2, 0x7f800000, v1
	v_cmp_ne_u32_e32 vcc, s51, v2
                                        ; implicit-def: $vgpr2
                                        ; kill: killed $vgpr2
	s_and_saveexec_b64 s[48:49], vcc
	s_xor_b64 vcc, exec, s[48:49]
	s_cbranch_execz .LBB365_122
; %bb.121:                              ;   in Loop: Header=BB365_13 Depth=1
	v_bfe_u32 v2, v1, 16, 1
	v_add3_u32 v1, v1, v2, s52
	scratch_store_dword off, v1, s32 offset:604 ; 4-byte Folded Spill
                                        ; implicit-def: $vgpr1
.LBB365_122:                            ;   in Loop: Header=BB365_13 Depth=1
	s_andn2_saveexec_b64 s[48:49], vcc
	s_cbranch_execz .LBB365_124
; %bb.123:                              ;   in Loop: Header=BB365_13 Depth=1
	v_accvgpr_read_b32 v4, a28
	v_accvgpr_read_b32 v5, a29
	v_or_b32_e32 v2, 0x10000, v1
	v_cmp_eq_u32_sdwa vcc, v1, v5 src0_sel:WORD_0 src1_sel:DWORD
	s_nop 1
	v_cndmask_b32_e32 v1, v2, v1, vcc
	scratch_store_dword off, v1, s32 offset:604 ; 4-byte Folded Spill
.LBB365_124:                            ;   in Loop: Header=BB365_13 Depth=1
	s_or_b64 exec, exec, s[48:49]
	v_lshrrev_b32_e32 v0, 24, v0
	v_cvt_f32_fp8_sdwa v0, v0 src0_sel:BYTE_0
	s_nop 0
	v_mul_f32_e32 v0, v22, v0
	v_and_b32_e32 v1, 0x7f800000, v0
	v_cmp_ne_u32_e32 vcc, s51, v1
                                        ; implicit-def: $vgpr1
                                        ; kill: killed $vgpr1
	s_and_saveexec_b64 s[48:49], vcc
	s_xor_b64 vcc, exec, s[48:49]
	s_cbranch_execz .LBB365_126
; %bb.125:                              ;   in Loop: Header=BB365_13 Depth=1
	v_bfe_u32 v1, v0, 16, 1
	v_add3_u32 v0, v0, v1, s52
	scratch_store_dword off, v0, s32 offset:620 ; 4-byte Folded Spill
                                        ; implicit-def: $vgpr0
.LBB365_126:                            ;   in Loop: Header=BB365_13 Depth=1
	s_andn2_saveexec_b64 s[48:49], vcc
	s_cbranch_execz .LBB365_128
; %bb.127:                              ;   in Loop: Header=BB365_13 Depth=1
	v_accvgpr_read_b32 v2, a28
	v_accvgpr_read_b32 v3, a29
	v_or_b32_e32 v1, 0x10000, v0
	v_cmp_eq_u32_sdwa vcc, v0, v3 src0_sel:WORD_0 src1_sel:DWORD
	s_nop 1
	v_cndmask_b32_e32 v0, v1, v0, vcc
	scratch_store_dword off, v0, s32 offset:620 ; 4-byte Folded Spill
.LBB365_128:                            ;   in Loop: Header=BB365_13 Depth=1
	s_or_b64 exec, exec, s[48:49]
	flat_load_dword v0, v[60:61] offset:1544
	s_waitcnt vmcnt(0) lgkmcnt(0)
	v_and_b32_e32 v1, 0xff, v0
	v_cvt_f32_fp8_sdwa v1, v1 src0_sel:BYTE_0
	s_nop 0
	v_mul_f32_e32 v1, v22, v1
	v_and_b32_e32 v2, 0x7f800000, v1
	v_cmp_ne_u32_e32 vcc, s51, v2
                                        ; implicit-def: $vgpr2
                                        ; kill: killed $vgpr2
	s_and_saveexec_b64 s[48:49], vcc
	s_xor_b64 vcc, exec, s[48:49]
	s_cbranch_execz .LBB365_130
; %bb.129:                              ;   in Loop: Header=BB365_13 Depth=1
	v_bfe_u32 v2, v1, 16, 1
	v_add3_u32 v1, v1, v2, s52
	scratch_store_dword off, v1, s32 offset:640 ; 4-byte Folded Spill
                                        ; implicit-def: $vgpr1
.LBB365_130:                            ;   in Loop: Header=BB365_13 Depth=1
	s_andn2_saveexec_b64 s[48:49], vcc
	s_cbranch_execz .LBB365_132
; %bb.131:                              ;   in Loop: Header=BB365_13 Depth=1
	v_accvgpr_read_b32 v4, a28
	v_accvgpr_read_b32 v5, a29
	v_or_b32_e32 v2, 0x10000, v1
	v_cmp_eq_u32_sdwa vcc, v1, v5 src0_sel:WORD_0 src1_sel:DWORD
	s_nop 1
	v_cndmask_b32_e32 v1, v2, v1, vcc
	scratch_store_dword off, v1, s32 offset:640 ; 4-byte Folded Spill
.LBB365_132:                            ;   in Loop: Header=BB365_13 Depth=1
	s_or_b64 exec, exec, s[48:49]
	v_bfe_u32 v1, v0, 8, 8
	v_cvt_f32_fp8_sdwa v1, v1 src0_sel:BYTE_0
	s_nop 0
	v_mul_f32_e32 v1, v22, v1
	v_and_b32_e32 v2, 0x7f800000, v1
	v_cmp_ne_u32_e32 vcc, s51, v2
                                        ; implicit-def: $vgpr2
                                        ; kill: killed $vgpr2
	s_and_saveexec_b64 s[48:49], vcc
	s_xor_b64 vcc, exec, s[48:49]
	s_cbranch_execz .LBB365_134
; %bb.133:                              ;   in Loop: Header=BB365_13 Depth=1
	v_bfe_u32 v2, v1, 16, 1
	v_add3_u32 v1, v1, v2, s52
	scratch_store_dword off, v1, s32 offset:660 ; 4-byte Folded Spill
                                        ; implicit-def: $vgpr1
.LBB365_134:                            ;   in Loop: Header=BB365_13 Depth=1
	s_andn2_saveexec_b64 s[48:49], vcc
	s_cbranch_execz .LBB365_136
; %bb.135:                              ;   in Loop: Header=BB365_13 Depth=1
	v_accvgpr_read_b32 v4, a28
	v_accvgpr_read_b32 v5, a29
	v_or_b32_e32 v2, 0x10000, v1
	v_cmp_eq_u32_sdwa vcc, v1, v5 src0_sel:WORD_0 src1_sel:DWORD
	s_nop 1
	v_cndmask_b32_e32 v1, v2, v1, vcc
	scratch_store_dword off, v1, s32 offset:660 ; 4-byte Folded Spill
.LBB365_136:                            ;   in Loop: Header=BB365_13 Depth=1
	s_or_b64 exec, exec, s[48:49]
	v_bfe_u32 v1, v0, 16, 8
	v_cvt_f32_fp8_sdwa v1, v1 src0_sel:BYTE_0
	s_nop 0
	v_mul_f32_e32 v1, v22, v1
	v_and_b32_e32 v2, 0x7f800000, v1
	v_cmp_ne_u32_e32 vcc, s51, v2
                                        ; implicit-def: $vgpr2
                                        ; kill: killed $vgpr2
	s_and_saveexec_b64 s[48:49], vcc
	s_xor_b64 vcc, exec, s[48:49]
	s_cbranch_execz .LBB365_138
; %bb.137:                              ;   in Loop: Header=BB365_13 Depth=1
	v_bfe_u32 v2, v1, 16, 1
	v_add3_u32 v1, v1, v2, s52
	scratch_store_dword off, v1, s32 offset:676 ; 4-byte Folded Spill
                                        ; implicit-def: $vgpr1
.LBB365_138:                            ;   in Loop: Header=BB365_13 Depth=1
	s_andn2_saveexec_b64 s[48:49], vcc
	s_cbranch_execz .LBB365_140
; %bb.139:                              ;   in Loop: Header=BB365_13 Depth=1
	v_accvgpr_read_b32 v4, a28
	v_accvgpr_read_b32 v5, a29
	v_or_b32_e32 v2, 0x10000, v1
	v_cmp_eq_u32_sdwa vcc, v1, v5 src0_sel:WORD_0 src1_sel:DWORD
	s_nop 1
	v_cndmask_b32_e32 v1, v2, v1, vcc
	scratch_store_dword off, v1, s32 offset:676 ; 4-byte Folded Spill
.LBB365_140:                            ;   in Loop: Header=BB365_13 Depth=1
	s_or_b64 exec, exec, s[48:49]
	v_lshrrev_b32_e32 v0, 24, v0
	v_cvt_f32_fp8_sdwa v0, v0 src0_sel:BYTE_0
	s_nop 0
	v_mul_f32_e32 v0, v22, v0
	v_and_b32_e32 v1, 0x7f800000, v0
	v_cmp_ne_u32_e32 vcc, s51, v1
                                        ; implicit-def: $vgpr1
                                        ; kill: killed $vgpr1
	s_and_saveexec_b64 s[48:49], vcc
	s_xor_b64 vcc, exec, s[48:49]
	s_cbranch_execz .LBB365_142
; %bb.141:                              ;   in Loop: Header=BB365_13 Depth=1
	v_bfe_u32 v1, v0, 16, 1
	v_add3_u32 v0, v0, v1, s52
	scratch_store_dword off, v0, s32 offset:680 ; 4-byte Folded Spill
                                        ; implicit-def: $vgpr0
.LBB365_142:                            ;   in Loop: Header=BB365_13 Depth=1
	s_andn2_saveexec_b64 s[48:49], vcc
	s_cbranch_execz .LBB365_144
; %bb.143:                              ;   in Loop: Header=BB365_13 Depth=1
	v_accvgpr_read_b32 v2, a28
	v_accvgpr_read_b32 v3, a29
	v_or_b32_e32 v1, 0x10000, v0
	v_cmp_eq_u32_sdwa vcc, v0, v3 src0_sel:WORD_0 src1_sel:DWORD
	s_nop 1
	v_cndmask_b32_e32 v0, v1, v0, vcc
	scratch_store_dword off, v0, s32 offset:680 ; 4-byte Folded Spill
.LBB365_144:                            ;   in Loop: Header=BB365_13 Depth=1
	s_or_b64 exec, exec, s[48:49]
	flat_load_dword v0, v[60:61] offset:2048
	s_waitcnt vmcnt(0) lgkmcnt(0)
	v_and_b32_e32 v1, 0xff, v0
	v_cvt_f32_fp8_sdwa v1, v1 src0_sel:BYTE_0
	s_nop 0
	v_mul_f32_e32 v1, v22, v1
	v_and_b32_e32 v2, 0x7f800000, v1
	v_cmp_ne_u32_e32 vcc, s51, v2
                                        ; implicit-def: $vgpr2
                                        ; kill: killed $vgpr2
	s_and_saveexec_b64 s[48:49], vcc
	s_xor_b64 vcc, exec, s[48:49]
	s_cbranch_execz .LBB365_146
; %bb.145:                              ;   in Loop: Header=BB365_13 Depth=1
	v_bfe_u32 v2, v1, 16, 1
	v_add3_u32 v1, v1, v2, s52
	scratch_store_dword off, v1, s32 offset:684 ; 4-byte Folded Spill
                                        ; implicit-def: $vgpr1
.LBB365_146:                            ;   in Loop: Header=BB365_13 Depth=1
	s_andn2_saveexec_b64 s[48:49], vcc
	s_cbranch_execz .LBB365_148
; %bb.147:                              ;   in Loop: Header=BB365_13 Depth=1
	v_accvgpr_read_b32 v4, a28
	v_accvgpr_read_b32 v5, a29
	v_or_b32_e32 v2, 0x10000, v1
	v_cmp_eq_u32_sdwa vcc, v1, v5 src0_sel:WORD_0 src1_sel:DWORD
	s_nop 1
	v_cndmask_b32_e32 v1, v2, v1, vcc
	scratch_store_dword off, v1, s32 offset:684 ; 4-byte Folded Spill
.LBB365_148:                            ;   in Loop: Header=BB365_13 Depth=1
	s_or_b64 exec, exec, s[48:49]
	v_bfe_u32 v1, v0, 8, 8
	v_cvt_f32_fp8_sdwa v1, v1 src0_sel:BYTE_0
                                        ; implicit-def: $agpr0
	s_nop 0
	v_mul_f32_e32 v1, v22, v1
	v_and_b32_e32 v2, 0x7f800000, v1
	v_cmp_ne_u32_e32 vcc, s51, v2
	s_and_saveexec_b64 s[48:49], vcc
	s_xor_b64 vcc, exec, s[48:49]
; %bb.149:                              ;   in Loop: Header=BB365_13 Depth=1
	v_bfe_u32 v2, v1, 16, 1
	v_add3_u32 v1, v1, v2, s52
	v_accvgpr_write_b32 a0, v1
                                        ; implicit-def: $vgpr1
; %bb.150:                              ;   in Loop: Header=BB365_13 Depth=1
	s_andn2_saveexec_b64 s[48:49], vcc
; %bb.151:                              ;   in Loop: Header=BB365_13 Depth=1
	v_accvgpr_read_b32 v4, a28
	v_accvgpr_read_b32 v5, a29
	v_or_b32_e32 v2, 0x10000, v1
	v_cmp_eq_u32_sdwa vcc, v1, v5 src0_sel:WORD_0 src1_sel:DWORD
	s_nop 1
	v_cndmask_b32_e32 v1, v2, v1, vcc
	v_accvgpr_write_b32 a0, v1
; %bb.152:                              ;   in Loop: Header=BB365_13 Depth=1
	s_or_b64 exec, exec, s[48:49]
	v_bfe_u32 v1, v0, 16, 8
	v_cvt_f32_fp8_sdwa v1, v1 src0_sel:BYTE_0
                                        ; implicit-def: $agpr7
	s_nop 0
	v_mul_f32_e32 v1, v22, v1
	v_and_b32_e32 v2, 0x7f800000, v1
	v_cmp_ne_u32_e32 vcc, s51, v2
	s_and_saveexec_b64 s[48:49], vcc
	s_xor_b64 vcc, exec, s[48:49]
; %bb.153:                              ;   in Loop: Header=BB365_13 Depth=1
	v_bfe_u32 v2, v1, 16, 1
	v_add3_u32 v1, v1, v2, s52
	v_accvgpr_write_b32 a7, v1
                                        ; implicit-def: $vgpr1
; %bb.154:                              ;   in Loop: Header=BB365_13 Depth=1
	s_andn2_saveexec_b64 s[48:49], vcc
; %bb.155:                              ;   in Loop: Header=BB365_13 Depth=1
	v_accvgpr_read_b32 v4, a28
	v_accvgpr_read_b32 v5, a29
	v_or_b32_e32 v2, 0x10000, v1
	v_cmp_eq_u32_sdwa vcc, v1, v5 src0_sel:WORD_0 src1_sel:DWORD
	s_nop 1
	v_cndmask_b32_e32 v1, v2, v1, vcc
	v_accvgpr_write_b32 a7, v1
; %bb.156:                              ;   in Loop: Header=BB365_13 Depth=1
	s_or_b64 exec, exec, s[48:49]
	v_lshrrev_b32_e32 v0, 24, v0
	v_cvt_f32_fp8_sdwa v0, v0 src0_sel:BYTE_0
                                        ; implicit-def: $vgpr56
	s_nop 0
	v_mul_f32_e32 v0, v22, v0
	v_and_b32_e32 v1, 0x7f800000, v0
	v_cmp_ne_u32_e32 vcc, s51, v1
	s_and_saveexec_b64 s[48:49], vcc
	s_xor_b64 vcc, exec, s[48:49]
; %bb.157:                              ;   in Loop: Header=BB365_13 Depth=1
	v_bfe_u32 v1, v0, 16, 1
	v_add3_u32 v56, v0, v1, s52
                                        ; implicit-def: $vgpr0
; %bb.158:                              ;   in Loop: Header=BB365_13 Depth=1
	s_andn2_saveexec_b64 s[48:49], vcc
; %bb.159:                              ;   in Loop: Header=BB365_13 Depth=1
	v_accvgpr_read_b32 v2, a28
	v_accvgpr_read_b32 v3, a29
	v_or_b32_e32 v1, 0x10000, v0
	v_cmp_eq_u32_sdwa vcc, v0, v3 src0_sel:WORD_0 src1_sel:DWORD
	s_nop 1
	v_cndmask_b32_e32 v56, v1, v0, vcc
; %bb.160:                              ;   in Loop: Header=BB365_13 Depth=1
	s_or_b64 exec, exec, s[48:49]
	flat_load_dword v0, v[60:61] offset:2056
                                        ; implicit-def: $agpr38
	s_waitcnt vmcnt(0) lgkmcnt(0)
	v_and_b32_e32 v1, 0xff, v0
	v_cvt_f32_fp8_sdwa v1, v1 src0_sel:BYTE_0
	s_nop 0
	v_mul_f32_e32 v1, v22, v1
	v_and_b32_e32 v2, 0x7f800000, v1
	v_cmp_ne_u32_e32 vcc, s51, v2
	s_and_saveexec_b64 s[48:49], vcc
	s_xor_b64 vcc, exec, s[48:49]
; %bb.161:                              ;   in Loop: Header=BB365_13 Depth=1
	v_bfe_u32 v2, v1, 16, 1
	v_add3_u32 v1, v1, v2, s52
	v_accvgpr_write_b32 a38, v1
                                        ; implicit-def: $vgpr1
; %bb.162:                              ;   in Loop: Header=BB365_13 Depth=1
	s_andn2_saveexec_b64 s[48:49], vcc
; %bb.163:                              ;   in Loop: Header=BB365_13 Depth=1
	v_accvgpr_read_b32 v4, a28
	v_accvgpr_read_b32 v5, a29
	v_or_b32_e32 v2, 0x10000, v1
	v_cmp_eq_u32_sdwa vcc, v1, v5 src0_sel:WORD_0 src1_sel:DWORD
	s_nop 1
	v_cndmask_b32_e32 v1, v2, v1, vcc
	v_accvgpr_write_b32 a38, v1
; %bb.164:                              ;   in Loop: Header=BB365_13 Depth=1
	s_or_b64 exec, exec, s[48:49]
	v_bfe_u32 v1, v0, 8, 8
	v_cvt_f32_fp8_sdwa v1, v1 src0_sel:BYTE_0
                                        ; implicit-def: $agpr39
	s_nop 0
	v_mul_f32_e32 v1, v22, v1
	v_and_b32_e32 v2, 0x7f800000, v1
	v_cmp_ne_u32_e32 vcc, s51, v2
	s_and_saveexec_b64 s[48:49], vcc
	s_xor_b64 vcc, exec, s[48:49]
; %bb.165:                              ;   in Loop: Header=BB365_13 Depth=1
	v_bfe_u32 v2, v1, 16, 1
	v_add3_u32 v1, v1, v2, s52
	v_accvgpr_write_b32 a39, v1
                                        ; implicit-def: $vgpr1
; %bb.166:                              ;   in Loop: Header=BB365_13 Depth=1
	s_andn2_saveexec_b64 s[48:49], vcc
; %bb.167:                              ;   in Loop: Header=BB365_13 Depth=1
	v_accvgpr_read_b32 v4, a28
	v_accvgpr_read_b32 v5, a29
	v_or_b32_e32 v2, 0x10000, v1
	v_cmp_eq_u32_sdwa vcc, v1, v5 src0_sel:WORD_0 src1_sel:DWORD
	s_nop 1
	v_cndmask_b32_e32 v1, v2, v1, vcc
	v_accvgpr_write_b32 a39, v1
; %bb.168:                              ;   in Loop: Header=BB365_13 Depth=1
	s_or_b64 exec, exec, s[48:49]
	v_bfe_u32 v1, v0, 16, 8
	v_cvt_f32_fp8_sdwa v1, v1 src0_sel:BYTE_0
                                        ; implicit-def: $agpr11
	s_nop 0
	v_mul_f32_e32 v1, v22, v1
	v_and_b32_e32 v2, 0x7f800000, v1
	v_cmp_ne_u32_e32 vcc, s51, v2
	s_and_saveexec_b64 s[48:49], vcc
	s_xor_b64 vcc, exec, s[48:49]
; %bb.169:                              ;   in Loop: Header=BB365_13 Depth=1
	v_bfe_u32 v2, v1, 16, 1
	v_add3_u32 v1, v1, v2, s52
	v_accvgpr_write_b32 a11, v1
                                        ; implicit-def: $vgpr1
; %bb.170:                              ;   in Loop: Header=BB365_13 Depth=1
	s_andn2_saveexec_b64 s[48:49], vcc
; %bb.171:                              ;   in Loop: Header=BB365_13 Depth=1
	v_accvgpr_read_b32 v4, a28
	v_accvgpr_read_b32 v5, a29
	v_or_b32_e32 v2, 0x10000, v1
	v_cmp_eq_u32_sdwa vcc, v1, v5 src0_sel:WORD_0 src1_sel:DWORD
	s_nop 1
	v_cndmask_b32_e32 v1, v2, v1, vcc
	v_accvgpr_write_b32 a11, v1
; %bb.172:                              ;   in Loop: Header=BB365_13 Depth=1
	s_or_b64 exec, exec, s[48:49]
	v_lshrrev_b32_e32 v0, 24, v0
	v_cvt_f32_fp8_sdwa v0, v0 src0_sel:BYTE_0
                                        ; implicit-def: $agpr9
	s_nop 0
	v_mul_f32_e32 v0, v22, v0
	v_and_b32_e32 v1, 0x7f800000, v0
	v_cmp_ne_u32_e32 vcc, s51, v1
	s_and_saveexec_b64 s[48:49], vcc
	s_xor_b64 vcc, exec, s[48:49]
; %bb.173:                              ;   in Loop: Header=BB365_13 Depth=1
	v_bfe_u32 v1, v0, 16, 1
	v_add3_u32 v0, v0, v1, s52
	v_accvgpr_write_b32 a9, v0
                                        ; implicit-def: $vgpr0
; %bb.174:                              ;   in Loop: Header=BB365_13 Depth=1
	s_andn2_saveexec_b64 s[48:49], vcc
; %bb.175:                              ;   in Loop: Header=BB365_13 Depth=1
	v_accvgpr_read_b32 v2, a28
	v_accvgpr_read_b32 v3, a29
	v_or_b32_e32 v1, 0x10000, v0
	v_cmp_eq_u32_sdwa vcc, v0, v3 src0_sel:WORD_0 src1_sel:DWORD
	s_nop 1
	v_cndmask_b32_e32 v0, v1, v0, vcc
	v_accvgpr_write_b32 a9, v0
; %bb.176:                              ;   in Loop: Header=BB365_13 Depth=1
	s_or_b64 exec, exec, s[48:49]
	flat_load_dword v0, v[60:61] offset:2560
                                        ; implicit-def: $agpr30
	s_waitcnt vmcnt(0) lgkmcnt(0)
	v_and_b32_e32 v1, 0xff, v0
	v_cvt_f32_fp8_sdwa v1, v1 src0_sel:BYTE_0
	s_nop 0
	v_mul_f32_e32 v1, v22, v1
	v_and_b32_e32 v2, 0x7f800000, v1
	v_cmp_ne_u32_e32 vcc, s51, v2
	s_and_saveexec_b64 s[48:49], vcc
	s_xor_b64 vcc, exec, s[48:49]
; %bb.177:                              ;   in Loop: Header=BB365_13 Depth=1
	v_bfe_u32 v2, v1, 16, 1
	v_add3_u32 v1, v1, v2, s52
	v_accvgpr_write_b32 a30, v1
                                        ; implicit-def: $vgpr1
; %bb.178:                              ;   in Loop: Header=BB365_13 Depth=1
	s_andn2_saveexec_b64 s[48:49], vcc
; %bb.179:                              ;   in Loop: Header=BB365_13 Depth=1
	v_accvgpr_read_b32 v4, a28
	v_accvgpr_read_b32 v5, a29
	v_or_b32_e32 v2, 0x10000, v1
	v_cmp_eq_u32_sdwa vcc, v1, v5 src0_sel:WORD_0 src1_sel:DWORD
	s_nop 1
	v_cndmask_b32_e32 v1, v2, v1, vcc
	v_accvgpr_write_b32 a30, v1
; %bb.180:                              ;   in Loop: Header=BB365_13 Depth=1
	s_or_b64 exec, exec, s[48:49]
	v_bfe_u32 v1, v0, 8, 8
	v_cvt_f32_fp8_sdwa v1, v1 src0_sel:BYTE_0
                                        ; implicit-def: $agpr31
	s_nop 0
	v_mul_f32_e32 v1, v22, v1
	v_and_b32_e32 v2, 0x7f800000, v1
	v_cmp_ne_u32_e32 vcc, s51, v2
	s_and_saveexec_b64 s[48:49], vcc
	s_xor_b64 vcc, exec, s[48:49]
; %bb.181:                              ;   in Loop: Header=BB365_13 Depth=1
	v_bfe_u32 v2, v1, 16, 1
	v_add3_u32 v1, v1, v2, s52
	v_accvgpr_write_b32 a31, v1
                                        ; implicit-def: $vgpr1
; %bb.182:                              ;   in Loop: Header=BB365_13 Depth=1
	s_andn2_saveexec_b64 s[48:49], vcc
; %bb.183:                              ;   in Loop: Header=BB365_13 Depth=1
	v_accvgpr_read_b32 v4, a28
	v_accvgpr_read_b32 v5, a29
	v_or_b32_e32 v2, 0x10000, v1
	v_cmp_eq_u32_sdwa vcc, v1, v5 src0_sel:WORD_0 src1_sel:DWORD
	s_nop 1
	v_cndmask_b32_e32 v1, v2, v1, vcc
	v_accvgpr_write_b32 a31, v1
; %bb.184:                              ;   in Loop: Header=BB365_13 Depth=1
	s_or_b64 exec, exec, s[48:49]
	v_bfe_u32 v1, v0, 16, 8
	v_cvt_f32_fp8_sdwa v1, v1 src0_sel:BYTE_0
                                        ; implicit-def: $agpr26
	s_nop 0
	v_mul_f32_e32 v1, v22, v1
	v_and_b32_e32 v2, 0x7f800000, v1
	v_cmp_ne_u32_e32 vcc, s51, v2
	s_and_saveexec_b64 s[48:49], vcc
	s_xor_b64 vcc, exec, s[48:49]
; %bb.185:                              ;   in Loop: Header=BB365_13 Depth=1
	v_bfe_u32 v2, v1, 16, 1
	v_add3_u32 v1, v1, v2, s52
	v_accvgpr_write_b32 a26, v1
                                        ; implicit-def: $vgpr1
; %bb.186:                              ;   in Loop: Header=BB365_13 Depth=1
	s_andn2_saveexec_b64 s[48:49], vcc
; %bb.187:                              ;   in Loop: Header=BB365_13 Depth=1
	v_accvgpr_read_b32 v4, a28
	v_accvgpr_read_b32 v5, a29
	v_or_b32_e32 v2, 0x10000, v1
	v_cmp_eq_u32_sdwa vcc, v1, v5 src0_sel:WORD_0 src1_sel:DWORD
	s_nop 1
	v_cndmask_b32_e32 v1, v2, v1, vcc
	v_accvgpr_write_b32 a26, v1
; %bb.188:                              ;   in Loop: Header=BB365_13 Depth=1
	s_or_b64 exec, exec, s[48:49]
	v_lshrrev_b32_e32 v0, 24, v0
	v_cvt_f32_fp8_sdwa v0, v0 src0_sel:BYTE_0
                                        ; implicit-def: $agpr27
	s_nop 0
	v_mul_f32_e32 v0, v22, v0
	v_and_b32_e32 v1, 0x7f800000, v0
	v_cmp_ne_u32_e32 vcc, s51, v1
	s_and_saveexec_b64 s[48:49], vcc
	s_xor_b64 vcc, exec, s[48:49]
; %bb.189:                              ;   in Loop: Header=BB365_13 Depth=1
	v_bfe_u32 v1, v0, 16, 1
	v_add3_u32 v0, v0, v1, s52
	v_accvgpr_write_b32 a27, v0
                                        ; implicit-def: $vgpr0
; %bb.190:                              ;   in Loop: Header=BB365_13 Depth=1
	s_andn2_saveexec_b64 s[48:49], vcc
; %bb.191:                              ;   in Loop: Header=BB365_13 Depth=1
	v_accvgpr_read_b32 v2, a28
	v_accvgpr_read_b32 v3, a29
	v_or_b32_e32 v1, 0x10000, v0
	v_cmp_eq_u32_sdwa vcc, v0, v3 src0_sel:WORD_0 src1_sel:DWORD
	s_nop 1
	v_cndmask_b32_e32 v0, v1, v0, vcc
	v_accvgpr_write_b32 a27, v0
; %bb.192:                              ;   in Loop: Header=BB365_13 Depth=1
	s_or_b64 exec, exec, s[48:49]
	flat_load_dword v0, v[60:61] offset:2568
                                        ; implicit-def: $agpr34
	s_waitcnt vmcnt(0) lgkmcnt(0)
	v_and_b32_e32 v1, 0xff, v0
	v_cvt_f32_fp8_sdwa v1, v1 src0_sel:BYTE_0
	s_nop 0
	v_mul_f32_e32 v1, v22, v1
	v_and_b32_e32 v2, 0x7f800000, v1
	v_cmp_ne_u32_e32 vcc, s51, v2
	s_and_saveexec_b64 s[48:49], vcc
	s_xor_b64 vcc, exec, s[48:49]
; %bb.193:                              ;   in Loop: Header=BB365_13 Depth=1
	v_bfe_u32 v2, v1, 16, 1
	v_add3_u32 v1, v1, v2, s52
	v_accvgpr_write_b32 a34, v1
                                        ; implicit-def: $vgpr1
; %bb.194:                              ;   in Loop: Header=BB365_13 Depth=1
	s_andn2_saveexec_b64 s[48:49], vcc
; %bb.195:                              ;   in Loop: Header=BB365_13 Depth=1
	v_accvgpr_read_b32 v4, a28
	v_accvgpr_read_b32 v5, a29
	v_or_b32_e32 v2, 0x10000, v1
	v_cmp_eq_u32_sdwa vcc, v1, v5 src0_sel:WORD_0 src1_sel:DWORD
	s_nop 1
	v_cndmask_b32_e32 v1, v2, v1, vcc
	v_accvgpr_write_b32 a34, v1
; %bb.196:                              ;   in Loop: Header=BB365_13 Depth=1
	s_or_b64 exec, exec, s[48:49]
	v_bfe_u32 v1, v0, 8, 8
	v_cvt_f32_fp8_sdwa v1, v1 src0_sel:BYTE_0
                                        ; implicit-def: $vgpr42
	s_nop 0
	v_mul_f32_e32 v1, v22, v1
	v_and_b32_e32 v2, 0x7f800000, v1
	v_cmp_ne_u32_e32 vcc, s51, v2
	s_and_saveexec_b64 s[48:49], vcc
	s_xor_b64 vcc, exec, s[48:49]
; %bb.197:                              ;   in Loop: Header=BB365_13 Depth=1
	v_bfe_u32 v2, v1, 16, 1
	v_add3_u32 v42, v1, v2, s52
                                        ; implicit-def: $vgpr1
; %bb.198:                              ;   in Loop: Header=BB365_13 Depth=1
	s_andn2_saveexec_b64 s[48:49], vcc
; %bb.199:                              ;   in Loop: Header=BB365_13 Depth=1
	v_accvgpr_read_b32 v4, a28
	v_accvgpr_read_b32 v5, a29
	v_or_b32_e32 v2, 0x10000, v1
	v_cmp_eq_u32_sdwa vcc, v1, v5 src0_sel:WORD_0 src1_sel:DWORD
	s_nop 1
	v_cndmask_b32_e32 v42, v2, v1, vcc
; %bb.200:                              ;   in Loop: Header=BB365_13 Depth=1
	s_or_b64 exec, exec, s[48:49]
	v_bfe_u32 v1, v0, 16, 8
	v_cvt_f32_fp8_sdwa v1, v1 src0_sel:BYTE_0
                                        ; implicit-def: $vgpr13
	s_nop 0
	v_mul_f32_e32 v1, v22, v1
	v_and_b32_e32 v2, 0x7f800000, v1
	v_cmp_ne_u32_e32 vcc, s51, v2
	s_and_saveexec_b64 s[48:49], vcc
	s_xor_b64 vcc, exec, s[48:49]
; %bb.201:                              ;   in Loop: Header=BB365_13 Depth=1
	v_bfe_u32 v2, v1, 16, 1
	v_add3_u32 v13, v1, v2, s52
                                        ; implicit-def: $vgpr1
; %bb.202:                              ;   in Loop: Header=BB365_13 Depth=1
	s_andn2_saveexec_b64 s[48:49], vcc
; %bb.203:                              ;   in Loop: Header=BB365_13 Depth=1
	v_accvgpr_read_b32 v4, a28
	v_accvgpr_read_b32 v5, a29
	v_or_b32_e32 v2, 0x10000, v1
	v_cmp_eq_u32_sdwa vcc, v1, v5 src0_sel:WORD_0 src1_sel:DWORD
	s_nop 1
	v_cndmask_b32_e32 v13, v2, v1, vcc
; %bb.204:                              ;   in Loop: Header=BB365_13 Depth=1
	s_or_b64 exec, exec, s[48:49]
	v_lshrrev_b32_e32 v0, 24, v0
	v_cvt_f32_fp8_sdwa v0, v0 src0_sel:BYTE_0
                                        ; implicit-def: $agpr43
	s_nop 0
	v_mul_f32_e32 v0, v22, v0
	v_and_b32_e32 v1, 0x7f800000, v0
	v_cmp_ne_u32_e32 vcc, s51, v1
	s_and_saveexec_b64 s[48:49], vcc
	s_xor_b64 vcc, exec, s[48:49]
; %bb.205:                              ;   in Loop: Header=BB365_13 Depth=1
	v_bfe_u32 v1, v0, 16, 1
	v_add3_u32 v0, v0, v1, s52
	v_accvgpr_write_b32 a43, v0
                                        ; implicit-def: $vgpr0
; %bb.206:                              ;   in Loop: Header=BB365_13 Depth=1
	s_andn2_saveexec_b64 s[48:49], vcc
; %bb.207:                              ;   in Loop: Header=BB365_13 Depth=1
	v_accvgpr_read_b32 v2, a28
	v_accvgpr_read_b32 v3, a29
	v_or_b32_e32 v1, 0x10000, v0
	v_cmp_eq_u32_sdwa vcc, v0, v3 src0_sel:WORD_0 src1_sel:DWORD
	s_nop 1
	v_cndmask_b32_e32 v0, v1, v0, vcc
	v_accvgpr_write_b32 a43, v0
; %bb.208:                              ;   in Loop: Header=BB365_13 Depth=1
	s_or_b64 exec, exec, s[48:49]
	flat_load_dword v0, v[60:61] offset:3072
                                        ; implicit-def: $agpr46
	s_waitcnt vmcnt(0) lgkmcnt(0)
	v_and_b32_e32 v1, 0xff, v0
	v_cvt_f32_fp8_sdwa v1, v1 src0_sel:BYTE_0
	s_nop 0
	v_mul_f32_e32 v1, v22, v1
	v_and_b32_e32 v2, 0x7f800000, v1
	v_cmp_ne_u32_e32 vcc, s51, v2
	s_and_saveexec_b64 s[48:49], vcc
	s_xor_b64 vcc, exec, s[48:49]
; %bb.209:                              ;   in Loop: Header=BB365_13 Depth=1
	v_bfe_u32 v2, v1, 16, 1
	v_add3_u32 v1, v1, v2, s52
	v_accvgpr_write_b32 a46, v1
                                        ; implicit-def: $vgpr1
; %bb.210:                              ;   in Loop: Header=BB365_13 Depth=1
	s_andn2_saveexec_b64 s[48:49], vcc
; %bb.211:                              ;   in Loop: Header=BB365_13 Depth=1
	v_accvgpr_read_b32 v4, a28
	v_accvgpr_read_b32 v5, a29
	v_or_b32_e32 v2, 0x10000, v1
	v_cmp_eq_u32_sdwa vcc, v1, v5 src0_sel:WORD_0 src1_sel:DWORD
	s_nop 1
	v_cndmask_b32_e32 v1, v2, v1, vcc
	v_accvgpr_write_b32 a46, v1
; %bb.212:                              ;   in Loop: Header=BB365_13 Depth=1
	s_or_b64 exec, exec, s[48:49]
	v_bfe_u32 v1, v0, 8, 8
	v_cvt_f32_fp8_sdwa v1, v1 src0_sel:BYTE_0
                                        ; implicit-def: $agpr41
	s_nop 0
	v_mul_f32_e32 v1, v22, v1
	v_and_b32_e32 v2, 0x7f800000, v1
	v_cmp_ne_u32_e32 vcc, s51, v2
	s_and_saveexec_b64 s[48:49], vcc
	s_xor_b64 vcc, exec, s[48:49]
; %bb.213:                              ;   in Loop: Header=BB365_13 Depth=1
	v_bfe_u32 v2, v1, 16, 1
	v_add3_u32 v1, v1, v2, s52
	v_accvgpr_write_b32 a41, v1
                                        ; implicit-def: $vgpr1
; %bb.214:                              ;   in Loop: Header=BB365_13 Depth=1
	s_andn2_saveexec_b64 s[48:49], vcc
; %bb.215:                              ;   in Loop: Header=BB365_13 Depth=1
	v_accvgpr_read_b32 v4, a28
	v_accvgpr_read_b32 v5, a29
	v_or_b32_e32 v2, 0x10000, v1
	v_cmp_eq_u32_sdwa vcc, v1, v5 src0_sel:WORD_0 src1_sel:DWORD
	s_nop 1
	v_cndmask_b32_e32 v1, v2, v1, vcc
	v_accvgpr_write_b32 a41, v1
; %bb.216:                              ;   in Loop: Header=BB365_13 Depth=1
	s_or_b64 exec, exec, s[48:49]
	v_bfe_u32 v1, v0, 16, 8
	v_cvt_f32_fp8_sdwa v1, v1 src0_sel:BYTE_0
                                        ; implicit-def: $agpr5
	s_nop 0
	v_mul_f32_e32 v1, v22, v1
	v_and_b32_e32 v2, 0x7f800000, v1
	v_cmp_ne_u32_e32 vcc, s51, v2
	s_and_saveexec_b64 s[48:49], vcc
	s_xor_b64 vcc, exec, s[48:49]
; %bb.217:                              ;   in Loop: Header=BB365_13 Depth=1
	v_bfe_u32 v2, v1, 16, 1
	v_add3_u32 v1, v1, v2, s52
	v_accvgpr_write_b32 a5, v1
                                        ; implicit-def: $vgpr1
; %bb.218:                              ;   in Loop: Header=BB365_13 Depth=1
	s_andn2_saveexec_b64 s[48:49], vcc
; %bb.219:                              ;   in Loop: Header=BB365_13 Depth=1
	v_accvgpr_read_b32 v4, a28
	v_accvgpr_read_b32 v5, a29
	v_or_b32_e32 v2, 0x10000, v1
	v_cmp_eq_u32_sdwa vcc, v1, v5 src0_sel:WORD_0 src1_sel:DWORD
	s_nop 1
	v_cndmask_b32_e32 v1, v2, v1, vcc
	v_accvgpr_write_b32 a5, v1
; %bb.220:                              ;   in Loop: Header=BB365_13 Depth=1
	s_or_b64 exec, exec, s[48:49]
	v_lshrrev_b32_e32 v0, 24, v0
	v_cvt_f32_fp8_sdwa v0, v0 src0_sel:BYTE_0
                                        ; implicit-def: $agpr48
	s_nop 0
	v_mul_f32_e32 v0, v22, v0
	v_and_b32_e32 v1, 0x7f800000, v0
	v_cmp_ne_u32_e32 vcc, s51, v1
	s_and_saveexec_b64 s[48:49], vcc
	s_xor_b64 vcc, exec, s[48:49]
; %bb.221:                              ;   in Loop: Header=BB365_13 Depth=1
	v_bfe_u32 v1, v0, 16, 1
	v_add3_u32 v0, v0, v1, s52
	v_accvgpr_write_b32 a48, v0
                                        ; implicit-def: $vgpr0
; %bb.222:                              ;   in Loop: Header=BB365_13 Depth=1
	s_andn2_saveexec_b64 s[48:49], vcc
; %bb.223:                              ;   in Loop: Header=BB365_13 Depth=1
	v_accvgpr_read_b32 v2, a28
	v_accvgpr_read_b32 v3, a29
	v_or_b32_e32 v1, 0x10000, v0
	v_cmp_eq_u32_sdwa vcc, v0, v3 src0_sel:WORD_0 src1_sel:DWORD
	s_nop 1
	v_cndmask_b32_e32 v0, v1, v0, vcc
	v_accvgpr_write_b32 a48, v0
; %bb.224:                              ;   in Loop: Header=BB365_13 Depth=1
	s_or_b64 exec, exec, s[48:49]
	flat_load_dword v0, v[60:61] offset:3080
                                        ; implicit-def: $agpr24
	s_waitcnt vmcnt(0) lgkmcnt(0)
	v_and_b32_e32 v1, 0xff, v0
	v_cvt_f32_fp8_sdwa v1, v1 src0_sel:BYTE_0
	s_nop 0
	v_mul_f32_e32 v1, v22, v1
	v_and_b32_e32 v2, 0x7f800000, v1
	v_cmp_ne_u32_e32 vcc, s51, v2
	s_and_saveexec_b64 s[48:49], vcc
	s_xor_b64 vcc, exec, s[48:49]
; %bb.225:                              ;   in Loop: Header=BB365_13 Depth=1
	v_bfe_u32 v2, v1, 16, 1
	v_add3_u32 v1, v1, v2, s52
	v_accvgpr_write_b32 a24, v1
                                        ; implicit-def: $vgpr1
; %bb.226:                              ;   in Loop: Header=BB365_13 Depth=1
	s_andn2_saveexec_b64 s[48:49], vcc
; %bb.227:                              ;   in Loop: Header=BB365_13 Depth=1
	v_accvgpr_read_b32 v4, a28
	v_accvgpr_read_b32 v5, a29
	v_or_b32_e32 v2, 0x10000, v1
	v_cmp_eq_u32_sdwa vcc, v1, v5 src0_sel:WORD_0 src1_sel:DWORD
	s_nop 1
	v_cndmask_b32_e32 v1, v2, v1, vcc
	v_accvgpr_write_b32 a24, v1
; %bb.228:                              ;   in Loop: Header=BB365_13 Depth=1
	s_or_b64 exec, exec, s[48:49]
	v_bfe_u32 v1, v0, 8, 8
	v_cvt_f32_fp8_sdwa v1, v1 src0_sel:BYTE_0
                                        ; implicit-def: $agpr13
	s_nop 0
	v_mul_f32_e32 v1, v22, v1
	v_and_b32_e32 v2, 0x7f800000, v1
	v_cmp_ne_u32_e32 vcc, s51, v2
	s_and_saveexec_b64 s[48:49], vcc
	s_xor_b64 vcc, exec, s[48:49]
; %bb.229:                              ;   in Loop: Header=BB365_13 Depth=1
	v_bfe_u32 v2, v1, 16, 1
	v_add3_u32 v1, v1, v2, s52
	v_accvgpr_write_b32 a13, v1
                                        ; implicit-def: $vgpr1
; %bb.230:                              ;   in Loop: Header=BB365_13 Depth=1
	s_andn2_saveexec_b64 s[48:49], vcc
; %bb.231:                              ;   in Loop: Header=BB365_13 Depth=1
	v_accvgpr_read_b32 v4, a28
	v_accvgpr_read_b32 v5, a29
	v_or_b32_e32 v2, 0x10000, v1
	v_cmp_eq_u32_sdwa vcc, v1, v5 src0_sel:WORD_0 src1_sel:DWORD
	s_nop 1
	v_cndmask_b32_e32 v1, v2, v1, vcc
	v_accvgpr_write_b32 a13, v1
; %bb.232:                              ;   in Loop: Header=BB365_13 Depth=1
	s_or_b64 exec, exec, s[48:49]
	v_bfe_u32 v1, v0, 16, 8
	v_cvt_f32_fp8_sdwa v1, v1 src0_sel:BYTE_0
                                        ; implicit-def: $agpr8
	s_nop 0
	v_mul_f32_e32 v1, v22, v1
	v_and_b32_e32 v2, 0x7f800000, v1
	v_cmp_ne_u32_e32 vcc, s51, v2
	s_and_saveexec_b64 s[48:49], vcc
	s_xor_b64 vcc, exec, s[48:49]
; %bb.233:                              ;   in Loop: Header=BB365_13 Depth=1
	v_bfe_u32 v2, v1, 16, 1
	v_add3_u32 v1, v1, v2, s52
	v_accvgpr_write_b32 a8, v1
                                        ; implicit-def: $vgpr1
; %bb.234:                              ;   in Loop: Header=BB365_13 Depth=1
	s_andn2_saveexec_b64 s[48:49], vcc
; %bb.235:                              ;   in Loop: Header=BB365_13 Depth=1
	v_accvgpr_read_b32 v4, a28
	v_accvgpr_read_b32 v5, a29
	v_or_b32_e32 v2, 0x10000, v1
	v_cmp_eq_u32_sdwa vcc, v1, v5 src0_sel:WORD_0 src1_sel:DWORD
	s_nop 1
	v_cndmask_b32_e32 v1, v2, v1, vcc
	v_accvgpr_write_b32 a8, v1
; %bb.236:                              ;   in Loop: Header=BB365_13 Depth=1
	s_or_b64 exec, exec, s[48:49]
	v_lshrrev_b32_e32 v0, 24, v0
	v_cvt_f32_fp8_sdwa v0, v0 src0_sel:BYTE_0
                                        ; implicit-def: $agpr52
	s_nop 0
	v_mul_f32_e32 v0, v22, v0
	v_and_b32_e32 v1, 0x7f800000, v0
	v_cmp_ne_u32_e32 vcc, s51, v1
	s_and_saveexec_b64 s[48:49], vcc
	s_xor_b64 vcc, exec, s[48:49]
; %bb.237:                              ;   in Loop: Header=BB365_13 Depth=1
	v_bfe_u32 v1, v0, 16, 1
	v_add3_u32 v0, v0, v1, s52
	v_accvgpr_write_b32 a52, v0
                                        ; implicit-def: $vgpr0
; %bb.238:                              ;   in Loop: Header=BB365_13 Depth=1
	s_andn2_saveexec_b64 s[48:49], vcc
; %bb.239:                              ;   in Loop: Header=BB365_13 Depth=1
	v_accvgpr_read_b32 v2, a28
	v_accvgpr_read_b32 v3, a29
	v_or_b32_e32 v1, 0x10000, v0
	v_cmp_eq_u32_sdwa vcc, v0, v3 src0_sel:WORD_0 src1_sel:DWORD
	s_nop 1
	v_cndmask_b32_e32 v0, v1, v0, vcc
	v_accvgpr_write_b32 a52, v0
; %bb.240:                              ;   in Loop: Header=BB365_13 Depth=1
	s_or_b64 exec, exec, s[48:49]
	flat_load_dword v0, v[60:61] offset:3584
                                        ; implicit-def: $agpr40
	s_waitcnt vmcnt(0) lgkmcnt(0)
	v_and_b32_e32 v1, 0xff, v0
	v_cvt_f32_fp8_sdwa v1, v1 src0_sel:BYTE_0
	s_nop 0
	v_mul_f32_e32 v1, v22, v1
	v_and_b32_e32 v2, 0x7f800000, v1
	v_cmp_ne_u32_e32 vcc, s51, v2
	s_and_saveexec_b64 s[48:49], vcc
	s_xor_b64 vcc, exec, s[48:49]
; %bb.241:                              ;   in Loop: Header=BB365_13 Depth=1
	v_bfe_u32 v2, v1, 16, 1
	v_add3_u32 v1, v1, v2, s52
	v_accvgpr_write_b32 a40, v1
                                        ; implicit-def: $vgpr1
; %bb.242:                              ;   in Loop: Header=BB365_13 Depth=1
	s_andn2_saveexec_b64 s[48:49], vcc
; %bb.243:                              ;   in Loop: Header=BB365_13 Depth=1
	v_accvgpr_read_b32 v4, a28
	v_accvgpr_read_b32 v5, a29
	v_or_b32_e32 v2, 0x10000, v1
	v_cmp_eq_u32_sdwa vcc, v1, v5 src0_sel:WORD_0 src1_sel:DWORD
	s_nop 1
	v_cndmask_b32_e32 v1, v2, v1, vcc
	v_accvgpr_write_b32 a40, v1
; %bb.244:                              ;   in Loop: Header=BB365_13 Depth=1
	s_or_b64 exec, exec, s[48:49]
	v_bfe_u32 v1, v0, 8, 8
	v_cvt_f32_fp8_sdwa v1, v1 src0_sel:BYTE_0
                                        ; implicit-def: $agpr54
	s_nop 0
	v_mul_f32_e32 v1, v22, v1
	v_and_b32_e32 v2, 0x7f800000, v1
	v_cmp_ne_u32_e32 vcc, s51, v2
	s_and_saveexec_b64 s[48:49], vcc
	s_xor_b64 vcc, exec, s[48:49]
; %bb.245:                              ;   in Loop: Header=BB365_13 Depth=1
	v_bfe_u32 v2, v1, 16, 1
	v_add3_u32 v1, v1, v2, s52
	v_accvgpr_write_b32 a54, v1
                                        ; implicit-def: $vgpr1
; %bb.246:                              ;   in Loop: Header=BB365_13 Depth=1
	s_andn2_saveexec_b64 s[48:49], vcc
; %bb.247:                              ;   in Loop: Header=BB365_13 Depth=1
	v_accvgpr_read_b32 v4, a28
	v_accvgpr_read_b32 v5, a29
	v_or_b32_e32 v2, 0x10000, v1
	v_cmp_eq_u32_sdwa vcc, v1, v5 src0_sel:WORD_0 src1_sel:DWORD
	s_nop 1
	v_cndmask_b32_e32 v1, v2, v1, vcc
	v_accvgpr_write_b32 a54, v1
; %bb.248:                              ;   in Loop: Header=BB365_13 Depth=1
	s_or_b64 exec, exec, s[48:49]
	v_bfe_u32 v1, v0, 16, 8
	v_cvt_f32_fp8_sdwa v1, v1 src0_sel:BYTE_0
                                        ; implicit-def: $agpr15
	s_nop 0
	v_mul_f32_e32 v1, v22, v1
	v_and_b32_e32 v2, 0x7f800000, v1
	v_cmp_ne_u32_e32 vcc, s51, v2
	s_and_saveexec_b64 s[48:49], vcc
	s_xor_b64 vcc, exec, s[48:49]
; %bb.249:                              ;   in Loop: Header=BB365_13 Depth=1
	v_bfe_u32 v2, v1, 16, 1
	v_add3_u32 v1, v1, v2, s52
	v_accvgpr_write_b32 a15, v1
                                        ; implicit-def: $vgpr1
; %bb.250:                              ;   in Loop: Header=BB365_13 Depth=1
	s_andn2_saveexec_b64 s[48:49], vcc
; %bb.251:                              ;   in Loop: Header=BB365_13 Depth=1
	v_accvgpr_read_b32 v4, a28
	v_accvgpr_read_b32 v5, a29
	v_or_b32_e32 v2, 0x10000, v1
	v_cmp_eq_u32_sdwa vcc, v1, v5 src0_sel:WORD_0 src1_sel:DWORD
	s_nop 1
	v_cndmask_b32_e32 v1, v2, v1, vcc
	v_accvgpr_write_b32 a15, v1
; %bb.252:                              ;   in Loop: Header=BB365_13 Depth=1
	s_or_b64 exec, exec, s[48:49]
	v_lshrrev_b32_e32 v0, 24, v0
	v_cvt_f32_fp8_sdwa v0, v0 src0_sel:BYTE_0
                                        ; implicit-def: $agpr33
	s_nop 0
	v_mul_f32_e32 v0, v22, v0
	v_and_b32_e32 v1, 0x7f800000, v0
	v_cmp_ne_u32_e32 vcc, s51, v1
	s_and_saveexec_b64 s[48:49], vcc
	s_xor_b64 vcc, exec, s[48:49]
; %bb.253:                              ;   in Loop: Header=BB365_13 Depth=1
	v_bfe_u32 v1, v0, 16, 1
	v_add3_u32 v0, v0, v1, s52
	v_accvgpr_write_b32 a33, v0
                                        ; implicit-def: $vgpr0
; %bb.254:                              ;   in Loop: Header=BB365_13 Depth=1
	s_andn2_saveexec_b64 s[48:49], vcc
; %bb.255:                              ;   in Loop: Header=BB365_13 Depth=1
	v_accvgpr_read_b32 v2, a28
	v_accvgpr_read_b32 v3, a29
	v_or_b32_e32 v1, 0x10000, v0
	v_cmp_eq_u32_sdwa vcc, v0, v3 src0_sel:WORD_0 src1_sel:DWORD
	s_nop 1
	v_cndmask_b32_e32 v0, v1, v0, vcc
	v_accvgpr_write_b32 a33, v0
; %bb.256:                              ;   in Loop: Header=BB365_13 Depth=1
	s_or_b64 exec, exec, s[48:49]
	flat_load_dword v0, v[60:61] offset:3592
                                        ; implicit-def: $agpr12
	s_waitcnt vmcnt(0) lgkmcnt(0)
	v_and_b32_e32 v1, 0xff, v0
	v_cvt_f32_fp8_sdwa v1, v1 src0_sel:BYTE_0
	s_nop 0
	v_mul_f32_e32 v1, v22, v1
	v_and_b32_e32 v2, 0x7f800000, v1
	v_cmp_ne_u32_e32 vcc, s51, v2
	s_and_saveexec_b64 s[48:49], vcc
	s_xor_b64 vcc, exec, s[48:49]
; %bb.257:                              ;   in Loop: Header=BB365_13 Depth=1
	v_bfe_u32 v2, v1, 16, 1
	v_add3_u32 v1, v1, v2, s52
	v_accvgpr_write_b32 a12, v1
                                        ; implicit-def: $vgpr1
; %bb.258:                              ;   in Loop: Header=BB365_13 Depth=1
	s_andn2_saveexec_b64 s[48:49], vcc
; %bb.259:                              ;   in Loop: Header=BB365_13 Depth=1
	v_accvgpr_read_b32 v4, a28
	v_accvgpr_read_b32 v5, a29
	v_or_b32_e32 v2, 0x10000, v1
	v_cmp_eq_u32_sdwa vcc, v1, v5 src0_sel:WORD_0 src1_sel:DWORD
	s_nop 1
	v_cndmask_b32_e32 v1, v2, v1, vcc
	v_accvgpr_write_b32 a12, v1
; %bb.260:                              ;   in Loop: Header=BB365_13 Depth=1
	s_or_b64 exec, exec, s[48:49]
	v_bfe_u32 v1, v0, 8, 8
	v_cvt_f32_fp8_sdwa v1, v1 src0_sel:BYTE_0
                                        ; implicit-def: $agpr19
	s_nop 0
	v_mul_f32_e32 v1, v22, v1
	v_and_b32_e32 v2, 0x7f800000, v1
	v_cmp_ne_u32_e32 vcc, s51, v2
	s_and_saveexec_b64 s[48:49], vcc
	s_xor_b64 vcc, exec, s[48:49]
; %bb.261:                              ;   in Loop: Header=BB365_13 Depth=1
	v_bfe_u32 v2, v1, 16, 1
	v_add3_u32 v1, v1, v2, s52
	v_accvgpr_write_b32 a19, v1
                                        ; implicit-def: $vgpr1
; %bb.262:                              ;   in Loop: Header=BB365_13 Depth=1
	s_andn2_saveexec_b64 s[48:49], vcc
; %bb.263:                              ;   in Loop: Header=BB365_13 Depth=1
	v_accvgpr_read_b32 v4, a28
	v_accvgpr_read_b32 v5, a29
	v_or_b32_e32 v2, 0x10000, v1
	v_cmp_eq_u32_sdwa vcc, v1, v5 src0_sel:WORD_0 src1_sel:DWORD
	s_nop 1
	v_cndmask_b32_e32 v1, v2, v1, vcc
	v_accvgpr_write_b32 a19, v1
; %bb.264:                              ;   in Loop: Header=BB365_13 Depth=1
	s_or_b64 exec, exec, s[48:49]
	v_bfe_u32 v1, v0, 16, 8
	v_cvt_f32_fp8_sdwa v1, v1 src0_sel:BYTE_0
                                        ; implicit-def: $agpr36
	s_nop 0
	v_mul_f32_e32 v1, v22, v1
	v_and_b32_e32 v2, 0x7f800000, v1
	v_cmp_ne_u32_e32 vcc, s51, v2
	s_and_saveexec_b64 s[48:49], vcc
	s_xor_b64 vcc, exec, s[48:49]
; %bb.265:                              ;   in Loop: Header=BB365_13 Depth=1
	v_bfe_u32 v2, v1, 16, 1
	v_add3_u32 v1, v1, v2, s52
	v_accvgpr_write_b32 a36, v1
                                        ; implicit-def: $vgpr1
; %bb.266:                              ;   in Loop: Header=BB365_13 Depth=1
	s_andn2_saveexec_b64 s[48:49], vcc
; %bb.267:                              ;   in Loop: Header=BB365_13 Depth=1
	v_accvgpr_read_b32 v4, a28
	v_accvgpr_read_b32 v5, a29
	v_or_b32_e32 v2, 0x10000, v1
	v_cmp_eq_u32_sdwa vcc, v1, v5 src0_sel:WORD_0 src1_sel:DWORD
	s_nop 1
	v_cndmask_b32_e32 v1, v2, v1, vcc
	v_accvgpr_write_b32 a36, v1
; %bb.268:                              ;   in Loop: Header=BB365_13 Depth=1
	s_or_b64 exec, exec, s[48:49]
	v_lshrrev_b32_e32 v0, 24, v0
	v_cvt_f32_fp8_sdwa v0, v0 src0_sel:BYTE_0
                                        ; implicit-def: $agpr4
	s_nop 0
	v_mul_f32_e32 v0, v22, v0
	v_and_b32_e32 v1, 0x7f800000, v0
	v_cmp_ne_u32_e32 vcc, s51, v1
	s_and_saveexec_b64 s[48:49], vcc
	s_xor_b64 vcc, exec, s[48:49]
; %bb.269:                              ;   in Loop: Header=BB365_13 Depth=1
	v_bfe_u32 v1, v0, 16, 1
	v_add3_u32 v0, v0, v1, s52
	v_accvgpr_write_b32 a4, v0
                                        ; implicit-def: $vgpr0
; %bb.270:                              ;   in Loop: Header=BB365_13 Depth=1
	s_andn2_saveexec_b64 s[48:49], vcc
; %bb.271:                              ;   in Loop: Header=BB365_13 Depth=1
	v_accvgpr_read_b32 v2, a28
	v_accvgpr_read_b32 v3, a29
	v_or_b32_e32 v1, 0x10000, v0
	v_cmp_eq_u32_sdwa vcc, v0, v3 src0_sel:WORD_0 src1_sel:DWORD
	s_nop 1
	v_cndmask_b32_e32 v0, v1, v0, vcc
	v_accvgpr_write_b32 a4, v0
; %bb.272:                              ;   in Loop: Header=BB365_13 Depth=1
	s_or_b64 exec, exec, s[48:49]
	v_add_co_u32_e32 v0, vcc, 0x1000, v60
                                        ; implicit-def: $agpr1
	s_nop 1
	v_addc_co_u32_e32 v1, vcc, 0, v61, vcc
	flat_load_dword v0, v[0:1]
	s_waitcnt vmcnt(0) lgkmcnt(0)
	v_and_b32_e32 v1, 0xff, v0
	v_cvt_f32_fp8_sdwa v1, v1 src0_sel:BYTE_0
	s_nop 0
	v_mul_f32_e32 v1, v22, v1
	v_and_b32_e32 v2, 0x7f800000, v1
	v_cmp_ne_u32_e32 vcc, s51, v2
	s_and_saveexec_b64 s[48:49], vcc
	s_xor_b64 vcc, exec, s[48:49]
; %bb.273:                              ;   in Loop: Header=BB365_13 Depth=1
	v_bfe_u32 v2, v1, 16, 1
	v_add3_u32 v1, v1, v2, s52
	v_accvgpr_write_b32 a1, v1
                                        ; implicit-def: $vgpr1
; %bb.274:                              ;   in Loop: Header=BB365_13 Depth=1
	s_andn2_saveexec_b64 s[48:49], vcc
; %bb.275:                              ;   in Loop: Header=BB365_13 Depth=1
	v_accvgpr_read_b32 v4, a28
	v_accvgpr_read_b32 v5, a29
	v_or_b32_e32 v2, 0x10000, v1
	v_cmp_eq_u32_sdwa vcc, v1, v5 src0_sel:WORD_0 src1_sel:DWORD
	s_nop 1
	v_cndmask_b32_e32 v1, v2, v1, vcc
	v_accvgpr_write_b32 a1, v1
; %bb.276:                              ;   in Loop: Header=BB365_13 Depth=1
	s_or_b64 exec, exec, s[48:49]
	v_bfe_u32 v1, v0, 8, 8
	v_cvt_f32_fp8_sdwa v1, v1 src0_sel:BYTE_0
                                        ; implicit-def: $agpr2
	s_nop 0
	v_mul_f32_e32 v1, v22, v1
	v_and_b32_e32 v2, 0x7f800000, v1
	v_cmp_ne_u32_e32 vcc, s51, v2
	s_and_saveexec_b64 s[48:49], vcc
	s_xor_b64 vcc, exec, s[48:49]
; %bb.277:                              ;   in Loop: Header=BB365_13 Depth=1
	v_bfe_u32 v2, v1, 16, 1
	v_add3_u32 v1, v1, v2, s52
	v_accvgpr_write_b32 a2, v1
                                        ; implicit-def: $vgpr1
; %bb.278:                              ;   in Loop: Header=BB365_13 Depth=1
	s_andn2_saveexec_b64 s[48:49], vcc
; %bb.279:                              ;   in Loop: Header=BB365_13 Depth=1
	v_accvgpr_read_b32 v4, a28
	v_accvgpr_read_b32 v5, a29
	v_or_b32_e32 v2, 0x10000, v1
	v_cmp_eq_u32_sdwa vcc, v1, v5 src0_sel:WORD_0 src1_sel:DWORD
	s_nop 1
	v_cndmask_b32_e32 v1, v2, v1, vcc
	v_accvgpr_write_b32 a2, v1
; %bb.280:                              ;   in Loop: Header=BB365_13 Depth=1
	s_or_b64 exec, exec, s[48:49]
	v_bfe_u32 v1, v0, 16, 8
	v_cvt_f32_fp8_sdwa v1, v1 src0_sel:BYTE_0
                                        ; implicit-def: $agpr25
	s_nop 0
	v_mul_f32_e32 v1, v22, v1
	v_and_b32_e32 v2, 0x7f800000, v1
	v_cmp_ne_u32_e32 vcc, s51, v2
	s_and_saveexec_b64 s[48:49], vcc
	s_xor_b64 vcc, exec, s[48:49]
; %bb.281:                              ;   in Loop: Header=BB365_13 Depth=1
	v_bfe_u32 v2, v1, 16, 1
	v_add3_u32 v1, v1, v2, s52
	v_accvgpr_write_b32 a25, v1
                                        ; implicit-def: $vgpr1
; %bb.282:                              ;   in Loop: Header=BB365_13 Depth=1
	s_andn2_saveexec_b64 s[48:49], vcc
; %bb.283:                              ;   in Loop: Header=BB365_13 Depth=1
	v_accvgpr_read_b32 v4, a28
	v_accvgpr_read_b32 v5, a29
	v_or_b32_e32 v2, 0x10000, v1
	v_cmp_eq_u32_sdwa vcc, v1, v5 src0_sel:WORD_0 src1_sel:DWORD
	s_nop 1
	v_cndmask_b32_e32 v1, v2, v1, vcc
	v_accvgpr_write_b32 a25, v1
; %bb.284:                              ;   in Loop: Header=BB365_13 Depth=1
	s_or_b64 exec, exec, s[48:49]
	v_lshrrev_b32_e32 v0, 24, v0
	v_cvt_f32_fp8_sdwa v0, v0 src0_sel:BYTE_0
                                        ; implicit-def: $vgpr53
	s_nop 0
	v_mul_f32_e32 v0, v22, v0
	v_and_b32_e32 v1, 0x7f800000, v0
	v_cmp_ne_u32_e32 vcc, s51, v1
	s_and_saveexec_b64 s[48:49], vcc
	s_xor_b64 vcc, exec, s[48:49]
; %bb.285:                              ;   in Loop: Header=BB365_13 Depth=1
	v_bfe_u32 v1, v0, 16, 1
	v_add3_u32 v53, v0, v1, s52
                                        ; implicit-def: $vgpr0
; %bb.286:                              ;   in Loop: Header=BB365_13 Depth=1
	s_andn2_saveexec_b64 s[48:49], vcc
; %bb.287:                              ;   in Loop: Header=BB365_13 Depth=1
	v_accvgpr_read_b32 v2, a28
	v_accvgpr_read_b32 v3, a29
	v_or_b32_e32 v1, 0x10000, v0
	v_cmp_eq_u32_sdwa vcc, v0, v3 src0_sel:WORD_0 src1_sel:DWORD
	s_nop 1
	v_cndmask_b32_e32 v53, v1, v0, vcc
; %bb.288:                              ;   in Loop: Header=BB365_13 Depth=1
	s_or_b64 exec, exec, s[48:49]
	v_lshl_add_u64 v[0:1], v[60:61], 0, s[30:31]
	flat_load_dword v0, v[0:1] offset:8
                                        ; implicit-def: $vgpr55
	s_waitcnt vmcnt(0) lgkmcnt(0)
	v_and_b32_e32 v1, 0xff, v0
	v_cvt_f32_fp8_sdwa v1, v1 src0_sel:BYTE_0
	s_nop 0
	v_mul_f32_e32 v1, v22, v1
	v_and_b32_e32 v2, 0x7f800000, v1
	v_cmp_ne_u32_e32 vcc, s51, v2
	s_and_saveexec_b64 s[48:49], vcc
	s_xor_b64 vcc, exec, s[48:49]
; %bb.289:                              ;   in Loop: Header=BB365_13 Depth=1
	v_bfe_u32 v2, v1, 16, 1
	v_add3_u32 v55, v1, v2, s52
                                        ; implicit-def: $vgpr1
; %bb.290:                              ;   in Loop: Header=BB365_13 Depth=1
	s_andn2_saveexec_b64 s[48:49], vcc
; %bb.291:                              ;   in Loop: Header=BB365_13 Depth=1
	v_accvgpr_read_b32 v4, a28
	v_accvgpr_read_b32 v5, a29
	v_or_b32_e32 v2, 0x10000, v1
	v_cmp_eq_u32_sdwa vcc, v1, v5 src0_sel:WORD_0 src1_sel:DWORD
	s_nop 1
	v_cndmask_b32_e32 v55, v2, v1, vcc
; %bb.292:                              ;   in Loop: Header=BB365_13 Depth=1
	s_or_b64 exec, exec, s[48:49]
	v_bfe_u32 v1, v0, 8, 8
	v_cvt_f32_fp8_sdwa v1, v1 src0_sel:BYTE_0
                                        ; implicit-def: $vgpr43
	s_nop 0
	v_mul_f32_e32 v1, v22, v1
	v_and_b32_e32 v2, 0x7f800000, v1
	v_cmp_ne_u32_e32 vcc, s51, v2
	s_and_saveexec_b64 s[48:49], vcc
	s_xor_b64 vcc, exec, s[48:49]
; %bb.293:                              ;   in Loop: Header=BB365_13 Depth=1
	v_bfe_u32 v2, v1, 16, 1
	v_add3_u32 v43, v1, v2, s52
                                        ; implicit-def: $vgpr1
; %bb.294:                              ;   in Loop: Header=BB365_13 Depth=1
	s_andn2_saveexec_b64 s[48:49], vcc
; %bb.295:                              ;   in Loop: Header=BB365_13 Depth=1
	v_accvgpr_read_b32 v4, a28
	v_accvgpr_read_b32 v5, a29
	v_or_b32_e32 v2, 0x10000, v1
	v_cmp_eq_u32_sdwa vcc, v1, v5 src0_sel:WORD_0 src1_sel:DWORD
	s_nop 1
	v_cndmask_b32_e32 v43, v2, v1, vcc
; %bb.296:                              ;   in Loop: Header=BB365_13 Depth=1
	s_or_b64 exec, exec, s[48:49]
	v_bfe_u32 v1, v0, 16, 8
	v_cvt_f32_fp8_sdwa v1, v1 src0_sel:BYTE_0
                                        ; implicit-def: $vgpr45
	s_nop 0
	v_mul_f32_e32 v1, v22, v1
	v_and_b32_e32 v2, 0x7f800000, v1
	v_cmp_ne_u32_e32 vcc, s51, v2
	s_and_saveexec_b64 s[48:49], vcc
	s_xor_b64 vcc, exec, s[48:49]
; %bb.297:                              ;   in Loop: Header=BB365_13 Depth=1
	v_bfe_u32 v2, v1, 16, 1
	v_add3_u32 v45, v1, v2, s52
                                        ; implicit-def: $vgpr1
; %bb.298:                              ;   in Loop: Header=BB365_13 Depth=1
	s_andn2_saveexec_b64 s[48:49], vcc
; %bb.299:                              ;   in Loop: Header=BB365_13 Depth=1
	v_accvgpr_read_b32 v4, a28
	v_accvgpr_read_b32 v5, a29
	v_or_b32_e32 v2, 0x10000, v1
	v_cmp_eq_u32_sdwa vcc, v1, v5 src0_sel:WORD_0 src1_sel:DWORD
	s_nop 1
	v_cndmask_b32_e32 v45, v2, v1, vcc
; %bb.300:                              ;   in Loop: Header=BB365_13 Depth=1
	s_or_b64 exec, exec, s[48:49]
	v_lshrrev_b32_e32 v0, 24, v0
	v_cvt_f32_fp8_sdwa v0, v0 src0_sel:BYTE_0
                                        ; implicit-def: $vgpr46
	s_nop 0
	v_mul_f32_e32 v0, v22, v0
	v_and_b32_e32 v1, 0x7f800000, v0
	v_cmp_ne_u32_e32 vcc, s51, v1
	s_and_saveexec_b64 s[48:49], vcc
	s_xor_b64 vcc, exec, s[48:49]
; %bb.301:                              ;   in Loop: Header=BB365_13 Depth=1
	v_bfe_u32 v1, v0, 16, 1
	v_add3_u32 v46, v0, v1, s52
                                        ; implicit-def: $vgpr0
; %bb.302:                              ;   in Loop: Header=BB365_13 Depth=1
	s_andn2_saveexec_b64 s[48:49], vcc
; %bb.303:                              ;   in Loop: Header=BB365_13 Depth=1
	v_accvgpr_read_b32 v2, a28
	v_accvgpr_read_b32 v3, a29
	v_or_b32_e32 v1, 0x10000, v0
	v_cmp_eq_u32_sdwa vcc, v0, v3 src0_sel:WORD_0 src1_sel:DWORD
	s_nop 1
	v_cndmask_b32_e32 v46, v1, v0, vcc
; %bb.304:                              ;   in Loop: Header=BB365_13 Depth=1
	s_or_b64 exec, exec, s[48:49]
	v_add_co_u32_e32 v0, vcc, 0x1000, v60
                                        ; implicit-def: $vgpr47
	s_nop 1
	v_addc_co_u32_e32 v1, vcc, 0, v61, vcc
	flat_load_dword v0, v[0:1] offset:512
	s_waitcnt vmcnt(0) lgkmcnt(0)
	v_and_b32_e32 v1, 0xff, v0
	v_cvt_f32_fp8_sdwa v1, v1 src0_sel:BYTE_0
	s_nop 0
	v_mul_f32_e32 v1, v22, v1
	v_and_b32_e32 v2, 0x7f800000, v1
	v_cmp_ne_u32_e32 vcc, s51, v2
	s_and_saveexec_b64 s[48:49], vcc
	s_xor_b64 vcc, exec, s[48:49]
; %bb.305:                              ;   in Loop: Header=BB365_13 Depth=1
	v_bfe_u32 v2, v1, 16, 1
	v_add3_u32 v47, v1, v2, s52
                                        ; implicit-def: $vgpr1
; %bb.306:                              ;   in Loop: Header=BB365_13 Depth=1
	s_andn2_saveexec_b64 s[48:49], vcc
; %bb.307:                              ;   in Loop: Header=BB365_13 Depth=1
	v_accvgpr_read_b32 v4, a28
	v_accvgpr_read_b32 v5, a29
	v_or_b32_e32 v2, 0x10000, v1
	v_cmp_eq_u32_sdwa vcc, v1, v5 src0_sel:WORD_0 src1_sel:DWORD
	s_nop 1
	v_cndmask_b32_e32 v47, v2, v1, vcc
; %bb.308:                              ;   in Loop: Header=BB365_13 Depth=1
	s_or_b64 exec, exec, s[48:49]
	v_bfe_u32 v1, v0, 8, 8
	v_cvt_f32_fp8_sdwa v1, v1 src0_sel:BYTE_0
                                        ; implicit-def: $vgpr58
	s_nop 0
	v_mul_f32_e32 v1, v22, v1
	v_and_b32_e32 v2, 0x7f800000, v1
	v_cmp_ne_u32_e32 vcc, s51, v2
	s_and_saveexec_b64 s[48:49], vcc
	s_xor_b64 vcc, exec, s[48:49]
; %bb.309:                              ;   in Loop: Header=BB365_13 Depth=1
	v_bfe_u32 v2, v1, 16, 1
	v_add3_u32 v58, v1, v2, s52
                                        ; implicit-def: $vgpr1
; %bb.310:                              ;   in Loop: Header=BB365_13 Depth=1
	s_andn2_saveexec_b64 s[48:49], vcc
; %bb.311:                              ;   in Loop: Header=BB365_13 Depth=1
	v_accvgpr_read_b32 v4, a28
	v_accvgpr_read_b32 v5, a29
	v_or_b32_e32 v2, 0x10000, v1
	v_cmp_eq_u32_sdwa vcc, v1, v5 src0_sel:WORD_0 src1_sel:DWORD
	s_nop 1
	v_cndmask_b32_e32 v58, v2, v1, vcc
; %bb.312:                              ;   in Loop: Header=BB365_13 Depth=1
	s_or_b64 exec, exec, s[48:49]
	v_bfe_u32 v1, v0, 16, 8
	v_cvt_f32_fp8_sdwa v1, v1 src0_sel:BYTE_0
                                        ; implicit-def: $vgpr57
	s_nop 0
	v_mul_f32_e32 v1, v22, v1
	v_and_b32_e32 v2, 0x7f800000, v1
	v_cmp_ne_u32_e32 vcc, s51, v2
	s_and_saveexec_b64 s[48:49], vcc
	s_xor_b64 vcc, exec, s[48:49]
; %bb.313:                              ;   in Loop: Header=BB365_13 Depth=1
	v_bfe_u32 v2, v1, 16, 1
	v_add3_u32 v57, v1, v2, s52
                                        ; implicit-def: $vgpr1
; %bb.314:                              ;   in Loop: Header=BB365_13 Depth=1
	s_andn2_saveexec_b64 s[48:49], vcc
; %bb.315:                              ;   in Loop: Header=BB365_13 Depth=1
	v_accvgpr_read_b32 v4, a28
	v_accvgpr_read_b32 v5, a29
	v_or_b32_e32 v2, 0x10000, v1
	v_cmp_eq_u32_sdwa vcc, v1, v5 src0_sel:WORD_0 src1_sel:DWORD
	s_nop 1
	v_cndmask_b32_e32 v57, v2, v1, vcc
; %bb.316:                              ;   in Loop: Header=BB365_13 Depth=1
	s_or_b64 exec, exec, s[48:49]
	v_lshrrev_b32_e32 v0, 24, v0
	v_cvt_f32_fp8_sdwa v0, v0 src0_sel:BYTE_0
                                        ; implicit-def: $agpr14
	s_nop 0
	v_mul_f32_e32 v0, v22, v0
	v_and_b32_e32 v1, 0x7f800000, v0
	v_cmp_ne_u32_e32 vcc, s51, v1
	s_and_saveexec_b64 s[48:49], vcc
	s_xor_b64 vcc, exec, s[48:49]
; %bb.317:                              ;   in Loop: Header=BB365_13 Depth=1
	v_bfe_u32 v1, v0, 16, 1
	v_add3_u32 v0, v0, v1, s52
	v_accvgpr_write_b32 a14, v0
                                        ; implicit-def: $vgpr0
; %bb.318:                              ;   in Loop: Header=BB365_13 Depth=1
	s_andn2_saveexec_b64 s[48:49], vcc
; %bb.319:                              ;   in Loop: Header=BB365_13 Depth=1
	v_accvgpr_read_b32 v2, a28
	v_accvgpr_read_b32 v3, a29
	v_or_b32_e32 v1, 0x10000, v0
	v_cmp_eq_u32_sdwa vcc, v0, v3 src0_sel:WORD_0 src1_sel:DWORD
	s_nop 1
	v_cndmask_b32_e32 v0, v1, v0, vcc
	v_accvgpr_write_b32 a14, v0
; %bb.320:                              ;   in Loop: Header=BB365_13 Depth=1
	s_or_b64 exec, exec, s[48:49]
	v_lshl_add_u64 v[0:1], v[60:61], 0, s[34:35]
	flat_load_dword v0, v[0:1] offset:8
                                        ; implicit-def: $vgpr59
	s_waitcnt vmcnt(0) lgkmcnt(0)
	v_and_b32_e32 v1, 0xff, v0
	v_cvt_f32_fp8_sdwa v1, v1 src0_sel:BYTE_0
	s_nop 0
	v_mul_f32_e32 v1, v22, v1
	v_and_b32_e32 v2, 0x7f800000, v1
	v_cmp_ne_u32_e32 vcc, s51, v2
	s_and_saveexec_b64 s[48:49], vcc
	s_xor_b64 vcc, exec, s[48:49]
; %bb.321:                              ;   in Loop: Header=BB365_13 Depth=1
	v_bfe_u32 v2, v1, 16, 1
	v_add3_u32 v59, v1, v2, s52
                                        ; implicit-def: $vgpr1
; %bb.322:                              ;   in Loop: Header=BB365_13 Depth=1
	s_andn2_saveexec_b64 s[48:49], vcc
; %bb.323:                              ;   in Loop: Header=BB365_13 Depth=1
	v_accvgpr_read_b32 v4, a28
	v_accvgpr_read_b32 v5, a29
	v_or_b32_e32 v2, 0x10000, v1
	v_cmp_eq_u32_sdwa vcc, v1, v5 src0_sel:WORD_0 src1_sel:DWORD
	s_nop 1
	v_cndmask_b32_e32 v59, v2, v1, vcc
; %bb.324:                              ;   in Loop: Header=BB365_13 Depth=1
	s_or_b64 exec, exec, s[48:49]
	v_bfe_u32 v1, v0, 8, 8
	v_cvt_f32_fp8_sdwa v1, v1 src0_sel:BYTE_0
                                        ; implicit-def: $agpr10
	s_nop 0
	v_mul_f32_e32 v1, v22, v1
	v_and_b32_e32 v2, 0x7f800000, v1
	v_cmp_ne_u32_e32 vcc, s51, v2
	s_and_saveexec_b64 s[48:49], vcc
	s_xor_b64 vcc, exec, s[48:49]
; %bb.325:                              ;   in Loop: Header=BB365_13 Depth=1
	v_bfe_u32 v2, v1, 16, 1
	v_add3_u32 v1, v1, v2, s52
	v_accvgpr_write_b32 a10, v1
                                        ; implicit-def: $vgpr1
; %bb.326:                              ;   in Loop: Header=BB365_13 Depth=1
	s_andn2_saveexec_b64 s[48:49], vcc
; %bb.327:                              ;   in Loop: Header=BB365_13 Depth=1
	v_accvgpr_read_b32 v4, a28
	v_accvgpr_read_b32 v5, a29
	v_or_b32_e32 v2, 0x10000, v1
	v_cmp_eq_u32_sdwa vcc, v1, v5 src0_sel:WORD_0 src1_sel:DWORD
	s_nop 1
	v_cndmask_b32_e32 v1, v2, v1, vcc
	v_accvgpr_write_b32 a10, v1
; %bb.328:                              ;   in Loop: Header=BB365_13 Depth=1
	s_or_b64 exec, exec, s[48:49]
	v_bfe_u32 v1, v0, 16, 8
	v_cvt_f32_fp8_sdwa v1, v1 src0_sel:BYTE_0
                                        ; implicit-def: $agpr35
	s_nop 0
	v_mul_f32_e32 v1, v22, v1
	v_and_b32_e32 v2, 0x7f800000, v1
	v_cmp_ne_u32_e32 vcc, s51, v2
	s_and_saveexec_b64 s[48:49], vcc
	s_xor_b64 vcc, exec, s[48:49]
; %bb.329:                              ;   in Loop: Header=BB365_13 Depth=1
	v_bfe_u32 v2, v1, 16, 1
	v_add3_u32 v1, v1, v2, s52
	v_accvgpr_write_b32 a35, v1
                                        ; implicit-def: $vgpr1
; %bb.330:                              ;   in Loop: Header=BB365_13 Depth=1
	s_andn2_saveexec_b64 s[48:49], vcc
; %bb.331:                              ;   in Loop: Header=BB365_13 Depth=1
	v_accvgpr_read_b32 v4, a28
	v_accvgpr_read_b32 v5, a29
	v_or_b32_e32 v2, 0x10000, v1
	v_cmp_eq_u32_sdwa vcc, v1, v5 src0_sel:WORD_0 src1_sel:DWORD
	s_nop 1
	v_cndmask_b32_e32 v1, v2, v1, vcc
	v_accvgpr_write_b32 a35, v1
; %bb.332:                              ;   in Loop: Header=BB365_13 Depth=1
	s_or_b64 exec, exec, s[48:49]
	v_lshrrev_b32_e32 v0, 24, v0
	v_cvt_f32_fp8_sdwa v0, v0 src0_sel:BYTE_0
                                        ; implicit-def: $agpr37
	s_nop 0
	v_mul_f32_e32 v0, v22, v0
	v_and_b32_e32 v1, 0x7f800000, v0
	v_cmp_ne_u32_e32 vcc, s51, v1
	s_and_saveexec_b64 s[48:49], vcc
	s_xor_b64 vcc, exec, s[48:49]
; %bb.333:                              ;   in Loop: Header=BB365_13 Depth=1
	v_bfe_u32 v1, v0, 16, 1
	v_add3_u32 v0, v0, v1, s52
	v_accvgpr_write_b32 a37, v0
                                        ; implicit-def: $vgpr0
; %bb.334:                              ;   in Loop: Header=BB365_13 Depth=1
	s_andn2_saveexec_b64 s[48:49], vcc
; %bb.335:                              ;   in Loop: Header=BB365_13 Depth=1
	v_accvgpr_read_b32 v2, a28
	v_accvgpr_read_b32 v3, a29
	v_or_b32_e32 v1, 0x10000, v0
	v_cmp_eq_u32_sdwa vcc, v0, v3 src0_sel:WORD_0 src1_sel:DWORD
	s_nop 1
	v_cndmask_b32_e32 v0, v1, v0, vcc
	v_accvgpr_write_b32 a37, v0
; %bb.336:                              ;   in Loop: Header=BB365_13 Depth=1
	s_or_b64 exec, exec, s[48:49]
	v_add_co_u32_e32 v0, vcc, 0x1000, v60
                                        ; implicit-def: $vgpr62
	s_nop 1
	v_addc_co_u32_e32 v1, vcc, 0, v61, vcc
	flat_load_dword v0, v[0:1] offset:1024
	s_waitcnt vmcnt(0) lgkmcnt(0)
	v_and_b32_e32 v1, 0xff, v0
	v_cvt_f32_fp8_sdwa v1, v1 src0_sel:BYTE_0
	s_nop 0
	v_mul_f32_e32 v1, v22, v1
	v_and_b32_e32 v2, 0x7f800000, v1
	v_cmp_ne_u32_e32 vcc, s51, v2
	s_and_saveexec_b64 s[48:49], vcc
	s_xor_b64 vcc, exec, s[48:49]
; %bb.337:                              ;   in Loop: Header=BB365_13 Depth=1
	v_bfe_u32 v2, v1, 16, 1
	v_add3_u32 v62, v1, v2, s52
                                        ; implicit-def: $vgpr1
; %bb.338:                              ;   in Loop: Header=BB365_13 Depth=1
	s_andn2_saveexec_b64 s[48:49], vcc
; %bb.339:                              ;   in Loop: Header=BB365_13 Depth=1
	v_accvgpr_read_b32 v4, a28
	v_accvgpr_read_b32 v5, a29
	v_or_b32_e32 v2, 0x10000, v1
	v_cmp_eq_u32_sdwa vcc, v1, v5 src0_sel:WORD_0 src1_sel:DWORD
	s_nop 1
	v_cndmask_b32_e32 v62, v2, v1, vcc
; %bb.340:                              ;   in Loop: Header=BB365_13 Depth=1
	s_or_b64 exec, exec, s[48:49]
	v_bfe_u32 v1, v0, 8, 8
	v_cvt_f32_fp8_sdwa v1, v1 src0_sel:BYTE_0
                                        ; implicit-def: $agpr42
	s_nop 0
	v_mul_f32_e32 v1, v22, v1
	v_and_b32_e32 v2, 0x7f800000, v1
	v_cmp_ne_u32_e32 vcc, s51, v2
	s_and_saveexec_b64 s[48:49], vcc
	s_xor_b64 vcc, exec, s[48:49]
; %bb.341:                              ;   in Loop: Header=BB365_13 Depth=1
	v_bfe_u32 v2, v1, 16, 1
	v_add3_u32 v1, v1, v2, s52
	v_accvgpr_write_b32 a42, v1
                                        ; implicit-def: $vgpr1
; %bb.342:                              ;   in Loop: Header=BB365_13 Depth=1
	s_andn2_saveexec_b64 s[48:49], vcc
; %bb.343:                              ;   in Loop: Header=BB365_13 Depth=1
	v_accvgpr_read_b32 v4, a28
	v_accvgpr_read_b32 v5, a29
	v_or_b32_e32 v2, 0x10000, v1
	v_cmp_eq_u32_sdwa vcc, v1, v5 src0_sel:WORD_0 src1_sel:DWORD
	s_nop 1
	v_cndmask_b32_e32 v1, v2, v1, vcc
	v_accvgpr_write_b32 a42, v1
; %bb.344:                              ;   in Loop: Header=BB365_13 Depth=1
	s_or_b64 exec, exec, s[48:49]
	v_bfe_u32 v1, v0, 16, 8
	v_cvt_f32_fp8_sdwa v1, v1 src0_sel:BYTE_0
                                        ; implicit-def: $agpr6
	s_nop 0
	v_mul_f32_e32 v1, v22, v1
	v_and_b32_e32 v2, 0x7f800000, v1
	v_cmp_ne_u32_e32 vcc, s51, v2
	s_and_saveexec_b64 s[48:49], vcc
	s_xor_b64 vcc, exec, s[48:49]
; %bb.345:                              ;   in Loop: Header=BB365_13 Depth=1
	v_bfe_u32 v2, v1, 16, 1
	v_add3_u32 v1, v1, v2, s52
	v_accvgpr_write_b32 a6, v1
                                        ; implicit-def: $vgpr1
; %bb.346:                              ;   in Loop: Header=BB365_13 Depth=1
	s_andn2_saveexec_b64 s[48:49], vcc
; %bb.347:                              ;   in Loop: Header=BB365_13 Depth=1
	v_accvgpr_read_b32 v4, a28
	v_accvgpr_read_b32 v5, a29
	v_or_b32_e32 v2, 0x10000, v1
	v_cmp_eq_u32_sdwa vcc, v1, v5 src0_sel:WORD_0 src1_sel:DWORD
	s_nop 1
	v_cndmask_b32_e32 v1, v2, v1, vcc
	v_accvgpr_write_b32 a6, v1
; %bb.348:                              ;   in Loop: Header=BB365_13 Depth=1
	s_or_b64 exec, exec, s[48:49]
	v_lshrrev_b32_e32 v0, 24, v0
	v_cvt_f32_fp8_sdwa v0, v0 src0_sel:BYTE_0
                                        ; implicit-def: $agpr22
	s_nop 0
	v_mul_f32_e32 v0, v22, v0
	v_and_b32_e32 v1, 0x7f800000, v0
	v_cmp_ne_u32_e32 vcc, s51, v1
	s_and_saveexec_b64 s[48:49], vcc
	s_xor_b64 vcc, exec, s[48:49]
; %bb.349:                              ;   in Loop: Header=BB365_13 Depth=1
	v_bfe_u32 v1, v0, 16, 1
	v_add3_u32 v0, v0, v1, s52
	v_accvgpr_write_b32 a22, v0
                                        ; implicit-def: $vgpr0
; %bb.350:                              ;   in Loop: Header=BB365_13 Depth=1
	s_andn2_saveexec_b64 s[48:49], vcc
; %bb.351:                              ;   in Loop: Header=BB365_13 Depth=1
	v_accvgpr_read_b32 v2, a28
	v_accvgpr_read_b32 v3, a29
	v_or_b32_e32 v1, 0x10000, v0
	v_cmp_eq_u32_sdwa vcc, v0, v3 src0_sel:WORD_0 src1_sel:DWORD
	s_nop 1
	v_cndmask_b32_e32 v0, v1, v0, vcc
	v_accvgpr_write_b32 a22, v0
; %bb.352:                              ;   in Loop: Header=BB365_13 Depth=1
	s_or_b64 exec, exec, s[48:49]
	v_lshl_add_u64 v[0:1], v[60:61], 0, s[36:37]
	flat_load_dword v0, v[0:1] offset:8
                                        ; implicit-def: $agpr18
	s_waitcnt vmcnt(0) lgkmcnt(0)
	v_and_b32_e32 v1, 0xff, v0
	v_cvt_f32_fp8_sdwa v1, v1 src0_sel:BYTE_0
	s_nop 0
	v_mul_f32_e32 v1, v22, v1
	v_and_b32_e32 v2, 0x7f800000, v1
	v_cmp_ne_u32_e32 vcc, s51, v2
	s_and_saveexec_b64 s[48:49], vcc
	s_xor_b64 vcc, exec, s[48:49]
; %bb.353:                              ;   in Loop: Header=BB365_13 Depth=1
	v_bfe_u32 v2, v1, 16, 1
	v_add3_u32 v1, v1, v2, s52
	v_accvgpr_write_b32 a18, v1
                                        ; implicit-def: $vgpr1
; %bb.354:                              ;   in Loop: Header=BB365_13 Depth=1
	s_andn2_saveexec_b64 s[48:49], vcc
; %bb.355:                              ;   in Loop: Header=BB365_13 Depth=1
	v_accvgpr_read_b32 v4, a28
	v_accvgpr_read_b32 v5, a29
	v_or_b32_e32 v2, 0x10000, v1
	v_cmp_eq_u32_sdwa vcc, v1, v5 src0_sel:WORD_0 src1_sel:DWORD
	s_nop 1
	v_cndmask_b32_e32 v1, v2, v1, vcc
	v_accvgpr_write_b32 a18, v1
; %bb.356:                              ;   in Loop: Header=BB365_13 Depth=1
	s_or_b64 exec, exec, s[48:49]
	v_bfe_u32 v1, v0, 8, 8
	v_cvt_f32_fp8_sdwa v1, v1 src0_sel:BYTE_0
                                        ; implicit-def: $agpr23
	s_nop 0
	v_mul_f32_e32 v1, v22, v1
	v_and_b32_e32 v2, 0x7f800000, v1
	v_cmp_ne_u32_e32 vcc, s51, v2
	s_and_saveexec_b64 s[48:49], vcc
	s_xor_b64 vcc, exec, s[48:49]
; %bb.357:                              ;   in Loop: Header=BB365_13 Depth=1
	v_bfe_u32 v2, v1, 16, 1
	v_add3_u32 v1, v1, v2, s52
	v_accvgpr_write_b32 a23, v1
                                        ; implicit-def: $vgpr1
; %bb.358:                              ;   in Loop: Header=BB365_13 Depth=1
	s_andn2_saveexec_b64 s[48:49], vcc
; %bb.359:                              ;   in Loop: Header=BB365_13 Depth=1
	v_accvgpr_read_b32 v4, a28
	v_accvgpr_read_b32 v5, a29
	v_or_b32_e32 v2, 0x10000, v1
	v_cmp_eq_u32_sdwa vcc, v1, v5 src0_sel:WORD_0 src1_sel:DWORD
	s_nop 1
	v_cndmask_b32_e32 v1, v2, v1, vcc
	v_accvgpr_write_b32 a23, v1
; %bb.360:                              ;   in Loop: Header=BB365_13 Depth=1
	s_or_b64 exec, exec, s[48:49]
	v_bfe_u32 v1, v0, 16, 8
	v_cvt_f32_fp8_sdwa v1, v1 src0_sel:BYTE_0
                                        ; implicit-def: $agpr20
	s_nop 0
	v_mul_f32_e32 v1, v22, v1
	v_and_b32_e32 v2, 0x7f800000, v1
	v_cmp_ne_u32_e32 vcc, s51, v2
	s_and_saveexec_b64 s[48:49], vcc
	s_xor_b64 vcc, exec, s[48:49]
; %bb.361:                              ;   in Loop: Header=BB365_13 Depth=1
	v_bfe_u32 v2, v1, 16, 1
	v_add3_u32 v1, v1, v2, s52
	v_accvgpr_write_b32 a20, v1
                                        ; implicit-def: $vgpr1
; %bb.362:                              ;   in Loop: Header=BB365_13 Depth=1
	s_andn2_saveexec_b64 s[48:49], vcc
; %bb.363:                              ;   in Loop: Header=BB365_13 Depth=1
	v_accvgpr_read_b32 v4, a28
	v_accvgpr_read_b32 v5, a29
	v_or_b32_e32 v2, 0x10000, v1
	v_cmp_eq_u32_sdwa vcc, v1, v5 src0_sel:WORD_0 src1_sel:DWORD
	s_nop 1
	v_cndmask_b32_e32 v1, v2, v1, vcc
	v_accvgpr_write_b32 a20, v1
; %bb.364:                              ;   in Loop: Header=BB365_13 Depth=1
	s_or_b64 exec, exec, s[48:49]
	v_lshrrev_b32_e32 v0, 24, v0
	v_cvt_f32_fp8_sdwa v0, v0 src0_sel:BYTE_0
                                        ; implicit-def: $agpr21
	s_nop 0
	v_mul_f32_e32 v0, v22, v0
	v_and_b32_e32 v1, 0x7f800000, v0
	v_cmp_ne_u32_e32 vcc, s51, v1
	s_and_saveexec_b64 s[48:49], vcc
	s_xor_b64 vcc, exec, s[48:49]
; %bb.365:                              ;   in Loop: Header=BB365_13 Depth=1
	v_bfe_u32 v1, v0, 16, 1
	v_add3_u32 v0, v0, v1, s52
	v_accvgpr_write_b32 a21, v0
                                        ; implicit-def: $vgpr0
; %bb.366:                              ;   in Loop: Header=BB365_13 Depth=1
	s_andn2_saveexec_b64 s[48:49], vcc
; %bb.367:                              ;   in Loop: Header=BB365_13 Depth=1
	v_accvgpr_read_b32 v2, a28
	v_accvgpr_read_b32 v3, a29
	v_or_b32_e32 v1, 0x10000, v0
	v_cmp_eq_u32_sdwa vcc, v0, v3 src0_sel:WORD_0 src1_sel:DWORD
	s_nop 1
	v_cndmask_b32_e32 v0, v1, v0, vcc
	v_accvgpr_write_b32 a21, v0
; %bb.368:                              ;   in Loop: Header=BB365_13 Depth=1
	s_or_b64 exec, exec, s[48:49]
	v_add_co_u32_e32 v0, vcc, 0x1000, v60
                                        ; implicit-def: $agpr16
	s_nop 1
	v_addc_co_u32_e32 v1, vcc, 0, v61, vcc
	flat_load_dword v0, v[0:1] offset:1536
	s_waitcnt vmcnt(0) lgkmcnt(0)
	v_and_b32_e32 v1, 0xff, v0
	v_cvt_f32_fp8_sdwa v1, v1 src0_sel:BYTE_0
	s_nop 0
	v_mul_f32_e32 v1, v22, v1
	v_and_b32_e32 v2, 0x7f800000, v1
	v_cmp_ne_u32_e32 vcc, s51, v2
	s_and_saveexec_b64 s[48:49], vcc
	s_xor_b64 vcc, exec, s[48:49]
; %bb.369:                              ;   in Loop: Header=BB365_13 Depth=1
	v_bfe_u32 v2, v1, 16, 1
	v_add3_u32 v1, v1, v2, s52
	v_accvgpr_write_b32 a16, v1
                                        ; implicit-def: $vgpr1
; %bb.370:                              ;   in Loop: Header=BB365_13 Depth=1
	s_andn2_saveexec_b64 s[48:49], vcc
; %bb.371:                              ;   in Loop: Header=BB365_13 Depth=1
	v_accvgpr_read_b32 v4, a28
	v_accvgpr_read_b32 v5, a29
	v_or_b32_e32 v2, 0x10000, v1
	v_cmp_eq_u32_sdwa vcc, v1, v5 src0_sel:WORD_0 src1_sel:DWORD
	s_nop 1
	v_cndmask_b32_e32 v1, v2, v1, vcc
	v_accvgpr_write_b32 a16, v1
; %bb.372:                              ;   in Loop: Header=BB365_13 Depth=1
	s_or_b64 exec, exec, s[48:49]
	v_bfe_u32 v1, v0, 8, 8
	v_cvt_f32_fp8_sdwa v1, v1 src0_sel:BYTE_0
                                        ; implicit-def: $agpr3
	s_nop 0
	v_mul_f32_e32 v1, v22, v1
	v_and_b32_e32 v2, 0x7f800000, v1
	v_cmp_ne_u32_e32 vcc, s51, v2
	s_and_saveexec_b64 s[48:49], vcc
	s_xor_b64 vcc, exec, s[48:49]
; %bb.373:                              ;   in Loop: Header=BB365_13 Depth=1
	v_bfe_u32 v2, v1, 16, 1
	v_add3_u32 v1, v1, v2, s52
	v_accvgpr_write_b32 a3, v1
                                        ; implicit-def: $vgpr1
; %bb.374:                              ;   in Loop: Header=BB365_13 Depth=1
	s_andn2_saveexec_b64 s[48:49], vcc
; %bb.375:                              ;   in Loop: Header=BB365_13 Depth=1
	v_accvgpr_read_b32 v4, a28
	v_accvgpr_read_b32 v5, a29
	v_or_b32_e32 v2, 0x10000, v1
	v_cmp_eq_u32_sdwa vcc, v1, v5 src0_sel:WORD_0 src1_sel:DWORD
	s_nop 1
	v_cndmask_b32_e32 v1, v2, v1, vcc
	v_accvgpr_write_b32 a3, v1
; %bb.376:                              ;   in Loop: Header=BB365_13 Depth=1
	s_or_b64 exec, exec, s[48:49]
	v_bfe_u32 v1, v0, 16, 8
	v_cvt_f32_fp8_sdwa v1, v1 src0_sel:BYTE_0
                                        ; implicit-def: $vgpr16
	s_nop 0
	v_mul_f32_e32 v1, v22, v1
	v_and_b32_e32 v2, 0x7f800000, v1
	v_cmp_ne_u32_e32 vcc, s51, v2
	s_and_saveexec_b64 s[48:49], vcc
	s_xor_b64 vcc, exec, s[48:49]
; %bb.377:                              ;   in Loop: Header=BB365_13 Depth=1
	v_bfe_u32 v2, v1, 16, 1
	v_add3_u32 v16, v1, v2, s52
                                        ; implicit-def: $vgpr1
; %bb.378:                              ;   in Loop: Header=BB365_13 Depth=1
	s_andn2_saveexec_b64 s[48:49], vcc
; %bb.379:                              ;   in Loop: Header=BB365_13 Depth=1
	v_accvgpr_read_b32 v4, a28
	v_accvgpr_read_b32 v5, a29
	v_or_b32_e32 v2, 0x10000, v1
	v_cmp_eq_u32_sdwa vcc, v1, v5 src0_sel:WORD_0 src1_sel:DWORD
	s_nop 1
	v_cndmask_b32_e32 v16, v2, v1, vcc
; %bb.380:                              ;   in Loop: Header=BB365_13 Depth=1
	s_or_b64 exec, exec, s[48:49]
	v_lshrrev_b32_e32 v0, 24, v0
	v_cvt_f32_fp8_sdwa v0, v0 src0_sel:BYTE_0
                                        ; implicit-def: $vgpr7
	s_nop 0
	v_mul_f32_e32 v0, v22, v0
	v_and_b32_e32 v1, 0x7f800000, v0
	v_cmp_ne_u32_e32 vcc, s51, v1
	s_and_saveexec_b64 s[48:49], vcc
	s_xor_b64 vcc, exec, s[48:49]
; %bb.381:                              ;   in Loop: Header=BB365_13 Depth=1
	v_bfe_u32 v1, v0, 16, 1
	v_add3_u32 v7, v0, v1, s52
                                        ; implicit-def: $vgpr0
; %bb.382:                              ;   in Loop: Header=BB365_13 Depth=1
	s_andn2_saveexec_b64 s[48:49], vcc
; %bb.383:                              ;   in Loop: Header=BB365_13 Depth=1
	v_accvgpr_read_b32 v2, a28
	v_accvgpr_read_b32 v3, a29
	v_or_b32_e32 v1, 0x10000, v0
	v_cmp_eq_u32_sdwa vcc, v0, v3 src0_sel:WORD_0 src1_sel:DWORD
	s_nop 1
	v_cndmask_b32_e32 v7, v1, v0, vcc
; %bb.384:                              ;   in Loop: Header=BB365_13 Depth=1
	s_or_b64 exec, exec, s[48:49]
	v_lshl_add_u64 v[0:1], v[60:61], 0, s[38:39]
	flat_load_dword v0, v[0:1] offset:8
                                        ; implicit-def: $vgpr8
	s_waitcnt vmcnt(0) lgkmcnt(0)
	v_and_b32_e32 v1, 0xff, v0
	v_cvt_f32_fp8_sdwa v1, v1 src0_sel:BYTE_0
	s_nop 0
	v_mul_f32_e32 v1, v22, v1
	v_and_b32_e32 v2, 0x7f800000, v1
	v_cmp_ne_u32_e32 vcc, s51, v2
	s_and_saveexec_b64 s[48:49], vcc
	s_xor_b64 vcc, exec, s[48:49]
; %bb.385:                              ;   in Loop: Header=BB365_13 Depth=1
	v_bfe_u32 v2, v1, 16, 1
	v_add3_u32 v8, v1, v2, s52
                                        ; implicit-def: $vgpr1
; %bb.386:                              ;   in Loop: Header=BB365_13 Depth=1
	s_andn2_saveexec_b64 s[48:49], vcc
; %bb.387:                              ;   in Loop: Header=BB365_13 Depth=1
	v_accvgpr_read_b32 v4, a28
	v_accvgpr_read_b32 v5, a29
	v_or_b32_e32 v2, 0x10000, v1
	v_cmp_eq_u32_sdwa vcc, v1, v5 src0_sel:WORD_0 src1_sel:DWORD
	s_nop 1
	v_cndmask_b32_e32 v8, v2, v1, vcc
; %bb.388:                              ;   in Loop: Header=BB365_13 Depth=1
	s_or_b64 exec, exec, s[48:49]
	v_bfe_u32 v1, v0, 8, 8
	v_cvt_f32_fp8_sdwa v1, v1 src0_sel:BYTE_0
                                        ; implicit-def: $vgpr17
	s_nop 0
	v_mul_f32_e32 v1, v22, v1
	v_and_b32_e32 v2, 0x7f800000, v1
	v_cmp_ne_u32_e32 vcc, s51, v2
	s_and_saveexec_b64 s[48:49], vcc
	s_xor_b64 vcc, exec, s[48:49]
; %bb.389:                              ;   in Loop: Header=BB365_13 Depth=1
	v_bfe_u32 v2, v1, 16, 1
	v_add3_u32 v17, v1, v2, s52
                                        ; implicit-def: $vgpr1
; %bb.390:                              ;   in Loop: Header=BB365_13 Depth=1
	s_andn2_saveexec_b64 s[48:49], vcc
; %bb.391:                              ;   in Loop: Header=BB365_13 Depth=1
	v_accvgpr_read_b32 v4, a28
	v_accvgpr_read_b32 v5, a29
	v_or_b32_e32 v2, 0x10000, v1
	v_cmp_eq_u32_sdwa vcc, v1, v5 src0_sel:WORD_0 src1_sel:DWORD
	s_nop 1
	v_cndmask_b32_e32 v17, v2, v1, vcc
; %bb.392:                              ;   in Loop: Header=BB365_13 Depth=1
	s_or_b64 exec, exec, s[48:49]
	v_bfe_u32 v1, v0, 16, 8
	v_cvt_f32_fp8_sdwa v1, v1 src0_sel:BYTE_0
                                        ; implicit-def: $vgpr30
	s_nop 0
	v_mul_f32_e32 v1, v22, v1
	v_and_b32_e32 v2, 0x7f800000, v1
	v_cmp_ne_u32_e32 vcc, s51, v2
	s_and_saveexec_b64 s[48:49], vcc
	s_xor_b64 vcc, exec, s[48:49]
; %bb.393:                              ;   in Loop: Header=BB365_13 Depth=1
	v_bfe_u32 v2, v1, 16, 1
	v_add3_u32 v30, v1, v2, s52
                                        ; implicit-def: $vgpr1
; %bb.394:                              ;   in Loop: Header=BB365_13 Depth=1
	s_andn2_saveexec_b64 s[48:49], vcc
; %bb.395:                              ;   in Loop: Header=BB365_13 Depth=1
	v_accvgpr_read_b32 v4, a28
	v_accvgpr_read_b32 v5, a29
	v_or_b32_e32 v2, 0x10000, v1
	v_cmp_eq_u32_sdwa vcc, v1, v5 src0_sel:WORD_0 src1_sel:DWORD
	s_nop 1
	v_cndmask_b32_e32 v30, v2, v1, vcc
; %bb.396:                              ;   in Loop: Header=BB365_13 Depth=1
	s_or_b64 exec, exec, s[48:49]
	v_lshrrev_b32_e32 v0, 24, v0
	v_cvt_f32_fp8_sdwa v0, v0 src0_sel:BYTE_0
                                        ; implicit-def: $vgpr5
	s_nop 0
	v_mul_f32_e32 v0, v22, v0
	v_and_b32_e32 v1, 0x7f800000, v0
	v_cmp_ne_u32_e32 vcc, s51, v1
	s_and_saveexec_b64 s[48:49], vcc
	s_xor_b64 vcc, exec, s[48:49]
; %bb.397:                              ;   in Loop: Header=BB365_13 Depth=1
	v_bfe_u32 v1, v0, 16, 1
	v_add3_u32 v5, v0, v1, s52
                                        ; implicit-def: $vgpr0
; %bb.398:                              ;   in Loop: Header=BB365_13 Depth=1
	s_andn2_saveexec_b64 s[48:49], vcc
; %bb.399:                              ;   in Loop: Header=BB365_13 Depth=1
	v_accvgpr_read_b32 v2, a28
	v_accvgpr_read_b32 v3, a29
	v_or_b32_e32 v1, 0x10000, v0
	v_cmp_eq_u32_sdwa vcc, v0, v3 src0_sel:WORD_0 src1_sel:DWORD
	s_nop 1
	v_cndmask_b32_e32 v5, v1, v0, vcc
; %bb.400:                              ;   in Loop: Header=BB365_13 Depth=1
	s_or_b64 exec, exec, s[48:49]
	v_add_co_u32_e32 v0, vcc, 0x1000, v60
                                        ; implicit-def: $vgpr21
	s_nop 1
	v_addc_co_u32_e32 v1, vcc, 0, v61, vcc
	flat_load_dword v0, v[0:1] offset:2048
	s_waitcnt vmcnt(0) lgkmcnt(0)
	v_and_b32_e32 v1, 0xff, v0
	v_cvt_f32_fp8_sdwa v1, v1 src0_sel:BYTE_0
	s_nop 0
	v_mul_f32_e32 v1, v22, v1
	v_and_b32_e32 v2, 0x7f800000, v1
	v_cmp_ne_u32_e32 vcc, s51, v2
	s_and_saveexec_b64 s[48:49], vcc
	s_xor_b64 vcc, exec, s[48:49]
; %bb.401:                              ;   in Loop: Header=BB365_13 Depth=1
	v_bfe_u32 v2, v1, 16, 1
	v_add3_u32 v21, v1, v2, s52
                                        ; implicit-def: $vgpr1
; %bb.402:                              ;   in Loop: Header=BB365_13 Depth=1
	s_andn2_saveexec_b64 s[48:49], vcc
; %bb.403:                              ;   in Loop: Header=BB365_13 Depth=1
	v_accvgpr_read_b32 v10, a28
	v_accvgpr_read_b32 v11, a29
	v_or_b32_e32 v2, 0x10000, v1
	v_cmp_eq_u32_sdwa vcc, v1, v11 src0_sel:WORD_0 src1_sel:DWORD
	s_nop 1
	v_cndmask_b32_e32 v21, v2, v1, vcc
; %bb.404:                              ;   in Loop: Header=BB365_13 Depth=1
	s_or_b64 exec, exec, s[48:49]
	v_bfe_u32 v1, v0, 8, 8
	v_cvt_f32_fp8_sdwa v1, v1 src0_sel:BYTE_0
                                        ; implicit-def: $vgpr12
	s_nop 0
	v_mul_f32_e32 v1, v22, v1
	v_and_b32_e32 v2, 0x7f800000, v1
	v_cmp_ne_u32_e32 vcc, s51, v2
	s_and_saveexec_b64 s[48:49], vcc
	s_xor_b64 vcc, exec, s[48:49]
; %bb.405:                              ;   in Loop: Header=BB365_13 Depth=1
	v_bfe_u32 v2, v1, 16, 1
	v_add3_u32 v12, v1, v2, s52
                                        ; implicit-def: $vgpr1
; %bb.406:                              ;   in Loop: Header=BB365_13 Depth=1
	s_andn2_saveexec_b64 s[48:49], vcc
; %bb.407:                              ;   in Loop: Header=BB365_13 Depth=1
	v_accvgpr_read_b32 v10, a28
	v_accvgpr_read_b32 v11, a29
	v_or_b32_e32 v2, 0x10000, v1
	v_cmp_eq_u32_sdwa vcc, v1, v11 src0_sel:WORD_0 src1_sel:DWORD
	s_nop 1
	v_cndmask_b32_e32 v12, v2, v1, vcc
; %bb.408:                              ;   in Loop: Header=BB365_13 Depth=1
	s_or_b64 exec, exec, s[48:49]
	v_bfe_u32 v1, v0, 16, 8
	v_cvt_f32_fp8_sdwa v1, v1 src0_sel:BYTE_0
                                        ; implicit-def: $vgpr11
	s_nop 0
	v_mul_f32_e32 v1, v22, v1
	v_and_b32_e32 v2, 0x7f800000, v1
	v_cmp_ne_u32_e32 vcc, s51, v2
	s_and_saveexec_b64 s[48:49], vcc
	s_xor_b64 vcc, exec, s[48:49]
; %bb.409:                              ;   in Loop: Header=BB365_13 Depth=1
	v_bfe_u32 v2, v1, 16, 1
	v_add3_u32 v11, v1, v2, s52
                                        ; implicit-def: $vgpr1
; %bb.410:                              ;   in Loop: Header=BB365_13 Depth=1
	s_andn2_saveexec_b64 s[48:49], vcc
; %bb.411:                              ;   in Loop: Header=BB365_13 Depth=1
	v_accvgpr_read_b32 v10, a28
	v_accvgpr_read_b32 v11, a29
	v_or_b32_e32 v2, 0x10000, v1
	v_cmp_eq_u32_sdwa vcc, v1, v11 src0_sel:WORD_0 src1_sel:DWORD
	s_nop 1
	v_cndmask_b32_e32 v11, v2, v1, vcc
; %bb.412:                              ;   in Loop: Header=BB365_13 Depth=1
	s_or_b64 exec, exec, s[48:49]
	v_lshrrev_b32_e32 v0, 24, v0
	v_cvt_f32_fp8_sdwa v0, v0 src0_sel:BYTE_0
                                        ; implicit-def: $vgpr10
	s_nop 0
	v_mul_f32_e32 v0, v22, v0
	v_and_b32_e32 v1, 0x7f800000, v0
	v_cmp_ne_u32_e32 vcc, s51, v1
	s_and_saveexec_b64 s[48:49], vcc
	s_xor_b64 vcc, exec, s[48:49]
; %bb.413:                              ;   in Loop: Header=BB365_13 Depth=1
	v_bfe_u32 v1, v0, 16, 1
	v_add3_u32 v10, v0, v1, s52
                                        ; implicit-def: $vgpr0
; %bb.414:                              ;   in Loop: Header=BB365_13 Depth=1
	s_andn2_saveexec_b64 s[48:49], vcc
; %bb.415:                              ;   in Loop: Header=BB365_13 Depth=1
	v_accvgpr_read_b32 v2, a28
	v_accvgpr_read_b32 v3, a29
	v_or_b32_e32 v1, 0x10000, v0
	v_cmp_eq_u32_sdwa vcc, v0, v3 src0_sel:WORD_0 src1_sel:DWORD
	s_nop 1
	v_cndmask_b32_e32 v10, v1, v0, vcc
; %bb.416:                              ;   in Loop: Header=BB365_13 Depth=1
	s_or_b64 exec, exec, s[48:49]
	v_lshl_add_u64 v[0:1], v[60:61], 0, s[40:41]
	flat_load_dword v2, v[0:1] offset:8
	s_waitcnt vmcnt(0) lgkmcnt(0)
	v_and_b32_e32 v0, 0xff, v2
	v_cvt_f32_fp8_sdwa v0, v0 src0_sel:BYTE_0
	s_nop 0
	v_mul_f32_e32 v0, v22, v0
	v_and_b32_e32 v1, 0x7f800000, v0
	v_cmp_ne_u32_e32 vcc, s51, v1
                                        ; implicit-def: $vgpr1
	s_and_saveexec_b64 s[48:49], vcc
	s_xor_b64 vcc, exec, s[48:49]
; %bb.417:                              ;   in Loop: Header=BB365_13 Depth=1
	v_bfe_u32 v1, v0, 16, 1
	v_add3_u32 v1, v0, v1, s52
                                        ; implicit-def: $vgpr0
; %bb.418:                              ;   in Loop: Header=BB365_13 Depth=1
	s_andn2_saveexec_b64 s[48:49], vcc
; %bb.419:                              ;   in Loop: Header=BB365_13 Depth=1
	v_accvgpr_read_b32 v14, a28
	v_accvgpr_read_b32 v15, a29
	v_or_b32_e32 v1, 0x10000, v0
	v_cmp_eq_u32_sdwa vcc, v0, v15 src0_sel:WORD_0 src1_sel:DWORD
	s_nop 1
	v_cndmask_b32_e32 v1, v1, v0, vcc
; %bb.420:                              ;   in Loop: Header=BB365_13 Depth=1
	s_or_b64 exec, exec, s[48:49]
	v_bfe_u32 v0, v2, 8, 8
	v_cvt_f32_fp8_sdwa v0, v0 src0_sel:BYTE_0
	s_nop 0
	v_mul_f32_e32 v3, v22, v0
	v_and_b32_e32 v0, 0x7f800000, v3
	v_cmp_ne_u32_e32 vcc, s51, v0
                                        ; implicit-def: $vgpr0
	s_and_saveexec_b64 s[48:49], vcc
	s_xor_b64 vcc, exec, s[48:49]
; %bb.421:                              ;   in Loop: Header=BB365_13 Depth=1
	v_bfe_u32 v0, v3, 16, 1
	v_add3_u32 v0, v3, v0, s52
                                        ; implicit-def: $vgpr3
; %bb.422:                              ;   in Loop: Header=BB365_13 Depth=1
	s_andn2_saveexec_b64 s[48:49], vcc
; %bb.423:                              ;   in Loop: Header=BB365_13 Depth=1
	v_accvgpr_read_b32 v14, a28
	v_accvgpr_read_b32 v15, a29
	v_or_b32_e32 v0, 0x10000, v3
	v_cmp_eq_u32_sdwa vcc, v3, v15 src0_sel:WORD_0 src1_sel:DWORD
	s_nop 1
	v_cndmask_b32_e32 v0, v0, v3, vcc
; %bb.424:                              ;   in Loop: Header=BB365_13 Depth=1
	s_or_b64 exec, exec, s[48:49]
	v_bfe_u32 v3, v2, 16, 8
	v_cvt_f32_fp8_sdwa v3, v3 src0_sel:BYTE_0
	s_nop 0
	v_mul_f32_e32 v6, v22, v3
	v_and_b32_e32 v3, 0x7f800000, v6
	v_cmp_ne_u32_e32 vcc, s51, v3
                                        ; implicit-def: $vgpr3
	s_and_saveexec_b64 s[48:49], vcc
	s_xor_b64 vcc, exec, s[48:49]
; %bb.425:                              ;   in Loop: Header=BB365_13 Depth=1
	v_bfe_u32 v3, v6, 16, 1
	v_add3_u32 v3, v6, v3, s52
                                        ; implicit-def: $vgpr6
; %bb.426:                              ;   in Loop: Header=BB365_13 Depth=1
	s_andn2_saveexec_b64 s[48:49], vcc
; %bb.427:                              ;   in Loop: Header=BB365_13 Depth=1
	v_accvgpr_read_b32 v14, a28
	v_accvgpr_read_b32 v15, a29
	v_or_b32_e32 v3, 0x10000, v6
	v_cmp_eq_u32_sdwa vcc, v6, v15 src0_sel:WORD_0 src1_sel:DWORD
	s_nop 1
	v_cndmask_b32_e32 v3, v3, v6, vcc
; %bb.428:                              ;   in Loop: Header=BB365_13 Depth=1
	s_or_b64 exec, exec, s[48:49]
	v_lshrrev_b32_e32 v2, 24, v2
	v_cvt_f32_fp8_sdwa v2, v2 src0_sel:BYTE_0
	s_nop 0
	v_mul_f32_e32 v6, v22, v2
	v_and_b32_e32 v2, 0x7f800000, v6
	v_cmp_ne_u32_e32 vcc, s51, v2
                                        ; implicit-def: $vgpr2
	s_and_saveexec_b64 s[48:49], vcc
	s_xor_b64 vcc, exec, s[48:49]
; %bb.429:                              ;   in Loop: Header=BB365_13 Depth=1
	v_bfe_u32 v2, v6, 16, 1
	v_add3_u32 v2, v6, v2, s52
                                        ; implicit-def: $vgpr6
; %bb.430:                              ;   in Loop: Header=BB365_13 Depth=1
	s_andn2_saveexec_b64 s[48:49], vcc
; %bb.431:                              ;   in Loop: Header=BB365_13 Depth=1
	v_accvgpr_read_b32 v14, a28
	v_accvgpr_read_b32 v15, a29
	v_or_b32_e32 v2, 0x10000, v6
	v_cmp_eq_u32_sdwa vcc, v6, v15 src0_sel:WORD_0 src1_sel:DWORD
	s_nop 1
	v_cndmask_b32_e32 v2, v2, v6, vcc
; %bb.432:                              ;   in Loop: Header=BB365_13 Depth=1
	s_or_b64 exec, exec, s[48:49]
	v_add_co_u32_e32 v14, vcc, 0x1000, v60
                                        ; implicit-def: $vgpr4
	s_nop 1
	v_addc_co_u32_e32 v15, vcc, 0, v61, vcc
	flat_load_dword v6, v[14:15] offset:2560
	s_waitcnt vmcnt(0) lgkmcnt(0)
	v_and_b32_e32 v9, 0xff, v6
	v_cvt_f32_fp8_sdwa v9, v9 src0_sel:BYTE_0
	s_nop 0
	v_mul_f32_e32 v9, v22, v9
	v_and_b32_e32 v14, 0x7f800000, v9
	v_cmp_ne_u32_e32 vcc, s51, v14
	s_and_saveexec_b64 s[48:49], vcc
	s_xor_b64 vcc, exec, s[48:49]
; %bb.433:                              ;   in Loop: Header=BB365_13 Depth=1
	v_bfe_u32 v14, v9, 16, 1
	v_add3_u32 v4, v9, v14, s52
                                        ; implicit-def: $vgpr9
; %bb.434:                              ;   in Loop: Header=BB365_13 Depth=1
	s_andn2_saveexec_b64 s[48:49], vcc
; %bb.435:                              ;   in Loop: Header=BB365_13 Depth=1
	v_accvgpr_read_b32 v18, a28
	v_accvgpr_read_b32 v19, a29
	v_or_b32_e32 v14, 0x10000, v9
	v_cmp_eq_u32_sdwa vcc, v9, v19 src0_sel:WORD_0 src1_sel:DWORD
	s_nop 1
	v_cndmask_b32_e32 v4, v14, v9, vcc
; %bb.436:                              ;   in Loop: Header=BB365_13 Depth=1
	s_or_b64 exec, exec, s[48:49]
	v_bfe_u32 v9, v6, 8, 8
	v_cvt_f32_fp8_sdwa v9, v9 src0_sel:BYTE_0
                                        ; implicit-def: $vgpr35
	s_nop 0
	v_mul_f32_e32 v9, v22, v9
	v_and_b32_e32 v14, 0x7f800000, v9
	v_cmp_ne_u32_e32 vcc, s51, v14
	s_and_saveexec_b64 s[48:49], vcc
	s_xor_b64 vcc, exec, s[48:49]
; %bb.437:                              ;   in Loop: Header=BB365_13 Depth=1
	v_bfe_u32 v14, v9, 16, 1
	v_add3_u32 v35, v9, v14, s52
                                        ; implicit-def: $vgpr9
; %bb.438:                              ;   in Loop: Header=BB365_13 Depth=1
	s_andn2_saveexec_b64 s[48:49], vcc
; %bb.439:                              ;   in Loop: Header=BB365_13 Depth=1
	v_accvgpr_read_b32 v18, a28
	v_accvgpr_read_b32 v19, a29
	v_or_b32_e32 v14, 0x10000, v9
	v_cmp_eq_u32_sdwa vcc, v9, v19 src0_sel:WORD_0 src1_sel:DWORD
	s_nop 1
	v_cndmask_b32_e32 v35, v14, v9, vcc
; %bb.440:                              ;   in Loop: Header=BB365_13 Depth=1
	s_or_b64 exec, exec, s[48:49]
	v_bfe_u32 v9, v6, 16, 8
	v_cvt_f32_fp8_sdwa v9, v9 src0_sel:BYTE_0
                                        ; implicit-def: $vgpr23
	s_nop 0
	v_mul_f32_e32 v9, v22, v9
	v_and_b32_e32 v14, 0x7f800000, v9
	v_cmp_ne_u32_e32 vcc, s51, v14
	s_and_saveexec_b64 s[48:49], vcc
	s_xor_b64 vcc, exec, s[48:49]
; %bb.441:                              ;   in Loop: Header=BB365_13 Depth=1
	v_bfe_u32 v14, v9, 16, 1
	v_add3_u32 v23, v9, v14, s52
                                        ; implicit-def: $vgpr9
; %bb.442:                              ;   in Loop: Header=BB365_13 Depth=1
	s_andn2_saveexec_b64 s[48:49], vcc
; %bb.443:                              ;   in Loop: Header=BB365_13 Depth=1
	v_accvgpr_read_b32 v18, a28
	v_accvgpr_read_b32 v19, a29
	v_or_b32_e32 v14, 0x10000, v9
	v_cmp_eq_u32_sdwa vcc, v9, v19 src0_sel:WORD_0 src1_sel:DWORD
	s_nop 1
	v_cndmask_b32_e32 v23, v14, v9, vcc
; %bb.444:                              ;   in Loop: Header=BB365_13 Depth=1
	s_or_b64 exec, exec, s[48:49]
	v_lshrrev_b32_e32 v6, 24, v6
	v_cvt_f32_fp8_sdwa v6, v6 src0_sel:BYTE_0
                                        ; implicit-def: $vgpr26
	s_nop 0
	v_mul_f32_e32 v6, v22, v6
	v_and_b32_e32 v9, 0x7f800000, v6
	v_cmp_ne_u32_e32 vcc, s51, v9
	s_and_saveexec_b64 s[48:49], vcc
	s_xor_b64 vcc, exec, s[48:49]
; %bb.445:                              ;   in Loop: Header=BB365_13 Depth=1
	v_bfe_u32 v9, v6, 16, 1
	v_add3_u32 v26, v6, v9, s52
                                        ; implicit-def: $vgpr6
; %bb.446:                              ;   in Loop: Header=BB365_13 Depth=1
	s_andn2_saveexec_b64 s[48:49], vcc
; %bb.447:                              ;   in Loop: Header=BB365_13 Depth=1
	v_accvgpr_read_b32 v14, a28
	v_accvgpr_read_b32 v15, a29
	v_or_b32_e32 v9, 0x10000, v6
	v_cmp_eq_u32_sdwa vcc, v6, v15 src0_sel:WORD_0 src1_sel:DWORD
	s_nop 1
	v_cndmask_b32_e32 v26, v9, v6, vcc
; %bb.448:                              ;   in Loop: Header=BB365_13 Depth=1
	s_or_b64 exec, exec, s[48:49]
	v_lshl_add_u64 v[14:15], v[60:61], 0, s[42:43]
	flat_load_dword v6, v[14:15] offset:8
                                        ; implicit-def: $vgpr15
	s_waitcnt vmcnt(0) lgkmcnt(0)
	v_and_b32_e32 v9, 0xff, v6
	v_cvt_f32_fp8_sdwa v9, v9 src0_sel:BYTE_0
	s_nop 0
	v_mul_f32_e32 v9, v22, v9
	v_and_b32_e32 v14, 0x7f800000, v9
	v_cmp_ne_u32_e32 vcc, s51, v14
	s_and_saveexec_b64 s[48:49], vcc
	s_xor_b64 vcc, exec, s[48:49]
; %bb.449:                              ;   in Loop: Header=BB365_13 Depth=1
	v_bfe_u32 v14, v9, 16, 1
	v_add3_u32 v15, v9, v14, s52
                                        ; implicit-def: $vgpr9
; %bb.450:                              ;   in Loop: Header=BB365_13 Depth=1
	s_andn2_saveexec_b64 s[48:49], vcc
; %bb.451:                              ;   in Loop: Header=BB365_13 Depth=1
	v_accvgpr_read_b32 v18, a28
	v_accvgpr_read_b32 v19, a29
	v_or_b32_e32 v14, 0x10000, v9
	v_cmp_eq_u32_sdwa vcc, v9, v19 src0_sel:WORD_0 src1_sel:DWORD
	s_nop 1
	v_cndmask_b32_e32 v15, v14, v9, vcc
; %bb.452:                              ;   in Loop: Header=BB365_13 Depth=1
	s_or_b64 exec, exec, s[48:49]
	v_bfe_u32 v9, v6, 8, 8
	v_cvt_f32_fp8_sdwa v9, v9 src0_sel:BYTE_0
	s_nop 0
	v_mul_f32_e32 v9, v22, v9
	v_and_b32_e32 v14, 0x7f800000, v9
	v_cmp_ne_u32_e32 vcc, s51, v14
                                        ; implicit-def: $vgpr14
	s_and_saveexec_b64 s[48:49], vcc
	s_xor_b64 vcc, exec, s[48:49]
; %bb.453:                              ;   in Loop: Header=BB365_13 Depth=1
	v_bfe_u32 v14, v9, 16, 1
	v_add3_u32 v14, v9, v14, s52
                                        ; implicit-def: $vgpr9
; %bb.454:                              ;   in Loop: Header=BB365_13 Depth=1
	s_andn2_saveexec_b64 s[48:49], vcc
; %bb.455:                              ;   in Loop: Header=BB365_13 Depth=1
	v_accvgpr_read_b32 v18, a28
	v_accvgpr_read_b32 v19, a29
	v_or_b32_e32 v14, 0x10000, v9
	v_cmp_eq_u32_sdwa vcc, v9, v19 src0_sel:WORD_0 src1_sel:DWORD
	s_nop 1
	v_cndmask_b32_e32 v14, v14, v9, vcc
; %bb.456:                              ;   in Loop: Header=BB365_13 Depth=1
	s_or_b64 exec, exec, s[48:49]
	v_bfe_u32 v9, v6, 16, 8
	v_cvt_f32_fp8_sdwa v9, v9 src0_sel:BYTE_0
                                        ; implicit-def: $vgpr27
	s_nop 0
	v_mul_f32_e32 v9, v22, v9
	v_and_b32_e32 v18, 0x7f800000, v9
	v_cmp_ne_u32_e32 vcc, s51, v18
	s_and_saveexec_b64 s[48:49], vcc
	s_xor_b64 vcc, exec, s[48:49]
; %bb.457:                              ;   in Loop: Header=BB365_13 Depth=1
	v_bfe_u32 v18, v9, 16, 1
	v_add3_u32 v27, v9, v18, s52
                                        ; implicit-def: $vgpr9
; %bb.458:                              ;   in Loop: Header=BB365_13 Depth=1
	s_andn2_saveexec_b64 s[48:49], vcc
; %bb.459:                              ;   in Loop: Header=BB365_13 Depth=1
	v_accvgpr_read_b32 v24, a28
	v_accvgpr_read_b32 v25, a29
	v_or_b32_e32 v18, 0x10000, v9
	v_cmp_eq_u32_sdwa vcc, v9, v25 src0_sel:WORD_0 src1_sel:DWORD
	s_nop 1
	v_cndmask_b32_e32 v27, v18, v9, vcc
; %bb.460:                              ;   in Loop: Header=BB365_13 Depth=1
	s_or_b64 exec, exec, s[48:49]
	v_lshrrev_b32_e32 v6, 24, v6
	v_cvt_f32_fp8_sdwa v6, v6 src0_sel:BYTE_0
                                        ; implicit-def: $vgpr33
	s_nop 0
	v_mul_f32_e32 v6, v22, v6
	v_and_b32_e32 v9, 0x7f800000, v6
	v_cmp_ne_u32_e32 vcc, s51, v9
	s_and_saveexec_b64 s[48:49], vcc
	s_xor_b64 vcc, exec, s[48:49]
; %bb.461:                              ;   in Loop: Header=BB365_13 Depth=1
	v_bfe_u32 v9, v6, 16, 1
	v_add3_u32 v33, v6, v9, s52
                                        ; implicit-def: $vgpr6
; %bb.462:                              ;   in Loop: Header=BB365_13 Depth=1
	s_andn2_saveexec_b64 s[48:49], vcc
; %bb.463:                              ;   in Loop: Header=BB365_13 Depth=1
	v_accvgpr_read_b32 v18, a28
	v_accvgpr_read_b32 v19, a29
	v_or_b32_e32 v9, 0x10000, v6
	v_cmp_eq_u32_sdwa vcc, v6, v19 src0_sel:WORD_0 src1_sel:DWORD
	s_nop 1
	v_cndmask_b32_e32 v33, v9, v6, vcc
; %bb.464:                              ;   in Loop: Header=BB365_13 Depth=1
	s_or_b64 exec, exec, s[48:49]
	v_add_co_u32_e32 v18, vcc, 0x1000, v60
                                        ; implicit-def: $vgpr44
	s_nop 1
	v_addc_co_u32_e32 v19, vcc, 0, v61, vcc
	flat_load_dword v6, v[18:19] offset:3072
	s_waitcnt vmcnt(0) lgkmcnt(0)
	v_and_b32_e32 v9, 0xff, v6
	v_cvt_f32_fp8_sdwa v9, v9 src0_sel:BYTE_0
	s_nop 0
	v_mul_f32_e32 v9, v22, v9
	v_and_b32_e32 v18, 0x7f800000, v9
	v_cmp_ne_u32_e32 vcc, s51, v18
	s_and_saveexec_b64 s[48:49], vcc
	s_xor_b64 vcc, exec, s[48:49]
; %bb.465:                              ;   in Loop: Header=BB365_13 Depth=1
	v_bfe_u32 v18, v9, 16, 1
	v_add3_u32 v44, v9, v18, s52
                                        ; implicit-def: $vgpr9
; %bb.466:                              ;   in Loop: Header=BB365_13 Depth=1
	s_andn2_saveexec_b64 s[48:49], vcc
; %bb.467:                              ;   in Loop: Header=BB365_13 Depth=1
	v_accvgpr_read_b32 v24, a28
	v_accvgpr_read_b32 v25, a29
	v_or_b32_e32 v18, 0x10000, v9
	v_cmp_eq_u32_sdwa vcc, v9, v25 src0_sel:WORD_0 src1_sel:DWORD
	s_nop 1
	v_cndmask_b32_e32 v44, v18, v9, vcc
; %bb.468:                              ;   in Loop: Header=BB365_13 Depth=1
	s_or_b64 exec, exec, s[48:49]
	v_bfe_u32 v9, v6, 8, 8
	v_cvt_f32_fp8_sdwa v9, v9 src0_sel:BYTE_0
                                        ; implicit-def: $vgpr34
	s_nop 0
	v_mul_f32_e32 v9, v22, v9
	v_and_b32_e32 v18, 0x7f800000, v9
	v_cmp_ne_u32_e32 vcc, s51, v18
	s_and_saveexec_b64 s[48:49], vcc
	s_xor_b64 vcc, exec, s[48:49]
; %bb.469:                              ;   in Loop: Header=BB365_13 Depth=1
	v_bfe_u32 v18, v9, 16, 1
	v_add3_u32 v34, v9, v18, s52
                                        ; implicit-def: $vgpr9
; %bb.470:                              ;   in Loop: Header=BB365_13 Depth=1
	s_andn2_saveexec_b64 s[48:49], vcc
; %bb.471:                              ;   in Loop: Header=BB365_13 Depth=1
	v_accvgpr_read_b32 v24, a28
	v_accvgpr_read_b32 v25, a29
	v_or_b32_e32 v18, 0x10000, v9
	v_cmp_eq_u32_sdwa vcc, v9, v25 src0_sel:WORD_0 src1_sel:DWORD
	s_nop 1
	v_cndmask_b32_e32 v34, v18, v9, vcc
; %bb.472:                              ;   in Loop: Header=BB365_13 Depth=1
	s_or_b64 exec, exec, s[48:49]
	v_bfe_u32 v9, v6, 16, 8
	v_cvt_f32_fp8_sdwa v9, v9 src0_sel:BYTE_0
                                        ; implicit-def: $vgpr20
	s_nop 0
	v_mul_f32_e32 v9, v22, v9
	v_and_b32_e32 v18, 0x7f800000, v9
	v_cmp_ne_u32_e32 vcc, s51, v18
	s_and_saveexec_b64 s[48:49], vcc
	s_xor_b64 vcc, exec, s[48:49]
; %bb.473:                              ;   in Loop: Header=BB365_13 Depth=1
	v_bfe_u32 v18, v9, 16, 1
	v_add3_u32 v20, v9, v18, s52
                                        ; implicit-def: $vgpr9
; %bb.474:                              ;   in Loop: Header=BB365_13 Depth=1
	s_andn2_saveexec_b64 s[48:49], vcc
; %bb.475:                              ;   in Loop: Header=BB365_13 Depth=1
	v_accvgpr_read_b32 v24, a28
	v_accvgpr_read_b32 v25, a29
	v_or_b32_e32 v18, 0x10000, v9
	v_cmp_eq_u32_sdwa vcc, v9, v25 src0_sel:WORD_0 src1_sel:DWORD
	s_nop 1
	v_cndmask_b32_e32 v20, v18, v9, vcc
; %bb.476:                              ;   in Loop: Header=BB365_13 Depth=1
	s_or_b64 exec, exec, s[48:49]
	v_lshrrev_b32_e32 v6, 24, v6
	v_cvt_f32_fp8_sdwa v6, v6 src0_sel:BYTE_0
                                        ; implicit-def: $vgpr31
	s_nop 0
	v_mul_f32_e32 v6, v22, v6
	v_and_b32_e32 v9, 0x7f800000, v6
	v_cmp_ne_u32_e32 vcc, s51, v9
	s_and_saveexec_b64 s[48:49], vcc
	s_xor_b64 vcc, exec, s[48:49]
; %bb.477:                              ;   in Loop: Header=BB365_13 Depth=1
	v_bfe_u32 v9, v6, 16, 1
	v_add3_u32 v31, v6, v9, s52
                                        ; implicit-def: $vgpr6
; %bb.478:                              ;   in Loop: Header=BB365_13 Depth=1
	s_andn2_saveexec_b64 s[48:49], vcc
; %bb.479:                              ;   in Loop: Header=BB365_13 Depth=1
	v_accvgpr_read_b32 v18, a28
	v_accvgpr_read_b32 v19, a29
	v_or_b32_e32 v9, 0x10000, v6
	v_cmp_eq_u32_sdwa vcc, v6, v19 src0_sel:WORD_0 src1_sel:DWORD
	s_nop 1
	v_cndmask_b32_e32 v31, v9, v6, vcc
; %bb.480:                              ;   in Loop: Header=BB365_13 Depth=1
	s_or_b64 exec, exec, s[48:49]
	v_lshl_add_u64 v[18:19], v[60:61], 0, s[44:45]
	flat_load_dword v6, v[18:19] offset:8
                                        ; implicit-def: $vgpr25
	s_waitcnt vmcnt(0) lgkmcnt(0)
	v_and_b32_e32 v9, 0xff, v6
	v_cvt_f32_fp8_sdwa v9, v9 src0_sel:BYTE_0
	s_nop 0
	v_mul_f32_e32 v9, v22, v9
	v_and_b32_e32 v18, 0x7f800000, v9
	v_cmp_ne_u32_e32 vcc, s51, v18
	s_and_saveexec_b64 s[48:49], vcc
	s_xor_b64 vcc, exec, s[48:49]
; %bb.481:                              ;   in Loop: Header=BB365_13 Depth=1
	v_bfe_u32 v18, v9, 16, 1
	v_add3_u32 v25, v9, v18, s52
                                        ; implicit-def: $vgpr9
; %bb.482:                              ;   in Loop: Header=BB365_13 Depth=1
	s_andn2_saveexec_b64 s[48:49], vcc
; %bb.483:                              ;   in Loop: Header=BB365_13 Depth=1
	v_accvgpr_read_b32 v24, a28
	v_accvgpr_read_b32 v25, a29
	v_or_b32_e32 v18, 0x10000, v9
	v_cmp_eq_u32_sdwa vcc, v9, v25 src0_sel:WORD_0 src1_sel:DWORD
	s_nop 1
	v_cndmask_b32_e32 v25, v18, v9, vcc
; %bb.484:                              ;   in Loop: Header=BB365_13 Depth=1
	s_or_b64 exec, exec, s[48:49]
	v_bfe_u32 v9, v6, 8, 8
	v_cvt_f32_fp8_sdwa v9, v9 src0_sel:BYTE_0
                                        ; implicit-def: $vgpr48
	s_nop 0
	v_mul_f32_e32 v9, v22, v9
	v_and_b32_e32 v18, 0x7f800000, v9
	v_cmp_ne_u32_e32 vcc, s51, v18
	s_and_saveexec_b64 s[48:49], vcc
	s_xor_b64 vcc, exec, s[48:49]
; %bb.485:                              ;   in Loop: Header=BB365_13 Depth=1
	v_bfe_u32 v18, v9, 16, 1
	v_add3_u32 v48, v9, v18, s52
                                        ; implicit-def: $vgpr9
; %bb.486:                              ;   in Loop: Header=BB365_13 Depth=1
	s_andn2_saveexec_b64 s[48:49], vcc
; %bb.487:                              ;   in Loop: Header=BB365_13 Depth=1
	v_accvgpr_read_b32 v28, a28
	v_accvgpr_read_b32 v29, a29
	v_or_b32_e32 v18, 0x10000, v9
	v_cmp_eq_u32_sdwa vcc, v9, v29 src0_sel:WORD_0 src1_sel:DWORD
	s_nop 1
	v_cndmask_b32_e32 v48, v18, v9, vcc
; %bb.488:                              ;   in Loop: Header=BB365_13 Depth=1
	s_or_b64 exec, exec, s[48:49]
	v_bfe_u32 v9, v6, 16, 8
	v_cvt_f32_fp8_sdwa v9, v9 src0_sel:BYTE_0
                                        ; implicit-def: $vgpr49
	s_nop 0
	v_mul_f32_e32 v9, v22, v9
	v_and_b32_e32 v18, 0x7f800000, v9
	v_cmp_ne_u32_e32 vcc, s51, v18
	s_and_saveexec_b64 s[48:49], vcc
	s_xor_b64 vcc, exec, s[48:49]
; %bb.489:                              ;   in Loop: Header=BB365_13 Depth=1
	v_bfe_u32 v18, v9, 16, 1
	v_add3_u32 v49, v9, v18, s52
                                        ; implicit-def: $vgpr9
; %bb.490:                              ;   in Loop: Header=BB365_13 Depth=1
	s_andn2_saveexec_b64 s[48:49], vcc
; %bb.491:                              ;   in Loop: Header=BB365_13 Depth=1
	v_accvgpr_read_b32 v28, a28
	v_accvgpr_read_b32 v29, a29
	v_or_b32_e32 v18, 0x10000, v9
	v_cmp_eq_u32_sdwa vcc, v9, v29 src0_sel:WORD_0 src1_sel:DWORD
	s_nop 1
	v_cndmask_b32_e32 v49, v18, v9, vcc
; %bb.492:                              ;   in Loop: Header=BB365_13 Depth=1
	s_or_b64 exec, exec, s[48:49]
	v_lshrrev_b32_e32 v6, 24, v6
	v_cvt_f32_fp8_sdwa v6, v6 src0_sel:BYTE_0
                                        ; implicit-def: $vgpr50
	s_nop 0
	v_mul_f32_e32 v6, v22, v6
	v_and_b32_e32 v9, 0x7f800000, v6
	v_cmp_ne_u32_e32 vcc, s51, v9
	s_and_saveexec_b64 s[48:49], vcc
	s_xor_b64 vcc, exec, s[48:49]
; %bb.493:                              ;   in Loop: Header=BB365_13 Depth=1
	v_bfe_u32 v9, v6, 16, 1
	v_add3_u32 v50, v6, v9, s52
                                        ; implicit-def: $vgpr6
; %bb.494:                              ;   in Loop: Header=BB365_13 Depth=1
	s_andn2_saveexec_b64 s[48:49], vcc
; %bb.495:                              ;   in Loop: Header=BB365_13 Depth=1
	v_accvgpr_read_b32 v18, a28
	v_accvgpr_read_b32 v19, a29
	v_or_b32_e32 v9, 0x10000, v6
	v_cmp_eq_u32_sdwa vcc, v6, v19 src0_sel:WORD_0 src1_sel:DWORD
	s_nop 1
	v_cndmask_b32_e32 v50, v9, v6, vcc
; %bb.496:                              ;   in Loop: Header=BB365_13 Depth=1
	s_or_b64 exec, exec, s[48:49]
	v_add_co_u32_e32 v18, vcc, 0x1000, v60
                                        ; implicit-def: $vgpr51
	s_nop 1
	v_addc_co_u32_e32 v19, vcc, 0, v61, vcc
	flat_load_dword v9, v[18:19] offset:3584
	s_waitcnt vmcnt(0) lgkmcnt(0)
	v_and_b32_e32 v6, 0xff, v9
	v_cvt_f32_fp8_sdwa v6, v6 src0_sel:BYTE_0
	s_nop 0
	v_mul_f32_e32 v6, v22, v6
	v_and_b32_e32 v18, 0x7f800000, v6
	v_cmp_ne_u32_e32 vcc, s51, v18
	s_and_saveexec_b64 s[48:49], vcc
	s_xor_b64 vcc, exec, s[48:49]
; %bb.497:                              ;   in Loop: Header=BB365_13 Depth=1
	v_bfe_u32 v18, v6, 16, 1
	v_add3_u32 v51, v6, v18, s52
                                        ; implicit-def: $vgpr6
; %bb.498:                              ;   in Loop: Header=BB365_13 Depth=1
	s_andn2_saveexec_b64 s[48:49], vcc
; %bb.499:                              ;   in Loop: Header=BB365_13 Depth=1
	v_accvgpr_read_b32 v28, a28
	v_accvgpr_read_b32 v29, a29
	v_or_b32_e32 v18, 0x10000, v6
	v_cmp_eq_u32_sdwa vcc, v6, v29 src0_sel:WORD_0 src1_sel:DWORD
	s_nop 1
	v_cndmask_b32_e32 v51, v18, v6, vcc
; %bb.500:                              ;   in Loop: Header=BB365_13 Depth=1
	s_or_b64 exec, exec, s[48:49]
	v_bfe_u32 v6, v9, 8, 8
	v_cvt_f32_fp8_sdwa v6, v6 src0_sel:BYTE_0
                                        ; implicit-def: $vgpr24
	s_nop 0
	v_mul_f32_e32 v6, v22, v6
	v_and_b32_e32 v18, 0x7f800000, v6
	v_cmp_ne_u32_e32 vcc, s51, v18
	s_and_saveexec_b64 s[48:49], vcc
	s_xor_b64 vcc, exec, s[48:49]
; %bb.501:                              ;   in Loop: Header=BB365_13 Depth=1
	v_bfe_u32 v18, v6, 16, 1
	v_add3_u32 v24, v6, v18, s52
                                        ; implicit-def: $vgpr6
; %bb.502:                              ;   in Loop: Header=BB365_13 Depth=1
	s_andn2_saveexec_b64 s[48:49], vcc
; %bb.503:                              ;   in Loop: Header=BB365_13 Depth=1
	v_accvgpr_read_b32 v28, a28
	v_accvgpr_read_b32 v29, a29
	v_or_b32_e32 v18, 0x10000, v6
	v_cmp_eq_u32_sdwa vcc, v6, v29 src0_sel:WORD_0 src1_sel:DWORD
	s_nop 1
	v_cndmask_b32_e32 v24, v18, v6, vcc
; %bb.504:                              ;   in Loop: Header=BB365_13 Depth=1
	s_or_b64 exec, exec, s[48:49]
	v_bfe_u32 v6, v9, 16, 8
	v_cvt_f32_fp8_sdwa v6, v6 src0_sel:BYTE_0
	s_nop 0
	v_mul_f32_e32 v18, v22, v6
	v_and_b32_e32 v6, 0x7f800000, v18
	v_cmp_ne_u32_e32 vcc, s51, v6
                                        ; implicit-def: $vgpr6
	s_and_saveexec_b64 s[48:49], vcc
	s_xor_b64 vcc, exec, s[48:49]
; %bb.505:                              ;   in Loop: Header=BB365_13 Depth=1
	v_bfe_u32 v6, v18, 16, 1
	v_add3_u32 v6, v18, v6, s52
                                        ; implicit-def: $vgpr18
; %bb.506:                              ;   in Loop: Header=BB365_13 Depth=1
	s_andn2_saveexec_b64 s[48:49], vcc
; %bb.507:                              ;   in Loop: Header=BB365_13 Depth=1
	v_accvgpr_read_b32 v28, a28
	v_accvgpr_read_b32 v29, a29
	v_or_b32_e32 v6, 0x10000, v18
	v_cmp_eq_u32_sdwa vcc, v18, v29 src0_sel:WORD_0 src1_sel:DWORD
	s_nop 1
	v_cndmask_b32_e32 v6, v6, v18, vcc
; %bb.508:                              ;   in Loop: Header=BB365_13 Depth=1
	s_or_b64 exec, exec, s[48:49]
	v_lshrrev_b32_e32 v9, 24, v9
	v_cvt_f32_fp8_sdwa v9, v9 src0_sel:BYTE_0
	s_nop 0
	v_mul_f32_e32 v18, v22, v9
	v_and_b32_e32 v9, 0x7f800000, v18
	v_cmp_ne_u32_e32 vcc, s51, v9
                                        ; implicit-def: $vgpr9
	s_and_saveexec_b64 s[48:49], vcc
	s_xor_b64 vcc, exec, s[48:49]
; %bb.509:                              ;   in Loop: Header=BB365_13 Depth=1
	v_bfe_u32 v9, v18, 16, 1
	v_add3_u32 v9, v18, v9, s52
                                        ; implicit-def: $vgpr18
; %bb.510:                              ;   in Loop: Header=BB365_13 Depth=1
	s_andn2_saveexec_b64 s[48:49], vcc
; %bb.511:                              ;   in Loop: Header=BB365_13 Depth=1
	v_accvgpr_read_b32 v28, a28
	v_accvgpr_read_b32 v29, a29
	v_or_b32_e32 v9, 0x10000, v18
	v_cmp_eq_u32_sdwa vcc, v18, v29 src0_sel:WORD_0 src1_sel:DWORD
	s_nop 1
	v_cndmask_b32_e32 v9, v9, v18, vcc
; %bb.512:                              ;   in Loop: Header=BB365_13 Depth=1
	s_or_b64 exec, exec, s[48:49]
	v_lshl_add_u64 v[18:19], v[60:61], 0, s[46:47]
	flat_load_dword v19, v[18:19] offset:8
	s_waitcnt vmcnt(0) lgkmcnt(0)
	v_and_b32_e32 v18, 0xff, v19
	v_cvt_f32_fp8_sdwa v18, v18 src0_sel:BYTE_0
	s_nop 0
	v_mul_f32_e32 v28, v22, v18
	v_and_b32_e32 v18, 0x7f800000, v28
	v_cmp_ne_u32_e32 vcc, s51, v18
                                        ; implicit-def: $vgpr18
	s_and_saveexec_b64 s[48:49], vcc
	s_xor_b64 vcc, exec, s[48:49]
; %bb.513:                              ;   in Loop: Header=BB365_13 Depth=1
	v_bfe_u32 v18, v28, 16, 1
	v_add3_u32 v18, v28, v18, s52
                                        ; implicit-def: $vgpr28
; %bb.514:                              ;   in Loop: Header=BB365_13 Depth=1
	s_andn2_saveexec_b64 s[48:49], vcc
; %bb.515:                              ;   in Loop: Header=BB365_13 Depth=1
	v_accvgpr_read_b32 v37, a29
	v_or_b32_e32 v18, 0x10000, v28
	v_cmp_eq_u32_sdwa vcc, v28, v37 src0_sel:WORD_0 src1_sel:DWORD
	v_accvgpr_read_b32 v36, a28
	s_nop 0
	v_cndmask_b32_e32 v18, v18, v28, vcc
; %bb.516:                              ;   in Loop: Header=BB365_13 Depth=1
	s_or_b64 exec, exec, s[48:49]
	v_bfe_u32 v28, v19, 8, 8
	v_cvt_f32_fp8_sdwa v28, v28 src0_sel:BYTE_0
	s_nop 0
	v_mul_f32_e32 v29, v22, v28
	v_and_b32_e32 v28, 0x7f800000, v29
	v_cmp_ne_u32_e32 vcc, s51, v28
                                        ; implicit-def: $vgpr28
	s_and_saveexec_b64 s[48:49], vcc
	s_xor_b64 vcc, exec, s[48:49]
; %bb.517:                              ;   in Loop: Header=BB365_13 Depth=1
	v_bfe_u32 v28, v29, 16, 1
	v_add3_u32 v28, v29, v28, s52
                                        ; implicit-def: $vgpr29
; %bb.518:                              ;   in Loop: Header=BB365_13 Depth=1
	s_andn2_saveexec_b64 s[48:49], vcc
; %bb.519:                              ;   in Loop: Header=BB365_13 Depth=1
	v_accvgpr_read_b32 v37, a29
	v_or_b32_e32 v28, 0x10000, v29
	v_cmp_eq_u32_sdwa vcc, v29, v37 src0_sel:WORD_0 src1_sel:DWORD
	v_accvgpr_read_b32 v36, a28
	s_nop 0
	v_cndmask_b32_e32 v28, v28, v29, vcc
; %bb.520:                              ;   in Loop: Header=BB365_13 Depth=1
	s_or_b64 exec, exec, s[48:49]
	v_bfe_u32 v29, v19, 16, 8
	v_cvt_f32_fp8_sdwa v29, v29 src0_sel:BYTE_0
                                        ; implicit-def: $vgpr61
	s_nop 0
	v_mul_f32_e32 v29, v22, v29
	v_and_b32_e32 v32, 0x7f800000, v29
	v_cmp_ne_u32_e32 vcc, s51, v32
	s_and_saveexec_b64 s[48:49], vcc
	s_xor_b64 vcc, exec, s[48:49]
; %bb.521:                              ;   in Loop: Header=BB365_13 Depth=1
	v_bfe_u32 v32, v29, 16, 1
	v_add3_u32 v61, v29, v32, s52
                                        ; implicit-def: $vgpr29
; %bb.522:                              ;   in Loop: Header=BB365_13 Depth=1
	s_andn2_saveexec_b64 s[48:49], vcc
; %bb.523:                              ;   in Loop: Header=BB365_13 Depth=1
	v_accvgpr_read_b32 v37, a29
	v_or_b32_e32 v32, 0x10000, v29
	v_cmp_eq_u32_sdwa vcc, v29, v37 src0_sel:WORD_0 src1_sel:DWORD
	v_accvgpr_read_b32 v36, a28
	s_nop 0
	v_cndmask_b32_e32 v61, v32, v29, vcc
; %bb.524:                              ;   in Loop: Header=BB365_13 Depth=1
	s_or_b64 exec, exec, s[48:49]
	v_lshrrev_b32_e32 v19, 24, v19
	v_cvt_f32_fp8_sdwa v19, v19 src0_sel:BYTE_0
                                        ; implicit-def: $vgpr60
	s_nop 0
	v_mul_f32_e32 v19, v22, v19
	v_and_b32_e32 v22, 0x7f800000, v19
	v_cmp_ne_u32_e32 vcc, s51, v22
	s_and_saveexec_b64 s[48:49], vcc
	s_xor_b64 vcc, exec, s[48:49]
; %bb.525:                              ;   in Loop: Header=BB365_13 Depth=1
	v_bfe_u32 v22, v19, 16, 1
	v_add3_u32 v60, v19, v22, s52
                                        ; implicit-def: $vgpr19
; %bb.526:                              ;   in Loop: Header=BB365_13 Depth=1
	s_or_saveexec_b64 s[48:49], vcc
	v_accvgpr_write_b32 a32, v52
	s_xor_b64 exec, exec, s[48:49]
; %bb.527:                              ;   in Loop: Header=BB365_13 Depth=1
	v_accvgpr_read_b32 v37, a29
	v_or_b32_e32 v22, 0x10000, v19
	v_cmp_eq_u32_sdwa vcc, v19, v37 src0_sel:WORD_0 src1_sel:DWORD
	v_accvgpr_read_b32 v36, a28
	s_nop 0
	v_cndmask_b32_e32 v60, v22, v19, vcc
; %bb.528:                              ;   in Loop: Header=BB365_13 Depth=1
	s_or_b64 exec, exec, s[48:49]
	v_and_b32_e32 v0, 0xffff0000, v0
	scratch_store_dword off, v0, s32 offset:612 ; 4-byte Folded Spill
	v_and_b32_e32 v0, 0xffff0000, v1
	scratch_store_dword off, v0, s32 offset:616 ; 4-byte Folded Spill
	v_and_b32_e32 v0, 0xffff0000, v11
	scratch_store_dword off, v0, s32 offset:628 ; 4-byte Folded Spill
	v_and_b32_e32 v0, 0xffff0000, v10
	scratch_store_dword off, v0, s32 offset:624 ; 4-byte Folded Spill
	v_and_b32_e32 v0, 0xffff0000, v12
	scratch_store_dword off, v0, s32 offset:632 ; 4-byte Folded Spill
	v_and_b32_e32 v0, 0xffff0000, v21
	scratch_store_dword off, v0, s32 offset:636 ; 4-byte Folded Spill
	v_and_b32_e32 v0, 0xffff0000, v30
	scratch_store_dword off, v0, s32 offset:648 ; 4-byte Folded Spill
	v_and_b32_e32 v0, 0xffff0000, v5
	scratch_store_dword off, v0, s32 offset:644 ; 4-byte Folded Spill
	v_and_b32_e32 v0, 0xffff0000, v17
	scratch_store_dword off, v0, s32 offset:652 ; 4-byte Folded Spill
	v_and_b32_e32 v0, 0xffff0000, v8
	scratch_store_dword off, v0, s32 offset:656 ; 4-byte Folded Spill
	v_and_b32_e32 v0, 0xffff0000, v16
	scratch_store_dword off, v0, s32 offset:668 ; 4-byte Folded Spill
	v_and_b32_e32 v0, 0xffff0000, v7
	scratch_store_dword off, v0, s32 offset:664 ; 4-byte Folded Spill
	v_accvgpr_read_b32 v0, a3
	v_and_b32_e32 v0, 0xffff0000, v0
	scratch_store_dword off, v0, s32 offset:672 ; 4-byte Folded Spill
	v_accvgpr_read_b32 v0, a16
	v_and_b32_e32 v0, 0xffff0000, v0
	scratch_store_dword off, v0, s32 offset:688 ; 4-byte Folded Spill
	v_accvgpr_read_b32 v0, a20
	v_and_b32_e32 v0, 0xffff0000, v0
	scratch_store_dword off, v0, s32 offset:696 ; 4-byte Folded Spill
	v_accvgpr_read_b32 v0, a21
	v_and_b32_e32 v0, 0xffff0000, v0
	scratch_store_dword off, v0, s32 offset:692 ; 4-byte Folded Spill
	v_accvgpr_read_b32 v0, a23
	v_and_b32_e32 v0, 0xffff0000, v0
	scratch_store_dword off, v0, s32 offset:700 ; 4-byte Folded Spill
	v_accvgpr_read_b32 v0, a18
	v_and_b32_e32 v0, 0xffff0000, v0
	scratch_store_dword off, v0, s32 offset:704 ; 4-byte Folded Spill
	v_accvgpr_read_b32 v0, a6
	v_and_b32_e32 v0, 0xffff0000, v0
	scratch_store_dword off, v0, s32 offset:712 ; 4-byte Folded Spill
	v_accvgpr_read_b32 v0, a22
	v_and_b32_e32 v0, 0xffff0000, v0
	scratch_store_dword off, v0, s32 offset:708 ; 4-byte Folded Spill
	v_accvgpr_read_b32 v0, a42
	v_and_b32_e32 v0, 0xffff0000, v0
	scratch_store_dword off, v0, s32 offset:716 ; 4-byte Folded Spill
	v_and_b32_e32 v0, 0xffff0000, v62
	scratch_store_dword off, v0, s32 offset:720 ; 4-byte Folded Spill
	v_accvgpr_read_b32 v0, a35
	v_and_b32_e32 v0, 0xffff0000, v0
	scratch_store_dword off, v0, s32 offset:724 ; 4-byte Folded Spill
	v_accvgpr_read_b32 v0, a37
	;; [unrolled: 3-line block ×3, first 2 shown]
	v_and_b32_e32 v0, 0xffff0000, v0
	scratch_store_dword off, v0, s32 offset:732 ; 4-byte Folded Spill
	v_and_b32_e32 v0, 0xffff0000, v59
	scratch_store_dword off, v0, s32 offset:736 ; 4-byte Folded Spill
	;; [unrolled: 2-line block ×3, first 2 shown]
	v_accvgpr_read_b32 v0, a14
	v_and_b32_e32 v0, 0xffff0000, v0
	scratch_store_dword off, v0, s32 offset:740 ; 4-byte Folded Spill
	v_and_b32_e32 v0, 0xffff0000, v58
	scratch_store_dword off, v0, s32 offset:748 ; 4-byte Folded Spill
	v_and_b32_e32 v0, 0xffff0000, v47
	scratch_store_dword off, v0, s32 offset:752 ; 4-byte Folded Spill
	v_and_b32_e32 v0, 0xffff0000, v45
	scratch_store_dword off, v0, s32 offset:756 ; 4-byte Folded Spill
	v_and_b32_e32 v0, 0xffff0000, v46
	scratch_store_dword off, v0, s32 offset:760 ; 4-byte Folded Spill
	v_and_b32_e32 v0, 0xffff0000, v43
	scratch_store_dword off, v0, s32 offset:764 ; 4-byte Folded Spill
	v_and_b32_e32 v0, 0xffff0000, v55
	scratch_store_dword off, v0, s32 offset:768 ; 4-byte Folded Spill
	v_accvgpr_read_b32 v0, a25
	v_and_b32_e32 v0, 0xffff0000, v0
	scratch_store_dword off, v0, s32 offset:772 ; 4-byte Folded Spill
	v_and_b32_e32 v0, 0xffff0000, v53
	scratch_store_dword off, v0, s32 offset:776 ; 4-byte Folded Spill
	v_accvgpr_read_b32 v0, a2
	v_and_b32_e32 v0, 0xffff0000, v0
	scratch_store_dword off, v0, s32 offset:780 ; 4-byte Folded Spill
	v_accvgpr_read_b32 v0, a1
	;; [unrolled: 3-line block ×15, first 2 shown]
	v_and_b32_e32 v0, 0xffff0000, v0
	v_accvgpr_write_b32 a21, v0
	v_accvgpr_read_b32 v0, a48
	v_and_b32_e32 v0, 0xffff0000, v0
	scratch_store_dword off, v0, s32 offset:836 ; 4-byte Folded Spill
	v_accvgpr_read_b32 v0, a41
	v_and_b32_e32 v0, 0xffff0000, v0
	v_accvgpr_write_b32 a16, v0
	v_accvgpr_read_b32 v0, a46
	v_and_b32_e32 v0, 0xffff0000, v0
	v_accvgpr_write_b32 a3, v0
	v_and_b32_e32 v0, 0xffff0000, v13
	v_accvgpr_write_b32 a19, v0
	v_accvgpr_read_b32 v0, a43
	v_and_b32_e32 v0, 0xffff0000, v0
	v_accvgpr_write_b32 a43, v0
	;; [unrolled: 5-line block ×3, first 2 shown]
	v_accvgpr_read_b32 v0, a26
	v_and_b32_e32 v0, 0xffff0000, v0
	v_accvgpr_write_b32 a26, v0
	v_accvgpr_read_b32 v0, a27
	v_and_b32_e32 v0, 0xffff0000, v0
	v_accvgpr_write_b32 a27, v0
	;; [unrolled: 3-line block ×9, first 2 shown]
	v_and_b32_e32 v0, 0xffff0000, v56
	v_accvgpr_write_b32 a40, v0
	v_accvgpr_read_b32 v0, a0
	v_and_b32_e32 v0, 0xffff0000, v0
	v_accvgpr_write_b32 a0, v0
	scratch_load_dword v0, off, s32 offset:684 ; 4-byte Folded Reload
	v_and_b32_e32 v6, 0xffff0000, v6
	scratch_store_dword off, v6, s32 offset:452 ; 4-byte Folded Spill
	v_and_b32_e32 v6, 0xffff0000, v9
	scratch_store_dword off, v6, s32 offset:448 ; 4-byte Folded Spill
	;; [unrolled: 2-line block ×19, first 2 shown]
	scratch_load_dwordx4 v[6:9], off, s32 offset:340 ; 16-byte Folded Reload
	v_and_b32_e32 v19, 0xffff0000, v28
	scratch_load_dwordx4 v[10:13], off, s32 offset:324 ; 16-byte Folded Reload
	scratch_load_dwordx4 v[14:17], off, s32 offset:308 ; 16-byte Folded Reload
	v_and_b32_e32 v18, 0xffff0000, v18
	scratch_store_dword off, v19, s32 offset:424 ; 4-byte Folded Spill
	scratch_store_dword off, v18, s32 offset:444 ; 4-byte Folded Spill
	scratch_load_dwordx4 v[18:21], off, s32 offset:292 ; 16-byte Folded Reload
	v_and_b32_e32 v4, 0xffff0000, v4
	v_and_b32_e32 v3, 0xffff0000, v3
	;; [unrolled: 1-line block ×3, first 2 shown]
	scratch_store_dword off, v4, s32 offset:588 ; 4-byte Folded Spill
	scratch_store_dword off, v3, s32 offset:596 ; 4-byte Folded Spill
	;; [unrolled: 1-line block ×3, first 2 shown]
	v_lshlrev_b32_e32 v32, 16, v41
	v_lshlrev_b32_e32 v35, 16, v39
	v_lshlrev_b32_e32 v56, 16, v40
	v_and_b32_e32 v50, 0xffff0000, v41
	v_lshlrev_b32_e32 v33, 16, v38
	scratch_load_dwordx4 v[2:5], off, s32 offset:356 ; 16-byte Folded Reload
	s_waitcnt vmcnt(29)
	v_and_b32_e32 v0, 0xffff0000, v0
	v_accvgpr_write_b32 a33, v0
	scratch_load_dword v0, off, s32 offset:676 ; 4-byte Folded Reload
	s_waitcnt vmcnt(10)
	v_lshlrev_b32_e32 v48, 16, v7
	v_and_b32_e32 v1, 0xffff0000, v7
	s_waitcnt vmcnt(9)
	v_lshlrev_b32_e32 v49, 16, v10
	v_and_b32_e32 v62, 0xffff0000, v10
	v_and_b32_e32 v23, 0xffff0000, v11
	v_lshlrev_b32_e32 v51, 16, v12
	v_and_b32_e32 v26, 0xffff0000, v12
	v_lshlrev_b32_e32 v24, 16, v6
	v_lshlrev_b32_e32 v25, 16, v9
	v_and_b32_e32 v27, 0xffff0000, v13
	s_waitcnt vmcnt(8)
	v_lshlrev_b32_e32 v44, 16, v14
	v_and_b32_e32 v59, 0xffff0000, v14
	v_and_b32_e32 v58, 0xffff0000, v15
	v_lshlrev_b32_e32 v31, 16, v16
	v_and_b32_e32 v47, 0xffff0000, v16
	v_and_b32_e32 v46, 0xffff0000, v17
	s_waitcnt vmcnt(5)
	v_lshlrev_b32_e32 v37, 16, v18
	v_and_b32_e32 v45, 0xffff0000, v18
	v_and_b32_e32 v42, 0xffff0000, v19
	v_and_b32_e32 v52, 0xffff0000, v21
	s_waitcnt vmcnt(0)
	v_and_b32_e32 v0, 0xffff0000, v0
	v_accvgpr_write_b32 a1, v0
	scratch_load_dword v0, off, s32 offset:680 ; 4-byte Folded Reload
	s_waitcnt vmcnt(0)
	v_and_b32_e32 v0, 0xffff0000, v0
	v_accvgpr_write_b32 a36, v0
	scratch_load_dword v0, off, s32 offset:660 ; 4-byte Folded Reload
	;; [unrolled: 4-line block ×27, first 2 shown]
	v_accvgpr_read_b32 v7, a53
	s_waitcnt vmcnt(0)
	v_and_b32_e32 v0, 0xffff0000, v0
	v_accvgpr_write_b32 a63, v0
	scratch_load_dword v0, off, s32 offset:380 ; 4-byte Folded Reload
	s_waitcnt vmcnt(0)
	v_and_b32_e32 v0, 0xffff0000, v0
	v_accvgpr_write_b32 a59, v0
	scratch_load_dword v0, off, s32 offset:384 ; 4-byte Folded Reload
	;; [unrolled: 4-line block ×4, first 2 shown]
	s_waitcnt vmcnt(0)
	v_and_b32_e32 v55, 0xffff0000, v0
	v_lshlrev_b32_e32 v0, 16, v8
	v_accvgpr_write_b32 a23, v0
	v_lshlrev_b32_e32 v0, 16, v11
	v_accvgpr_write_b32 a18, v0
	;; [unrolled: 2-line block ×9, first 2 shown]
	scratch_load_dword v0, off, s32 offset:284 ; 4-byte Folded Reload
	v_lshlrev_b32_e32 v36, 16, v3
	v_and_b32_e32 v30, 0xffff0000, v3
	v_accvgpr_read_b32 v3, a63
	v_mul_f32_e32 v3, v56, v3
	v_lshlrev_b32_e32 v53, 16, v2
	v_fmac_f32_e32 v3, v33, v55
	v_and_b32_e32 v57, 0xffff0000, v2
	v_lshlrev_b32_e32 v43, 16, v4
	v_and_b32_e32 v2, 0xffff0000, v4
	v_lshlrev_b32_e32 v22, 16, v5
	v_and_b32_e32 v4, 0xffff0000, v8
	v_and_b32_e32 v13, 0xffff0000, v54
	s_waitcnt vmcnt(0)
	v_lshlrev_b32_e32 v0, 16, v0
	v_accvgpr_write_b32 a8, v0
	scratch_load_dword v0, off, s32 offset:864 ; 4-byte Folded Reload
	s_waitcnt vmcnt(0)
	v_and_b32_e32 v29, 64, v0
	v_xor_b32_e32 v28, 1, v0
	v_add_u32_e32 v29, 64, v29
	v_cmp_lt_i32_e32 vcc, v28, v29
	v_and_b32_e32 v29, 0xffff0000, v38
	s_nop 0
	v_cndmask_b32_e32 v34, v0, v28, vcc
	v_and_b32_e32 v0, 0xffff0000, v61
	scratch_store_dword off, v0, s32 offset:372 ; 4-byte Folded Spill
	v_and_b32_e32 v0, 0xffff0000, v60
	v_and_b32_e32 v60, 0xffff0000, v40
	v_mul_f32_e32 v10, v60, v7
	v_accvgpr_read_b32 v7, a10
	v_fmac_f32_e32 v10, v29, v7
	v_accvgpr_read_b32 v7, a41
	v_mul_f32_e32 v11, v32, v7
	v_accvgpr_read_b32 v7, a59
	v_fmac_f32_e32 v11, v35, v7
	v_accvgpr_read_b32 v7, a61
	v_and_b32_e32 v61, 0xffff0000, v39
	v_mul_f32_e32 v12, v50, v7
	v_accvgpr_read_b32 v7, a57
	v_fmac_f32_e32 v12, v61, v7
	v_accvgpr_read_b32 v7, a37
	v_fmac_f32_e32 v3, v53, v7
	;; [unrolled: 2-line block ×7, first 2 shown]
	v_accvgpr_read_b32 v2, a20
	v_and_b32_e32 v28, 0xffff0000, v5
	v_fmac_f32_e32 v11, v22, v2
	v_accvgpr_read_b32 v2, a14
	v_fmac_f32_e32 v12, v28, v2
	v_accvgpr_read_b32 v2, a22
	scratch_store_dword off, v0, s32 offset:284 ; 4-byte Folded Spill
	v_and_b32_e32 v0, 0xffff0000, v6
	v_fmac_f32_e32 v3, v24, v2
	v_accvgpr_read_b32 v2, a44
	v_fmac_f32_e32 v10, v0, v2
	v_accvgpr_read_b32 v0, a48
	;; [unrolled: 2-line block ×4, first 2 shown]
	v_accvgpr_read_b32 v1, a23
	v_fmac_f32_e32 v3, v1, v0
	v_accvgpr_read_b32 v0, a50
	v_fmac_f32_e32 v10, v4, v0
	v_accvgpr_read_b32 v0, a62
	v_and_b32_e32 v6, 0xffff0000, v9
	v_fmac_f32_e32 v11, v25, v0
	v_accvgpr_read_b32 v0, a52
	v_fmac_f32_e32 v12, v6, v0
	v_accvgpr_read_b32 v0, a54
	v_fmac_f32_e32 v3, v49, v0
	v_accvgpr_read_b32 v0, a56
	v_fmac_f32_e32 v10, v62, v0
	v_accvgpr_read_b32 v0, a60
	v_accvgpr_read_b32 v1, a18
	v_fmac_f32_e32 v11, v1, v0
	v_accvgpr_read_b32 v0, a58
	v_fmac_f32_e32 v12, v23, v0
	v_accvgpr_read_b32 v0, a4
	v_fmac_f32_e32 v3, v51, v0
	v_accvgpr_read_b32 v0, a12
	v_fmac_f32_e32 v10, v26, v0
	v_accvgpr_read_b32 v0, a1
	v_accvgpr_read_b32 v1, a6
	;; [unrolled: 9-line block ×5, first 2 shown]
	v_fmac_f32_e32 v11, v1, v0
	v_accvgpr_read_b32 v0, a27
	v_fmac_f32_e32 v12, v42, v0
	v_accvgpr_read_b32 v0, a34
	v_accvgpr_read_b32 v1, a25
	v_and_b32_e32 v40, 0xffff0000, v20
	v_fmac_f32_e32 v3, v1, v0
	v_accvgpr_read_b32 v0, a2
	v_fmac_f32_e32 v10, v40, v0
	v_accvgpr_read_b32 v0, a19
	v_accvgpr_read_b32 v1, a13
	v_fmac_f32_e32 v11, v1, v0
	v_accvgpr_read_b32 v0, a43
	v_fmac_f32_e32 v12, v52, v0
	v_accvgpr_read_b32 v0, a3
	v_accvgpr_read_b32 v1, a49
	;; [unrolled: 1-line block ×3, first 2 shown]
	v_fmac_f32_e32 v3, v1, v0
	v_accvgpr_read_b32 v1, a21
	v_accvgpr_read_b32 v2, a8
	v_lshlrev_b32_e32 v5, 2, v34
	ds_read_b128 v[36:39], v52 offset:102
	ds_read_b128 v[32:35], v52 offset:118
	;; [unrolled: 1-line block ×4, first 2 shown]
	v_fmac_f32_e32 v11, v2, v1
	scratch_load_dword v1, off, s32 offset:836 ; 4-byte Folded Reload
	scratch_load_dword v2, off, s32 offset:832 ; 4-byte Folded Reload
	v_accvgpr_read_b32 v0, a16
	v_fmac_f32_e32 v10, v13, v0
	s_waitcnt lgkmcnt(3)
	v_lshlrev_b32_e32 v0, 16, v36
	s_waitcnt vmcnt(1)
	v_fmac_f32_e32 v12, v0, v1
	v_and_b32_e32 v0, 0xffff0000, v36
	s_waitcnt vmcnt(0)
	v_fmac_f32_e32 v3, v0, v2
	scratch_load_dword v0, off, s32 offset:828 ; 4-byte Folded Reload
	scratch_load_dword v2, off, s32 offset:824 ; 4-byte Folded Reload
	v_lshlrev_b32_e32 v1, 16, v37
	s_waitcnt vmcnt(1)
	v_fmac_f32_e32 v10, v1, v0
	v_and_b32_e32 v0, 0xffff0000, v37
	s_waitcnt vmcnt(0)
	v_fmac_f32_e32 v11, v0, v2
	scratch_load_dword v0, off, s32 offset:820 ; 4-byte Folded Reload
	scratch_load_dword v2, off, s32 offset:816 ; 4-byte Folded Reload
	v_lshlrev_b32_e32 v1, 16, v38
	s_waitcnt vmcnt(1)
	v_fmac_f32_e32 v12, v1, v0
	v_and_b32_e32 v0, 0xffff0000, v38
	s_waitcnt vmcnt(0)
	v_fmac_f32_e32 v3, v0, v2
	scratch_load_dword v0, off, s32 offset:812 ; 4-byte Folded Reload
	scratch_load_dword v2, off, s32 offset:808 ; 4-byte Folded Reload
	v_lshlrev_b32_e32 v1, 16, v39
	s_waitcnt vmcnt(1)
	v_fmac_f32_e32 v10, v1, v0
	v_and_b32_e32 v0, 0xffff0000, v39
	s_waitcnt vmcnt(0)
	v_fmac_f32_e32 v11, v0, v2
	scratch_load_dword v0, off, s32 offset:804 ; 4-byte Folded Reload
	scratch_load_dword v2, off, s32 offset:800 ; 4-byte Folded Reload
	s_waitcnt lgkmcnt(2)
	v_lshlrev_b32_e32 v1, 16, v32
	s_waitcnt vmcnt(1)
	v_fmac_f32_e32 v12, v1, v0
	v_and_b32_e32 v0, 0xffff0000, v32
	s_waitcnt vmcnt(0)
	v_fmac_f32_e32 v3, v0, v2
	scratch_load_dword v0, off, s32 offset:796 ; 4-byte Folded Reload
	scratch_load_dword v2, off, s32 offset:792 ; 4-byte Folded Reload
	v_lshlrev_b32_e32 v1, 16, v33
	s_waitcnt vmcnt(1)
	v_fmac_f32_e32 v10, v1, v0
	v_and_b32_e32 v0, 0xffff0000, v33
	s_waitcnt vmcnt(0)
	v_fmac_f32_e32 v11, v0, v2
	scratch_load_dword v0, off, s32 offset:788 ; 4-byte Folded Reload
	scratch_load_dword v2, off, s32 offset:784 ; 4-byte Folded Reload
	v_lshlrev_b32_e32 v1, 16, v34
	s_waitcnt vmcnt(1)
	v_fmac_f32_e32 v12, v1, v0
	v_and_b32_e32 v0, 0xffff0000, v34
	s_waitcnt vmcnt(0)
	v_fmac_f32_e32 v3, v0, v2
	scratch_load_dword v0, off, s32 offset:780 ; 4-byte Folded Reload
	scratch_load_dword v2, off, s32 offset:772 ; 4-byte Folded Reload
	v_lshlrev_b32_e32 v1, 16, v35
	s_waitcnt vmcnt(1)
	v_fmac_f32_e32 v10, v1, v0
	v_and_b32_e32 v0, 0xffff0000, v35
	s_waitcnt vmcnt(0)
	v_fmac_f32_e32 v11, v0, v2
	scratch_load_dword v0, off, s32 offset:776 ; 4-byte Folded Reload
	scratch_load_dword v2, off, s32 offset:768 ; 4-byte Folded Reload
	;; [unrolled: 33-line block ×3, first 2 shown]
	s_waitcnt lgkmcnt(0)
	v_lshlrev_b32_e32 v0, 16, v6
	ds_read_b128 v[16:19], v52 offset:166
	s_waitcnt vmcnt(1)
	v_fmac_f32_e32 v12, v0, v1
	v_and_b32_e32 v0, 0xffff0000, v6
	s_waitcnt vmcnt(0)
	v_fmac_f32_e32 v3, v0, v2
	scratch_load_dword v0, off, s32 offset:732 ; 4-byte Folded Reload
	scratch_load_dword v2, off, s32 offset:724 ; 4-byte Folded Reload
	v_lshlrev_b32_e32 v1, 16, v7
	s_waitcnt vmcnt(1)
	v_fmac_f32_e32 v10, v1, v0
	v_and_b32_e32 v0, 0xffff0000, v7
	s_waitcnt vmcnt(0)
	v_fmac_f32_e32 v11, v0, v2
	scratch_load_dword v0, off, s32 offset:728 ; 4-byte Folded Reload
	scratch_load_dword v2, off, s32 offset:720 ; 4-byte Folded Reload
	v_lshlrev_b32_e32 v1, 16, v8
	;; [unrolled: 8-line block ×3, first 2 shown]
	s_waitcnt vmcnt(1)
	v_fmac_f32_e32 v10, v1, v0
	v_and_b32_e32 v0, 0xffff0000, v9
	s_waitcnt vmcnt(0)
	v_fmac_f32_e32 v11, v0, v2
	scratch_load_dword v0, off, s32 offset:708 ; 4-byte Folded Reload
	scratch_load_dword v2, off, s32 offset:704 ; 4-byte Folded Reload
	ds_read_b128 v[6:9], v52 offset:182
	s_waitcnt lgkmcnt(1)
	v_lshlrev_b32_e32 v1, 16, v16
	s_waitcnt vmcnt(1)
	v_fmac_f32_e32 v12, v1, v0
	v_and_b32_e32 v0, 0xffff0000, v16
	s_waitcnt vmcnt(0)
	v_fmac_f32_e32 v3, v0, v2
	scratch_load_dword v0, off, s32 offset:700 ; 4-byte Folded Reload
	scratch_load_dword v2, off, s32 offset:696 ; 4-byte Folded Reload
	v_lshlrev_b32_e32 v1, 16, v17
	s_waitcnt vmcnt(1)
	v_fmac_f32_e32 v10, v1, v0
	v_and_b32_e32 v0, 0xffff0000, v17
	s_waitcnt vmcnt(0)
	v_fmac_f32_e32 v11, v0, v2
	scratch_load_dword v0, off, s32 offset:692 ; 4-byte Folded Reload
	scratch_load_dword v2, off, s32 offset:688 ; 4-byte Folded Reload
	;; [unrolled: 8-line block ×4, first 2 shown]
	s_waitcnt lgkmcnt(0)
	v_lshlrev_b32_e32 v1, 16, v6
	ds_read_b128 v[16:19], v52 offset:198
	s_waitcnt vmcnt(1)
	v_fmac_f32_e32 v12, v1, v0
	v_and_b32_e32 v0, 0xffff0000, v6
	s_waitcnt vmcnt(0)
	v_fmac_f32_e32 v3, v0, v2
	scratch_load_dword v0, off, s32 offset:652 ; 4-byte Folded Reload
	scratch_load_dword v2, off, s32 offset:648 ; 4-byte Folded Reload
	v_lshlrev_b32_e32 v1, 16, v7
	s_waitcnt vmcnt(1)
	v_fmac_f32_e32 v10, v1, v0
	v_and_b32_e32 v0, 0xffff0000, v7
	s_waitcnt vmcnt(0)
	v_fmac_f32_e32 v11, v0, v2
	scratch_load_dword v0, off, s32 offset:644 ; 4-byte Folded Reload
	scratch_load_dword v2, off, s32 offset:636 ; 4-byte Folded Reload
	v_lshlrev_b32_e32 v1, 16, v8
	;; [unrolled: 8-line block ×3, first 2 shown]
	s_waitcnt vmcnt(1)
	v_fmac_f32_e32 v10, v1, v0
	v_and_b32_e32 v0, 0xffff0000, v9
	s_waitcnt vmcnt(0)
	v_fmac_f32_e32 v11, v0, v2
	scratch_load_dword v0, off, s32 offset:624 ; 4-byte Folded Reload
	scratch_load_dword v2, off, s32 offset:616 ; 4-byte Folded Reload
	ds_read_b128 v[6:9], v52 offset:230
	s_waitcnt lgkmcnt(1)
	v_lshlrev_b32_e32 v1, 16, v16
	s_waitcnt lgkmcnt(0)
	v_lshlrev_b32_e32 v4, 16, v9
	s_waitcnt vmcnt(1)
	v_fmac_f32_e32 v12, v1, v0
	v_and_b32_e32 v0, 0xffff0000, v16
	s_waitcnt vmcnt(0)
	v_fmac_f32_e32 v3, v0, v2
	scratch_load_dword v0, off, s32 offset:612 ; 4-byte Folded Reload
	scratch_load_dword v2, off, s32 offset:596 ; 4-byte Folded Reload
	v_lshlrev_b32_e32 v1, 16, v17
	s_waitcnt vmcnt(1)
	v_fmac_f32_e32 v10, v1, v0
	v_and_b32_e32 v0, 0xffff0000, v17
	s_waitcnt vmcnt(0)
	v_fmac_f32_e32 v11, v0, v2
	scratch_load_dword v0, off, s32 offset:608 ; 4-byte Folded Reload
	scratch_load_dword v2, off, s32 offset:588 ; 4-byte Folded Reload
	v_lshlrev_b32_e32 v1, 16, v18
	ds_read_b128 v[14:17], v52 offset:214
	s_waitcnt vmcnt(1)
	v_fmac_f32_e32 v12, v1, v0
	v_and_b32_e32 v0, 0xffff0000, v18
	s_waitcnt vmcnt(0)
	v_fmac_f32_e32 v3, v0, v2
	scratch_load_dword v0, off, s32 offset:584 ; 4-byte Folded Reload
	scratch_load_dword v2, off, s32 offset:576 ; 4-byte Folded Reload
	v_lshlrev_b32_e32 v1, 16, v19
	s_waitcnt vmcnt(1)
	v_fmac_f32_e32 v10, v1, v0
	v_and_b32_e32 v0, 0xffff0000, v19
	s_waitcnt vmcnt(0)
	v_fmac_f32_e32 v11, v0, v2
	scratch_load_dword v0, off, s32 offset:572 ; 4-byte Folded Reload
	scratch_load_dword v2, off, s32 offset:568 ; 4-byte Folded Reload
	s_waitcnt lgkmcnt(0)
	v_lshlrev_b32_e32 v1, 16, v14
	s_waitcnt vmcnt(1)
	v_fmac_f32_e32 v12, v1, v0
	v_and_b32_e32 v0, 0xffff0000, v14
	s_waitcnt vmcnt(0)
	v_fmac_f32_e32 v3, v0, v2
	scratch_load_dword v0, off, s32 offset:564 ; 4-byte Folded Reload
	scratch_load_dword v2, off, s32 offset:560 ; 4-byte Folded Reload
	v_lshlrev_b32_e32 v1, 16, v15
	s_waitcnt vmcnt(1)
	v_fmac_f32_e32 v10, v1, v0
	v_and_b32_e32 v0, 0xffff0000, v15
	s_waitcnt vmcnt(0)
	v_fmac_f32_e32 v11, v0, v2
	scratch_load_dword v0, off, s32 offset:552 ; 4-byte Folded Reload
	scratch_load_dword v2, off, s32 offset:536 ; 4-byte Folded Reload
	;; [unrolled: 8-line block ×5, first 2 shown]
	scratch_load_dword v6, off, s32 offset:464 ; 4-byte Folded Reload
	v_lshlrev_b32_e32 v1, 16, v7
	s_waitcnt vmcnt(2)
	v_fmac_f32_e32 v10, v1, v0
	v_and_b32_e32 v0, 0xffff0000, v7
	s_waitcnt vmcnt(1)
	v_fmac_f32_e32 v11, v0, v2
	v_and_b32_e32 v2, 0xffff0000, v8
	s_waitcnt vmcnt(0)
	v_fmac_f32_e32 v3, v2, v6
	scratch_load_dword v2, off, s32 offset:460 ; 4-byte Folded Reload
	scratch_load_dword v6, off, s32 offset:452 ; 4-byte Folded Reload
	;; [unrolled: 1-line block ×3, first 2 shown]
	v_lshlrev_b32_e32 v1, 16, v8
	s_waitcnt vmcnt(2)
	v_fmac_f32_e32 v10, v4, v2
	v_and_b32_e32 v2, 0xffff0000, v9
	s_waitcnt vmcnt(1)
	v_fmac_f32_e32 v11, v2, v6
	scratch_load_dword v2, off, s32 offset:448 ; 4-byte Folded Reload
	s_waitcnt vmcnt(1)
	v_fmac_f32_e32 v12, v1, v0
	ds_read_b64 v[0:1], v52 offset:246
	s_waitcnt lgkmcnt(0)
	v_lshlrev_b32_e32 v4, 16, v0
	v_and_b32_e32 v0, 0xffff0000, v0
	s_waitcnt vmcnt(0)
	v_fmac_f32_e32 v12, v4, v2
	scratch_load_dword v4, off, s32 offset:444 ; 4-byte Folded Reload
	v_lshlrev_b32_e32 v2, 16, v1
	s_waitcnt vmcnt(0)
	v_fmac_f32_e32 v3, v0, v4
	scratch_load_dword v0, off, s32 offset:424 ; 4-byte Folded Reload
	s_waitcnt vmcnt(0)
	v_fmac_f32_e32 v10, v2, v0
	scratch_load_dword v2, off, s32 offset:372 ; 4-byte Folded Reload
	v_and_b32_e32 v0, 0xffff0000, v1
	ds_read_u16 v1, v52 offset:254
	s_waitcnt lgkmcnt(0)
	v_lshlrev_b32_e32 v1, 16, v1
	s_waitcnt vmcnt(0)
	v_fmac_f32_e32 v11, v0, v2
	scratch_load_dword v0, off, s32 offset:284 ; 4-byte Folded Reload
	s_waitcnt vmcnt(0)
	v_fmac_f32_e32 v12, v1, v0
	v_add_f32_e32 v0, v3, v10
	v_add_f32_e32 v0, v0, v11
	;; [unrolled: 1-line block ×3, first 2 shown]
	ds_bpermute_b32 v1, v5, v0
	s_and_saveexec_b64 s[48:49], s[6:7]
	s_cbranch_execz .LBB365_11
; %bb.529:                              ;   in Loop: Header=BB365_13 Depth=1
	scratch_load_dword v4, off, s32 offset:216 ; 4-byte Folded Reload
	scratch_load_dword v2, off, s32 offset:888 ; 4-byte Folded Reload
	;; [unrolled: 1-line block ×3, first 2 shown]
	s_waitcnt lgkmcnt(0)
	v_add_f32_e32 v0, v0, v1
	s_load_dword vcc_lo, s[26:27], 0x0
	scratch_load_dword v1, off, s32 offset:880 ; 4-byte Folded Reload
	s_waitcnt vmcnt(2)
	v_add_u32_e32 v2, v2, v4
	s_waitcnt vmcnt(1)
	v_add_u32_e32 v3, v3, v4
	scratch_load_dword v4, off, s32 offset:876 ; 4-byte Folded Reload
	v_cvt_f32_i32_e32 v2, v2
	s_waitcnt vmcnt(0)
	v_mul_f32_e32 v2, v4, v2
	v_cndmask_b32_e64 v2, 0, v2, s[8:9]
	v_fmac_f32_e32 v2, v0, v1
	scratch_load_dword v0, off, s32 offset:196 ; 4-byte Folded Reload
	scratch_load_dword v1, off, s32 offset:840 ; 4-byte Folded Reload
	v_accvgpr_read_b32 v4, a17
	s_waitcnt lgkmcnt(0)
	v_add_u32_e32 v4, vcc_lo, v4
	s_waitcnt vmcnt(1)
	v_cmp_lt_i32_e32 vcc, v3, v0
	s_nop 1
	v_cndmask_b32_e32 v0, 0, v2, vcc
	ds_write_b32 v4, v0
	s_waitcnt vmcnt(0)
	v_max_f32_e32 v0, v1, v1
	v_max_f32_e32 v0, v0, v2
	v_cndmask_b32_e32 v1, v1, v0, vcc
	scratch_store_dword off, v1, s32 offset:840 ; 4-byte Folded Spill
	s_branch .LBB365_11
.LBB365_530:
	s_or_b64 exec, exec, s[28:29]
	scratch_load_dwordx2 v[14:15], off, s32 offset:968 ; 8-byte Folded Reload
	scratch_load_dword v30, off, s32 offset:964 ; 4-byte Folded Reload
	scratch_load_dwordx2 v[34:35], off, s32 offset:956 ; 8-byte Folded Reload
	scratch_load_dwordx2 v[36:37], off, s32 offset:948 ; 8-byte Folded Reload
	;; [unrolled: 1-line block ×4, first 2 shown]
	scratch_load_dword v22, off, s32 offset:928 ; 4-byte Folded Reload
	scratch_load_dword v31, off, s32 offset:916 ; 4-byte Folded Reload
	scratch_load_dwordx2 v[48:49], off, s32 offset:920 ; 8-byte Folded Reload
	v_mbcnt_lo_u32_b32 v0, -1, 0
.LBB365_531:
	s_or_b64 exec, exec, s[24:25]
	scratch_load_dword v55, off, s32 offset:840 ; 4-byte Folded Reload
	v_mbcnt_hi_u32_b32 v0, -1, v0
	v_and_b32_e32 v1, 64, v0
	v_add_u32_e32 v1, 64, v1
	v_xor_b32_e32 v2, 32, v0
	v_cmp_lt_i32_e32 vcc, v2, v1
	v_xor_b32_e32 v5, 16, v0
	v_xor_b32_e32 v6, 8, v0
	v_cndmask_b32_e32 v2, v0, v2, vcc
	v_lshlrev_b32_e32 v2, 2, v2
	v_cmp_lt_i32_e32 vcc, v5, v1
	v_xor_b32_e32 v7, 4, v0
	v_xor_b32_e32 v8, 2, v0
	s_waitcnt lgkmcnt(0)
	s_lshr_b32 s28, s50, 16
	s_waitcnt vmcnt(0)
	ds_bpermute_b32 v3, v2, v55
	v_max_f32_e32 v4, v55, v55
	s_waitcnt lgkmcnt(0)
	v_max_f32_e32 v3, v3, v3
	v_max_f32_e32 v4, v4, v3
	v_cndmask_b32_e32 v3, v0, v5, vcc
	v_lshlrev_b32_e32 v3, 2, v3
	ds_bpermute_b32 v5, v3, v4
	v_cmp_lt_i32_e32 vcc, v6, v1
	s_waitcnt lgkmcnt(0)
	v_max_f32_e32 v5, v5, v5
	v_max_f32_e32 v5, v4, v5
	v_cndmask_b32_e32 v4, v0, v6, vcc
	v_lshlrev_b32_e32 v4, 2, v4
	ds_bpermute_b32 v6, v4, v5
	v_cmp_lt_i32_e32 vcc, v7, v1
	;; [unrolled: 7-line block ×3, first 2 shown]
	s_waitcnt lgkmcnt(0)
	v_max_f32_e32 v7, v7, v7
	v_max_f32_e32 v7, v6, v7
	v_cndmask_b32_e32 v6, v0, v8, vcc
	v_lshlrev_b32_e32 v25, 2, v6
	scratch_load_dword v6, off, s32 offset:844 ; 4-byte Folded Reload
	ds_bpermute_b32 v8, v25, v7
	s_waitcnt vmcnt(0)
	v_and_b32_e32 v27, 63, v6
	v_cmp_eq_u32_e32 vcc, 0, v27
	v_lshlrev_b32_e32 v6, 2, v22
	s_and_saveexec_b64 s[6:7], vcc
	s_cbranch_execz .LBB365_533
; %bb.532:
	s_waitcnt lgkmcnt(0)
	v_max_f32_e32 v8, v8, v8
	v_max_f32_e32 v7, v7, v7
	;; [unrolled: 1-line block ×3, first 2 shown]
	ds_write_b32 v6, v7 offset:512
.LBB365_533:
	s_or_b64 exec, exec, s[6:7]
	v_cmp_gt_u32_e64 s[6:7], 2, v27
	s_waitcnt lgkmcnt(0)
	v_mov_b32_e32 v8, 0xff7fffff
	v_lshlrev_b32_e32 v7, 2, v27
	s_barrier
	s_and_saveexec_b64 s[8:9], s[6:7]
	s_cbranch_execz .LBB365_535
; %bb.534:
	ds_read_b32 v8, v7 offset:512
.LBB365_535:
	s_or_b64 exec, exec, s[8:9]
	v_xor_b32_e32 v9, 1, v0
	v_cmp_lt_i32_e64 s[8:9], v9, v1
	s_nop 1
	v_cndmask_b32_e64 v1, v0, v9, s[8:9]
	scratch_load_dword v9, off, s32 offset:232 ; 4-byte Folded Reload
	v_lshlrev_b32_e32 v28, 2, v1
	s_waitcnt lgkmcnt(0)
	ds_bpermute_b32 v1, v28, v8
	v_max_f32_e32 v8, v8, v8
	v_lshlrev_b32_e32 v0, 2, v0
	s_waitcnt lgkmcnt(0)
	v_max_f32_e32 v1, v1, v1
	v_max_f32_e32 v1, v8, v1
	s_waitcnt vmcnt(0)
	v_subrev_u32_e32 v9, s21, v9
	v_lshl_add_u32 v10, v9, 5, s15
	v_and_b32_e32 v9, 0x100, v0
	ds_bpermute_b32 v0, v9, v1
	scratch_load_dword v1, off, s32 offset:196 ; 4-byte Folded Reload
	s_waitcnt vmcnt(0)
	v_min_i32_e32 v8, v10, v1
	scratch_load_dword v10, off, s32 offset:844 ; 4-byte Folded Reload
	v_subrev_u32_e32 v1, s15, v8
	s_waitcnt vmcnt(0)
	v_cmp_lt_i32_e64 s[8:9], v10, v1
	v_mov_b32_e32 v10, 0
	s_and_saveexec_b64 s[24:25], s[8:9]
	s_cbranch_execz .LBB365_539
; %bb.536:
	scratch_load_dword v12, off, s32 offset:844 ; 4-byte Folded Reload
	s_ashr_i32 s23, s22, 31
	s_lshl_b64 s[10:11], s[22:23], 2
	s_getpc_b64 s[26:27]
	s_add_u32 s26, s26, llvm.amdgcn.dynlds.offset.table@rel32@lo+4
	s_addc_u32 s27, s27, llvm.amdgcn.dynlds.offset.table@rel32@hi+12
	s_add_u32 s10, s10, s26
	s_addc_u32 s11, s11, s27
	s_load_dword s10, s[10:11], 0x0
	s_mov_b64 s[26:27], 0
	v_mov_b32_e32 v10, 0
	s_waitcnt vmcnt(0) lgkmcnt(0)
	v_lshl_add_u32 v11, v12, 2, s10
.LBB365_537:                            ; =>This Inner Loop Header: Depth=1
	ds_read_b32 v13, v11
	v_add_u32_e32 v12, 0x80, v12
	v_cmp_ge_i32_e64 s[10:11], v12, v1
	s_or_b64 s[26:27], s[10:11], s[26:27]
	s_waitcnt lgkmcnt(0)
	v_sub_f32_e32 v13, v13, v0
	v_mul_f32_e32 v13, 0x3fb8aa3b, v13
	v_exp_f32_e32 v13, v13
	ds_write_b32 v11, v13
	v_add_f32_e32 v10, v10, v13
	v_add_u32_e32 v11, 0x200, v11
	s_andn2_b64 exec, exec, s[26:27]
	s_cbranch_execnz .LBB365_537
; %bb.538:
	s_or_b64 exec, exec, s[26:27]
.LBB365_539:
	s_or_b64 exec, exec, s[24:25]
	ds_bpermute_b32 v2, v2, v10
	s_waitcnt lgkmcnt(0)
	v_add_f32_e32 v2, v10, v2
	ds_bpermute_b32 v3, v3, v2
	s_waitcnt lgkmcnt(0)
	v_add_f32_e32 v2, v2, v3
	;; [unrolled: 3-line block ×6, first 2 shown]
	s_and_saveexec_b64 s[10:11], vcc
	s_cbranch_execz .LBB365_541
; %bb.540:
	ds_write_b32 v6, v2 offset:520
.LBB365_541:
	s_or_b64 exec, exec, s[10:11]
	s_waitcnt lgkmcnt(0)
	s_barrier
	s_and_saveexec_b64 s[10:11], s[6:7]
	s_cbranch_execz .LBB365_543
; %bb.542:
	ds_read_b32 v2, v7 offset:520
.LBB365_543:
	s_or_b64 exec, exec, s[10:11]
	s_waitcnt lgkmcnt(0)
	ds_bpermute_b32 v3, v28, v2
	s_waitcnt lgkmcnt(0)
	v_add_f32_e32 v2, v2, v3
	ds_bpermute_b32 v2, v9, v2
	s_and_saveexec_b64 s[6:7], s[8:9]
	s_cbranch_execz .LBB365_556
; %bb.544:
	s_waitcnt lgkmcnt(0)
	v_add_f32_e32 v3, 0x358637bd, v2
	v_div_scale_f32 v4, s[8:9], v3, v3, 1.0
	v_rcp_f32_e32 v5, v4
	v_div_scale_f32 v6, vcc, 1.0, v3, 1.0
	s_movk_i32 s8, 0x7f
	v_fma_f32 v7, -v4, v5, 1.0
	v_fmac_f32_e32 v5, v7, v5
	v_mul_f32_e32 v7, v6, v5
	v_fma_f32 v9, -v4, v7, v6
	v_fmac_f32_e32 v7, v9, v5
	v_fma_f32 v4, -v4, v7, v6
	v_div_fmas_f32 v4, v4, v5, v7
	scratch_load_dword v5, off, s32 offset:844 ; 4-byte Folded Reload
	v_div_fixup_f32 v6, v4, v3, 1.0
	s_mov_b64 s[10:11], -1
	s_waitcnt vmcnt(0)
	v_xad_u32 v3, v5, -1, v8
	v_subrev_u32_e32 v4, s15, v3
	v_cmp_lt_u32_e32 vcc, s8, v4
	v_mov_b32_e32 v3, v5
	s_and_saveexec_b64 s[8:9], vcc
	s_cbranch_execz .LBB365_553
; %bb.545:
	v_lshrrev_b32_e32 v3, 7, v4
	v_add_u32_e32 v5, -1, v3
	v_lshrrev_b32_e32 v4, 1, v5
	v_mov_b32_e32 v7, v6
	v_add_u32_e32 v4, 1, v4
	v_cmp_lt_u32_e32 vcc, 13, v5
	v_mov_b32_e32 v9, 0
	s_and_saveexec_b64 s[10:11], vcc
	s_cbranch_execz .LBB365_549
; %bb.546:
	scratch_load_dword v8, off, s32 offset:844 ; 4-byte Folded Reload
	s_ashr_i32 s23, s22, 31
	s_lshl_b64 s[24:25], s[22:23], 2
	s_getpc_b64 s[26:27]
	s_add_u32 s26, s26, llvm.amdgcn.dynlds.offset.table@rel32@lo+4
	s_addc_u32 s27, s27, llvm.amdgcn.dynlds.offset.table@rel32@hi+12
	s_add_u32 s24, s24, s26
	s_addc_u32 s25, s25, s27
	s_load_dword s21, s[24:25], 0x0
	v_and_b32_e32 v5, -8, v4
	s_mov_b32 s15, 0
	s_mov_b64 s[24:25], 0
	s_waitcnt vmcnt(0) lgkmcnt(0)
	v_lshl_add_u32 v8, v8, 2, s21
.LBB365_547:                            ; =>This Inner Loop Header: Depth=1
	ds_read2st64_b32 v[10:11], v8 offset1:2
	ds_read2st64_b32 v[12:13], v8 offset0:4 offset1:6
	ds_read2st64_b32 v[18:19], v8 offset0:8 offset1:10
	;; [unrolled: 1-line block ×3, first 2 shown]
	v_add_u32_e32 v5, -8, v5
	s_waitcnt lgkmcnt(3)
	v_pk_mul_f32 v[10:11], v[6:7], v[10:11]
	s_waitcnt lgkmcnt(2)
	v_pk_mul_f32 v[12:13], v[6:7], v[12:13]
	ds_write2st64_b32 v8, v10, v11 offset1:2
	ds_write2st64_b32 v8, v12, v13 offset0:4 offset1:6
	ds_read2st64_b32 v[12:13], v8 offset0:16 offset1:18
	s_waitcnt lgkmcnt(4)
	v_pk_mul_f32 v[10:11], v[6:7], v[18:19]
	ds_write2st64_b32 v8, v10, v11 offset0:8 offset1:10
	s_waitcnt lgkmcnt(4)
	v_pk_mul_f32 v[10:11], v[6:7], v[16:17]
	ds_write2st64_b32 v8, v10, v11 offset0:12 offset1:14
	ds_read2st64_b32 v[10:11], v8 offset0:20 offset1:22
	s_waitcnt lgkmcnt(3)
	v_pk_mul_f32 v[12:13], v[6:7], v[12:13]
	ds_read2st64_b32 v[16:17], v8 offset0:24 offset1:26
	ds_write2st64_b32 v8, v12, v13 offset0:16 offset1:18
	ds_read2st64_b32 v[12:13], v8 offset0:28 offset1:30
	s_waitcnt lgkmcnt(3)
	v_pk_mul_f32 v[10:11], v[6:7], v[10:11]
	ds_write2st64_b32 v8, v10, v11 offset0:20 offset1:22
	s_waitcnt lgkmcnt(3)
	v_pk_mul_f32 v[10:11], v[6:7], v[16:17]
	ds_write2st64_b32 v8, v10, v11 offset0:24 offset1:26
	s_waitcnt lgkmcnt(2)
	v_pk_mul_f32 v[10:11], v[6:7], v[12:13]
	s_add_i32 s15, s15, 16
	v_cmp_eq_u32_e32 vcc, 0, v5
	ds_write2st64_b32 v8, v10, v11 offset0:28 offset1:30
	v_add_u32_e32 v8, 0x2000, v8
	s_or_b64 s[24:25], vcc, s[24:25]
	v_mov_b32_e32 v9, s15
	s_andn2_b64 exec, exec, s[24:25]
	s_cbranch_execnz .LBB365_547
; %bb.548:
	s_or_b64 exec, exec, s[24:25]
.LBB365_549:
	s_or_b64 exec, exec, s[10:11]
	v_and_b32_e32 v4, 7, v4
	v_cmp_ne_u32_e32 vcc, 0, v4
	s_and_saveexec_b64 s[10:11], vcc
	s_cbranch_execz .LBB365_552
; %bb.550:
	scratch_load_dword v8, off, s32 offset:844 ; 4-byte Folded Reload
	s_ashr_i32 s23, s22, 31
	s_lshl_b64 s[24:25], s[22:23], 2
	s_getpc_b64 s[26:27]
	s_add_u32 s26, s26, llvm.amdgcn.dynlds.offset.table@rel32@lo+4
	s_addc_u32 s27, s27, llvm.amdgcn.dynlds.offset.table@rel32@hi+12
	s_add_u32 s24, s24, s26
	s_addc_u32 s25, s25, s27
	s_load_dword s15, s[24:25], 0x0
	v_lshlrev_b32_e32 v5, 9, v9
	s_mov_b64 s[24:25], 0
	s_waitcnt vmcnt(0)
	v_lshlrev_b32_e32 v8, 2, v8
	s_waitcnt lgkmcnt(0)
	v_add3_u32 v5, v5, v8, s15
.LBB365_551:                            ; =>This Inner Loop Header: Depth=1
	ds_read2st64_b32 v[8:9], v5 offset1:2
	v_add_u32_e32 v4, -1, v4
	v_cmp_eq_u32_e32 vcc, 0, v4
	s_or_b64 s[24:25], vcc, s[24:25]
	s_waitcnt lgkmcnt(0)
	v_pk_mul_f32 v[8:9], v[6:7], v[8:9]
	ds_write2st64_b32 v5, v8, v9 offset1:2
	v_add_u32_e32 v5, 0x400, v5
	s_andn2_b64 exec, exec, s[24:25]
	s_cbranch_execnz .LBB365_551
.LBB365_552:
	s_or_b64 exec, exec, s[10:11]
	v_add_u32_e32 v4, 1, v3
	scratch_load_dword v3, off, s32 offset:844 ; 4-byte Folded Reload
	v_and_b32_e32 v5, 0x3fffffe, v4
	v_cmp_ne_u32_e32 vcc, v4, v5
	s_orn2_b64 s[10:11], vcc, exec
	s_waitcnt vmcnt(0)
	v_lshl_add_u32 v3, v5, 7, v3
.LBB365_553:
	s_or_b64 exec, exec, s[8:9]
	s_and_b64 exec, exec, s[10:11]
	s_cbranch_execz .LBB365_556
; %bb.554:
	s_ashr_i32 s23, s22, 31
	s_lshl_b64 s[8:9], s[22:23], 2
	s_getpc_b64 s[10:11]
	s_add_u32 s10, s10, llvm.amdgcn.dynlds.offset.table@rel32@lo+4
	s_addc_u32 s11, s11, llvm.amdgcn.dynlds.offset.table@rel32@hi+12
	s_add_u32 s8, s8, s10
	s_addc_u32 s9, s9, s11
	s_load_dword s8, s[8:9], 0x0
	s_waitcnt lgkmcnt(0)
	v_lshl_add_u32 v4, v3, 2, s8
	s_mov_b64 s[8:9], 0
.LBB365_555:                            ; =>This Inner Loop Header: Depth=1
	ds_read_b32 v5, v4
	v_add_u32_e32 v3, 0x80, v3
	v_cmp_ge_i32_e32 vcc, v3, v1
	s_or_b64 s[8:9], vcc, s[8:9]
	s_waitcnt lgkmcnt(0)
	v_mul_f32_e32 v5, v6, v5
	ds_write_b32 v4, v5
	v_add_u32_e32 v4, 0x200, v4
	s_andn2_b64 exec, exec, s[8:9]
	s_cbranch_execnz .LBB365_555
.LBB365_556:
	s_or_b64 exec, exec, s[6:7]
	s_waitcnt lgkmcnt(0)
	s_barrier
	scratch_load_dword v1, off, s32 offset:844 ; 4-byte Folded Reload
	v_cmp_ne_u16_e64 s[6:7], s28, 0
	s_cmp_lg_u64 s[6:7], 0
	s_addc_u32 s21, s13, 0
	s_waitcnt vmcnt(0)
	v_cmp_eq_u32_e32 vcc, 0, v1
	s_and_saveexec_b64 s[6:7], vcc
	s_cbranch_execz .LBB365_558
; %bb.557:
	s_mul_i32 s8, s21, s18
	s_mul_i32 s8, s8, s19
	;; [unrolled: 1-line block ×3, first 2 shown]
	s_ashr_i32 s9, s8, 31
	s_ashr_i32 s11, s10, 31
	;; [unrolled: 1-line block ×3, first 2 shown]
	s_lshl_b64 s[8:9], s[8:9], 2
	s_lshl_b64 s[10:11], s[10:11], 2
	;; [unrolled: 1-line block ×3, first 2 shown]
	s_add_u32 s10, s12, s10
	s_addc_u32 s11, s13, s11
	s_add_u32 s8, s10, s8
	s_addc_u32 s9, s11, s9
	v_lshl_add_u64 v[4:5], s[8:9], 0, v[38:39]
	flat_store_dword v[4:5], v0
	v_lshl_add_u64 v[0:1], s[8:9], 0, v[36:37]
	flat_store_dword v[0:1], v2
.LBB365_558:
	s_or_b64 exec, exec, s[6:7]
	scratch_load_dword v0, off, s32 offset:844 ; 4-byte Folded Reload
	s_ashr_i32 s23, s22, 31
	s_lshl_b64 s[6:7], s[22:23], 2
	s_getpc_b64 s[8:9]
	s_add_u32 s8, s8, llvm.amdgcn.dynlds.offset.table@rel32@lo+4
	s_addc_u32 s9, s9, llvm.amdgcn.dynlds.offset.table@rel32@hi+12
	s_add_u32 s6, s6, s8
	s_addc_u32 s7, s7, s9
	v_mov_b32_e32 v4, 0
	v_mov_b32_e32 v5, 0
	;; [unrolled: 1-line block ×16, first 2 shown]
	s_waitcnt vmcnt(0)
	v_and_b32_e32 v26, 3, v0
	s_and_saveexec_b64 s[8:9], s[4:5]
	s_cbranch_execz .LBB365_1652
; %bb.559:
	v_and_b32_e32 v0, 24, v24
	scratch_store_dword off, v28, s32 offset:564 ; 4-byte Folded Spill
	scratch_store_dword off, v25, s32 offset:560 ; 4-byte Folded Spill
	scratch_store_dword off, v27, s32 offset:568 ; 4-byte Folded Spill
	scratch_store_dword off, v0, s32 offset:480 ; 4-byte Folded Spill
	v_lshl_add_u64 v[0:1], v[34:35], 0, v[48:49]
	scratch_store_dwordx2 off, v[0:1], s32 offset:488 ; 8-byte Folded Spill
	v_add_u32_e32 v0, -1, v31
	v_and_b32_e32 v48, 0x1f8, v24
	v_mov_b32_e32 v49, 0
	scratch_store_dword off, v0, s32 offset:484 ; 4-byte Folded Spill
	v_or_b32_e32 v0, 0x1000, v48
	v_mov_b32_e32 v1, v49
	scratch_store_dwordx2 off, v[0:1], s32 offset:496 ; 8-byte Folded Spill
	v_or_b32_e32 v0, 0x1200, v48
	scratch_store_dwordx2 off, v[0:1], s32 offset:504 ; 8-byte Folded Spill
	v_or_b32_e32 v0, 0x1400, v48
	;; [unrolled: 2-line block ×3, first 2 shown]
	scratch_store_dwordx2 off, v[0:1], s32 offset:520 ; 8-byte Folded Spill
	scratch_load_dword v0, off, s32 offset:908 ; 4-byte Folded Reload
	v_or_b32_e32 v2, 0x1800, v48
	v_mov_b32_e32 v3, v49
	scratch_store_dwordx2 off, v[2:3], s32 offset:528 ; 8-byte Folded Spill
	v_or_b32_e32 v2, 0x1a00, v48
	scratch_store_dwordx2 off, v[2:3], s32 offset:536 ; 8-byte Folded Spill
	v_or_b32_e32 v2, 0x1c00, v48
	;; [unrolled: 2-line block ×3, first 2 shown]
	s_load_dword s4, s[6:7], 0x0
	s_mov_b64 s[10:11], 0
	s_mov_b32 s15, 0x7f800000
	s_movk_i32 s24, 0x7fff
	v_mov_b32_e32 v13, v49
	v_mov_b32_e32 v12, v49
	s_waitcnt vmcnt(0)
	v_max_i32_e32 v1, v30, v0
	v_cvt_f32_u32_e32 v0, v1
	scratch_store_dwordx2 off, v[2:3], s32 offset:552 ; 8-byte Folded Spill
	scratch_store_dword off, v1, s32 offset:308 ; 4-byte Folded Spill
	v_sub_u32_e32 v1, 0, v1
	scratch_store_dword off, v26, s32 offset:572 ; 4-byte Folded Spill
	v_rcp_iflag_f32_e32 v0, v0
	scratch_load_dwordx2 v[2:3], off, s32 offset:900 ; 8-byte Folded Reload
	v_mul_f32_e32 v0, 0x4f7ffffe, v0
	v_cvt_u32_f32_e32 v0, v0
	v_mul_lo_u32 v1, v1, v0
	v_mul_hi_u32 v1, v0, v1
	v_add_u32_e32 v0, v0, v1
	scratch_store_dwordx2 off, v[0:1], s32 offset:324 ; 8-byte Folded Spill
	scratch_load_dwordx2 v[0:1], off, s32 offset:200 ; 8-byte Folded Reload
	s_waitcnt vmcnt(0)
	v_lshlrev_b64 v[0:1], 2, v[0:1]
	v_lshl_add_u64 v[0:1], v[2:3], 2, v[0:1]
	v_lshl_add_u64 v[14:15], v[14:15], 0, v[0:1]
	v_lshlrev_b32_e32 v0, 5, v26
	v_lshl_or_b32 v0, v22, 7, v0
	s_waitcnt lgkmcnt(0)
	v_add_u32_e32 v29, s4, v0
	v_mov_b32_e32 v1, v49
	v_mov_b32_e32 v0, v49
	scratch_store_dwordx2 off, v[0:1], s32 offset:292 ; 8-byte Folded Spill
	scratch_store_dwordx2 off, v[0:1], s32 offset:208 ; 8-byte Folded Spill
	;; [unrolled: 1-line block ×7, first 2 shown]
	scratch_load_dword v1, off, s32 offset:912 ; 4-byte Folded Reload
	s_branch .LBB365_562
.LBB365_560:                            ;   in Loop: Header=BB365_562 Depth=1
	s_or_b64 exec, exec, s[4:5]
	scratch_load_dwordx2 v[10:11], off, s32 offset:292 ; 8-byte Folded Reload
	v_and_b32_e32 v3, 0xffff0000, v3
	v_and_b32_e32 v2, 0xffff0000, v2
	v_add_f32_e32 v2, v2, v3
	v_and_b32_e32 v3, 0xffff0000, v40
	v_and_b32_e32 v6, 0xffff0000, v23
	v_add_f32_e32 v3, v6, v3
	v_add_f32_e32 v2, v2, v3
	v_and_b32_e32 v3, 0xffff0000, v22
	scratch_load_dwordx2 v[22:23], off, s32 offset:208 ; 8-byte Folded Reload
	v_and_b32_e32 v6, 0xffff0000, v41
	v_add_f32_e32 v3, v6, v3
	v_add_f32_e32 v2, v2, v3
	v_and_b32_e32 v3, 0xffff0000, v9
	v_and_b32_e32 v6, 0xffff0000, v56
	v_add_f32_e32 v3, v3, v6
	v_add_f32_e32 v2, v2, v3
	v_and_b32_e32 v3, 0xffff0000, v39
	v_and_b32_e32 v6, 0xffff0000, v51
	;; [unrolled: 1-line block ×3, first 2 shown]
	v_accvgpr_read_b32 v9, a14
	v_and_b32_e32 v9, 0xffff0000, v9
	v_and_b32_e32 v0, 0xffff0000, v0
	s_waitcnt vmcnt(1)
	v_add_f32_e32 v10, v10, v2
	v_and_b32_e32 v2, 0xffff0000, v60
	v_add_f32_e32 v2, v3, v2
	v_and_b32_e32 v3, 0xffff0000, v52
	v_add_f32_e32 v3, v6, v3
	v_add_f32_e32 v2, v2, v3
	v_and_b32_e32 v3, 0xffff0000, v28
	v_and_b32_e32 v6, 0xffff0000, v53
	v_add_f32_e32 v3, v6, v3
	v_add_f32_e32 v2, v2, v3
	v_and_b32_e32 v3, 0xffff0000, v54
	v_and_b32_e32 v6, 0xffff0000, v55
	v_add_f32_e32 v3, v3, v6
	v_add_f32_e32 v2, v2, v3
	s_waitcnt vmcnt(0)
	v_add_f32_e32 v23, v23, v2
	v_and_b32_e32 v2, 0xffff0000, v32
	v_and_b32_e32 v3, 0xffff0000, v25
	v_add_f32_e32 v2, v3, v2
	v_and_b32_e32 v3, 0xffff0000, v34
	v_and_b32_e32 v6, 0xffff0000, v33
	v_add_f32_e32 v3, v6, v3
	v_add_f32_e32 v2, v2, v3
	v_and_b32_e32 v3, 0xffff0000, v36
	v_and_b32_e32 v6, 0xffff0000, v35
	v_add_f32_e32 v3, v6, v3
	;; [unrolled: 4-line block ×3, first 2 shown]
	v_add_f32_e32 v2, v2, v3
	v_add_f32_e32 v22, v22, v2
	v_and_b32_e32 v2, 0xffff0000, v12
	v_and_b32_e32 v6, 0xffff0000, v13
	scratch_load_dwordx2 v[12:13], off, s32 offset:340 ; 8-byte Folded Reload
	v_and_b32_e32 v3, 0xffff0000, v8
	v_add_f32_e32 v2, v3, v2
	v_and_b32_e32 v3, 0xffff0000, v16
	v_add_f32_e32 v3, v6, v3
	v_add_f32_e32 v2, v2, v3
	v_and_b32_e32 v3, 0xffff0000, v18
	v_and_b32_e32 v6, 0xffff0000, v17
	v_add_f32_e32 v3, v6, v3
	v_add_f32_e32 v2, v2, v3
	v_and_b32_e32 v3, 0xffff0000, v19
	v_and_b32_e32 v6, 0xffff0000, v24
	v_add_f32_e32 v3, v3, v6
	v_add_f32_e32 v2, v2, v3
	v_accvgpr_read_b32 v3, a54
	v_and_b32_e32 v3, 0xffff0000, v3
	v_and_b32_e32 v6, 0xffff0000, v7
	v_accvgpr_read_b32 v8, a8
	v_and_b32_e32 v8, 0xffff0000, v8
	scratch_store_dwordx2 off, v[22:23], s32 offset:208 ; 8-byte Folded Spill
	scratch_load_dwordx2 v[16:17], off, s32 offset:216 ; 8-byte Folded Reload
	s_waitcnt vmcnt(2)
	v_add_f32_e32 v13, v13, v2
	v_accvgpr_read_b32 v2, a55
	v_and_b32_e32 v2, 0xffff0000, v2
	v_add_f32_e32 v2, v3, v2
	v_and_b32_e32 v3, 0xffff0000, v61
	v_add_f32_e32 v3, v6, v3
	scratch_load_dwordx2 v[6:7], off, s32 offset:252 ; 8-byte Folded Reload
	v_add_f32_e32 v2, v2, v3
	v_and_b32_e32 v3, 0xffff0000, v62
	v_add_f32_e32 v3, v4, v3
	v_add_f32_e32 v2, v2, v3
	v_and_b32_e32 v3, 0xffff0000, v5
	v_and_b32_e32 v4, 0xffff0000, v21
	v_add_f32_e32 v3, v3, v4
	v_add_f32_e32 v2, v2, v3
	;; [unrolled: 1-line block ×3, first 2 shown]
	v_accvgpr_read_b32 v2, a45
	v_accvgpr_read_b32 v3, a44
	v_and_b32_e32 v2, 0xffff0000, v2
	v_and_b32_e32 v3, 0xffff0000, v3
	v_add_f32_e32 v2, v3, v2
	v_accvgpr_read_b32 v3, a47
	v_accvgpr_read_b32 v4, a46
	v_and_b32_e32 v3, 0xffff0000, v3
	v_and_b32_e32 v4, 0xffff0000, v4
	v_add_f32_e32 v3, v4, v3
	v_add_f32_e32 v2, v2, v3
	v_accvgpr_read_b32 v3, a51
	v_accvgpr_read_b32 v4, a50
	v_and_b32_e32 v3, 0xffff0000, v3
	v_and_b32_e32 v4, 0xffff0000, v4
	v_add_f32_e32 v3, v4, v3
	;; [unrolled: 6-line block ×3, first 2 shown]
	v_add_f32_e32 v2, v2, v3
	v_accvgpr_read_b32 v3, a48
	v_and_b32_e32 v3, 0xffff0000, v3
	v_accvgpr_read_b32 v4, a37
	v_and_b32_e32 v4, 0xffff0000, v4
	;; [unrolled: 2-line block ×3, first 2 shown]
	s_waitcnt vmcnt(0)
	v_add_f32_e32 v7, v7, v2
	v_accvgpr_read_b32 v2, a36
	v_and_b32_e32 v2, 0xffff0000, v2
	v_add_f32_e32 v2, v3, v2
	v_accvgpr_read_b32 v3, a40
	v_and_b32_e32 v3, 0xffff0000, v3
	v_add_f32_e32 v3, v4, v3
	v_add_f32_e32 v2, v2, v3
	v_accvgpr_read_b32 v3, a21
	v_accvgpr_read_b32 v4, a41
	v_and_b32_e32 v3, 0xffff0000, v3
	v_and_b32_e32 v4, 0xffff0000, v4
	v_add_f32_e32 v3, v4, v3
	v_add_f32_e32 v2, v2, v3
	v_accvgpr_read_b32 v3, a42
	v_accvgpr_read_b32 v4, a43
	v_and_b32_e32 v3, 0xffff0000, v3
	v_and_b32_e32 v4, 0xffff0000, v4
	v_add_f32_e32 v3, v3, v4
	v_add_f32_e32 v2, v2, v3
	;; [unrolled: 1-line block ×3, first 2 shown]
	scratch_store_dwordx2 off, v[6:7], s32 offset:252 ; 8-byte Folded Spill
	scratch_load_dwordx2 v[6:7], off, s32 offset:276 ; 8-byte Folded Reload
	v_accvgpr_read_b32 v2, a61
	v_accvgpr_read_b32 v3, a60
	v_and_b32_e32 v2, 0xffff0000, v2
	v_and_b32_e32 v3, 0xffff0000, v3
	v_add_f32_e32 v2, v3, v2
	v_accvgpr_read_b32 v3, a25
	v_accvgpr_read_b32 v4, a24
	v_and_b32_e32 v3, 0xffff0000, v3
	v_and_b32_e32 v4, 0xffff0000, v4
	v_add_f32_e32 v3, v4, v3
	v_add_f32_e32 v2, v2, v3
	v_accvgpr_read_b32 v3, a35
	v_accvgpr_read_b32 v4, a18
	v_and_b32_e32 v3, 0xffff0000, v3
	v_and_b32_e32 v4, 0xffff0000, v4
	v_add_f32_e32 v3, v4, v3
	;; [unrolled: 6-line block ×3, first 2 shown]
	v_add_f32_e32 v2, v2, v3
	v_accvgpr_read_b32 v3, a29
	v_and_b32_e32 v3, 0xffff0000, v3
	v_accvgpr_read_b32 v4, a31
	v_and_b32_e32 v4, 0xffff0000, v4
	s_waitcnt vmcnt(0)
	v_add_f32_e32 v7, v7, v2
	v_accvgpr_read_b32 v2, a30
	v_and_b32_e32 v2, 0xffff0000, v2
	v_add_f32_e32 v2, v3, v2
	v_accvgpr_read_b32 v3, a15
	v_and_b32_e32 v3, 0xffff0000, v3
	v_add_f32_e32 v3, v4, v3
	v_add_f32_e32 v2, v2, v3
	v_accvgpr_read_b32 v3, a59
	v_accvgpr_read_b32 v4, a49
	v_and_b32_e32 v3, 0xffff0000, v3
	v_and_b32_e32 v4, 0xffff0000, v4
	v_add_f32_e32 v3, v4, v3
	v_add_f32_e32 v2, v2, v3
	v_accvgpr_read_b32 v3, a20
	v_accvgpr_read_b32 v4, a3
	v_and_b32_e32 v3, 0xffff0000, v3
	v_and_b32_e32 v4, 0xffff0000, v4
	v_add_f32_e32 v3, v3, v4
	v_add_f32_e32 v2, v2, v3
	;; [unrolled: 1-line block ×3, first 2 shown]
	scratch_store_dwordx2 off, v[6:7], s32 offset:276 ; 8-byte Folded Spill
	scratch_load_dwordx2 v[6:7], off, s32 offset:284 ; 8-byte Folded Reload
	v_accvgpr_read_b32 v2, a32
	v_accvgpr_read_b32 v3, a23
	v_and_b32_e32 v2, 0xffff0000, v2
	v_and_b32_e32 v3, 0xffff0000, v3
	v_add_f32_e32 v2, v3, v2
	v_accvgpr_read_b32 v3, a26
	v_accvgpr_read_b32 v4, a33
	v_and_b32_e32 v3, 0xffff0000, v3
	v_and_b32_e32 v4, 0xffff0000, v4
	v_add_f32_e32 v3, v4, v3
	v_add_f32_e32 v2, v2, v3
	v_accvgpr_read_b32 v3, a38
	v_accvgpr_read_b32 v4, a27
	v_and_b32_e32 v3, 0xffff0000, v3
	v_and_b32_e32 v4, 0xffff0000, v4
	v_add_f32_e32 v3, v4, v3
	;; [unrolled: 6-line block ×3, first 2 shown]
	v_add_f32_e32 v2, v2, v3
	v_accvgpr_read_b32 v3, a7
	v_and_b32_e32 v3, 0xffff0000, v3
	v_accvgpr_read_b32 v4, a11
	v_and_b32_e32 v4, 0xffff0000, v4
	s_waitcnt vmcnt(0)
	v_add_f32_e32 v7, v7, v2
	v_accvgpr_read_b32 v2, a9
	v_and_b32_e32 v2, 0xffff0000, v2
	v_add_f32_e32 v2, v3, v2
	v_accvgpr_read_b32 v3, a6
	v_and_b32_e32 v3, 0xffff0000, v3
	v_add_f32_e32 v3, v4, v3
	v_add_f32_e32 v2, v2, v3
	v_accvgpr_read_b32 v3, a10
	v_accvgpr_read_b32 v4, a58
	v_and_b32_e32 v3, 0xffff0000, v3
	v_and_b32_e32 v4, 0xffff0000, v4
	v_add_f32_e32 v3, v4, v3
	v_accvgpr_read_b32 v4, a12
	v_and_b32_e32 v4, 0xffff0000, v4
	v_add_f32_e32 v2, v2, v3
	v_add_f32_e32 v3, v4, v5
	;; [unrolled: 1-line block ×4, first 2 shown]
	scratch_store_dwordx2 off, v[6:7], s32 offset:284 ; 8-byte Folded Spill
	scratch_load_dword v4, off, s32 offset:476 ; 4-byte Folded Reload
	scratch_load_dword v5, off, s32 offset:472 ; 4-byte Folded Reload
	v_accvgpr_read_b32 v2, a57
	scratch_load_dword v6, off, s32 offset:468 ; 4-byte Folded Reload
	scratch_load_dword v7, off, s32 offset:464 ; 4-byte Folded Reload
	v_accvgpr_read_b32 v3, a56
	v_and_b32_e32 v2, 0xffff0000, v2
	v_and_b32_e32 v3, 0xffff0000, v3
	v_add_f32_e32 v2, v3, v2
	v_add_f32_e32 v3, v8, v9
	scratch_load_dword v8, off, s32 offset:456 ; 4-byte Folded Reload
	scratch_load_dword v9, off, s32 offset:460 ; 4-byte Folded Reload
	s_waitcnt vmcnt(5)
	v_and_b32_e32 v4, 0xffff0000, v4
	s_waitcnt vmcnt(4)
	v_and_b32_e32 v5, 0xffff0000, v5
	v_add_f32_e32 v4, v5, v4
	s_waitcnt vmcnt(3)
	v_and_b32_e32 v6, 0xffff0000, v6
	s_waitcnt vmcnt(2)
	v_and_b32_e32 v7, 0xffff0000, v7
	v_add_f32_e32 v6, v7, v6
	v_add_f32_e32 v4, v6, v4
	;; [unrolled: 1-line block ×5, first 2 shown]
	scratch_load_dword v2, off, s32 offset:452 ; 4-byte Folded Reload
	scratch_load_dword v3, off, s32 offset:448 ; 4-byte Folded Reload
	scratch_load_dword v4, off, s32 offset:444 ; 4-byte Folded Reload
	scratch_load_dword v5, off, s32 offset:440 ; 4-byte Folded Reload
	scratch_load_dword v6, off, s32 offset:436 ; 4-byte Folded Reload
	scratch_load_dword v7, off, s32 offset:432 ; 4-byte Folded Reload
	s_waitcnt vmcnt(7)
	v_and_b32_e32 v8, 0xffff0000, v8
	s_waitcnt vmcnt(6)
	v_and_b32_e32 v9, 0xffff0000, v9
	s_waitcnt vmcnt(5)
	v_and_b32_e32 v2, 0xffff0000, v2
	s_waitcnt vmcnt(4)
	v_and_b32_e32 v3, 0xffff0000, v3
	s_waitcnt vmcnt(3)
	v_and_b32_e32 v4, 0xffff0000, v4
	s_waitcnt vmcnt(2)
	v_and_b32_e32 v5, 0xffff0000, v5
	s_waitcnt vmcnt(1)
	v_and_b32_e32 v6, 0xffff0000, v6
	s_waitcnt vmcnt(0)
	v_and_b32_e32 v7, 0xffff0000, v7
	v_add_f32_e32 v6, v7, v6
	v_add_f32_e32 v4, v5, v4
	;; [unrolled: 1-line block ×8, first 2 shown]
	scratch_load_dword v2, off, s32 offset:420 ; 4-byte Folded Reload
	scratch_load_dword v8, off, s32 offset:424 ; 4-byte Folded Reload
	;; [unrolled: 1-line block ×8, first 2 shown]
	s_waitcnt vmcnt(7)
	v_and_b32_e32 v2, 0xffff0000, v2
	scratch_store_dwordx2 off, v[16:17], s32 offset:216 ; 8-byte Folded Spill
	scratch_load_dwordx2 v[16:17], off, s32 offset:268 ; 8-byte Folded Reload
	s_waitcnt vmcnt(6)
	v_and_b32_e32 v3, 0xffff0000, v3
	s_waitcnt vmcnt(5)
	v_and_b32_e32 v4, 0xffff0000, v4
	;; [unrolled: 2-line block ×5, first 2 shown]
	v_add_f32_e32 v6, v7, v6
	scratch_load_dword v7, off, s32 offset:356 ; 4-byte Folded Reload
	v_add_f32_e32 v4, v5, v4
	v_and_b32_e32 v8, 0xffff0000, v8
	v_and_b32_e32 v9, 0xffff0000, v9
	v_add_f32_e32 v4, v6, v4
	v_add_f32_e32 v2, v3, v2
	;; [unrolled: 1-line block ×5, first 2 shown]
	scratch_load_dword v3, off, s32 offset:384 ; 4-byte Folded Reload
	scratch_load_dword v8, off, s32 offset:392 ; 4-byte Folded Reload
	;; [unrolled: 1-line block ×6, first 2 shown]
	s_waitcnt vmcnt(7)
	v_add_f32_e32 v17, v17, v2
	scratch_load_dword v2, off, s32 offset:388 ; 4-byte Folded Reload
	s_waitcnt vmcnt(7)
	v_and_b32_e32 v7, 0xffff0000, v7
	s_waitcnt vmcnt(6)
	v_and_b32_e32 v3, 0xffff0000, v3
	;; [unrolled: 2-line block ×6, first 2 shown]
	v_add_f32_e32 v6, v7, v6
	v_add_f32_e32 v4, v5, v4
	s_waitcnt vmcnt(1)
	v_and_b32_e32 v9, 0xffff0000, v9
	v_add_f32_e32 v4, v6, v4
	v_and_b32_e32 v7, 0xffff0000, v31
	v_and_b32_e32 v6, 0xffff0000, v1
	;; [unrolled: 1-line block ×4, first 2 shown]
	v_pk_add_f32 v[0:1], v[0:1], v[6:7]
	s_waitcnt vmcnt(0)
	v_and_b32_e32 v2, 0xffff0000, v2
	v_add_f32_e32 v2, v3, v2
	v_add_f32_e32 v2, v4, v2
	;; [unrolled: 1-line block ×5, first 2 shown]
	v_and_b32_e32 v3, 0xffff0000, v44
	v_and_b32_e32 v2, 0xffff0000, v42
	;; [unrolled: 1-line block ×3, first 2 shown]
	v_pk_add_f32 v[2:3], v[4:5], v[2:3]
	v_add_f32_e32 v0, v0, v1
	v_add_f32_e32 v0, v0, v2
	;; [unrolled: 1-line block ×4, first 2 shown]
	scratch_store_dwordx2 off, v[16:17], s32 offset:268 ; 8-byte Folded Spill
	scratch_store_dwordx2 off, v[10:11], s32 offset:292 ; 8-byte Folded Spill
.LBB365_561:                            ;   in Loop: Header=BB365_562 Depth=1
	s_or_b64 exec, exec, s[12:13]
	scratch_load_dwordx2 v[2:3], off, s32 offset:200 ; 8-byte Folded Reload
	v_accvgpr_read_b32 v1, a13
	v_add_u32_e32 v1, 64, v1
	v_lshl_add_u64 v[14:15], v[14:15], 0, 8
	v_add_u32_e32 v29, 0x100, v29
	s_waitcnt vmcnt(0)
	v_add_u32_e32 v2, 2, v2
	v_mov_b32_e32 v0, v2
	scratch_store_dwordx2 off, v[0:1], s32 offset:200 ; 8-byte Folded Spill
	scratch_load_dword v0, off, s32 offset:232 ; 4-byte Folded Reload
	s_waitcnt vmcnt(0)
	v_cmp_ge_i32_e32 vcc, v2, v0
	s_or_b64 s[10:11], vcc, s[10:11]
	s_andn2_b64 exec, exec, s[10:11]
	s_cbranch_execz .LBB365_1651
.LBB365_562:                            ; =>This Inner Loop Header: Depth=1
	s_waitcnt vmcnt(0)
	v_ashrrev_i32_e32 v0, 31, v1
	v_mov_b32_e32 v2, v1
	scratch_load_dword v1, off, s32 offset:228 ; 4-byte Folded Reload
	scratch_load_dword v4, off, s32 offset:224 ; 4-byte Folded Reload
	v_accvgpr_write_b32 a13, v2
	s_waitcnt vmcnt(1)
	v_xor_b32_e32 v0, v0, v1
	v_sub_u32_e32 v1, 0, v2
	v_max_i32_e32 v1, v2, v1
	scratch_load_dword v2, off, s32 offset:244 ; 4-byte Folded Reload
	s_waitcnt vmcnt(0)
	v_mul_hi_u32 v2, v1, v2
	v_mul_lo_u32 v3, v2, v4
	v_sub_u32_e32 v1, v1, v3
	v_add_u32_e32 v3, 1, v2
	v_cmp_ge_u32_e32 vcc, v1, v4
	s_nop 1
	v_cndmask_b32_e32 v2, v2, v3, vcc
	v_sub_u32_e32 v3, v1, v4
	v_cndmask_b32_e32 v1, v1, v3, vcc
	v_add_u32_e32 v3, 1, v2
	v_cmp_ge_u32_e32 vcc, v1, v4
	scratch_load_dwordx2 v[4:5], off, s32 offset:324 ; 8-byte Folded Reload
	s_nop 0
	v_cndmask_b32_e32 v1, v2, v3, vcc
	scratch_load_dwordx2 v[2:3], off, s32 offset:236 ; 8-byte Folded Reload
	v_xor_b32_e32 v1, v1, v0
	v_sub_u32_e32 v0, v1, v0
	s_waitcnt vmcnt(0)
	v_add_u32_e32 v1, v0, v2
	v_sub_u32_e32 v3, 0, v1
	v_ashrrev_i32_e32 v2, 31, v1
	v_max_i32_e32 v1, v1, v3
	v_mul_hi_u32 v3, v1, v4
	scratch_load_dword v4, off, s32 offset:308 ; 4-byte Folded Reload
	s_waitcnt vmcnt(0)
	v_mul_lo_u32 v3, v3, v4
	v_sub_u32_e32 v1, v1, v3
	v_sub_u32_e32 v3, v1, v4
	v_cmp_ge_u32_e32 vcc, v1, v4
	s_nop 1
	v_cndmask_b32_e32 v1, v1, v3, vcc
	v_sub_u32_e32 v3, v1, v4
	v_cmp_ge_u32_e32 vcc, v1, v4
	s_nop 1
	v_cndmask_b32_e32 v1, v1, v3, vcc
	v_xor_b32_e32 v1, v1, v2
	v_sub_u32_e32 v1, v1, v2
	v_cmp_eq_u32_e32 vcc, 0, v1
	scratch_load_dword v1, off, s32 offset:248 ; 4-byte Folded Reload
	s_waitcnt vmcnt(0)
	v_cmp_gt_i32_e64 s[4:5], v0, v1
	s_or_b64 s[4:5], vcc, s[4:5]
	s_and_saveexec_b64 s[12:13], s[4:5]
	s_cbranch_execz .LBB365_561
; %bb.563:                              ;   in Loop: Header=BB365_562 Depth=1
	flat_load_dword v16, v[14:15]
	s_nop 0
	scratch_store_dwordx2 off, v[12:13], s32 offset:340 ; 8-byte Folded Spill
	ds_read2_b64 v[6:9], v29 offset1:1
	ds_read2_b64 v[0:3], v29 offset0:2 offset1:3
                                        ; implicit-def: $vgpr13
	s_waitcnt lgkmcnt(0)
	v_and_b32_e32 v4, 0x7f800000, v6
	v_cmp_ne_u32_e32 vcc, s15, v4
	s_and_saveexec_b64 s[4:5], vcc
	s_xor_b64 s[4:5], exec, s[4:5]
; %bb.564:                              ;   in Loop: Header=BB365_562 Depth=1
	v_bfe_u32 v4, v6, 16, 1
	v_add3_u32 v13, v6, v4, s24
; %bb.565:                              ;   in Loop: Header=BB365_562 Depth=1
	s_andn2_saveexec_b64 s[4:5], s[4:5]
; %bb.566:                              ;   in Loop: Header=BB365_562 Depth=1
	v_or_b32_e32 v4, 0x10000, v6
	v_cmp_eq_u32_sdwa vcc, v6, v49 src0_sel:WORD_0 src1_sel:DWORD
	s_nop 1
	v_cndmask_b32_e32 v13, v4, v6, vcc
; %bb.567:                              ;   in Loop: Header=BB365_562 Depth=1
	s_or_b64 exec, exec, s[4:5]
	v_and_b32_e32 v4, 0x7f800000, v7
	v_cmp_ne_u32_e32 vcc, s15, v4
                                        ; implicit-def: $vgpr12
	s_and_saveexec_b64 s[4:5], vcc
	s_xor_b64 s[4:5], exec, s[4:5]
; %bb.568:                              ;   in Loop: Header=BB365_562 Depth=1
	v_bfe_u32 v4, v7, 16, 1
	v_add3_u32 v12, v7, v4, s24
; %bb.569:                              ;   in Loop: Header=BB365_562 Depth=1
	s_andn2_saveexec_b64 s[4:5], s[4:5]
; %bb.570:                              ;   in Loop: Header=BB365_562 Depth=1
	v_or_b32_e32 v4, 0x10000, v7
	v_cmp_eq_u32_sdwa vcc, v7, v49 src0_sel:WORD_0 src1_sel:DWORD
	s_nop 1
	v_cndmask_b32_e32 v12, v4, v7, vcc
; %bb.571:                              ;   in Loop: Header=BB365_562 Depth=1
	s_or_b64 exec, exec, s[4:5]
	v_and_b32_e32 v4, 0x7f800000, v8
	v_cmp_ne_u32_e32 vcc, s15, v4
                                        ; implicit-def: $vgpr11
	s_and_saveexec_b64 s[4:5], vcc
	s_xor_b64 s[4:5], exec, s[4:5]
; %bb.572:                              ;   in Loop: Header=BB365_562 Depth=1
	v_bfe_u32 v4, v8, 16, 1
	v_add3_u32 v11, v8, v4, s24
; %bb.573:                              ;   in Loop: Header=BB365_562 Depth=1
	s_andn2_saveexec_b64 s[4:5], s[4:5]
; %bb.574:                              ;   in Loop: Header=BB365_562 Depth=1
	v_or_b32_e32 v4, 0x10000, v8
	v_cmp_eq_u32_sdwa vcc, v8, v49 src0_sel:WORD_0 src1_sel:DWORD
	s_nop 1
	v_cndmask_b32_e32 v11, v4, v8, vcc
; %bb.575:                              ;   in Loop: Header=BB365_562 Depth=1
	s_or_b64 exec, exec, s[4:5]
	v_and_b32_e32 v4, 0x7f800000, v9
	v_cmp_ne_u32_e32 vcc, s15, v4
                                        ; implicit-def: $vgpr10
	s_and_saveexec_b64 s[4:5], vcc
	s_xor_b64 s[4:5], exec, s[4:5]
; %bb.576:                              ;   in Loop: Header=BB365_562 Depth=1
	v_bfe_u32 v4, v9, 16, 1
	v_add3_u32 v10, v9, v4, s24
                                        ; implicit-def: $vgpr6_vgpr7_vgpr8_vgpr9
; %bb.577:                              ;   in Loop: Header=BB365_562 Depth=1
	s_andn2_saveexec_b64 s[4:5], s[4:5]
; %bb.578:                              ;   in Loop: Header=BB365_562 Depth=1
	v_or_b32_e32 v4, 0x10000, v9
	v_cmp_eq_u32_sdwa vcc, v9, v49 src0_sel:WORD_0 src1_sel:DWORD
	s_nop 1
	v_cndmask_b32_e32 v10, v4, v9, vcc
; %bb.579:                              ;   in Loop: Header=BB365_562 Depth=1
	s_or_b64 exec, exec, s[4:5]
	v_and_b32_e32 v4, 0x7f800000, v0
	v_cmp_ne_u32_e32 vcc, s15, v4
                                        ; implicit-def: $vgpr9
	s_and_saveexec_b64 s[4:5], vcc
	s_xor_b64 s[4:5], exec, s[4:5]
; %bb.580:                              ;   in Loop: Header=BB365_562 Depth=1
	v_bfe_u32 v4, v0, 16, 1
	v_add3_u32 v9, v0, v4, s24
; %bb.581:                              ;   in Loop: Header=BB365_562 Depth=1
	s_andn2_saveexec_b64 s[4:5], s[4:5]
; %bb.582:                              ;   in Loop: Header=BB365_562 Depth=1
	v_or_b32_e32 v4, 0x10000, v0
	v_cmp_eq_u32_sdwa vcc, v0, v49 src0_sel:WORD_0 src1_sel:DWORD
	s_nop 1
	v_cndmask_b32_e32 v9, v4, v0, vcc
; %bb.583:                              ;   in Loop: Header=BB365_562 Depth=1
	s_or_b64 exec, exec, s[4:5]
	v_and_b32_e32 v0, 0x7f800000, v1
	v_cmp_ne_u32_e32 vcc, s15, v0
                                        ; implicit-def: $vgpr8
	s_and_saveexec_b64 s[4:5], vcc
	s_xor_b64 s[4:5], exec, s[4:5]
; %bb.584:                              ;   in Loop: Header=BB365_562 Depth=1
	v_bfe_u32 v0, v1, 16, 1
	v_add3_u32 v8, v1, v0, s24
; %bb.585:                              ;   in Loop: Header=BB365_562 Depth=1
	s_andn2_saveexec_b64 s[4:5], s[4:5]
; %bb.586:                              ;   in Loop: Header=BB365_562 Depth=1
	v_or_b32_e32 v0, 0x10000, v1
	v_cmp_eq_u32_sdwa vcc, v1, v49 src0_sel:WORD_0 src1_sel:DWORD
	s_nop 1
	v_cndmask_b32_e32 v8, v0, v1, vcc
; %bb.587:                              ;   in Loop: Header=BB365_562 Depth=1
	s_or_b64 exec, exec, s[4:5]
	v_and_b32_e32 v0, 0x7f800000, v2
	v_cmp_ne_u32_e32 vcc, s15, v0
                                        ; implicit-def: $vgpr5
	s_and_saveexec_b64 s[4:5], vcc
	s_xor_b64 s[4:5], exec, s[4:5]
; %bb.588:                              ;   in Loop: Header=BB365_562 Depth=1
	v_bfe_u32 v0, v2, 16, 1
	v_add3_u32 v5, v2, v0, s24
; %bb.589:                              ;   in Loop: Header=BB365_562 Depth=1
	s_andn2_saveexec_b64 s[4:5], s[4:5]
; %bb.590:                              ;   in Loop: Header=BB365_562 Depth=1
	v_or_b32_e32 v0, 0x10000, v2
	v_cmp_eq_u32_sdwa vcc, v2, v49 src0_sel:WORD_0 src1_sel:DWORD
	s_nop 1
	v_cndmask_b32_e32 v5, v0, v2, vcc
; %bb.591:                              ;   in Loop: Header=BB365_562 Depth=1
	s_or_b64 exec, exec, s[4:5]
	v_and_b32_e32 v0, 0x7f800000, v3
	v_cmp_ne_u32_e32 vcc, s15, v0
                                        ; implicit-def: $vgpr4
	s_and_saveexec_b64 s[4:5], vcc
	s_xor_b64 s[4:5], exec, s[4:5]
; %bb.592:                              ;   in Loop: Header=BB365_562 Depth=1
	v_bfe_u32 v0, v3, 16, 1
	v_add3_u32 v4, v3, v0, s24
                                        ; implicit-def: $vgpr0_vgpr1_vgpr2_vgpr3
; %bb.593:                              ;   in Loop: Header=BB365_562 Depth=1
	s_andn2_saveexec_b64 s[4:5], s[4:5]
; %bb.594:                              ;   in Loop: Header=BB365_562 Depth=1
	v_or_b32_e32 v0, 0x10000, v3
	v_cmp_eq_u32_sdwa vcc, v3, v49 src0_sel:WORD_0 src1_sel:DWORD
	s_nop 1
	v_cndmask_b32_e32 v4, v0, v3, vcc
; %bb.595:                              ;   in Loop: Header=BB365_562 Depth=1
	s_or_b64 exec, exec, s[4:5]
	scratch_load_dwordx2 v[2:3], off, s32 offset:488 ; 8-byte Folded Reload
	scratch_load_dwordx2 v[0:1], off, s32 offset:260 ; 8-byte Folded Reload
	s_waitcnt vmcnt(0)
	v_mad_i64_i32 v[0:1], s[4:5], v16, v0, v[2:3]
	v_lshl_add_u64 v[2:3], v[0:1], 0, v[48:49]
	flat_load_dwordx2 v[6:7], v[2:3]
	scratch_load_dwordx2 v[16:17], off, s32 offset:848 ; 8-byte Folded Reload
	s_waitcnt vmcnt(0)
	flat_load_dword v57, v[16:17]
	s_waitcnt lgkmcnt(0)
	v_and_b32_e32 v16, 0xff, v6
	v_cvt_f32_fp8_sdwa v16, v16 src0_sel:BYTE_0
	s_waitcnt vmcnt(0)
	v_mul_f32_e32 v17, v57, v16
	v_and_b32_e32 v16, 0x7f800000, v17
	v_cmp_ne_u32_e32 vcc, s15, v16
                                        ; implicit-def: $vgpr16
	s_and_saveexec_b64 s[4:5], vcc
	s_xor_b64 s[4:5], exec, s[4:5]
; %bb.596:                              ;   in Loop: Header=BB365_562 Depth=1
	v_bfe_u32 v16, v17, 16, 1
	v_add3_u32 v16, v17, v16, s24
                                        ; implicit-def: $vgpr17
; %bb.597:                              ;   in Loop: Header=BB365_562 Depth=1
	s_andn2_saveexec_b64 s[4:5], s[4:5]
; %bb.598:                              ;   in Loop: Header=BB365_562 Depth=1
	v_or_b32_e32 v16, 0x10000, v17
	v_cmp_eq_u32_sdwa vcc, v17, v49 src0_sel:WORD_0 src1_sel:DWORD
	s_nop 1
	v_cndmask_b32_e32 v16, v16, v17, vcc
; %bb.599:                              ;   in Loop: Header=BB365_562 Depth=1
	s_or_b64 exec, exec, s[4:5]
	v_bfe_u32 v17, v6, 8, 8
	v_cvt_f32_fp8_sdwa v17, v17 src0_sel:BYTE_0
	s_nop 0
	v_mul_f32_e32 v18, v57, v17
	v_and_b32_e32 v17, 0x7f800000, v18
	v_cmp_ne_u32_e32 vcc, s15, v17
                                        ; implicit-def: $vgpr17
	s_and_saveexec_b64 s[4:5], vcc
	s_xor_b64 s[4:5], exec, s[4:5]
; %bb.600:                              ;   in Loop: Header=BB365_562 Depth=1
	v_bfe_u32 v17, v18, 16, 1
	v_add3_u32 v17, v18, v17, s24
                                        ; implicit-def: $vgpr18
; %bb.601:                              ;   in Loop: Header=BB365_562 Depth=1
	s_andn2_saveexec_b64 s[4:5], s[4:5]
; %bb.602:                              ;   in Loop: Header=BB365_562 Depth=1
	v_or_b32_e32 v17, 0x10000, v18
	v_cmp_eq_u32_sdwa vcc, v18, v49 src0_sel:WORD_0 src1_sel:DWORD
	s_nop 1
	v_cndmask_b32_e32 v17, v17, v18, vcc
; %bb.603:                              ;   in Loop: Header=BB365_562 Depth=1
	s_or_b64 exec, exec, s[4:5]
	v_bfe_u32 v18, v6, 16, 8
	v_cvt_f32_fp8_sdwa v18, v18 src0_sel:BYTE_0
	s_nop 0
	v_mul_f32_e32 v18, v57, v18
	v_and_b32_e32 v19, 0x7f800000, v18
	v_cmp_ne_u32_e32 vcc, s15, v19
                                        ; implicit-def: $vgpr19
	s_and_saveexec_b64 s[4:5], vcc
	s_xor_b64 s[4:5], exec, s[4:5]
; %bb.604:                              ;   in Loop: Header=BB365_562 Depth=1
	v_bfe_u32 v19, v18, 16, 1
	v_add3_u32 v19, v18, v19, s24
                                        ; implicit-def: $vgpr18
; %bb.605:                              ;   in Loop: Header=BB365_562 Depth=1
	s_andn2_saveexec_b64 s[4:5], s[4:5]
; %bb.606:                              ;   in Loop: Header=BB365_562 Depth=1
	v_or_b32_e32 v19, 0x10000, v18
	v_cmp_eq_u32_sdwa vcc, v18, v49 src0_sel:WORD_0 src1_sel:DWORD
	s_nop 1
	v_cndmask_b32_e32 v19, v19, v18, vcc
; %bb.607:                              ;   in Loop: Header=BB365_562 Depth=1
	s_or_b64 exec, exec, s[4:5]
	v_lshrrev_b32_e32 v6, 24, v6
	v_cvt_f32_fp8_sdwa v6, v6 src0_sel:BYTE_0
	s_nop 0
	v_mul_f32_e32 v18, v57, v6
	v_and_b32_e32 v6, 0x7f800000, v18
	v_cmp_ne_u32_e32 vcc, s15, v6
                                        ; implicit-def: $vgpr6
	s_and_saveexec_b64 s[4:5], vcc
	s_xor_b64 s[4:5], exec, s[4:5]
; %bb.608:                              ;   in Loop: Header=BB365_562 Depth=1
	v_bfe_u32 v6, v18, 16, 1
	v_add3_u32 v6, v18, v6, s24
                                        ; implicit-def: $vgpr18
; %bb.609:                              ;   in Loop: Header=BB365_562 Depth=1
	s_andn2_saveexec_b64 s[4:5], s[4:5]
; %bb.610:                              ;   in Loop: Header=BB365_562 Depth=1
	v_or_b32_e32 v6, 0x10000, v18
	v_cmp_eq_u32_sdwa vcc, v18, v49 src0_sel:WORD_0 src1_sel:DWORD
	s_nop 1
	v_cndmask_b32_e32 v6, v6, v18, vcc
; %bb.611:                              ;   in Loop: Header=BB365_562 Depth=1
	s_or_b64 exec, exec, s[4:5]
	v_and_b32_e32 v18, 0xff, v7
	v_cvt_f32_fp8_sdwa v18, v18 src0_sel:BYTE_0
	s_nop 0
	v_mul_f32_e32 v18, v57, v18
	v_and_b32_e32 v20, 0x7f800000, v18
	v_cmp_ne_u32_e32 vcc, s15, v20
                                        ; implicit-def: $vgpr20
	s_and_saveexec_b64 s[4:5], vcc
	s_xor_b64 s[4:5], exec, s[4:5]
; %bb.612:                              ;   in Loop: Header=BB365_562 Depth=1
	v_bfe_u32 v20, v18, 16, 1
	v_add3_u32 v20, v18, v20, s24
                                        ; implicit-def: $vgpr18
; %bb.613:                              ;   in Loop: Header=BB365_562 Depth=1
	s_andn2_saveexec_b64 s[4:5], s[4:5]
; %bb.614:                              ;   in Loop: Header=BB365_562 Depth=1
	v_or_b32_e32 v20, 0x10000, v18
	v_cmp_eq_u32_sdwa vcc, v18, v49 src0_sel:WORD_0 src1_sel:DWORD
	s_nop 1
	v_cndmask_b32_e32 v20, v20, v18, vcc
; %bb.615:                              ;   in Loop: Header=BB365_562 Depth=1
	s_or_b64 exec, exec, s[4:5]
	v_bfe_u32 v18, v7, 8, 8
	v_cvt_f32_fp8_sdwa v18, v18 src0_sel:BYTE_0
	s_nop 0
	v_mul_f32_e32 v21, v57, v18
	v_and_b32_e32 v18, 0x7f800000, v21
	v_cmp_ne_u32_e32 vcc, s15, v18
                                        ; implicit-def: $vgpr18
	s_and_saveexec_b64 s[4:5], vcc
	s_xor_b64 s[4:5], exec, s[4:5]
; %bb.616:                              ;   in Loop: Header=BB365_562 Depth=1
	v_bfe_u32 v18, v21, 16, 1
	v_add3_u32 v18, v21, v18, s24
                                        ; implicit-def: $vgpr21
; %bb.617:                              ;   in Loop: Header=BB365_562 Depth=1
	s_andn2_saveexec_b64 s[4:5], s[4:5]
; %bb.618:                              ;   in Loop: Header=BB365_562 Depth=1
	v_or_b32_e32 v18, 0x10000, v21
	v_cmp_eq_u32_sdwa vcc, v21, v49 src0_sel:WORD_0 src1_sel:DWORD
	s_nop 1
	v_cndmask_b32_e32 v18, v18, v21, vcc
; %bb.619:                              ;   in Loop: Header=BB365_562 Depth=1
	s_or_b64 exec, exec, s[4:5]
	v_bfe_u32 v21, v7, 16, 8
	v_cvt_f32_fp8_sdwa v21, v21 src0_sel:BYTE_0
	s_nop 0
	v_mul_f32_e32 v21, v57, v21
	v_and_b32_e32 v22, 0x7f800000, v21
	v_cmp_ne_u32_e32 vcc, s15, v22
                                        ; implicit-def: $vgpr22
	s_and_saveexec_b64 s[4:5], vcc
	s_xor_b64 s[4:5], exec, s[4:5]
; %bb.620:                              ;   in Loop: Header=BB365_562 Depth=1
	v_bfe_u32 v22, v21, 16, 1
	v_add3_u32 v22, v21, v22, s24
                                        ; implicit-def: $vgpr21
; %bb.621:                              ;   in Loop: Header=BB365_562 Depth=1
	s_andn2_saveexec_b64 s[4:5], s[4:5]
; %bb.622:                              ;   in Loop: Header=BB365_562 Depth=1
	v_or_b32_e32 v22, 0x10000, v21
	v_cmp_eq_u32_sdwa vcc, v21, v49 src0_sel:WORD_0 src1_sel:DWORD
	s_nop 1
	v_cndmask_b32_e32 v22, v22, v21, vcc
; %bb.623:                              ;   in Loop: Header=BB365_562 Depth=1
	s_or_b64 exec, exec, s[4:5]
	v_lshrrev_b32_e32 v7, 24, v7
	v_cvt_f32_fp8_sdwa v7, v7 src0_sel:BYTE_0
                                        ; implicit-def: $vgpr23
	s_nop 0
	v_mul_f32_e32 v7, v57, v7
	v_and_b32_e32 v21, 0x7f800000, v7
	v_cmp_ne_u32_e32 vcc, s15, v21
	s_and_saveexec_b64 s[4:5], vcc
	s_xor_b64 s[4:5], exec, s[4:5]
; %bb.624:                              ;   in Loop: Header=BB365_562 Depth=1
	v_bfe_u32 v21, v7, 16, 1
	v_add3_u32 v23, v7, v21, s24
                                        ; implicit-def: $vgpr7
; %bb.625:                              ;   in Loop: Header=BB365_562 Depth=1
	s_andn2_saveexec_b64 s[4:5], s[4:5]
; %bb.626:                              ;   in Loop: Header=BB365_562 Depth=1
	v_or_b32_e32 v21, 0x10000, v7
	v_cmp_eq_u32_sdwa vcc, v7, v49 src0_sel:WORD_0 src1_sel:DWORD
	s_nop 1
	v_cndmask_b32_e32 v23, v21, v7, vcc
; %bb.627:                              ;   in Loop: Header=BB365_562 Depth=1
	s_or_b64 exec, exec, s[4:5]
	scratch_load_dword v7, off, s32 offset:484 ; 4-byte Folded Reload
	scratch_load_dwordx2 v[24:25], off, s32 offset:200 ; 8-byte Folded Reload
	scratch_load_dword v21, off, s32 offset:480 ; 4-byte Folded Reload
	v_lshrrev_b32_e32 v18, 16, v18
	v_lshrrev_b32_e32 v20, 16, v20
	;; [unrolled: 1-line block ×5, first 2 shown]
	s_waitcnt vmcnt(1)
	v_cmp_eq_u32_e32 vcc, v7, v24
	v_accvgpr_read_b32 v7, a13
	s_waitcnt vmcnt(0)
	v_add_u32_e32 v50, v21, v7
	v_lshrrev_b32_e32 v7, 16, v22
	v_add_u32_e32 v22, 1, v50
	v_accvgpr_write_b32 a34, v22
	v_add_u32_e32 v22, 2, v50
	v_accvgpr_write_b32 a2, v22
	;; [unrolled: 2-line block ×6, first 2 shown]
	v_add_u32_e32 v22, 7, v50
	v_lshrrev_b32_e32 v21, 16, v6
	v_lshrrev_b32_e32 v6, 16, v23
	v_accvgpr_write_b32 a19, v22
	s_and_saveexec_b64 s[22:23], vcc
	s_cbranch_execz .LBB365_629
; %bb.628:                              ;   in Loop: Header=BB365_562 Depth=1
	scratch_load_dword v22, off, s32 offset:196 ; 4-byte Folded Reload
	v_accvgpr_read_b32 v23, a34
	s_waitcnt vmcnt(0)
	v_cmp_lt_i32_e64 s[4:5], v50, v22
	s_nop 1
	v_cndmask_b32_e64 v16, 0, v16, s[4:5]
	v_cmp_lt_i32_e64 s[4:5], v23, v22
	v_accvgpr_read_b32 v23, a2
	s_nop 0
	v_cndmask_b32_e64 v17, 0, v17, s[4:5]
	v_cmp_lt_i32_e64 s[4:5], v23, v22
	v_accvgpr_read_b32 v23, a1
	;; [unrolled: 4-line block ×6, first 2 shown]
	s_nop 0
	v_cndmask_b32_e64 v7, 0, v7, s[4:5]
	v_cmp_lt_i32_e64 s[4:5], v23, v22
	s_nop 1
	v_cndmask_b32_e64 v6, 0, v6, s[4:5]
.LBB365_629:                            ;   in Loop: Header=BB365_562 Depth=1
	s_or_b64 exec, exec, s[22:23]
	v_and_b32_e32 v30, 0xffff0000, v13
	v_lshlrev_b32_e32 v13, 16, v16
	v_mul_f32_e32 v13, v30, v13
	v_and_b32_e32 v16, 0x7f800000, v13
	v_cmp_ne_u32_e64 s[4:5], s15, v16
                                        ; implicit-def: $vgpr16
                                        ; kill: killed $vgpr16
	s_and_saveexec_b64 s[22:23], s[4:5]
	s_xor_b64 s[4:5], exec, s[22:23]
	s_cbranch_execz .LBB365_631
; %bb.630:                              ;   in Loop: Header=BB365_562 Depth=1
	v_bfe_u32 v16, v13, 16, 1
	v_add3_u32 v13, v13, v16, s24
	scratch_store_dword off, v13, s32 offset:356 ; 4-byte Folded Spill
                                        ; implicit-def: $vgpr13
.LBB365_631:                            ;   in Loop: Header=BB365_562 Depth=1
	s_andn2_saveexec_b64 s[22:23], s[4:5]
	s_cbranch_execz .LBB365_633
; %bb.632:                              ;   in Loop: Header=BB365_562 Depth=1
	v_or_b32_e32 v16, 0x10000, v13
	v_cmp_eq_u32_sdwa s[4:5], v13, v49 src0_sel:WORD_0 src1_sel:DWORD
	s_nop 1
	v_cndmask_b32_e64 v13, v16, v13, s[4:5]
	scratch_store_dword off, v13, s32 offset:356 ; 4-byte Folded Spill
.LBB365_633:                            ;   in Loop: Header=BB365_562 Depth=1
	s_or_b64 exec, exec, s[22:23]
	v_and_b32_e32 v31, 0xffff0000, v12
	v_lshlrev_b32_e32 v12, 16, v17
	v_mul_f32_e32 v12, v31, v12
	v_and_b32_e32 v13, 0x7f800000, v12
	v_cmp_ne_u32_e64 s[4:5], s15, v13
                                        ; implicit-def: $vgpr13
                                        ; kill: killed $vgpr13
	s_and_saveexec_b64 s[22:23], s[4:5]
	s_xor_b64 s[4:5], exec, s[22:23]
	s_cbranch_execz .LBB365_635
; %bb.634:                              ;   in Loop: Header=BB365_562 Depth=1
	v_bfe_u32 v13, v12, 16, 1
	v_add3_u32 v12, v12, v13, s24
	scratch_store_dword off, v12, s32 offset:372 ; 4-byte Folded Spill
                                        ; implicit-def: $vgpr12
.LBB365_635:                            ;   in Loop: Header=BB365_562 Depth=1
	s_andn2_saveexec_b64 s[22:23], s[4:5]
	s_cbranch_execz .LBB365_637
; %bb.636:                              ;   in Loop: Header=BB365_562 Depth=1
	v_or_b32_e32 v13, 0x10000, v12
	v_cmp_eq_u32_sdwa s[4:5], v12, v49 src0_sel:WORD_0 src1_sel:DWORD
	s_nop 1
	v_cndmask_b32_e64 v12, v13, v12, s[4:5]
	scratch_store_dword off, v12, s32 offset:372 ; 4-byte Folded Spill
.LBB365_637:                            ;   in Loop: Header=BB365_562 Depth=1
	s_or_b64 exec, exec, s[22:23]
	v_and_b32_e32 v42, 0xffff0000, v11
	v_lshlrev_b32_e32 v11, 16, v19
	v_mul_f32_e32 v11, v42, v11
	v_and_b32_e32 v12, 0x7f800000, v11
	v_cmp_ne_u32_e64 s[4:5], s15, v12
                                        ; implicit-def: $vgpr12
                                        ; kill: killed $vgpr12
	s_and_saveexec_b64 s[22:23], s[4:5]
	s_xor_b64 s[4:5], exec, s[22:23]
	s_cbranch_execz .LBB365_639
; %bb.638:                              ;   in Loop: Header=BB365_562 Depth=1
	v_bfe_u32 v12, v11, 16, 1
	v_add3_u32 v11, v11, v12, s24
	scratch_store_dword off, v11, s32 offset:376 ; 4-byte Folded Spill
                                        ; implicit-def: $vgpr11
.LBB365_639:                            ;   in Loop: Header=BB365_562 Depth=1
	s_andn2_saveexec_b64 s[22:23], s[4:5]
	s_cbranch_execz .LBB365_641
; %bb.640:                              ;   in Loop: Header=BB365_562 Depth=1
	v_or_b32_e32 v12, 0x10000, v11
	v_cmp_eq_u32_sdwa s[4:5], v11, v49 src0_sel:WORD_0 src1_sel:DWORD
	s_nop 1
	v_cndmask_b32_e64 v11, v12, v11, s[4:5]
	scratch_store_dword off, v11, s32 offset:376 ; 4-byte Folded Spill
.LBB365_641:                            ;   in Loop: Header=BB365_562 Depth=1
	s_or_b64 exec, exec, s[22:23]
	v_and_b32_e32 v43, 0xffff0000, v10
	v_lshlrev_b32_e32 v10, 16, v21
	v_mul_f32_e32 v10, v43, v10
	v_and_b32_e32 v11, 0x7f800000, v10
	v_cmp_ne_u32_e64 s[4:5], s15, v11
                                        ; implicit-def: $vgpr11
                                        ; kill: killed $vgpr11
	s_and_saveexec_b64 s[22:23], s[4:5]
	s_xor_b64 s[4:5], exec, s[22:23]
	s_cbranch_execz .LBB365_643
; %bb.642:                              ;   in Loop: Header=BB365_562 Depth=1
	v_bfe_u32 v11, v10, 16, 1
	v_add3_u32 v10, v10, v11, s24
	scratch_store_dword off, v10, s32 offset:380 ; 4-byte Folded Spill
                                        ; implicit-def: $vgpr10
.LBB365_643:                            ;   in Loop: Header=BB365_562 Depth=1
	s_andn2_saveexec_b64 s[22:23], s[4:5]
	s_cbranch_execz .LBB365_645
; %bb.644:                              ;   in Loop: Header=BB365_562 Depth=1
	v_or_b32_e32 v11, 0x10000, v10
	v_cmp_eq_u32_sdwa s[4:5], v10, v49 src0_sel:WORD_0 src1_sel:DWORD
	s_nop 1
	v_cndmask_b32_e64 v10, v11, v10, s[4:5]
	scratch_store_dword off, v10, s32 offset:380 ; 4-byte Folded Spill
.LBB365_645:                            ;   in Loop: Header=BB365_562 Depth=1
	s_or_b64 exec, exec, s[22:23]
	v_and_b32_e32 v44, 0xffff0000, v9
	v_lshlrev_b32_e32 v9, 16, v20
	v_mul_f32_e32 v9, v44, v9
	v_and_b32_e32 v10, 0x7f800000, v9
	v_cmp_ne_u32_e64 s[4:5], s15, v10
                                        ; implicit-def: $vgpr10
                                        ; kill: killed $vgpr10
	s_and_saveexec_b64 s[22:23], s[4:5]
	s_xor_b64 s[4:5], exec, s[22:23]
	s_cbranch_execz .LBB365_647
; %bb.646:                              ;   in Loop: Header=BB365_562 Depth=1
	v_bfe_u32 v10, v9, 16, 1
	v_add3_u32 v9, v9, v10, s24
	scratch_store_dword off, v9, s32 offset:384 ; 4-byte Folded Spill
                                        ; implicit-def: $vgpr9
.LBB365_647:                            ;   in Loop: Header=BB365_562 Depth=1
	s_andn2_saveexec_b64 s[22:23], s[4:5]
	s_cbranch_execz .LBB365_649
; %bb.648:                              ;   in Loop: Header=BB365_562 Depth=1
	v_or_b32_e32 v10, 0x10000, v9
	v_cmp_eq_u32_sdwa s[4:5], v9, v49 src0_sel:WORD_0 src1_sel:DWORD
	s_nop 1
	v_cndmask_b32_e64 v9, v10, v9, s[4:5]
	scratch_store_dword off, v9, s32 offset:384 ; 4-byte Folded Spill
.LBB365_649:                            ;   in Loop: Header=BB365_562 Depth=1
	s_or_b64 exec, exec, s[22:23]
	v_and_b32_e32 v46, 0xffff0000, v8
	v_lshlrev_b32_e32 v8, 16, v18
	v_mul_f32_e32 v8, v46, v8
	v_and_b32_e32 v9, 0x7f800000, v8
	v_cmp_ne_u32_e64 s[4:5], s15, v9
                                        ; implicit-def: $vgpr9
                                        ; kill: killed $vgpr9
	s_and_saveexec_b64 s[22:23], s[4:5]
	s_xor_b64 s[4:5], exec, s[22:23]
	s_cbranch_execz .LBB365_651
; %bb.650:                              ;   in Loop: Header=BB365_562 Depth=1
	v_bfe_u32 v9, v8, 16, 1
	v_add3_u32 v8, v8, v9, s24
	scratch_store_dword off, v8, s32 offset:388 ; 4-byte Folded Spill
                                        ; implicit-def: $vgpr8
.LBB365_651:                            ;   in Loop: Header=BB365_562 Depth=1
	s_andn2_saveexec_b64 s[22:23], s[4:5]
	s_cbranch_execz .LBB365_653
; %bb.652:                              ;   in Loop: Header=BB365_562 Depth=1
	v_or_b32_e32 v9, 0x10000, v8
	v_cmp_eq_u32_sdwa s[4:5], v8, v49 src0_sel:WORD_0 src1_sel:DWORD
	s_nop 1
	v_cndmask_b32_e64 v8, v9, v8, s[4:5]
	scratch_store_dword off, v8, s32 offset:388 ; 4-byte Folded Spill
.LBB365_653:                            ;   in Loop: Header=BB365_562 Depth=1
	s_or_b64 exec, exec, s[22:23]
	v_and_b32_e32 v47, 0xffff0000, v5
	v_lshlrev_b32_e32 v5, 16, v7
	v_mul_f32_e32 v5, v47, v5
	v_and_b32_e32 v7, 0x7f800000, v5
	v_cmp_ne_u32_e64 s[4:5], s15, v7
                                        ; implicit-def: $vgpr7
                                        ; kill: killed $vgpr7
	s_and_saveexec_b64 s[22:23], s[4:5]
	s_xor_b64 s[4:5], exec, s[22:23]
	s_cbranch_execz .LBB365_655
; %bb.654:                              ;   in Loop: Header=BB365_562 Depth=1
	v_bfe_u32 v7, v5, 16, 1
	v_add3_u32 v5, v5, v7, s24
	scratch_store_dword off, v5, s32 offset:392 ; 4-byte Folded Spill
                                        ; implicit-def: $vgpr5
.LBB365_655:                            ;   in Loop: Header=BB365_562 Depth=1
	s_andn2_saveexec_b64 s[22:23], s[4:5]
	s_cbranch_execz .LBB365_657
; %bb.656:                              ;   in Loop: Header=BB365_562 Depth=1
	v_or_b32_e32 v7, 0x10000, v5
	v_cmp_eq_u32_sdwa s[4:5], v5, v49 src0_sel:WORD_0 src1_sel:DWORD
	s_nop 1
	v_cndmask_b32_e64 v5, v7, v5, s[4:5]
	scratch_store_dword off, v5, s32 offset:392 ; 4-byte Folded Spill
.LBB365_657:                            ;   in Loop: Header=BB365_562 Depth=1
	s_or_b64 exec, exec, s[22:23]
	v_and_b32_e32 v58, 0xffff0000, v4
	v_lshlrev_b32_e32 v4, 16, v6
	v_mul_f32_e32 v4, v58, v4
	v_and_b32_e32 v5, 0x7f800000, v4
	v_cmp_ne_u32_e64 s[4:5], s15, v5
                                        ; implicit-def: $vgpr5
                                        ; kill: killed $vgpr5
	s_and_saveexec_b64 s[22:23], s[4:5]
	s_xor_b64 s[4:5], exec, s[22:23]
	s_cbranch_execz .LBB365_659
; %bb.658:                              ;   in Loop: Header=BB365_562 Depth=1
	v_bfe_u32 v5, v4, 16, 1
	v_add3_u32 v4, v4, v5, s24
	scratch_store_dword off, v4, s32 offset:396 ; 4-byte Folded Spill
                                        ; implicit-def: $vgpr4
.LBB365_659:                            ;   in Loop: Header=BB365_562 Depth=1
	s_andn2_saveexec_b64 s[22:23], s[4:5]
	s_cbranch_execz .LBB365_661
; %bb.660:                              ;   in Loop: Header=BB365_562 Depth=1
	v_or_b32_e32 v5, 0x10000, v4
	v_cmp_eq_u32_sdwa s[4:5], v4, v49 src0_sel:WORD_0 src1_sel:DWORD
	s_nop 1
	v_cndmask_b32_e64 v4, v5, v4, s[4:5]
	scratch_store_dword off, v4, s32 offset:396 ; 4-byte Folded Spill
.LBB365_661:                            ;   in Loop: Header=BB365_562 Depth=1
	s_or_b64 exec, exec, s[22:23]
	flat_load_dwordx2 v[6:7], v[2:3] offset:512
	s_waitcnt vmcnt(0) lgkmcnt(0)
	v_and_b32_e32 v4, 0xff, v6
	v_cvt_f32_fp8_sdwa v4, v4 src0_sel:BYTE_0
	s_nop 0
	v_mul_f32_e32 v5, v57, v4
	v_and_b32_e32 v4, 0x7f800000, v5
	v_cmp_ne_u32_e64 s[4:5], s15, v4
                                        ; implicit-def: $vgpr4
	s_and_saveexec_b64 s[22:23], s[4:5]
	s_xor_b64 s[4:5], exec, s[22:23]
; %bb.662:                              ;   in Loop: Header=BB365_562 Depth=1
	v_bfe_u32 v4, v5, 16, 1
	v_add3_u32 v4, v5, v4, s24
                                        ; implicit-def: $vgpr5
; %bb.663:                              ;   in Loop: Header=BB365_562 Depth=1
	s_andn2_saveexec_b64 s[22:23], s[4:5]
; %bb.664:                              ;   in Loop: Header=BB365_562 Depth=1
	v_or_b32_e32 v4, 0x10000, v5
	v_cmp_eq_u32_sdwa s[4:5], v5, v49 src0_sel:WORD_0 src1_sel:DWORD
	s_nop 1
	v_cndmask_b32_e64 v4, v4, v5, s[4:5]
; %bb.665:                              ;   in Loop: Header=BB365_562 Depth=1
	s_or_b64 exec, exec, s[22:23]
	v_bfe_u32 v5, v6, 8, 8
	v_cvt_f32_fp8_sdwa v5, v5 src0_sel:BYTE_0
	s_nop 0
	v_mul_f32_e32 v8, v57, v5
	v_and_b32_e32 v5, 0x7f800000, v8
	v_cmp_ne_u32_e64 s[4:5], s15, v5
                                        ; implicit-def: $vgpr5
	s_and_saveexec_b64 s[22:23], s[4:5]
	s_xor_b64 s[4:5], exec, s[22:23]
; %bb.666:                              ;   in Loop: Header=BB365_562 Depth=1
	v_bfe_u32 v5, v8, 16, 1
	v_add3_u32 v5, v8, v5, s24
                                        ; implicit-def: $vgpr8
; %bb.667:                              ;   in Loop: Header=BB365_562 Depth=1
	s_andn2_saveexec_b64 s[22:23], s[4:5]
; %bb.668:                              ;   in Loop: Header=BB365_562 Depth=1
	v_or_b32_e32 v5, 0x10000, v8
	v_cmp_eq_u32_sdwa s[4:5], v8, v49 src0_sel:WORD_0 src1_sel:DWORD
	s_nop 1
	v_cndmask_b32_e64 v5, v5, v8, s[4:5]
; %bb.669:                              ;   in Loop: Header=BB365_562 Depth=1
	s_or_b64 exec, exec, s[22:23]
	v_bfe_u32 v8, v6, 16, 8
	v_cvt_f32_fp8_sdwa v8, v8 src0_sel:BYTE_0
	s_nop 0
	v_mul_f32_e32 v9, v57, v8
	v_and_b32_e32 v8, 0x7f800000, v9
	v_cmp_ne_u32_e64 s[4:5], s15, v8
                                        ; implicit-def: $vgpr8
	s_and_saveexec_b64 s[22:23], s[4:5]
	s_xor_b64 s[4:5], exec, s[22:23]
; %bb.670:                              ;   in Loop: Header=BB365_562 Depth=1
	v_bfe_u32 v8, v9, 16, 1
	v_add3_u32 v8, v9, v8, s24
                                        ; implicit-def: $vgpr9
; %bb.671:                              ;   in Loop: Header=BB365_562 Depth=1
	s_andn2_saveexec_b64 s[22:23], s[4:5]
; %bb.672:                              ;   in Loop: Header=BB365_562 Depth=1
	v_or_b32_e32 v8, 0x10000, v9
	v_cmp_eq_u32_sdwa s[4:5], v9, v49 src0_sel:WORD_0 src1_sel:DWORD
	s_nop 1
	v_cndmask_b32_e64 v8, v8, v9, s[4:5]
; %bb.673:                              ;   in Loop: Header=BB365_562 Depth=1
	s_or_b64 exec, exec, s[22:23]
	v_lshrrev_b32_e32 v6, 24, v6
	v_cvt_f32_fp8_sdwa v6, v6 src0_sel:BYTE_0
	s_nop 0
	v_mul_f32_e32 v6, v57, v6
	v_and_b32_e32 v9, 0x7f800000, v6
	v_cmp_ne_u32_e64 s[4:5], s15, v9
                                        ; implicit-def: $vgpr9
	s_and_saveexec_b64 s[22:23], s[4:5]
	s_xor_b64 s[4:5], exec, s[22:23]
; %bb.674:                              ;   in Loop: Header=BB365_562 Depth=1
	v_bfe_u32 v9, v6, 16, 1
	v_add3_u32 v9, v6, v9, s24
                                        ; implicit-def: $vgpr6
; %bb.675:                              ;   in Loop: Header=BB365_562 Depth=1
	s_andn2_saveexec_b64 s[22:23], s[4:5]
; %bb.676:                              ;   in Loop: Header=BB365_562 Depth=1
	v_or_b32_e32 v9, 0x10000, v6
	v_cmp_eq_u32_sdwa s[4:5], v6, v49 src0_sel:WORD_0 src1_sel:DWORD
	s_nop 1
	v_cndmask_b32_e64 v9, v9, v6, s[4:5]
; %bb.677:                              ;   in Loop: Header=BB365_562 Depth=1
	s_or_b64 exec, exec, s[22:23]
	v_and_b32_e32 v6, 0xff, v7
	v_cvt_f32_fp8_sdwa v6, v6 src0_sel:BYTE_0
	s_nop 0
	v_mul_f32_e32 v6, v57, v6
	v_and_b32_e32 v10, 0x7f800000, v6
	v_cmp_ne_u32_e64 s[4:5], s15, v10
                                        ; implicit-def: $vgpr10
	s_and_saveexec_b64 s[22:23], s[4:5]
	s_xor_b64 s[4:5], exec, s[22:23]
; %bb.678:                              ;   in Loop: Header=BB365_562 Depth=1
	v_bfe_u32 v10, v6, 16, 1
	v_add3_u32 v10, v6, v10, s24
                                        ; implicit-def: $vgpr6
; %bb.679:                              ;   in Loop: Header=BB365_562 Depth=1
	s_andn2_saveexec_b64 s[22:23], s[4:5]
; %bb.680:                              ;   in Loop: Header=BB365_562 Depth=1
	v_or_b32_e32 v10, 0x10000, v6
	v_cmp_eq_u32_sdwa s[4:5], v6, v49 src0_sel:WORD_0 src1_sel:DWORD
	s_nop 1
	v_cndmask_b32_e64 v10, v10, v6, s[4:5]
; %bb.681:                              ;   in Loop: Header=BB365_562 Depth=1
	s_or_b64 exec, exec, s[22:23]
	v_bfe_u32 v6, v7, 8, 8
	v_cvt_f32_fp8_sdwa v6, v6 src0_sel:BYTE_0
	s_nop 0
	v_mul_f32_e32 v11, v57, v6
	v_and_b32_e32 v6, 0x7f800000, v11
	v_cmp_ne_u32_e64 s[4:5], s15, v6
                                        ; implicit-def: $vgpr6
	s_and_saveexec_b64 s[22:23], s[4:5]
	s_xor_b64 s[4:5], exec, s[22:23]
; %bb.682:                              ;   in Loop: Header=BB365_562 Depth=1
	v_bfe_u32 v6, v11, 16, 1
	v_add3_u32 v6, v11, v6, s24
                                        ; implicit-def: $vgpr11
; %bb.683:                              ;   in Loop: Header=BB365_562 Depth=1
	s_andn2_saveexec_b64 s[22:23], s[4:5]
; %bb.684:                              ;   in Loop: Header=BB365_562 Depth=1
	v_or_b32_e32 v6, 0x10000, v11
	v_cmp_eq_u32_sdwa s[4:5], v11, v49 src0_sel:WORD_0 src1_sel:DWORD
	s_nop 1
	v_cndmask_b32_e64 v6, v6, v11, s[4:5]
; %bb.685:                              ;   in Loop: Header=BB365_562 Depth=1
	s_or_b64 exec, exec, s[22:23]
	v_bfe_u32 v11, v7, 16, 8
	v_cvt_f32_fp8_sdwa v11, v11 src0_sel:BYTE_0
	s_nop 0
	v_mul_f32_e32 v12, v57, v11
	v_and_b32_e32 v11, 0x7f800000, v12
	v_cmp_ne_u32_e64 s[4:5], s15, v11
                                        ; implicit-def: $vgpr11
	s_and_saveexec_b64 s[22:23], s[4:5]
	s_xor_b64 s[4:5], exec, s[22:23]
; %bb.686:                              ;   in Loop: Header=BB365_562 Depth=1
	v_bfe_u32 v11, v12, 16, 1
	v_add3_u32 v11, v12, v11, s24
                                        ; implicit-def: $vgpr12
; %bb.687:                              ;   in Loop: Header=BB365_562 Depth=1
	s_andn2_saveexec_b64 s[22:23], s[4:5]
; %bb.688:                              ;   in Loop: Header=BB365_562 Depth=1
	v_or_b32_e32 v11, 0x10000, v12
	v_cmp_eq_u32_sdwa s[4:5], v12, v49 src0_sel:WORD_0 src1_sel:DWORD
	s_nop 1
	v_cndmask_b32_e64 v11, v11, v12, s[4:5]
; %bb.689:                              ;   in Loop: Header=BB365_562 Depth=1
	s_or_b64 exec, exec, s[22:23]
	v_lshrrev_b32_e32 v7, 24, v7
	v_cvt_f32_fp8_sdwa v7, v7 src0_sel:BYTE_0
                                        ; implicit-def: $vgpr13
	s_nop 0
	v_mul_f32_e32 v7, v57, v7
	v_and_b32_e32 v12, 0x7f800000, v7
	v_cmp_ne_u32_e64 s[4:5], s15, v12
	s_and_saveexec_b64 s[22:23], s[4:5]
	s_xor_b64 s[4:5], exec, s[22:23]
; %bb.690:                              ;   in Loop: Header=BB365_562 Depth=1
	v_bfe_u32 v12, v7, 16, 1
	v_add3_u32 v13, v7, v12, s24
                                        ; implicit-def: $vgpr7
; %bb.691:                              ;   in Loop: Header=BB365_562 Depth=1
	s_andn2_saveexec_b64 s[22:23], s[4:5]
; %bb.692:                              ;   in Loop: Header=BB365_562 Depth=1
	v_or_b32_e32 v12, 0x10000, v7
	v_cmp_eq_u32_sdwa s[4:5], v7, v49 src0_sel:WORD_0 src1_sel:DWORD
	s_nop 1
	v_cndmask_b32_e64 v13, v12, v7, s[4:5]
; %bb.693:                              ;   in Loop: Header=BB365_562 Depth=1
	s_or_b64 exec, exec, s[22:23]
	v_lshrrev_b32_e32 v6, 16, v6
	v_lshrrev_b32_e32 v7, 16, v10
	;; [unrolled: 1-line block ×8, first 2 shown]
	s_and_saveexec_b64 s[22:23], vcc
	s_cbranch_execz .LBB365_695
; %bb.694:                              ;   in Loop: Header=BB365_562 Depth=1
	scratch_load_dword v11, off, s32 offset:196 ; 4-byte Folded Reload
	v_accvgpr_read_b32 v13, a34
	s_waitcnt vmcnt(0)
	v_cmp_lt_i32_e64 s[4:5], v50, v11
	s_nop 1
	v_cndmask_b32_e64 v12, 0, v12, s[4:5]
	v_cmp_lt_i32_e64 s[4:5], v13, v11
	v_accvgpr_read_b32 v13, a2
	s_nop 0
	v_cndmask_b32_e64 v10, 0, v10, s[4:5]
	v_cmp_lt_i32_e64 s[4:5], v13, v11
	v_accvgpr_read_b32 v13, a1
	;; [unrolled: 4-line block ×6, first 2 shown]
	s_nop 0
	v_cndmask_b32_e64 v5, 0, v5, s[4:5]
	v_cmp_lt_i32_e64 s[4:5], v13, v11
	s_nop 1
	v_cndmask_b32_e64 v4, 0, v4, s[4:5]
.LBB365_695:                            ;   in Loop: Header=BB365_562 Depth=1
	s_or_b64 exec, exec, s[22:23]
	v_lshlrev_b32_e32 v11, 16, v12
	v_mul_f32_e32 v11, v30, v11
	v_and_b32_e32 v12, 0x7f800000, v11
	v_cmp_ne_u32_e64 s[4:5], s15, v12
                                        ; implicit-def: $vgpr12
                                        ; kill: killed $vgpr12
	s_and_saveexec_b64 s[22:23], s[4:5]
	s_xor_b64 s[4:5], exec, s[22:23]
	s_cbranch_execz .LBB365_697
; %bb.696:                              ;   in Loop: Header=BB365_562 Depth=1
	v_bfe_u32 v12, v11, 16, 1
	v_add3_u32 v11, v11, v12, s24
	scratch_store_dword off, v11, s32 offset:400 ; 4-byte Folded Spill
                                        ; implicit-def: $vgpr11
.LBB365_697:                            ;   in Loop: Header=BB365_562 Depth=1
	s_andn2_saveexec_b64 s[22:23], s[4:5]
	s_cbranch_execz .LBB365_699
; %bb.698:                              ;   in Loop: Header=BB365_562 Depth=1
	v_or_b32_e32 v12, 0x10000, v11
	v_cmp_eq_u32_sdwa s[4:5], v11, v49 src0_sel:WORD_0 src1_sel:DWORD
	s_nop 1
	v_cndmask_b32_e64 v11, v12, v11, s[4:5]
	scratch_store_dword off, v11, s32 offset:400 ; 4-byte Folded Spill
.LBB365_699:                            ;   in Loop: Header=BB365_562 Depth=1
	s_or_b64 exec, exec, s[22:23]
	v_lshlrev_b32_e32 v10, 16, v10
	v_mul_f32_e32 v10, v31, v10
	v_and_b32_e32 v11, 0x7f800000, v10
	v_cmp_ne_u32_e64 s[4:5], s15, v11
                                        ; implicit-def: $vgpr11
                                        ; kill: killed $vgpr11
	s_and_saveexec_b64 s[22:23], s[4:5]
	s_xor_b64 s[4:5], exec, s[22:23]
	s_cbranch_execz .LBB365_701
; %bb.700:                              ;   in Loop: Header=BB365_562 Depth=1
	v_bfe_u32 v11, v10, 16, 1
	v_add3_u32 v10, v10, v11, s24
	scratch_store_dword off, v10, s32 offset:404 ; 4-byte Folded Spill
                                        ; implicit-def: $vgpr10
.LBB365_701:                            ;   in Loop: Header=BB365_562 Depth=1
	s_andn2_saveexec_b64 s[22:23], s[4:5]
	s_cbranch_execz .LBB365_703
; %bb.702:                              ;   in Loop: Header=BB365_562 Depth=1
	v_or_b32_e32 v11, 0x10000, v10
	v_cmp_eq_u32_sdwa s[4:5], v10, v49 src0_sel:WORD_0 src1_sel:DWORD
	s_nop 1
	v_cndmask_b32_e64 v10, v11, v10, s[4:5]
	scratch_store_dword off, v10, s32 offset:404 ; 4-byte Folded Spill
.LBB365_703:                            ;   in Loop: Header=BB365_562 Depth=1
	s_or_b64 exec, exec, s[22:23]
	v_lshlrev_b32_e32 v8, 16, v8
	v_mul_f32_e32 v8, v42, v8
	v_and_b32_e32 v10, 0x7f800000, v8
	v_cmp_ne_u32_e64 s[4:5], s15, v10
                                        ; implicit-def: $vgpr10
                                        ; kill: killed $vgpr10
	s_and_saveexec_b64 s[22:23], s[4:5]
	s_xor_b64 s[4:5], exec, s[22:23]
	s_cbranch_execz .LBB365_705
; %bb.704:                              ;   in Loop: Header=BB365_562 Depth=1
	v_bfe_u32 v10, v8, 16, 1
	v_add3_u32 v8, v8, v10, s24
	scratch_store_dword off, v8, s32 offset:408 ; 4-byte Folded Spill
                                        ; implicit-def: $vgpr8
.LBB365_705:                            ;   in Loop: Header=BB365_562 Depth=1
	s_andn2_saveexec_b64 s[22:23], s[4:5]
	s_cbranch_execz .LBB365_707
; %bb.706:                              ;   in Loop: Header=BB365_562 Depth=1
	v_or_b32_e32 v10, 0x10000, v8
	v_cmp_eq_u32_sdwa s[4:5], v8, v49 src0_sel:WORD_0 src1_sel:DWORD
	s_nop 1
	v_cndmask_b32_e64 v8, v10, v8, s[4:5]
	scratch_store_dword off, v8, s32 offset:408 ; 4-byte Folded Spill
.LBB365_707:                            ;   in Loop: Header=BB365_562 Depth=1
	s_or_b64 exec, exec, s[22:23]
	v_lshlrev_b32_e32 v8, 16, v9
	v_mul_f32_e32 v8, v43, v8
	v_and_b32_e32 v9, 0x7f800000, v8
	v_cmp_ne_u32_e64 s[4:5], s15, v9
                                        ; implicit-def: $vgpr9
                                        ; kill: killed $vgpr9
	s_and_saveexec_b64 s[22:23], s[4:5]
	s_xor_b64 s[4:5], exec, s[22:23]
	s_cbranch_execz .LBB365_709
; %bb.708:                              ;   in Loop: Header=BB365_562 Depth=1
	v_bfe_u32 v9, v8, 16, 1
	v_add3_u32 v8, v8, v9, s24
	scratch_store_dword off, v8, s32 offset:412 ; 4-byte Folded Spill
                                        ; implicit-def: $vgpr8
.LBB365_709:                            ;   in Loop: Header=BB365_562 Depth=1
	s_andn2_saveexec_b64 s[22:23], s[4:5]
	s_cbranch_execz .LBB365_711
; %bb.710:                              ;   in Loop: Header=BB365_562 Depth=1
	v_or_b32_e32 v9, 0x10000, v8
	v_cmp_eq_u32_sdwa s[4:5], v8, v49 src0_sel:WORD_0 src1_sel:DWORD
	s_nop 1
	v_cndmask_b32_e64 v8, v9, v8, s[4:5]
	scratch_store_dword off, v8, s32 offset:412 ; 4-byte Folded Spill
.LBB365_711:                            ;   in Loop: Header=BB365_562 Depth=1
	s_or_b64 exec, exec, s[22:23]
	v_lshlrev_b32_e32 v7, 16, v7
	v_mul_f32_e32 v7, v44, v7
	v_and_b32_e32 v8, 0x7f800000, v7
	v_cmp_ne_u32_e64 s[4:5], s15, v8
                                        ; implicit-def: $vgpr8
                                        ; kill: killed $vgpr8
	s_and_saveexec_b64 s[22:23], s[4:5]
	s_xor_b64 s[4:5], exec, s[22:23]
	s_cbranch_execz .LBB365_713
; %bb.712:                              ;   in Loop: Header=BB365_562 Depth=1
	v_bfe_u32 v8, v7, 16, 1
	v_add3_u32 v7, v7, v8, s24
	scratch_store_dword off, v7, s32 offset:416 ; 4-byte Folded Spill
                                        ; implicit-def: $vgpr7
.LBB365_713:                            ;   in Loop: Header=BB365_562 Depth=1
	s_andn2_saveexec_b64 s[22:23], s[4:5]
	s_cbranch_execz .LBB365_715
; %bb.714:                              ;   in Loop: Header=BB365_562 Depth=1
	v_or_b32_e32 v8, 0x10000, v7
	v_cmp_eq_u32_sdwa s[4:5], v7, v49 src0_sel:WORD_0 src1_sel:DWORD
	s_nop 1
	v_cndmask_b32_e64 v7, v8, v7, s[4:5]
	scratch_store_dword off, v7, s32 offset:416 ; 4-byte Folded Spill
.LBB365_715:                            ;   in Loop: Header=BB365_562 Depth=1
	s_or_b64 exec, exec, s[22:23]
	v_lshlrev_b32_e32 v6, 16, v6
	v_mul_f32_e32 v6, v46, v6
	v_and_b32_e32 v7, 0x7f800000, v6
	v_cmp_ne_u32_e64 s[4:5], s15, v7
                                        ; implicit-def: $vgpr7
                                        ; kill: killed $vgpr7
	s_and_saveexec_b64 s[22:23], s[4:5]
	s_xor_b64 s[4:5], exec, s[22:23]
	s_cbranch_execz .LBB365_717
; %bb.716:                              ;   in Loop: Header=BB365_562 Depth=1
	v_bfe_u32 v7, v6, 16, 1
	v_add3_u32 v6, v6, v7, s24
	scratch_store_dword off, v6, s32 offset:420 ; 4-byte Folded Spill
                                        ; implicit-def: $vgpr6
.LBB365_717:                            ;   in Loop: Header=BB365_562 Depth=1
	s_andn2_saveexec_b64 s[22:23], s[4:5]
	s_cbranch_execz .LBB365_719
; %bb.718:                              ;   in Loop: Header=BB365_562 Depth=1
	v_or_b32_e32 v7, 0x10000, v6
	v_cmp_eq_u32_sdwa s[4:5], v6, v49 src0_sel:WORD_0 src1_sel:DWORD
	s_nop 1
	v_cndmask_b32_e64 v6, v7, v6, s[4:5]
	scratch_store_dword off, v6, s32 offset:420 ; 4-byte Folded Spill
.LBB365_719:                            ;   in Loop: Header=BB365_562 Depth=1
	s_or_b64 exec, exec, s[22:23]
	v_lshlrev_b32_e32 v5, 16, v5
	v_mul_f32_e32 v5, v47, v5
	v_and_b32_e32 v6, 0x7f800000, v5
	v_cmp_ne_u32_e64 s[4:5], s15, v6
                                        ; implicit-def: $vgpr6
                                        ; kill: killed $vgpr6
	s_and_saveexec_b64 s[22:23], s[4:5]
	s_xor_b64 s[4:5], exec, s[22:23]
	s_cbranch_execz .LBB365_721
; %bb.720:                              ;   in Loop: Header=BB365_562 Depth=1
	v_bfe_u32 v6, v5, 16, 1
	v_add3_u32 v5, v5, v6, s24
	scratch_store_dword off, v5, s32 offset:424 ; 4-byte Folded Spill
                                        ; implicit-def: $vgpr5
.LBB365_721:                            ;   in Loop: Header=BB365_562 Depth=1
	s_andn2_saveexec_b64 s[22:23], s[4:5]
	s_cbranch_execz .LBB365_723
; %bb.722:                              ;   in Loop: Header=BB365_562 Depth=1
	v_or_b32_e32 v6, 0x10000, v5
	v_cmp_eq_u32_sdwa s[4:5], v5, v49 src0_sel:WORD_0 src1_sel:DWORD
	s_nop 1
	v_cndmask_b32_e64 v5, v6, v5, s[4:5]
	scratch_store_dword off, v5, s32 offset:424 ; 4-byte Folded Spill
.LBB365_723:                            ;   in Loop: Header=BB365_562 Depth=1
	s_or_b64 exec, exec, s[22:23]
	v_lshlrev_b32_e32 v4, 16, v4
	v_mul_f32_e32 v4, v58, v4
	v_and_b32_e32 v5, 0x7f800000, v4
	v_cmp_ne_u32_e64 s[4:5], s15, v5
                                        ; implicit-def: $vgpr5
                                        ; kill: killed $vgpr5
	s_and_saveexec_b64 s[22:23], s[4:5]
	s_xor_b64 s[4:5], exec, s[22:23]
	s_cbranch_execz .LBB365_725
; %bb.724:                              ;   in Loop: Header=BB365_562 Depth=1
	v_bfe_u32 v5, v4, 16, 1
	v_add3_u32 v4, v4, v5, s24
	scratch_store_dword off, v4, s32 offset:428 ; 4-byte Folded Spill
                                        ; implicit-def: $vgpr4
.LBB365_725:                            ;   in Loop: Header=BB365_562 Depth=1
	s_andn2_saveexec_b64 s[22:23], s[4:5]
	s_cbranch_execz .LBB365_727
; %bb.726:                              ;   in Loop: Header=BB365_562 Depth=1
	v_or_b32_e32 v5, 0x10000, v4
	v_cmp_eq_u32_sdwa s[4:5], v4, v49 src0_sel:WORD_0 src1_sel:DWORD
	s_nop 1
	v_cndmask_b32_e64 v4, v5, v4, s[4:5]
	scratch_store_dword off, v4, s32 offset:428 ; 4-byte Folded Spill
.LBB365_727:                            ;   in Loop: Header=BB365_562 Depth=1
	s_or_b64 exec, exec, s[22:23]
	flat_load_dwordx2 v[6:7], v[2:3] offset:1024
	s_waitcnt vmcnt(0) lgkmcnt(0)
	v_and_b32_e32 v4, 0xff, v6
	v_cvt_f32_fp8_sdwa v4, v4 src0_sel:BYTE_0
	s_nop 0
	v_mul_f32_e32 v5, v57, v4
	v_and_b32_e32 v4, 0x7f800000, v5
	v_cmp_ne_u32_e64 s[4:5], s15, v4
                                        ; implicit-def: $vgpr4
	s_and_saveexec_b64 s[22:23], s[4:5]
	s_xor_b64 s[4:5], exec, s[22:23]
; %bb.728:                              ;   in Loop: Header=BB365_562 Depth=1
	v_bfe_u32 v4, v5, 16, 1
	v_add3_u32 v4, v5, v4, s24
                                        ; implicit-def: $vgpr5
; %bb.729:                              ;   in Loop: Header=BB365_562 Depth=1
	s_andn2_saveexec_b64 s[22:23], s[4:5]
; %bb.730:                              ;   in Loop: Header=BB365_562 Depth=1
	v_or_b32_e32 v4, 0x10000, v5
	v_cmp_eq_u32_sdwa s[4:5], v5, v49 src0_sel:WORD_0 src1_sel:DWORD
	s_nop 1
	v_cndmask_b32_e64 v4, v4, v5, s[4:5]
; %bb.731:                              ;   in Loop: Header=BB365_562 Depth=1
	s_or_b64 exec, exec, s[22:23]
	v_bfe_u32 v5, v6, 8, 8
	v_cvt_f32_fp8_sdwa v5, v5 src0_sel:BYTE_0
	s_nop 0
	v_mul_f32_e32 v8, v57, v5
	v_and_b32_e32 v5, 0x7f800000, v8
	v_cmp_ne_u32_e64 s[4:5], s15, v5
                                        ; implicit-def: $vgpr5
	s_and_saveexec_b64 s[22:23], s[4:5]
	s_xor_b64 s[4:5], exec, s[22:23]
; %bb.732:                              ;   in Loop: Header=BB365_562 Depth=1
	v_bfe_u32 v5, v8, 16, 1
	v_add3_u32 v5, v8, v5, s24
                                        ; implicit-def: $vgpr8
; %bb.733:                              ;   in Loop: Header=BB365_562 Depth=1
	s_andn2_saveexec_b64 s[22:23], s[4:5]
; %bb.734:                              ;   in Loop: Header=BB365_562 Depth=1
	v_or_b32_e32 v5, 0x10000, v8
	v_cmp_eq_u32_sdwa s[4:5], v8, v49 src0_sel:WORD_0 src1_sel:DWORD
	s_nop 1
	v_cndmask_b32_e64 v5, v5, v8, s[4:5]
; %bb.735:                              ;   in Loop: Header=BB365_562 Depth=1
	s_or_b64 exec, exec, s[22:23]
	v_bfe_u32 v8, v6, 16, 8
	v_cvt_f32_fp8_sdwa v8, v8 src0_sel:BYTE_0
	s_nop 0
	v_mul_f32_e32 v9, v57, v8
	v_and_b32_e32 v8, 0x7f800000, v9
	v_cmp_ne_u32_e64 s[4:5], s15, v8
                                        ; implicit-def: $vgpr8
	s_and_saveexec_b64 s[22:23], s[4:5]
	s_xor_b64 s[4:5], exec, s[22:23]
; %bb.736:                              ;   in Loop: Header=BB365_562 Depth=1
	v_bfe_u32 v8, v9, 16, 1
	v_add3_u32 v8, v9, v8, s24
                                        ; implicit-def: $vgpr9
; %bb.737:                              ;   in Loop: Header=BB365_562 Depth=1
	s_andn2_saveexec_b64 s[22:23], s[4:5]
; %bb.738:                              ;   in Loop: Header=BB365_562 Depth=1
	v_or_b32_e32 v8, 0x10000, v9
	v_cmp_eq_u32_sdwa s[4:5], v9, v49 src0_sel:WORD_0 src1_sel:DWORD
	s_nop 1
	v_cndmask_b32_e64 v8, v8, v9, s[4:5]
; %bb.739:                              ;   in Loop: Header=BB365_562 Depth=1
	s_or_b64 exec, exec, s[22:23]
	v_lshrrev_b32_e32 v6, 24, v6
	v_cvt_f32_fp8_sdwa v6, v6 src0_sel:BYTE_0
	s_nop 0
	v_mul_f32_e32 v6, v57, v6
	v_and_b32_e32 v9, 0x7f800000, v6
	v_cmp_ne_u32_e64 s[4:5], s15, v9
                                        ; implicit-def: $vgpr9
	s_and_saveexec_b64 s[22:23], s[4:5]
	s_xor_b64 s[4:5], exec, s[22:23]
; %bb.740:                              ;   in Loop: Header=BB365_562 Depth=1
	v_bfe_u32 v9, v6, 16, 1
	v_add3_u32 v9, v6, v9, s24
                                        ; implicit-def: $vgpr6
; %bb.741:                              ;   in Loop: Header=BB365_562 Depth=1
	s_andn2_saveexec_b64 s[22:23], s[4:5]
; %bb.742:                              ;   in Loop: Header=BB365_562 Depth=1
	v_or_b32_e32 v9, 0x10000, v6
	v_cmp_eq_u32_sdwa s[4:5], v6, v49 src0_sel:WORD_0 src1_sel:DWORD
	s_nop 1
	v_cndmask_b32_e64 v9, v9, v6, s[4:5]
; %bb.743:                              ;   in Loop: Header=BB365_562 Depth=1
	s_or_b64 exec, exec, s[22:23]
	v_and_b32_e32 v6, 0xff, v7
	v_cvt_f32_fp8_sdwa v6, v6 src0_sel:BYTE_0
	s_nop 0
	v_mul_f32_e32 v6, v57, v6
	v_and_b32_e32 v10, 0x7f800000, v6
	v_cmp_ne_u32_e64 s[4:5], s15, v10
                                        ; implicit-def: $vgpr10
	s_and_saveexec_b64 s[22:23], s[4:5]
	s_xor_b64 s[4:5], exec, s[22:23]
; %bb.744:                              ;   in Loop: Header=BB365_562 Depth=1
	v_bfe_u32 v10, v6, 16, 1
	v_add3_u32 v10, v6, v10, s24
                                        ; implicit-def: $vgpr6
; %bb.745:                              ;   in Loop: Header=BB365_562 Depth=1
	s_andn2_saveexec_b64 s[22:23], s[4:5]
; %bb.746:                              ;   in Loop: Header=BB365_562 Depth=1
	v_or_b32_e32 v10, 0x10000, v6
	v_cmp_eq_u32_sdwa s[4:5], v6, v49 src0_sel:WORD_0 src1_sel:DWORD
	s_nop 1
	v_cndmask_b32_e64 v10, v10, v6, s[4:5]
; %bb.747:                              ;   in Loop: Header=BB365_562 Depth=1
	s_or_b64 exec, exec, s[22:23]
	v_bfe_u32 v6, v7, 8, 8
	v_cvt_f32_fp8_sdwa v6, v6 src0_sel:BYTE_0
	s_nop 0
	v_mul_f32_e32 v11, v57, v6
	v_and_b32_e32 v6, 0x7f800000, v11
	v_cmp_ne_u32_e64 s[4:5], s15, v6
                                        ; implicit-def: $vgpr6
	s_and_saveexec_b64 s[22:23], s[4:5]
	s_xor_b64 s[4:5], exec, s[22:23]
; %bb.748:                              ;   in Loop: Header=BB365_562 Depth=1
	v_bfe_u32 v6, v11, 16, 1
	v_add3_u32 v6, v11, v6, s24
                                        ; implicit-def: $vgpr11
; %bb.749:                              ;   in Loop: Header=BB365_562 Depth=1
	s_andn2_saveexec_b64 s[22:23], s[4:5]
; %bb.750:                              ;   in Loop: Header=BB365_562 Depth=1
	v_or_b32_e32 v6, 0x10000, v11
	v_cmp_eq_u32_sdwa s[4:5], v11, v49 src0_sel:WORD_0 src1_sel:DWORD
	s_nop 1
	v_cndmask_b32_e64 v6, v6, v11, s[4:5]
; %bb.751:                              ;   in Loop: Header=BB365_562 Depth=1
	s_or_b64 exec, exec, s[22:23]
	v_bfe_u32 v11, v7, 16, 8
	v_cvt_f32_fp8_sdwa v11, v11 src0_sel:BYTE_0
	s_nop 0
	v_mul_f32_e32 v12, v57, v11
	v_and_b32_e32 v11, 0x7f800000, v12
	v_cmp_ne_u32_e64 s[4:5], s15, v11
                                        ; implicit-def: $vgpr11
	s_and_saveexec_b64 s[22:23], s[4:5]
	s_xor_b64 s[4:5], exec, s[22:23]
; %bb.752:                              ;   in Loop: Header=BB365_562 Depth=1
	v_bfe_u32 v11, v12, 16, 1
	v_add3_u32 v11, v12, v11, s24
                                        ; implicit-def: $vgpr12
; %bb.753:                              ;   in Loop: Header=BB365_562 Depth=1
	s_andn2_saveexec_b64 s[22:23], s[4:5]
; %bb.754:                              ;   in Loop: Header=BB365_562 Depth=1
	v_or_b32_e32 v11, 0x10000, v12
	v_cmp_eq_u32_sdwa s[4:5], v12, v49 src0_sel:WORD_0 src1_sel:DWORD
	s_nop 1
	v_cndmask_b32_e64 v11, v11, v12, s[4:5]
; %bb.755:                              ;   in Loop: Header=BB365_562 Depth=1
	s_or_b64 exec, exec, s[22:23]
	v_lshrrev_b32_e32 v7, 24, v7
	v_cvt_f32_fp8_sdwa v7, v7 src0_sel:BYTE_0
                                        ; implicit-def: $vgpr13
	s_nop 0
	v_mul_f32_e32 v7, v57, v7
	v_and_b32_e32 v12, 0x7f800000, v7
	v_cmp_ne_u32_e64 s[4:5], s15, v12
	s_and_saveexec_b64 s[22:23], s[4:5]
	s_xor_b64 s[4:5], exec, s[22:23]
; %bb.756:                              ;   in Loop: Header=BB365_562 Depth=1
	v_bfe_u32 v12, v7, 16, 1
	v_add3_u32 v13, v7, v12, s24
                                        ; implicit-def: $vgpr7
; %bb.757:                              ;   in Loop: Header=BB365_562 Depth=1
	s_andn2_saveexec_b64 s[22:23], s[4:5]
; %bb.758:                              ;   in Loop: Header=BB365_562 Depth=1
	v_or_b32_e32 v12, 0x10000, v7
	v_cmp_eq_u32_sdwa s[4:5], v7, v49 src0_sel:WORD_0 src1_sel:DWORD
	s_nop 1
	v_cndmask_b32_e64 v13, v12, v7, s[4:5]
; %bb.759:                              ;   in Loop: Header=BB365_562 Depth=1
	s_or_b64 exec, exec, s[22:23]
	v_lshrrev_b32_e32 v6, 16, v6
	v_lshrrev_b32_e32 v7, 16, v10
	v_lshrrev_b32_e32 v9, 16, v9
	v_lshrrev_b32_e32 v8, 16, v8
	v_lshrrev_b32_e32 v10, 16, v5
	v_lshrrev_b32_e32 v12, 16, v4
	v_lshrrev_b32_e32 v5, 16, v11
	v_lshrrev_b32_e32 v4, 16, v13
	s_and_saveexec_b64 s[22:23], vcc
	s_cbranch_execz .LBB365_761
; %bb.760:                              ;   in Loop: Header=BB365_562 Depth=1
	scratch_load_dword v11, off, s32 offset:196 ; 4-byte Folded Reload
	v_accvgpr_read_b32 v13, a34
	s_waitcnt vmcnt(0)
	v_cmp_lt_i32_e64 s[4:5], v50, v11
	s_nop 1
	v_cndmask_b32_e64 v12, 0, v12, s[4:5]
	v_cmp_lt_i32_e64 s[4:5], v13, v11
	v_accvgpr_read_b32 v13, a2
	s_nop 0
	v_cndmask_b32_e64 v10, 0, v10, s[4:5]
	v_cmp_lt_i32_e64 s[4:5], v13, v11
	v_accvgpr_read_b32 v13, a1
	;; [unrolled: 4-line block ×6, first 2 shown]
	s_nop 0
	v_cndmask_b32_e64 v5, 0, v5, s[4:5]
	v_cmp_lt_i32_e64 s[4:5], v13, v11
	s_nop 1
	v_cndmask_b32_e64 v4, 0, v4, s[4:5]
.LBB365_761:                            ;   in Loop: Header=BB365_562 Depth=1
	s_or_b64 exec, exec, s[22:23]
	v_lshlrev_b32_e32 v11, 16, v12
	v_mul_f32_e32 v11, v30, v11
	v_and_b32_e32 v12, 0x7f800000, v11
	v_cmp_ne_u32_e64 s[4:5], s15, v12
                                        ; implicit-def: $vgpr12
                                        ; kill: killed $vgpr12
	s_and_saveexec_b64 s[22:23], s[4:5]
	s_xor_b64 s[4:5], exec, s[22:23]
	s_cbranch_execz .LBB365_763
; %bb.762:                              ;   in Loop: Header=BB365_562 Depth=1
	v_bfe_u32 v12, v11, 16, 1
	v_add3_u32 v11, v11, v12, s24
	scratch_store_dword off, v11, s32 offset:432 ; 4-byte Folded Spill
                                        ; implicit-def: $vgpr11
.LBB365_763:                            ;   in Loop: Header=BB365_562 Depth=1
	s_andn2_saveexec_b64 s[22:23], s[4:5]
	s_cbranch_execz .LBB365_765
; %bb.764:                              ;   in Loop: Header=BB365_562 Depth=1
	v_or_b32_e32 v12, 0x10000, v11
	v_cmp_eq_u32_sdwa s[4:5], v11, v49 src0_sel:WORD_0 src1_sel:DWORD
	s_nop 1
	v_cndmask_b32_e64 v11, v12, v11, s[4:5]
	scratch_store_dword off, v11, s32 offset:432 ; 4-byte Folded Spill
.LBB365_765:                            ;   in Loop: Header=BB365_562 Depth=1
	s_or_b64 exec, exec, s[22:23]
	v_lshlrev_b32_e32 v10, 16, v10
	v_mul_f32_e32 v10, v31, v10
	v_and_b32_e32 v11, 0x7f800000, v10
	v_cmp_ne_u32_e64 s[4:5], s15, v11
                                        ; implicit-def: $vgpr11
                                        ; kill: killed $vgpr11
	s_and_saveexec_b64 s[22:23], s[4:5]
	s_xor_b64 s[4:5], exec, s[22:23]
	s_cbranch_execz .LBB365_767
; %bb.766:                              ;   in Loop: Header=BB365_562 Depth=1
	v_bfe_u32 v11, v10, 16, 1
	v_add3_u32 v10, v10, v11, s24
	scratch_store_dword off, v10, s32 offset:436 ; 4-byte Folded Spill
                                        ; implicit-def: $vgpr10
.LBB365_767:                            ;   in Loop: Header=BB365_562 Depth=1
	s_andn2_saveexec_b64 s[22:23], s[4:5]
	s_cbranch_execz .LBB365_769
; %bb.768:                              ;   in Loop: Header=BB365_562 Depth=1
	v_or_b32_e32 v11, 0x10000, v10
	v_cmp_eq_u32_sdwa s[4:5], v10, v49 src0_sel:WORD_0 src1_sel:DWORD
	s_nop 1
	v_cndmask_b32_e64 v10, v11, v10, s[4:5]
	scratch_store_dword off, v10, s32 offset:436 ; 4-byte Folded Spill
.LBB365_769:                            ;   in Loop: Header=BB365_562 Depth=1
	s_or_b64 exec, exec, s[22:23]
	v_lshlrev_b32_e32 v8, 16, v8
	v_mul_f32_e32 v8, v42, v8
	v_and_b32_e32 v10, 0x7f800000, v8
	v_cmp_ne_u32_e64 s[4:5], s15, v10
                                        ; implicit-def: $vgpr10
                                        ; kill: killed $vgpr10
	s_and_saveexec_b64 s[22:23], s[4:5]
	s_xor_b64 s[4:5], exec, s[22:23]
	s_cbranch_execz .LBB365_771
; %bb.770:                              ;   in Loop: Header=BB365_562 Depth=1
	v_bfe_u32 v10, v8, 16, 1
	v_add3_u32 v8, v8, v10, s24
	scratch_store_dword off, v8, s32 offset:440 ; 4-byte Folded Spill
                                        ; implicit-def: $vgpr8
.LBB365_771:                            ;   in Loop: Header=BB365_562 Depth=1
	s_andn2_saveexec_b64 s[22:23], s[4:5]
	s_cbranch_execz .LBB365_773
; %bb.772:                              ;   in Loop: Header=BB365_562 Depth=1
	v_or_b32_e32 v10, 0x10000, v8
	v_cmp_eq_u32_sdwa s[4:5], v8, v49 src0_sel:WORD_0 src1_sel:DWORD
	s_nop 1
	v_cndmask_b32_e64 v8, v10, v8, s[4:5]
	scratch_store_dword off, v8, s32 offset:440 ; 4-byte Folded Spill
.LBB365_773:                            ;   in Loop: Header=BB365_562 Depth=1
	s_or_b64 exec, exec, s[22:23]
	v_lshlrev_b32_e32 v8, 16, v9
	v_mul_f32_e32 v8, v43, v8
	v_and_b32_e32 v9, 0x7f800000, v8
	v_cmp_ne_u32_e64 s[4:5], s15, v9
                                        ; implicit-def: $vgpr9
                                        ; kill: killed $vgpr9
	s_and_saveexec_b64 s[22:23], s[4:5]
	s_xor_b64 s[4:5], exec, s[22:23]
	s_cbranch_execz .LBB365_775
; %bb.774:                              ;   in Loop: Header=BB365_562 Depth=1
	v_bfe_u32 v9, v8, 16, 1
	v_add3_u32 v8, v8, v9, s24
	scratch_store_dword off, v8, s32 offset:444 ; 4-byte Folded Spill
                                        ; implicit-def: $vgpr8
.LBB365_775:                            ;   in Loop: Header=BB365_562 Depth=1
	s_andn2_saveexec_b64 s[22:23], s[4:5]
	s_cbranch_execz .LBB365_777
; %bb.776:                              ;   in Loop: Header=BB365_562 Depth=1
	v_or_b32_e32 v9, 0x10000, v8
	v_cmp_eq_u32_sdwa s[4:5], v8, v49 src0_sel:WORD_0 src1_sel:DWORD
	s_nop 1
	v_cndmask_b32_e64 v8, v9, v8, s[4:5]
	scratch_store_dword off, v8, s32 offset:444 ; 4-byte Folded Spill
.LBB365_777:                            ;   in Loop: Header=BB365_562 Depth=1
	s_or_b64 exec, exec, s[22:23]
	v_lshlrev_b32_e32 v7, 16, v7
	v_mul_f32_e32 v7, v44, v7
	v_and_b32_e32 v8, 0x7f800000, v7
	v_cmp_ne_u32_e64 s[4:5], s15, v8
                                        ; implicit-def: $vgpr8
                                        ; kill: killed $vgpr8
	s_and_saveexec_b64 s[22:23], s[4:5]
	s_xor_b64 s[4:5], exec, s[22:23]
	s_cbranch_execz .LBB365_779
; %bb.778:                              ;   in Loop: Header=BB365_562 Depth=1
	v_bfe_u32 v8, v7, 16, 1
	v_add3_u32 v7, v7, v8, s24
	scratch_store_dword off, v7, s32 offset:448 ; 4-byte Folded Spill
                                        ; implicit-def: $vgpr7
.LBB365_779:                            ;   in Loop: Header=BB365_562 Depth=1
	s_andn2_saveexec_b64 s[22:23], s[4:5]
	s_cbranch_execz .LBB365_781
; %bb.780:                              ;   in Loop: Header=BB365_562 Depth=1
	v_or_b32_e32 v8, 0x10000, v7
	v_cmp_eq_u32_sdwa s[4:5], v7, v49 src0_sel:WORD_0 src1_sel:DWORD
	s_nop 1
	v_cndmask_b32_e64 v7, v8, v7, s[4:5]
	scratch_store_dword off, v7, s32 offset:448 ; 4-byte Folded Spill
.LBB365_781:                            ;   in Loop: Header=BB365_562 Depth=1
	s_or_b64 exec, exec, s[22:23]
	v_lshlrev_b32_e32 v6, 16, v6
	v_mul_f32_e32 v6, v46, v6
	v_and_b32_e32 v7, 0x7f800000, v6
	v_cmp_ne_u32_e64 s[4:5], s15, v7
                                        ; implicit-def: $vgpr7
                                        ; kill: killed $vgpr7
	s_and_saveexec_b64 s[22:23], s[4:5]
	s_xor_b64 s[4:5], exec, s[22:23]
	s_cbranch_execz .LBB365_783
; %bb.782:                              ;   in Loop: Header=BB365_562 Depth=1
	v_bfe_u32 v7, v6, 16, 1
	v_add3_u32 v6, v6, v7, s24
	scratch_store_dword off, v6, s32 offset:452 ; 4-byte Folded Spill
                                        ; implicit-def: $vgpr6
.LBB365_783:                            ;   in Loop: Header=BB365_562 Depth=1
	s_andn2_saveexec_b64 s[22:23], s[4:5]
	s_cbranch_execz .LBB365_785
; %bb.784:                              ;   in Loop: Header=BB365_562 Depth=1
	v_or_b32_e32 v7, 0x10000, v6
	v_cmp_eq_u32_sdwa s[4:5], v6, v49 src0_sel:WORD_0 src1_sel:DWORD
	s_nop 1
	v_cndmask_b32_e64 v6, v7, v6, s[4:5]
	scratch_store_dword off, v6, s32 offset:452 ; 4-byte Folded Spill
.LBB365_785:                            ;   in Loop: Header=BB365_562 Depth=1
	s_or_b64 exec, exec, s[22:23]
	v_lshlrev_b32_e32 v5, 16, v5
	v_mul_f32_e32 v5, v47, v5
	v_and_b32_e32 v6, 0x7f800000, v5
	v_cmp_ne_u32_e64 s[4:5], s15, v6
                                        ; implicit-def: $vgpr6
                                        ; kill: killed $vgpr6
	s_and_saveexec_b64 s[22:23], s[4:5]
	s_xor_b64 s[4:5], exec, s[22:23]
	s_cbranch_execz .LBB365_787
; %bb.786:                              ;   in Loop: Header=BB365_562 Depth=1
	v_bfe_u32 v6, v5, 16, 1
	v_add3_u32 v5, v5, v6, s24
	scratch_store_dword off, v5, s32 offset:456 ; 4-byte Folded Spill
                                        ; implicit-def: $vgpr5
.LBB365_787:                            ;   in Loop: Header=BB365_562 Depth=1
	s_andn2_saveexec_b64 s[22:23], s[4:5]
	s_cbranch_execz .LBB365_789
; %bb.788:                              ;   in Loop: Header=BB365_562 Depth=1
	v_or_b32_e32 v6, 0x10000, v5
	v_cmp_eq_u32_sdwa s[4:5], v5, v49 src0_sel:WORD_0 src1_sel:DWORD
	s_nop 1
	v_cndmask_b32_e64 v5, v6, v5, s[4:5]
	scratch_store_dword off, v5, s32 offset:456 ; 4-byte Folded Spill
.LBB365_789:                            ;   in Loop: Header=BB365_562 Depth=1
	s_or_b64 exec, exec, s[22:23]
	v_lshlrev_b32_e32 v4, 16, v4
	v_mul_f32_e32 v4, v58, v4
	v_and_b32_e32 v5, 0x7f800000, v4
	v_cmp_ne_u32_e64 s[4:5], s15, v5
                                        ; implicit-def: $vgpr5
                                        ; kill: killed $vgpr5
	s_and_saveexec_b64 s[22:23], s[4:5]
	s_xor_b64 s[4:5], exec, s[22:23]
	s_cbranch_execz .LBB365_791
; %bb.790:                              ;   in Loop: Header=BB365_562 Depth=1
	v_bfe_u32 v5, v4, 16, 1
	v_add3_u32 v4, v4, v5, s24
	scratch_store_dword off, v4, s32 offset:460 ; 4-byte Folded Spill
                                        ; implicit-def: $vgpr4
.LBB365_791:                            ;   in Loop: Header=BB365_562 Depth=1
	s_andn2_saveexec_b64 s[22:23], s[4:5]
	s_cbranch_execz .LBB365_793
; %bb.792:                              ;   in Loop: Header=BB365_562 Depth=1
	v_or_b32_e32 v5, 0x10000, v4
	v_cmp_eq_u32_sdwa s[4:5], v4, v49 src0_sel:WORD_0 src1_sel:DWORD
	s_nop 1
	v_cndmask_b32_e64 v4, v5, v4, s[4:5]
	scratch_store_dword off, v4, s32 offset:460 ; 4-byte Folded Spill
.LBB365_793:                            ;   in Loop: Header=BB365_562 Depth=1
	s_or_b64 exec, exec, s[22:23]
	flat_load_dwordx2 v[6:7], v[2:3] offset:1536
	s_waitcnt vmcnt(0) lgkmcnt(0)
	v_and_b32_e32 v4, 0xff, v6
	v_cvt_f32_fp8_sdwa v4, v4 src0_sel:BYTE_0
	s_nop 0
	v_mul_f32_e32 v5, v57, v4
	v_and_b32_e32 v4, 0x7f800000, v5
	v_cmp_ne_u32_e64 s[4:5], s15, v4
                                        ; implicit-def: $vgpr4
	s_and_saveexec_b64 s[22:23], s[4:5]
	s_xor_b64 s[4:5], exec, s[22:23]
; %bb.794:                              ;   in Loop: Header=BB365_562 Depth=1
	v_bfe_u32 v4, v5, 16, 1
	v_add3_u32 v4, v5, v4, s24
                                        ; implicit-def: $vgpr5
; %bb.795:                              ;   in Loop: Header=BB365_562 Depth=1
	s_andn2_saveexec_b64 s[22:23], s[4:5]
; %bb.796:                              ;   in Loop: Header=BB365_562 Depth=1
	v_or_b32_e32 v4, 0x10000, v5
	v_cmp_eq_u32_sdwa s[4:5], v5, v49 src0_sel:WORD_0 src1_sel:DWORD
	s_nop 1
	v_cndmask_b32_e64 v4, v4, v5, s[4:5]
; %bb.797:                              ;   in Loop: Header=BB365_562 Depth=1
	s_or_b64 exec, exec, s[22:23]
	v_bfe_u32 v5, v6, 8, 8
	v_cvt_f32_fp8_sdwa v5, v5 src0_sel:BYTE_0
	s_nop 0
	v_mul_f32_e32 v8, v57, v5
	v_and_b32_e32 v5, 0x7f800000, v8
	v_cmp_ne_u32_e64 s[4:5], s15, v5
                                        ; implicit-def: $vgpr5
	s_and_saveexec_b64 s[22:23], s[4:5]
	s_xor_b64 s[4:5], exec, s[22:23]
; %bb.798:                              ;   in Loop: Header=BB365_562 Depth=1
	v_bfe_u32 v5, v8, 16, 1
	v_add3_u32 v5, v8, v5, s24
                                        ; implicit-def: $vgpr8
; %bb.799:                              ;   in Loop: Header=BB365_562 Depth=1
	s_andn2_saveexec_b64 s[22:23], s[4:5]
; %bb.800:                              ;   in Loop: Header=BB365_562 Depth=1
	v_or_b32_e32 v5, 0x10000, v8
	v_cmp_eq_u32_sdwa s[4:5], v8, v49 src0_sel:WORD_0 src1_sel:DWORD
	s_nop 1
	v_cndmask_b32_e64 v5, v5, v8, s[4:5]
; %bb.801:                              ;   in Loop: Header=BB365_562 Depth=1
	s_or_b64 exec, exec, s[22:23]
	v_bfe_u32 v8, v6, 16, 8
	v_cvt_f32_fp8_sdwa v8, v8 src0_sel:BYTE_0
	s_nop 0
	v_mul_f32_e32 v9, v57, v8
	v_and_b32_e32 v8, 0x7f800000, v9
	v_cmp_ne_u32_e64 s[4:5], s15, v8
                                        ; implicit-def: $vgpr8
	s_and_saveexec_b64 s[22:23], s[4:5]
	s_xor_b64 s[4:5], exec, s[22:23]
; %bb.802:                              ;   in Loop: Header=BB365_562 Depth=1
	v_bfe_u32 v8, v9, 16, 1
	v_add3_u32 v8, v9, v8, s24
                                        ; implicit-def: $vgpr9
; %bb.803:                              ;   in Loop: Header=BB365_562 Depth=1
	s_andn2_saveexec_b64 s[22:23], s[4:5]
; %bb.804:                              ;   in Loop: Header=BB365_562 Depth=1
	v_or_b32_e32 v8, 0x10000, v9
	v_cmp_eq_u32_sdwa s[4:5], v9, v49 src0_sel:WORD_0 src1_sel:DWORD
	s_nop 1
	v_cndmask_b32_e64 v8, v8, v9, s[4:5]
; %bb.805:                              ;   in Loop: Header=BB365_562 Depth=1
	s_or_b64 exec, exec, s[22:23]
	v_lshrrev_b32_e32 v6, 24, v6
	v_cvt_f32_fp8_sdwa v6, v6 src0_sel:BYTE_0
	s_nop 0
	v_mul_f32_e32 v6, v57, v6
	v_and_b32_e32 v9, 0x7f800000, v6
	v_cmp_ne_u32_e64 s[4:5], s15, v9
                                        ; implicit-def: $vgpr9
	s_and_saveexec_b64 s[22:23], s[4:5]
	s_xor_b64 s[4:5], exec, s[22:23]
; %bb.806:                              ;   in Loop: Header=BB365_562 Depth=1
	v_bfe_u32 v9, v6, 16, 1
	v_add3_u32 v9, v6, v9, s24
                                        ; implicit-def: $vgpr6
; %bb.807:                              ;   in Loop: Header=BB365_562 Depth=1
	s_andn2_saveexec_b64 s[22:23], s[4:5]
; %bb.808:                              ;   in Loop: Header=BB365_562 Depth=1
	v_or_b32_e32 v9, 0x10000, v6
	v_cmp_eq_u32_sdwa s[4:5], v6, v49 src0_sel:WORD_0 src1_sel:DWORD
	s_nop 1
	v_cndmask_b32_e64 v9, v9, v6, s[4:5]
; %bb.809:                              ;   in Loop: Header=BB365_562 Depth=1
	s_or_b64 exec, exec, s[22:23]
	v_and_b32_e32 v6, 0xff, v7
	v_cvt_f32_fp8_sdwa v6, v6 src0_sel:BYTE_0
	s_nop 0
	v_mul_f32_e32 v6, v57, v6
	v_and_b32_e32 v10, 0x7f800000, v6
	v_cmp_ne_u32_e64 s[4:5], s15, v10
                                        ; implicit-def: $vgpr10
	s_and_saveexec_b64 s[22:23], s[4:5]
	s_xor_b64 s[4:5], exec, s[22:23]
; %bb.810:                              ;   in Loop: Header=BB365_562 Depth=1
	v_bfe_u32 v10, v6, 16, 1
	v_add3_u32 v10, v6, v10, s24
                                        ; implicit-def: $vgpr6
; %bb.811:                              ;   in Loop: Header=BB365_562 Depth=1
	s_andn2_saveexec_b64 s[22:23], s[4:5]
; %bb.812:                              ;   in Loop: Header=BB365_562 Depth=1
	v_or_b32_e32 v10, 0x10000, v6
	v_cmp_eq_u32_sdwa s[4:5], v6, v49 src0_sel:WORD_0 src1_sel:DWORD
	s_nop 1
	v_cndmask_b32_e64 v10, v10, v6, s[4:5]
; %bb.813:                              ;   in Loop: Header=BB365_562 Depth=1
	s_or_b64 exec, exec, s[22:23]
	v_bfe_u32 v6, v7, 8, 8
	v_cvt_f32_fp8_sdwa v6, v6 src0_sel:BYTE_0
	s_nop 0
	v_mul_f32_e32 v11, v57, v6
	v_and_b32_e32 v6, 0x7f800000, v11
	v_cmp_ne_u32_e64 s[4:5], s15, v6
                                        ; implicit-def: $vgpr6
	s_and_saveexec_b64 s[22:23], s[4:5]
	s_xor_b64 s[4:5], exec, s[22:23]
; %bb.814:                              ;   in Loop: Header=BB365_562 Depth=1
	v_bfe_u32 v6, v11, 16, 1
	v_add3_u32 v6, v11, v6, s24
                                        ; implicit-def: $vgpr11
; %bb.815:                              ;   in Loop: Header=BB365_562 Depth=1
	s_andn2_saveexec_b64 s[22:23], s[4:5]
; %bb.816:                              ;   in Loop: Header=BB365_562 Depth=1
	v_or_b32_e32 v6, 0x10000, v11
	v_cmp_eq_u32_sdwa s[4:5], v11, v49 src0_sel:WORD_0 src1_sel:DWORD
	s_nop 1
	v_cndmask_b32_e64 v6, v6, v11, s[4:5]
; %bb.817:                              ;   in Loop: Header=BB365_562 Depth=1
	s_or_b64 exec, exec, s[22:23]
	v_bfe_u32 v11, v7, 16, 8
	v_cvt_f32_fp8_sdwa v11, v11 src0_sel:BYTE_0
	s_nop 0
	v_mul_f32_e32 v12, v57, v11
	v_and_b32_e32 v11, 0x7f800000, v12
	v_cmp_ne_u32_e64 s[4:5], s15, v11
                                        ; implicit-def: $vgpr11
	s_and_saveexec_b64 s[22:23], s[4:5]
	s_xor_b64 s[4:5], exec, s[22:23]
; %bb.818:                              ;   in Loop: Header=BB365_562 Depth=1
	v_bfe_u32 v11, v12, 16, 1
	v_add3_u32 v11, v12, v11, s24
                                        ; implicit-def: $vgpr12
; %bb.819:                              ;   in Loop: Header=BB365_562 Depth=1
	s_andn2_saveexec_b64 s[22:23], s[4:5]
; %bb.820:                              ;   in Loop: Header=BB365_562 Depth=1
	v_or_b32_e32 v11, 0x10000, v12
	v_cmp_eq_u32_sdwa s[4:5], v12, v49 src0_sel:WORD_0 src1_sel:DWORD
	s_nop 1
	v_cndmask_b32_e64 v11, v11, v12, s[4:5]
; %bb.821:                              ;   in Loop: Header=BB365_562 Depth=1
	s_or_b64 exec, exec, s[22:23]
	v_lshrrev_b32_e32 v7, 24, v7
	v_cvt_f32_fp8_sdwa v7, v7 src0_sel:BYTE_0
                                        ; implicit-def: $vgpr13
	s_nop 0
	v_mul_f32_e32 v7, v57, v7
	v_and_b32_e32 v12, 0x7f800000, v7
	v_cmp_ne_u32_e64 s[4:5], s15, v12
	s_and_saveexec_b64 s[22:23], s[4:5]
	s_xor_b64 s[4:5], exec, s[22:23]
; %bb.822:                              ;   in Loop: Header=BB365_562 Depth=1
	v_bfe_u32 v12, v7, 16, 1
	v_add3_u32 v13, v7, v12, s24
                                        ; implicit-def: $vgpr7
; %bb.823:                              ;   in Loop: Header=BB365_562 Depth=1
	s_andn2_saveexec_b64 s[22:23], s[4:5]
; %bb.824:                              ;   in Loop: Header=BB365_562 Depth=1
	v_or_b32_e32 v12, 0x10000, v7
	v_cmp_eq_u32_sdwa s[4:5], v7, v49 src0_sel:WORD_0 src1_sel:DWORD
	s_nop 1
	v_cndmask_b32_e64 v13, v12, v7, s[4:5]
; %bb.825:                              ;   in Loop: Header=BB365_562 Depth=1
	s_or_b64 exec, exec, s[22:23]
	v_lshrrev_b32_e32 v6, 16, v6
	v_lshrrev_b32_e32 v7, 16, v10
	;; [unrolled: 1-line block ×8, first 2 shown]
	s_and_saveexec_b64 s[22:23], vcc
	s_cbranch_execz .LBB365_827
; %bb.826:                              ;   in Loop: Header=BB365_562 Depth=1
	scratch_load_dword v11, off, s32 offset:196 ; 4-byte Folded Reload
	v_accvgpr_read_b32 v13, a34
	s_waitcnt vmcnt(0)
	v_cmp_lt_i32_e64 s[4:5], v50, v11
	s_nop 1
	v_cndmask_b32_e64 v12, 0, v12, s[4:5]
	v_cmp_lt_i32_e64 s[4:5], v13, v11
	v_accvgpr_read_b32 v13, a2
	s_nop 0
	v_cndmask_b32_e64 v10, 0, v10, s[4:5]
	v_cmp_lt_i32_e64 s[4:5], v13, v11
	v_accvgpr_read_b32 v13, a1
	;; [unrolled: 4-line block ×6, first 2 shown]
	s_nop 0
	v_cndmask_b32_e64 v5, 0, v5, s[4:5]
	v_cmp_lt_i32_e64 s[4:5], v13, v11
	s_nop 1
	v_cndmask_b32_e64 v4, 0, v4, s[4:5]
.LBB365_827:                            ;   in Loop: Header=BB365_562 Depth=1
	s_or_b64 exec, exec, s[22:23]
	v_lshlrev_b32_e32 v11, 16, v12
	v_mul_f32_e32 v11, v30, v11
	v_and_b32_e32 v12, 0x7f800000, v11
	v_cmp_ne_u32_e64 s[4:5], s15, v12
                                        ; implicit-def: $vgpr12
                                        ; kill: killed $vgpr12
	s_and_saveexec_b64 s[22:23], s[4:5]
	s_xor_b64 s[4:5], exec, s[22:23]
	s_cbranch_execz .LBB365_829
; %bb.828:                              ;   in Loop: Header=BB365_562 Depth=1
	v_bfe_u32 v12, v11, 16, 1
	v_add3_u32 v11, v11, v12, s24
	scratch_store_dword off, v11, s32 offset:464 ; 4-byte Folded Spill
                                        ; implicit-def: $vgpr11
.LBB365_829:                            ;   in Loop: Header=BB365_562 Depth=1
	s_andn2_saveexec_b64 s[22:23], s[4:5]
	s_cbranch_execz .LBB365_831
; %bb.830:                              ;   in Loop: Header=BB365_562 Depth=1
	v_or_b32_e32 v12, 0x10000, v11
	v_cmp_eq_u32_sdwa s[4:5], v11, v49 src0_sel:WORD_0 src1_sel:DWORD
	s_nop 1
	v_cndmask_b32_e64 v11, v12, v11, s[4:5]
	scratch_store_dword off, v11, s32 offset:464 ; 4-byte Folded Spill
.LBB365_831:                            ;   in Loop: Header=BB365_562 Depth=1
	s_or_b64 exec, exec, s[22:23]
	v_lshlrev_b32_e32 v10, 16, v10
	v_mul_f32_e32 v10, v31, v10
	v_and_b32_e32 v11, 0x7f800000, v10
	v_cmp_ne_u32_e64 s[4:5], s15, v11
                                        ; implicit-def: $vgpr11
                                        ; kill: killed $vgpr11
	s_and_saveexec_b64 s[22:23], s[4:5]
	s_xor_b64 s[4:5], exec, s[22:23]
	s_cbranch_execz .LBB365_833
; %bb.832:                              ;   in Loop: Header=BB365_562 Depth=1
	v_bfe_u32 v11, v10, 16, 1
	v_add3_u32 v10, v10, v11, s24
	scratch_store_dword off, v10, s32 offset:468 ; 4-byte Folded Spill
                                        ; implicit-def: $vgpr10
.LBB365_833:                            ;   in Loop: Header=BB365_562 Depth=1
	s_andn2_saveexec_b64 s[22:23], s[4:5]
	s_cbranch_execz .LBB365_835
; %bb.834:                              ;   in Loop: Header=BB365_562 Depth=1
	v_or_b32_e32 v11, 0x10000, v10
	v_cmp_eq_u32_sdwa s[4:5], v10, v49 src0_sel:WORD_0 src1_sel:DWORD
	s_nop 1
	v_cndmask_b32_e64 v10, v11, v10, s[4:5]
	scratch_store_dword off, v10, s32 offset:468 ; 4-byte Folded Spill
.LBB365_835:                            ;   in Loop: Header=BB365_562 Depth=1
	s_or_b64 exec, exec, s[22:23]
	v_lshlrev_b32_e32 v8, 16, v8
	v_mul_f32_e32 v8, v42, v8
	v_and_b32_e32 v10, 0x7f800000, v8
	v_cmp_ne_u32_e64 s[4:5], s15, v10
                                        ; implicit-def: $vgpr10
                                        ; kill: killed $vgpr10
	s_and_saveexec_b64 s[22:23], s[4:5]
	s_xor_b64 s[4:5], exec, s[22:23]
	s_cbranch_execz .LBB365_837
; %bb.836:                              ;   in Loop: Header=BB365_562 Depth=1
	v_bfe_u32 v10, v8, 16, 1
	v_add3_u32 v8, v8, v10, s24
	scratch_store_dword off, v8, s32 offset:472 ; 4-byte Folded Spill
                                        ; implicit-def: $vgpr8
.LBB365_837:                            ;   in Loop: Header=BB365_562 Depth=1
	s_andn2_saveexec_b64 s[22:23], s[4:5]
	s_cbranch_execz .LBB365_839
; %bb.838:                              ;   in Loop: Header=BB365_562 Depth=1
	v_or_b32_e32 v10, 0x10000, v8
	v_cmp_eq_u32_sdwa s[4:5], v8, v49 src0_sel:WORD_0 src1_sel:DWORD
	s_nop 1
	v_cndmask_b32_e64 v8, v10, v8, s[4:5]
	scratch_store_dword off, v8, s32 offset:472 ; 4-byte Folded Spill
.LBB365_839:                            ;   in Loop: Header=BB365_562 Depth=1
	s_or_b64 exec, exec, s[22:23]
	v_lshlrev_b32_e32 v8, 16, v9
	v_mul_f32_e32 v8, v43, v8
	v_and_b32_e32 v9, 0x7f800000, v8
	v_cmp_ne_u32_e64 s[4:5], s15, v9
                                        ; implicit-def: $vgpr9
                                        ; kill: killed $vgpr9
	s_and_saveexec_b64 s[22:23], s[4:5]
	s_xor_b64 s[4:5], exec, s[22:23]
	s_cbranch_execz .LBB365_841
; %bb.840:                              ;   in Loop: Header=BB365_562 Depth=1
	v_bfe_u32 v9, v8, 16, 1
	v_add3_u32 v8, v8, v9, s24
	scratch_store_dword off, v8, s32 offset:476 ; 4-byte Folded Spill
                                        ; implicit-def: $vgpr8
.LBB365_841:                            ;   in Loop: Header=BB365_562 Depth=1
	s_andn2_saveexec_b64 s[22:23], s[4:5]
	s_cbranch_execz .LBB365_843
; %bb.842:                              ;   in Loop: Header=BB365_562 Depth=1
	v_or_b32_e32 v9, 0x10000, v8
	v_cmp_eq_u32_sdwa s[4:5], v8, v49 src0_sel:WORD_0 src1_sel:DWORD
	s_nop 1
	v_cndmask_b32_e64 v8, v9, v8, s[4:5]
	scratch_store_dword off, v8, s32 offset:476 ; 4-byte Folded Spill
.LBB365_843:                            ;   in Loop: Header=BB365_562 Depth=1
	s_or_b64 exec, exec, s[22:23]
	v_lshlrev_b32_e32 v7, 16, v7
	v_mul_f32_e32 v7, v44, v7
	v_and_b32_e32 v8, 0x7f800000, v7
	v_cmp_ne_u32_e64 s[4:5], s15, v8
                                        ; implicit-def: $agpr56
	s_and_saveexec_b64 s[22:23], s[4:5]
	s_xor_b64 s[4:5], exec, s[22:23]
; %bb.844:                              ;   in Loop: Header=BB365_562 Depth=1
	v_bfe_u32 v8, v7, 16, 1
	v_add3_u32 v7, v7, v8, s24
	v_accvgpr_write_b32 a56, v7
                                        ; implicit-def: $vgpr7
; %bb.845:                              ;   in Loop: Header=BB365_562 Depth=1
	s_andn2_saveexec_b64 s[22:23], s[4:5]
; %bb.846:                              ;   in Loop: Header=BB365_562 Depth=1
	v_or_b32_e32 v8, 0x10000, v7
	v_cmp_eq_u32_sdwa s[4:5], v7, v49 src0_sel:WORD_0 src1_sel:DWORD
	s_nop 1
	v_cndmask_b32_e64 v7, v8, v7, s[4:5]
	v_accvgpr_write_b32 a56, v7
; %bb.847:                              ;   in Loop: Header=BB365_562 Depth=1
	s_or_b64 exec, exec, s[22:23]
	v_lshlrev_b32_e32 v6, 16, v6
	v_mul_f32_e32 v6, v46, v6
	v_and_b32_e32 v7, 0x7f800000, v6
	v_cmp_ne_u32_e64 s[4:5], s15, v7
                                        ; implicit-def: $agpr57
	s_and_saveexec_b64 s[22:23], s[4:5]
	s_xor_b64 s[4:5], exec, s[22:23]
; %bb.848:                              ;   in Loop: Header=BB365_562 Depth=1
	v_bfe_u32 v7, v6, 16, 1
	v_add3_u32 v6, v6, v7, s24
	v_accvgpr_write_b32 a57, v6
                                        ; implicit-def: $vgpr6
; %bb.849:                              ;   in Loop: Header=BB365_562 Depth=1
	s_andn2_saveexec_b64 s[22:23], s[4:5]
; %bb.850:                              ;   in Loop: Header=BB365_562 Depth=1
	v_or_b32_e32 v7, 0x10000, v6
	v_cmp_eq_u32_sdwa s[4:5], v6, v49 src0_sel:WORD_0 src1_sel:DWORD
	s_nop 1
	v_cndmask_b32_e64 v6, v7, v6, s[4:5]
	v_accvgpr_write_b32 a57, v6
; %bb.851:                              ;   in Loop: Header=BB365_562 Depth=1
	s_or_b64 exec, exec, s[22:23]
	v_lshlrev_b32_e32 v5, 16, v5
	v_mul_f32_e32 v5, v47, v5
	v_and_b32_e32 v6, 0x7f800000, v5
	v_cmp_ne_u32_e64 s[4:5], s15, v6
                                        ; implicit-def: $agpr8
	s_and_saveexec_b64 s[22:23], s[4:5]
	s_xor_b64 s[4:5], exec, s[22:23]
; %bb.852:                              ;   in Loop: Header=BB365_562 Depth=1
	v_bfe_u32 v6, v5, 16, 1
	v_add3_u32 v5, v5, v6, s24
	v_accvgpr_write_b32 a8, v5
                                        ; implicit-def: $vgpr5
; %bb.853:                              ;   in Loop: Header=BB365_562 Depth=1
	s_andn2_saveexec_b64 s[22:23], s[4:5]
; %bb.854:                              ;   in Loop: Header=BB365_562 Depth=1
	v_or_b32_e32 v6, 0x10000, v5
	v_cmp_eq_u32_sdwa s[4:5], v5, v49 src0_sel:WORD_0 src1_sel:DWORD
	s_nop 1
	v_cndmask_b32_e64 v5, v6, v5, s[4:5]
	v_accvgpr_write_b32 a8, v5
; %bb.855:                              ;   in Loop: Header=BB365_562 Depth=1
	s_or_b64 exec, exec, s[22:23]
	v_lshlrev_b32_e32 v4, 16, v4
	v_mul_f32_e32 v4, v58, v4
	v_and_b32_e32 v5, 0x7f800000, v4
	v_cmp_ne_u32_e64 s[4:5], s15, v5
                                        ; implicit-def: $agpr14
	s_and_saveexec_b64 s[22:23], s[4:5]
	s_xor_b64 s[4:5], exec, s[22:23]
; %bb.856:                              ;   in Loop: Header=BB365_562 Depth=1
	v_bfe_u32 v5, v4, 16, 1
	v_add3_u32 v4, v4, v5, s24
	v_accvgpr_write_b32 a14, v4
                                        ; implicit-def: $vgpr4
; %bb.857:                              ;   in Loop: Header=BB365_562 Depth=1
	s_andn2_saveexec_b64 s[22:23], s[4:5]
; %bb.858:                              ;   in Loop: Header=BB365_562 Depth=1
	v_or_b32_e32 v5, 0x10000, v4
	v_cmp_eq_u32_sdwa s[4:5], v4, v49 src0_sel:WORD_0 src1_sel:DWORD
	s_nop 1
	v_cndmask_b32_e64 v4, v5, v4, s[4:5]
	v_accvgpr_write_b32 a14, v4
; %bb.859:                              ;   in Loop: Header=BB365_562 Depth=1
	s_or_b64 exec, exec, s[22:23]
	flat_load_dwordx2 v[6:7], v[2:3] offset:2048
	s_waitcnt vmcnt(0) lgkmcnt(0)
	v_and_b32_e32 v4, 0xff, v6
	v_cvt_f32_fp8_sdwa v4, v4 src0_sel:BYTE_0
	s_nop 0
	v_mul_f32_e32 v5, v57, v4
	v_and_b32_e32 v4, 0x7f800000, v5
	v_cmp_ne_u32_e64 s[4:5], s15, v4
                                        ; implicit-def: $vgpr4
	s_and_saveexec_b64 s[22:23], s[4:5]
	s_xor_b64 s[4:5], exec, s[22:23]
; %bb.860:                              ;   in Loop: Header=BB365_562 Depth=1
	v_bfe_u32 v4, v5, 16, 1
	v_add3_u32 v4, v5, v4, s24
                                        ; implicit-def: $vgpr5
; %bb.861:                              ;   in Loop: Header=BB365_562 Depth=1
	s_andn2_saveexec_b64 s[22:23], s[4:5]
; %bb.862:                              ;   in Loop: Header=BB365_562 Depth=1
	v_or_b32_e32 v4, 0x10000, v5
	v_cmp_eq_u32_sdwa s[4:5], v5, v49 src0_sel:WORD_0 src1_sel:DWORD
	s_nop 1
	v_cndmask_b32_e64 v4, v4, v5, s[4:5]
; %bb.863:                              ;   in Loop: Header=BB365_562 Depth=1
	s_or_b64 exec, exec, s[22:23]
	v_bfe_u32 v5, v6, 8, 8
	v_cvt_f32_fp8_sdwa v5, v5 src0_sel:BYTE_0
	s_nop 0
	v_mul_f32_e32 v8, v57, v5
	v_and_b32_e32 v5, 0x7f800000, v8
	v_cmp_ne_u32_e64 s[4:5], s15, v5
                                        ; implicit-def: $vgpr5
	s_and_saveexec_b64 s[22:23], s[4:5]
	s_xor_b64 s[4:5], exec, s[22:23]
; %bb.864:                              ;   in Loop: Header=BB365_562 Depth=1
	v_bfe_u32 v5, v8, 16, 1
	v_add3_u32 v5, v8, v5, s24
                                        ; implicit-def: $vgpr8
; %bb.865:                              ;   in Loop: Header=BB365_562 Depth=1
	s_andn2_saveexec_b64 s[22:23], s[4:5]
; %bb.866:                              ;   in Loop: Header=BB365_562 Depth=1
	v_or_b32_e32 v5, 0x10000, v8
	v_cmp_eq_u32_sdwa s[4:5], v8, v49 src0_sel:WORD_0 src1_sel:DWORD
	s_nop 1
	v_cndmask_b32_e64 v5, v5, v8, s[4:5]
; %bb.867:                              ;   in Loop: Header=BB365_562 Depth=1
	s_or_b64 exec, exec, s[22:23]
	v_bfe_u32 v8, v6, 16, 8
	v_cvt_f32_fp8_sdwa v8, v8 src0_sel:BYTE_0
	s_nop 0
	v_mul_f32_e32 v9, v57, v8
	v_and_b32_e32 v8, 0x7f800000, v9
	v_cmp_ne_u32_e64 s[4:5], s15, v8
                                        ; implicit-def: $vgpr8
	s_and_saveexec_b64 s[22:23], s[4:5]
	s_xor_b64 s[4:5], exec, s[22:23]
; %bb.868:                              ;   in Loop: Header=BB365_562 Depth=1
	v_bfe_u32 v8, v9, 16, 1
	v_add3_u32 v8, v9, v8, s24
                                        ; implicit-def: $vgpr9
; %bb.869:                              ;   in Loop: Header=BB365_562 Depth=1
	s_andn2_saveexec_b64 s[22:23], s[4:5]
; %bb.870:                              ;   in Loop: Header=BB365_562 Depth=1
	v_or_b32_e32 v8, 0x10000, v9
	v_cmp_eq_u32_sdwa s[4:5], v9, v49 src0_sel:WORD_0 src1_sel:DWORD
	s_nop 1
	v_cndmask_b32_e64 v8, v8, v9, s[4:5]
; %bb.871:                              ;   in Loop: Header=BB365_562 Depth=1
	s_or_b64 exec, exec, s[22:23]
	v_lshrrev_b32_e32 v6, 24, v6
	v_cvt_f32_fp8_sdwa v6, v6 src0_sel:BYTE_0
	s_nop 0
	v_mul_f32_e32 v6, v57, v6
	v_and_b32_e32 v9, 0x7f800000, v6
	v_cmp_ne_u32_e64 s[4:5], s15, v9
                                        ; implicit-def: $vgpr9
	s_and_saveexec_b64 s[22:23], s[4:5]
	s_xor_b64 s[4:5], exec, s[22:23]
; %bb.872:                              ;   in Loop: Header=BB365_562 Depth=1
	v_bfe_u32 v9, v6, 16, 1
	v_add3_u32 v9, v6, v9, s24
                                        ; implicit-def: $vgpr6
; %bb.873:                              ;   in Loop: Header=BB365_562 Depth=1
	s_andn2_saveexec_b64 s[22:23], s[4:5]
; %bb.874:                              ;   in Loop: Header=BB365_562 Depth=1
	v_or_b32_e32 v9, 0x10000, v6
	v_cmp_eq_u32_sdwa s[4:5], v6, v49 src0_sel:WORD_0 src1_sel:DWORD
	s_nop 1
	v_cndmask_b32_e64 v9, v9, v6, s[4:5]
; %bb.875:                              ;   in Loop: Header=BB365_562 Depth=1
	s_or_b64 exec, exec, s[22:23]
	v_and_b32_e32 v6, 0xff, v7
	v_cvt_f32_fp8_sdwa v6, v6 src0_sel:BYTE_0
	s_nop 0
	v_mul_f32_e32 v6, v57, v6
	v_and_b32_e32 v10, 0x7f800000, v6
	v_cmp_ne_u32_e64 s[4:5], s15, v10
                                        ; implicit-def: $vgpr10
	s_and_saveexec_b64 s[22:23], s[4:5]
	s_xor_b64 s[4:5], exec, s[22:23]
; %bb.876:                              ;   in Loop: Header=BB365_562 Depth=1
	v_bfe_u32 v10, v6, 16, 1
	v_add3_u32 v10, v6, v10, s24
                                        ; implicit-def: $vgpr6
; %bb.877:                              ;   in Loop: Header=BB365_562 Depth=1
	s_andn2_saveexec_b64 s[22:23], s[4:5]
; %bb.878:                              ;   in Loop: Header=BB365_562 Depth=1
	v_or_b32_e32 v10, 0x10000, v6
	v_cmp_eq_u32_sdwa s[4:5], v6, v49 src0_sel:WORD_0 src1_sel:DWORD
	s_nop 1
	v_cndmask_b32_e64 v10, v10, v6, s[4:5]
; %bb.879:                              ;   in Loop: Header=BB365_562 Depth=1
	s_or_b64 exec, exec, s[22:23]
	v_bfe_u32 v6, v7, 8, 8
	v_cvt_f32_fp8_sdwa v6, v6 src0_sel:BYTE_0
	s_nop 0
	v_mul_f32_e32 v11, v57, v6
	v_and_b32_e32 v6, 0x7f800000, v11
	v_cmp_ne_u32_e64 s[4:5], s15, v6
                                        ; implicit-def: $vgpr6
	s_and_saveexec_b64 s[22:23], s[4:5]
	s_xor_b64 s[4:5], exec, s[22:23]
; %bb.880:                              ;   in Loop: Header=BB365_562 Depth=1
	v_bfe_u32 v6, v11, 16, 1
	v_add3_u32 v6, v11, v6, s24
                                        ; implicit-def: $vgpr11
; %bb.881:                              ;   in Loop: Header=BB365_562 Depth=1
	s_andn2_saveexec_b64 s[22:23], s[4:5]
; %bb.882:                              ;   in Loop: Header=BB365_562 Depth=1
	v_or_b32_e32 v6, 0x10000, v11
	v_cmp_eq_u32_sdwa s[4:5], v11, v49 src0_sel:WORD_0 src1_sel:DWORD
	s_nop 1
	v_cndmask_b32_e64 v6, v6, v11, s[4:5]
; %bb.883:                              ;   in Loop: Header=BB365_562 Depth=1
	s_or_b64 exec, exec, s[22:23]
	v_bfe_u32 v11, v7, 16, 8
	v_cvt_f32_fp8_sdwa v11, v11 src0_sel:BYTE_0
	s_nop 0
	v_mul_f32_e32 v12, v57, v11
	v_and_b32_e32 v11, 0x7f800000, v12
	v_cmp_ne_u32_e64 s[4:5], s15, v11
                                        ; implicit-def: $vgpr11
	s_and_saveexec_b64 s[22:23], s[4:5]
	s_xor_b64 s[4:5], exec, s[22:23]
; %bb.884:                              ;   in Loop: Header=BB365_562 Depth=1
	v_bfe_u32 v11, v12, 16, 1
	v_add3_u32 v11, v12, v11, s24
                                        ; implicit-def: $vgpr12
; %bb.885:                              ;   in Loop: Header=BB365_562 Depth=1
	s_andn2_saveexec_b64 s[22:23], s[4:5]
; %bb.886:                              ;   in Loop: Header=BB365_562 Depth=1
	v_or_b32_e32 v11, 0x10000, v12
	v_cmp_eq_u32_sdwa s[4:5], v12, v49 src0_sel:WORD_0 src1_sel:DWORD
	s_nop 1
	v_cndmask_b32_e64 v11, v11, v12, s[4:5]
; %bb.887:                              ;   in Loop: Header=BB365_562 Depth=1
	s_or_b64 exec, exec, s[22:23]
	v_lshrrev_b32_e32 v7, 24, v7
	v_cvt_f32_fp8_sdwa v7, v7 src0_sel:BYTE_0
                                        ; implicit-def: $vgpr13
	s_nop 0
	v_mul_f32_e32 v7, v57, v7
	v_and_b32_e32 v12, 0x7f800000, v7
	v_cmp_ne_u32_e64 s[4:5], s15, v12
	s_and_saveexec_b64 s[22:23], s[4:5]
	s_xor_b64 s[4:5], exec, s[22:23]
; %bb.888:                              ;   in Loop: Header=BB365_562 Depth=1
	v_bfe_u32 v12, v7, 16, 1
	v_add3_u32 v13, v7, v12, s24
                                        ; implicit-def: $vgpr7
; %bb.889:                              ;   in Loop: Header=BB365_562 Depth=1
	s_andn2_saveexec_b64 s[22:23], s[4:5]
; %bb.890:                              ;   in Loop: Header=BB365_562 Depth=1
	v_or_b32_e32 v12, 0x10000, v7
	v_cmp_eq_u32_sdwa s[4:5], v7, v49 src0_sel:WORD_0 src1_sel:DWORD
	s_nop 1
	v_cndmask_b32_e64 v13, v12, v7, s[4:5]
; %bb.891:                              ;   in Loop: Header=BB365_562 Depth=1
	s_or_b64 exec, exec, s[22:23]
	v_lshrrev_b32_e32 v6, 16, v6
	v_lshrrev_b32_e32 v7, 16, v10
	;; [unrolled: 1-line block ×8, first 2 shown]
	s_and_saveexec_b64 s[22:23], vcc
	s_cbranch_execz .LBB365_893
; %bb.892:                              ;   in Loop: Header=BB365_562 Depth=1
	scratch_load_dword v11, off, s32 offset:196 ; 4-byte Folded Reload
	v_accvgpr_read_b32 v13, a34
	s_waitcnt vmcnt(0)
	v_cmp_lt_i32_e64 s[4:5], v50, v11
	s_nop 1
	v_cndmask_b32_e64 v12, 0, v12, s[4:5]
	v_cmp_lt_i32_e64 s[4:5], v13, v11
	v_accvgpr_read_b32 v13, a2
	s_nop 0
	v_cndmask_b32_e64 v10, 0, v10, s[4:5]
	v_cmp_lt_i32_e64 s[4:5], v13, v11
	v_accvgpr_read_b32 v13, a1
	;; [unrolled: 4-line block ×6, first 2 shown]
	s_nop 0
	v_cndmask_b32_e64 v5, 0, v5, s[4:5]
	v_cmp_lt_i32_e64 s[4:5], v13, v11
	s_nop 1
	v_cndmask_b32_e64 v4, 0, v4, s[4:5]
.LBB365_893:                            ;   in Loop: Header=BB365_562 Depth=1
	s_or_b64 exec, exec, s[22:23]
	v_lshlrev_b32_e32 v11, 16, v12
	v_mul_f32_e32 v11, v30, v11
	v_and_b32_e32 v12, 0x7f800000, v11
	v_cmp_ne_u32_e64 s[4:5], s15, v12
                                        ; implicit-def: $agpr7
	s_and_saveexec_b64 s[22:23], s[4:5]
	s_xor_b64 s[4:5], exec, s[22:23]
; %bb.894:                              ;   in Loop: Header=BB365_562 Depth=1
	v_bfe_u32 v12, v11, 16, 1
	v_add3_u32 v11, v11, v12, s24
	v_accvgpr_write_b32 a7, v11
                                        ; implicit-def: $vgpr11
; %bb.895:                              ;   in Loop: Header=BB365_562 Depth=1
	s_andn2_saveexec_b64 s[22:23], s[4:5]
; %bb.896:                              ;   in Loop: Header=BB365_562 Depth=1
	v_or_b32_e32 v12, 0x10000, v11
	v_cmp_eq_u32_sdwa s[4:5], v11, v49 src0_sel:WORD_0 src1_sel:DWORD
	s_nop 1
	v_cndmask_b32_e64 v11, v12, v11, s[4:5]
	v_accvgpr_write_b32 a7, v11
; %bb.897:                              ;   in Loop: Header=BB365_562 Depth=1
	s_or_b64 exec, exec, s[22:23]
	v_lshlrev_b32_e32 v10, 16, v10
	v_mul_f32_e32 v10, v31, v10
	v_and_b32_e32 v11, 0x7f800000, v10
	v_cmp_ne_u32_e64 s[4:5], s15, v11
                                        ; implicit-def: $agpr9
	s_and_saveexec_b64 s[22:23], s[4:5]
	s_xor_b64 s[4:5], exec, s[22:23]
; %bb.898:                              ;   in Loop: Header=BB365_562 Depth=1
	v_bfe_u32 v11, v10, 16, 1
	v_add3_u32 v10, v10, v11, s24
	v_accvgpr_write_b32 a9, v10
                                        ; implicit-def: $vgpr10
; %bb.899:                              ;   in Loop: Header=BB365_562 Depth=1
	s_andn2_saveexec_b64 s[22:23], s[4:5]
; %bb.900:                              ;   in Loop: Header=BB365_562 Depth=1
	v_or_b32_e32 v11, 0x10000, v10
	v_cmp_eq_u32_sdwa s[4:5], v10, v49 src0_sel:WORD_0 src1_sel:DWORD
	s_nop 1
	v_cndmask_b32_e64 v10, v11, v10, s[4:5]
	v_accvgpr_write_b32 a9, v10
; %bb.901:                              ;   in Loop: Header=BB365_562 Depth=1
	s_or_b64 exec, exec, s[22:23]
	v_lshlrev_b32_e32 v8, 16, v8
	v_mul_f32_e32 v8, v42, v8
	v_and_b32_e32 v10, 0x7f800000, v8
	v_cmp_ne_u32_e64 s[4:5], s15, v10
                                        ; implicit-def: $agpr11
	s_and_saveexec_b64 s[22:23], s[4:5]
	s_xor_b64 s[4:5], exec, s[22:23]
; %bb.902:                              ;   in Loop: Header=BB365_562 Depth=1
	v_bfe_u32 v10, v8, 16, 1
	v_add3_u32 v8, v8, v10, s24
	v_accvgpr_write_b32 a11, v8
                                        ; implicit-def: $vgpr8
; %bb.903:                              ;   in Loop: Header=BB365_562 Depth=1
	s_andn2_saveexec_b64 s[22:23], s[4:5]
; %bb.904:                              ;   in Loop: Header=BB365_562 Depth=1
	v_or_b32_e32 v10, 0x10000, v8
	v_cmp_eq_u32_sdwa s[4:5], v8, v49 src0_sel:WORD_0 src1_sel:DWORD
	s_nop 1
	v_cndmask_b32_e64 v8, v10, v8, s[4:5]
	v_accvgpr_write_b32 a11, v8
; %bb.905:                              ;   in Loop: Header=BB365_562 Depth=1
	s_or_b64 exec, exec, s[22:23]
	v_lshlrev_b32_e32 v8, 16, v9
	v_mul_f32_e32 v8, v43, v8
	v_and_b32_e32 v9, 0x7f800000, v8
	v_cmp_ne_u32_e64 s[4:5], s15, v9
                                        ; implicit-def: $agpr6
	s_and_saveexec_b64 s[22:23], s[4:5]
	s_xor_b64 s[4:5], exec, s[22:23]
; %bb.906:                              ;   in Loop: Header=BB365_562 Depth=1
	v_bfe_u32 v9, v8, 16, 1
	v_add3_u32 v8, v8, v9, s24
	v_accvgpr_write_b32 a6, v8
                                        ; implicit-def: $vgpr8
; %bb.907:                              ;   in Loop: Header=BB365_562 Depth=1
	s_andn2_saveexec_b64 s[22:23], s[4:5]
; %bb.908:                              ;   in Loop: Header=BB365_562 Depth=1
	v_or_b32_e32 v9, 0x10000, v8
	v_cmp_eq_u32_sdwa s[4:5], v8, v49 src0_sel:WORD_0 src1_sel:DWORD
	s_nop 1
	v_cndmask_b32_e64 v8, v9, v8, s[4:5]
	v_accvgpr_write_b32 a6, v8
; %bb.909:                              ;   in Loop: Header=BB365_562 Depth=1
	s_or_b64 exec, exec, s[22:23]
	v_lshlrev_b32_e32 v7, 16, v7
	v_mul_f32_e32 v7, v44, v7
	v_and_b32_e32 v8, 0x7f800000, v7
	v_cmp_ne_u32_e64 s[4:5], s15, v8
                                        ; implicit-def: $agpr58
	s_and_saveexec_b64 s[22:23], s[4:5]
	s_xor_b64 s[4:5], exec, s[22:23]
; %bb.910:                              ;   in Loop: Header=BB365_562 Depth=1
	v_bfe_u32 v8, v7, 16, 1
	v_add3_u32 v7, v7, v8, s24
	v_accvgpr_write_b32 a58, v7
                                        ; implicit-def: $vgpr7
; %bb.911:                              ;   in Loop: Header=BB365_562 Depth=1
	s_andn2_saveexec_b64 s[22:23], s[4:5]
; %bb.912:                              ;   in Loop: Header=BB365_562 Depth=1
	v_or_b32_e32 v8, 0x10000, v7
	v_cmp_eq_u32_sdwa s[4:5], v7, v49 src0_sel:WORD_0 src1_sel:DWORD
	s_nop 1
	v_cndmask_b32_e64 v7, v8, v7, s[4:5]
	v_accvgpr_write_b32 a58, v7
; %bb.913:                              ;   in Loop: Header=BB365_562 Depth=1
	s_or_b64 exec, exec, s[22:23]
	v_lshlrev_b32_e32 v6, 16, v6
	v_mul_f32_e32 v6, v46, v6
	v_and_b32_e32 v7, 0x7f800000, v6
	v_cmp_ne_u32_e64 s[4:5], s15, v7
                                        ; implicit-def: $agpr10
	s_and_saveexec_b64 s[22:23], s[4:5]
	s_xor_b64 s[4:5], exec, s[22:23]
; %bb.914:                              ;   in Loop: Header=BB365_562 Depth=1
	v_bfe_u32 v7, v6, 16, 1
	v_add3_u32 v6, v6, v7, s24
	v_accvgpr_write_b32 a10, v6
                                        ; implicit-def: $vgpr6
; %bb.915:                              ;   in Loop: Header=BB365_562 Depth=1
	s_andn2_saveexec_b64 s[22:23], s[4:5]
; %bb.916:                              ;   in Loop: Header=BB365_562 Depth=1
	v_or_b32_e32 v7, 0x10000, v6
	v_cmp_eq_u32_sdwa s[4:5], v6, v49 src0_sel:WORD_0 src1_sel:DWORD
	s_nop 1
	v_cndmask_b32_e64 v6, v7, v6, s[4:5]
	v_accvgpr_write_b32 a10, v6
; %bb.917:                              ;   in Loop: Header=BB365_562 Depth=1
	s_or_b64 exec, exec, s[22:23]
	v_lshlrev_b32_e32 v5, 16, v5
	v_mul_f32_e32 v5, v47, v5
	v_and_b32_e32 v6, 0x7f800000, v5
	v_cmp_ne_u32_e64 s[4:5], s15, v6
                                        ; implicit-def: $agpr12
	s_and_saveexec_b64 s[22:23], s[4:5]
	s_xor_b64 s[4:5], exec, s[22:23]
; %bb.918:                              ;   in Loop: Header=BB365_562 Depth=1
	v_bfe_u32 v6, v5, 16, 1
	v_add3_u32 v5, v5, v6, s24
	v_accvgpr_write_b32 a12, v5
                                        ; implicit-def: $vgpr5
; %bb.919:                              ;   in Loop: Header=BB365_562 Depth=1
	s_andn2_saveexec_b64 s[22:23], s[4:5]
; %bb.920:                              ;   in Loop: Header=BB365_562 Depth=1
	v_or_b32_e32 v6, 0x10000, v5
	v_cmp_eq_u32_sdwa s[4:5], v5, v49 src0_sel:WORD_0 src1_sel:DWORD
	s_nop 1
	v_cndmask_b32_e64 v5, v6, v5, s[4:5]
	v_accvgpr_write_b32 a12, v5
; %bb.921:                              ;   in Loop: Header=BB365_562 Depth=1
	s_or_b64 exec, exec, s[22:23]
	v_lshlrev_b32_e32 v4, 16, v4
	v_mul_f32_e32 v4, v58, v4
	v_and_b32_e32 v5, 0x7f800000, v4
	v_cmp_ne_u32_e64 s[4:5], s15, v5
                                        ; implicit-def: $agpr22
	s_and_saveexec_b64 s[22:23], s[4:5]
	s_xor_b64 s[4:5], exec, s[22:23]
; %bb.922:                              ;   in Loop: Header=BB365_562 Depth=1
	v_bfe_u32 v5, v4, 16, 1
	v_add3_u32 v4, v4, v5, s24
	v_accvgpr_write_b32 a22, v4
                                        ; implicit-def: $vgpr4
; %bb.923:                              ;   in Loop: Header=BB365_562 Depth=1
	s_andn2_saveexec_b64 s[22:23], s[4:5]
; %bb.924:                              ;   in Loop: Header=BB365_562 Depth=1
	v_or_b32_e32 v5, 0x10000, v4
	v_cmp_eq_u32_sdwa s[4:5], v4, v49 src0_sel:WORD_0 src1_sel:DWORD
	s_nop 1
	v_cndmask_b32_e64 v4, v5, v4, s[4:5]
	v_accvgpr_write_b32 a22, v4
; %bb.925:                              ;   in Loop: Header=BB365_562 Depth=1
	s_or_b64 exec, exec, s[22:23]
	flat_load_dwordx2 v[6:7], v[2:3] offset:2560
	s_waitcnt vmcnt(0) lgkmcnt(0)
	v_and_b32_e32 v4, 0xff, v6
	v_cvt_f32_fp8_sdwa v4, v4 src0_sel:BYTE_0
	s_nop 0
	v_mul_f32_e32 v5, v57, v4
	v_and_b32_e32 v4, 0x7f800000, v5
	v_cmp_ne_u32_e64 s[4:5], s15, v4
                                        ; implicit-def: $vgpr4
	s_and_saveexec_b64 s[22:23], s[4:5]
	s_xor_b64 s[4:5], exec, s[22:23]
; %bb.926:                              ;   in Loop: Header=BB365_562 Depth=1
	v_bfe_u32 v4, v5, 16, 1
	v_add3_u32 v4, v5, v4, s24
                                        ; implicit-def: $vgpr5
; %bb.927:                              ;   in Loop: Header=BB365_562 Depth=1
	s_andn2_saveexec_b64 s[22:23], s[4:5]
; %bb.928:                              ;   in Loop: Header=BB365_562 Depth=1
	v_or_b32_e32 v4, 0x10000, v5
	v_cmp_eq_u32_sdwa s[4:5], v5, v49 src0_sel:WORD_0 src1_sel:DWORD
	s_nop 1
	v_cndmask_b32_e64 v4, v4, v5, s[4:5]
; %bb.929:                              ;   in Loop: Header=BB365_562 Depth=1
	s_or_b64 exec, exec, s[22:23]
	v_bfe_u32 v5, v6, 8, 8
	v_cvt_f32_fp8_sdwa v5, v5 src0_sel:BYTE_0
	s_nop 0
	v_mul_f32_e32 v8, v57, v5
	v_and_b32_e32 v5, 0x7f800000, v8
	v_cmp_ne_u32_e64 s[4:5], s15, v5
                                        ; implicit-def: $vgpr5
	s_and_saveexec_b64 s[22:23], s[4:5]
	s_xor_b64 s[4:5], exec, s[22:23]
; %bb.930:                              ;   in Loop: Header=BB365_562 Depth=1
	v_bfe_u32 v5, v8, 16, 1
	v_add3_u32 v5, v8, v5, s24
                                        ; implicit-def: $vgpr8
; %bb.931:                              ;   in Loop: Header=BB365_562 Depth=1
	s_andn2_saveexec_b64 s[22:23], s[4:5]
; %bb.932:                              ;   in Loop: Header=BB365_562 Depth=1
	v_or_b32_e32 v5, 0x10000, v8
	v_cmp_eq_u32_sdwa s[4:5], v8, v49 src0_sel:WORD_0 src1_sel:DWORD
	s_nop 1
	v_cndmask_b32_e64 v5, v5, v8, s[4:5]
; %bb.933:                              ;   in Loop: Header=BB365_562 Depth=1
	s_or_b64 exec, exec, s[22:23]
	v_bfe_u32 v8, v6, 16, 8
	v_cvt_f32_fp8_sdwa v8, v8 src0_sel:BYTE_0
	s_nop 0
	v_mul_f32_e32 v9, v57, v8
	v_and_b32_e32 v8, 0x7f800000, v9
	v_cmp_ne_u32_e64 s[4:5], s15, v8
                                        ; implicit-def: $vgpr8
	s_and_saveexec_b64 s[22:23], s[4:5]
	s_xor_b64 s[4:5], exec, s[22:23]
; %bb.934:                              ;   in Loop: Header=BB365_562 Depth=1
	v_bfe_u32 v8, v9, 16, 1
	v_add3_u32 v8, v9, v8, s24
                                        ; implicit-def: $vgpr9
; %bb.935:                              ;   in Loop: Header=BB365_562 Depth=1
	s_andn2_saveexec_b64 s[22:23], s[4:5]
; %bb.936:                              ;   in Loop: Header=BB365_562 Depth=1
	v_or_b32_e32 v8, 0x10000, v9
	v_cmp_eq_u32_sdwa s[4:5], v9, v49 src0_sel:WORD_0 src1_sel:DWORD
	s_nop 1
	v_cndmask_b32_e64 v8, v8, v9, s[4:5]
; %bb.937:                              ;   in Loop: Header=BB365_562 Depth=1
	s_or_b64 exec, exec, s[22:23]
	v_lshrrev_b32_e32 v6, 24, v6
	v_cvt_f32_fp8_sdwa v6, v6 src0_sel:BYTE_0
	s_nop 0
	v_mul_f32_e32 v6, v57, v6
	v_and_b32_e32 v9, 0x7f800000, v6
	v_cmp_ne_u32_e64 s[4:5], s15, v9
                                        ; implicit-def: $vgpr9
	s_and_saveexec_b64 s[22:23], s[4:5]
	s_xor_b64 s[4:5], exec, s[22:23]
; %bb.938:                              ;   in Loop: Header=BB365_562 Depth=1
	v_bfe_u32 v9, v6, 16, 1
	v_add3_u32 v9, v6, v9, s24
                                        ; implicit-def: $vgpr6
; %bb.939:                              ;   in Loop: Header=BB365_562 Depth=1
	s_andn2_saveexec_b64 s[22:23], s[4:5]
; %bb.940:                              ;   in Loop: Header=BB365_562 Depth=1
	v_or_b32_e32 v9, 0x10000, v6
	v_cmp_eq_u32_sdwa s[4:5], v6, v49 src0_sel:WORD_0 src1_sel:DWORD
	s_nop 1
	v_cndmask_b32_e64 v9, v9, v6, s[4:5]
; %bb.941:                              ;   in Loop: Header=BB365_562 Depth=1
	s_or_b64 exec, exec, s[22:23]
	v_and_b32_e32 v6, 0xff, v7
	v_cvt_f32_fp8_sdwa v6, v6 src0_sel:BYTE_0
	s_nop 0
	v_mul_f32_e32 v6, v57, v6
	v_and_b32_e32 v10, 0x7f800000, v6
	v_cmp_ne_u32_e64 s[4:5], s15, v10
                                        ; implicit-def: $vgpr10
	s_and_saveexec_b64 s[22:23], s[4:5]
	s_xor_b64 s[4:5], exec, s[22:23]
; %bb.942:                              ;   in Loop: Header=BB365_562 Depth=1
	v_bfe_u32 v10, v6, 16, 1
	v_add3_u32 v10, v6, v10, s24
                                        ; implicit-def: $vgpr6
; %bb.943:                              ;   in Loop: Header=BB365_562 Depth=1
	s_andn2_saveexec_b64 s[22:23], s[4:5]
; %bb.944:                              ;   in Loop: Header=BB365_562 Depth=1
	v_or_b32_e32 v10, 0x10000, v6
	v_cmp_eq_u32_sdwa s[4:5], v6, v49 src0_sel:WORD_0 src1_sel:DWORD
	s_nop 1
	v_cndmask_b32_e64 v10, v10, v6, s[4:5]
; %bb.945:                              ;   in Loop: Header=BB365_562 Depth=1
	s_or_b64 exec, exec, s[22:23]
	v_bfe_u32 v6, v7, 8, 8
	v_cvt_f32_fp8_sdwa v6, v6 src0_sel:BYTE_0
	s_nop 0
	v_mul_f32_e32 v11, v57, v6
	v_and_b32_e32 v6, 0x7f800000, v11
	v_cmp_ne_u32_e64 s[4:5], s15, v6
                                        ; implicit-def: $vgpr6
	s_and_saveexec_b64 s[22:23], s[4:5]
	s_xor_b64 s[4:5], exec, s[22:23]
; %bb.946:                              ;   in Loop: Header=BB365_562 Depth=1
	v_bfe_u32 v6, v11, 16, 1
	v_add3_u32 v6, v11, v6, s24
                                        ; implicit-def: $vgpr11
; %bb.947:                              ;   in Loop: Header=BB365_562 Depth=1
	s_andn2_saveexec_b64 s[22:23], s[4:5]
; %bb.948:                              ;   in Loop: Header=BB365_562 Depth=1
	v_or_b32_e32 v6, 0x10000, v11
	v_cmp_eq_u32_sdwa s[4:5], v11, v49 src0_sel:WORD_0 src1_sel:DWORD
	s_nop 1
	v_cndmask_b32_e64 v6, v6, v11, s[4:5]
; %bb.949:                              ;   in Loop: Header=BB365_562 Depth=1
	s_or_b64 exec, exec, s[22:23]
	v_bfe_u32 v11, v7, 16, 8
	v_cvt_f32_fp8_sdwa v11, v11 src0_sel:BYTE_0
	s_nop 0
	v_mul_f32_e32 v12, v57, v11
	v_and_b32_e32 v11, 0x7f800000, v12
	v_cmp_ne_u32_e64 s[4:5], s15, v11
                                        ; implicit-def: $vgpr11
	s_and_saveexec_b64 s[22:23], s[4:5]
	s_xor_b64 s[4:5], exec, s[22:23]
; %bb.950:                              ;   in Loop: Header=BB365_562 Depth=1
	v_bfe_u32 v11, v12, 16, 1
	v_add3_u32 v11, v12, v11, s24
                                        ; implicit-def: $vgpr12
; %bb.951:                              ;   in Loop: Header=BB365_562 Depth=1
	s_andn2_saveexec_b64 s[22:23], s[4:5]
; %bb.952:                              ;   in Loop: Header=BB365_562 Depth=1
	v_or_b32_e32 v11, 0x10000, v12
	v_cmp_eq_u32_sdwa s[4:5], v12, v49 src0_sel:WORD_0 src1_sel:DWORD
	s_nop 1
	v_cndmask_b32_e64 v11, v11, v12, s[4:5]
; %bb.953:                              ;   in Loop: Header=BB365_562 Depth=1
	s_or_b64 exec, exec, s[22:23]
	v_lshrrev_b32_e32 v7, 24, v7
	v_cvt_f32_fp8_sdwa v7, v7 src0_sel:BYTE_0
                                        ; implicit-def: $vgpr13
	s_nop 0
	v_mul_f32_e32 v7, v57, v7
	v_and_b32_e32 v12, 0x7f800000, v7
	v_cmp_ne_u32_e64 s[4:5], s15, v12
	s_and_saveexec_b64 s[22:23], s[4:5]
	s_xor_b64 s[4:5], exec, s[22:23]
; %bb.954:                              ;   in Loop: Header=BB365_562 Depth=1
	v_bfe_u32 v12, v7, 16, 1
	v_add3_u32 v13, v7, v12, s24
                                        ; implicit-def: $vgpr7
; %bb.955:                              ;   in Loop: Header=BB365_562 Depth=1
	s_andn2_saveexec_b64 s[22:23], s[4:5]
; %bb.956:                              ;   in Loop: Header=BB365_562 Depth=1
	v_or_b32_e32 v12, 0x10000, v7
	v_cmp_eq_u32_sdwa s[4:5], v7, v49 src0_sel:WORD_0 src1_sel:DWORD
	s_nop 1
	v_cndmask_b32_e64 v13, v12, v7, s[4:5]
; %bb.957:                              ;   in Loop: Header=BB365_562 Depth=1
	s_or_b64 exec, exec, s[22:23]
	v_lshrrev_b32_e32 v6, 16, v6
	v_lshrrev_b32_e32 v7, 16, v10
	;; [unrolled: 1-line block ×8, first 2 shown]
	s_and_saveexec_b64 s[22:23], vcc
	s_cbranch_execz .LBB365_959
; %bb.958:                              ;   in Loop: Header=BB365_562 Depth=1
	scratch_load_dword v11, off, s32 offset:196 ; 4-byte Folded Reload
	v_accvgpr_read_b32 v13, a34
	s_waitcnt vmcnt(0)
	v_cmp_lt_i32_e64 s[4:5], v50, v11
	s_nop 1
	v_cndmask_b32_e64 v12, 0, v12, s[4:5]
	v_cmp_lt_i32_e64 s[4:5], v13, v11
	v_accvgpr_read_b32 v13, a2
	s_nop 0
	v_cndmask_b32_e64 v10, 0, v10, s[4:5]
	v_cmp_lt_i32_e64 s[4:5], v13, v11
	v_accvgpr_read_b32 v13, a1
	;; [unrolled: 4-line block ×6, first 2 shown]
	s_nop 0
	v_cndmask_b32_e64 v5, 0, v5, s[4:5]
	v_cmp_lt_i32_e64 s[4:5], v13, v11
	s_nop 1
	v_cndmask_b32_e64 v4, 0, v4, s[4:5]
.LBB365_959:                            ;   in Loop: Header=BB365_562 Depth=1
	s_or_b64 exec, exec, s[22:23]
	v_lshlrev_b32_e32 v11, 16, v12
	v_mul_f32_e32 v11, v30, v11
	v_and_b32_e32 v12, 0x7f800000, v11
	v_cmp_ne_u32_e64 s[4:5], s15, v12
                                        ; implicit-def: $agpr23
	s_and_saveexec_b64 s[22:23], s[4:5]
	s_xor_b64 s[4:5], exec, s[22:23]
; %bb.960:                              ;   in Loop: Header=BB365_562 Depth=1
	v_bfe_u32 v12, v11, 16, 1
	v_add3_u32 v11, v11, v12, s24
	v_accvgpr_write_b32 a23, v11
                                        ; implicit-def: $vgpr11
; %bb.961:                              ;   in Loop: Header=BB365_562 Depth=1
	s_andn2_saveexec_b64 s[22:23], s[4:5]
; %bb.962:                              ;   in Loop: Header=BB365_562 Depth=1
	v_or_b32_e32 v12, 0x10000, v11
	v_cmp_eq_u32_sdwa s[4:5], v11, v49 src0_sel:WORD_0 src1_sel:DWORD
	s_nop 1
	v_cndmask_b32_e64 v11, v12, v11, s[4:5]
	v_accvgpr_write_b32 a23, v11
; %bb.963:                              ;   in Loop: Header=BB365_562 Depth=1
	s_or_b64 exec, exec, s[22:23]
	v_lshlrev_b32_e32 v10, 16, v10
	v_mul_f32_e32 v10, v31, v10
	v_and_b32_e32 v11, 0x7f800000, v10
	v_cmp_ne_u32_e64 s[4:5], s15, v11
                                        ; implicit-def: $agpr32
	s_and_saveexec_b64 s[22:23], s[4:5]
	s_xor_b64 s[4:5], exec, s[22:23]
; %bb.964:                              ;   in Loop: Header=BB365_562 Depth=1
	v_bfe_u32 v11, v10, 16, 1
	v_add3_u32 v10, v10, v11, s24
	v_accvgpr_write_b32 a32, v10
                                        ; implicit-def: $vgpr10
; %bb.965:                              ;   in Loop: Header=BB365_562 Depth=1
	s_andn2_saveexec_b64 s[22:23], s[4:5]
; %bb.966:                              ;   in Loop: Header=BB365_562 Depth=1
	v_or_b32_e32 v11, 0x10000, v10
	v_cmp_eq_u32_sdwa s[4:5], v10, v49 src0_sel:WORD_0 src1_sel:DWORD
	s_nop 1
	v_cndmask_b32_e64 v10, v11, v10, s[4:5]
	v_accvgpr_write_b32 a32, v10
; %bb.967:                              ;   in Loop: Header=BB365_562 Depth=1
	s_or_b64 exec, exec, s[22:23]
	v_lshlrev_b32_e32 v8, 16, v8
	v_mul_f32_e32 v8, v42, v8
	v_and_b32_e32 v10, 0x7f800000, v8
	v_cmp_ne_u32_e64 s[4:5], s15, v10
                                        ; implicit-def: $agpr33
	s_and_saveexec_b64 s[22:23], s[4:5]
	s_xor_b64 s[4:5], exec, s[22:23]
; %bb.968:                              ;   in Loop: Header=BB365_562 Depth=1
	v_bfe_u32 v10, v8, 16, 1
	v_add3_u32 v8, v8, v10, s24
	v_accvgpr_write_b32 a33, v8
                                        ; implicit-def: $vgpr8
; %bb.969:                              ;   in Loop: Header=BB365_562 Depth=1
	s_andn2_saveexec_b64 s[22:23], s[4:5]
; %bb.970:                              ;   in Loop: Header=BB365_562 Depth=1
	v_or_b32_e32 v10, 0x10000, v8
	v_cmp_eq_u32_sdwa s[4:5], v8, v49 src0_sel:WORD_0 src1_sel:DWORD
	s_nop 1
	v_cndmask_b32_e64 v8, v10, v8, s[4:5]
	v_accvgpr_write_b32 a33, v8
; %bb.971:                              ;   in Loop: Header=BB365_562 Depth=1
	s_or_b64 exec, exec, s[22:23]
	v_lshlrev_b32_e32 v8, 16, v9
	v_mul_f32_e32 v8, v43, v8
	v_and_b32_e32 v9, 0x7f800000, v8
	v_cmp_ne_u32_e64 s[4:5], s15, v9
                                        ; implicit-def: $agpr26
	s_and_saveexec_b64 s[22:23], s[4:5]
	s_xor_b64 s[4:5], exec, s[22:23]
; %bb.972:                              ;   in Loop: Header=BB365_562 Depth=1
	v_bfe_u32 v9, v8, 16, 1
	v_add3_u32 v8, v8, v9, s24
	v_accvgpr_write_b32 a26, v8
                                        ; implicit-def: $vgpr8
; %bb.973:                              ;   in Loop: Header=BB365_562 Depth=1
	s_andn2_saveexec_b64 s[22:23], s[4:5]
; %bb.974:                              ;   in Loop: Header=BB365_562 Depth=1
	v_or_b32_e32 v9, 0x10000, v8
	v_cmp_eq_u32_sdwa s[4:5], v8, v49 src0_sel:WORD_0 src1_sel:DWORD
	s_nop 1
	v_cndmask_b32_e64 v8, v9, v8, s[4:5]
	v_accvgpr_write_b32 a26, v8
; %bb.975:                              ;   in Loop: Header=BB365_562 Depth=1
	s_or_b64 exec, exec, s[22:23]
	v_lshlrev_b32_e32 v7, 16, v7
	v_mul_f32_e32 v7, v44, v7
	v_and_b32_e32 v8, 0x7f800000, v7
	v_cmp_ne_u32_e64 s[4:5], s15, v8
                                        ; implicit-def: $agpr27
	s_and_saveexec_b64 s[22:23], s[4:5]
	s_xor_b64 s[4:5], exec, s[22:23]
; %bb.976:                              ;   in Loop: Header=BB365_562 Depth=1
	v_bfe_u32 v8, v7, 16, 1
	v_add3_u32 v7, v7, v8, s24
	v_accvgpr_write_b32 a27, v7
                                        ; implicit-def: $vgpr7
; %bb.977:                              ;   in Loop: Header=BB365_562 Depth=1
	s_andn2_saveexec_b64 s[22:23], s[4:5]
; %bb.978:                              ;   in Loop: Header=BB365_562 Depth=1
	v_or_b32_e32 v8, 0x10000, v7
	v_cmp_eq_u32_sdwa s[4:5], v7, v49 src0_sel:WORD_0 src1_sel:DWORD
	s_nop 1
	v_cndmask_b32_e64 v7, v8, v7, s[4:5]
	v_accvgpr_write_b32 a27, v7
; %bb.979:                              ;   in Loop: Header=BB365_562 Depth=1
	s_or_b64 exec, exec, s[22:23]
	v_lshlrev_b32_e32 v6, 16, v6
	v_mul_f32_e32 v6, v46, v6
	v_and_b32_e32 v7, 0x7f800000, v6
	v_cmp_ne_u32_e64 s[4:5], s15, v7
                                        ; implicit-def: $agpr38
	s_and_saveexec_b64 s[22:23], s[4:5]
	s_xor_b64 s[4:5], exec, s[22:23]
; %bb.980:                              ;   in Loop: Header=BB365_562 Depth=1
	v_bfe_u32 v7, v6, 16, 1
	v_add3_u32 v6, v6, v7, s24
	v_accvgpr_write_b32 a38, v6
                                        ; implicit-def: $vgpr6
; %bb.981:                              ;   in Loop: Header=BB365_562 Depth=1
	s_andn2_saveexec_b64 s[22:23], s[4:5]
; %bb.982:                              ;   in Loop: Header=BB365_562 Depth=1
	v_or_b32_e32 v7, 0x10000, v6
	v_cmp_eq_u32_sdwa s[4:5], v6, v49 src0_sel:WORD_0 src1_sel:DWORD
	s_nop 1
	v_cndmask_b32_e64 v6, v7, v6, s[4:5]
	v_accvgpr_write_b32 a38, v6
; %bb.983:                              ;   in Loop: Header=BB365_562 Depth=1
	s_or_b64 exec, exec, s[22:23]
	v_lshlrev_b32_e32 v5, 16, v5
	v_mul_f32_e32 v5, v47, v5
	v_and_b32_e32 v6, 0x7f800000, v5
	v_cmp_ne_u32_e64 s[4:5], s15, v6
                                        ; implicit-def: $agpr39
	s_and_saveexec_b64 s[22:23], s[4:5]
	s_xor_b64 s[4:5], exec, s[22:23]
; %bb.984:                              ;   in Loop: Header=BB365_562 Depth=1
	v_bfe_u32 v6, v5, 16, 1
	v_add3_u32 v5, v5, v6, s24
	v_accvgpr_write_b32 a39, v5
                                        ; implicit-def: $vgpr5
; %bb.985:                              ;   in Loop: Header=BB365_562 Depth=1
	s_andn2_saveexec_b64 s[22:23], s[4:5]
; %bb.986:                              ;   in Loop: Header=BB365_562 Depth=1
	v_or_b32_e32 v6, 0x10000, v5
	v_cmp_eq_u32_sdwa s[4:5], v5, v49 src0_sel:WORD_0 src1_sel:DWORD
	s_nop 1
	v_cndmask_b32_e64 v5, v6, v5, s[4:5]
	v_accvgpr_write_b32 a39, v5
; %bb.987:                              ;   in Loop: Header=BB365_562 Depth=1
	s_or_b64 exec, exec, s[22:23]
	v_lshlrev_b32_e32 v4, 16, v4
	v_mul_f32_e32 v4, v58, v4
	v_and_b32_e32 v5, 0x7f800000, v4
	v_cmp_ne_u32_e64 s[4:5], s15, v5
                                        ; implicit-def: $agpr28
	s_and_saveexec_b64 s[22:23], s[4:5]
	s_xor_b64 s[4:5], exec, s[22:23]
; %bb.988:                              ;   in Loop: Header=BB365_562 Depth=1
	v_bfe_u32 v5, v4, 16, 1
	v_add3_u32 v4, v4, v5, s24
	v_accvgpr_write_b32 a28, v4
                                        ; implicit-def: $vgpr4
; %bb.989:                              ;   in Loop: Header=BB365_562 Depth=1
	s_andn2_saveexec_b64 s[22:23], s[4:5]
; %bb.990:                              ;   in Loop: Header=BB365_562 Depth=1
	v_or_b32_e32 v5, 0x10000, v4
	v_cmp_eq_u32_sdwa s[4:5], v4, v49 src0_sel:WORD_0 src1_sel:DWORD
	s_nop 1
	v_cndmask_b32_e64 v4, v5, v4, s[4:5]
	v_accvgpr_write_b32 a28, v4
; %bb.991:                              ;   in Loop: Header=BB365_562 Depth=1
	s_or_b64 exec, exec, s[22:23]
	flat_load_dwordx2 v[6:7], v[2:3] offset:3072
	s_waitcnt vmcnt(0) lgkmcnt(0)
	v_and_b32_e32 v4, 0xff, v6
	v_cvt_f32_fp8_sdwa v4, v4 src0_sel:BYTE_0
	s_nop 0
	v_mul_f32_e32 v5, v57, v4
	v_and_b32_e32 v4, 0x7f800000, v5
	v_cmp_ne_u32_e64 s[4:5], s15, v4
                                        ; implicit-def: $vgpr4
	s_and_saveexec_b64 s[22:23], s[4:5]
	s_xor_b64 s[4:5], exec, s[22:23]
; %bb.992:                              ;   in Loop: Header=BB365_562 Depth=1
	v_bfe_u32 v4, v5, 16, 1
	v_add3_u32 v4, v5, v4, s24
                                        ; implicit-def: $vgpr5
; %bb.993:                              ;   in Loop: Header=BB365_562 Depth=1
	s_andn2_saveexec_b64 s[22:23], s[4:5]
; %bb.994:                              ;   in Loop: Header=BB365_562 Depth=1
	v_or_b32_e32 v4, 0x10000, v5
	v_cmp_eq_u32_sdwa s[4:5], v5, v49 src0_sel:WORD_0 src1_sel:DWORD
	s_nop 1
	v_cndmask_b32_e64 v4, v4, v5, s[4:5]
; %bb.995:                              ;   in Loop: Header=BB365_562 Depth=1
	s_or_b64 exec, exec, s[22:23]
	v_bfe_u32 v5, v6, 8, 8
	v_cvt_f32_fp8_sdwa v5, v5 src0_sel:BYTE_0
	s_nop 0
	v_mul_f32_e32 v8, v57, v5
	v_and_b32_e32 v5, 0x7f800000, v8
	v_cmp_ne_u32_e64 s[4:5], s15, v5
                                        ; implicit-def: $vgpr5
	s_and_saveexec_b64 s[22:23], s[4:5]
	s_xor_b64 s[4:5], exec, s[22:23]
; %bb.996:                              ;   in Loop: Header=BB365_562 Depth=1
	v_bfe_u32 v5, v8, 16, 1
	v_add3_u32 v5, v8, v5, s24
                                        ; implicit-def: $vgpr8
; %bb.997:                              ;   in Loop: Header=BB365_562 Depth=1
	s_andn2_saveexec_b64 s[22:23], s[4:5]
; %bb.998:                              ;   in Loop: Header=BB365_562 Depth=1
	v_or_b32_e32 v5, 0x10000, v8
	v_cmp_eq_u32_sdwa s[4:5], v8, v49 src0_sel:WORD_0 src1_sel:DWORD
	s_nop 1
	v_cndmask_b32_e64 v5, v5, v8, s[4:5]
; %bb.999:                              ;   in Loop: Header=BB365_562 Depth=1
	s_or_b64 exec, exec, s[22:23]
	v_bfe_u32 v8, v6, 16, 8
	v_cvt_f32_fp8_sdwa v8, v8 src0_sel:BYTE_0
	s_nop 0
	v_mul_f32_e32 v9, v57, v8
	v_and_b32_e32 v8, 0x7f800000, v9
	v_cmp_ne_u32_e64 s[4:5], s15, v8
                                        ; implicit-def: $vgpr8
	s_and_saveexec_b64 s[22:23], s[4:5]
	s_xor_b64 s[4:5], exec, s[22:23]
; %bb.1000:                             ;   in Loop: Header=BB365_562 Depth=1
	v_bfe_u32 v8, v9, 16, 1
	v_add3_u32 v8, v9, v8, s24
                                        ; implicit-def: $vgpr9
; %bb.1001:                             ;   in Loop: Header=BB365_562 Depth=1
	s_andn2_saveexec_b64 s[22:23], s[4:5]
; %bb.1002:                             ;   in Loop: Header=BB365_562 Depth=1
	v_or_b32_e32 v8, 0x10000, v9
	v_cmp_eq_u32_sdwa s[4:5], v9, v49 src0_sel:WORD_0 src1_sel:DWORD
	s_nop 1
	v_cndmask_b32_e64 v8, v8, v9, s[4:5]
; %bb.1003:                             ;   in Loop: Header=BB365_562 Depth=1
	s_or_b64 exec, exec, s[22:23]
	v_lshrrev_b32_e32 v6, 24, v6
	v_cvt_f32_fp8_sdwa v6, v6 src0_sel:BYTE_0
	s_nop 0
	v_mul_f32_e32 v6, v57, v6
	v_and_b32_e32 v9, 0x7f800000, v6
	v_cmp_ne_u32_e64 s[4:5], s15, v9
                                        ; implicit-def: $vgpr9
	s_and_saveexec_b64 s[22:23], s[4:5]
	s_xor_b64 s[4:5], exec, s[22:23]
; %bb.1004:                             ;   in Loop: Header=BB365_562 Depth=1
	v_bfe_u32 v9, v6, 16, 1
	v_add3_u32 v9, v6, v9, s24
                                        ; implicit-def: $vgpr6
; %bb.1005:                             ;   in Loop: Header=BB365_562 Depth=1
	s_andn2_saveexec_b64 s[22:23], s[4:5]
; %bb.1006:                             ;   in Loop: Header=BB365_562 Depth=1
	v_or_b32_e32 v9, 0x10000, v6
	v_cmp_eq_u32_sdwa s[4:5], v6, v49 src0_sel:WORD_0 src1_sel:DWORD
	s_nop 1
	v_cndmask_b32_e64 v9, v9, v6, s[4:5]
; %bb.1007:                             ;   in Loop: Header=BB365_562 Depth=1
	s_or_b64 exec, exec, s[22:23]
	v_and_b32_e32 v6, 0xff, v7
	v_cvt_f32_fp8_sdwa v6, v6 src0_sel:BYTE_0
	s_nop 0
	v_mul_f32_e32 v6, v57, v6
	v_and_b32_e32 v10, 0x7f800000, v6
	v_cmp_ne_u32_e64 s[4:5], s15, v10
                                        ; implicit-def: $vgpr10
	s_and_saveexec_b64 s[22:23], s[4:5]
	s_xor_b64 s[4:5], exec, s[22:23]
; %bb.1008:                             ;   in Loop: Header=BB365_562 Depth=1
	v_bfe_u32 v10, v6, 16, 1
	v_add3_u32 v10, v6, v10, s24
                                        ; implicit-def: $vgpr6
; %bb.1009:                             ;   in Loop: Header=BB365_562 Depth=1
	s_andn2_saveexec_b64 s[22:23], s[4:5]
; %bb.1010:                             ;   in Loop: Header=BB365_562 Depth=1
	v_or_b32_e32 v10, 0x10000, v6
	v_cmp_eq_u32_sdwa s[4:5], v6, v49 src0_sel:WORD_0 src1_sel:DWORD
	s_nop 1
	v_cndmask_b32_e64 v10, v10, v6, s[4:5]
; %bb.1011:                             ;   in Loop: Header=BB365_562 Depth=1
	s_or_b64 exec, exec, s[22:23]
	v_bfe_u32 v6, v7, 8, 8
	v_cvt_f32_fp8_sdwa v6, v6 src0_sel:BYTE_0
	s_nop 0
	v_mul_f32_e32 v11, v57, v6
	v_and_b32_e32 v6, 0x7f800000, v11
	v_cmp_ne_u32_e64 s[4:5], s15, v6
                                        ; implicit-def: $vgpr6
	s_and_saveexec_b64 s[22:23], s[4:5]
	s_xor_b64 s[4:5], exec, s[22:23]
; %bb.1012:                             ;   in Loop: Header=BB365_562 Depth=1
	v_bfe_u32 v6, v11, 16, 1
	v_add3_u32 v6, v11, v6, s24
                                        ; implicit-def: $vgpr11
; %bb.1013:                             ;   in Loop: Header=BB365_562 Depth=1
	s_andn2_saveexec_b64 s[22:23], s[4:5]
; %bb.1014:                             ;   in Loop: Header=BB365_562 Depth=1
	v_or_b32_e32 v6, 0x10000, v11
	v_cmp_eq_u32_sdwa s[4:5], v11, v49 src0_sel:WORD_0 src1_sel:DWORD
	s_nop 1
	v_cndmask_b32_e64 v6, v6, v11, s[4:5]
; %bb.1015:                             ;   in Loop: Header=BB365_562 Depth=1
	s_or_b64 exec, exec, s[22:23]
	v_bfe_u32 v11, v7, 16, 8
	v_cvt_f32_fp8_sdwa v11, v11 src0_sel:BYTE_0
	s_nop 0
	v_mul_f32_e32 v12, v57, v11
	v_and_b32_e32 v11, 0x7f800000, v12
	v_cmp_ne_u32_e64 s[4:5], s15, v11
                                        ; implicit-def: $vgpr11
	s_and_saveexec_b64 s[22:23], s[4:5]
	s_xor_b64 s[4:5], exec, s[22:23]
; %bb.1016:                             ;   in Loop: Header=BB365_562 Depth=1
	v_bfe_u32 v11, v12, 16, 1
	v_add3_u32 v11, v12, v11, s24
                                        ; implicit-def: $vgpr12
; %bb.1017:                             ;   in Loop: Header=BB365_562 Depth=1
	s_andn2_saveexec_b64 s[22:23], s[4:5]
; %bb.1018:                             ;   in Loop: Header=BB365_562 Depth=1
	v_or_b32_e32 v11, 0x10000, v12
	v_cmp_eq_u32_sdwa s[4:5], v12, v49 src0_sel:WORD_0 src1_sel:DWORD
	s_nop 1
	v_cndmask_b32_e64 v11, v11, v12, s[4:5]
; %bb.1019:                             ;   in Loop: Header=BB365_562 Depth=1
	s_or_b64 exec, exec, s[22:23]
	v_lshrrev_b32_e32 v7, 24, v7
	v_cvt_f32_fp8_sdwa v7, v7 src0_sel:BYTE_0
                                        ; implicit-def: $vgpr13
	s_nop 0
	v_mul_f32_e32 v7, v57, v7
	v_and_b32_e32 v12, 0x7f800000, v7
	v_cmp_ne_u32_e64 s[4:5], s15, v12
	s_and_saveexec_b64 s[22:23], s[4:5]
	s_xor_b64 s[4:5], exec, s[22:23]
; %bb.1020:                             ;   in Loop: Header=BB365_562 Depth=1
	v_bfe_u32 v12, v7, 16, 1
	v_add3_u32 v13, v7, v12, s24
                                        ; implicit-def: $vgpr7
; %bb.1021:                             ;   in Loop: Header=BB365_562 Depth=1
	s_andn2_saveexec_b64 s[22:23], s[4:5]
; %bb.1022:                             ;   in Loop: Header=BB365_562 Depth=1
	v_or_b32_e32 v12, 0x10000, v7
	v_cmp_eq_u32_sdwa s[4:5], v7, v49 src0_sel:WORD_0 src1_sel:DWORD
	s_nop 1
	v_cndmask_b32_e64 v13, v12, v7, s[4:5]
; %bb.1023:                             ;   in Loop: Header=BB365_562 Depth=1
	s_or_b64 exec, exec, s[22:23]
	v_lshrrev_b32_e32 v6, 16, v6
	v_lshrrev_b32_e32 v7, 16, v10
	v_lshrrev_b32_e32 v9, 16, v9
	v_lshrrev_b32_e32 v8, 16, v8
	v_lshrrev_b32_e32 v10, 16, v5
	v_lshrrev_b32_e32 v12, 16, v4
	v_lshrrev_b32_e32 v5, 16, v11
	v_lshrrev_b32_e32 v4, 16, v13
	s_and_saveexec_b64 s[22:23], vcc
	s_cbranch_execz .LBB365_1025
; %bb.1024:                             ;   in Loop: Header=BB365_562 Depth=1
	scratch_load_dword v11, off, s32 offset:196 ; 4-byte Folded Reload
	v_accvgpr_read_b32 v13, a34
	s_waitcnt vmcnt(0)
	v_cmp_lt_i32_e64 s[4:5], v50, v11
	s_nop 1
	v_cndmask_b32_e64 v12, 0, v12, s[4:5]
	v_cmp_lt_i32_e64 s[4:5], v13, v11
	v_accvgpr_read_b32 v13, a2
	s_nop 0
	v_cndmask_b32_e64 v10, 0, v10, s[4:5]
	v_cmp_lt_i32_e64 s[4:5], v13, v11
	v_accvgpr_read_b32 v13, a1
	;; [unrolled: 4-line block ×6, first 2 shown]
	s_nop 0
	v_cndmask_b32_e64 v5, 0, v5, s[4:5]
	v_cmp_lt_i32_e64 s[4:5], v13, v11
	s_nop 1
	v_cndmask_b32_e64 v4, 0, v4, s[4:5]
.LBB365_1025:                           ;   in Loop: Header=BB365_562 Depth=1
	s_or_b64 exec, exec, s[22:23]
	v_lshlrev_b32_e32 v11, 16, v12
	v_mul_f32_e32 v11, v30, v11
	v_and_b32_e32 v12, 0x7f800000, v11
	v_cmp_ne_u32_e64 s[4:5], s15, v12
                                        ; implicit-def: $agpr29
	s_and_saveexec_b64 s[22:23], s[4:5]
	s_xor_b64 s[4:5], exec, s[22:23]
; %bb.1026:                             ;   in Loop: Header=BB365_562 Depth=1
	v_bfe_u32 v12, v11, 16, 1
	v_add3_u32 v11, v11, v12, s24
	v_accvgpr_write_b32 a29, v11
                                        ; implicit-def: $vgpr11
; %bb.1027:                             ;   in Loop: Header=BB365_562 Depth=1
	s_andn2_saveexec_b64 s[22:23], s[4:5]
; %bb.1028:                             ;   in Loop: Header=BB365_562 Depth=1
	v_or_b32_e32 v12, 0x10000, v11
	v_cmp_eq_u32_sdwa s[4:5], v11, v49 src0_sel:WORD_0 src1_sel:DWORD
	s_nop 1
	v_cndmask_b32_e64 v11, v12, v11, s[4:5]
	v_accvgpr_write_b32 a29, v11
; %bb.1029:                             ;   in Loop: Header=BB365_562 Depth=1
	s_or_b64 exec, exec, s[22:23]
	v_lshlrev_b32_e32 v10, 16, v10
	v_mul_f32_e32 v10, v31, v10
	v_and_b32_e32 v11, 0x7f800000, v10
	v_cmp_ne_u32_e64 s[4:5], s15, v11
                                        ; implicit-def: $agpr30
	s_and_saveexec_b64 s[22:23], s[4:5]
	s_xor_b64 s[4:5], exec, s[22:23]
; %bb.1030:                             ;   in Loop: Header=BB365_562 Depth=1
	v_bfe_u32 v11, v10, 16, 1
	v_add3_u32 v10, v10, v11, s24
	v_accvgpr_write_b32 a30, v10
                                        ; implicit-def: $vgpr10
; %bb.1031:                             ;   in Loop: Header=BB365_562 Depth=1
	s_andn2_saveexec_b64 s[22:23], s[4:5]
; %bb.1032:                             ;   in Loop: Header=BB365_562 Depth=1
	v_or_b32_e32 v11, 0x10000, v10
	v_cmp_eq_u32_sdwa s[4:5], v10, v49 src0_sel:WORD_0 src1_sel:DWORD
	s_nop 1
	v_cndmask_b32_e64 v10, v11, v10, s[4:5]
	v_accvgpr_write_b32 a30, v10
; %bb.1033:                             ;   in Loop: Header=BB365_562 Depth=1
	s_or_b64 exec, exec, s[22:23]
	v_lshlrev_b32_e32 v8, 16, v8
	v_mul_f32_e32 v8, v42, v8
	v_and_b32_e32 v10, 0x7f800000, v8
	v_cmp_ne_u32_e64 s[4:5], s15, v10
                                        ; implicit-def: $agpr31
	s_and_saveexec_b64 s[22:23], s[4:5]
	s_xor_b64 s[4:5], exec, s[22:23]
; %bb.1034:                             ;   in Loop: Header=BB365_562 Depth=1
	v_bfe_u32 v10, v8, 16, 1
	v_add3_u32 v8, v8, v10, s24
	v_accvgpr_write_b32 a31, v8
                                        ; implicit-def: $vgpr8
; %bb.1035:                             ;   in Loop: Header=BB365_562 Depth=1
	s_andn2_saveexec_b64 s[22:23], s[4:5]
; %bb.1036:                             ;   in Loop: Header=BB365_562 Depth=1
	v_or_b32_e32 v10, 0x10000, v8
	v_cmp_eq_u32_sdwa s[4:5], v8, v49 src0_sel:WORD_0 src1_sel:DWORD
	s_nop 1
	v_cndmask_b32_e64 v8, v10, v8, s[4:5]
	v_accvgpr_write_b32 a31, v8
; %bb.1037:                             ;   in Loop: Header=BB365_562 Depth=1
	s_or_b64 exec, exec, s[22:23]
	v_lshlrev_b32_e32 v8, 16, v9
	v_mul_f32_e32 v8, v43, v8
	v_and_b32_e32 v9, 0x7f800000, v8
	v_cmp_ne_u32_e64 s[4:5], s15, v9
                                        ; implicit-def: $agpr15
	s_and_saveexec_b64 s[22:23], s[4:5]
	s_xor_b64 s[4:5], exec, s[22:23]
; %bb.1038:                             ;   in Loop: Header=BB365_562 Depth=1
	v_bfe_u32 v9, v8, 16, 1
	v_add3_u32 v8, v8, v9, s24
	v_accvgpr_write_b32 a15, v8
                                        ; implicit-def: $vgpr8
; %bb.1039:                             ;   in Loop: Header=BB365_562 Depth=1
	s_andn2_saveexec_b64 s[22:23], s[4:5]
; %bb.1040:                             ;   in Loop: Header=BB365_562 Depth=1
	v_or_b32_e32 v9, 0x10000, v8
	v_cmp_eq_u32_sdwa s[4:5], v8, v49 src0_sel:WORD_0 src1_sel:DWORD
	s_nop 1
	v_cndmask_b32_e64 v8, v9, v8, s[4:5]
	v_accvgpr_write_b32 a15, v8
; %bb.1041:                             ;   in Loop: Header=BB365_562 Depth=1
	s_or_b64 exec, exec, s[22:23]
	v_lshlrev_b32_e32 v7, 16, v7
	v_mul_f32_e32 v7, v44, v7
	v_and_b32_e32 v8, 0x7f800000, v7
	v_cmp_ne_u32_e64 s[4:5], s15, v8
                                        ; implicit-def: $agpr49
	s_and_saveexec_b64 s[22:23], s[4:5]
	s_xor_b64 s[4:5], exec, s[22:23]
; %bb.1042:                             ;   in Loop: Header=BB365_562 Depth=1
	v_bfe_u32 v8, v7, 16, 1
	v_add3_u32 v7, v7, v8, s24
	v_accvgpr_write_b32 a49, v7
                                        ; implicit-def: $vgpr7
; %bb.1043:                             ;   in Loop: Header=BB365_562 Depth=1
	s_andn2_saveexec_b64 s[22:23], s[4:5]
; %bb.1044:                             ;   in Loop: Header=BB365_562 Depth=1
	v_or_b32_e32 v8, 0x10000, v7
	v_cmp_eq_u32_sdwa s[4:5], v7, v49 src0_sel:WORD_0 src1_sel:DWORD
	s_nop 1
	v_cndmask_b32_e64 v7, v8, v7, s[4:5]
	v_accvgpr_write_b32 a49, v7
; %bb.1045:                             ;   in Loop: Header=BB365_562 Depth=1
	s_or_b64 exec, exec, s[22:23]
	v_lshlrev_b32_e32 v6, 16, v6
	v_mul_f32_e32 v6, v46, v6
	v_and_b32_e32 v7, 0x7f800000, v6
	v_cmp_ne_u32_e64 s[4:5], s15, v7
                                        ; implicit-def: $agpr59
	s_and_saveexec_b64 s[22:23], s[4:5]
	s_xor_b64 s[4:5], exec, s[22:23]
; %bb.1046:                             ;   in Loop: Header=BB365_562 Depth=1
	v_bfe_u32 v7, v6, 16, 1
	v_add3_u32 v6, v6, v7, s24
	v_accvgpr_write_b32 a59, v6
                                        ; implicit-def: $vgpr6
; %bb.1047:                             ;   in Loop: Header=BB365_562 Depth=1
	s_andn2_saveexec_b64 s[22:23], s[4:5]
; %bb.1048:                             ;   in Loop: Header=BB365_562 Depth=1
	v_or_b32_e32 v7, 0x10000, v6
	v_cmp_eq_u32_sdwa s[4:5], v6, v49 src0_sel:WORD_0 src1_sel:DWORD
	s_nop 1
	v_cndmask_b32_e64 v6, v7, v6, s[4:5]
	v_accvgpr_write_b32 a59, v6
; %bb.1049:                             ;   in Loop: Header=BB365_562 Depth=1
	s_or_b64 exec, exec, s[22:23]
	v_lshlrev_b32_e32 v5, 16, v5
	v_mul_f32_e32 v5, v47, v5
	v_and_b32_e32 v6, 0x7f800000, v5
	v_cmp_ne_u32_e64 s[4:5], s15, v6
                                        ; implicit-def: $agpr20
	s_and_saveexec_b64 s[22:23], s[4:5]
	s_xor_b64 s[4:5], exec, s[22:23]
; %bb.1050:                             ;   in Loop: Header=BB365_562 Depth=1
	v_bfe_u32 v6, v5, 16, 1
	v_add3_u32 v5, v5, v6, s24
	v_accvgpr_write_b32 a20, v5
                                        ; implicit-def: $vgpr5
; %bb.1051:                             ;   in Loop: Header=BB365_562 Depth=1
	s_andn2_saveexec_b64 s[22:23], s[4:5]
; %bb.1052:                             ;   in Loop: Header=BB365_562 Depth=1
	v_or_b32_e32 v6, 0x10000, v5
	v_cmp_eq_u32_sdwa s[4:5], v5, v49 src0_sel:WORD_0 src1_sel:DWORD
	s_nop 1
	v_cndmask_b32_e64 v5, v6, v5, s[4:5]
	v_accvgpr_write_b32 a20, v5
; %bb.1053:                             ;   in Loop: Header=BB365_562 Depth=1
	s_or_b64 exec, exec, s[22:23]
	v_lshlrev_b32_e32 v4, 16, v4
	v_mul_f32_e32 v4, v58, v4
	v_and_b32_e32 v5, 0x7f800000, v4
	v_cmp_ne_u32_e64 s[4:5], s15, v5
                                        ; implicit-def: $agpr3
	s_and_saveexec_b64 s[22:23], s[4:5]
	s_xor_b64 s[4:5], exec, s[22:23]
; %bb.1054:                             ;   in Loop: Header=BB365_562 Depth=1
	v_bfe_u32 v5, v4, 16, 1
	v_add3_u32 v4, v4, v5, s24
	v_accvgpr_write_b32 a3, v4
                                        ; implicit-def: $vgpr4
; %bb.1055:                             ;   in Loop: Header=BB365_562 Depth=1
	s_andn2_saveexec_b64 s[22:23], s[4:5]
; %bb.1056:                             ;   in Loop: Header=BB365_562 Depth=1
	v_or_b32_e32 v5, 0x10000, v4
	v_cmp_eq_u32_sdwa s[4:5], v4, v49 src0_sel:WORD_0 src1_sel:DWORD
	s_nop 1
	v_cndmask_b32_e64 v4, v5, v4, s[4:5]
	v_accvgpr_write_b32 a3, v4
; %bb.1057:                             ;   in Loop: Header=BB365_562 Depth=1
	s_or_b64 exec, exec, s[22:23]
	flat_load_dwordx2 v[2:3], v[2:3] offset:3584
	s_waitcnt vmcnt(0) lgkmcnt(0)
	v_and_b32_e32 v4, 0xff, v2
	v_cvt_f32_fp8_sdwa v4, v4 src0_sel:BYTE_0
	s_nop 0
	v_mul_f32_e32 v5, v57, v4
	v_and_b32_e32 v4, 0x7f800000, v5
	v_cmp_ne_u32_e64 s[4:5], s15, v4
                                        ; implicit-def: $vgpr4
	s_and_saveexec_b64 s[22:23], s[4:5]
	s_xor_b64 s[4:5], exec, s[22:23]
; %bb.1058:                             ;   in Loop: Header=BB365_562 Depth=1
	v_bfe_u32 v4, v5, 16, 1
	v_add3_u32 v4, v5, v4, s24
                                        ; implicit-def: $vgpr5
; %bb.1059:                             ;   in Loop: Header=BB365_562 Depth=1
	s_andn2_saveexec_b64 s[22:23], s[4:5]
; %bb.1060:                             ;   in Loop: Header=BB365_562 Depth=1
	v_or_b32_e32 v4, 0x10000, v5
	v_cmp_eq_u32_sdwa s[4:5], v5, v49 src0_sel:WORD_0 src1_sel:DWORD
	s_nop 1
	v_cndmask_b32_e64 v4, v4, v5, s[4:5]
; %bb.1061:                             ;   in Loop: Header=BB365_562 Depth=1
	s_or_b64 exec, exec, s[22:23]
	v_bfe_u32 v5, v2, 8, 8
	v_cvt_f32_fp8_sdwa v5, v5 src0_sel:BYTE_0
	s_nop 0
	v_mul_f32_e32 v6, v57, v5
	v_and_b32_e32 v5, 0x7f800000, v6
	v_cmp_ne_u32_e64 s[4:5], s15, v5
                                        ; implicit-def: $vgpr5
	s_and_saveexec_b64 s[22:23], s[4:5]
	s_xor_b64 s[4:5], exec, s[22:23]
; %bb.1062:                             ;   in Loop: Header=BB365_562 Depth=1
	v_bfe_u32 v5, v6, 16, 1
	v_add3_u32 v5, v6, v5, s24
                                        ; implicit-def: $vgpr6
; %bb.1063:                             ;   in Loop: Header=BB365_562 Depth=1
	s_andn2_saveexec_b64 s[22:23], s[4:5]
; %bb.1064:                             ;   in Loop: Header=BB365_562 Depth=1
	v_or_b32_e32 v5, 0x10000, v6
	v_cmp_eq_u32_sdwa s[4:5], v6, v49 src0_sel:WORD_0 src1_sel:DWORD
	s_nop 1
	v_cndmask_b32_e64 v5, v5, v6, s[4:5]
; %bb.1065:                             ;   in Loop: Header=BB365_562 Depth=1
	s_or_b64 exec, exec, s[22:23]
	v_bfe_u32 v6, v2, 16, 8
	v_cvt_f32_fp8_sdwa v6, v6 src0_sel:BYTE_0
	s_nop 0
	v_mul_f32_e32 v6, v57, v6
	v_and_b32_e32 v7, 0x7f800000, v6
	v_cmp_ne_u32_e64 s[4:5], s15, v7
                                        ; implicit-def: $vgpr7
	s_and_saveexec_b64 s[22:23], s[4:5]
	s_xor_b64 s[4:5], exec, s[22:23]
; %bb.1066:                             ;   in Loop: Header=BB365_562 Depth=1
	v_bfe_u32 v7, v6, 16, 1
	v_add3_u32 v7, v6, v7, s24
                                        ; implicit-def: $vgpr6
; %bb.1067:                             ;   in Loop: Header=BB365_562 Depth=1
	s_andn2_saveexec_b64 s[22:23], s[4:5]
; %bb.1068:                             ;   in Loop: Header=BB365_562 Depth=1
	v_or_b32_e32 v7, 0x10000, v6
	v_cmp_eq_u32_sdwa s[4:5], v6, v49 src0_sel:WORD_0 src1_sel:DWORD
	s_nop 1
	v_cndmask_b32_e64 v7, v7, v6, s[4:5]
; %bb.1069:                             ;   in Loop: Header=BB365_562 Depth=1
	s_or_b64 exec, exec, s[22:23]
	v_lshrrev_b32_e32 v2, 24, v2
	v_cvt_f32_fp8_sdwa v2, v2 src0_sel:BYTE_0
	s_nop 0
	v_mul_f32_e32 v6, v57, v2
	v_and_b32_e32 v2, 0x7f800000, v6
	v_cmp_ne_u32_e64 s[4:5], s15, v2
                                        ; implicit-def: $vgpr2
	s_and_saveexec_b64 s[22:23], s[4:5]
	s_xor_b64 s[4:5], exec, s[22:23]
; %bb.1070:                             ;   in Loop: Header=BB365_562 Depth=1
	v_bfe_u32 v2, v6, 16, 1
	v_add3_u32 v2, v6, v2, s24
                                        ; implicit-def: $vgpr6
; %bb.1071:                             ;   in Loop: Header=BB365_562 Depth=1
	s_andn2_saveexec_b64 s[22:23], s[4:5]
; %bb.1072:                             ;   in Loop: Header=BB365_562 Depth=1
	v_or_b32_e32 v2, 0x10000, v6
	v_cmp_eq_u32_sdwa s[4:5], v6, v49 src0_sel:WORD_0 src1_sel:DWORD
	s_nop 1
	v_cndmask_b32_e64 v2, v2, v6, s[4:5]
; %bb.1073:                             ;   in Loop: Header=BB365_562 Depth=1
	s_or_b64 exec, exec, s[22:23]
	v_and_b32_e32 v6, 0xff, v3
	v_cvt_f32_fp8_sdwa v6, v6 src0_sel:BYTE_0
	s_nop 0
	v_mul_f32_e32 v6, v57, v6
	v_and_b32_e32 v8, 0x7f800000, v6
	v_cmp_ne_u32_e64 s[4:5], s15, v8
                                        ; implicit-def: $vgpr8
	s_and_saveexec_b64 s[22:23], s[4:5]
	s_xor_b64 s[4:5], exec, s[22:23]
; %bb.1074:                             ;   in Loop: Header=BB365_562 Depth=1
	v_bfe_u32 v8, v6, 16, 1
	v_add3_u32 v8, v6, v8, s24
                                        ; implicit-def: $vgpr6
; %bb.1075:                             ;   in Loop: Header=BB365_562 Depth=1
	s_andn2_saveexec_b64 s[22:23], s[4:5]
; %bb.1076:                             ;   in Loop: Header=BB365_562 Depth=1
	v_or_b32_e32 v8, 0x10000, v6
	v_cmp_eq_u32_sdwa s[4:5], v6, v49 src0_sel:WORD_0 src1_sel:DWORD
	s_nop 1
	v_cndmask_b32_e64 v8, v8, v6, s[4:5]
; %bb.1077:                             ;   in Loop: Header=BB365_562 Depth=1
	s_or_b64 exec, exec, s[22:23]
	v_bfe_u32 v6, v3, 8, 8
	v_cvt_f32_fp8_sdwa v6, v6 src0_sel:BYTE_0
	s_nop 0
	v_mul_f32_e32 v9, v57, v6
	v_and_b32_e32 v6, 0x7f800000, v9
	v_cmp_ne_u32_e64 s[4:5], s15, v6
                                        ; implicit-def: $vgpr6
	s_and_saveexec_b64 s[22:23], s[4:5]
	s_xor_b64 s[4:5], exec, s[22:23]
; %bb.1078:                             ;   in Loop: Header=BB365_562 Depth=1
	v_bfe_u32 v6, v9, 16, 1
	v_add3_u32 v6, v9, v6, s24
                                        ; implicit-def: $vgpr9
; %bb.1079:                             ;   in Loop: Header=BB365_562 Depth=1
	s_andn2_saveexec_b64 s[22:23], s[4:5]
; %bb.1080:                             ;   in Loop: Header=BB365_562 Depth=1
	v_or_b32_e32 v6, 0x10000, v9
	v_cmp_eq_u32_sdwa s[4:5], v9, v49 src0_sel:WORD_0 src1_sel:DWORD
	s_nop 1
	v_cndmask_b32_e64 v6, v6, v9, s[4:5]
; %bb.1081:                             ;   in Loop: Header=BB365_562 Depth=1
	s_or_b64 exec, exec, s[22:23]
	v_bfe_u32 v9, v3, 16, 8
	v_cvt_f32_fp8_sdwa v9, v9 src0_sel:BYTE_0
	s_nop 0
	v_mul_f32_e32 v9, v57, v9
	v_and_b32_e32 v10, 0x7f800000, v9
	v_cmp_ne_u32_e64 s[4:5], s15, v10
                                        ; implicit-def: $vgpr10
	s_and_saveexec_b64 s[22:23], s[4:5]
	s_xor_b64 s[4:5], exec, s[22:23]
; %bb.1082:                             ;   in Loop: Header=BB365_562 Depth=1
	v_bfe_u32 v10, v9, 16, 1
	v_add3_u32 v10, v9, v10, s24
                                        ; implicit-def: $vgpr9
; %bb.1083:                             ;   in Loop: Header=BB365_562 Depth=1
	s_andn2_saveexec_b64 s[22:23], s[4:5]
; %bb.1084:                             ;   in Loop: Header=BB365_562 Depth=1
	v_or_b32_e32 v10, 0x10000, v9
	v_cmp_eq_u32_sdwa s[4:5], v9, v49 src0_sel:WORD_0 src1_sel:DWORD
	s_nop 1
	v_cndmask_b32_e64 v10, v10, v9, s[4:5]
; %bb.1085:                             ;   in Loop: Header=BB365_562 Depth=1
	s_or_b64 exec, exec, s[22:23]
	v_lshrrev_b32_e32 v3, 24, v3
	v_cvt_f32_fp8_sdwa v3, v3 src0_sel:BYTE_0
                                        ; implicit-def: $vgpr11
	s_nop 0
	v_mul_f32_e32 v3, v57, v3
	v_and_b32_e32 v9, 0x7f800000, v3
	v_cmp_ne_u32_e64 s[4:5], s15, v9
	s_and_saveexec_b64 s[22:23], s[4:5]
	s_xor_b64 s[4:5], exec, s[22:23]
; %bb.1086:                             ;   in Loop: Header=BB365_562 Depth=1
	v_bfe_u32 v9, v3, 16, 1
	v_add3_u32 v11, v3, v9, s24
                                        ; implicit-def: $vgpr3
; %bb.1087:                             ;   in Loop: Header=BB365_562 Depth=1
	s_andn2_saveexec_b64 s[22:23], s[4:5]
; %bb.1088:                             ;   in Loop: Header=BB365_562 Depth=1
	v_or_b32_e32 v9, 0x10000, v3
	v_cmp_eq_u32_sdwa s[4:5], v3, v49 src0_sel:WORD_0 src1_sel:DWORD
	s_nop 1
	v_cndmask_b32_e64 v11, v9, v3, s[4:5]
; %bb.1089:                             ;   in Loop: Header=BB365_562 Depth=1
	s_or_b64 exec, exec, s[22:23]
	v_lshrrev_b32_e32 v6, 16, v6
	v_lshrrev_b32_e32 v8, 16, v8
	;; [unrolled: 1-line block ×8, first 2 shown]
	s_and_saveexec_b64 s[22:23], vcc
	s_cbranch_execz .LBB365_1091
; %bb.1090:                             ;   in Loop: Header=BB365_562 Depth=1
	scratch_load_dword v10, off, s32 offset:196 ; 4-byte Folded Reload
	v_accvgpr_read_b32 v11, a34
	s_waitcnt vmcnt(0)
	v_cmp_lt_i32_e64 s[4:5], v50, v10
	s_nop 1
	v_cndmask_b32_e64 v4, 0, v4, s[4:5]
	v_cmp_lt_i32_e64 s[4:5], v11, v10
	v_accvgpr_read_b32 v11, a2
	s_nop 0
	v_cndmask_b32_e64 v5, 0, v5, s[4:5]
	v_cmp_lt_i32_e64 s[4:5], v11, v10
	v_accvgpr_read_b32 v11, a1
	s_nop 0
	v_cndmask_b32_e64 v7, 0, v7, s[4:5]
	v_cmp_lt_i32_e64 s[4:5], v11, v10
	v_accvgpr_read_b32 v11, a0
	s_nop 0
	v_cndmask_b32_e64 v9, 0, v9, s[4:5]
	v_cmp_lt_i32_e64 s[4:5], v11, v10
	v_accvgpr_read_b32 v11, a16
	s_nop 0
	v_cndmask_b32_e64 v8, 0, v8, s[4:5]
	v_cmp_lt_i32_e64 s[4:5], v11, v10
	v_accvgpr_read_b32 v11, a17
	s_nop 0
	v_cndmask_b32_e64 v6, 0, v6, s[4:5]
	v_cmp_lt_i32_e64 s[4:5], v11, v10
	v_accvgpr_read_b32 v11, a19
	s_nop 0
	v_cndmask_b32_e64 v3, 0, v3, s[4:5]
	v_cmp_lt_i32_e64 s[4:5], v11, v10
	s_nop 1
	v_cndmask_b32_e64 v2, 0, v2, s[4:5]
.LBB365_1091:                           ;   in Loop: Header=BB365_562 Depth=1
	s_or_b64 exec, exec, s[22:23]
	v_lshlrev_b32_e32 v4, 16, v4
	v_mul_f32_e32 v4, v30, v4
	v_and_b32_e32 v10, 0x7f800000, v4
	v_cmp_ne_u32_e64 s[4:5], s15, v10
                                        ; implicit-def: $agpr60
	s_and_saveexec_b64 s[22:23], s[4:5]
	s_xor_b64 s[4:5], exec, s[22:23]
; %bb.1092:                             ;   in Loop: Header=BB365_562 Depth=1
	v_bfe_u32 v10, v4, 16, 1
	v_add3_u32 v4, v4, v10, s24
	v_accvgpr_write_b32 a60, v4
                                        ; implicit-def: $vgpr4
; %bb.1093:                             ;   in Loop: Header=BB365_562 Depth=1
	s_andn2_saveexec_b64 s[22:23], s[4:5]
; %bb.1094:                             ;   in Loop: Header=BB365_562 Depth=1
	v_or_b32_e32 v10, 0x10000, v4
	v_cmp_eq_u32_sdwa s[4:5], v4, v49 src0_sel:WORD_0 src1_sel:DWORD
	s_nop 1
	v_cndmask_b32_e64 v4, v10, v4, s[4:5]
	v_accvgpr_write_b32 a60, v4
; %bb.1095:                             ;   in Loop: Header=BB365_562 Depth=1
	s_or_b64 exec, exec, s[22:23]
	v_lshlrev_b32_e32 v4, 16, v5
	v_mul_f32_e32 v4, v31, v4
	v_and_b32_e32 v5, 0x7f800000, v4
	v_cmp_ne_u32_e64 s[4:5], s15, v5
                                        ; implicit-def: $agpr61
	s_and_saveexec_b64 s[22:23], s[4:5]
	s_xor_b64 s[4:5], exec, s[22:23]
; %bb.1096:                             ;   in Loop: Header=BB365_562 Depth=1
	v_bfe_u32 v5, v4, 16, 1
	v_add3_u32 v4, v4, v5, s24
	v_accvgpr_write_b32 a61, v4
                                        ; implicit-def: $vgpr4
; %bb.1097:                             ;   in Loop: Header=BB365_562 Depth=1
	s_andn2_saveexec_b64 s[22:23], s[4:5]
; %bb.1098:                             ;   in Loop: Header=BB365_562 Depth=1
	v_or_b32_e32 v5, 0x10000, v4
	v_cmp_eq_u32_sdwa s[4:5], v4, v49 src0_sel:WORD_0 src1_sel:DWORD
	s_nop 1
	v_cndmask_b32_e64 v4, v5, v4, s[4:5]
	v_accvgpr_write_b32 a61, v4
; %bb.1099:                             ;   in Loop: Header=BB365_562 Depth=1
	s_or_b64 exec, exec, s[22:23]
	v_lshlrev_b32_e32 v4, 16, v7
	v_mul_f32_e32 v4, v42, v4
	v_and_b32_e32 v5, 0x7f800000, v4
	v_cmp_ne_u32_e64 s[4:5], s15, v5
                                        ; implicit-def: $agpr24
	s_and_saveexec_b64 s[22:23], s[4:5]
	s_xor_b64 s[4:5], exec, s[22:23]
; %bb.1100:                             ;   in Loop: Header=BB365_562 Depth=1
	v_bfe_u32 v5, v4, 16, 1
	v_add3_u32 v4, v4, v5, s24
	v_accvgpr_write_b32 a24, v4
                                        ; implicit-def: $vgpr4
; %bb.1101:                             ;   in Loop: Header=BB365_562 Depth=1
	s_andn2_saveexec_b64 s[22:23], s[4:5]
; %bb.1102:                             ;   in Loop: Header=BB365_562 Depth=1
	v_or_b32_e32 v5, 0x10000, v4
	v_cmp_eq_u32_sdwa s[4:5], v4, v49 src0_sel:WORD_0 src1_sel:DWORD
	s_nop 1
	v_cndmask_b32_e64 v4, v5, v4, s[4:5]
	v_accvgpr_write_b32 a24, v4
; %bb.1103:                             ;   in Loop: Header=BB365_562 Depth=1
	s_or_b64 exec, exec, s[22:23]
	v_lshlrev_b32_e32 v4, 16, v9
	v_mul_f32_e32 v4, v43, v4
	v_and_b32_e32 v5, 0x7f800000, v4
	v_cmp_ne_u32_e64 s[4:5], s15, v5
                                        ; implicit-def: $agpr25
	s_and_saveexec_b64 s[22:23], s[4:5]
	s_xor_b64 s[4:5], exec, s[22:23]
; %bb.1104:                             ;   in Loop: Header=BB365_562 Depth=1
	v_bfe_u32 v5, v4, 16, 1
	v_add3_u32 v4, v4, v5, s24
	v_accvgpr_write_b32 a25, v4
                                        ; implicit-def: $vgpr4
; %bb.1105:                             ;   in Loop: Header=BB365_562 Depth=1
	s_andn2_saveexec_b64 s[22:23], s[4:5]
; %bb.1106:                             ;   in Loop: Header=BB365_562 Depth=1
	v_or_b32_e32 v5, 0x10000, v4
	v_cmp_eq_u32_sdwa s[4:5], v4, v49 src0_sel:WORD_0 src1_sel:DWORD
	s_nop 1
	v_cndmask_b32_e64 v4, v5, v4, s[4:5]
	v_accvgpr_write_b32 a25, v4
; %bb.1107:                             ;   in Loop: Header=BB365_562 Depth=1
	s_or_b64 exec, exec, s[22:23]
	v_lshlrev_b32_e32 v4, 16, v8
	v_mul_f32_e32 v4, v44, v4
	v_and_b32_e32 v5, 0x7f800000, v4
	v_cmp_ne_u32_e64 s[4:5], s15, v5
                                        ; implicit-def: $agpr18
	s_and_saveexec_b64 s[22:23], s[4:5]
	s_xor_b64 s[4:5], exec, s[22:23]
; %bb.1108:                             ;   in Loop: Header=BB365_562 Depth=1
	v_bfe_u32 v5, v4, 16, 1
	v_add3_u32 v4, v4, v5, s24
	v_accvgpr_write_b32 a18, v4
                                        ; implicit-def: $vgpr4
; %bb.1109:                             ;   in Loop: Header=BB365_562 Depth=1
	s_andn2_saveexec_b64 s[22:23], s[4:5]
; %bb.1110:                             ;   in Loop: Header=BB365_562 Depth=1
	v_or_b32_e32 v5, 0x10000, v4
	v_cmp_eq_u32_sdwa s[4:5], v4, v49 src0_sel:WORD_0 src1_sel:DWORD
	s_nop 1
	v_cndmask_b32_e64 v4, v5, v4, s[4:5]
	v_accvgpr_write_b32 a18, v4
; %bb.1111:                             ;   in Loop: Header=BB365_562 Depth=1
	s_or_b64 exec, exec, s[22:23]
	v_lshlrev_b32_e32 v4, 16, v6
	v_mul_f32_e32 v4, v46, v4
	v_and_b32_e32 v5, 0x7f800000, v4
	v_cmp_ne_u32_e64 s[4:5], s15, v5
                                        ; implicit-def: $agpr35
	s_and_saveexec_b64 s[22:23], s[4:5]
	s_xor_b64 s[4:5], exec, s[22:23]
; %bb.1112:                             ;   in Loop: Header=BB365_562 Depth=1
	v_bfe_u32 v5, v4, 16, 1
	v_add3_u32 v4, v4, v5, s24
	v_accvgpr_write_b32 a35, v4
                                        ; implicit-def: $vgpr4
; %bb.1113:                             ;   in Loop: Header=BB365_562 Depth=1
	s_andn2_saveexec_b64 s[22:23], s[4:5]
; %bb.1114:                             ;   in Loop: Header=BB365_562 Depth=1
	v_or_b32_e32 v5, 0x10000, v4
	v_cmp_eq_u32_sdwa s[4:5], v4, v49 src0_sel:WORD_0 src1_sel:DWORD
	s_nop 1
	v_cndmask_b32_e64 v4, v5, v4, s[4:5]
	v_accvgpr_write_b32 a35, v4
; %bb.1115:                             ;   in Loop: Header=BB365_562 Depth=1
	s_or_b64 exec, exec, s[22:23]
	v_lshlrev_b32_e32 v3, 16, v3
	v_mul_f32_e32 v3, v47, v3
	v_and_b32_e32 v4, 0x7f800000, v3
	v_cmp_ne_u32_e64 s[4:5], s15, v4
                                        ; implicit-def: $agpr4
	s_and_saveexec_b64 s[22:23], s[4:5]
	s_xor_b64 s[4:5], exec, s[22:23]
; %bb.1116:                             ;   in Loop: Header=BB365_562 Depth=1
	v_bfe_u32 v4, v3, 16, 1
	v_add3_u32 v3, v3, v4, s24
	v_accvgpr_write_b32 a4, v3
                                        ; implicit-def: $vgpr3
; %bb.1117:                             ;   in Loop: Header=BB365_562 Depth=1
	s_andn2_saveexec_b64 s[22:23], s[4:5]
; %bb.1118:                             ;   in Loop: Header=BB365_562 Depth=1
	v_or_b32_e32 v4, 0x10000, v3
	v_cmp_eq_u32_sdwa s[4:5], v3, v49 src0_sel:WORD_0 src1_sel:DWORD
	s_nop 1
	v_cndmask_b32_e64 v3, v4, v3, s[4:5]
	v_accvgpr_write_b32 a4, v3
; %bb.1119:                             ;   in Loop: Header=BB365_562 Depth=1
	s_or_b64 exec, exec, s[22:23]
	v_lshlrev_b32_e32 v2, 16, v2
	v_mul_f32_e32 v2, v58, v2
	v_and_b32_e32 v3, 0x7f800000, v2
	v_cmp_ne_u32_e64 s[4:5], s15, v3
                                        ; implicit-def: $agpr5
	s_and_saveexec_b64 s[22:23], s[4:5]
	s_xor_b64 s[4:5], exec, s[22:23]
; %bb.1120:                             ;   in Loop: Header=BB365_562 Depth=1
	v_bfe_u32 v3, v2, 16, 1
	v_add3_u32 v2, v2, v3, s24
	v_accvgpr_write_b32 a5, v2
                                        ; implicit-def: $vgpr2
; %bb.1121:                             ;   in Loop: Header=BB365_562 Depth=1
	s_andn2_saveexec_b64 s[22:23], s[4:5]
; %bb.1122:                             ;   in Loop: Header=BB365_562 Depth=1
	v_or_b32_e32 v3, 0x10000, v2
	v_cmp_eq_u32_sdwa s[4:5], v2, v49 src0_sel:WORD_0 src1_sel:DWORD
	s_nop 1
	v_cndmask_b32_e64 v2, v3, v2, s[4:5]
	v_accvgpr_write_b32 a5, v2
; %bb.1123:                             ;   in Loop: Header=BB365_562 Depth=1
	s_or_b64 exec, exec, s[22:23]
	scratch_load_dwordx2 v[2:3], off, s32 offset:496 ; 8-byte Folded Reload
	s_waitcnt vmcnt(0)
	v_lshl_add_u64 v[2:3], v[0:1], 0, v[2:3]
	flat_load_dwordx2 v[2:3], v[2:3]
	s_waitcnt vmcnt(0) lgkmcnt(0)
	v_and_b32_e32 v4, 0xff, v2
	v_cvt_f32_fp8_sdwa v4, v4 src0_sel:BYTE_0
	s_nop 0
	v_mul_f32_e32 v5, v57, v4
	v_and_b32_e32 v4, 0x7f800000, v5
	v_cmp_ne_u32_e64 s[4:5], s15, v4
                                        ; implicit-def: $vgpr4
	s_and_saveexec_b64 s[22:23], s[4:5]
	s_xor_b64 s[4:5], exec, s[22:23]
; %bb.1124:                             ;   in Loop: Header=BB365_562 Depth=1
	v_bfe_u32 v4, v5, 16, 1
	v_add3_u32 v4, v5, v4, s24
                                        ; implicit-def: $vgpr5
; %bb.1125:                             ;   in Loop: Header=BB365_562 Depth=1
	s_andn2_saveexec_b64 s[22:23], s[4:5]
; %bb.1126:                             ;   in Loop: Header=BB365_562 Depth=1
	v_or_b32_e32 v4, 0x10000, v5
	v_cmp_eq_u32_sdwa s[4:5], v5, v49 src0_sel:WORD_0 src1_sel:DWORD
	s_nop 1
	v_cndmask_b32_e64 v4, v4, v5, s[4:5]
; %bb.1127:                             ;   in Loop: Header=BB365_562 Depth=1
	s_or_b64 exec, exec, s[22:23]
	v_bfe_u32 v5, v2, 8, 8
	v_cvt_f32_fp8_sdwa v5, v5 src0_sel:BYTE_0
	s_nop 0
	v_mul_f32_e32 v6, v57, v5
	v_and_b32_e32 v5, 0x7f800000, v6
	v_cmp_ne_u32_e64 s[4:5], s15, v5
                                        ; implicit-def: $vgpr5
	s_and_saveexec_b64 s[22:23], s[4:5]
	s_xor_b64 s[4:5], exec, s[22:23]
; %bb.1128:                             ;   in Loop: Header=BB365_562 Depth=1
	v_bfe_u32 v5, v6, 16, 1
	v_add3_u32 v5, v6, v5, s24
                                        ; implicit-def: $vgpr6
; %bb.1129:                             ;   in Loop: Header=BB365_562 Depth=1
	s_andn2_saveexec_b64 s[22:23], s[4:5]
; %bb.1130:                             ;   in Loop: Header=BB365_562 Depth=1
	v_or_b32_e32 v5, 0x10000, v6
	v_cmp_eq_u32_sdwa s[4:5], v6, v49 src0_sel:WORD_0 src1_sel:DWORD
	s_nop 1
	v_cndmask_b32_e64 v5, v5, v6, s[4:5]
; %bb.1131:                             ;   in Loop: Header=BB365_562 Depth=1
	s_or_b64 exec, exec, s[22:23]
	v_bfe_u32 v6, v2, 16, 8
	v_cvt_f32_fp8_sdwa v6, v6 src0_sel:BYTE_0
	s_nop 0
	v_mul_f32_e32 v6, v57, v6
	v_and_b32_e32 v7, 0x7f800000, v6
	v_cmp_ne_u32_e64 s[4:5], s15, v7
                                        ; implicit-def: $vgpr7
	s_and_saveexec_b64 s[22:23], s[4:5]
	s_xor_b64 s[4:5], exec, s[22:23]
; %bb.1132:                             ;   in Loop: Header=BB365_562 Depth=1
	v_bfe_u32 v7, v6, 16, 1
	v_add3_u32 v7, v6, v7, s24
                                        ; implicit-def: $vgpr6
; %bb.1133:                             ;   in Loop: Header=BB365_562 Depth=1
	s_andn2_saveexec_b64 s[22:23], s[4:5]
; %bb.1134:                             ;   in Loop: Header=BB365_562 Depth=1
	v_or_b32_e32 v7, 0x10000, v6
	v_cmp_eq_u32_sdwa s[4:5], v6, v49 src0_sel:WORD_0 src1_sel:DWORD
	s_nop 1
	v_cndmask_b32_e64 v7, v7, v6, s[4:5]
; %bb.1135:                             ;   in Loop: Header=BB365_562 Depth=1
	s_or_b64 exec, exec, s[22:23]
	v_lshrrev_b32_e32 v2, 24, v2
	v_cvt_f32_fp8_sdwa v2, v2 src0_sel:BYTE_0
	s_nop 0
	v_mul_f32_e32 v6, v57, v2
	v_and_b32_e32 v2, 0x7f800000, v6
	v_cmp_ne_u32_e64 s[4:5], s15, v2
                                        ; implicit-def: $vgpr2
	s_and_saveexec_b64 s[22:23], s[4:5]
	s_xor_b64 s[4:5], exec, s[22:23]
; %bb.1136:                             ;   in Loop: Header=BB365_562 Depth=1
	v_bfe_u32 v2, v6, 16, 1
	v_add3_u32 v2, v6, v2, s24
                                        ; implicit-def: $vgpr6
; %bb.1137:                             ;   in Loop: Header=BB365_562 Depth=1
	s_andn2_saveexec_b64 s[22:23], s[4:5]
; %bb.1138:                             ;   in Loop: Header=BB365_562 Depth=1
	v_or_b32_e32 v2, 0x10000, v6
	v_cmp_eq_u32_sdwa s[4:5], v6, v49 src0_sel:WORD_0 src1_sel:DWORD
	s_nop 1
	v_cndmask_b32_e64 v2, v2, v6, s[4:5]
; %bb.1139:                             ;   in Loop: Header=BB365_562 Depth=1
	s_or_b64 exec, exec, s[22:23]
	v_and_b32_e32 v6, 0xff, v3
	v_cvt_f32_fp8_sdwa v6, v6 src0_sel:BYTE_0
	s_nop 0
	v_mul_f32_e32 v6, v57, v6
	v_and_b32_e32 v8, 0x7f800000, v6
	v_cmp_ne_u32_e64 s[4:5], s15, v8
                                        ; implicit-def: $vgpr8
	s_and_saveexec_b64 s[22:23], s[4:5]
	s_xor_b64 s[4:5], exec, s[22:23]
; %bb.1140:                             ;   in Loop: Header=BB365_562 Depth=1
	v_bfe_u32 v8, v6, 16, 1
	v_add3_u32 v8, v6, v8, s24
                                        ; implicit-def: $vgpr6
; %bb.1141:                             ;   in Loop: Header=BB365_562 Depth=1
	s_andn2_saveexec_b64 s[22:23], s[4:5]
; %bb.1142:                             ;   in Loop: Header=BB365_562 Depth=1
	v_or_b32_e32 v8, 0x10000, v6
	v_cmp_eq_u32_sdwa s[4:5], v6, v49 src0_sel:WORD_0 src1_sel:DWORD
	s_nop 1
	v_cndmask_b32_e64 v8, v8, v6, s[4:5]
; %bb.1143:                             ;   in Loop: Header=BB365_562 Depth=1
	s_or_b64 exec, exec, s[22:23]
	v_bfe_u32 v6, v3, 8, 8
	v_cvt_f32_fp8_sdwa v6, v6 src0_sel:BYTE_0
	s_nop 0
	v_mul_f32_e32 v9, v57, v6
	v_and_b32_e32 v6, 0x7f800000, v9
	v_cmp_ne_u32_e64 s[4:5], s15, v6
                                        ; implicit-def: $vgpr6
	s_and_saveexec_b64 s[22:23], s[4:5]
	s_xor_b64 s[4:5], exec, s[22:23]
; %bb.1144:                             ;   in Loop: Header=BB365_562 Depth=1
	v_bfe_u32 v6, v9, 16, 1
	v_add3_u32 v6, v9, v6, s24
                                        ; implicit-def: $vgpr9
; %bb.1145:                             ;   in Loop: Header=BB365_562 Depth=1
	s_andn2_saveexec_b64 s[22:23], s[4:5]
; %bb.1146:                             ;   in Loop: Header=BB365_562 Depth=1
	v_or_b32_e32 v6, 0x10000, v9
	v_cmp_eq_u32_sdwa s[4:5], v9, v49 src0_sel:WORD_0 src1_sel:DWORD
	s_nop 1
	v_cndmask_b32_e64 v6, v6, v9, s[4:5]
; %bb.1147:                             ;   in Loop: Header=BB365_562 Depth=1
	s_or_b64 exec, exec, s[22:23]
	v_bfe_u32 v9, v3, 16, 8
	v_cvt_f32_fp8_sdwa v9, v9 src0_sel:BYTE_0
	s_nop 0
	v_mul_f32_e32 v9, v57, v9
	v_and_b32_e32 v10, 0x7f800000, v9
	v_cmp_ne_u32_e64 s[4:5], s15, v10
                                        ; implicit-def: $vgpr10
	s_and_saveexec_b64 s[22:23], s[4:5]
	s_xor_b64 s[4:5], exec, s[22:23]
; %bb.1148:                             ;   in Loop: Header=BB365_562 Depth=1
	v_bfe_u32 v10, v9, 16, 1
	v_add3_u32 v10, v9, v10, s24
                                        ; implicit-def: $vgpr9
; %bb.1149:                             ;   in Loop: Header=BB365_562 Depth=1
	s_andn2_saveexec_b64 s[22:23], s[4:5]
; %bb.1150:                             ;   in Loop: Header=BB365_562 Depth=1
	v_or_b32_e32 v10, 0x10000, v9
	v_cmp_eq_u32_sdwa s[4:5], v9, v49 src0_sel:WORD_0 src1_sel:DWORD
	s_nop 1
	v_cndmask_b32_e64 v10, v10, v9, s[4:5]
; %bb.1151:                             ;   in Loop: Header=BB365_562 Depth=1
	s_or_b64 exec, exec, s[22:23]
	v_lshrrev_b32_e32 v3, 24, v3
	v_cvt_f32_fp8_sdwa v3, v3 src0_sel:BYTE_0
                                        ; implicit-def: $vgpr11
	s_nop 0
	v_mul_f32_e32 v3, v57, v3
	v_and_b32_e32 v9, 0x7f800000, v3
	v_cmp_ne_u32_e64 s[4:5], s15, v9
	s_and_saveexec_b64 s[22:23], s[4:5]
	s_xor_b64 s[4:5], exec, s[22:23]
; %bb.1152:                             ;   in Loop: Header=BB365_562 Depth=1
	v_bfe_u32 v9, v3, 16, 1
	v_add3_u32 v11, v3, v9, s24
                                        ; implicit-def: $vgpr3
; %bb.1153:                             ;   in Loop: Header=BB365_562 Depth=1
	s_andn2_saveexec_b64 s[22:23], s[4:5]
; %bb.1154:                             ;   in Loop: Header=BB365_562 Depth=1
	v_or_b32_e32 v9, 0x10000, v3
	v_cmp_eq_u32_sdwa s[4:5], v3, v49 src0_sel:WORD_0 src1_sel:DWORD
	s_nop 1
	v_cndmask_b32_e64 v11, v9, v3, s[4:5]
; %bb.1155:                             ;   in Loop: Header=BB365_562 Depth=1
	s_or_b64 exec, exec, s[22:23]
	v_lshrrev_b32_e32 v6, 16, v6
	v_lshrrev_b32_e32 v8, 16, v8
	;; [unrolled: 1-line block ×8, first 2 shown]
	s_and_saveexec_b64 s[22:23], vcc
	s_cbranch_execz .LBB365_1157
; %bb.1156:                             ;   in Loop: Header=BB365_562 Depth=1
	scratch_load_dword v10, off, s32 offset:196 ; 4-byte Folded Reload
	v_accvgpr_read_b32 v11, a34
	s_waitcnt vmcnt(0)
	v_cmp_lt_i32_e64 s[4:5], v50, v10
	s_nop 1
	v_cndmask_b32_e64 v4, 0, v4, s[4:5]
	v_cmp_lt_i32_e64 s[4:5], v11, v10
	v_accvgpr_read_b32 v11, a2
	s_nop 0
	v_cndmask_b32_e64 v5, 0, v5, s[4:5]
	v_cmp_lt_i32_e64 s[4:5], v11, v10
	v_accvgpr_read_b32 v11, a1
	;; [unrolled: 4-line block ×6, first 2 shown]
	s_nop 0
	v_cndmask_b32_e64 v3, 0, v3, s[4:5]
	v_cmp_lt_i32_e64 s[4:5], v11, v10
	s_nop 1
	v_cndmask_b32_e64 v2, 0, v2, s[4:5]
.LBB365_1157:                           ;   in Loop: Header=BB365_562 Depth=1
	s_or_b64 exec, exec, s[22:23]
	v_lshlrev_b32_e32 v4, 16, v4
	v_mul_f32_e32 v4, v30, v4
	v_and_b32_e32 v10, 0x7f800000, v4
	v_cmp_ne_u32_e64 s[4:5], s15, v10
                                        ; implicit-def: $agpr48
	s_and_saveexec_b64 s[22:23], s[4:5]
	s_xor_b64 s[4:5], exec, s[22:23]
; %bb.1158:                             ;   in Loop: Header=BB365_562 Depth=1
	v_bfe_u32 v10, v4, 16, 1
	v_add3_u32 v4, v4, v10, s24
	v_accvgpr_write_b32 a48, v4
                                        ; implicit-def: $vgpr4
; %bb.1159:                             ;   in Loop: Header=BB365_562 Depth=1
	s_andn2_saveexec_b64 s[22:23], s[4:5]
; %bb.1160:                             ;   in Loop: Header=BB365_562 Depth=1
	v_or_b32_e32 v10, 0x10000, v4
	v_cmp_eq_u32_sdwa s[4:5], v4, v49 src0_sel:WORD_0 src1_sel:DWORD
	s_nop 1
	v_cndmask_b32_e64 v4, v10, v4, s[4:5]
	v_accvgpr_write_b32 a48, v4
; %bb.1161:                             ;   in Loop: Header=BB365_562 Depth=1
	s_or_b64 exec, exec, s[22:23]
	v_lshlrev_b32_e32 v4, 16, v5
	v_mul_f32_e32 v4, v31, v4
	v_and_b32_e32 v5, 0x7f800000, v4
	v_cmp_ne_u32_e64 s[4:5], s15, v5
                                        ; implicit-def: $agpr36
	s_and_saveexec_b64 s[22:23], s[4:5]
	s_xor_b64 s[4:5], exec, s[22:23]
; %bb.1162:                             ;   in Loop: Header=BB365_562 Depth=1
	v_bfe_u32 v5, v4, 16, 1
	v_add3_u32 v4, v4, v5, s24
	v_accvgpr_write_b32 a36, v4
                                        ; implicit-def: $vgpr4
; %bb.1163:                             ;   in Loop: Header=BB365_562 Depth=1
	s_andn2_saveexec_b64 s[22:23], s[4:5]
; %bb.1164:                             ;   in Loop: Header=BB365_562 Depth=1
	v_or_b32_e32 v5, 0x10000, v4
	v_cmp_eq_u32_sdwa s[4:5], v4, v49 src0_sel:WORD_0 src1_sel:DWORD
	s_nop 1
	v_cndmask_b32_e64 v4, v5, v4, s[4:5]
	v_accvgpr_write_b32 a36, v4
; %bb.1165:                             ;   in Loop: Header=BB365_562 Depth=1
	s_or_b64 exec, exec, s[22:23]
	v_lshlrev_b32_e32 v4, 16, v7
	v_mul_f32_e32 v4, v42, v4
	v_and_b32_e32 v5, 0x7f800000, v4
	v_cmp_ne_u32_e64 s[4:5], s15, v5
                                        ; implicit-def: $agpr37
	s_and_saveexec_b64 s[22:23], s[4:5]
	s_xor_b64 s[4:5], exec, s[22:23]
; %bb.1166:                             ;   in Loop: Header=BB365_562 Depth=1
	v_bfe_u32 v5, v4, 16, 1
	v_add3_u32 v4, v4, v5, s24
	v_accvgpr_write_b32 a37, v4
                                        ; implicit-def: $vgpr4
; %bb.1167:                             ;   in Loop: Header=BB365_562 Depth=1
	s_andn2_saveexec_b64 s[22:23], s[4:5]
; %bb.1168:                             ;   in Loop: Header=BB365_562 Depth=1
	v_or_b32_e32 v5, 0x10000, v4
	v_cmp_eq_u32_sdwa s[4:5], v4, v49 src0_sel:WORD_0 src1_sel:DWORD
	s_nop 1
	v_cndmask_b32_e64 v4, v5, v4, s[4:5]
	v_accvgpr_write_b32 a37, v4
; %bb.1169:                             ;   in Loop: Header=BB365_562 Depth=1
	s_or_b64 exec, exec, s[22:23]
	v_lshlrev_b32_e32 v4, 16, v9
	v_mul_f32_e32 v4, v43, v4
	v_and_b32_e32 v5, 0x7f800000, v4
	v_cmp_ne_u32_e64 s[4:5], s15, v5
                                        ; implicit-def: $agpr40
	s_and_saveexec_b64 s[22:23], s[4:5]
	s_xor_b64 s[4:5], exec, s[22:23]
; %bb.1170:                             ;   in Loop: Header=BB365_562 Depth=1
	v_bfe_u32 v5, v4, 16, 1
	v_add3_u32 v4, v4, v5, s24
	v_accvgpr_write_b32 a40, v4
                                        ; implicit-def: $vgpr4
; %bb.1171:                             ;   in Loop: Header=BB365_562 Depth=1
	s_andn2_saveexec_b64 s[22:23], s[4:5]
; %bb.1172:                             ;   in Loop: Header=BB365_562 Depth=1
	v_or_b32_e32 v5, 0x10000, v4
	v_cmp_eq_u32_sdwa s[4:5], v4, v49 src0_sel:WORD_0 src1_sel:DWORD
	s_nop 1
	v_cndmask_b32_e64 v4, v5, v4, s[4:5]
	v_accvgpr_write_b32 a40, v4
; %bb.1173:                             ;   in Loop: Header=BB365_562 Depth=1
	s_or_b64 exec, exec, s[22:23]
	v_lshlrev_b32_e32 v4, 16, v8
	v_mul_f32_e32 v4, v44, v4
	v_and_b32_e32 v5, 0x7f800000, v4
	v_cmp_ne_u32_e64 s[4:5], s15, v5
                                        ; implicit-def: $agpr41
	s_and_saveexec_b64 s[22:23], s[4:5]
	s_xor_b64 s[4:5], exec, s[22:23]
; %bb.1174:                             ;   in Loop: Header=BB365_562 Depth=1
	v_bfe_u32 v5, v4, 16, 1
	v_add3_u32 v4, v4, v5, s24
	v_accvgpr_write_b32 a41, v4
                                        ; implicit-def: $vgpr4
; %bb.1175:                             ;   in Loop: Header=BB365_562 Depth=1
	s_andn2_saveexec_b64 s[22:23], s[4:5]
; %bb.1176:                             ;   in Loop: Header=BB365_562 Depth=1
	v_or_b32_e32 v5, 0x10000, v4
	v_cmp_eq_u32_sdwa s[4:5], v4, v49 src0_sel:WORD_0 src1_sel:DWORD
	s_nop 1
	v_cndmask_b32_e64 v4, v5, v4, s[4:5]
	v_accvgpr_write_b32 a41, v4
; %bb.1177:                             ;   in Loop: Header=BB365_562 Depth=1
	s_or_b64 exec, exec, s[22:23]
	v_lshlrev_b32_e32 v4, 16, v6
	v_mul_f32_e32 v4, v46, v4
	v_and_b32_e32 v5, 0x7f800000, v4
	v_cmp_ne_u32_e64 s[4:5], s15, v5
                                        ; implicit-def: $agpr21
	s_and_saveexec_b64 s[22:23], s[4:5]
	s_xor_b64 s[4:5], exec, s[22:23]
; %bb.1178:                             ;   in Loop: Header=BB365_562 Depth=1
	v_bfe_u32 v5, v4, 16, 1
	v_add3_u32 v4, v4, v5, s24
	v_accvgpr_write_b32 a21, v4
                                        ; implicit-def: $vgpr4
; %bb.1179:                             ;   in Loop: Header=BB365_562 Depth=1
	s_andn2_saveexec_b64 s[22:23], s[4:5]
; %bb.1180:                             ;   in Loop: Header=BB365_562 Depth=1
	v_or_b32_e32 v5, 0x10000, v4
	v_cmp_eq_u32_sdwa s[4:5], v4, v49 src0_sel:WORD_0 src1_sel:DWORD
	s_nop 1
	v_cndmask_b32_e64 v4, v5, v4, s[4:5]
	v_accvgpr_write_b32 a21, v4
; %bb.1181:                             ;   in Loop: Header=BB365_562 Depth=1
	s_or_b64 exec, exec, s[22:23]
	v_lshlrev_b32_e32 v3, 16, v3
	v_mul_f32_e32 v3, v47, v3
	v_and_b32_e32 v4, 0x7f800000, v3
	v_cmp_ne_u32_e64 s[4:5], s15, v4
                                        ; implicit-def: $agpr42
	s_and_saveexec_b64 s[22:23], s[4:5]
	s_xor_b64 s[4:5], exec, s[22:23]
; %bb.1182:                             ;   in Loop: Header=BB365_562 Depth=1
	v_bfe_u32 v4, v3, 16, 1
	v_add3_u32 v3, v3, v4, s24
	v_accvgpr_write_b32 a42, v3
                                        ; implicit-def: $vgpr3
; %bb.1183:                             ;   in Loop: Header=BB365_562 Depth=1
	s_andn2_saveexec_b64 s[22:23], s[4:5]
; %bb.1184:                             ;   in Loop: Header=BB365_562 Depth=1
	v_or_b32_e32 v4, 0x10000, v3
	v_cmp_eq_u32_sdwa s[4:5], v3, v49 src0_sel:WORD_0 src1_sel:DWORD
	s_nop 1
	v_cndmask_b32_e64 v3, v4, v3, s[4:5]
	v_accvgpr_write_b32 a42, v3
; %bb.1185:                             ;   in Loop: Header=BB365_562 Depth=1
	s_or_b64 exec, exec, s[22:23]
	v_lshlrev_b32_e32 v2, 16, v2
	v_mul_f32_e32 v2, v58, v2
	v_and_b32_e32 v3, 0x7f800000, v2
	v_cmp_ne_u32_e64 s[4:5], s15, v3
                                        ; implicit-def: $agpr43
	s_and_saveexec_b64 s[22:23], s[4:5]
	s_xor_b64 s[4:5], exec, s[22:23]
; %bb.1186:                             ;   in Loop: Header=BB365_562 Depth=1
	v_bfe_u32 v3, v2, 16, 1
	v_add3_u32 v2, v2, v3, s24
	v_accvgpr_write_b32 a43, v2
                                        ; implicit-def: $vgpr2
; %bb.1187:                             ;   in Loop: Header=BB365_562 Depth=1
	s_andn2_saveexec_b64 s[22:23], s[4:5]
; %bb.1188:                             ;   in Loop: Header=BB365_562 Depth=1
	v_or_b32_e32 v3, 0x10000, v2
	v_cmp_eq_u32_sdwa s[4:5], v2, v49 src0_sel:WORD_0 src1_sel:DWORD
	s_nop 1
	v_cndmask_b32_e64 v2, v3, v2, s[4:5]
	v_accvgpr_write_b32 a43, v2
; %bb.1189:                             ;   in Loop: Header=BB365_562 Depth=1
	s_or_b64 exec, exec, s[22:23]
	scratch_load_dwordx2 v[2:3], off, s32 offset:504 ; 8-byte Folded Reload
	s_waitcnt vmcnt(0)
	v_lshl_add_u64 v[2:3], v[0:1], 0, v[2:3]
	flat_load_dwordx2 v[2:3], v[2:3]
	s_waitcnt vmcnt(0) lgkmcnt(0)
	v_and_b32_e32 v4, 0xff, v2
	v_cvt_f32_fp8_sdwa v4, v4 src0_sel:BYTE_0
	s_nop 0
	v_mul_f32_e32 v5, v57, v4
	v_and_b32_e32 v4, 0x7f800000, v5
	v_cmp_ne_u32_e64 s[4:5], s15, v4
                                        ; implicit-def: $vgpr4
	s_and_saveexec_b64 s[22:23], s[4:5]
	s_xor_b64 s[4:5], exec, s[22:23]
; %bb.1190:                             ;   in Loop: Header=BB365_562 Depth=1
	v_bfe_u32 v4, v5, 16, 1
	v_add3_u32 v4, v5, v4, s24
                                        ; implicit-def: $vgpr5
; %bb.1191:                             ;   in Loop: Header=BB365_562 Depth=1
	s_andn2_saveexec_b64 s[22:23], s[4:5]
; %bb.1192:                             ;   in Loop: Header=BB365_562 Depth=1
	v_or_b32_e32 v4, 0x10000, v5
	v_cmp_eq_u32_sdwa s[4:5], v5, v49 src0_sel:WORD_0 src1_sel:DWORD
	s_nop 1
	v_cndmask_b32_e64 v4, v4, v5, s[4:5]
; %bb.1193:                             ;   in Loop: Header=BB365_562 Depth=1
	s_or_b64 exec, exec, s[22:23]
	v_bfe_u32 v5, v2, 8, 8
	v_cvt_f32_fp8_sdwa v5, v5 src0_sel:BYTE_0
	s_nop 0
	v_mul_f32_e32 v6, v57, v5
	v_and_b32_e32 v5, 0x7f800000, v6
	v_cmp_ne_u32_e64 s[4:5], s15, v5
                                        ; implicit-def: $vgpr5
	s_and_saveexec_b64 s[22:23], s[4:5]
	s_xor_b64 s[4:5], exec, s[22:23]
; %bb.1194:                             ;   in Loop: Header=BB365_562 Depth=1
	v_bfe_u32 v5, v6, 16, 1
	v_add3_u32 v5, v6, v5, s24
                                        ; implicit-def: $vgpr6
; %bb.1195:                             ;   in Loop: Header=BB365_562 Depth=1
	s_andn2_saveexec_b64 s[22:23], s[4:5]
; %bb.1196:                             ;   in Loop: Header=BB365_562 Depth=1
	v_or_b32_e32 v5, 0x10000, v6
	v_cmp_eq_u32_sdwa s[4:5], v6, v49 src0_sel:WORD_0 src1_sel:DWORD
	s_nop 1
	v_cndmask_b32_e64 v5, v5, v6, s[4:5]
; %bb.1197:                             ;   in Loop: Header=BB365_562 Depth=1
	s_or_b64 exec, exec, s[22:23]
	v_bfe_u32 v6, v2, 16, 8
	v_cvt_f32_fp8_sdwa v6, v6 src0_sel:BYTE_0
	s_nop 0
	v_mul_f32_e32 v6, v57, v6
	v_and_b32_e32 v7, 0x7f800000, v6
	v_cmp_ne_u32_e64 s[4:5], s15, v7
                                        ; implicit-def: $vgpr7
	s_and_saveexec_b64 s[22:23], s[4:5]
	s_xor_b64 s[4:5], exec, s[22:23]
; %bb.1198:                             ;   in Loop: Header=BB365_562 Depth=1
	v_bfe_u32 v7, v6, 16, 1
	v_add3_u32 v7, v6, v7, s24
                                        ; implicit-def: $vgpr6
; %bb.1199:                             ;   in Loop: Header=BB365_562 Depth=1
	s_andn2_saveexec_b64 s[22:23], s[4:5]
; %bb.1200:                             ;   in Loop: Header=BB365_562 Depth=1
	v_or_b32_e32 v7, 0x10000, v6
	v_cmp_eq_u32_sdwa s[4:5], v6, v49 src0_sel:WORD_0 src1_sel:DWORD
	s_nop 1
	v_cndmask_b32_e64 v7, v7, v6, s[4:5]
; %bb.1201:                             ;   in Loop: Header=BB365_562 Depth=1
	s_or_b64 exec, exec, s[22:23]
	v_lshrrev_b32_e32 v2, 24, v2
	v_cvt_f32_fp8_sdwa v2, v2 src0_sel:BYTE_0
	s_nop 0
	v_mul_f32_e32 v6, v57, v2
	v_and_b32_e32 v2, 0x7f800000, v6
	v_cmp_ne_u32_e64 s[4:5], s15, v2
                                        ; implicit-def: $vgpr2
	s_and_saveexec_b64 s[22:23], s[4:5]
	s_xor_b64 s[4:5], exec, s[22:23]
; %bb.1202:                             ;   in Loop: Header=BB365_562 Depth=1
	v_bfe_u32 v2, v6, 16, 1
	v_add3_u32 v2, v6, v2, s24
                                        ; implicit-def: $vgpr6
; %bb.1203:                             ;   in Loop: Header=BB365_562 Depth=1
	s_andn2_saveexec_b64 s[22:23], s[4:5]
; %bb.1204:                             ;   in Loop: Header=BB365_562 Depth=1
	v_or_b32_e32 v2, 0x10000, v6
	v_cmp_eq_u32_sdwa s[4:5], v6, v49 src0_sel:WORD_0 src1_sel:DWORD
	s_nop 1
	v_cndmask_b32_e64 v2, v2, v6, s[4:5]
; %bb.1205:                             ;   in Loop: Header=BB365_562 Depth=1
	s_or_b64 exec, exec, s[22:23]
	v_and_b32_e32 v6, 0xff, v3
	v_cvt_f32_fp8_sdwa v6, v6 src0_sel:BYTE_0
	s_nop 0
	v_mul_f32_e32 v6, v57, v6
	v_and_b32_e32 v8, 0x7f800000, v6
	v_cmp_ne_u32_e64 s[4:5], s15, v8
                                        ; implicit-def: $vgpr8
	s_and_saveexec_b64 s[22:23], s[4:5]
	s_xor_b64 s[4:5], exec, s[22:23]
; %bb.1206:                             ;   in Loop: Header=BB365_562 Depth=1
	v_bfe_u32 v8, v6, 16, 1
	v_add3_u32 v8, v6, v8, s24
                                        ; implicit-def: $vgpr6
; %bb.1207:                             ;   in Loop: Header=BB365_562 Depth=1
	s_andn2_saveexec_b64 s[22:23], s[4:5]
; %bb.1208:                             ;   in Loop: Header=BB365_562 Depth=1
	v_or_b32_e32 v8, 0x10000, v6
	v_cmp_eq_u32_sdwa s[4:5], v6, v49 src0_sel:WORD_0 src1_sel:DWORD
	s_nop 1
	v_cndmask_b32_e64 v8, v8, v6, s[4:5]
; %bb.1209:                             ;   in Loop: Header=BB365_562 Depth=1
	s_or_b64 exec, exec, s[22:23]
	v_bfe_u32 v6, v3, 8, 8
	v_cvt_f32_fp8_sdwa v6, v6 src0_sel:BYTE_0
	s_nop 0
	v_mul_f32_e32 v9, v57, v6
	v_and_b32_e32 v6, 0x7f800000, v9
	v_cmp_ne_u32_e64 s[4:5], s15, v6
                                        ; implicit-def: $vgpr6
	s_and_saveexec_b64 s[22:23], s[4:5]
	s_xor_b64 s[4:5], exec, s[22:23]
; %bb.1210:                             ;   in Loop: Header=BB365_562 Depth=1
	v_bfe_u32 v6, v9, 16, 1
	v_add3_u32 v6, v9, v6, s24
                                        ; implicit-def: $vgpr9
; %bb.1211:                             ;   in Loop: Header=BB365_562 Depth=1
	s_andn2_saveexec_b64 s[22:23], s[4:5]
; %bb.1212:                             ;   in Loop: Header=BB365_562 Depth=1
	v_or_b32_e32 v6, 0x10000, v9
	v_cmp_eq_u32_sdwa s[4:5], v9, v49 src0_sel:WORD_0 src1_sel:DWORD
	s_nop 1
	v_cndmask_b32_e64 v6, v6, v9, s[4:5]
; %bb.1213:                             ;   in Loop: Header=BB365_562 Depth=1
	s_or_b64 exec, exec, s[22:23]
	v_bfe_u32 v9, v3, 16, 8
	v_cvt_f32_fp8_sdwa v9, v9 src0_sel:BYTE_0
	s_nop 0
	v_mul_f32_e32 v9, v57, v9
	v_and_b32_e32 v10, 0x7f800000, v9
	v_cmp_ne_u32_e64 s[4:5], s15, v10
                                        ; implicit-def: $vgpr10
	s_and_saveexec_b64 s[22:23], s[4:5]
	s_xor_b64 s[4:5], exec, s[22:23]
; %bb.1214:                             ;   in Loop: Header=BB365_562 Depth=1
	v_bfe_u32 v10, v9, 16, 1
	v_add3_u32 v10, v9, v10, s24
                                        ; implicit-def: $vgpr9
; %bb.1215:                             ;   in Loop: Header=BB365_562 Depth=1
	s_andn2_saveexec_b64 s[22:23], s[4:5]
; %bb.1216:                             ;   in Loop: Header=BB365_562 Depth=1
	v_or_b32_e32 v10, 0x10000, v9
	v_cmp_eq_u32_sdwa s[4:5], v9, v49 src0_sel:WORD_0 src1_sel:DWORD
	s_nop 1
	v_cndmask_b32_e64 v10, v10, v9, s[4:5]
; %bb.1217:                             ;   in Loop: Header=BB365_562 Depth=1
	s_or_b64 exec, exec, s[22:23]
	v_lshrrev_b32_e32 v3, 24, v3
	v_cvt_f32_fp8_sdwa v3, v3 src0_sel:BYTE_0
                                        ; implicit-def: $vgpr11
	s_nop 0
	v_mul_f32_e32 v3, v57, v3
	v_and_b32_e32 v9, 0x7f800000, v3
	v_cmp_ne_u32_e64 s[4:5], s15, v9
	s_and_saveexec_b64 s[22:23], s[4:5]
	s_xor_b64 s[4:5], exec, s[22:23]
; %bb.1218:                             ;   in Loop: Header=BB365_562 Depth=1
	v_bfe_u32 v9, v3, 16, 1
	v_add3_u32 v11, v3, v9, s24
                                        ; implicit-def: $vgpr3
; %bb.1219:                             ;   in Loop: Header=BB365_562 Depth=1
	s_andn2_saveexec_b64 s[22:23], s[4:5]
; %bb.1220:                             ;   in Loop: Header=BB365_562 Depth=1
	v_or_b32_e32 v9, 0x10000, v3
	v_cmp_eq_u32_sdwa s[4:5], v3, v49 src0_sel:WORD_0 src1_sel:DWORD
	s_nop 1
	v_cndmask_b32_e64 v11, v9, v3, s[4:5]
; %bb.1221:                             ;   in Loop: Header=BB365_562 Depth=1
	s_or_b64 exec, exec, s[22:23]
	v_lshrrev_b32_e32 v6, 16, v6
	v_lshrrev_b32_e32 v8, 16, v8
	;; [unrolled: 1-line block ×8, first 2 shown]
	s_and_saveexec_b64 s[22:23], vcc
	s_cbranch_execz .LBB365_1223
; %bb.1222:                             ;   in Loop: Header=BB365_562 Depth=1
	scratch_load_dword v10, off, s32 offset:196 ; 4-byte Folded Reload
	v_accvgpr_read_b32 v11, a34
	s_waitcnt vmcnt(0)
	v_cmp_lt_i32_e64 s[4:5], v50, v10
	s_nop 1
	v_cndmask_b32_e64 v4, 0, v4, s[4:5]
	v_cmp_lt_i32_e64 s[4:5], v11, v10
	v_accvgpr_read_b32 v11, a2
	s_nop 0
	v_cndmask_b32_e64 v5, 0, v5, s[4:5]
	v_cmp_lt_i32_e64 s[4:5], v11, v10
	v_accvgpr_read_b32 v11, a1
	;; [unrolled: 4-line block ×6, first 2 shown]
	s_nop 0
	v_cndmask_b32_e64 v3, 0, v3, s[4:5]
	v_cmp_lt_i32_e64 s[4:5], v11, v10
	s_nop 1
	v_cndmask_b32_e64 v2, 0, v2, s[4:5]
.LBB365_1223:                           ;   in Loop: Header=BB365_562 Depth=1
	s_or_b64 exec, exec, s[22:23]
	v_lshlrev_b32_e32 v4, 16, v4
	v_mul_f32_e32 v4, v30, v4
	v_and_b32_e32 v10, 0x7f800000, v4
	v_cmp_ne_u32_e64 s[4:5], s15, v10
                                        ; implicit-def: $agpr44
	s_and_saveexec_b64 s[22:23], s[4:5]
	s_xor_b64 s[4:5], exec, s[22:23]
; %bb.1224:                             ;   in Loop: Header=BB365_562 Depth=1
	v_bfe_u32 v10, v4, 16, 1
	v_add3_u32 v4, v4, v10, s24
	v_accvgpr_write_b32 a44, v4
                                        ; implicit-def: $vgpr4
; %bb.1225:                             ;   in Loop: Header=BB365_562 Depth=1
	s_andn2_saveexec_b64 s[22:23], s[4:5]
; %bb.1226:                             ;   in Loop: Header=BB365_562 Depth=1
	v_or_b32_e32 v10, 0x10000, v4
	v_cmp_eq_u32_sdwa s[4:5], v4, v49 src0_sel:WORD_0 src1_sel:DWORD
	s_nop 1
	v_cndmask_b32_e64 v4, v10, v4, s[4:5]
	v_accvgpr_write_b32 a44, v4
; %bb.1227:                             ;   in Loop: Header=BB365_562 Depth=1
	s_or_b64 exec, exec, s[22:23]
	v_lshlrev_b32_e32 v4, 16, v5
	v_mul_f32_e32 v4, v31, v4
	v_and_b32_e32 v5, 0x7f800000, v4
	v_cmp_ne_u32_e64 s[4:5], s15, v5
                                        ; implicit-def: $agpr45
	s_and_saveexec_b64 s[22:23], s[4:5]
	s_xor_b64 s[4:5], exec, s[22:23]
; %bb.1228:                             ;   in Loop: Header=BB365_562 Depth=1
	v_bfe_u32 v5, v4, 16, 1
	v_add3_u32 v4, v4, v5, s24
	v_accvgpr_write_b32 a45, v4
                                        ; implicit-def: $vgpr4
; %bb.1229:                             ;   in Loop: Header=BB365_562 Depth=1
	s_andn2_saveexec_b64 s[22:23], s[4:5]
; %bb.1230:                             ;   in Loop: Header=BB365_562 Depth=1
	v_or_b32_e32 v5, 0x10000, v4
	v_cmp_eq_u32_sdwa s[4:5], v4, v49 src0_sel:WORD_0 src1_sel:DWORD
	s_nop 1
	v_cndmask_b32_e64 v4, v5, v4, s[4:5]
	v_accvgpr_write_b32 a45, v4
; %bb.1231:                             ;   in Loop: Header=BB365_562 Depth=1
	s_or_b64 exec, exec, s[22:23]
	v_lshlrev_b32_e32 v4, 16, v7
	v_mul_f32_e32 v4, v42, v4
	v_and_b32_e32 v5, 0x7f800000, v4
	v_cmp_ne_u32_e64 s[4:5], s15, v5
                                        ; implicit-def: $agpr46
	s_and_saveexec_b64 s[22:23], s[4:5]
	s_xor_b64 s[4:5], exec, s[22:23]
; %bb.1232:                             ;   in Loop: Header=BB365_562 Depth=1
	v_bfe_u32 v5, v4, 16, 1
	v_add3_u32 v4, v4, v5, s24
	v_accvgpr_write_b32 a46, v4
                                        ; implicit-def: $vgpr4
; %bb.1233:                             ;   in Loop: Header=BB365_562 Depth=1
	s_andn2_saveexec_b64 s[22:23], s[4:5]
; %bb.1234:                             ;   in Loop: Header=BB365_562 Depth=1
	v_or_b32_e32 v5, 0x10000, v4
	v_cmp_eq_u32_sdwa s[4:5], v4, v49 src0_sel:WORD_0 src1_sel:DWORD
	s_nop 1
	v_cndmask_b32_e64 v4, v5, v4, s[4:5]
	v_accvgpr_write_b32 a46, v4
; %bb.1235:                             ;   in Loop: Header=BB365_562 Depth=1
	s_or_b64 exec, exec, s[22:23]
	v_lshlrev_b32_e32 v4, 16, v9
	v_mul_f32_e32 v4, v43, v4
	v_and_b32_e32 v5, 0x7f800000, v4
	v_cmp_ne_u32_e64 s[4:5], s15, v5
                                        ; implicit-def: $agpr47
	s_and_saveexec_b64 s[22:23], s[4:5]
	s_xor_b64 s[4:5], exec, s[22:23]
; %bb.1236:                             ;   in Loop: Header=BB365_562 Depth=1
	v_bfe_u32 v5, v4, 16, 1
	v_add3_u32 v4, v4, v5, s24
	v_accvgpr_write_b32 a47, v4
                                        ; implicit-def: $vgpr4
; %bb.1237:                             ;   in Loop: Header=BB365_562 Depth=1
	s_andn2_saveexec_b64 s[22:23], s[4:5]
; %bb.1238:                             ;   in Loop: Header=BB365_562 Depth=1
	v_or_b32_e32 v5, 0x10000, v4
	v_cmp_eq_u32_sdwa s[4:5], v4, v49 src0_sel:WORD_0 src1_sel:DWORD
	s_nop 1
	v_cndmask_b32_e64 v4, v5, v4, s[4:5]
	v_accvgpr_write_b32 a47, v4
; %bb.1239:                             ;   in Loop: Header=BB365_562 Depth=1
	s_or_b64 exec, exec, s[22:23]
	v_lshlrev_b32_e32 v4, 16, v8
	v_mul_f32_e32 v4, v44, v4
	v_and_b32_e32 v5, 0x7f800000, v4
	v_cmp_ne_u32_e64 s[4:5], s15, v5
                                        ; implicit-def: $agpr50
	s_and_saveexec_b64 s[22:23], s[4:5]
	s_xor_b64 s[4:5], exec, s[22:23]
; %bb.1240:                             ;   in Loop: Header=BB365_562 Depth=1
	v_bfe_u32 v5, v4, 16, 1
	v_add3_u32 v4, v4, v5, s24
	v_accvgpr_write_b32 a50, v4
                                        ; implicit-def: $vgpr4
; %bb.1241:                             ;   in Loop: Header=BB365_562 Depth=1
	s_andn2_saveexec_b64 s[22:23], s[4:5]
; %bb.1242:                             ;   in Loop: Header=BB365_562 Depth=1
	v_or_b32_e32 v5, 0x10000, v4
	v_cmp_eq_u32_sdwa s[4:5], v4, v49 src0_sel:WORD_0 src1_sel:DWORD
	s_nop 1
	v_cndmask_b32_e64 v4, v5, v4, s[4:5]
	v_accvgpr_write_b32 a50, v4
; %bb.1243:                             ;   in Loop: Header=BB365_562 Depth=1
	s_or_b64 exec, exec, s[22:23]
	v_lshlrev_b32_e32 v4, 16, v6
	v_mul_f32_e32 v4, v46, v4
	v_and_b32_e32 v5, 0x7f800000, v4
	v_cmp_ne_u32_e64 s[4:5], s15, v5
                                        ; implicit-def: $agpr51
	s_and_saveexec_b64 s[22:23], s[4:5]
	s_xor_b64 s[4:5], exec, s[22:23]
; %bb.1244:                             ;   in Loop: Header=BB365_562 Depth=1
	v_bfe_u32 v5, v4, 16, 1
	v_add3_u32 v4, v4, v5, s24
	v_accvgpr_write_b32 a51, v4
                                        ; implicit-def: $vgpr4
; %bb.1245:                             ;   in Loop: Header=BB365_562 Depth=1
	s_andn2_saveexec_b64 s[22:23], s[4:5]
; %bb.1246:                             ;   in Loop: Header=BB365_562 Depth=1
	v_or_b32_e32 v5, 0x10000, v4
	v_cmp_eq_u32_sdwa s[4:5], v4, v49 src0_sel:WORD_0 src1_sel:DWORD
	s_nop 1
	v_cndmask_b32_e64 v4, v5, v4, s[4:5]
	v_accvgpr_write_b32 a51, v4
; %bb.1247:                             ;   in Loop: Header=BB365_562 Depth=1
	s_or_b64 exec, exec, s[22:23]
	v_lshlrev_b32_e32 v3, 16, v3
	v_mul_f32_e32 v3, v47, v3
	v_and_b32_e32 v4, 0x7f800000, v3
	v_cmp_ne_u32_e64 s[4:5], s15, v4
                                        ; implicit-def: $agpr52
	s_and_saveexec_b64 s[22:23], s[4:5]
	s_xor_b64 s[4:5], exec, s[22:23]
; %bb.1248:                             ;   in Loop: Header=BB365_562 Depth=1
	v_bfe_u32 v4, v3, 16, 1
	v_add3_u32 v3, v3, v4, s24
	v_accvgpr_write_b32 a52, v3
                                        ; implicit-def: $vgpr3
; %bb.1249:                             ;   in Loop: Header=BB365_562 Depth=1
	s_andn2_saveexec_b64 s[22:23], s[4:5]
; %bb.1250:                             ;   in Loop: Header=BB365_562 Depth=1
	v_or_b32_e32 v4, 0x10000, v3
	v_cmp_eq_u32_sdwa s[4:5], v3, v49 src0_sel:WORD_0 src1_sel:DWORD
	s_nop 1
	v_cndmask_b32_e64 v3, v4, v3, s[4:5]
	v_accvgpr_write_b32 a52, v3
; %bb.1251:                             ;   in Loop: Header=BB365_562 Depth=1
	s_or_b64 exec, exec, s[22:23]
	v_lshlrev_b32_e32 v2, 16, v2
	v_mul_f32_e32 v2, v58, v2
	v_and_b32_e32 v3, 0x7f800000, v2
	v_cmp_ne_u32_e64 s[4:5], s15, v3
                                        ; implicit-def: $agpr53
	s_and_saveexec_b64 s[22:23], s[4:5]
	s_xor_b64 s[4:5], exec, s[22:23]
; %bb.1252:                             ;   in Loop: Header=BB365_562 Depth=1
	v_bfe_u32 v3, v2, 16, 1
	v_add3_u32 v2, v2, v3, s24
	v_accvgpr_write_b32 a53, v2
                                        ; implicit-def: $vgpr2
; %bb.1253:                             ;   in Loop: Header=BB365_562 Depth=1
	s_andn2_saveexec_b64 s[22:23], s[4:5]
; %bb.1254:                             ;   in Loop: Header=BB365_562 Depth=1
	v_or_b32_e32 v3, 0x10000, v2
	v_cmp_eq_u32_sdwa s[4:5], v2, v49 src0_sel:WORD_0 src1_sel:DWORD
	s_nop 1
	v_cndmask_b32_e64 v2, v3, v2, s[4:5]
	v_accvgpr_write_b32 a53, v2
; %bb.1255:                             ;   in Loop: Header=BB365_562 Depth=1
	s_or_b64 exec, exec, s[22:23]
	scratch_load_dwordx2 v[2:3], off, s32 offset:512 ; 8-byte Folded Reload
	s_waitcnt vmcnt(0)
	v_lshl_add_u64 v[2:3], v[0:1], 0, v[2:3]
	flat_load_dwordx2 v[2:3], v[2:3]
	s_waitcnt vmcnt(0) lgkmcnt(0)
	v_and_b32_e32 v4, 0xff, v2
	v_cvt_f32_fp8_sdwa v4, v4 src0_sel:BYTE_0
	s_nop 0
	v_mul_f32_e32 v5, v57, v4
	v_and_b32_e32 v4, 0x7f800000, v5
	v_cmp_ne_u32_e64 s[4:5], s15, v4
                                        ; implicit-def: $vgpr4
	s_and_saveexec_b64 s[22:23], s[4:5]
	s_xor_b64 s[4:5], exec, s[22:23]
; %bb.1256:                             ;   in Loop: Header=BB365_562 Depth=1
	v_bfe_u32 v4, v5, 16, 1
	v_add3_u32 v4, v5, v4, s24
                                        ; implicit-def: $vgpr5
; %bb.1257:                             ;   in Loop: Header=BB365_562 Depth=1
	s_andn2_saveexec_b64 s[22:23], s[4:5]
; %bb.1258:                             ;   in Loop: Header=BB365_562 Depth=1
	v_or_b32_e32 v4, 0x10000, v5
	v_cmp_eq_u32_sdwa s[4:5], v5, v49 src0_sel:WORD_0 src1_sel:DWORD
	s_nop 1
	v_cndmask_b32_e64 v4, v4, v5, s[4:5]
; %bb.1259:                             ;   in Loop: Header=BB365_562 Depth=1
	s_or_b64 exec, exec, s[22:23]
	v_bfe_u32 v5, v2, 8, 8
	v_cvt_f32_fp8_sdwa v5, v5 src0_sel:BYTE_0
	s_nop 0
	v_mul_f32_e32 v6, v57, v5
	v_and_b32_e32 v5, 0x7f800000, v6
	v_cmp_ne_u32_e64 s[4:5], s15, v5
                                        ; implicit-def: $vgpr5
	s_and_saveexec_b64 s[22:23], s[4:5]
	s_xor_b64 s[4:5], exec, s[22:23]
; %bb.1260:                             ;   in Loop: Header=BB365_562 Depth=1
	v_bfe_u32 v5, v6, 16, 1
	v_add3_u32 v5, v6, v5, s24
                                        ; implicit-def: $vgpr6
; %bb.1261:                             ;   in Loop: Header=BB365_562 Depth=1
	s_andn2_saveexec_b64 s[22:23], s[4:5]
; %bb.1262:                             ;   in Loop: Header=BB365_562 Depth=1
	v_or_b32_e32 v5, 0x10000, v6
	v_cmp_eq_u32_sdwa s[4:5], v6, v49 src0_sel:WORD_0 src1_sel:DWORD
	s_nop 1
	v_cndmask_b32_e64 v5, v5, v6, s[4:5]
; %bb.1263:                             ;   in Loop: Header=BB365_562 Depth=1
	s_or_b64 exec, exec, s[22:23]
	v_bfe_u32 v6, v2, 16, 8
	v_cvt_f32_fp8_sdwa v6, v6 src0_sel:BYTE_0
	s_nop 0
	v_mul_f32_e32 v7, v57, v6
	v_and_b32_e32 v6, 0x7f800000, v7
	v_cmp_ne_u32_e64 s[4:5], s15, v6
                                        ; implicit-def: $vgpr6
	s_and_saveexec_b64 s[22:23], s[4:5]
	s_xor_b64 s[4:5], exec, s[22:23]
; %bb.1264:                             ;   in Loop: Header=BB365_562 Depth=1
	v_bfe_u32 v6, v7, 16, 1
	v_add3_u32 v6, v7, v6, s24
                                        ; implicit-def: $vgpr7
; %bb.1265:                             ;   in Loop: Header=BB365_562 Depth=1
	s_andn2_saveexec_b64 s[22:23], s[4:5]
; %bb.1266:                             ;   in Loop: Header=BB365_562 Depth=1
	v_or_b32_e32 v6, 0x10000, v7
	v_cmp_eq_u32_sdwa s[4:5], v7, v49 src0_sel:WORD_0 src1_sel:DWORD
	s_nop 1
	v_cndmask_b32_e64 v6, v6, v7, s[4:5]
; %bb.1267:                             ;   in Loop: Header=BB365_562 Depth=1
	s_or_b64 exec, exec, s[22:23]
	v_lshrrev_b32_e32 v2, 24, v2
	v_cvt_f32_fp8_sdwa v2, v2 src0_sel:BYTE_0
	s_nop 0
	v_mul_f32_e32 v7, v57, v2
	v_and_b32_e32 v2, 0x7f800000, v7
	v_cmp_ne_u32_e64 s[4:5], s15, v2
                                        ; implicit-def: $vgpr2
	s_and_saveexec_b64 s[22:23], s[4:5]
	s_xor_b64 s[4:5], exec, s[22:23]
; %bb.1268:                             ;   in Loop: Header=BB365_562 Depth=1
	v_bfe_u32 v2, v7, 16, 1
	v_add3_u32 v2, v7, v2, s24
                                        ; implicit-def: $vgpr7
; %bb.1269:                             ;   in Loop: Header=BB365_562 Depth=1
	s_andn2_saveexec_b64 s[22:23], s[4:5]
; %bb.1270:                             ;   in Loop: Header=BB365_562 Depth=1
	v_or_b32_e32 v2, 0x10000, v7
	v_cmp_eq_u32_sdwa s[4:5], v7, v49 src0_sel:WORD_0 src1_sel:DWORD
	s_nop 1
	v_cndmask_b32_e64 v2, v2, v7, s[4:5]
; %bb.1271:                             ;   in Loop: Header=BB365_562 Depth=1
	s_or_b64 exec, exec, s[22:23]
	v_and_b32_e32 v7, 0xff, v3
	v_cvt_f32_fp8_sdwa v7, v7 src0_sel:BYTE_0
	s_nop 0
	v_mul_f32_e32 v8, v57, v7
	v_and_b32_e32 v7, 0x7f800000, v8
	v_cmp_ne_u32_e64 s[4:5], s15, v7
                                        ; implicit-def: $vgpr7
	s_and_saveexec_b64 s[22:23], s[4:5]
	s_xor_b64 s[4:5], exec, s[22:23]
; %bb.1272:                             ;   in Loop: Header=BB365_562 Depth=1
	v_bfe_u32 v7, v8, 16, 1
	v_add3_u32 v7, v8, v7, s24
                                        ; implicit-def: $vgpr8
; %bb.1273:                             ;   in Loop: Header=BB365_562 Depth=1
	s_andn2_saveexec_b64 s[22:23], s[4:5]
; %bb.1274:                             ;   in Loop: Header=BB365_562 Depth=1
	v_or_b32_e32 v7, 0x10000, v8
	v_cmp_eq_u32_sdwa s[4:5], v8, v49 src0_sel:WORD_0 src1_sel:DWORD
	s_nop 1
	v_cndmask_b32_e64 v7, v7, v8, s[4:5]
; %bb.1275:                             ;   in Loop: Header=BB365_562 Depth=1
	s_or_b64 exec, exec, s[22:23]
	v_bfe_u32 v8, v3, 8, 8
	v_cvt_f32_fp8_sdwa v8, v8 src0_sel:BYTE_0
	s_nop 0
	v_mul_f32_e32 v9, v57, v8
	v_and_b32_e32 v8, 0x7f800000, v9
	v_cmp_ne_u32_e64 s[4:5], s15, v8
                                        ; implicit-def: $vgpr8
	s_and_saveexec_b64 s[22:23], s[4:5]
	s_xor_b64 s[4:5], exec, s[22:23]
; %bb.1276:                             ;   in Loop: Header=BB365_562 Depth=1
	v_bfe_u32 v8, v9, 16, 1
	v_add3_u32 v8, v9, v8, s24
                                        ; implicit-def: $vgpr9
; %bb.1277:                             ;   in Loop: Header=BB365_562 Depth=1
	s_andn2_saveexec_b64 s[22:23], s[4:5]
; %bb.1278:                             ;   in Loop: Header=BB365_562 Depth=1
	v_or_b32_e32 v8, 0x10000, v9
	v_cmp_eq_u32_sdwa s[4:5], v9, v49 src0_sel:WORD_0 src1_sel:DWORD
	s_nop 1
	v_cndmask_b32_e64 v8, v8, v9, s[4:5]
; %bb.1279:                             ;   in Loop: Header=BB365_562 Depth=1
	s_or_b64 exec, exec, s[22:23]
	v_bfe_u32 v9, v3, 16, 8
	v_cvt_f32_fp8_sdwa v9, v9 src0_sel:BYTE_0
                                        ; implicit-def: $vgpr11
	s_nop 0
	v_mul_f32_e32 v9, v57, v9
	v_and_b32_e32 v10, 0x7f800000, v9
	v_cmp_ne_u32_e64 s[4:5], s15, v10
	s_and_saveexec_b64 s[22:23], s[4:5]
	s_xor_b64 s[4:5], exec, s[22:23]
; %bb.1280:                             ;   in Loop: Header=BB365_562 Depth=1
	v_bfe_u32 v10, v9, 16, 1
	v_add3_u32 v11, v9, v10, s24
                                        ; implicit-def: $vgpr9
; %bb.1281:                             ;   in Loop: Header=BB365_562 Depth=1
	s_andn2_saveexec_b64 s[22:23], s[4:5]
; %bb.1282:                             ;   in Loop: Header=BB365_562 Depth=1
	v_or_b32_e32 v10, 0x10000, v9
	v_cmp_eq_u32_sdwa s[4:5], v9, v49 src0_sel:WORD_0 src1_sel:DWORD
	s_nop 1
	v_cndmask_b32_e64 v11, v10, v9, s[4:5]
; %bb.1283:                             ;   in Loop: Header=BB365_562 Depth=1
	s_or_b64 exec, exec, s[22:23]
	v_lshrrev_b32_e32 v3, 24, v3
	v_cvt_f32_fp8_sdwa v3, v3 src0_sel:BYTE_0
                                        ; implicit-def: $vgpr12
	s_nop 0
	v_mul_f32_e32 v3, v57, v3
	v_and_b32_e32 v9, 0x7f800000, v3
	v_cmp_ne_u32_e64 s[4:5], s15, v9
	s_and_saveexec_b64 s[22:23], s[4:5]
	s_xor_b64 s[4:5], exec, s[22:23]
; %bb.1284:                             ;   in Loop: Header=BB365_562 Depth=1
	v_bfe_u32 v9, v3, 16, 1
	v_add3_u32 v12, v3, v9, s24
                                        ; implicit-def: $vgpr3
; %bb.1285:                             ;   in Loop: Header=BB365_562 Depth=1
	s_andn2_saveexec_b64 s[22:23], s[4:5]
; %bb.1286:                             ;   in Loop: Header=BB365_562 Depth=1
	v_or_b32_e32 v9, 0x10000, v3
	v_cmp_eq_u32_sdwa s[4:5], v3, v49 src0_sel:WORD_0 src1_sel:DWORD
	s_nop 1
	v_cndmask_b32_e64 v12, v9, v3, s[4:5]
; %bb.1287:                             ;   in Loop: Header=BB365_562 Depth=1
	s_or_b64 exec, exec, s[22:23]
	v_lshrrev_b32_e32 v8, 16, v8
	v_lshrrev_b32_e32 v9, 16, v7
	;; [unrolled: 1-line block ×8, first 2 shown]
	s_and_saveexec_b64 s[22:23], vcc
	s_cbranch_execz .LBB365_1289
; %bb.1288:                             ;   in Loop: Header=BB365_562 Depth=1
	scratch_load_dword v6, off, s32 offset:196 ; 4-byte Folded Reload
	v_accvgpr_read_b32 v11, a34
	s_waitcnt vmcnt(0)
	v_cmp_lt_i32_e64 s[4:5], v50, v6
	s_nop 1
	v_cndmask_b32_e64 v4, 0, v4, s[4:5]
	v_cmp_lt_i32_e64 s[4:5], v11, v6
	v_accvgpr_read_b32 v11, a2
	s_nop 0
	v_cndmask_b32_e64 v5, 0, v5, s[4:5]
	v_cmp_lt_i32_e64 s[4:5], v11, v6
	v_accvgpr_read_b32 v11, a1
	;; [unrolled: 4-line block ×6, first 2 shown]
	s_nop 0
	v_cndmask_b32_e64 v3, 0, v3, s[4:5]
	v_cmp_lt_i32_e64 s[4:5], v11, v6
	s_nop 1
	v_cndmask_b32_e64 v2, 0, v2, s[4:5]
.LBB365_1289:                           ;   in Loop: Header=BB365_562 Depth=1
	s_or_b64 exec, exec, s[22:23]
	v_lshlrev_b32_e32 v4, 16, v4
	v_mul_f32_e32 v4, v30, v4
	v_and_b32_e32 v6, 0x7f800000, v4
	v_cmp_ne_u32_e64 s[4:5], s15, v6
                                        ; implicit-def: $agpr54
	s_and_saveexec_b64 s[22:23], s[4:5]
	s_xor_b64 s[4:5], exec, s[22:23]
; %bb.1290:                             ;   in Loop: Header=BB365_562 Depth=1
	v_bfe_u32 v6, v4, 16, 1
	v_add3_u32 v4, v4, v6, s24
	v_accvgpr_write_b32 a54, v4
                                        ; implicit-def: $vgpr4
; %bb.1291:                             ;   in Loop: Header=BB365_562 Depth=1
	s_andn2_saveexec_b64 s[22:23], s[4:5]
; %bb.1292:                             ;   in Loop: Header=BB365_562 Depth=1
	v_or_b32_e32 v6, 0x10000, v4
	v_cmp_eq_u32_sdwa s[4:5], v4, v49 src0_sel:WORD_0 src1_sel:DWORD
	s_nop 1
	v_cndmask_b32_e64 v4, v6, v4, s[4:5]
	v_accvgpr_write_b32 a54, v4
; %bb.1293:                             ;   in Loop: Header=BB365_562 Depth=1
	s_or_b64 exec, exec, s[22:23]
	v_lshlrev_b32_e32 v4, 16, v5
	v_mul_f32_e32 v4, v31, v4
	v_and_b32_e32 v5, 0x7f800000, v4
	v_cmp_ne_u32_e64 s[4:5], s15, v5
                                        ; implicit-def: $agpr55
	s_and_saveexec_b64 s[22:23], s[4:5]
	s_xor_b64 s[4:5], exec, s[22:23]
; %bb.1294:                             ;   in Loop: Header=BB365_562 Depth=1
	v_bfe_u32 v5, v4, 16, 1
	v_add3_u32 v4, v4, v5, s24
	v_accvgpr_write_b32 a55, v4
                                        ; implicit-def: $vgpr4
; %bb.1295:                             ;   in Loop: Header=BB365_562 Depth=1
	s_andn2_saveexec_b64 s[22:23], s[4:5]
; %bb.1296:                             ;   in Loop: Header=BB365_562 Depth=1
	v_or_b32_e32 v5, 0x10000, v4
	v_cmp_eq_u32_sdwa s[4:5], v4, v49 src0_sel:WORD_0 src1_sel:DWORD
	s_nop 1
	v_cndmask_b32_e64 v4, v5, v4, s[4:5]
	v_accvgpr_write_b32 a55, v4
; %bb.1297:                             ;   in Loop: Header=BB365_562 Depth=1
	s_or_b64 exec, exec, s[22:23]
	v_lshlrev_b32_e32 v4, 16, v7
	v_mul_f32_e32 v4, v42, v4
	v_and_b32_e32 v5, 0x7f800000, v4
	v_cmp_ne_u32_e64 s[4:5], s15, v5
                                        ; implicit-def: $vgpr7
	s_and_saveexec_b64 s[22:23], s[4:5]
	s_xor_b64 s[4:5], exec, s[22:23]
; %bb.1298:                             ;   in Loop: Header=BB365_562 Depth=1
	v_bfe_u32 v5, v4, 16, 1
	v_add3_u32 v7, v4, v5, s24
                                        ; implicit-def: $vgpr4
; %bb.1299:                             ;   in Loop: Header=BB365_562 Depth=1
	s_andn2_saveexec_b64 s[22:23], s[4:5]
; %bb.1300:                             ;   in Loop: Header=BB365_562 Depth=1
	v_or_b32_e32 v5, 0x10000, v4
	v_cmp_eq_u32_sdwa s[4:5], v4, v49 src0_sel:WORD_0 src1_sel:DWORD
	s_nop 1
	v_cndmask_b32_e64 v7, v5, v4, s[4:5]
; %bb.1301:                             ;   in Loop: Header=BB365_562 Depth=1
	s_or_b64 exec, exec, s[22:23]
	v_lshlrev_b32_e32 v4, 16, v10
	v_mul_f32_e32 v4, v43, v4
	v_and_b32_e32 v5, 0x7f800000, v4
	v_cmp_ne_u32_e64 s[4:5], s15, v5
                                        ; implicit-def: $vgpr61
	s_and_saveexec_b64 s[22:23], s[4:5]
	s_xor_b64 s[4:5], exec, s[22:23]
; %bb.1302:                             ;   in Loop: Header=BB365_562 Depth=1
	v_bfe_u32 v5, v4, 16, 1
	v_add3_u32 v61, v4, v5, s24
                                        ; implicit-def: $vgpr4
; %bb.1303:                             ;   in Loop: Header=BB365_562 Depth=1
	s_andn2_saveexec_b64 s[22:23], s[4:5]
; %bb.1304:                             ;   in Loop: Header=BB365_562 Depth=1
	v_or_b32_e32 v5, 0x10000, v4
	v_cmp_eq_u32_sdwa s[4:5], v4, v49 src0_sel:WORD_0 src1_sel:DWORD
	s_nop 1
	v_cndmask_b32_e64 v61, v5, v4, s[4:5]
; %bb.1305:                             ;   in Loop: Header=BB365_562 Depth=1
	s_or_b64 exec, exec, s[22:23]
	v_lshlrev_b32_e32 v4, 16, v9
	v_mul_f32_e32 v5, v44, v4
	v_and_b32_e32 v4, 0x7f800000, v5
	v_cmp_ne_u32_e64 s[4:5], s15, v4
                                        ; implicit-def: $vgpr4
	s_and_saveexec_b64 s[22:23], s[4:5]
	s_xor_b64 s[4:5], exec, s[22:23]
; %bb.1306:                             ;   in Loop: Header=BB365_562 Depth=1
	v_bfe_u32 v4, v5, 16, 1
	v_add3_u32 v4, v5, v4, s24
                                        ; implicit-def: $vgpr5
; %bb.1307:                             ;   in Loop: Header=BB365_562 Depth=1
	s_andn2_saveexec_b64 s[22:23], s[4:5]
; %bb.1308:                             ;   in Loop: Header=BB365_562 Depth=1
	v_or_b32_e32 v4, 0x10000, v5
	v_cmp_eq_u32_sdwa s[4:5], v5, v49 src0_sel:WORD_0 src1_sel:DWORD
	s_nop 1
	v_cndmask_b32_e64 v4, v4, v5, s[4:5]
; %bb.1309:                             ;   in Loop: Header=BB365_562 Depth=1
	s_or_b64 exec, exec, s[22:23]
	v_lshlrev_b32_e32 v5, 16, v8
	v_mul_f32_e32 v5, v46, v5
	v_and_b32_e32 v6, 0x7f800000, v5
	v_cmp_ne_u32_e64 s[4:5], s15, v6
                                        ; implicit-def: $vgpr62
	s_and_saveexec_b64 s[22:23], s[4:5]
	s_xor_b64 s[4:5], exec, s[22:23]
; %bb.1310:                             ;   in Loop: Header=BB365_562 Depth=1
	v_bfe_u32 v6, v5, 16, 1
	v_add3_u32 v62, v5, v6, s24
                                        ; implicit-def: $vgpr5
; %bb.1311:                             ;   in Loop: Header=BB365_562 Depth=1
	s_andn2_saveexec_b64 s[22:23], s[4:5]
; %bb.1312:                             ;   in Loop: Header=BB365_562 Depth=1
	v_or_b32_e32 v6, 0x10000, v5
	v_cmp_eq_u32_sdwa s[4:5], v5, v49 src0_sel:WORD_0 src1_sel:DWORD
	s_nop 1
	v_cndmask_b32_e64 v62, v6, v5, s[4:5]
; %bb.1313:                             ;   in Loop: Header=BB365_562 Depth=1
	s_or_b64 exec, exec, s[22:23]
	v_lshlrev_b32_e32 v3, 16, v3
	v_mul_f32_e32 v3, v47, v3
	v_and_b32_e32 v5, 0x7f800000, v3
	v_cmp_ne_u32_e64 s[4:5], s15, v5
                                        ; implicit-def: $vgpr5
	s_and_saveexec_b64 s[22:23], s[4:5]
	s_xor_b64 s[4:5], exec, s[22:23]
; %bb.1314:                             ;   in Loop: Header=BB365_562 Depth=1
	v_bfe_u32 v5, v3, 16, 1
	v_add3_u32 v5, v3, v5, s24
                                        ; implicit-def: $vgpr3
; %bb.1315:                             ;   in Loop: Header=BB365_562 Depth=1
	s_andn2_saveexec_b64 s[22:23], s[4:5]
; %bb.1316:                             ;   in Loop: Header=BB365_562 Depth=1
	v_or_b32_e32 v5, 0x10000, v3
	v_cmp_eq_u32_sdwa s[4:5], v3, v49 src0_sel:WORD_0 src1_sel:DWORD
	s_nop 1
	v_cndmask_b32_e64 v5, v5, v3, s[4:5]
; %bb.1317:                             ;   in Loop: Header=BB365_562 Depth=1
	s_or_b64 exec, exec, s[22:23]
	v_lshlrev_b32_e32 v2, 16, v2
	v_mul_f32_e32 v2, v58, v2
	v_and_b32_e32 v3, 0x7f800000, v2
	v_cmp_ne_u32_e64 s[4:5], s15, v3
                                        ; implicit-def: $vgpr21
	s_and_saveexec_b64 s[22:23], s[4:5]
	s_xor_b64 s[4:5], exec, s[22:23]
; %bb.1318:                             ;   in Loop: Header=BB365_562 Depth=1
	v_bfe_u32 v3, v2, 16, 1
	v_add3_u32 v21, v2, v3, s24
                                        ; implicit-def: $vgpr2
; %bb.1319:                             ;   in Loop: Header=BB365_562 Depth=1
	s_andn2_saveexec_b64 s[22:23], s[4:5]
; %bb.1320:                             ;   in Loop: Header=BB365_562 Depth=1
	v_or_b32_e32 v3, 0x10000, v2
	v_cmp_eq_u32_sdwa s[4:5], v2, v49 src0_sel:WORD_0 src1_sel:DWORD
	s_nop 1
	v_cndmask_b32_e64 v21, v3, v2, s[4:5]
; %bb.1321:                             ;   in Loop: Header=BB365_562 Depth=1
	s_or_b64 exec, exec, s[22:23]
	scratch_load_dwordx2 v[2:3], off, s32 offset:520 ; 8-byte Folded Reload
	s_waitcnt vmcnt(0)
	v_lshl_add_u64 v[2:3], v[0:1], 0, v[2:3]
	flat_load_dwordx2 v[2:3], v[2:3]
	s_waitcnt vmcnt(0) lgkmcnt(0)
	v_and_b32_e32 v6, 0xff, v2
	v_cvt_f32_fp8_sdwa v6, v6 src0_sel:BYTE_0
	s_nop 0
	v_mul_f32_e32 v6, v57, v6
	v_and_b32_e32 v8, 0x7f800000, v6
	v_cmp_ne_u32_e64 s[4:5], s15, v8
                                        ; implicit-def: $vgpr8
	s_and_saveexec_b64 s[22:23], s[4:5]
	s_xor_b64 s[4:5], exec, s[22:23]
; %bb.1322:                             ;   in Loop: Header=BB365_562 Depth=1
	v_bfe_u32 v8, v6, 16, 1
	v_add3_u32 v8, v6, v8, s24
                                        ; implicit-def: $vgpr6
; %bb.1323:                             ;   in Loop: Header=BB365_562 Depth=1
	s_andn2_saveexec_b64 s[22:23], s[4:5]
; %bb.1324:                             ;   in Loop: Header=BB365_562 Depth=1
	v_or_b32_e32 v8, 0x10000, v6
	v_cmp_eq_u32_sdwa s[4:5], v6, v49 src0_sel:WORD_0 src1_sel:DWORD
	s_nop 1
	v_cndmask_b32_e64 v8, v8, v6, s[4:5]
; %bb.1325:                             ;   in Loop: Header=BB365_562 Depth=1
	s_or_b64 exec, exec, s[22:23]
	v_bfe_u32 v6, v2, 8, 8
	v_cvt_f32_fp8_sdwa v6, v6 src0_sel:BYTE_0
	s_nop 0
	v_mul_f32_e32 v6, v57, v6
	v_and_b32_e32 v9, 0x7f800000, v6
	v_cmp_ne_u32_e64 s[4:5], s15, v9
                                        ; implicit-def: $vgpr9
	s_and_saveexec_b64 s[22:23], s[4:5]
	s_xor_b64 s[4:5], exec, s[22:23]
; %bb.1326:                             ;   in Loop: Header=BB365_562 Depth=1
	v_bfe_u32 v9, v6, 16, 1
	v_add3_u32 v9, v6, v9, s24
                                        ; implicit-def: $vgpr6
; %bb.1327:                             ;   in Loop: Header=BB365_562 Depth=1
	s_andn2_saveexec_b64 s[22:23], s[4:5]
; %bb.1328:                             ;   in Loop: Header=BB365_562 Depth=1
	v_or_b32_e32 v9, 0x10000, v6
	v_cmp_eq_u32_sdwa s[4:5], v6, v49 src0_sel:WORD_0 src1_sel:DWORD
	s_nop 1
	v_cndmask_b32_e64 v9, v9, v6, s[4:5]
; %bb.1329:                             ;   in Loop: Header=BB365_562 Depth=1
	s_or_b64 exec, exec, s[22:23]
	v_bfe_u32 v6, v2, 16, 8
	v_cvt_f32_fp8_sdwa v6, v6 src0_sel:BYTE_0
                                        ; implicit-def: $vgpr12
	s_nop 0
	v_mul_f32_e32 v6, v57, v6
	v_and_b32_e32 v10, 0x7f800000, v6
	v_cmp_ne_u32_e64 s[4:5], s15, v10
	s_and_saveexec_b64 s[22:23], s[4:5]
	s_xor_b64 s[4:5], exec, s[22:23]
; %bb.1330:                             ;   in Loop: Header=BB365_562 Depth=1
	v_bfe_u32 v10, v6, 16, 1
	v_add3_u32 v12, v6, v10, s24
                                        ; implicit-def: $vgpr6
; %bb.1331:                             ;   in Loop: Header=BB365_562 Depth=1
	s_andn2_saveexec_b64 s[22:23], s[4:5]
; %bb.1332:                             ;   in Loop: Header=BB365_562 Depth=1
	v_or_b32_e32 v10, 0x10000, v6
	v_cmp_eq_u32_sdwa s[4:5], v6, v49 src0_sel:WORD_0 src1_sel:DWORD
	s_nop 1
	v_cndmask_b32_e64 v12, v10, v6, s[4:5]
; %bb.1333:                             ;   in Loop: Header=BB365_562 Depth=1
	s_or_b64 exec, exec, s[22:23]
	v_lshrrev_b32_e32 v2, 24, v2
	v_cvt_f32_fp8_sdwa v2, v2 src0_sel:BYTE_0
	s_nop 0
	v_mul_f32_e32 v6, v57, v2
	v_and_b32_e32 v2, 0x7f800000, v6
	v_cmp_ne_u32_e64 s[4:5], s15, v2
                                        ; implicit-def: $vgpr2
	s_and_saveexec_b64 s[22:23], s[4:5]
	s_xor_b64 s[4:5], exec, s[22:23]
; %bb.1334:                             ;   in Loop: Header=BB365_562 Depth=1
	v_bfe_u32 v2, v6, 16, 1
	v_add3_u32 v2, v6, v2, s24
                                        ; implicit-def: $vgpr6
; %bb.1335:                             ;   in Loop: Header=BB365_562 Depth=1
	s_andn2_saveexec_b64 s[22:23], s[4:5]
; %bb.1336:                             ;   in Loop: Header=BB365_562 Depth=1
	v_or_b32_e32 v2, 0x10000, v6
	v_cmp_eq_u32_sdwa s[4:5], v6, v49 src0_sel:WORD_0 src1_sel:DWORD
	s_nop 1
	v_cndmask_b32_e64 v2, v2, v6, s[4:5]
; %bb.1337:                             ;   in Loop: Header=BB365_562 Depth=1
	s_or_b64 exec, exec, s[22:23]
	v_and_b32_e32 v6, 0xff, v3
	v_cvt_f32_fp8_sdwa v6, v6 src0_sel:BYTE_0
	s_nop 0
	v_mul_f32_e32 v6, v57, v6
	v_and_b32_e32 v10, 0x7f800000, v6
	v_cmp_ne_u32_e64 s[4:5], s15, v10
                                        ; implicit-def: $vgpr10
	s_and_saveexec_b64 s[22:23], s[4:5]
	s_xor_b64 s[4:5], exec, s[22:23]
; %bb.1338:                             ;   in Loop: Header=BB365_562 Depth=1
	v_bfe_u32 v10, v6, 16, 1
	v_add3_u32 v10, v6, v10, s24
                                        ; implicit-def: $vgpr6
; %bb.1339:                             ;   in Loop: Header=BB365_562 Depth=1
	s_andn2_saveexec_b64 s[22:23], s[4:5]
; %bb.1340:                             ;   in Loop: Header=BB365_562 Depth=1
	v_or_b32_e32 v10, 0x10000, v6
	v_cmp_eq_u32_sdwa s[4:5], v6, v49 src0_sel:WORD_0 src1_sel:DWORD
	s_nop 1
	v_cndmask_b32_e64 v10, v10, v6, s[4:5]
; %bb.1341:                             ;   in Loop: Header=BB365_562 Depth=1
	s_or_b64 exec, exec, s[22:23]
	v_bfe_u32 v6, v3, 8, 8
	v_cvt_f32_fp8_sdwa v6, v6 src0_sel:BYTE_0
	s_nop 0
	v_mul_f32_e32 v6, v57, v6
	v_and_b32_e32 v11, 0x7f800000, v6
	v_cmp_ne_u32_e64 s[4:5], s15, v11
                                        ; implicit-def: $vgpr11
	s_and_saveexec_b64 s[22:23], s[4:5]
	s_xor_b64 s[4:5], exec, s[22:23]
; %bb.1342:                             ;   in Loop: Header=BB365_562 Depth=1
	v_bfe_u32 v11, v6, 16, 1
	v_add3_u32 v11, v6, v11, s24
                                        ; implicit-def: $vgpr6
; %bb.1343:                             ;   in Loop: Header=BB365_562 Depth=1
	s_andn2_saveexec_b64 s[22:23], s[4:5]
; %bb.1344:                             ;   in Loop: Header=BB365_562 Depth=1
	v_or_b32_e32 v11, 0x10000, v6
	v_cmp_eq_u32_sdwa s[4:5], v6, v49 src0_sel:WORD_0 src1_sel:DWORD
	s_nop 1
	v_cndmask_b32_e64 v11, v11, v6, s[4:5]
; %bb.1345:                             ;   in Loop: Header=BB365_562 Depth=1
	s_or_b64 exec, exec, s[22:23]
	v_bfe_u32 v6, v3, 16, 8
	v_cvt_f32_fp8_sdwa v6, v6 src0_sel:BYTE_0
                                        ; implicit-def: $vgpr16
	s_nop 0
	v_mul_f32_e32 v6, v57, v6
	v_and_b32_e32 v13, 0x7f800000, v6
	v_cmp_ne_u32_e64 s[4:5], s15, v13
	s_and_saveexec_b64 s[22:23], s[4:5]
	s_xor_b64 s[4:5], exec, s[22:23]
; %bb.1346:                             ;   in Loop: Header=BB365_562 Depth=1
	v_bfe_u32 v13, v6, 16, 1
	v_add3_u32 v16, v6, v13, s24
                                        ; implicit-def: $vgpr6
; %bb.1347:                             ;   in Loop: Header=BB365_562 Depth=1
	s_andn2_saveexec_b64 s[22:23], s[4:5]
; %bb.1348:                             ;   in Loop: Header=BB365_562 Depth=1
	v_or_b32_e32 v13, 0x10000, v6
	v_cmp_eq_u32_sdwa s[4:5], v6, v49 src0_sel:WORD_0 src1_sel:DWORD
	s_nop 1
	v_cndmask_b32_e64 v16, v13, v6, s[4:5]
; %bb.1349:                             ;   in Loop: Header=BB365_562 Depth=1
	s_or_b64 exec, exec, s[22:23]
	v_lshrrev_b32_e32 v3, 24, v3
	v_cvt_f32_fp8_sdwa v3, v3 src0_sel:BYTE_0
                                        ; implicit-def: $vgpr17
	s_nop 0
	v_mul_f32_e32 v3, v57, v3
	v_and_b32_e32 v6, 0x7f800000, v3
	v_cmp_ne_u32_e64 s[4:5], s15, v6
	s_and_saveexec_b64 s[22:23], s[4:5]
	s_xor_b64 s[4:5], exec, s[22:23]
; %bb.1350:                             ;   in Loop: Header=BB365_562 Depth=1
	v_bfe_u32 v6, v3, 16, 1
	v_add3_u32 v17, v3, v6, s24
                                        ; implicit-def: $vgpr3
; %bb.1351:                             ;   in Loop: Header=BB365_562 Depth=1
	s_andn2_saveexec_b64 s[22:23], s[4:5]
; %bb.1352:                             ;   in Loop: Header=BB365_562 Depth=1
	v_or_b32_e32 v6, 0x10000, v3
	v_cmp_eq_u32_sdwa s[4:5], v3, v49 src0_sel:WORD_0 src1_sel:DWORD
	s_nop 1
	v_cndmask_b32_e64 v17, v6, v3, s[4:5]
; %bb.1353:                             ;   in Loop: Header=BB365_562 Depth=1
	s_or_b64 exec, exec, s[22:23]
	v_lshrrev_b32_e32 v18, 16, v11
	v_lshrrev_b32_e32 v10, 16, v10
	;; [unrolled: 1-line block ×8, first 2 shown]
	s_and_saveexec_b64 s[22:23], vcc
	s_cbranch_execz .LBB365_1355
; %bb.1354:                             ;   in Loop: Header=BB365_562 Depth=1
	scratch_load_dword v8, off, s32 offset:196 ; 4-byte Folded Reload
	v_accvgpr_read_b32 v12, a34
	s_waitcnt vmcnt(0)
	v_cmp_lt_i32_e64 s[4:5], v50, v8
	s_nop 1
	v_cndmask_b32_e64 v6, 0, v6, s[4:5]
	v_cmp_lt_i32_e64 s[4:5], v12, v8
	v_accvgpr_read_b32 v12, a2
	s_nop 0
	v_cndmask_b32_e64 v9, 0, v9, s[4:5]
	v_cmp_lt_i32_e64 s[4:5], v12, v8
	v_accvgpr_read_b32 v12, a1
	;; [unrolled: 4-line block ×6, first 2 shown]
	s_nop 0
	v_cndmask_b32_e64 v3, 0, v3, s[4:5]
	v_cmp_lt_i32_e64 s[4:5], v12, v8
	s_nop 1
	v_cndmask_b32_e64 v2, 0, v2, s[4:5]
.LBB365_1355:                           ;   in Loop: Header=BB365_562 Depth=1
	s_or_b64 exec, exec, s[22:23]
	v_lshlrev_b32_e32 v6, 16, v6
	v_mul_f32_e32 v6, v30, v6
	v_and_b32_e32 v8, 0x7f800000, v6
	v_cmp_ne_u32_e64 s[4:5], s15, v8
                                        ; implicit-def: $vgpr8
	s_and_saveexec_b64 s[22:23], s[4:5]
	s_xor_b64 s[4:5], exec, s[22:23]
; %bb.1356:                             ;   in Loop: Header=BB365_562 Depth=1
	v_bfe_u32 v8, v6, 16, 1
	v_add3_u32 v8, v6, v8, s24
                                        ; implicit-def: $vgpr6
; %bb.1357:                             ;   in Loop: Header=BB365_562 Depth=1
	s_andn2_saveexec_b64 s[22:23], s[4:5]
; %bb.1358:                             ;   in Loop: Header=BB365_562 Depth=1
	v_or_b32_e32 v8, 0x10000, v6
	v_cmp_eq_u32_sdwa s[4:5], v6, v49 src0_sel:WORD_0 src1_sel:DWORD
	s_nop 1
	v_cndmask_b32_e64 v8, v8, v6, s[4:5]
; %bb.1359:                             ;   in Loop: Header=BB365_562 Depth=1
	s_or_b64 exec, exec, s[22:23]
	v_lshlrev_b32_e32 v6, 16, v9
	v_mul_f32_e32 v6, v31, v6
	v_and_b32_e32 v9, 0x7f800000, v6
	v_cmp_ne_u32_e64 s[4:5], s15, v9
                                        ; implicit-def: $vgpr12
	s_and_saveexec_b64 s[22:23], s[4:5]
	s_xor_b64 s[4:5], exec, s[22:23]
; %bb.1360:                             ;   in Loop: Header=BB365_562 Depth=1
	v_bfe_u32 v9, v6, 16, 1
	v_add3_u32 v12, v6, v9, s24
                                        ; implicit-def: $vgpr6
; %bb.1361:                             ;   in Loop: Header=BB365_562 Depth=1
	s_andn2_saveexec_b64 s[22:23], s[4:5]
; %bb.1362:                             ;   in Loop: Header=BB365_562 Depth=1
	v_or_b32_e32 v9, 0x10000, v6
	v_cmp_eq_u32_sdwa s[4:5], v6, v49 src0_sel:WORD_0 src1_sel:DWORD
	s_nop 1
	v_cndmask_b32_e64 v12, v9, v6, s[4:5]
; %bb.1363:                             ;   in Loop: Header=BB365_562 Depth=1
	s_or_b64 exec, exec, s[22:23]
	v_lshlrev_b32_e32 v6, 16, v13
	v_mul_f32_e32 v6, v42, v6
	v_and_b32_e32 v9, 0x7f800000, v6
	v_cmp_ne_u32_e64 s[4:5], s15, v9
                                        ; implicit-def: $vgpr13
	s_and_saveexec_b64 s[22:23], s[4:5]
	s_xor_b64 s[4:5], exec, s[22:23]
; %bb.1364:                             ;   in Loop: Header=BB365_562 Depth=1
	v_bfe_u32 v9, v6, 16, 1
	v_add3_u32 v13, v6, v9, s24
                                        ; implicit-def: $vgpr6
; %bb.1365:                             ;   in Loop: Header=BB365_562 Depth=1
	s_andn2_saveexec_b64 s[22:23], s[4:5]
; %bb.1366:                             ;   in Loop: Header=BB365_562 Depth=1
	v_or_b32_e32 v9, 0x10000, v6
	v_cmp_eq_u32_sdwa s[4:5], v6, v49 src0_sel:WORD_0 src1_sel:DWORD
	s_nop 1
	v_cndmask_b32_e64 v13, v9, v6, s[4:5]
; %bb.1367:                             ;   in Loop: Header=BB365_562 Depth=1
	s_or_b64 exec, exec, s[22:23]
	v_lshlrev_b32_e32 v6, 16, v11
	v_mul_f32_e32 v6, v43, v6
	v_and_b32_e32 v9, 0x7f800000, v6
	v_cmp_ne_u32_e64 s[4:5], s15, v9
                                        ; implicit-def: $vgpr16
	s_and_saveexec_b64 s[22:23], s[4:5]
	s_xor_b64 s[4:5], exec, s[22:23]
; %bb.1368:                             ;   in Loop: Header=BB365_562 Depth=1
	v_bfe_u32 v9, v6, 16, 1
	v_add3_u32 v16, v6, v9, s24
                                        ; implicit-def: $vgpr6
; %bb.1369:                             ;   in Loop: Header=BB365_562 Depth=1
	s_andn2_saveexec_b64 s[22:23], s[4:5]
; %bb.1370:                             ;   in Loop: Header=BB365_562 Depth=1
	v_or_b32_e32 v9, 0x10000, v6
	v_cmp_eq_u32_sdwa s[4:5], v6, v49 src0_sel:WORD_0 src1_sel:DWORD
	s_nop 1
	v_cndmask_b32_e64 v16, v9, v6, s[4:5]
; %bb.1371:                             ;   in Loop: Header=BB365_562 Depth=1
	s_or_b64 exec, exec, s[22:23]
	v_lshlrev_b32_e32 v6, 16, v10
	v_mul_f32_e32 v6, v44, v6
	v_and_b32_e32 v9, 0x7f800000, v6
	v_cmp_ne_u32_e64 s[4:5], s15, v9
                                        ; implicit-def: $vgpr17
	s_and_saveexec_b64 s[22:23], s[4:5]
	s_xor_b64 s[4:5], exec, s[22:23]
; %bb.1372:                             ;   in Loop: Header=BB365_562 Depth=1
	v_bfe_u32 v9, v6, 16, 1
	v_add3_u32 v17, v6, v9, s24
                                        ; implicit-def: $vgpr6
; %bb.1373:                             ;   in Loop: Header=BB365_562 Depth=1
	s_andn2_saveexec_b64 s[22:23], s[4:5]
; %bb.1374:                             ;   in Loop: Header=BB365_562 Depth=1
	v_or_b32_e32 v9, 0x10000, v6
	v_cmp_eq_u32_sdwa s[4:5], v6, v49 src0_sel:WORD_0 src1_sel:DWORD
	s_nop 1
	v_cndmask_b32_e64 v17, v9, v6, s[4:5]
; %bb.1375:                             ;   in Loop: Header=BB365_562 Depth=1
	s_or_b64 exec, exec, s[22:23]
	v_lshlrev_b32_e32 v6, 16, v18
	v_mul_f32_e32 v6, v46, v6
	v_and_b32_e32 v9, 0x7f800000, v6
	v_cmp_ne_u32_e64 s[4:5], s15, v9
                                        ; implicit-def: $vgpr18
	s_and_saveexec_b64 s[22:23], s[4:5]
	s_xor_b64 s[4:5], exec, s[22:23]
; %bb.1376:                             ;   in Loop: Header=BB365_562 Depth=1
	v_bfe_u32 v9, v6, 16, 1
	v_add3_u32 v18, v6, v9, s24
                                        ; implicit-def: $vgpr6
; %bb.1377:                             ;   in Loop: Header=BB365_562 Depth=1
	s_andn2_saveexec_b64 s[22:23], s[4:5]
; %bb.1378:                             ;   in Loop: Header=BB365_562 Depth=1
	v_or_b32_e32 v9, 0x10000, v6
	v_cmp_eq_u32_sdwa s[4:5], v6, v49 src0_sel:WORD_0 src1_sel:DWORD
	s_nop 1
	v_cndmask_b32_e64 v18, v9, v6, s[4:5]
; %bb.1379:                             ;   in Loop: Header=BB365_562 Depth=1
	s_or_b64 exec, exec, s[22:23]
	v_lshlrev_b32_e32 v3, 16, v3
	v_mul_f32_e32 v3, v47, v3
	v_and_b32_e32 v6, 0x7f800000, v3
	v_cmp_ne_u32_e64 s[4:5], s15, v6
                                        ; implicit-def: $vgpr19
	s_and_saveexec_b64 s[22:23], s[4:5]
	s_xor_b64 s[4:5], exec, s[22:23]
; %bb.1380:                             ;   in Loop: Header=BB365_562 Depth=1
	v_bfe_u32 v6, v3, 16, 1
	v_add3_u32 v19, v3, v6, s24
                                        ; implicit-def: $vgpr3
; %bb.1381:                             ;   in Loop: Header=BB365_562 Depth=1
	s_andn2_saveexec_b64 s[22:23], s[4:5]
; %bb.1382:                             ;   in Loop: Header=BB365_562 Depth=1
	v_or_b32_e32 v6, 0x10000, v3
	v_cmp_eq_u32_sdwa s[4:5], v3, v49 src0_sel:WORD_0 src1_sel:DWORD
	s_nop 1
	v_cndmask_b32_e64 v19, v6, v3, s[4:5]
; %bb.1383:                             ;   in Loop: Header=BB365_562 Depth=1
	s_or_b64 exec, exec, s[22:23]
	v_lshlrev_b32_e32 v2, 16, v2
	v_mul_f32_e32 v2, v58, v2
	v_and_b32_e32 v3, 0x7f800000, v2
	v_cmp_ne_u32_e64 s[4:5], s15, v3
                                        ; implicit-def: $vgpr24
	s_and_saveexec_b64 s[22:23], s[4:5]
	s_xor_b64 s[4:5], exec, s[22:23]
; %bb.1384:                             ;   in Loop: Header=BB365_562 Depth=1
	v_bfe_u32 v3, v2, 16, 1
	v_add3_u32 v24, v2, v3, s24
                                        ; implicit-def: $vgpr2
; %bb.1385:                             ;   in Loop: Header=BB365_562 Depth=1
	s_andn2_saveexec_b64 s[22:23], s[4:5]
; %bb.1386:                             ;   in Loop: Header=BB365_562 Depth=1
	v_or_b32_e32 v3, 0x10000, v2
	v_cmp_eq_u32_sdwa s[4:5], v2, v49 src0_sel:WORD_0 src1_sel:DWORD
	s_nop 1
	v_cndmask_b32_e64 v24, v3, v2, s[4:5]
; %bb.1387:                             ;   in Loop: Header=BB365_562 Depth=1
	s_or_b64 exec, exec, s[22:23]
	scratch_load_dwordx2 v[2:3], off, s32 offset:528 ; 8-byte Folded Reload
	s_waitcnt vmcnt(0)
	v_lshl_add_u64 v[2:3], v[0:1], 0, v[2:3]
	flat_load_dwordx2 v[2:3], v[2:3]
	s_waitcnt vmcnt(0) lgkmcnt(0)
	v_and_b32_e32 v6, 0xff, v2
	v_cvt_f32_fp8_sdwa v6, v6 src0_sel:BYTE_0
	s_nop 0
	v_mul_f32_e32 v6, v57, v6
	v_and_b32_e32 v9, 0x7f800000, v6
	v_cmp_ne_u32_e64 s[4:5], s15, v9
                                        ; implicit-def: $vgpr9
	s_and_saveexec_b64 s[22:23], s[4:5]
	s_xor_b64 s[4:5], exec, s[22:23]
; %bb.1388:                             ;   in Loop: Header=BB365_562 Depth=1
	v_bfe_u32 v9, v6, 16, 1
	v_add3_u32 v9, v6, v9, s24
                                        ; implicit-def: $vgpr6
; %bb.1389:                             ;   in Loop: Header=BB365_562 Depth=1
	s_andn2_saveexec_b64 s[22:23], s[4:5]
; %bb.1390:                             ;   in Loop: Header=BB365_562 Depth=1
	v_or_b32_e32 v9, 0x10000, v6
	v_cmp_eq_u32_sdwa s[4:5], v6, v49 src0_sel:WORD_0 src1_sel:DWORD
	s_nop 1
	v_cndmask_b32_e64 v9, v9, v6, s[4:5]
; %bb.1391:                             ;   in Loop: Header=BB365_562 Depth=1
	s_or_b64 exec, exec, s[22:23]
	v_bfe_u32 v6, v2, 8, 8
	v_cvt_f32_fp8_sdwa v6, v6 src0_sel:BYTE_0
                                        ; implicit-def: $vgpr20
	s_nop 0
	v_mul_f32_e32 v6, v57, v6
	v_and_b32_e32 v10, 0x7f800000, v6
	v_cmp_ne_u32_e64 s[4:5], s15, v10
	s_and_saveexec_b64 s[22:23], s[4:5]
	s_xor_b64 s[4:5], exec, s[22:23]
; %bb.1392:                             ;   in Loop: Header=BB365_562 Depth=1
	v_bfe_u32 v10, v6, 16, 1
	v_add3_u32 v20, v6, v10, s24
                                        ; implicit-def: $vgpr6
; %bb.1393:                             ;   in Loop: Header=BB365_562 Depth=1
	s_andn2_saveexec_b64 s[22:23], s[4:5]
; %bb.1394:                             ;   in Loop: Header=BB365_562 Depth=1
	v_or_b32_e32 v10, 0x10000, v6
	v_cmp_eq_u32_sdwa s[4:5], v6, v49 src0_sel:WORD_0 src1_sel:DWORD
	s_nop 1
	v_cndmask_b32_e64 v20, v10, v6, s[4:5]
; %bb.1395:                             ;   in Loop: Header=BB365_562 Depth=1
	s_or_b64 exec, exec, s[22:23]
	v_bfe_u32 v6, v2, 16, 8
	v_cvt_f32_fp8_sdwa v6, v6 src0_sel:BYTE_0
                                        ; implicit-def: $vgpr23
	s_nop 0
	v_mul_f32_e32 v6, v57, v6
	v_and_b32_e32 v10, 0x7f800000, v6
	v_cmp_ne_u32_e64 s[4:5], s15, v10
	s_and_saveexec_b64 s[22:23], s[4:5]
	s_xor_b64 s[4:5], exec, s[22:23]
; %bb.1396:                             ;   in Loop: Header=BB365_562 Depth=1
	v_bfe_u32 v10, v6, 16, 1
	v_add3_u32 v23, v6, v10, s24
                                        ; implicit-def: $vgpr6
; %bb.1397:                             ;   in Loop: Header=BB365_562 Depth=1
	s_andn2_saveexec_b64 s[22:23], s[4:5]
; %bb.1398:                             ;   in Loop: Header=BB365_562 Depth=1
	v_or_b32_e32 v10, 0x10000, v6
	v_cmp_eq_u32_sdwa s[4:5], v6, v49 src0_sel:WORD_0 src1_sel:DWORD
	s_nop 1
	v_cndmask_b32_e64 v23, v10, v6, s[4:5]
; %bb.1399:                             ;   in Loop: Header=BB365_562 Depth=1
	s_or_b64 exec, exec, s[22:23]
	v_lshrrev_b32_e32 v2, 24, v2
	v_cvt_f32_fp8_sdwa v2, v2 src0_sel:BYTE_0
	s_nop 0
	v_mul_f32_e32 v6, v57, v2
	v_and_b32_e32 v2, 0x7f800000, v6
	v_cmp_ne_u32_e64 s[4:5], s15, v2
                                        ; implicit-def: $vgpr2
	s_and_saveexec_b64 s[22:23], s[4:5]
	s_xor_b64 s[4:5], exec, s[22:23]
; %bb.1400:                             ;   in Loop: Header=BB365_562 Depth=1
	v_bfe_u32 v2, v6, 16, 1
	v_add3_u32 v2, v6, v2, s24
                                        ; implicit-def: $vgpr6
; %bb.1401:                             ;   in Loop: Header=BB365_562 Depth=1
	s_andn2_saveexec_b64 s[22:23], s[4:5]
; %bb.1402:                             ;   in Loop: Header=BB365_562 Depth=1
	v_or_b32_e32 v2, 0x10000, v6
	v_cmp_eq_u32_sdwa s[4:5], v6, v49 src0_sel:WORD_0 src1_sel:DWORD
	s_nop 1
	v_cndmask_b32_e64 v2, v2, v6, s[4:5]
; %bb.1403:                             ;   in Loop: Header=BB365_562 Depth=1
	s_or_b64 exec, exec, s[22:23]
	v_and_b32_e32 v6, 0xff, v3
	v_cvt_f32_fp8_sdwa v6, v6 src0_sel:BYTE_0
	s_nop 0
	v_mul_f32_e32 v6, v57, v6
	v_and_b32_e32 v10, 0x7f800000, v6
	v_cmp_ne_u32_e64 s[4:5], s15, v10
                                        ; implicit-def: $vgpr10
	s_and_saveexec_b64 s[22:23], s[4:5]
	s_xor_b64 s[4:5], exec, s[22:23]
; %bb.1404:                             ;   in Loop: Header=BB365_562 Depth=1
	v_bfe_u32 v10, v6, 16, 1
	v_add3_u32 v10, v6, v10, s24
                                        ; implicit-def: $vgpr6
; %bb.1405:                             ;   in Loop: Header=BB365_562 Depth=1
	s_andn2_saveexec_b64 s[22:23], s[4:5]
; %bb.1406:                             ;   in Loop: Header=BB365_562 Depth=1
	v_or_b32_e32 v10, 0x10000, v6
	v_cmp_eq_u32_sdwa s[4:5], v6, v49 src0_sel:WORD_0 src1_sel:DWORD
	s_nop 1
	v_cndmask_b32_e64 v10, v10, v6, s[4:5]
; %bb.1407:                             ;   in Loop: Header=BB365_562 Depth=1
	s_or_b64 exec, exec, s[22:23]
	v_bfe_u32 v6, v3, 8, 8
	v_cvt_f32_fp8_sdwa v6, v6 src0_sel:BYTE_0
	s_nop 0
	v_mul_f32_e32 v6, v57, v6
	v_and_b32_e32 v11, 0x7f800000, v6
	v_cmp_ne_u32_e64 s[4:5], s15, v11
                                        ; implicit-def: $vgpr11
	s_and_saveexec_b64 s[22:23], s[4:5]
	s_xor_b64 s[4:5], exec, s[22:23]
; %bb.1408:                             ;   in Loop: Header=BB365_562 Depth=1
	v_bfe_u32 v11, v6, 16, 1
	v_add3_u32 v11, v6, v11, s24
                                        ; implicit-def: $vgpr6
; %bb.1409:                             ;   in Loop: Header=BB365_562 Depth=1
	s_andn2_saveexec_b64 s[22:23], s[4:5]
; %bb.1410:                             ;   in Loop: Header=BB365_562 Depth=1
	v_or_b32_e32 v11, 0x10000, v6
	v_cmp_eq_u32_sdwa s[4:5], v6, v49 src0_sel:WORD_0 src1_sel:DWORD
	s_nop 1
	v_cndmask_b32_e64 v11, v11, v6, s[4:5]
; %bb.1411:                             ;   in Loop: Header=BB365_562 Depth=1
	s_or_b64 exec, exec, s[22:23]
	v_bfe_u32 v6, v3, 16, 8
	v_cvt_f32_fp8_sdwa v6, v6 src0_sel:BYTE_0
                                        ; implicit-def: $vgpr25
	s_nop 0
	v_mul_f32_e32 v6, v57, v6
	v_and_b32_e32 v22, 0x7f800000, v6
	v_cmp_ne_u32_e64 s[4:5], s15, v22
	s_and_saveexec_b64 s[22:23], s[4:5]
	s_xor_b64 s[4:5], exec, s[22:23]
; %bb.1412:                             ;   in Loop: Header=BB365_562 Depth=1
	v_bfe_u32 v22, v6, 16, 1
	v_add3_u32 v25, v6, v22, s24
                                        ; implicit-def: $vgpr6
; %bb.1413:                             ;   in Loop: Header=BB365_562 Depth=1
	s_andn2_saveexec_b64 s[22:23], s[4:5]
; %bb.1414:                             ;   in Loop: Header=BB365_562 Depth=1
	v_or_b32_e32 v22, 0x10000, v6
	v_cmp_eq_u32_sdwa s[4:5], v6, v49 src0_sel:WORD_0 src1_sel:DWORD
	s_nop 1
	v_cndmask_b32_e64 v25, v22, v6, s[4:5]
; %bb.1415:                             ;   in Loop: Header=BB365_562 Depth=1
	s_or_b64 exec, exec, s[22:23]
	v_lshrrev_b32_e32 v3, 24, v3
	v_cvt_f32_fp8_sdwa v3, v3 src0_sel:BYTE_0
                                        ; implicit-def: $vgpr26
	s_nop 0
	v_mul_f32_e32 v3, v57, v3
	v_and_b32_e32 v6, 0x7f800000, v3
	v_cmp_ne_u32_e64 s[4:5], s15, v6
	s_and_saveexec_b64 s[22:23], s[4:5]
	s_xor_b64 s[4:5], exec, s[22:23]
; %bb.1416:                             ;   in Loop: Header=BB365_562 Depth=1
	v_bfe_u32 v6, v3, 16, 1
	v_add3_u32 v26, v3, v6, s24
                                        ; implicit-def: $vgpr3
; %bb.1417:                             ;   in Loop: Header=BB365_562 Depth=1
	s_andn2_saveexec_b64 s[22:23], s[4:5]
; %bb.1418:                             ;   in Loop: Header=BB365_562 Depth=1
	v_or_b32_e32 v6, 0x10000, v3
	v_cmp_eq_u32_sdwa s[4:5], v3, v49 src0_sel:WORD_0 src1_sel:DWORD
	s_nop 1
	v_cndmask_b32_e64 v26, v6, v3, s[4:5]
; %bb.1419:                             ;   in Loop: Header=BB365_562 Depth=1
	s_or_b64 exec, exec, s[22:23]
	v_lshrrev_b32_e32 v22, 16, v11
	v_lshrrev_b32_e32 v10, 16, v10
	;; [unrolled: 1-line block ×8, first 2 shown]
	s_and_saveexec_b64 s[22:23], vcc
	s_cbranch_execz .LBB365_1421
; %bb.1420:                             ;   in Loop: Header=BB365_562 Depth=1
	scratch_load_dword v9, off, s32 offset:196 ; 4-byte Folded Reload
	v_accvgpr_read_b32 v25, a34
	s_waitcnt vmcnt(0)
	v_cmp_lt_i32_e64 s[4:5], v50, v9
	s_nop 1
	v_cndmask_b32_e64 v6, 0, v6, s[4:5]
	v_cmp_lt_i32_e64 s[4:5], v25, v9
	v_accvgpr_read_b32 v25, a2
	s_nop 0
	v_cndmask_b32_e64 v20, 0, v20, s[4:5]
	v_cmp_lt_i32_e64 s[4:5], v25, v9
	v_accvgpr_read_b32 v25, a1
	;; [unrolled: 4-line block ×6, first 2 shown]
	s_nop 0
	v_cndmask_b32_e64 v3, 0, v3, s[4:5]
	v_cmp_lt_i32_e64 s[4:5], v25, v9
	s_nop 1
	v_cndmask_b32_e64 v2, 0, v2, s[4:5]
.LBB365_1421:                           ;   in Loop: Header=BB365_562 Depth=1
	s_or_b64 exec, exec, s[22:23]
	v_lshlrev_b32_e32 v6, 16, v6
	v_mul_f32_e32 v6, v30, v6
	v_and_b32_e32 v9, 0x7f800000, v6
	v_cmp_ne_u32_e64 s[4:5], s15, v9
                                        ; implicit-def: $vgpr25
	s_and_saveexec_b64 s[22:23], s[4:5]
	s_xor_b64 s[4:5], exec, s[22:23]
; %bb.1422:                             ;   in Loop: Header=BB365_562 Depth=1
	v_bfe_u32 v9, v6, 16, 1
	v_add3_u32 v25, v6, v9, s24
                                        ; implicit-def: $vgpr6
; %bb.1423:                             ;   in Loop: Header=BB365_562 Depth=1
	s_andn2_saveexec_b64 s[22:23], s[4:5]
; %bb.1424:                             ;   in Loop: Header=BB365_562 Depth=1
	v_or_b32_e32 v9, 0x10000, v6
	v_cmp_eq_u32_sdwa s[4:5], v6, v49 src0_sel:WORD_0 src1_sel:DWORD
	s_nop 1
	v_cndmask_b32_e64 v25, v9, v6, s[4:5]
; %bb.1425:                             ;   in Loop: Header=BB365_562 Depth=1
	s_or_b64 exec, exec, s[22:23]
	v_lshlrev_b32_e32 v6, 16, v20
	v_mul_f32_e32 v6, v31, v6
	v_and_b32_e32 v9, 0x7f800000, v6
	v_cmp_ne_u32_e64 s[4:5], s15, v9
                                        ; implicit-def: $vgpr32
	s_and_saveexec_b64 s[22:23], s[4:5]
	s_xor_b64 s[4:5], exec, s[22:23]
; %bb.1426:                             ;   in Loop: Header=BB365_562 Depth=1
	v_bfe_u32 v9, v6, 16, 1
	v_add3_u32 v32, v6, v9, s24
                                        ; implicit-def: $vgpr6
; %bb.1427:                             ;   in Loop: Header=BB365_562 Depth=1
	s_andn2_saveexec_b64 s[22:23], s[4:5]
; %bb.1428:                             ;   in Loop: Header=BB365_562 Depth=1
	v_or_b32_e32 v9, 0x10000, v6
	v_cmp_eq_u32_sdwa s[4:5], v6, v49 src0_sel:WORD_0 src1_sel:DWORD
	s_nop 1
	v_cndmask_b32_e64 v32, v9, v6, s[4:5]
; %bb.1429:                             ;   in Loop: Header=BB365_562 Depth=1
	s_or_b64 exec, exec, s[22:23]
	v_lshlrev_b32_e32 v6, 16, v23
	v_mul_f32_e32 v6, v42, v6
	v_and_b32_e32 v9, 0x7f800000, v6
	v_cmp_ne_u32_e64 s[4:5], s15, v9
                                        ; implicit-def: $vgpr33
	s_and_saveexec_b64 s[22:23], s[4:5]
	s_xor_b64 s[4:5], exec, s[22:23]
; %bb.1430:                             ;   in Loop: Header=BB365_562 Depth=1
	v_bfe_u32 v9, v6, 16, 1
	v_add3_u32 v33, v6, v9, s24
                                        ; implicit-def: $vgpr6
; %bb.1431:                             ;   in Loop: Header=BB365_562 Depth=1
	s_andn2_saveexec_b64 s[22:23], s[4:5]
; %bb.1432:                             ;   in Loop: Header=BB365_562 Depth=1
	v_or_b32_e32 v9, 0x10000, v6
	v_cmp_eq_u32_sdwa s[4:5], v6, v49 src0_sel:WORD_0 src1_sel:DWORD
	s_nop 1
	v_cndmask_b32_e64 v33, v9, v6, s[4:5]
; %bb.1433:                             ;   in Loop: Header=BB365_562 Depth=1
	s_or_b64 exec, exec, s[22:23]
	v_lshlrev_b32_e32 v6, 16, v11
	v_mul_f32_e32 v6, v43, v6
	v_and_b32_e32 v9, 0x7f800000, v6
	v_cmp_ne_u32_e64 s[4:5], s15, v9
                                        ; implicit-def: $vgpr34
	s_and_saveexec_b64 s[22:23], s[4:5]
	s_xor_b64 s[4:5], exec, s[22:23]
; %bb.1434:                             ;   in Loop: Header=BB365_562 Depth=1
	v_bfe_u32 v9, v6, 16, 1
	v_add3_u32 v34, v6, v9, s24
                                        ; implicit-def: $vgpr6
; %bb.1435:                             ;   in Loop: Header=BB365_562 Depth=1
	s_andn2_saveexec_b64 s[22:23], s[4:5]
; %bb.1436:                             ;   in Loop: Header=BB365_562 Depth=1
	v_or_b32_e32 v9, 0x10000, v6
	v_cmp_eq_u32_sdwa s[4:5], v6, v49 src0_sel:WORD_0 src1_sel:DWORD
	s_nop 1
	v_cndmask_b32_e64 v34, v9, v6, s[4:5]
; %bb.1437:                             ;   in Loop: Header=BB365_562 Depth=1
	s_or_b64 exec, exec, s[22:23]
	v_lshlrev_b32_e32 v6, 16, v10
	v_mul_f32_e32 v6, v44, v6
	v_and_b32_e32 v9, 0x7f800000, v6
	v_cmp_ne_u32_e64 s[4:5], s15, v9
                                        ; implicit-def: $vgpr35
	s_and_saveexec_b64 s[22:23], s[4:5]
	s_xor_b64 s[4:5], exec, s[22:23]
; %bb.1438:                             ;   in Loop: Header=BB365_562 Depth=1
	v_bfe_u32 v9, v6, 16, 1
	v_add3_u32 v35, v6, v9, s24
                                        ; implicit-def: $vgpr6
; %bb.1439:                             ;   in Loop: Header=BB365_562 Depth=1
	s_andn2_saveexec_b64 s[22:23], s[4:5]
; %bb.1440:                             ;   in Loop: Header=BB365_562 Depth=1
	v_or_b32_e32 v9, 0x10000, v6
	v_cmp_eq_u32_sdwa s[4:5], v6, v49 src0_sel:WORD_0 src1_sel:DWORD
	s_nop 1
	v_cndmask_b32_e64 v35, v9, v6, s[4:5]
; %bb.1441:                             ;   in Loop: Header=BB365_562 Depth=1
	s_or_b64 exec, exec, s[22:23]
	v_lshlrev_b32_e32 v6, 16, v22
	v_mul_f32_e32 v6, v46, v6
	v_and_b32_e32 v9, 0x7f800000, v6
	v_cmp_ne_u32_e64 s[4:5], s15, v9
                                        ; implicit-def: $vgpr36
	s_and_saveexec_b64 s[22:23], s[4:5]
	s_xor_b64 s[4:5], exec, s[22:23]
; %bb.1442:                             ;   in Loop: Header=BB365_562 Depth=1
	v_bfe_u32 v9, v6, 16, 1
	v_add3_u32 v36, v6, v9, s24
                                        ; implicit-def: $vgpr6
; %bb.1443:                             ;   in Loop: Header=BB365_562 Depth=1
	s_andn2_saveexec_b64 s[22:23], s[4:5]
; %bb.1444:                             ;   in Loop: Header=BB365_562 Depth=1
	v_or_b32_e32 v9, 0x10000, v6
	v_cmp_eq_u32_sdwa s[4:5], v6, v49 src0_sel:WORD_0 src1_sel:DWORD
	s_nop 1
	v_cndmask_b32_e64 v36, v9, v6, s[4:5]
; %bb.1445:                             ;   in Loop: Header=BB365_562 Depth=1
	s_or_b64 exec, exec, s[22:23]
	v_lshlrev_b32_e32 v3, 16, v3
	v_mul_f32_e32 v3, v47, v3
	v_and_b32_e32 v6, 0x7f800000, v3
	v_cmp_ne_u32_e64 s[4:5], s15, v6
                                        ; implicit-def: $vgpr37
	s_and_saveexec_b64 s[22:23], s[4:5]
	s_xor_b64 s[4:5], exec, s[22:23]
; %bb.1446:                             ;   in Loop: Header=BB365_562 Depth=1
	v_bfe_u32 v6, v3, 16, 1
	v_add3_u32 v37, v3, v6, s24
                                        ; implicit-def: $vgpr3
; %bb.1447:                             ;   in Loop: Header=BB365_562 Depth=1
	s_andn2_saveexec_b64 s[22:23], s[4:5]
; %bb.1448:                             ;   in Loop: Header=BB365_562 Depth=1
	v_or_b32_e32 v6, 0x10000, v3
	v_cmp_eq_u32_sdwa s[4:5], v3, v49 src0_sel:WORD_0 src1_sel:DWORD
	s_nop 1
	v_cndmask_b32_e64 v37, v6, v3, s[4:5]
; %bb.1449:                             ;   in Loop: Header=BB365_562 Depth=1
	s_or_b64 exec, exec, s[22:23]
	v_lshlrev_b32_e32 v2, 16, v2
	v_mul_f32_e32 v2, v58, v2
	v_and_b32_e32 v3, 0x7f800000, v2
	v_cmp_ne_u32_e64 s[4:5], s15, v3
                                        ; implicit-def: $vgpr38
	s_and_saveexec_b64 s[22:23], s[4:5]
	s_xor_b64 s[4:5], exec, s[22:23]
; %bb.1450:                             ;   in Loop: Header=BB365_562 Depth=1
	v_bfe_u32 v3, v2, 16, 1
	v_add3_u32 v38, v2, v3, s24
                                        ; implicit-def: $vgpr2
; %bb.1451:                             ;   in Loop: Header=BB365_562 Depth=1
	s_andn2_saveexec_b64 s[22:23], s[4:5]
; %bb.1452:                             ;   in Loop: Header=BB365_562 Depth=1
	v_or_b32_e32 v3, 0x10000, v2
	v_cmp_eq_u32_sdwa s[4:5], v2, v49 src0_sel:WORD_0 src1_sel:DWORD
	s_nop 1
	v_cndmask_b32_e64 v38, v3, v2, s[4:5]
; %bb.1453:                             ;   in Loop: Header=BB365_562 Depth=1
	s_or_b64 exec, exec, s[22:23]
	scratch_load_dwordx2 v[2:3], off, s32 offset:536 ; 8-byte Folded Reload
	s_waitcnt vmcnt(0)
	v_lshl_add_u64 v[2:3], v[0:1], 0, v[2:3]
	flat_load_dwordx2 v[2:3], v[2:3]
	s_waitcnt vmcnt(0) lgkmcnt(0)
	v_and_b32_e32 v6, 0xff, v2
	v_cvt_f32_fp8_sdwa v6, v6 src0_sel:BYTE_0
	s_nop 0
	v_mul_f32_e32 v6, v57, v6
	v_and_b32_e32 v9, 0x7f800000, v6
	v_cmp_ne_u32_e64 s[4:5], s15, v9
                                        ; implicit-def: $vgpr9
	s_and_saveexec_b64 s[22:23], s[4:5]
	s_xor_b64 s[4:5], exec, s[22:23]
; %bb.1454:                             ;   in Loop: Header=BB365_562 Depth=1
	v_bfe_u32 v9, v6, 16, 1
	v_add3_u32 v9, v6, v9, s24
                                        ; implicit-def: $vgpr6
; %bb.1455:                             ;   in Loop: Header=BB365_562 Depth=1
	s_andn2_saveexec_b64 s[22:23], s[4:5]
; %bb.1456:                             ;   in Loop: Header=BB365_562 Depth=1
	v_or_b32_e32 v9, 0x10000, v6
	v_cmp_eq_u32_sdwa s[4:5], v6, v49 src0_sel:WORD_0 src1_sel:DWORD
	s_nop 1
	v_cndmask_b32_e64 v9, v9, v6, s[4:5]
; %bb.1457:                             ;   in Loop: Header=BB365_562 Depth=1
	s_or_b64 exec, exec, s[22:23]
	v_bfe_u32 v6, v2, 8, 8
	v_cvt_f32_fp8_sdwa v6, v6 src0_sel:BYTE_0
                                        ; implicit-def: $vgpr20
	s_nop 0
	v_mul_f32_e32 v6, v57, v6
	v_and_b32_e32 v10, 0x7f800000, v6
	v_cmp_ne_u32_e64 s[4:5], s15, v10
	s_and_saveexec_b64 s[22:23], s[4:5]
	s_xor_b64 s[4:5], exec, s[22:23]
; %bb.1458:                             ;   in Loop: Header=BB365_562 Depth=1
	v_bfe_u32 v10, v6, 16, 1
	v_add3_u32 v20, v6, v10, s24
                                        ; implicit-def: $vgpr6
; %bb.1459:                             ;   in Loop: Header=BB365_562 Depth=1
	s_andn2_saveexec_b64 s[22:23], s[4:5]
; %bb.1460:                             ;   in Loop: Header=BB365_562 Depth=1
	v_or_b32_e32 v10, 0x10000, v6
	v_cmp_eq_u32_sdwa s[4:5], v6, v49 src0_sel:WORD_0 src1_sel:DWORD
	s_nop 1
	v_cndmask_b32_e64 v20, v10, v6, s[4:5]
; %bb.1461:                             ;   in Loop: Header=BB365_562 Depth=1
	s_or_b64 exec, exec, s[22:23]
	v_bfe_u32 v6, v2, 16, 8
	v_cvt_f32_fp8_sdwa v6, v6 src0_sel:BYTE_0
                                        ; implicit-def: $vgpr23
	s_nop 0
	v_mul_f32_e32 v6, v57, v6
	v_and_b32_e32 v10, 0x7f800000, v6
	v_cmp_ne_u32_e64 s[4:5], s15, v10
	s_and_saveexec_b64 s[22:23], s[4:5]
	s_xor_b64 s[4:5], exec, s[22:23]
; %bb.1462:                             ;   in Loop: Header=BB365_562 Depth=1
	v_bfe_u32 v10, v6, 16, 1
	v_add3_u32 v23, v6, v10, s24
                                        ; implicit-def: $vgpr6
; %bb.1463:                             ;   in Loop: Header=BB365_562 Depth=1
	s_andn2_saveexec_b64 s[22:23], s[4:5]
; %bb.1464:                             ;   in Loop: Header=BB365_562 Depth=1
	v_or_b32_e32 v10, 0x10000, v6
	v_cmp_eq_u32_sdwa s[4:5], v6, v49 src0_sel:WORD_0 src1_sel:DWORD
	s_nop 1
	v_cndmask_b32_e64 v23, v10, v6, s[4:5]
; %bb.1465:                             ;   in Loop: Header=BB365_562 Depth=1
	s_or_b64 exec, exec, s[22:23]
	v_lshrrev_b32_e32 v2, 24, v2
	v_cvt_f32_fp8_sdwa v2, v2 src0_sel:BYTE_0
	s_nop 0
	v_mul_f32_e32 v6, v57, v2
	v_and_b32_e32 v2, 0x7f800000, v6
	v_cmp_ne_u32_e64 s[4:5], s15, v2
                                        ; implicit-def: $vgpr2
	s_and_saveexec_b64 s[22:23], s[4:5]
	s_xor_b64 s[4:5], exec, s[22:23]
; %bb.1466:                             ;   in Loop: Header=BB365_562 Depth=1
	v_bfe_u32 v2, v6, 16, 1
	v_add3_u32 v2, v6, v2, s24
                                        ; implicit-def: $vgpr6
; %bb.1467:                             ;   in Loop: Header=BB365_562 Depth=1
	s_andn2_saveexec_b64 s[22:23], s[4:5]
; %bb.1468:                             ;   in Loop: Header=BB365_562 Depth=1
	v_or_b32_e32 v2, 0x10000, v6
	v_cmp_eq_u32_sdwa s[4:5], v6, v49 src0_sel:WORD_0 src1_sel:DWORD
	s_nop 1
	v_cndmask_b32_e64 v2, v2, v6, s[4:5]
; %bb.1469:                             ;   in Loop: Header=BB365_562 Depth=1
	s_or_b64 exec, exec, s[22:23]
	v_and_b32_e32 v6, 0xff, v3
	v_cvt_f32_fp8_sdwa v6, v6 src0_sel:BYTE_0
	s_nop 0
	v_mul_f32_e32 v6, v57, v6
	v_and_b32_e32 v10, 0x7f800000, v6
	v_cmp_ne_u32_e64 s[4:5], s15, v10
                                        ; implicit-def: $vgpr10
	s_and_saveexec_b64 s[22:23], s[4:5]
	s_xor_b64 s[4:5], exec, s[22:23]
; %bb.1470:                             ;   in Loop: Header=BB365_562 Depth=1
	v_bfe_u32 v10, v6, 16, 1
	v_add3_u32 v10, v6, v10, s24
                                        ; implicit-def: $vgpr6
; %bb.1471:                             ;   in Loop: Header=BB365_562 Depth=1
	s_andn2_saveexec_b64 s[22:23], s[4:5]
; %bb.1472:                             ;   in Loop: Header=BB365_562 Depth=1
	v_or_b32_e32 v10, 0x10000, v6
	v_cmp_eq_u32_sdwa s[4:5], v6, v49 src0_sel:WORD_0 src1_sel:DWORD
	s_nop 1
	v_cndmask_b32_e64 v10, v10, v6, s[4:5]
; %bb.1473:                             ;   in Loop: Header=BB365_562 Depth=1
	s_or_b64 exec, exec, s[22:23]
	v_bfe_u32 v6, v3, 8, 8
	v_cvt_f32_fp8_sdwa v6, v6 src0_sel:BYTE_0
	s_nop 0
	v_mul_f32_e32 v6, v57, v6
	v_and_b32_e32 v11, 0x7f800000, v6
	v_cmp_ne_u32_e64 s[4:5], s15, v11
                                        ; implicit-def: $vgpr11
	s_and_saveexec_b64 s[22:23], s[4:5]
	s_xor_b64 s[4:5], exec, s[22:23]
; %bb.1474:                             ;   in Loop: Header=BB365_562 Depth=1
	v_bfe_u32 v11, v6, 16, 1
	v_add3_u32 v11, v6, v11, s24
                                        ; implicit-def: $vgpr6
; %bb.1475:                             ;   in Loop: Header=BB365_562 Depth=1
	s_andn2_saveexec_b64 s[22:23], s[4:5]
; %bb.1476:                             ;   in Loop: Header=BB365_562 Depth=1
	v_or_b32_e32 v11, 0x10000, v6
	v_cmp_eq_u32_sdwa s[4:5], v6, v49 src0_sel:WORD_0 src1_sel:DWORD
	s_nop 1
	v_cndmask_b32_e64 v11, v11, v6, s[4:5]
; %bb.1477:                             ;   in Loop: Header=BB365_562 Depth=1
	s_or_b64 exec, exec, s[22:23]
	v_bfe_u32 v6, v3, 16, 8
	v_cvt_f32_fp8_sdwa v6, v6 src0_sel:BYTE_0
                                        ; implicit-def: $vgpr26
	s_nop 0
	v_mul_f32_e32 v6, v57, v6
	v_and_b32_e32 v22, 0x7f800000, v6
	v_cmp_ne_u32_e64 s[4:5], s15, v22
	s_and_saveexec_b64 s[22:23], s[4:5]
	s_xor_b64 s[4:5], exec, s[22:23]
; %bb.1478:                             ;   in Loop: Header=BB365_562 Depth=1
	v_bfe_u32 v22, v6, 16, 1
	v_add3_u32 v26, v6, v22, s24
                                        ; implicit-def: $vgpr6
; %bb.1479:                             ;   in Loop: Header=BB365_562 Depth=1
	s_andn2_saveexec_b64 s[22:23], s[4:5]
; %bb.1480:                             ;   in Loop: Header=BB365_562 Depth=1
	v_or_b32_e32 v22, 0x10000, v6
	v_cmp_eq_u32_sdwa s[4:5], v6, v49 src0_sel:WORD_0 src1_sel:DWORD
	s_nop 1
	v_cndmask_b32_e64 v26, v22, v6, s[4:5]
; %bb.1481:                             ;   in Loop: Header=BB365_562 Depth=1
	s_or_b64 exec, exec, s[22:23]
	v_lshrrev_b32_e32 v3, 24, v3
	v_cvt_f32_fp8_sdwa v3, v3 src0_sel:BYTE_0
                                        ; implicit-def: $vgpr27
	s_nop 0
	v_mul_f32_e32 v3, v57, v3
	v_and_b32_e32 v6, 0x7f800000, v3
	v_cmp_ne_u32_e64 s[4:5], s15, v6
	s_and_saveexec_b64 s[22:23], s[4:5]
	s_xor_b64 s[4:5], exec, s[22:23]
; %bb.1482:                             ;   in Loop: Header=BB365_562 Depth=1
	v_bfe_u32 v6, v3, 16, 1
	v_add3_u32 v27, v3, v6, s24
                                        ; implicit-def: $vgpr3
; %bb.1483:                             ;   in Loop: Header=BB365_562 Depth=1
	s_andn2_saveexec_b64 s[22:23], s[4:5]
; %bb.1484:                             ;   in Loop: Header=BB365_562 Depth=1
	v_or_b32_e32 v6, 0x10000, v3
	v_cmp_eq_u32_sdwa s[4:5], v3, v49 src0_sel:WORD_0 src1_sel:DWORD
	s_nop 1
	v_cndmask_b32_e64 v27, v6, v3, s[4:5]
; %bb.1485:                             ;   in Loop: Header=BB365_562 Depth=1
	s_or_b64 exec, exec, s[22:23]
	v_lshrrev_b32_e32 v22, 16, v11
	v_lshrrev_b32_e32 v10, 16, v10
	;; [unrolled: 1-line block ×8, first 2 shown]
	s_and_saveexec_b64 s[22:23], vcc
	s_cbranch_execz .LBB365_1487
; %bb.1486:                             ;   in Loop: Header=BB365_562 Depth=1
	scratch_load_dword v9, off, s32 offset:196 ; 4-byte Folded Reload
	v_accvgpr_read_b32 v26, a34
	s_waitcnt vmcnt(0)
	v_cmp_lt_i32_e64 s[4:5], v50, v9
	s_nop 1
	v_cndmask_b32_e64 v6, 0, v6, s[4:5]
	v_cmp_lt_i32_e64 s[4:5], v26, v9
	v_accvgpr_read_b32 v26, a2
	s_nop 0
	v_cndmask_b32_e64 v20, 0, v20, s[4:5]
	v_cmp_lt_i32_e64 s[4:5], v26, v9
	v_accvgpr_read_b32 v26, a1
	;; [unrolled: 4-line block ×6, first 2 shown]
	s_nop 0
	v_cndmask_b32_e64 v3, 0, v3, s[4:5]
	v_cmp_lt_i32_e64 s[4:5], v26, v9
	s_nop 1
	v_cndmask_b32_e64 v2, 0, v2, s[4:5]
.LBB365_1487:                           ;   in Loop: Header=BB365_562 Depth=1
	s_or_b64 exec, exec, s[22:23]
	v_lshlrev_b32_e32 v6, 16, v6
	v_mul_f32_e32 v6, v30, v6
	v_and_b32_e32 v9, 0x7f800000, v6
	v_cmp_ne_u32_e64 s[4:5], s15, v9
                                        ; implicit-def: $vgpr39
	s_and_saveexec_b64 s[22:23], s[4:5]
	s_xor_b64 s[4:5], exec, s[22:23]
; %bb.1488:                             ;   in Loop: Header=BB365_562 Depth=1
	v_bfe_u32 v9, v6, 16, 1
	v_add3_u32 v39, v6, v9, s24
                                        ; implicit-def: $vgpr6
; %bb.1489:                             ;   in Loop: Header=BB365_562 Depth=1
	s_andn2_saveexec_b64 s[22:23], s[4:5]
; %bb.1490:                             ;   in Loop: Header=BB365_562 Depth=1
	v_or_b32_e32 v9, 0x10000, v6
	v_cmp_eq_u32_sdwa s[4:5], v6, v49 src0_sel:WORD_0 src1_sel:DWORD
	s_nop 1
	v_cndmask_b32_e64 v39, v9, v6, s[4:5]
; %bb.1491:                             ;   in Loop: Header=BB365_562 Depth=1
	s_or_b64 exec, exec, s[22:23]
	v_lshlrev_b32_e32 v6, 16, v20
	v_mul_f32_e32 v6, v31, v6
	v_and_b32_e32 v9, 0x7f800000, v6
	v_cmp_ne_u32_e64 s[4:5], s15, v9
                                        ; implicit-def: $vgpr60
	s_and_saveexec_b64 s[22:23], s[4:5]
	s_xor_b64 s[4:5], exec, s[22:23]
; %bb.1492:                             ;   in Loop: Header=BB365_562 Depth=1
	v_bfe_u32 v9, v6, 16, 1
	v_add3_u32 v60, v6, v9, s24
                                        ; implicit-def: $vgpr6
; %bb.1493:                             ;   in Loop: Header=BB365_562 Depth=1
	s_andn2_saveexec_b64 s[22:23], s[4:5]
; %bb.1494:                             ;   in Loop: Header=BB365_562 Depth=1
	v_or_b32_e32 v9, 0x10000, v6
	v_cmp_eq_u32_sdwa s[4:5], v6, v49 src0_sel:WORD_0 src1_sel:DWORD
	s_nop 1
	v_cndmask_b32_e64 v60, v9, v6, s[4:5]
; %bb.1495:                             ;   in Loop: Header=BB365_562 Depth=1
	s_or_b64 exec, exec, s[22:23]
	v_lshlrev_b32_e32 v6, 16, v23
	v_mul_f32_e32 v6, v42, v6
	v_and_b32_e32 v9, 0x7f800000, v6
	v_cmp_ne_u32_e64 s[4:5], s15, v9
                                        ; implicit-def: $vgpr51
	s_and_saveexec_b64 s[22:23], s[4:5]
	s_xor_b64 s[4:5], exec, s[22:23]
; %bb.1496:                             ;   in Loop: Header=BB365_562 Depth=1
	v_bfe_u32 v9, v6, 16, 1
	v_add3_u32 v51, v6, v9, s24
                                        ; implicit-def: $vgpr6
; %bb.1497:                             ;   in Loop: Header=BB365_562 Depth=1
	s_andn2_saveexec_b64 s[22:23], s[4:5]
; %bb.1498:                             ;   in Loop: Header=BB365_562 Depth=1
	v_or_b32_e32 v9, 0x10000, v6
	v_cmp_eq_u32_sdwa s[4:5], v6, v49 src0_sel:WORD_0 src1_sel:DWORD
	s_nop 1
	v_cndmask_b32_e64 v51, v9, v6, s[4:5]
; %bb.1499:                             ;   in Loop: Header=BB365_562 Depth=1
	s_or_b64 exec, exec, s[22:23]
	v_lshlrev_b32_e32 v6, 16, v11
	v_mul_f32_e32 v6, v43, v6
	v_and_b32_e32 v9, 0x7f800000, v6
	v_cmp_ne_u32_e64 s[4:5], s15, v9
                                        ; implicit-def: $vgpr52
	s_and_saveexec_b64 s[22:23], s[4:5]
	s_xor_b64 s[4:5], exec, s[22:23]
; %bb.1500:                             ;   in Loop: Header=BB365_562 Depth=1
	v_bfe_u32 v9, v6, 16, 1
	v_add3_u32 v52, v6, v9, s24
                                        ; implicit-def: $vgpr6
; %bb.1501:                             ;   in Loop: Header=BB365_562 Depth=1
	s_andn2_saveexec_b64 s[22:23], s[4:5]
; %bb.1502:                             ;   in Loop: Header=BB365_562 Depth=1
	v_or_b32_e32 v9, 0x10000, v6
	v_cmp_eq_u32_sdwa s[4:5], v6, v49 src0_sel:WORD_0 src1_sel:DWORD
	s_nop 1
	v_cndmask_b32_e64 v52, v9, v6, s[4:5]
; %bb.1503:                             ;   in Loop: Header=BB365_562 Depth=1
	s_or_b64 exec, exec, s[22:23]
	v_lshlrev_b32_e32 v6, 16, v10
	v_mul_f32_e32 v6, v44, v6
	v_and_b32_e32 v9, 0x7f800000, v6
	v_cmp_ne_u32_e64 s[4:5], s15, v9
                                        ; implicit-def: $vgpr53
	s_and_saveexec_b64 s[22:23], s[4:5]
	s_xor_b64 s[4:5], exec, s[22:23]
; %bb.1504:                             ;   in Loop: Header=BB365_562 Depth=1
	v_bfe_u32 v9, v6, 16, 1
	v_add3_u32 v53, v6, v9, s24
                                        ; implicit-def: $vgpr6
; %bb.1505:                             ;   in Loop: Header=BB365_562 Depth=1
	s_andn2_saveexec_b64 s[22:23], s[4:5]
; %bb.1506:                             ;   in Loop: Header=BB365_562 Depth=1
	v_or_b32_e32 v9, 0x10000, v6
	v_cmp_eq_u32_sdwa s[4:5], v6, v49 src0_sel:WORD_0 src1_sel:DWORD
	s_nop 1
	v_cndmask_b32_e64 v53, v9, v6, s[4:5]
; %bb.1507:                             ;   in Loop: Header=BB365_562 Depth=1
	s_or_b64 exec, exec, s[22:23]
	v_lshlrev_b32_e32 v6, 16, v22
	v_mul_f32_e32 v6, v46, v6
	v_and_b32_e32 v9, 0x7f800000, v6
	v_cmp_ne_u32_e64 s[4:5], s15, v9
                                        ; implicit-def: $vgpr28
	s_and_saveexec_b64 s[22:23], s[4:5]
	s_xor_b64 s[4:5], exec, s[22:23]
; %bb.1508:                             ;   in Loop: Header=BB365_562 Depth=1
	v_bfe_u32 v9, v6, 16, 1
	v_add3_u32 v28, v6, v9, s24
                                        ; implicit-def: $vgpr6
; %bb.1509:                             ;   in Loop: Header=BB365_562 Depth=1
	s_andn2_saveexec_b64 s[22:23], s[4:5]
; %bb.1510:                             ;   in Loop: Header=BB365_562 Depth=1
	v_or_b32_e32 v9, 0x10000, v6
	v_cmp_eq_u32_sdwa s[4:5], v6, v49 src0_sel:WORD_0 src1_sel:DWORD
	s_nop 1
	v_cndmask_b32_e64 v28, v9, v6, s[4:5]
; %bb.1511:                             ;   in Loop: Header=BB365_562 Depth=1
	s_or_b64 exec, exec, s[22:23]
	v_lshlrev_b32_e32 v3, 16, v3
	v_mul_f32_e32 v3, v47, v3
	v_and_b32_e32 v6, 0x7f800000, v3
	v_cmp_ne_u32_e64 s[4:5], s15, v6
                                        ; implicit-def: $vgpr54
	s_and_saveexec_b64 s[22:23], s[4:5]
	s_xor_b64 s[4:5], exec, s[22:23]
; %bb.1512:                             ;   in Loop: Header=BB365_562 Depth=1
	v_bfe_u32 v6, v3, 16, 1
	v_add3_u32 v54, v3, v6, s24
                                        ; implicit-def: $vgpr3
; %bb.1513:                             ;   in Loop: Header=BB365_562 Depth=1
	s_andn2_saveexec_b64 s[22:23], s[4:5]
; %bb.1514:                             ;   in Loop: Header=BB365_562 Depth=1
	v_or_b32_e32 v6, 0x10000, v3
	v_cmp_eq_u32_sdwa s[4:5], v3, v49 src0_sel:WORD_0 src1_sel:DWORD
	s_nop 1
	v_cndmask_b32_e64 v54, v6, v3, s[4:5]
; %bb.1515:                             ;   in Loop: Header=BB365_562 Depth=1
	s_or_b64 exec, exec, s[22:23]
	v_lshlrev_b32_e32 v2, 16, v2
	v_mul_f32_e32 v2, v58, v2
	v_and_b32_e32 v3, 0x7f800000, v2
	v_cmp_ne_u32_e64 s[4:5], s15, v3
                                        ; implicit-def: $vgpr55
	s_and_saveexec_b64 s[22:23], s[4:5]
	s_xor_b64 s[4:5], exec, s[22:23]
; %bb.1516:                             ;   in Loop: Header=BB365_562 Depth=1
	v_bfe_u32 v3, v2, 16, 1
	v_add3_u32 v55, v2, v3, s24
                                        ; implicit-def: $vgpr2
; %bb.1517:                             ;   in Loop: Header=BB365_562 Depth=1
	s_andn2_saveexec_b64 s[22:23], s[4:5]
; %bb.1518:                             ;   in Loop: Header=BB365_562 Depth=1
	v_or_b32_e32 v3, 0x10000, v2
	v_cmp_eq_u32_sdwa s[4:5], v2, v49 src0_sel:WORD_0 src1_sel:DWORD
	s_nop 1
	v_cndmask_b32_e64 v55, v3, v2, s[4:5]
; %bb.1519:                             ;   in Loop: Header=BB365_562 Depth=1
	s_or_b64 exec, exec, s[22:23]
	scratch_load_dwordx2 v[2:3], off, s32 offset:544 ; 8-byte Folded Reload
	s_waitcnt vmcnt(0)
	v_lshl_add_u64 v[2:3], v[0:1], 0, v[2:3]
	flat_load_dwordx2 v[2:3], v[2:3]
	s_waitcnt vmcnt(0) lgkmcnt(0)
	v_and_b32_e32 v6, 0xff, v2
	v_cvt_f32_fp8_sdwa v6, v6 src0_sel:BYTE_0
	s_nop 0
	v_mul_f32_e32 v6, v57, v6
	v_and_b32_e32 v9, 0x7f800000, v6
	v_cmp_ne_u32_e64 s[4:5], s15, v9
                                        ; implicit-def: $vgpr9
	s_and_saveexec_b64 s[22:23], s[4:5]
	s_xor_b64 s[4:5], exec, s[22:23]
; %bb.1520:                             ;   in Loop: Header=BB365_562 Depth=1
	v_bfe_u32 v9, v6, 16, 1
	v_add3_u32 v9, v6, v9, s24
                                        ; implicit-def: $vgpr6
; %bb.1521:                             ;   in Loop: Header=BB365_562 Depth=1
	s_andn2_saveexec_b64 s[22:23], s[4:5]
; %bb.1522:                             ;   in Loop: Header=BB365_562 Depth=1
	v_or_b32_e32 v9, 0x10000, v6
	v_cmp_eq_u32_sdwa s[4:5], v6, v49 src0_sel:WORD_0 src1_sel:DWORD
	s_nop 1
	v_cndmask_b32_e64 v9, v9, v6, s[4:5]
; %bb.1523:                             ;   in Loop: Header=BB365_562 Depth=1
	s_or_b64 exec, exec, s[22:23]
	v_bfe_u32 v6, v2, 8, 8
	v_cvt_f32_fp8_sdwa v6, v6 src0_sel:BYTE_0
                                        ; implicit-def: $vgpr20
	s_nop 0
	v_mul_f32_e32 v6, v57, v6
	v_and_b32_e32 v10, 0x7f800000, v6
	v_cmp_ne_u32_e64 s[4:5], s15, v10
	s_and_saveexec_b64 s[22:23], s[4:5]
	s_xor_b64 s[4:5], exec, s[22:23]
; %bb.1524:                             ;   in Loop: Header=BB365_562 Depth=1
	v_bfe_u32 v10, v6, 16, 1
	v_add3_u32 v20, v6, v10, s24
                                        ; implicit-def: $vgpr6
; %bb.1525:                             ;   in Loop: Header=BB365_562 Depth=1
	s_andn2_saveexec_b64 s[22:23], s[4:5]
; %bb.1526:                             ;   in Loop: Header=BB365_562 Depth=1
	v_or_b32_e32 v10, 0x10000, v6
	v_cmp_eq_u32_sdwa s[4:5], v6, v49 src0_sel:WORD_0 src1_sel:DWORD
	s_nop 1
	v_cndmask_b32_e64 v20, v10, v6, s[4:5]
; %bb.1527:                             ;   in Loop: Header=BB365_562 Depth=1
	s_or_b64 exec, exec, s[22:23]
	v_bfe_u32 v6, v2, 16, 8
	v_cvt_f32_fp8_sdwa v6, v6 src0_sel:BYTE_0
                                        ; implicit-def: $vgpr23
	s_nop 0
	v_mul_f32_e32 v6, v57, v6
	v_and_b32_e32 v10, 0x7f800000, v6
	v_cmp_ne_u32_e64 s[4:5], s15, v10
	s_and_saveexec_b64 s[22:23], s[4:5]
	s_xor_b64 s[4:5], exec, s[22:23]
; %bb.1528:                             ;   in Loop: Header=BB365_562 Depth=1
	v_bfe_u32 v10, v6, 16, 1
	v_add3_u32 v23, v6, v10, s24
                                        ; implicit-def: $vgpr6
; %bb.1529:                             ;   in Loop: Header=BB365_562 Depth=1
	s_andn2_saveexec_b64 s[22:23], s[4:5]
; %bb.1530:                             ;   in Loop: Header=BB365_562 Depth=1
	v_or_b32_e32 v10, 0x10000, v6
	v_cmp_eq_u32_sdwa s[4:5], v6, v49 src0_sel:WORD_0 src1_sel:DWORD
	s_nop 1
	v_cndmask_b32_e64 v23, v10, v6, s[4:5]
; %bb.1531:                             ;   in Loop: Header=BB365_562 Depth=1
	s_or_b64 exec, exec, s[22:23]
	v_lshrrev_b32_e32 v2, 24, v2
	v_cvt_f32_fp8_sdwa v2, v2 src0_sel:BYTE_0
	s_nop 0
	v_mul_f32_e32 v6, v57, v2
	v_and_b32_e32 v2, 0x7f800000, v6
	v_cmp_ne_u32_e64 s[4:5], s15, v2
                                        ; implicit-def: $vgpr2
	s_and_saveexec_b64 s[22:23], s[4:5]
	s_xor_b64 s[4:5], exec, s[22:23]
; %bb.1532:                             ;   in Loop: Header=BB365_562 Depth=1
	v_bfe_u32 v2, v6, 16, 1
	v_add3_u32 v2, v6, v2, s24
                                        ; implicit-def: $vgpr6
; %bb.1533:                             ;   in Loop: Header=BB365_562 Depth=1
	s_andn2_saveexec_b64 s[22:23], s[4:5]
; %bb.1534:                             ;   in Loop: Header=BB365_562 Depth=1
	v_or_b32_e32 v2, 0x10000, v6
	v_cmp_eq_u32_sdwa s[4:5], v6, v49 src0_sel:WORD_0 src1_sel:DWORD
	s_nop 1
	v_cndmask_b32_e64 v2, v2, v6, s[4:5]
; %bb.1535:                             ;   in Loop: Header=BB365_562 Depth=1
	s_or_b64 exec, exec, s[22:23]
	v_and_b32_e32 v6, 0xff, v3
	v_cvt_f32_fp8_sdwa v6, v6 src0_sel:BYTE_0
	s_nop 0
	v_mul_f32_e32 v6, v57, v6
	v_and_b32_e32 v10, 0x7f800000, v6
	v_cmp_ne_u32_e64 s[4:5], s15, v10
                                        ; implicit-def: $vgpr10
	s_and_saveexec_b64 s[22:23], s[4:5]
	s_xor_b64 s[4:5], exec, s[22:23]
; %bb.1536:                             ;   in Loop: Header=BB365_562 Depth=1
	v_bfe_u32 v10, v6, 16, 1
	v_add3_u32 v10, v6, v10, s24
                                        ; implicit-def: $vgpr6
; %bb.1537:                             ;   in Loop: Header=BB365_562 Depth=1
	s_andn2_saveexec_b64 s[22:23], s[4:5]
; %bb.1538:                             ;   in Loop: Header=BB365_562 Depth=1
	v_or_b32_e32 v10, 0x10000, v6
	v_cmp_eq_u32_sdwa s[4:5], v6, v49 src0_sel:WORD_0 src1_sel:DWORD
	s_nop 1
	v_cndmask_b32_e64 v10, v10, v6, s[4:5]
; %bb.1539:                             ;   in Loop: Header=BB365_562 Depth=1
	s_or_b64 exec, exec, s[22:23]
	v_bfe_u32 v6, v3, 8, 8
	v_cvt_f32_fp8_sdwa v6, v6 src0_sel:BYTE_0
	s_nop 0
	v_mul_f32_e32 v6, v57, v6
	v_and_b32_e32 v11, 0x7f800000, v6
	v_cmp_ne_u32_e64 s[4:5], s15, v11
                                        ; implicit-def: $vgpr11
	s_and_saveexec_b64 s[22:23], s[4:5]
	s_xor_b64 s[4:5], exec, s[22:23]
; %bb.1540:                             ;   in Loop: Header=BB365_562 Depth=1
	v_bfe_u32 v11, v6, 16, 1
	v_add3_u32 v11, v6, v11, s24
                                        ; implicit-def: $vgpr6
; %bb.1541:                             ;   in Loop: Header=BB365_562 Depth=1
	s_andn2_saveexec_b64 s[22:23], s[4:5]
; %bb.1542:                             ;   in Loop: Header=BB365_562 Depth=1
	v_or_b32_e32 v11, 0x10000, v6
	v_cmp_eq_u32_sdwa s[4:5], v6, v49 src0_sel:WORD_0 src1_sel:DWORD
	s_nop 1
	v_cndmask_b32_e64 v11, v11, v6, s[4:5]
; %bb.1543:                             ;   in Loop: Header=BB365_562 Depth=1
	s_or_b64 exec, exec, s[22:23]
	v_bfe_u32 v6, v3, 16, 8
	v_cvt_f32_fp8_sdwa v6, v6 src0_sel:BYTE_0
                                        ; implicit-def: $vgpr26
	s_nop 0
	v_mul_f32_e32 v6, v57, v6
	v_and_b32_e32 v22, 0x7f800000, v6
	v_cmp_ne_u32_e64 s[4:5], s15, v22
	s_and_saveexec_b64 s[22:23], s[4:5]
	s_xor_b64 s[4:5], exec, s[22:23]
; %bb.1544:                             ;   in Loop: Header=BB365_562 Depth=1
	v_bfe_u32 v22, v6, 16, 1
	v_add3_u32 v26, v6, v22, s24
                                        ; implicit-def: $vgpr6
; %bb.1545:                             ;   in Loop: Header=BB365_562 Depth=1
	s_andn2_saveexec_b64 s[22:23], s[4:5]
; %bb.1546:                             ;   in Loop: Header=BB365_562 Depth=1
	v_or_b32_e32 v22, 0x10000, v6
	v_cmp_eq_u32_sdwa s[4:5], v6, v49 src0_sel:WORD_0 src1_sel:DWORD
	s_nop 1
	v_cndmask_b32_e64 v26, v22, v6, s[4:5]
; %bb.1547:                             ;   in Loop: Header=BB365_562 Depth=1
	s_or_b64 exec, exec, s[22:23]
	v_lshrrev_b32_e32 v3, 24, v3
	v_cvt_f32_fp8_sdwa v3, v3 src0_sel:BYTE_0
	s_nop 0
	v_mul_f32_e32 v3, v57, v3
	v_and_b32_e32 v6, 0x7f800000, v3
	v_cmp_ne_u32_e64 s[4:5], s15, v6
                                        ; implicit-def: $vgpr6
	s_and_saveexec_b64 s[22:23], s[4:5]
	s_xor_b64 s[4:5], exec, s[22:23]
; %bb.1548:                             ;   in Loop: Header=BB365_562 Depth=1
	v_bfe_u32 v6, v3, 16, 1
	v_add3_u32 v6, v3, v6, s24
                                        ; implicit-def: $vgpr3
; %bb.1549:                             ;   in Loop: Header=BB365_562 Depth=1
	s_andn2_saveexec_b64 s[22:23], s[4:5]
; %bb.1550:                             ;   in Loop: Header=BB365_562 Depth=1
	v_or_b32_e32 v6, 0x10000, v3
	v_cmp_eq_u32_sdwa s[4:5], v3, v49 src0_sel:WORD_0 src1_sel:DWORD
	s_nop 1
	v_cndmask_b32_e64 v6, v6, v3, s[4:5]
; %bb.1551:                             ;   in Loop: Header=BB365_562 Depth=1
	s_or_b64 exec, exec, s[22:23]
	v_lshrrev_b32_e32 v22, 16, v11
	v_lshrrev_b32_e32 v10, 16, v10
	;; [unrolled: 1-line block ×8, first 2 shown]
	s_and_saveexec_b64 s[22:23], vcc
	s_cbranch_execz .LBB365_1553
; %bb.1552:                             ;   in Loop: Header=BB365_562 Depth=1
	scratch_load_dword v6, off, s32 offset:196 ; 4-byte Folded Reload
	v_accvgpr_read_b32 v20, a34
	s_waitcnt vmcnt(0)
	v_cmp_lt_i32_e64 s[4:5], v50, v6
	s_nop 1
	v_cndmask_b32_e64 v2, 0, v2, s[4:5]
	v_cmp_lt_i32_e64 s[4:5], v20, v6
	v_accvgpr_read_b32 v20, a2
	s_nop 0
	v_cndmask_b32_e64 v3, 0, v3, s[4:5]
	v_cmp_lt_i32_e64 s[4:5], v20, v6
	v_accvgpr_read_b32 v20, a1
	;; [unrolled: 4-line block ×6, first 2 shown]
	s_nop 0
	v_cndmask_b32_e64 v9, 0, v9, s[4:5]
	v_cmp_lt_i32_e64 s[4:5], v20, v6
	s_nop 1
	v_cndmask_b32_e64 v56, 0, v56, s[4:5]
.LBB365_1553:                           ;   in Loop: Header=BB365_562 Depth=1
	s_or_b64 exec, exec, s[22:23]
	v_lshlrev_b32_e32 v2, 16, v2
	v_mul_f32_e32 v6, v30, v2
	v_and_b32_e32 v2, 0x7f800000, v6
	v_cmp_ne_u32_e64 s[4:5], s15, v2
                                        ; implicit-def: $vgpr2
	s_and_saveexec_b64 s[22:23], s[4:5]
	s_xor_b64 s[4:5], exec, s[22:23]
; %bb.1554:                             ;   in Loop: Header=BB365_562 Depth=1
	v_bfe_u32 v2, v6, 16, 1
	v_add3_u32 v2, v6, v2, s24
                                        ; implicit-def: $vgpr6
; %bb.1555:                             ;   in Loop: Header=BB365_562 Depth=1
	s_andn2_saveexec_b64 s[22:23], s[4:5]
; %bb.1556:                             ;   in Loop: Header=BB365_562 Depth=1
	v_or_b32_e32 v2, 0x10000, v6
	v_cmp_eq_u32_sdwa s[4:5], v6, v49 src0_sel:WORD_0 src1_sel:DWORD
	s_nop 1
	v_cndmask_b32_e64 v2, v2, v6, s[4:5]
; %bb.1557:                             ;   in Loop: Header=BB365_562 Depth=1
	s_or_b64 exec, exec, s[22:23]
	v_lshlrev_b32_e32 v3, 16, v3
	v_mul_f32_e32 v6, v31, v3
	v_and_b32_e32 v3, 0x7f800000, v6
	v_cmp_ne_u32_e64 s[4:5], s15, v3
                                        ; implicit-def: $vgpr3
	s_and_saveexec_b64 s[22:23], s[4:5]
	s_xor_b64 s[4:5], exec, s[22:23]
; %bb.1558:                             ;   in Loop: Header=BB365_562 Depth=1
	v_bfe_u32 v3, v6, 16, 1
	v_add3_u32 v3, v6, v3, s24
                                        ; implicit-def: $vgpr6
; %bb.1559:                             ;   in Loop: Header=BB365_562 Depth=1
	s_andn2_saveexec_b64 s[22:23], s[4:5]
; %bb.1560:                             ;   in Loop: Header=BB365_562 Depth=1
	v_or_b32_e32 v3, 0x10000, v6
	v_cmp_eq_u32_sdwa s[4:5], v6, v49 src0_sel:WORD_0 src1_sel:DWORD
	s_nop 1
	v_cndmask_b32_e64 v3, v3, v6, s[4:5]
; %bb.1561:                             ;   in Loop: Header=BB365_562 Depth=1
	s_or_b64 exec, exec, s[22:23]
	v_lshlrev_b32_e32 v6, 16, v23
	v_mul_f32_e32 v6, v42, v6
	v_and_b32_e32 v20, 0x7f800000, v6
	v_cmp_ne_u32_e64 s[4:5], s15, v20
                                        ; implicit-def: $vgpr23
	s_and_saveexec_b64 s[22:23], s[4:5]
	s_xor_b64 s[4:5], exec, s[22:23]
; %bb.1562:                             ;   in Loop: Header=BB365_562 Depth=1
	v_bfe_u32 v20, v6, 16, 1
	v_add3_u32 v23, v6, v20, s24
                                        ; implicit-def: $vgpr6
; %bb.1563:                             ;   in Loop: Header=BB365_562 Depth=1
	s_andn2_saveexec_b64 s[22:23], s[4:5]
; %bb.1564:                             ;   in Loop: Header=BB365_562 Depth=1
	v_or_b32_e32 v20, 0x10000, v6
	v_cmp_eq_u32_sdwa s[4:5], v6, v49 src0_sel:WORD_0 src1_sel:DWORD
	s_nop 1
	v_cndmask_b32_e64 v23, v20, v6, s[4:5]
; %bb.1565:                             ;   in Loop: Header=BB365_562 Depth=1
	s_or_b64 exec, exec, s[22:23]
	v_lshlrev_b32_e32 v6, 16, v11
	v_mul_f32_e32 v6, v43, v6
	v_and_b32_e32 v11, 0x7f800000, v6
	v_cmp_ne_u32_e64 s[4:5], s15, v11
                                        ; implicit-def: $vgpr40
	s_and_saveexec_b64 s[22:23], s[4:5]
	s_xor_b64 s[4:5], exec, s[22:23]
; %bb.1566:                             ;   in Loop: Header=BB365_562 Depth=1
	v_bfe_u32 v11, v6, 16, 1
	v_add3_u32 v40, v6, v11, s24
                                        ; implicit-def: $vgpr6
; %bb.1567:                             ;   in Loop: Header=BB365_562 Depth=1
	s_andn2_saveexec_b64 s[22:23], s[4:5]
; %bb.1568:                             ;   in Loop: Header=BB365_562 Depth=1
	v_or_b32_e32 v11, 0x10000, v6
	v_cmp_eq_u32_sdwa s[4:5], v6, v49 src0_sel:WORD_0 src1_sel:DWORD
	s_nop 1
	v_cndmask_b32_e64 v40, v11, v6, s[4:5]
; %bb.1569:                             ;   in Loop: Header=BB365_562 Depth=1
	s_or_b64 exec, exec, s[22:23]
	v_lshlrev_b32_e32 v6, 16, v10
	v_mul_f32_e32 v6, v44, v6
	v_and_b32_e32 v10, 0x7f800000, v6
	v_cmp_ne_u32_e64 s[4:5], s15, v10
                                        ; implicit-def: $vgpr41
	s_and_saveexec_b64 s[22:23], s[4:5]
	s_xor_b64 s[4:5], exec, s[22:23]
; %bb.1570:                             ;   in Loop: Header=BB365_562 Depth=1
	v_bfe_u32 v10, v6, 16, 1
	v_add3_u32 v41, v6, v10, s24
                                        ; implicit-def: $vgpr6
; %bb.1571:                             ;   in Loop: Header=BB365_562 Depth=1
	s_andn2_saveexec_b64 s[22:23], s[4:5]
; %bb.1572:                             ;   in Loop: Header=BB365_562 Depth=1
	v_or_b32_e32 v10, 0x10000, v6
	v_cmp_eq_u32_sdwa s[4:5], v6, v49 src0_sel:WORD_0 src1_sel:DWORD
	s_nop 1
	v_cndmask_b32_e64 v41, v10, v6, s[4:5]
; %bb.1573:                             ;   in Loop: Header=BB365_562 Depth=1
	s_or_b64 exec, exec, s[22:23]
	v_lshlrev_b32_e32 v6, 16, v22
	v_mul_f32_e32 v6, v46, v6
	v_and_b32_e32 v10, 0x7f800000, v6
	v_cmp_ne_u32_e64 s[4:5], s15, v10
                                        ; implicit-def: $vgpr22
	s_and_saveexec_b64 s[22:23], s[4:5]
	s_xor_b64 s[4:5], exec, s[22:23]
; %bb.1574:                             ;   in Loop: Header=BB365_562 Depth=1
	v_bfe_u32 v10, v6, 16, 1
	v_add3_u32 v22, v6, v10, s24
                                        ; implicit-def: $vgpr6
; %bb.1575:                             ;   in Loop: Header=BB365_562 Depth=1
	s_andn2_saveexec_b64 s[22:23], s[4:5]
; %bb.1576:                             ;   in Loop: Header=BB365_562 Depth=1
	v_or_b32_e32 v10, 0x10000, v6
	v_cmp_eq_u32_sdwa s[4:5], v6, v49 src0_sel:WORD_0 src1_sel:DWORD
	s_nop 1
	v_cndmask_b32_e64 v22, v10, v6, s[4:5]
; %bb.1577:                             ;   in Loop: Header=BB365_562 Depth=1
	s_or_b64 exec, exec, s[22:23]
	v_lshlrev_b32_e32 v6, 16, v9
	v_mul_f32_e32 v6, v47, v6
	v_and_b32_e32 v9, 0x7f800000, v6
	v_cmp_ne_u32_e64 s[4:5], s15, v9
                                        ; implicit-def: $vgpr9
	s_and_saveexec_b64 s[22:23], s[4:5]
	s_xor_b64 s[4:5], exec, s[22:23]
; %bb.1578:                             ;   in Loop: Header=BB365_562 Depth=1
	v_bfe_u32 v9, v6, 16, 1
	v_add3_u32 v9, v6, v9, s24
                                        ; implicit-def: $vgpr6
; %bb.1579:                             ;   in Loop: Header=BB365_562 Depth=1
	s_andn2_saveexec_b64 s[22:23], s[4:5]
; %bb.1580:                             ;   in Loop: Header=BB365_562 Depth=1
	v_or_b32_e32 v9, 0x10000, v6
	v_cmp_eq_u32_sdwa s[4:5], v6, v49 src0_sel:WORD_0 src1_sel:DWORD
	s_nop 1
	v_cndmask_b32_e64 v9, v9, v6, s[4:5]
; %bb.1581:                             ;   in Loop: Header=BB365_562 Depth=1
	s_or_b64 exec, exec, s[22:23]
	v_lshlrev_b32_e32 v6, 16, v56
	v_mul_f32_e32 v6, v58, v6
	v_and_b32_e32 v10, 0x7f800000, v6
	v_cmp_ne_u32_e64 s[4:5], s15, v10
                                        ; implicit-def: $vgpr56
	s_and_saveexec_b64 s[22:23], s[4:5]
	s_xor_b64 s[4:5], exec, s[22:23]
; %bb.1582:                             ;   in Loop: Header=BB365_562 Depth=1
	v_bfe_u32 v10, v6, 16, 1
	v_add3_u32 v56, v6, v10, s24
                                        ; implicit-def: $vgpr6
; %bb.1583:                             ;   in Loop: Header=BB365_562 Depth=1
	s_andn2_saveexec_b64 s[22:23], s[4:5]
; %bb.1584:                             ;   in Loop: Header=BB365_562 Depth=1
	v_or_b32_e32 v10, 0x10000, v6
	v_cmp_eq_u32_sdwa s[4:5], v6, v49 src0_sel:WORD_0 src1_sel:DWORD
	s_nop 1
	v_cndmask_b32_e64 v56, v10, v6, s[4:5]
; %bb.1585:                             ;   in Loop: Header=BB365_562 Depth=1
	s_or_b64 exec, exec, s[22:23]
	scratch_load_dwordx2 v[10:11], off, s32 offset:552 ; 8-byte Folded Reload
                                        ; implicit-def: $vgpr20
	s_waitcnt vmcnt(0)
	v_lshl_add_u64 v[0:1], v[0:1], 0, v[10:11]
	flat_load_dwordx2 v[0:1], v[0:1]
	s_waitcnt vmcnt(0) lgkmcnt(0)
	v_and_b32_e32 v6, 0xff, v0
	v_cvt_f32_fp8_sdwa v6, v6 src0_sel:BYTE_0
	s_nop 0
	v_mul_f32_e32 v6, v57, v6
	v_and_b32_e32 v10, 0x7f800000, v6
	v_cmp_ne_u32_e64 s[4:5], s15, v10
	s_and_saveexec_b64 s[22:23], s[4:5]
	s_xor_b64 s[4:5], exec, s[22:23]
; %bb.1586:                             ;   in Loop: Header=BB365_562 Depth=1
	v_bfe_u32 v10, v6, 16, 1
	v_add3_u32 v20, v6, v10, s24
                                        ; implicit-def: $vgpr6
; %bb.1587:                             ;   in Loop: Header=BB365_562 Depth=1
	s_andn2_saveexec_b64 s[22:23], s[4:5]
; %bb.1588:                             ;   in Loop: Header=BB365_562 Depth=1
	v_or_b32_e32 v10, 0x10000, v6
	v_cmp_eq_u32_sdwa s[4:5], v6, v49 src0_sel:WORD_0 src1_sel:DWORD
	s_nop 1
	v_cndmask_b32_e64 v20, v10, v6, s[4:5]
; %bb.1589:                             ;   in Loop: Header=BB365_562 Depth=1
	s_or_b64 exec, exec, s[22:23]
	v_bfe_u32 v6, v0, 8, 8
	v_cvt_f32_fp8_sdwa v6, v6 src0_sel:BYTE_0
                                        ; implicit-def: $vgpr27
	s_nop 0
	v_mul_f32_e32 v6, v57, v6
	v_and_b32_e32 v10, 0x7f800000, v6
	v_cmp_ne_u32_e64 s[4:5], s15, v10
	s_and_saveexec_b64 s[22:23], s[4:5]
	s_xor_b64 s[4:5], exec, s[22:23]
; %bb.1590:                             ;   in Loop: Header=BB365_562 Depth=1
	v_bfe_u32 v10, v6, 16, 1
	v_add3_u32 v27, v6, v10, s24
                                        ; implicit-def: $vgpr6
; %bb.1591:                             ;   in Loop: Header=BB365_562 Depth=1
	s_andn2_saveexec_b64 s[22:23], s[4:5]
; %bb.1592:                             ;   in Loop: Header=BB365_562 Depth=1
	v_or_b32_e32 v10, 0x10000, v6
	v_cmp_eq_u32_sdwa s[4:5], v6, v49 src0_sel:WORD_0 src1_sel:DWORD
	s_nop 1
	v_cndmask_b32_e64 v27, v10, v6, s[4:5]
; %bb.1593:                             ;   in Loop: Header=BB365_562 Depth=1
	s_or_b64 exec, exec, s[22:23]
	v_bfe_u32 v6, v0, 16, 8
	v_cvt_f32_fp8_sdwa v6, v6 src0_sel:BYTE_0
	s_nop 0
	v_mul_f32_e32 v6, v57, v6
	v_and_b32_e32 v10, 0x7f800000, v6
	v_cmp_ne_u32_e64 s[4:5], s15, v10
                                        ; implicit-def: $vgpr10
	s_and_saveexec_b64 s[22:23], s[4:5]
	s_xor_b64 s[4:5], exec, s[22:23]
; %bb.1594:                             ;   in Loop: Header=BB365_562 Depth=1
	v_bfe_u32 v10, v6, 16, 1
	v_add3_u32 v10, v6, v10, s24
                                        ; implicit-def: $vgpr6
; %bb.1595:                             ;   in Loop: Header=BB365_562 Depth=1
	s_andn2_saveexec_b64 s[22:23], s[4:5]
; %bb.1596:                             ;   in Loop: Header=BB365_562 Depth=1
	v_or_b32_e32 v10, 0x10000, v6
	v_cmp_eq_u32_sdwa s[4:5], v6, v49 src0_sel:WORD_0 src1_sel:DWORD
	s_nop 1
	v_cndmask_b32_e64 v10, v10, v6, s[4:5]
; %bb.1597:                             ;   in Loop: Header=BB365_562 Depth=1
	s_or_b64 exec, exec, s[22:23]
	v_lshrrev_b32_e32 v0, 24, v0
	v_cvt_f32_fp8_sdwa v0, v0 src0_sel:BYTE_0
	s_nop 0
	v_mul_f32_e32 v6, v57, v0
	v_and_b32_e32 v0, 0x7f800000, v6
	v_cmp_ne_u32_e64 s[4:5], s15, v0
                                        ; implicit-def: $vgpr0
	s_and_saveexec_b64 s[22:23], s[4:5]
	s_xor_b64 s[4:5], exec, s[22:23]
; %bb.1598:                             ;   in Loop: Header=BB365_562 Depth=1
	v_bfe_u32 v0, v6, 16, 1
	v_add3_u32 v0, v6, v0, s24
                                        ; implicit-def: $vgpr6
; %bb.1599:                             ;   in Loop: Header=BB365_562 Depth=1
	s_andn2_saveexec_b64 s[22:23], s[4:5]
; %bb.1600:                             ;   in Loop: Header=BB365_562 Depth=1
	v_or_b32_e32 v0, 0x10000, v6
	v_cmp_eq_u32_sdwa s[4:5], v6, v49 src0_sel:WORD_0 src1_sel:DWORD
	s_nop 1
	v_cndmask_b32_e64 v0, v0, v6, s[4:5]
; %bb.1601:                             ;   in Loop: Header=BB365_562 Depth=1
	s_or_b64 exec, exec, s[22:23]
	v_and_b32_e32 v6, 0xff, v1
	v_cvt_f32_fp8_sdwa v6, v6 src0_sel:BYTE_0
	s_nop 0
	v_mul_f32_e32 v6, v57, v6
	v_and_b32_e32 v11, 0x7f800000, v6
	v_cmp_ne_u32_e64 s[4:5], s15, v11
                                        ; implicit-def: $vgpr11
	s_and_saveexec_b64 s[22:23], s[4:5]
	s_xor_b64 s[4:5], exec, s[22:23]
; %bb.1602:                             ;   in Loop: Header=BB365_562 Depth=1
	v_bfe_u32 v11, v6, 16, 1
	v_add3_u32 v11, v6, v11, s24
                                        ; implicit-def: $vgpr6
; %bb.1603:                             ;   in Loop: Header=BB365_562 Depth=1
	s_andn2_saveexec_b64 s[22:23], s[4:5]
; %bb.1604:                             ;   in Loop: Header=BB365_562 Depth=1
	v_or_b32_e32 v11, 0x10000, v6
	v_cmp_eq_u32_sdwa s[4:5], v6, v49 src0_sel:WORD_0 src1_sel:DWORD
	s_nop 1
	v_cndmask_b32_e64 v11, v11, v6, s[4:5]
; %bb.1605:                             ;   in Loop: Header=BB365_562 Depth=1
	s_or_b64 exec, exec, s[22:23]
	v_bfe_u32 v6, v1, 8, 8
	v_cvt_f32_fp8_sdwa v6, v6 src0_sel:BYTE_0
	s_nop 0
	v_mul_f32_e32 v6, v57, v6
	v_and_b32_e32 v26, 0x7f800000, v6
	v_cmp_ne_u32_e64 s[4:5], s15, v26
                                        ; implicit-def: $vgpr26
	s_and_saveexec_b64 s[22:23], s[4:5]
	s_xor_b64 s[4:5], exec, s[22:23]
; %bb.1606:                             ;   in Loop: Header=BB365_562 Depth=1
	v_bfe_u32 v26, v6, 16, 1
	v_add3_u32 v26, v6, v26, s24
                                        ; implicit-def: $vgpr6
; %bb.1607:                             ;   in Loop: Header=BB365_562 Depth=1
	s_andn2_saveexec_b64 s[22:23], s[4:5]
; %bb.1608:                             ;   in Loop: Header=BB365_562 Depth=1
	v_or_b32_e32 v26, 0x10000, v6
	v_cmp_eq_u32_sdwa s[4:5], v6, v49 src0_sel:WORD_0 src1_sel:DWORD
	s_nop 1
	v_cndmask_b32_e64 v26, v26, v6, s[4:5]
; %bb.1609:                             ;   in Loop: Header=BB365_562 Depth=1
	s_or_b64 exec, exec, s[22:23]
	v_bfe_u32 v6, v1, 16, 8
	v_cvt_f32_fp8_sdwa v6, v6 src0_sel:BYTE_0
	s_nop 0
	v_mul_f32_e32 v59, v57, v6
	v_and_b32_e32 v6, 0x7f800000, v59
	v_cmp_ne_u32_e64 s[4:5], s15, v6
                                        ; implicit-def: $vgpr6
	s_and_saveexec_b64 s[22:23], s[4:5]
	s_xor_b64 s[4:5], exec, s[22:23]
; %bb.1610:                             ;   in Loop: Header=BB365_562 Depth=1
	v_bfe_u32 v6, v59, 16, 1
	v_add3_u32 v6, v59, v6, s24
                                        ; implicit-def: $vgpr59
; %bb.1611:                             ;   in Loop: Header=BB365_562 Depth=1
	s_andn2_saveexec_b64 s[22:23], s[4:5]
; %bb.1612:                             ;   in Loop: Header=BB365_562 Depth=1
	v_or_b32_e32 v6, 0x10000, v59
	v_cmp_eq_u32_sdwa s[4:5], v59, v49 src0_sel:WORD_0 src1_sel:DWORD
	s_nop 1
	v_cndmask_b32_e64 v6, v6, v59, s[4:5]
; %bb.1613:                             ;   in Loop: Header=BB365_562 Depth=1
	s_or_b64 exec, exec, s[22:23]
	v_lshrrev_b32_e32 v1, 24, v1
	v_cvt_f32_fp8_sdwa v1, v1 src0_sel:BYTE_0
	s_nop 0
	v_mul_f32_e32 v1, v57, v1
	v_and_b32_e32 v45, 0x7f800000, v1
	v_cmp_ne_u32_e64 s[4:5], s15, v45
                                        ; implicit-def: $vgpr57
	s_and_saveexec_b64 s[22:23], s[4:5]
	s_xor_b64 s[4:5], exec, s[22:23]
; %bb.1614:                             ;   in Loop: Header=BB365_562 Depth=1
	v_bfe_u32 v45, v1, 16, 1
	v_add3_u32 v57, v1, v45, s24
                                        ; implicit-def: $vgpr1
; %bb.1615:                             ;   in Loop: Header=BB365_562 Depth=1
	s_andn2_saveexec_b64 s[22:23], s[4:5]
; %bb.1616:                             ;   in Loop: Header=BB365_562 Depth=1
	v_or_b32_e32 v45, 0x10000, v1
	v_cmp_eq_u32_sdwa s[4:5], v1, v49 src0_sel:WORD_0 src1_sel:DWORD
	s_nop 1
	v_cndmask_b32_e64 v57, v45, v1, s[4:5]
; %bb.1617:                             ;   in Loop: Header=BB365_562 Depth=1
	s_or_b64 exec, exec, s[22:23]
	v_lshrrev_b32_e32 v26, 16, v26
	v_lshrrev_b32_e32 v11, 16, v11
	;; [unrolled: 1-line block ×8, first 2 shown]
	s_and_saveexec_b64 s[4:5], vcc
	s_cbranch_execz .LBB365_1619
; %bb.1618:                             ;   in Loop: Header=BB365_562 Depth=1
	scratch_load_dword v6, off, s32 offset:196 ; 4-byte Folded Reload
	v_accvgpr_read_b32 v27, a34
	s_waitcnt vmcnt(0)
	v_cmp_lt_i32_e32 vcc, v50, v6
	s_nop 1
	v_cndmask_b32_e32 v0, 0, v0, vcc
	v_cmp_lt_i32_e32 vcc, v27, v6
	v_accvgpr_read_b32 v27, a2
	s_nop 0
	v_cndmask_b32_e32 v1, 0, v1, vcc
	v_cmp_lt_i32_e32 vcc, v27, v6
	v_accvgpr_read_b32 v27, a1
	;; [unrolled: 4-line block ×6, first 2 shown]
	s_nop 0
	v_cndmask_b32_e32 v20, 0, v20, vcc
	v_cmp_lt_i32_e32 vcc, v27, v6
	s_nop 1
	v_cndmask_b32_e32 v57, 0, v57, vcc
.LBB365_1619:                           ;   in Loop: Header=BB365_562 Depth=1
	s_or_b64 exec, exec, s[4:5]
	v_lshlrev_b32_e32 v0, 16, v0
	v_mul_f32_e32 v6, v30, v0
	v_and_b32_e32 v0, 0x7f800000, v6
	v_cmp_ne_u32_e32 vcc, s15, v0
                                        ; implicit-def: $vgpr0
	s_and_saveexec_b64 s[4:5], vcc
	s_xor_b64 s[4:5], exec, s[4:5]
; %bb.1620:                             ;   in Loop: Header=BB365_562 Depth=1
	v_bfe_u32 v0, v6, 16, 1
	v_add3_u32 v0, v6, v0, s24
                                        ; implicit-def: $vgpr6
; %bb.1621:                             ;   in Loop: Header=BB365_562 Depth=1
	s_andn2_saveexec_b64 s[4:5], s[4:5]
; %bb.1622:                             ;   in Loop: Header=BB365_562 Depth=1
	v_or_b32_e32 v0, 0x10000, v6
	v_cmp_eq_u32_sdwa vcc, v6, v49 src0_sel:WORD_0 src1_sel:DWORD
	s_nop 1
	v_cndmask_b32_e32 v0, v0, v6, vcc
; %bb.1623:                             ;   in Loop: Header=BB365_562 Depth=1
	s_or_b64 exec, exec, s[4:5]
	v_lshlrev_b32_e32 v1, 16, v1
	v_mul_f32_e32 v6, v31, v1
	v_and_b32_e32 v1, 0x7f800000, v6
	v_cmp_ne_u32_e32 vcc, s15, v1
                                        ; implicit-def: $vgpr1
	s_and_saveexec_b64 s[4:5], vcc
	s_xor_b64 s[4:5], exec, s[4:5]
; %bb.1624:                             ;   in Loop: Header=BB365_562 Depth=1
	v_bfe_u32 v1, v6, 16, 1
	v_add3_u32 v1, v6, v1, s24
                                        ; implicit-def: $vgpr6
; %bb.1625:                             ;   in Loop: Header=BB365_562 Depth=1
	s_andn2_saveexec_b64 s[4:5], s[4:5]
; %bb.1626:                             ;   in Loop: Header=BB365_562 Depth=1
	v_or_b32_e32 v1, 0x10000, v6
	v_cmp_eq_u32_sdwa vcc, v6, v49 src0_sel:WORD_0 src1_sel:DWORD
	s_nop 1
	v_cndmask_b32_e32 v1, v1, v6, vcc
; %bb.1627:                             ;   in Loop: Header=BB365_562 Depth=1
	s_or_b64 exec, exec, s[4:5]
	v_lshlrev_b32_e32 v6, 16, v10
	v_mul_f32_e32 v6, v42, v6
	v_and_b32_e32 v10, 0x7f800000, v6
	v_cmp_ne_u32_e32 vcc, s15, v10
                                        ; implicit-def: $vgpr30
	s_and_saveexec_b64 s[4:5], vcc
	s_xor_b64 s[4:5], exec, s[4:5]
; %bb.1628:                             ;   in Loop: Header=BB365_562 Depth=1
	v_bfe_u32 v10, v6, 16, 1
	v_add3_u32 v30, v6, v10, s24
                                        ; implicit-def: $vgpr6
; %bb.1629:                             ;   in Loop: Header=BB365_562 Depth=1
	s_andn2_saveexec_b64 s[4:5], s[4:5]
; %bb.1630:                             ;   in Loop: Header=BB365_562 Depth=1
	v_or_b32_e32 v10, 0x10000, v6
	v_cmp_eq_u32_sdwa vcc, v6, v49 src0_sel:WORD_0 src1_sel:DWORD
	s_nop 1
	v_cndmask_b32_e32 v30, v10, v6, vcc
; %bb.1631:                             ;   in Loop: Header=BB365_562 Depth=1
	s_or_b64 exec, exec, s[4:5]
	v_lshlrev_b32_e32 v6, 16, v59
	v_mul_f32_e32 v6, v43, v6
	v_and_b32_e32 v10, 0x7f800000, v6
	v_cmp_ne_u32_e32 vcc, s15, v10
                                        ; implicit-def: $vgpr31
	s_and_saveexec_b64 s[4:5], vcc
	s_xor_b64 s[4:5], exec, s[4:5]
; %bb.1632:                             ;   in Loop: Header=BB365_562 Depth=1
	v_bfe_u32 v10, v6, 16, 1
	v_add3_u32 v31, v6, v10, s24
                                        ; implicit-def: $vgpr6
; %bb.1633:                             ;   in Loop: Header=BB365_562 Depth=1
	s_andn2_saveexec_b64 s[4:5], s[4:5]
; %bb.1634:                             ;   in Loop: Header=BB365_562 Depth=1
	v_or_b32_e32 v10, 0x10000, v6
	v_cmp_eq_u32_sdwa vcc, v6, v49 src0_sel:WORD_0 src1_sel:DWORD
	s_nop 1
	v_cndmask_b32_e32 v31, v10, v6, vcc
; %bb.1635:                             ;   in Loop: Header=BB365_562 Depth=1
	s_or_b64 exec, exec, s[4:5]
	v_lshlrev_b32_e32 v6, 16, v11
	v_mul_f32_e32 v6, v44, v6
	v_and_b32_e32 v10, 0x7f800000, v6
	v_cmp_ne_u32_e32 vcc, s15, v10
                                        ; implicit-def: $vgpr50
	s_and_saveexec_b64 s[4:5], vcc
	s_xor_b64 s[4:5], exec, s[4:5]
; %bb.1636:                             ;   in Loop: Header=BB365_562 Depth=1
	v_bfe_u32 v10, v6, 16, 1
	v_add3_u32 v50, v6, v10, s24
                                        ; implicit-def: $vgpr6
; %bb.1637:                             ;   in Loop: Header=BB365_562 Depth=1
	s_andn2_saveexec_b64 s[4:5], s[4:5]
; %bb.1638:                             ;   in Loop: Header=BB365_562 Depth=1
	v_or_b32_e32 v10, 0x10000, v6
	v_cmp_eq_u32_sdwa vcc, v6, v49 src0_sel:WORD_0 src1_sel:DWORD
	s_nop 1
	v_cndmask_b32_e32 v50, v10, v6, vcc
; %bb.1639:                             ;   in Loop: Header=BB365_562 Depth=1
	s_or_b64 exec, exec, s[4:5]
	v_lshlrev_b32_e32 v6, 16, v26
	v_mul_f32_e32 v6, v46, v6
	v_and_b32_e32 v10, 0x7f800000, v6
	v_cmp_ne_u32_e32 vcc, s15, v10
                                        ; implicit-def: $vgpr42
	s_and_saveexec_b64 s[4:5], vcc
	s_xor_b64 s[4:5], exec, s[4:5]
; %bb.1640:                             ;   in Loop: Header=BB365_562 Depth=1
	v_bfe_u32 v10, v6, 16, 1
	v_add3_u32 v42, v6, v10, s24
                                        ; implicit-def: $vgpr6
; %bb.1641:                             ;   in Loop: Header=BB365_562 Depth=1
	s_andn2_saveexec_b64 s[4:5], s[4:5]
; %bb.1642:                             ;   in Loop: Header=BB365_562 Depth=1
	v_or_b32_e32 v10, 0x10000, v6
	v_cmp_eq_u32_sdwa vcc, v6, v49 src0_sel:WORD_0 src1_sel:DWORD
	s_nop 1
	v_cndmask_b32_e32 v42, v10, v6, vcc
; %bb.1643:                             ;   in Loop: Header=BB365_562 Depth=1
	s_or_b64 exec, exec, s[4:5]
	v_lshlrev_b32_e32 v6, 16, v20
	v_mul_f32_e32 v6, v47, v6
	v_and_b32_e32 v10, 0x7f800000, v6
	v_cmp_ne_u32_e32 vcc, s15, v10
                                        ; implicit-def: $vgpr43
	s_and_saveexec_b64 s[4:5], vcc
	s_xor_b64 s[4:5], exec, s[4:5]
; %bb.1644:                             ;   in Loop: Header=BB365_562 Depth=1
	v_bfe_u32 v10, v6, 16, 1
	v_add3_u32 v43, v6, v10, s24
                                        ; implicit-def: $vgpr6
; %bb.1645:                             ;   in Loop: Header=BB365_562 Depth=1
	s_andn2_saveexec_b64 s[4:5], s[4:5]
; %bb.1646:                             ;   in Loop: Header=BB365_562 Depth=1
	v_or_b32_e32 v10, 0x10000, v6
	v_cmp_eq_u32_sdwa vcc, v6, v49 src0_sel:WORD_0 src1_sel:DWORD
	s_nop 1
	v_cndmask_b32_e32 v43, v10, v6, vcc
; %bb.1647:                             ;   in Loop: Header=BB365_562 Depth=1
	s_or_b64 exec, exec, s[4:5]
	v_lshlrev_b32_e32 v6, 16, v57
	v_mul_f32_e32 v6, v58, v6
	v_and_b32_e32 v10, 0x7f800000, v6
	v_cmp_ne_u32_e32 vcc, s15, v10
                                        ; implicit-def: $vgpr44
	s_and_saveexec_b64 s[4:5], vcc
	s_xor_b64 s[4:5], exec, s[4:5]
; %bb.1648:                             ;   in Loop: Header=BB365_562 Depth=1
	v_bfe_u32 v10, v6, 16, 1
	v_add3_u32 v44, v6, v10, s24
                                        ; implicit-def: $vgpr6
; %bb.1649:                             ;   in Loop: Header=BB365_562 Depth=1
	s_andn2_saveexec_b64 s[4:5], s[4:5]
	s_cbranch_execz .LBB365_560
; %bb.1650:                             ;   in Loop: Header=BB365_562 Depth=1
	v_or_b32_e32 v10, 0x10000, v6
	v_cmp_eq_u32_sdwa vcc, v6, v49 src0_sel:WORD_0 src1_sel:DWORD
	s_nop 1
	v_cndmask_b32_e32 v44, v10, v6, vcc
	s_branch .LBB365_560
.LBB365_1651:
	s_or_b64 exec, exec, s[10:11]
	scratch_load_dword v26, off, s32 offset:572 ; 4-byte Folded Reload
	scratch_load_dword v27, off, s32 offset:568 ; 4-byte Folded Reload
	;; [unrolled: 1-line block ×4, first 2 shown]
	scratch_load_dwordx2 v[32:33], off, s32 offset:292 ; 8-byte Folded Reload
	scratch_load_dwordx2 v[16:17], off, s32 offset:208 ; 8-byte Folded Reload
	;; [unrolled: 1-line block ×7, first 2 shown]
.LBB365_1652:
	s_or_b64 exec, exec, s[8:9]
	s_waitcnt vmcnt(0)
	ds_bpermute_b32 v0, v25, v4
	ds_bpermute_b32 v1, v25, v5
	;; [unrolled: 1-line block ×6, first 2 shown]
	s_waitcnt lgkmcnt(0)
	v_pk_add_f32 v[0:1], v[4:5], v[0:1]
	ds_bpermute_b32 v4, v28, v0
	ds_bpermute_b32 v5, v28, v1
	v_pk_add_f32 v[2:3], v[8:9], v[2:3]
	ds_bpermute_b32 v8, v28, v2
	ds_bpermute_b32 v9, v28, v3
	s_waitcnt lgkmcnt(0)
	v_pk_add_f32 v[22:23], v[0:1], v[4:5]
	v_pk_add_f32 v[0:1], v[20:21], v[6:7]
	ds_bpermute_b32 v4, v28, v0
	ds_bpermute_b32 v5, v28, v1
	;; [unrolled: 1-line block ×4, first 2 shown]
	v_pk_add_f32 v[20:21], v[2:3], v[8:9]
	ds_bpermute_b32 v2, v25, v10
	ds_bpermute_b32 v3, v25, v11
	s_waitcnt lgkmcnt(4)
	v_pk_add_f32 v[14:15], v[0:1], v[4:5]
	s_waitcnt lgkmcnt(2)
	v_pk_add_f32 v[0:1], v[18:19], v[6:7]
	ds_bpermute_b32 v4, v28, v0
	ds_bpermute_b32 v5, v28, v1
	s_waitcnt lgkmcnt(2)
	v_pk_add_f32 v[2:3], v[10:11], v[2:3]
	ds_bpermute_b32 v10, v25, v16
	ds_bpermute_b32 v11, v25, v17
	s_barrier
	s_waitcnt lgkmcnt(0)
	ds_bpermute_b32 v6, v25, v12
	ds_bpermute_b32 v7, v25, v13
	v_pk_add_f32 v[16:17], v[16:17], v[10:11]
	v_pk_add_f32 v[10:11], v[0:1], v[4:5]
	scratch_load_dword v4, off, s32 offset:844 ; 4-byte Folded Reload
	ds_bpermute_b32 v8, v28, v2
	ds_bpermute_b32 v9, v28, v3
	s_waitcnt lgkmcnt(2)
	v_pk_add_f32 v[6:7], v[12:13], v[6:7]
	ds_bpermute_b32 v24, v25, v32
	ds_bpermute_b32 v25, v25, v33
	;; [unrolled: 1-line block ×6, first 2 shown]
	s_waitcnt lgkmcnt(6)
	v_pk_add_f32 v[8:9], v[2:3], v[8:9]
	s_waitcnt lgkmcnt(4)
	v_pk_add_f32 v[2:3], v[32:33], v[24:25]
	;; [unrolled: 2-line block ×3, first 2 shown]
	ds_bpermute_b32 v12, v28, v2
	ds_bpermute_b32 v13, v28, v3
	s_waitcnt lgkmcnt(2)
	v_pk_add_f32 v[0:1], v[16:17], v[18:19]
	s_waitcnt vmcnt(0)
	v_and_b32_e32 v4, 0x3c3, v4
	v_cmp_ne_u32_e32 vcc, 64, v4
	s_and_saveexec_b64 s[4:5], vcc
	s_xor_b64 s[4:5], exec, s[4:5]
; %bb.1653:
                                        ; implicit-def: $vgpr27
; %bb.1654:
	s_or_saveexec_b64 s[4:5], s[4:5]
	s_waitcnt lgkmcnt(0)
	v_pk_add_f32 v[2:3], v[2:3], v[12:13]
	s_xor_b64 exec, exec, s[4:5]
	s_cbranch_execz .LBB365_1656
; %bb.1655:
	s_load_dword s8, s[6:7], 0x0
	s_waitcnt lgkmcnt(0)
	v_add_u32_e32 v4, s8, v27
	ds_write2_b32 v4, v22, v23 offset1:16
	ds_write2_b32 v4, v20, v21 offset0:32 offset1:48
	ds_write2_b32 v4, v14, v15 offset0:64 offset1:80
	;; [unrolled: 1-line block ×7, first 2 shown]
.LBB365_1656:
	s_or_b64 exec, exec, s[4:5]
	s_waitcnt lgkmcnt(0)
	s_barrier
	s_and_saveexec_b64 s[4:5], s[2:3]
	s_xor_b64 s[2:3], exec, s[4:5]
	s_andn2_saveexec_b64 s[2:3], s[2:3]
	s_cbranch_execz .LBB365_1675
; %bb.1657:
	scratch_load_dword v4, off, s32 offset:844 ; 4-byte Folded Reload
	v_cmp_eq_u32_e32 vcc, 0, v26
	s_waitcnt vmcnt(0)
	v_lshrrev_b32_e32 v4, 2, v4
	s_and_saveexec_b64 s[4:5], vcc
	s_cbranch_execnz .LBB365_1743
; %bb.1658:
	s_or_b64 exec, exec, s[4:5]
	s_and_saveexec_b64 s[4:5], vcc
	s_cbranch_execnz .LBB365_1744
.LBB365_1659:
	s_or_b64 exec, exec, s[4:5]
	s_and_saveexec_b64 s[4:5], vcc
	s_cbranch_execnz .LBB365_1745
.LBB365_1660:
	s_or_b64 exec, exec, s[4:5]
	s_and_saveexec_b64 s[4:5], vcc
	s_cbranch_execnz .LBB365_1746
.LBB365_1661:
	s_or_b64 exec, exec, s[4:5]
	s_and_saveexec_b64 s[4:5], vcc
	s_cbranch_execnz .LBB365_1747
.LBB365_1662:
	s_or_b64 exec, exec, s[4:5]
	s_and_saveexec_b64 s[4:5], vcc
	s_cbranch_execnz .LBB365_1748
.LBB365_1663:
	s_or_b64 exec, exec, s[4:5]
	s_and_saveexec_b64 s[4:5], vcc
	s_cbranch_execnz .LBB365_1749
.LBB365_1664:
	s_or_b64 exec, exec, s[4:5]
	s_and_saveexec_b64 s[4:5], vcc
	s_cbranch_execnz .LBB365_1750
.LBB365_1665:
	s_or_b64 exec, exec, s[4:5]
	s_and_saveexec_b64 s[4:5], vcc
	s_cbranch_execnz .LBB365_1751
.LBB365_1666:
	s_or_b64 exec, exec, s[4:5]
	s_and_saveexec_b64 s[4:5], vcc
	s_cbranch_execnz .LBB365_1752
.LBB365_1667:
	s_or_b64 exec, exec, s[4:5]
	s_and_saveexec_b64 s[4:5], vcc
	s_cbranch_execnz .LBB365_1753
.LBB365_1668:
	s_or_b64 exec, exec, s[4:5]
	s_and_saveexec_b64 s[4:5], vcc
	s_cbranch_execnz .LBB365_1754
.LBB365_1669:
	s_or_b64 exec, exec, s[4:5]
	s_and_saveexec_b64 s[4:5], vcc
	s_cbranch_execnz .LBB365_1755
.LBB365_1670:
	s_or_b64 exec, exec, s[4:5]
	s_and_saveexec_b64 s[4:5], vcc
	s_cbranch_execnz .LBB365_1756
.LBB365_1671:
	s_or_b64 exec, exec, s[4:5]
	s_and_saveexec_b64 s[4:5], vcc
	s_cbranch_execnz .LBB365_1757
.LBB365_1672:
	s_or_b64 exec, exec, s[4:5]
	s_and_saveexec_b64 s[4:5], vcc
	s_cbranch_execz .LBB365_1674
.LBB365_1673:
	s_load_dword s6, s[6:7], 0x0
	s_waitcnt lgkmcnt(0)
	v_lshl_add_u32 v4, v4, 2, s6
	ds_read_b32 v4, v4 offset:960
	s_waitcnt lgkmcnt(0)
	v_add_f32_e32 v3, v4, v3
.LBB365_1674:
	s_or_b64 exec, exec, s[4:5]
.LBB365_1675:
	s_or_b64 exec, exec, s[2:3]
	s_barrier
	s_and_b64 exec, exec, s[0:1]
	s_cbranch_execz .LBB365_1742
; %bb.1676:
	v_cmp_eq_u32_e32 vcc, 0, v26
	s_and_b64 exec, exec, vcc
	s_cbranch_execz .LBB365_1742
; %bb.1677:
	s_mov_b32 s0, 0x7f800000
	v_and_b32_e32 v4, 0x7f800000, v22
	v_cmp_ne_u32_e32 vcc, s0, v4
                                        ; implicit-def: $vgpr12
	s_and_saveexec_b64 s[0:1], vcc
	s_xor_b64 s[0:1], exec, s[0:1]
; %bb.1678:
	v_bfe_u32 v4, v22, 16, 1
	s_movk_i32 s2, 0x7fff
	v_add3_u32 v12, v22, v4, s2
; %bb.1679:
	s_andn2_saveexec_b64 s[0:1], s[0:1]
; %bb.1680:
	v_mov_b32_e32 v4, 0
	v_or_b32_e32 v5, 0x10000, v22
	v_cmp_eq_u32_sdwa vcc, v22, v4 src0_sel:WORD_0 src1_sel:DWORD
	s_nop 1
	v_cndmask_b32_e32 v12, v5, v22, vcc
; %bb.1681:
	s_or_b64 exec, exec, s[0:1]
	scratch_load_dwordx2 v[4:5], off, s32 offset:892 ; 8-byte Folded Reload
	scratch_load_dword v13, off, s32 offset:844 ; 4-byte Folded Reload
	s_mul_i32 s0, s21, s18
	s_mul_i32 s0, s0, s19
	s_lshl_b32 s0, s0, 8
	s_mul_i32 s2, s20, s21
	s_lshl_b32 s4, s14, 8
	s_ashr_i32 s1, s0, 31
	s_ashr_i32 s3, s2, 31
	;; [unrolled: 1-line block ×3, first 2 shown]
	s_lshl_b64 s[0:1], s[0:1], 1
	s_lshl_b64 s[2:3], s[2:3], 1
	;; [unrolled: 1-line block ×3, first 2 shown]
	s_add_u32 s2, s4, s2
	s_addc_u32 s3, s5, s3
	s_add_u32 s0, s2, s0
	s_addc_u32 s1, s3, s1
	v_mov_b32_e32 v17, 0
	s_waitcnt vmcnt(1)
	v_lshl_add_u64 v[4:5], s[0:1], 0, v[4:5]
	s_waitcnt vmcnt(0)
	v_lshrrev_b32_e32 v13, 1, v13
	v_and_b32_e32 v16, 0x1fe, v13
	v_lshl_add_u64 v[4:5], v[4:5], 0, v[16:17]
	flat_store_short_d16_hi v[4:5], v12
	s_mov_b32 s0, 0x7f800000
	v_and_b32_e32 v12, 0x7f800000, v23
	v_cmp_ne_u32_e32 vcc, s0, v12
                                        ; implicit-def: $vgpr12
	s_and_saveexec_b64 s[0:1], vcc
	s_xor_b64 s[0:1], exec, s[0:1]
; %bb.1682:
	v_bfe_u32 v12, v23, 16, 1
	s_movk_i32 s2, 0x7fff
	v_add3_u32 v12, v23, v12, s2
                                        ; implicit-def: $vgpr22_vgpr23
; %bb.1683:
	s_andn2_saveexec_b64 s[0:1], s[0:1]
; %bb.1684:
	v_mov_b32_e32 v12, 0
	v_or_b32_e32 v13, 0x10000, v23
	v_cmp_eq_u32_sdwa vcc, v23, v12 src0_sel:WORD_0 src1_sel:DWORD
	s_nop 1
	v_cndmask_b32_e32 v12, v13, v23, vcc
; %bb.1685:
	s_or_b64 exec, exec, s[0:1]
	flat_store_short_d16_hi v[4:5], v12 offset:32
	s_mov_b32 s0, 0x7f800000
	v_and_b32_e32 v12, 0x7f800000, v20
	v_cmp_ne_u32_e32 vcc, s0, v12
                                        ; implicit-def: $vgpr12
	s_and_saveexec_b64 s[0:1], vcc
	s_xor_b64 s[0:1], exec, s[0:1]
; %bb.1686:
	v_bfe_u32 v12, v20, 16, 1
	s_movk_i32 s2, 0x7fff
	v_add3_u32 v12, v20, v12, s2
; %bb.1687:
	s_andn2_saveexec_b64 s[0:1], s[0:1]
; %bb.1688:
	v_mov_b32_e32 v12, 0
	v_or_b32_e32 v13, 0x10000, v20
	v_cmp_eq_u32_sdwa vcc, v20, v12 src0_sel:WORD_0 src1_sel:DWORD
	s_nop 1
	v_cndmask_b32_e32 v12, v13, v20, vcc
; %bb.1689:
	s_or_b64 exec, exec, s[0:1]
	flat_store_short_d16_hi v[4:5], v12 offset:64
	s_mov_b32 s0, 0x7f800000
	v_and_b32_e32 v12, 0x7f800000, v21
	v_cmp_ne_u32_e32 vcc, s0, v12
                                        ; implicit-def: $vgpr12
	s_and_saveexec_b64 s[0:1], vcc
	s_xor_b64 s[0:1], exec, s[0:1]
; %bb.1690:
	v_bfe_u32 v12, v21, 16, 1
	s_movk_i32 s2, 0x7fff
	v_add3_u32 v12, v21, v12, s2
                                        ; implicit-def: $vgpr20_vgpr21
; %bb.1691:
	s_andn2_saveexec_b64 s[0:1], s[0:1]
; %bb.1692:
	v_mov_b32_e32 v12, 0
	v_or_b32_e32 v13, 0x10000, v21
	v_cmp_eq_u32_sdwa vcc, v21, v12 src0_sel:WORD_0 src1_sel:DWORD
	s_nop 1
	v_cndmask_b32_e32 v12, v13, v21, vcc
; %bb.1693:
	s_or_b64 exec, exec, s[0:1]
	flat_store_short_d16_hi v[4:5], v12 offset:96
	s_mov_b32 s0, 0x7f800000
	v_and_b32_e32 v12, 0x7f800000, v14
	v_cmp_ne_u32_e32 vcc, s0, v12
                                        ; implicit-def: $vgpr12
	s_and_saveexec_b64 s[0:1], vcc
	s_xor_b64 s[0:1], exec, s[0:1]
; %bb.1694:
	v_bfe_u32 v12, v14, 16, 1
	s_movk_i32 s2, 0x7fff
	v_add3_u32 v12, v14, v12, s2
; %bb.1695:
	s_andn2_saveexec_b64 s[0:1], s[0:1]
; %bb.1696:
	v_mov_b32_e32 v12, 0
	v_or_b32_e32 v13, 0x10000, v14
	v_cmp_eq_u32_sdwa vcc, v14, v12 src0_sel:WORD_0 src1_sel:DWORD
	s_nop 1
	v_cndmask_b32_e32 v12, v13, v14, vcc
; %bb.1697:
	s_or_b64 exec, exec, s[0:1]
	flat_store_short_d16_hi v[4:5], v12 offset:128
	s_mov_b32 s0, 0x7f800000
	v_and_b32_e32 v12, 0x7f800000, v15
	v_cmp_ne_u32_e32 vcc, s0, v12
                                        ; implicit-def: $vgpr12
	s_and_saveexec_b64 s[0:1], vcc
	s_xor_b64 s[0:1], exec, s[0:1]
; %bb.1698:
	v_bfe_u32 v12, v15, 16, 1
	s_movk_i32 s2, 0x7fff
	v_add3_u32 v12, v15, v12, s2
                                        ; implicit-def: $vgpr14_vgpr15
; %bb.1699:
	s_andn2_saveexec_b64 s[0:1], s[0:1]
; %bb.1700:
	v_mov_b32_e32 v12, 0
	v_or_b32_e32 v13, 0x10000, v15
	v_cmp_eq_u32_sdwa vcc, v15, v12 src0_sel:WORD_0 src1_sel:DWORD
	s_nop 1
	v_cndmask_b32_e32 v12, v13, v15, vcc
; %bb.1701:
	s_or_b64 exec, exec, s[0:1]
	flat_store_short_d16_hi v[4:5], v12 offset:160
	s_mov_b32 s0, 0x7f800000
	v_and_b32_e32 v12, 0x7f800000, v10
	v_cmp_ne_u32_e32 vcc, s0, v12
                                        ; implicit-def: $vgpr12
	s_and_saveexec_b64 s[0:1], vcc
	s_xor_b64 s[0:1], exec, s[0:1]
; %bb.1702:
	v_bfe_u32 v12, v10, 16, 1
	s_movk_i32 s2, 0x7fff
	v_add3_u32 v12, v10, v12, s2
; %bb.1703:
	s_andn2_saveexec_b64 s[0:1], s[0:1]
; %bb.1704:
	v_mov_b32_e32 v12, 0
	v_or_b32_e32 v13, 0x10000, v10
	v_cmp_eq_u32_sdwa vcc, v10, v12 src0_sel:WORD_0 src1_sel:DWORD
	s_nop 1
	v_cndmask_b32_e32 v12, v13, v10, vcc
; %bb.1705:
	s_or_b64 exec, exec, s[0:1]
	s_mov_b32 s0, 0x7f800000
	v_and_b32_e32 v10, 0x7f800000, v11
	v_cmp_ne_u32_e32 vcc, s0, v10
	flat_store_short_d16_hi v[4:5], v12 offset:192
                                        ; implicit-def: $vgpr12
	s_and_saveexec_b64 s[0:1], vcc
	s_xor_b64 s[0:1], exec, s[0:1]
; %bb.1706:
	v_bfe_u32 v10, v11, 16, 1
	s_movk_i32 s2, 0x7fff
	v_add3_u32 v12, v11, v10, s2
                                        ; implicit-def: $vgpr10_vgpr11
; %bb.1707:
	s_andn2_saveexec_b64 s[0:1], s[0:1]
; %bb.1708:
	v_mov_b32_e32 v10, 0
	v_or_b32_e32 v12, 0x10000, v11
	v_cmp_eq_u32_sdwa vcc, v11, v10 src0_sel:WORD_0 src1_sel:DWORD
	s_nop 1
	v_cndmask_b32_e32 v12, v12, v11, vcc
; %bb.1709:
	s_or_b64 exec, exec, s[0:1]
	s_mov_b32 s0, 0x7f800000
	v_and_b32_e32 v10, 0x7f800000, v8
	v_cmp_ne_u32_e32 vcc, s0, v10
	flat_store_short_d16_hi v[4:5], v12 offset:224
                                        ; implicit-def: $vgpr10
	s_and_saveexec_b64 s[0:1], vcc
	s_xor_b64 s[0:1], exec, s[0:1]
; %bb.1710:
	v_bfe_u32 v10, v8, 16, 1
	s_movk_i32 s2, 0x7fff
	v_add3_u32 v10, v8, v10, s2
; %bb.1711:
	s_andn2_saveexec_b64 s[0:1], s[0:1]
; %bb.1712:
	v_mov_b32_e32 v10, 0
	v_or_b32_e32 v11, 0x10000, v8
	v_cmp_eq_u32_sdwa vcc, v8, v10 src0_sel:WORD_0 src1_sel:DWORD
	s_nop 1
	v_cndmask_b32_e32 v10, v11, v8, vcc
; %bb.1713:
	s_or_b64 exec, exec, s[0:1]
	s_mov_b32 s0, 0x7f800000
	v_and_b32_e32 v8, 0x7f800000, v9
	v_cmp_ne_u32_e32 vcc, s0, v8
	flat_store_short_d16_hi v[4:5], v10 offset:256
                                        ; implicit-def: $vgpr10
	s_and_saveexec_b64 s[0:1], vcc
	s_xor_b64 s[0:1], exec, s[0:1]
; %bb.1714:
	v_bfe_u32 v8, v9, 16, 1
	s_movk_i32 s2, 0x7fff
	v_add3_u32 v10, v9, v8, s2
                                        ; implicit-def: $vgpr8_vgpr9
; %bb.1715:
	s_andn2_saveexec_b64 s[0:1], s[0:1]
; %bb.1716:
	v_mov_b32_e32 v8, 0
	v_or_b32_e32 v10, 0x10000, v9
	v_cmp_eq_u32_sdwa vcc, v9, v8 src0_sel:WORD_0 src1_sel:DWORD
	s_nop 1
	v_cndmask_b32_e32 v10, v10, v9, vcc
; %bb.1717:
	s_or_b64 exec, exec, s[0:1]
	s_mov_b32 s0, 0x7f800000
	v_and_b32_e32 v8, 0x7f800000, v6
	v_cmp_ne_u32_e32 vcc, s0, v8
	flat_store_short_d16_hi v[4:5], v10 offset:288
                                        ; implicit-def: $vgpr8
	s_and_saveexec_b64 s[0:1], vcc
	s_xor_b64 s[0:1], exec, s[0:1]
; %bb.1718:
	v_bfe_u32 v8, v6, 16, 1
	s_movk_i32 s2, 0x7fff
	v_add3_u32 v8, v6, v8, s2
; %bb.1719:
	s_andn2_saveexec_b64 s[0:1], s[0:1]
; %bb.1720:
	v_mov_b32_e32 v8, 0
	v_or_b32_e32 v9, 0x10000, v6
	v_cmp_eq_u32_sdwa vcc, v6, v8 src0_sel:WORD_0 src1_sel:DWORD
	s_nop 1
	v_cndmask_b32_e32 v8, v9, v6, vcc
; %bb.1721:
	s_or_b64 exec, exec, s[0:1]
	s_mov_b32 s0, 0x7f800000
	v_and_b32_e32 v6, 0x7f800000, v7
	v_cmp_ne_u32_e32 vcc, s0, v6
	flat_store_short_d16_hi v[4:5], v8 offset:320
                                        ; implicit-def: $vgpr8
	s_and_saveexec_b64 s[0:1], vcc
	s_xor_b64 s[0:1], exec, s[0:1]
; %bb.1722:
	v_bfe_u32 v6, v7, 16, 1
	s_movk_i32 s2, 0x7fff
	v_add3_u32 v8, v7, v6, s2
                                        ; implicit-def: $vgpr6_vgpr7
; %bb.1723:
	s_andn2_saveexec_b64 s[0:1], s[0:1]
; %bb.1724:
	v_mov_b32_e32 v6, 0
	v_or_b32_e32 v8, 0x10000, v7
	v_cmp_eq_u32_sdwa vcc, v7, v6 src0_sel:WORD_0 src1_sel:DWORD
	s_nop 1
	v_cndmask_b32_e32 v8, v8, v7, vcc
; %bb.1725:
	s_or_b64 exec, exec, s[0:1]
	s_mov_b32 s0, 0x7f800000
	v_and_b32_e32 v6, 0x7f800000, v0
	v_cmp_ne_u32_e32 vcc, s0, v6
	flat_store_short_d16_hi v[4:5], v8 offset:352
                                        ; implicit-def: $vgpr6
	s_and_saveexec_b64 s[0:1], vcc
	s_xor_b64 s[0:1], exec, s[0:1]
; %bb.1726:
	v_bfe_u32 v6, v0, 16, 1
	s_movk_i32 s2, 0x7fff
	v_add3_u32 v6, v0, v6, s2
; %bb.1727:
	s_andn2_saveexec_b64 s[0:1], s[0:1]
; %bb.1728:
	v_mov_b32_e32 v6, 0
	v_or_b32_e32 v7, 0x10000, v0
	v_cmp_eq_u32_sdwa vcc, v0, v6 src0_sel:WORD_0 src1_sel:DWORD
	s_nop 1
	v_cndmask_b32_e32 v6, v7, v0, vcc
; %bb.1729:
	s_or_b64 exec, exec, s[0:1]
	s_mov_b32 s0, 0x7f800000
	v_and_b32_e32 v0, 0x7f800000, v1
	v_cmp_ne_u32_e32 vcc, s0, v0
	flat_store_short_d16_hi v[4:5], v6 offset:384
                                        ; implicit-def: $vgpr6
	s_and_saveexec_b64 s[0:1], vcc
	s_xor_b64 s[0:1], exec, s[0:1]
; %bb.1730:
	v_bfe_u32 v0, v1, 16, 1
	s_movk_i32 s2, 0x7fff
	v_add3_u32 v6, v1, v0, s2
                                        ; implicit-def: $vgpr0_vgpr1
; %bb.1731:
	s_andn2_saveexec_b64 s[0:1], s[0:1]
; %bb.1732:
	v_mov_b32_e32 v0, 0
	v_or_b32_e32 v6, 0x10000, v1
	v_cmp_eq_u32_sdwa vcc, v1, v0 src0_sel:WORD_0 src1_sel:DWORD
	s_nop 1
	v_cndmask_b32_e32 v6, v6, v1, vcc
; %bb.1733:
	s_or_b64 exec, exec, s[0:1]
	s_mov_b32 s0, 0x7f800000
	v_and_b32_e32 v0, 0x7f800000, v2
	v_cmp_ne_u32_e32 vcc, s0, v0
	flat_store_short_d16_hi v[4:5], v6 offset:416
                                        ; implicit-def: $vgpr0
	s_and_saveexec_b64 s[0:1], vcc
	s_xor_b64 s[0:1], exec, s[0:1]
; %bb.1734:
	v_bfe_u32 v0, v2, 16, 1
	s_movk_i32 s2, 0x7fff
	v_add3_u32 v0, v2, v0, s2
; %bb.1735:
	s_andn2_saveexec_b64 s[0:1], s[0:1]
; %bb.1736:
	v_mov_b32_e32 v0, 0
	v_or_b32_e32 v1, 0x10000, v2
	v_cmp_eq_u32_sdwa vcc, v2, v0 src0_sel:WORD_0 src1_sel:DWORD
	s_nop 1
	v_cndmask_b32_e32 v0, v1, v2, vcc
; %bb.1737:
	s_or_b64 exec, exec, s[0:1]
	flat_store_short_d16_hi v[4:5], v0 offset:448
	s_mov_b32 s0, 0x7f800000
	v_and_b32_e32 v0, 0x7f800000, v3
	v_cmp_ne_u32_e32 vcc, s0, v0
                                        ; implicit-def: $vgpr0
	s_and_saveexec_b64 s[0:1], vcc
	s_xor_b64 s[0:1], exec, s[0:1]
; %bb.1738:
	v_bfe_u32 v0, v3, 16, 1
	s_movk_i32 s2, 0x7fff
	v_add3_u32 v0, v3, v0, s2
                                        ; implicit-def: $vgpr2_vgpr3
; %bb.1739:
	s_andn2_saveexec_b64 s[0:1], s[0:1]
; %bb.1740:
	v_mov_b32_e32 v0, 0
	v_or_b32_e32 v1, 0x10000, v3
	v_cmp_eq_u32_sdwa vcc, v3, v0 src0_sel:WORD_0 src1_sel:DWORD
	s_nop 1
	v_cndmask_b32_e32 v0, v1, v3, vcc
; %bb.1741:
	s_or_b64 exec, exec, s[0:1]
	flat_store_short_d16_hi v[4:5], v0 offset:480
.LBB365_1742:
	s_or_b64 exec, exec, s[16:17]
	scratch_load_dword a63, off, s32 offset:8 ; 4-byte Folded Reload
	scratch_load_dword a62, off, s32 offset:12 ; 4-byte Folded Reload
	;; [unrolled: 1-line block ×47, first 2 shown]
	v_readlane_b32 s30, v63, 21
	v_readlane_b32 s31, v63, 22
	;; [unrolled: 1-line block ×23, first 2 shown]
	s_or_saveexec_b64 s[0:1], -1
	scratch_load_dword v63, off, s32 offset:976 ; 4-byte Folded Reload
	s_mov_b64 exec, s[0:1]
	s_waitcnt vmcnt(0) lgkmcnt(0)
	s_setpc_b64 s[30:31]
.LBB365_1743:
	s_load_dword s8, s[6:7], 0x0
	s_waitcnt lgkmcnt(0)
	v_lshl_add_u32 v5, v4, 2, s8
	ds_read_b32 v5, v5
	s_waitcnt lgkmcnt(0)
	v_add_f32_e32 v22, v5, v22
	s_or_b64 exec, exec, s[4:5]
	s_and_saveexec_b64 s[4:5], vcc
	s_cbranch_execz .LBB365_1659
.LBB365_1744:
	s_load_dword s8, s[6:7], 0x0
	s_waitcnt lgkmcnt(0)
	v_lshl_add_u32 v5, v4, 2, s8
	ds_read_b32 v5, v5 offset:64
	s_waitcnt lgkmcnt(0)
	v_add_f32_e32 v23, v5, v23
	s_or_b64 exec, exec, s[4:5]
	s_and_saveexec_b64 s[4:5], vcc
	s_cbranch_execz .LBB365_1660
.LBB365_1745:
	s_load_dword s8, s[6:7], 0x0
	s_waitcnt lgkmcnt(0)
	v_lshl_add_u32 v5, v4, 2, s8
	ds_read_b32 v5, v5 offset:128
	s_waitcnt lgkmcnt(0)
	v_add_f32_e32 v20, v5, v20
	s_or_b64 exec, exec, s[4:5]
	s_and_saveexec_b64 s[4:5], vcc
	s_cbranch_execz .LBB365_1661
.LBB365_1746:
	s_load_dword s8, s[6:7], 0x0
	s_waitcnt lgkmcnt(0)
	v_lshl_add_u32 v5, v4, 2, s8
	ds_read_b32 v5, v5 offset:192
	s_waitcnt lgkmcnt(0)
	v_add_f32_e32 v21, v5, v21
	s_or_b64 exec, exec, s[4:5]
	s_and_saveexec_b64 s[4:5], vcc
	s_cbranch_execz .LBB365_1662
.LBB365_1747:
	s_load_dword s8, s[6:7], 0x0
	s_waitcnt lgkmcnt(0)
	v_lshl_add_u32 v5, v4, 2, s8
	ds_read_b32 v5, v5 offset:256
	s_waitcnt lgkmcnt(0)
	v_add_f32_e32 v14, v5, v14
	s_or_b64 exec, exec, s[4:5]
	s_and_saveexec_b64 s[4:5], vcc
	s_cbranch_execz .LBB365_1663
.LBB365_1748:
	s_load_dword s8, s[6:7], 0x0
	s_waitcnt lgkmcnt(0)
	v_lshl_add_u32 v5, v4, 2, s8
	ds_read_b32 v5, v5 offset:320
	s_waitcnt lgkmcnt(0)
	v_add_f32_e32 v15, v5, v15
	s_or_b64 exec, exec, s[4:5]
	s_and_saveexec_b64 s[4:5], vcc
	s_cbranch_execz .LBB365_1664
.LBB365_1749:
	s_load_dword s8, s[6:7], 0x0
	s_waitcnt lgkmcnt(0)
	v_lshl_add_u32 v5, v4, 2, s8
	ds_read_b32 v5, v5 offset:384
	s_waitcnt lgkmcnt(0)
	v_add_f32_e32 v10, v5, v10
	s_or_b64 exec, exec, s[4:5]
	s_and_saveexec_b64 s[4:5], vcc
	s_cbranch_execz .LBB365_1665
.LBB365_1750:
	s_load_dword s8, s[6:7], 0x0
	s_waitcnt lgkmcnt(0)
	v_lshl_add_u32 v5, v4, 2, s8
	ds_read_b32 v5, v5 offset:448
	s_waitcnt lgkmcnt(0)
	v_add_f32_e32 v11, v5, v11
	s_or_b64 exec, exec, s[4:5]
	s_and_saveexec_b64 s[4:5], vcc
	s_cbranch_execz .LBB365_1666
.LBB365_1751:
	s_load_dword s8, s[6:7], 0x0
	s_waitcnt lgkmcnt(0)
	v_lshl_add_u32 v5, v4, 2, s8
	ds_read_b32 v5, v5 offset:512
	s_waitcnt lgkmcnt(0)
	v_add_f32_e32 v8, v5, v8
	s_or_b64 exec, exec, s[4:5]
	s_and_saveexec_b64 s[4:5], vcc
	s_cbranch_execz .LBB365_1667
.LBB365_1752:
	s_load_dword s8, s[6:7], 0x0
	s_waitcnt lgkmcnt(0)
	v_lshl_add_u32 v5, v4, 2, s8
	ds_read_b32 v5, v5 offset:576
	s_waitcnt lgkmcnt(0)
	v_add_f32_e32 v9, v5, v9
	s_or_b64 exec, exec, s[4:5]
	s_and_saveexec_b64 s[4:5], vcc
	s_cbranch_execz .LBB365_1668
.LBB365_1753:
	s_load_dword s8, s[6:7], 0x0
	s_waitcnt lgkmcnt(0)
	v_lshl_add_u32 v5, v4, 2, s8
	ds_read_b32 v5, v5 offset:640
	s_waitcnt lgkmcnt(0)
	v_add_f32_e32 v6, v5, v6
	s_or_b64 exec, exec, s[4:5]
	s_and_saveexec_b64 s[4:5], vcc
	s_cbranch_execz .LBB365_1669
.LBB365_1754:
	s_load_dword s8, s[6:7], 0x0
	s_waitcnt lgkmcnt(0)
	v_lshl_add_u32 v5, v4, 2, s8
	ds_read_b32 v5, v5 offset:704
	s_waitcnt lgkmcnt(0)
	v_add_f32_e32 v7, v5, v7
	s_or_b64 exec, exec, s[4:5]
	s_and_saveexec_b64 s[4:5], vcc
	s_cbranch_execz .LBB365_1670
.LBB365_1755:
	s_load_dword s8, s[6:7], 0x0
	s_waitcnt lgkmcnt(0)
	v_lshl_add_u32 v5, v4, 2, s8
	ds_read_b32 v5, v5 offset:768
	s_waitcnt lgkmcnt(0)
	v_add_f32_e32 v0, v5, v0
	s_or_b64 exec, exec, s[4:5]
	s_and_saveexec_b64 s[4:5], vcc
	s_cbranch_execz .LBB365_1671
.LBB365_1756:
	s_load_dword s8, s[6:7], 0x0
	s_waitcnt lgkmcnt(0)
	v_lshl_add_u32 v5, v4, 2, s8
	ds_read_b32 v5, v5 offset:832
	s_waitcnt lgkmcnt(0)
	v_add_f32_e32 v1, v5, v1
	s_or_b64 exec, exec, s[4:5]
	s_and_saveexec_b64 s[4:5], vcc
	s_cbranch_execz .LBB365_1672
.LBB365_1757:
	s_load_dword s8, s[6:7], 0x0
	s_waitcnt lgkmcnt(0)
	v_lshl_add_u32 v5, v4, 2, s8
	ds_read_b32 v5, v5 offset:896
	s_waitcnt lgkmcnt(0)
	v_add_f32_e32 v2, v5, v2
	s_or_b64 exec, exec, s[4:5]
	s_and_saveexec_b64 s[4:5], vcc
	s_cbranch_execnz .LBB365_1673
	s_branch .LBB365_1674
.Lfunc_end365:
	.size	_ZN4vllm22paged_attention_kernelI14__hip_bfloat16hLi256ELi32ELi128ELNS_18Fp8KVCacheDataTypeE1ELb1ELi512EEEvPfS3_PT_PKS4_PKT0_SA_ifPKiSC_iPKfiiiSE_SE_iiiii, .Lfunc_end365-_ZN4vllm22paged_attention_kernelI14__hip_bfloat16hLi256ELi32ELi128ELNS_18Fp8KVCacheDataTypeE1ELb1ELi512EEEvPfS3_PT_PKS4_PKT0_SA_ifPKiSC_iPKfiiiSE_SE_iiiii
                                        ; -- End function
	.section	.AMDGPU.csdata,"",@progbits
; Function info:
; codeLenInByte = 64224
; NumSgprs: 62
; NumVgprs: 64
; NumAgprs: 64
; TotalNumVgprs: 128
; ScratchSize: 984
; MemoryBound: 0
	.section	.text._ZN4vllm25paged_attention_v2_kernelI14__hip_bfloat16hLi256ELi32ELi128ELNS_18Fp8KVCacheDataTypeE1ELb1ELi512EEEvPfS3_PT_PKS4_PKT0_SA_ifPKiSC_iPKfiiiSE_SE_iiiii,"axG",@progbits,_ZN4vllm25paged_attention_v2_kernelI14__hip_bfloat16hLi256ELi32ELi128ELNS_18Fp8KVCacheDataTypeE1ELb1ELi512EEEvPfS3_PT_PKS4_PKT0_SA_ifPKiSC_iPKfiiiSE_SE_iiiii,comdat
	.protected	_ZN4vllm25paged_attention_v2_kernelI14__hip_bfloat16hLi256ELi32ELi128ELNS_18Fp8KVCacheDataTypeE1ELb1ELi512EEEvPfS3_PT_PKS4_PKT0_SA_ifPKiSC_iPKfiiiSE_SE_iiiii ; -- Begin function _ZN4vllm25paged_attention_v2_kernelI14__hip_bfloat16hLi256ELi32ELi128ELNS_18Fp8KVCacheDataTypeE1ELb1ELi512EEEvPfS3_PT_PKS4_PKT0_SA_ifPKiSC_iPKfiiiSE_SE_iiiii
	.globl	_ZN4vllm25paged_attention_v2_kernelI14__hip_bfloat16hLi256ELi32ELi128ELNS_18Fp8KVCacheDataTypeE1ELb1ELi512EEEvPfS3_PT_PKS4_PKT0_SA_ifPKiSC_iPKfiiiSE_SE_iiiii
	.p2align	8
	.type	_ZN4vllm25paged_attention_v2_kernelI14__hip_bfloat16hLi256ELi32ELi128ELNS_18Fp8KVCacheDataTypeE1ELb1ELi512EEEvPfS3_PT_PKS4_PKT0_SA_ifPKiSC_iPKfiiiSE_SE_iiiii,@function
_ZN4vllm25paged_attention_v2_kernelI14__hip_bfloat16hLi256ELi32ELi128ELNS_18Fp8KVCacheDataTypeE1ELb1ELi512EEEvPfS3_PT_PKS4_PKT0_SA_ifPKiSC_iPKfiiiSE_SE_iiiii: ; @_ZN4vllm25paged_attention_v2_kernelI14__hip_bfloat16hLi256ELi32ELi128ELNS_18Fp8KVCacheDataTypeE1ELb1ELi512EEEvPfS3_PT_PKS4_PKT0_SA_ifPKiSC_iPKfiiiSE_SE_iiiii
; %bb.0:
	s_load_dwordx8 s[24:31], s[0:1], 0x0
	s_load_dwordx8 s[16:23], s[0:1], 0x20
	s_load_dwordx2 s[6:7], s[0:1], 0x40
	s_load_dwordx4 s[44:47], s[0:1], 0x78
	s_load_dword s5, s[0:1], 0x88
	s_load_dwordx2 s[10:11], s[0:1], 0x50
	s_load_dword s33, s[0:1], 0x48
	s_load_dwordx8 s[36:43], s[0:1], 0x58
	s_mov_b32 s32, 0
	s_waitcnt lgkmcnt(0)
	v_mov_b32_e32 v2, s47
	v_mov_b32_e32 v3, s5
	s_add_u32 s8, s0, 0x90
	scratch_store_dwordx2 off, v[2:3], s32
	s_addc_u32 s9, s1, 0
	s_mov_b32 s12, s2
	s_mov_b32 s13, s3
	;; [unrolled: 1-line block ×4, first 2 shown]
	v_mov_b32_e32 v31, v0
	v_mov_b32_e32 v0, s24
	;; [unrolled: 1-line block ×32, first 2 shown]
	s_getpc_b64 s[0:1]
	s_add_u32 s0, s0, _ZN4vllm22paged_attention_kernelI14__hip_bfloat16hLi256ELi32ELi128ELNS_18Fp8KVCacheDataTypeE1ELb1ELi512EEEvPfS3_PT_PKS4_PKT0_SA_ifPKiSC_iPKfiiiSE_SE_iiiii@rel32@lo+4
	s_addc_u32 s1, s1, _ZN4vllm22paged_attention_kernelI14__hip_bfloat16hLi256ELi32ELi128ELNS_18Fp8KVCacheDataTypeE1ELb1ELi512EEEvPfS3_PT_PKS4_PKT0_SA_ifPKiSC_iPKfiiiSE_SE_iiiii@rel32@hi+12
	s_swappc_b64 s[30:31], s[0:1]
	s_endpgm
	.section	.rodata,"a",@progbits
	.p2align	6, 0x0
	.amdhsa_kernel _ZN4vllm25paged_attention_v2_kernelI14__hip_bfloat16hLi256ELi32ELi128ELNS_18Fp8KVCacheDataTypeE1ELb1ELi512EEEvPfS3_PT_PKS4_PKT0_SA_ifPKiSC_iPKfiiiSE_SE_iiiii
		.amdhsa_group_segment_fixed_size 528
		.amdhsa_private_segment_fixed_size 984
		.amdhsa_kernarg_size 400
		.amdhsa_user_sgpr_count 2
		.amdhsa_user_sgpr_dispatch_ptr 0
		.amdhsa_user_sgpr_queue_ptr 0
		.amdhsa_user_sgpr_kernarg_segment_ptr 1
		.amdhsa_user_sgpr_dispatch_id 0
		.amdhsa_user_sgpr_kernarg_preload_length 0
		.amdhsa_user_sgpr_kernarg_preload_offset 0
		.amdhsa_user_sgpr_private_segment_size 0
		.amdhsa_uses_dynamic_stack 0
		.amdhsa_enable_private_segment 1
		.amdhsa_system_sgpr_workgroup_id_x 1
		.amdhsa_system_sgpr_workgroup_id_y 1
		.amdhsa_system_sgpr_workgroup_id_z 1
		.amdhsa_system_sgpr_workgroup_info 0
		.amdhsa_system_vgpr_workitem_id 0
		.amdhsa_next_free_vgpr 128
		.amdhsa_next_free_sgpr 56
		.amdhsa_accum_offset 64
		.amdhsa_reserve_vcc 1
		.amdhsa_float_round_mode_32 0
		.amdhsa_float_round_mode_16_64 0
		.amdhsa_float_denorm_mode_32 3
		.amdhsa_float_denorm_mode_16_64 3
		.amdhsa_dx10_clamp 1
		.amdhsa_ieee_mode 1
		.amdhsa_fp16_overflow 0
		.amdhsa_tg_split 0
		.amdhsa_exception_fp_ieee_invalid_op 0
		.amdhsa_exception_fp_denorm_src 0
		.amdhsa_exception_fp_ieee_div_zero 0
		.amdhsa_exception_fp_ieee_overflow 0
		.amdhsa_exception_fp_ieee_underflow 0
		.amdhsa_exception_fp_ieee_inexact 0
		.amdhsa_exception_int_div_zero 0
	.end_amdhsa_kernel
	.section	.text._ZN4vllm25paged_attention_v2_kernelI14__hip_bfloat16hLi256ELi32ELi128ELNS_18Fp8KVCacheDataTypeE1ELb1ELi512EEEvPfS3_PT_PKS4_PKT0_SA_ifPKiSC_iPKfiiiSE_SE_iiiii,"axG",@progbits,_ZN4vllm25paged_attention_v2_kernelI14__hip_bfloat16hLi256ELi32ELi128ELNS_18Fp8KVCacheDataTypeE1ELb1ELi512EEEvPfS3_PT_PKS4_PKT0_SA_ifPKiSC_iPKfiiiSE_SE_iiiii,comdat
.Lfunc_end366:
	.size	_ZN4vllm25paged_attention_v2_kernelI14__hip_bfloat16hLi256ELi32ELi128ELNS_18Fp8KVCacheDataTypeE1ELb1ELi512EEEvPfS3_PT_PKS4_PKT0_SA_ifPKiSC_iPKfiiiSE_SE_iiiii, .Lfunc_end366-_ZN4vllm25paged_attention_v2_kernelI14__hip_bfloat16hLi256ELi32ELi128ELNS_18Fp8KVCacheDataTypeE1ELb1ELi512EEEvPfS3_PT_PKS4_PKT0_SA_ifPKiSC_iPKfiiiSE_SE_iiiii
                                        ; -- End function
	.section	.AMDGPU.csdata,"",@progbits
; Kernel info:
; codeLenInByte = 272
; NumSgprs: 62
; NumVgprs: 64
; NumAgprs: 64
; TotalNumVgprs: 128
; ScratchSize: 984
; MemoryBound: 0
; FloatMode: 240
; IeeeMode: 1
; LDSByteSize: 528 bytes/workgroup (compile time only)
; SGPRBlocks: 7
; VGPRBlocks: 15
; NumSGPRsForWavesPerEU: 62
; NumVGPRsForWavesPerEU: 128
; AccumOffset: 64
; Occupancy: 4
; WaveLimiterHint : 1
; COMPUTE_PGM_RSRC2:SCRATCH_EN: 1
; COMPUTE_PGM_RSRC2:USER_SGPR: 2
; COMPUTE_PGM_RSRC2:TRAP_HANDLER: 0
; COMPUTE_PGM_RSRC2:TGID_X_EN: 1
; COMPUTE_PGM_RSRC2:TGID_Y_EN: 1
; COMPUTE_PGM_RSRC2:TGID_Z_EN: 1
; COMPUTE_PGM_RSRC2:TIDIG_COMP_CNT: 0
; COMPUTE_PGM_RSRC3_GFX90A:ACCUM_OFFSET: 15
; COMPUTE_PGM_RSRC3_GFX90A:TG_SPLIT: 0
	.section	.text._ZN4vllm25paged_attention_v2_kernelI14__hip_bfloat16hLi32ELi32ELi128ELNS_18Fp8KVCacheDataTypeE1ELb0ELi512EEEvPfS3_PT_PKS4_PKT0_SA_ifPKiSC_iPKfiiiSE_SE_iiiii,"axG",@progbits,_ZN4vllm25paged_attention_v2_kernelI14__hip_bfloat16hLi32ELi32ELi128ELNS_18Fp8KVCacheDataTypeE1ELb0ELi512EEEvPfS3_PT_PKS4_PKT0_SA_ifPKiSC_iPKfiiiSE_SE_iiiii,comdat
	.protected	_ZN4vllm25paged_attention_v2_kernelI14__hip_bfloat16hLi32ELi32ELi128ELNS_18Fp8KVCacheDataTypeE1ELb0ELi512EEEvPfS3_PT_PKS4_PKT0_SA_ifPKiSC_iPKfiiiSE_SE_iiiii ; -- Begin function _ZN4vllm25paged_attention_v2_kernelI14__hip_bfloat16hLi32ELi32ELi128ELNS_18Fp8KVCacheDataTypeE1ELb0ELi512EEEvPfS3_PT_PKS4_PKT0_SA_ifPKiSC_iPKfiiiSE_SE_iiiii
	.globl	_ZN4vllm25paged_attention_v2_kernelI14__hip_bfloat16hLi32ELi32ELi128ELNS_18Fp8KVCacheDataTypeE1ELb0ELi512EEEvPfS3_PT_PKS4_PKT0_SA_ifPKiSC_iPKfiiiSE_SE_iiiii
	.p2align	8
	.type	_ZN4vllm25paged_attention_v2_kernelI14__hip_bfloat16hLi32ELi32ELi128ELNS_18Fp8KVCacheDataTypeE1ELb0ELi512EEEvPfS3_PT_PKS4_PKT0_SA_ifPKiSC_iPKfiiiSE_SE_iiiii,@function
_ZN4vllm25paged_attention_v2_kernelI14__hip_bfloat16hLi32ELi32ELi128ELNS_18Fp8KVCacheDataTypeE1ELb0ELi512EEEvPfS3_PT_PKS4_PKT0_SA_ifPKiSC_iPKfiiiSE_SE_iiiii: ; @_ZN4vllm25paged_attention_v2_kernelI14__hip_bfloat16hLi32ELi32ELi128ELNS_18Fp8KVCacheDataTypeE1ELb0ELi512EEEvPfS3_PT_PKS4_PKT0_SA_ifPKiSC_iPKfiiiSE_SE_iiiii
; %bb.0:
	s_load_dwordx2 s[6:7], s[0:1], 0x40
	s_mov_b32 s24, s3
	s_ashr_i32 s25, s3, 31
	s_lshl_b64 s[8:9], s[24:25], 2
	s_waitcnt lgkmcnt(0)
	s_add_u32 s6, s6, s8
	s_addc_u32 s7, s7, s9
	s_load_dword s33, s[6:7], 0x0
	s_lshl_b32 s40, s4, 9
	s_waitcnt lgkmcnt(0)
	s_cmp_ge_i32 s40, s33
	s_cbranch_scc1 .LBB367_291
; %bb.1:
	s_load_dword s25, s[0:1], 0x90
	s_load_dwordx2 s[10:11], s[0:1], 0x30
	s_waitcnt lgkmcnt(0)
	s_abs_i32 s6, s25
	s_abs_i32 s3, s10
	v_cvt_f32_u32_e32 v1, s3
	s_sub_i32 s7, 0, s3
	s_xor_b32 s5, s25, s10
	s_ashr_i32 s5, s5, 31
	v_rcp_iflag_f32_e32 v1, v1
	s_nop 0
	v_mul_f32_e32 v1, 0x4f7ffffe, v1
	v_cvt_u32_f32_e32 v1, v1
	s_nop 0
	v_readfirstlane_b32 s8, v1
	s_mul_i32 s7, s7, s8
	s_mul_hi_u32 s7, s8, s7
	s_add_i32 s8, s8, s7
	s_mul_hi_u32 s7, s6, s8
	s_mul_i32 s8, s7, s3
	s_sub_i32 s6, s6, s8
	s_add_i32 s9, s7, 1
	s_sub_i32 s8, s6, s3
	s_cmp_ge_u32 s6, s3
	s_cselect_b32 s7, s9, s7
	s_cselect_b32 s6, s8, s6
	s_add_i32 s8, s7, 1
	s_cmp_ge_u32 s6, s3
	s_cselect_b32 s3, s8, s7
	s_xor_b32 s3, s3, s5
	s_sub_i32 s12, s3, s5
	s_abs_i32 s8, s12
	v_cvt_f32_u32_e32 v1, s8
	s_load_dwordx2 s[6:7], s[0:1], 0x50
	s_sub_i32 s3, 0, s8
	s_abs_i32 s9, s2
	v_rcp_iflag_f32_e32 v1, v1
	s_mov_b32 s5, 0
	v_mul_f32_e32 v1, 0x4f7ffffe, v1
	v_cvt_u32_f32_e32 v1, v1
	s_nop 0
	v_readfirstlane_b32 s10, v1
	s_mul_i32 s3, s3, s10
	s_mul_hi_u32 s3, s10, s3
	s_add_i32 s10, s10, s3
	s_waitcnt lgkmcnt(0)
	s_cmp_eq_u64 s[6:7], 0
	s_mul_hi_u32 s10, s9, s10
	s_cbranch_scc1 .LBB367_3
; %bb.2:
	s_ashr_i32 s3, s2, 31
	s_lshl_b64 s[14:15], s[2:3], 2
	s_add_u32 s6, s6, s14
	s_addc_u32 s7, s7, s15
	s_load_dword s5, s[6:7], 0x0
.LBB367_3:
	s_ashr_i32 s17, s12, 31
	s_load_dwordx4 s[12:15], s[0:1], 0x58
	s_ashr_i32 s16, s2, 31
	v_and_b32_e32 v6, 1, v0
	s_lshl_b32 s26, s2, 5
	v_cmp_gt_u32_e32 vcc, 8, v0
	v_lshlrev_b32_e32 v14, 3, v0
	s_and_saveexec_b64 s[6:7], vcc
	s_cbranch_execz .LBB367_5
; %bb.4:
	s_load_dwordx2 s[18:19], s[0:1], 0x18
	s_waitcnt lgkmcnt(0)
	s_mul_i32 s20, s24, s12
	s_ashr_i32 s21, s20, 31
	s_lshl_b64 s[20:21], s[20:21], 1
	v_lshlrev_b32_e32 v1, 2, v0
	s_add_u32 s3, s18, s20
	s_addc_u32 s12, s19, s21
	s_ashr_i32 s27, s26, 31
	s_lshl_b64 s[18:19], s[26:27], 1
	s_add_u32 s18, s3, s18
	s_addc_u32 s19, s12, s19
	global_load_dwordx2 v[2:3], v14, s[18:19]
	v_and_b32_e32 v1, 0xff8, v1
	v_lshl_add_u32 v1, v6, 5, v1
	s_waitcnt vmcnt(0)
	ds_write_b64 v1, v[2:3]
.LBB367_5:
	s_or_b64 exec, exec, s[6:7]
	s_add_i32 s3, s33, 31
	s_ashr_i32 s6, s3, 31
	s_lshr_b32 s6, s6, 27
	s_add_i32 s3, s3, s6
	s_ashr_i32 s41, s3, 5
	s_lshl_b32 s3, s4, 4
	s_mul_i32 s7, s10, s8
	s_add_i32 s6, s3, 16
	s_sub_i32 s7, s9, s7
	s_min_i32 s27, s6, s41
	s_xor_b32 s6, s16, s17
	s_add_i32 s9, s10, 1
	s_waitcnt lgkmcnt(0)
	s_sub_i32 s12, s7, s8
	s_cmp_ge_u32 s7, s8
	s_cselect_b32 s9, s9, s10
	s_cselect_b32 s7, s12, s7
	s_add_i32 s10, s9, 1
	s_cmp_ge_u32 s7, s8
	s_load_dwordx2 s[30:31], s[0:1], 0x38
	s_load_dword s8, s[0:1], 0x48
	v_lshrrev_b32_e32 v18, 6, v0
	s_cselect_b32 s7, s10, s9
	s_xor_b32 s7, s7, s6
	v_or_b32_e32 v10, s3, v18
	s_waitcnt lgkmcnt(0)
	s_mul_i32 s34, s24, s8
	s_sub_i32 s42, s7, s6
	s_ashr_i32 s35, s34, 31
	v_cmp_gt_i32_e64 s[8:9], s27, v10
	v_cmp_le_i32_e32 vcc, s27, v10
	v_mbcnt_lo_u32_b32 v7, -1, 0
	s_barrier
	s_waitcnt lgkmcnt(0)
                                        ; implicit-def: $sgpr10
                                        ; implicit-def: $vgpr12
                                        ; implicit-def: $vgpr13
	s_and_saveexec_b64 s[6:7], vcc
	s_xor_b64 s[6:7], exec, s[6:7]
; %bb.6:
	v_mbcnt_hi_u32_b32 v12, -1, v7
	v_and_b32_e32 v1, 64, v12
	v_add_u32_e32 v13, 64, v1
	s_mov_b32 s10, 0xff7fffff
                                        ; implicit-def: $vgpr6
                                        ; implicit-def: $vgpr7
; %bb.7:
	s_or_saveexec_b64 s[38:39], s[6:7]
	s_load_dwordx4 s[20:23], s[0:1], 0x0
	s_load_dwordx2 s[28:29], s[0:1], 0x10
	s_load_dword s12, s[0:1], 0x98
	s_load_dwordx2 s[36:37], s[0:1], 0x28
	s_load_dwordx4 s[16:19], s[0:1], 0x68
	v_mov_b32_e32 v27, s10
	s_mul_i32 s42, s42, s14
	v_ashrrev_i32_e32 v11, 31, v10
	s_xor_b64 exec, exec, s[38:39]
	s_cbranch_execz .LBB367_77
; %bb.8:
	s_load_dwordx2 s[0:1], s[0:1], 0x20
	v_mbcnt_hi_u32_b32 v12, -1, v7
	s_ashr_i32 s6, s42, 31
	v_lshlrev_b32_e32 v1, 5, v6
	v_and_b32_e32 v9, 64, v12
	v_bfe_u32 v8, v0, 1, 5
	s_waitcnt lgkmcnt(0)
	s_add_u32 s0, s0, s42
	ds_read_b128 v[20:23], v1
	ds_read_b128 v[28:31], v1 offset:16
	v_xor_b32_e32 v7, 1, v12
	v_add_u32_e32 v13, 64, v9
	v_lshlrev_b32_e32 v2, 4, v8
	s_addc_u32 s1, s1, s6
	v_mov_b32_e32 v3, 0
	v_cmp_lt_i32_e32 vcc, v7, v13
	s_load_dword s43, s[16:17], 0x0
	v_lshl_add_u64 v[4:5], s[0:1], 0, v[2:3]
	v_lshlrev_b32_e32 v2, 2, v6
	v_cndmask_b32_e32 v7, v12, v7, vcc
	v_cmp_eq_u32_e32 vcc, 0, v6
	s_sub_i32 s44, 1, s33
	v_lshlrev_b32_e32 v6, 5, v18
	s_lshl_b64 s[0:1], s[34:35], 2
	v_add3_u32 v33, s40, v6, v8
	v_lshlrev_b32_e32 v6, 2, v8
	s_add_u32 s0, s30, s0
	v_lshl_or_b32 v6, v18, 7, v6
	s_addc_u32 s1, s31, s1
	s_mov_b32 s10, s13
	s_waitcnt lgkmcnt(0)
	v_lshlrev_b32_e32 v1, 16, v20
	v_and_b32_e32 v15, 0xffff0000, v20
	v_lshlrev_b32_e32 v16, 16, v21
	v_and_b32_e32 v17, 0xffff0000, v21
	;; [unrolled: 2-line block ×8, first 2 shown]
	v_lshlrev_b32_e32 v32, 2, v7
	v_cmp_neq_f32_e64 s[6:7], s5, 0
	v_add_u32_e32 v34, 0x50, v6
	v_lshl_add_u64 v[6:7], v[10:11], 2, s[0:1]
	s_mov_b64 s[14:15], 0
	v_mov_b32_e32 v27, 0xff7fffff
	s_mov_b32 s45, 0x7f800000
	s_movk_i32 s46, 0x7fff
	v_mov_b32_e32 v35, v10
	s_branch .LBB367_10
.LBB367_9:                              ;   in Loop: Header=BB367_10 Depth=1
	s_or_b64 exec, exec, s[16:17]
	v_add_u32_e32 v35, 2, v35
	v_cmp_le_i32_e64 s[0:1], s27, v35
	v_add_u32_e32 v33, 64, v33
	v_add_u32_e32 v34, 0x100, v34
	s_or_b64 s[14:15], s[0:1], s[14:15]
	v_lshl_add_u64 v[6:7], v[6:7], 0, 8
	s_andn2_b64 exec, exec, s[14:15]
	s_cbranch_execz .LBB367_76
.LBB367_10:                             ; =>This Inner Loop Header: Depth=1
	global_load_dword v8, v[6:7], off
	s_waitcnt vmcnt(0) lgkmcnt(0)
	v_mad_i64_i32 v[8:9], s[0:1], v8, s10, v[4:5]
	v_lshl_add_u64 v[8:9], v[8:9], 0, v[2:3]
	global_load_dword v39, v[8:9], off
	s_waitcnt vmcnt(0)
	v_and_b32_e32 v36, 0xff, v39
	v_cvt_f32_fp8_sdwa v36, v36 src0_sel:BYTE_0
	s_nop 0
	v_mul_f32_e32 v37, s43, v36
	v_and_b32_e32 v36, 0x7f800000, v37
	v_cmp_ne_u32_e64 s[0:1], s45, v36
                                        ; implicit-def: $vgpr36
	s_and_saveexec_b64 s[16:17], s[0:1]
	s_xor_b64 s[0:1], exec, s[16:17]
; %bb.11:                               ;   in Loop: Header=BB367_10 Depth=1
	v_bfe_u32 v36, v37, 16, 1
	v_add3_u32 v36, v37, v36, s46
                                        ; implicit-def: $vgpr37
; %bb.12:                               ;   in Loop: Header=BB367_10 Depth=1
	s_andn2_saveexec_b64 s[16:17], s[0:1]
; %bb.13:                               ;   in Loop: Header=BB367_10 Depth=1
	v_or_b32_e32 v36, 0x10000, v37
	v_cmp_eq_u32_sdwa s[0:1], v37, v3 src0_sel:WORD_0 src1_sel:DWORD
	s_nop 1
	v_cndmask_b32_e64 v36, v36, v37, s[0:1]
; %bb.14:                               ;   in Loop: Header=BB367_10 Depth=1
	s_or_b64 exec, exec, s[16:17]
	v_bfe_u32 v37, v39, 8, 8
	v_cvt_f32_fp8_sdwa v37, v37 src0_sel:BYTE_0
	s_nop 0
	v_mul_f32_e32 v38, s43, v37
	v_and_b32_e32 v37, 0x7f800000, v38
	v_cmp_ne_u32_e64 s[0:1], s45, v37
                                        ; implicit-def: $vgpr37
	s_and_saveexec_b64 s[16:17], s[0:1]
	s_xor_b64 s[0:1], exec, s[16:17]
; %bb.15:                               ;   in Loop: Header=BB367_10 Depth=1
	v_bfe_u32 v37, v38, 16, 1
	v_add3_u32 v37, v38, v37, s46
                                        ; implicit-def: $vgpr38
; %bb.16:                               ;   in Loop: Header=BB367_10 Depth=1
	s_andn2_saveexec_b64 s[16:17], s[0:1]
; %bb.17:                               ;   in Loop: Header=BB367_10 Depth=1
	v_or_b32_e32 v37, 0x10000, v38
	v_cmp_eq_u32_sdwa s[0:1], v38, v3 src0_sel:WORD_0 src1_sel:DWORD
	s_nop 1
	v_cndmask_b32_e64 v37, v37, v38, s[0:1]
; %bb.18:                               ;   in Loop: Header=BB367_10 Depth=1
	s_or_b64 exec, exec, s[16:17]
	v_bfe_u32 v38, v39, 16, 8
	v_cvt_f32_fp8_sdwa v38, v38 src0_sel:BYTE_0
	s_nop 0
	v_mul_f32_e32 v40, s43, v38
	v_and_b32_e32 v38, 0x7f800000, v40
	v_cmp_ne_u32_e64 s[0:1], s45, v38
                                        ; implicit-def: $vgpr38
	s_and_saveexec_b64 s[16:17], s[0:1]
	s_xor_b64 s[0:1], exec, s[16:17]
; %bb.19:                               ;   in Loop: Header=BB367_10 Depth=1
	v_bfe_u32 v38, v40, 16, 1
	v_add3_u32 v38, v40, v38, s46
                                        ; implicit-def: $vgpr40
; %bb.20:                               ;   in Loop: Header=BB367_10 Depth=1
	s_andn2_saveexec_b64 s[16:17], s[0:1]
; %bb.21:                               ;   in Loop: Header=BB367_10 Depth=1
	v_or_b32_e32 v38, 0x10000, v40
	v_cmp_eq_u32_sdwa s[0:1], v40, v3 src0_sel:WORD_0 src1_sel:DWORD
	s_nop 1
	v_cndmask_b32_e64 v38, v38, v40, s[0:1]
; %bb.22:                               ;   in Loop: Header=BB367_10 Depth=1
	s_or_b64 exec, exec, s[16:17]
	v_lshrrev_b32_e32 v39, 24, v39
	v_cvt_f32_fp8_sdwa v39, v39 src0_sel:BYTE_0
	s_nop 0
	v_mul_f32_e32 v40, s43, v39
	v_and_b32_e32 v39, 0x7f800000, v40
	v_cmp_ne_u32_e64 s[0:1], s45, v39
                                        ; implicit-def: $vgpr39
	s_and_saveexec_b64 s[16:17], s[0:1]
	s_xor_b64 s[0:1], exec, s[16:17]
; %bb.23:                               ;   in Loop: Header=BB367_10 Depth=1
	v_bfe_u32 v39, v40, 16, 1
	v_add3_u32 v39, v40, v39, s46
                                        ; implicit-def: $vgpr40
; %bb.24:                               ;   in Loop: Header=BB367_10 Depth=1
	s_andn2_saveexec_b64 s[16:17], s[0:1]
; %bb.25:                               ;   in Loop: Header=BB367_10 Depth=1
	v_or_b32_e32 v39, 0x10000, v40
	v_cmp_eq_u32_sdwa s[0:1], v40, v3 src0_sel:WORD_0 src1_sel:DWORD
	s_nop 1
	v_cndmask_b32_e64 v39, v39, v40, s[0:1]
; %bb.26:                               ;   in Loop: Header=BB367_10 Depth=1
	s_or_b64 exec, exec, s[16:17]
	global_load_dword v43, v[8:9], off offset:8
	s_waitcnt vmcnt(0)
	v_and_b32_e32 v40, 0xff, v43
	v_cvt_f32_fp8_sdwa v40, v40 src0_sel:BYTE_0
	s_nop 0
	v_mul_f32_e32 v41, s43, v40
	v_and_b32_e32 v40, 0x7f800000, v41
	v_cmp_ne_u32_e64 s[0:1], s45, v40
                                        ; implicit-def: $vgpr40
	s_and_saveexec_b64 s[16:17], s[0:1]
	s_xor_b64 s[0:1], exec, s[16:17]
; %bb.27:                               ;   in Loop: Header=BB367_10 Depth=1
	v_bfe_u32 v40, v41, 16, 1
	v_add3_u32 v40, v41, v40, s46
                                        ; implicit-def: $vgpr41
; %bb.28:                               ;   in Loop: Header=BB367_10 Depth=1
	s_andn2_saveexec_b64 s[16:17], s[0:1]
; %bb.29:                               ;   in Loop: Header=BB367_10 Depth=1
	v_or_b32_e32 v40, 0x10000, v41
	v_cmp_eq_u32_sdwa s[0:1], v41, v3 src0_sel:WORD_0 src1_sel:DWORD
	s_nop 1
	v_cndmask_b32_e64 v40, v40, v41, s[0:1]
; %bb.30:                               ;   in Loop: Header=BB367_10 Depth=1
	s_or_b64 exec, exec, s[16:17]
	v_bfe_u32 v41, v43, 8, 8
	v_cvt_f32_fp8_sdwa v41, v41 src0_sel:BYTE_0
	s_nop 0
	v_mul_f32_e32 v42, s43, v41
	v_and_b32_e32 v41, 0x7f800000, v42
	v_cmp_ne_u32_e64 s[0:1], s45, v41
                                        ; implicit-def: $vgpr41
	s_and_saveexec_b64 s[16:17], s[0:1]
	s_xor_b64 s[0:1], exec, s[16:17]
; %bb.31:                               ;   in Loop: Header=BB367_10 Depth=1
	v_bfe_u32 v41, v42, 16, 1
	v_add3_u32 v41, v42, v41, s46
                                        ; implicit-def: $vgpr42
; %bb.32:                               ;   in Loop: Header=BB367_10 Depth=1
	s_andn2_saveexec_b64 s[16:17], s[0:1]
; %bb.33:                               ;   in Loop: Header=BB367_10 Depth=1
	v_or_b32_e32 v41, 0x10000, v42
	v_cmp_eq_u32_sdwa s[0:1], v42, v3 src0_sel:WORD_0 src1_sel:DWORD
	s_nop 1
	v_cndmask_b32_e64 v41, v41, v42, s[0:1]
; %bb.34:                               ;   in Loop: Header=BB367_10 Depth=1
	s_or_b64 exec, exec, s[16:17]
	v_bfe_u32 v42, v43, 16, 8
	v_cvt_f32_fp8_sdwa v42, v42 src0_sel:BYTE_0
	s_nop 0
	v_mul_f32_e32 v44, s43, v42
	v_and_b32_e32 v42, 0x7f800000, v44
	v_cmp_ne_u32_e64 s[0:1], s45, v42
                                        ; implicit-def: $vgpr42
	s_and_saveexec_b64 s[16:17], s[0:1]
	s_xor_b64 s[0:1], exec, s[16:17]
; %bb.35:                               ;   in Loop: Header=BB367_10 Depth=1
	v_bfe_u32 v42, v44, 16, 1
	v_add3_u32 v42, v44, v42, s46
                                        ; implicit-def: $vgpr44
; %bb.36:                               ;   in Loop: Header=BB367_10 Depth=1
	s_andn2_saveexec_b64 s[16:17], s[0:1]
; %bb.37:                               ;   in Loop: Header=BB367_10 Depth=1
	v_or_b32_e32 v42, 0x10000, v44
	v_cmp_eq_u32_sdwa s[0:1], v44, v3 src0_sel:WORD_0 src1_sel:DWORD
	s_nop 1
	v_cndmask_b32_e64 v42, v42, v44, s[0:1]
; %bb.38:                               ;   in Loop: Header=BB367_10 Depth=1
	s_or_b64 exec, exec, s[16:17]
	v_lshrrev_b32_e32 v43, 24, v43
	v_cvt_f32_fp8_sdwa v43, v43 src0_sel:BYTE_0
	s_nop 0
	v_mul_f32_e32 v44, s43, v43
	v_and_b32_e32 v43, 0x7f800000, v44
	v_cmp_ne_u32_e64 s[0:1], s45, v43
                                        ; implicit-def: $vgpr43
	s_and_saveexec_b64 s[16:17], s[0:1]
	s_xor_b64 s[0:1], exec, s[16:17]
; %bb.39:                               ;   in Loop: Header=BB367_10 Depth=1
	v_bfe_u32 v43, v44, 16, 1
	v_add3_u32 v43, v44, v43, s46
                                        ; implicit-def: $vgpr44
; %bb.40:                               ;   in Loop: Header=BB367_10 Depth=1
	s_andn2_saveexec_b64 s[16:17], s[0:1]
; %bb.41:                               ;   in Loop: Header=BB367_10 Depth=1
	v_or_b32_e32 v43, 0x10000, v44
	v_cmp_eq_u32_sdwa s[0:1], v44, v3 src0_sel:WORD_0 src1_sel:DWORD
	s_nop 1
	v_cndmask_b32_e64 v43, v43, v44, s[0:1]
; %bb.42:                               ;   in Loop: Header=BB367_10 Depth=1
	s_or_b64 exec, exec, s[16:17]
	global_load_dword v47, v[8:9], off offset:512
	s_waitcnt vmcnt(0)
	v_and_b32_e32 v44, 0xff, v47
	v_cvt_f32_fp8_sdwa v44, v44 src0_sel:BYTE_0
	s_nop 0
	v_mul_f32_e32 v45, s43, v44
	v_and_b32_e32 v44, 0x7f800000, v45
	v_cmp_ne_u32_e64 s[0:1], s45, v44
                                        ; implicit-def: $vgpr44
	s_and_saveexec_b64 s[16:17], s[0:1]
	s_xor_b64 s[0:1], exec, s[16:17]
; %bb.43:                               ;   in Loop: Header=BB367_10 Depth=1
	v_bfe_u32 v44, v45, 16, 1
	v_add3_u32 v44, v45, v44, s46
                                        ; implicit-def: $vgpr45
; %bb.44:                               ;   in Loop: Header=BB367_10 Depth=1
	s_andn2_saveexec_b64 s[16:17], s[0:1]
; %bb.45:                               ;   in Loop: Header=BB367_10 Depth=1
	v_or_b32_e32 v44, 0x10000, v45
	v_cmp_eq_u32_sdwa s[0:1], v45, v3 src0_sel:WORD_0 src1_sel:DWORD
	s_nop 1
	v_cndmask_b32_e64 v44, v44, v45, s[0:1]
; %bb.46:                               ;   in Loop: Header=BB367_10 Depth=1
	s_or_b64 exec, exec, s[16:17]
	v_bfe_u32 v45, v47, 8, 8
	v_cvt_f32_fp8_sdwa v45, v45 src0_sel:BYTE_0
	s_nop 0
	v_mul_f32_e32 v46, s43, v45
	v_and_b32_e32 v45, 0x7f800000, v46
	v_cmp_ne_u32_e64 s[0:1], s45, v45
                                        ; implicit-def: $vgpr45
	s_and_saveexec_b64 s[16:17], s[0:1]
	s_xor_b64 s[0:1], exec, s[16:17]
; %bb.47:                               ;   in Loop: Header=BB367_10 Depth=1
	v_bfe_u32 v45, v46, 16, 1
	v_add3_u32 v45, v46, v45, s46
                                        ; implicit-def: $vgpr46
; %bb.48:                               ;   in Loop: Header=BB367_10 Depth=1
	s_andn2_saveexec_b64 s[16:17], s[0:1]
; %bb.49:                               ;   in Loop: Header=BB367_10 Depth=1
	v_or_b32_e32 v45, 0x10000, v46
	v_cmp_eq_u32_sdwa s[0:1], v46, v3 src0_sel:WORD_0 src1_sel:DWORD
	s_nop 1
	v_cndmask_b32_e64 v45, v45, v46, s[0:1]
; %bb.50:                               ;   in Loop: Header=BB367_10 Depth=1
	s_or_b64 exec, exec, s[16:17]
	v_bfe_u32 v46, v47, 16, 8
	v_cvt_f32_fp8_sdwa v46, v46 src0_sel:BYTE_0
	s_nop 0
	v_mul_f32_e32 v48, s43, v46
	v_and_b32_e32 v46, 0x7f800000, v48
	v_cmp_ne_u32_e64 s[0:1], s45, v46
                                        ; implicit-def: $vgpr46
	s_and_saveexec_b64 s[16:17], s[0:1]
	s_xor_b64 s[0:1], exec, s[16:17]
; %bb.51:                               ;   in Loop: Header=BB367_10 Depth=1
	v_bfe_u32 v46, v48, 16, 1
	v_add3_u32 v46, v48, v46, s46
                                        ; implicit-def: $vgpr48
; %bb.52:                               ;   in Loop: Header=BB367_10 Depth=1
	s_andn2_saveexec_b64 s[16:17], s[0:1]
; %bb.53:                               ;   in Loop: Header=BB367_10 Depth=1
	v_or_b32_e32 v46, 0x10000, v48
	v_cmp_eq_u32_sdwa s[0:1], v48, v3 src0_sel:WORD_0 src1_sel:DWORD
	s_nop 1
	v_cndmask_b32_e64 v46, v46, v48, s[0:1]
; %bb.54:                               ;   in Loop: Header=BB367_10 Depth=1
	s_or_b64 exec, exec, s[16:17]
	v_lshrrev_b32_e32 v47, 24, v47
	v_cvt_f32_fp8_sdwa v47, v47 src0_sel:BYTE_0
	s_nop 0
	v_mul_f32_e32 v48, s43, v47
	v_and_b32_e32 v47, 0x7f800000, v48
	v_cmp_ne_u32_e64 s[0:1], s45, v47
                                        ; implicit-def: $vgpr47
	s_and_saveexec_b64 s[16:17], s[0:1]
	s_xor_b64 s[0:1], exec, s[16:17]
; %bb.55:                               ;   in Loop: Header=BB367_10 Depth=1
	v_bfe_u32 v47, v48, 16, 1
	v_add3_u32 v47, v48, v47, s46
                                        ; implicit-def: $vgpr48
; %bb.56:                               ;   in Loop: Header=BB367_10 Depth=1
	s_andn2_saveexec_b64 s[16:17], s[0:1]
; %bb.57:                               ;   in Loop: Header=BB367_10 Depth=1
	v_or_b32_e32 v47, 0x10000, v48
	v_cmp_eq_u32_sdwa s[0:1], v48, v3 src0_sel:WORD_0 src1_sel:DWORD
	s_nop 1
	v_cndmask_b32_e64 v47, v47, v48, s[0:1]
; %bb.58:                               ;   in Loop: Header=BB367_10 Depth=1
	s_or_b64 exec, exec, s[16:17]
	global_load_dword v9, v[8:9], off offset:520
	s_waitcnt vmcnt(0)
	v_and_b32_e32 v8, 0xff, v9
	v_cvt_f32_fp8_sdwa v8, v8 src0_sel:BYTE_0
	s_nop 0
	v_mul_f32_e32 v48, s43, v8
	v_and_b32_e32 v8, 0x7f800000, v48
	v_cmp_ne_u32_e64 s[0:1], s45, v8
                                        ; implicit-def: $vgpr8
	s_and_saveexec_b64 s[16:17], s[0:1]
	s_xor_b64 s[0:1], exec, s[16:17]
; %bb.59:                               ;   in Loop: Header=BB367_10 Depth=1
	v_bfe_u32 v8, v48, 16, 1
	v_add3_u32 v8, v48, v8, s46
                                        ; implicit-def: $vgpr48
; %bb.60:                               ;   in Loop: Header=BB367_10 Depth=1
	s_andn2_saveexec_b64 s[16:17], s[0:1]
; %bb.61:                               ;   in Loop: Header=BB367_10 Depth=1
	v_or_b32_e32 v8, 0x10000, v48
	v_cmp_eq_u32_sdwa s[0:1], v48, v3 src0_sel:WORD_0 src1_sel:DWORD
	s_nop 1
	v_cndmask_b32_e64 v8, v8, v48, s[0:1]
; %bb.62:                               ;   in Loop: Header=BB367_10 Depth=1
	s_or_b64 exec, exec, s[16:17]
	v_bfe_u32 v48, v9, 8, 8
	v_cvt_f32_fp8_sdwa v48, v48 src0_sel:BYTE_0
	s_nop 0
	v_mul_f32_e32 v49, s43, v48
	v_and_b32_e32 v48, 0x7f800000, v49
	v_cmp_ne_u32_e64 s[0:1], s45, v48
                                        ; implicit-def: $vgpr48
	s_and_saveexec_b64 s[16:17], s[0:1]
	s_xor_b64 s[0:1], exec, s[16:17]
; %bb.63:                               ;   in Loop: Header=BB367_10 Depth=1
	v_bfe_u32 v48, v49, 16, 1
	v_add3_u32 v48, v49, v48, s46
                                        ; implicit-def: $vgpr49
; %bb.64:                               ;   in Loop: Header=BB367_10 Depth=1
	s_andn2_saveexec_b64 s[16:17], s[0:1]
; %bb.65:                               ;   in Loop: Header=BB367_10 Depth=1
	v_or_b32_e32 v48, 0x10000, v49
	v_cmp_eq_u32_sdwa s[0:1], v49, v3 src0_sel:WORD_0 src1_sel:DWORD
	s_nop 1
	v_cndmask_b32_e64 v48, v48, v49, s[0:1]
; %bb.66:                               ;   in Loop: Header=BB367_10 Depth=1
	s_or_b64 exec, exec, s[16:17]
	v_bfe_u32 v49, v9, 16, 8
	v_cvt_f32_fp8_sdwa v49, v49 src0_sel:BYTE_0
	s_nop 0
	v_mul_f32_e32 v50, s43, v49
	v_and_b32_e32 v49, 0x7f800000, v50
	v_cmp_ne_u32_e64 s[0:1], s45, v49
                                        ; implicit-def: $vgpr49
	s_and_saveexec_b64 s[16:17], s[0:1]
	s_xor_b64 s[0:1], exec, s[16:17]
; %bb.67:                               ;   in Loop: Header=BB367_10 Depth=1
	v_bfe_u32 v49, v50, 16, 1
	v_add3_u32 v49, v50, v49, s46
                                        ; implicit-def: $vgpr50
; %bb.68:                               ;   in Loop: Header=BB367_10 Depth=1
	s_andn2_saveexec_b64 s[16:17], s[0:1]
; %bb.69:                               ;   in Loop: Header=BB367_10 Depth=1
	v_or_b32_e32 v49, 0x10000, v50
	v_cmp_eq_u32_sdwa s[0:1], v50, v3 src0_sel:WORD_0 src1_sel:DWORD
	s_nop 1
	v_cndmask_b32_e64 v49, v49, v50, s[0:1]
; %bb.70:                               ;   in Loop: Header=BB367_10 Depth=1
	s_or_b64 exec, exec, s[16:17]
	v_lshrrev_b32_e32 v9, 24, v9
	v_cvt_f32_fp8_sdwa v9, v9 src0_sel:BYTE_0
	s_nop 0
	v_mul_f32_e32 v50, s43, v9
	v_and_b32_e32 v9, 0x7f800000, v50
	v_cmp_ne_u32_e64 s[0:1], s45, v9
                                        ; implicit-def: $vgpr9
	s_and_saveexec_b64 s[16:17], s[0:1]
	s_xor_b64 s[0:1], exec, s[16:17]
; %bb.71:                               ;   in Loop: Header=BB367_10 Depth=1
	v_bfe_u32 v9, v50, 16, 1
	v_add3_u32 v9, v50, v9, s46
                                        ; implicit-def: $vgpr50
; %bb.72:                               ;   in Loop: Header=BB367_10 Depth=1
	s_andn2_saveexec_b64 s[16:17], s[0:1]
; %bb.73:                               ;   in Loop: Header=BB367_10 Depth=1
	v_or_b32_e32 v9, 0x10000, v50
	v_cmp_eq_u32_sdwa s[0:1], v50, v3 src0_sel:WORD_0 src1_sel:DWORD
	s_nop 1
	v_cndmask_b32_e64 v9, v9, v50, s[0:1]
; %bb.74:                               ;   in Loop: Header=BB367_10 Depth=1
	s_or_b64 exec, exec, s[16:17]
	v_and_b32_e32 v40, 0xffff0000, v40
	v_and_b32_e32 v41, 0xffff0000, v41
	;; [unrolled: 1-line block ×3, first 2 shown]
	v_mul_f32_e32 v40, v19, v40
	v_and_b32_e32 v42, 0xffff0000, v42
	v_and_b32_e32 v37, 0xffff0000, v37
	v_fmac_f32_e32 v40, v1, v36
	v_mul_f32_e32 v36, v20, v41
	v_and_b32_e32 v45, 0xffff0000, v45
	v_and_b32_e32 v44, 0xffff0000, v44
	;; [unrolled: 1-line block ×4, first 2 shown]
	v_fmac_f32_e32 v36, v15, v37
	v_mul_f32_e32 v37, v21, v42
	v_and_b32_e32 v48, 0xffff0000, v48
	v_and_b32_e32 v8, 0xffff0000, v8
	;; [unrolled: 1-line block ×4, first 2 shown]
	v_fmac_f32_e32 v37, v16, v38
	v_mul_f32_e32 v38, v22, v43
	v_fmac_f32_e32 v40, v23, v44
	v_fmac_f32_e32 v36, v24, v45
	v_and_b32_e32 v47, 0xffff0000, v47
	v_and_b32_e32 v49, 0xffff0000, v49
	v_fmac_f32_e32 v38, v17, v39
	v_fmac_f32_e32 v37, v25, v46
	;; [unrolled: 1-line block ×4, first 2 shown]
	v_and_b32_e32 v9, 0xffff0000, v9
	v_fmac_f32_e32 v38, v26, v47
	v_fmac_f32_e32 v37, v30, v49
	v_add_f32_e32 v8, v40, v36
	v_fmac_f32_e32 v38, v31, v9
	v_add_f32_e32 v8, v8, v37
	v_add_f32_e32 v8, v8, v38
	ds_bpermute_b32 v9, v32, v8
	s_and_saveexec_b64 s[16:17], vcc
	s_cbranch_execz .LBB367_9
; %bb.75:                               ;   in Loop: Header=BB367_10 Depth=1
	v_add_u32_e32 v36, s44, v33
	v_cvt_f32_i32_e32 v36, v36
	s_waitcnt lgkmcnt(0)
	v_add_f32_e32 v8, v8, v9
	v_cmp_gt_i32_e64 s[0:1], s33, v33
	v_max_f32_e32 v9, v27, v27
	v_mul_f32_e32 v36, s5, v36
	v_cndmask_b32_e64 v36, 0, v36, s[6:7]
	v_fmac_f32_e32 v36, s11, v8
	v_cndmask_b32_e64 v8, 0, v36, s[0:1]
	ds_write_b32 v34, v8
	v_max_f32_e32 v8, v9, v36
	v_cndmask_b32_e64 v27, v27, v8, s[0:1]
	s_branch .LBB367_9
.LBB367_76:
	s_or_b64 exec, exec, s[14:15]
.LBB367_77:
	s_or_b64 exec, exec, s[38:39]
	v_xor_b32_e32 v1, 32, v12
	v_cmp_lt_i32_e32 vcc, v1, v13
	v_xor_b32_e32 v4, 16, v12
	v_max_f32_e32 v3, v27, v27
	v_cndmask_b32_e32 v1, v12, v1, vcc
	v_lshlrev_b32_e32 v2, 2, v1
	ds_bpermute_b32 v1, v2, v27
	v_cmp_lt_i32_e32 vcc, v4, v13
	v_xor_b32_e32 v5, 8, v12
	v_xor_b32_e32 v6, 4, v12
	;; [unrolled: 1-line block ×3, first 2 shown]
	s_waitcnt lgkmcnt(0)
	v_max_f32_e32 v1, v1, v1
	v_max_f32_e32 v1, v3, v1
	v_cndmask_b32_e32 v3, v12, v4, vcc
	v_lshlrev_b32_e32 v3, 2, v3
	ds_bpermute_b32 v4, v3, v1
	v_cmp_lt_i32_e32 vcc, v5, v13
	s_waitcnt lgkmcnt(0)
	v_max_f32_e32 v4, v4, v4
	v_max_f32_e32 v1, v1, v4
	v_cndmask_b32_e32 v4, v12, v5, vcc
	v_lshlrev_b32_e32 v5, 2, v4
	ds_bpermute_b32 v4, v5, v1
	v_cmp_lt_i32_e32 vcc, v6, v13
	;; [unrolled: 7-line block ×3, first 2 shown]
	s_waitcnt lgkmcnt(0)
	v_max_f32_e32 v4, v4, v4
	v_max_f32_e32 v4, v1, v4
	v_cndmask_b32_e32 v1, v12, v7, vcc
	v_lshlrev_b32_e32 v20, 2, v1
	ds_bpermute_b32 v8, v20, v4
	v_and_b32_e32 v1, 63, v0
	v_cmp_eq_u32_e32 vcc, 0, v1
	v_lshlrev_b32_e32 v7, 2, v18
	s_and_saveexec_b64 s[0:1], vcc
	s_cbranch_execz .LBB367_79
; %bb.78:
	s_waitcnt lgkmcnt(0)
	v_max_f32_e32 v8, v8, v8
	v_max_f32_e32 v4, v4, v4
	;; [unrolled: 1-line block ×3, first 2 shown]
	ds_write_b32 v7, v4 offset:64
.LBB367_79:
	s_or_b64 exec, exec, s[0:1]
	v_cmp_gt_u32_e64 s[0:1], 2, v1
	v_mov_b32_e32 v4, 0xff7fffff
	s_waitcnt lgkmcnt(0)
	v_lshlrev_b32_e32 v8, 2, v1
	s_barrier
	s_and_saveexec_b64 s[6:7], s[0:1]
	s_cbranch_execz .LBB367_81
; %bb.80:
	ds_read_b32 v4, v8 offset:64
.LBB367_81:
	s_or_b64 exec, exec, s[6:7]
	v_xor_b32_e32 v9, 1, v12
	v_cmp_lt_i32_e64 s[6:7], v9, v13
	s_sub_i32 s3, s27, s3
	s_lshl_b32 s3, s3, 5
	v_cndmask_b32_e64 v9, v12, v9, s[6:7]
	v_lshlrev_b32_e32 v21, 2, v9
	s_waitcnt lgkmcnt(0)
	ds_bpermute_b32 v9, v21, v4
	v_max_f32_e32 v4, v4, v4
	s_add_i32 s3, s3, s40
	s_min_i32 s5, s3, s33
	s_sub_i32 s3, s5, s40
	s_waitcnt lgkmcnt(0)
	v_max_f32_e32 v9, v9, v9
	v_max_f32_e32 v4, v4, v9
	v_lshlrev_b32_e32 v9, 2, v12
	v_and_b32_e32 v9, 0xffffff00, v9
	ds_bpermute_b32 v4, v9, v4
	v_cmp_gt_i32_e64 s[6:7], s3, v0
	v_mov_b32_e32 v12, 0
	s_and_saveexec_b64 s[14:15], s[6:7]
	s_cbranch_execz .LBB367_85
; %bb.82:
	v_mov_b32_e32 v12, 0x50
	v_lshl_add_u32 v13, v0, 2, v12
	s_mov_b64 s[16:17], 0
	v_mov_b32_e32 v12, 0
	v_mov_b32_e32 v15, v0
.LBB367_83:                             ; =>This Inner Loop Header: Depth=1
	ds_read_b32 v16, v13
	v_add_u32_e32 v15, 0x80, v15
	v_cmp_le_i32_e64 s[10:11], s3, v15
	s_or_b64 s[16:17], s[10:11], s[16:17]
	s_waitcnt lgkmcnt(0)
	v_sub_f32_e32 v16, v16, v4
	v_mul_f32_e32 v16, 0x3fb8aa3b, v16
	v_exp_f32_e32 v16, v16
	ds_write_b32 v13, v16
	v_add_f32_e32 v12, v12, v16
	v_add_u32_e32 v13, 0x200, v13
	s_andn2_b64 exec, exec, s[16:17]
	s_cbranch_execnz .LBB367_83
; %bb.84:
	s_or_b64 exec, exec, s[16:17]
.LBB367_85:
	s_or_b64 exec, exec, s[14:15]
	ds_bpermute_b32 v2, v2, v12
	s_waitcnt lgkmcnt(0)
	v_add_f32_e32 v2, v12, v2
	ds_bpermute_b32 v3, v3, v2
	s_waitcnt lgkmcnt(0)
	v_add_f32_e32 v2, v2, v3
	;; [unrolled: 3-line block ×6, first 2 shown]
	s_and_saveexec_b64 s[10:11], vcc
	s_cbranch_execz .LBB367_87
; %bb.86:
	ds_write_b32 v7, v2 offset:72
.LBB367_87:
	s_or_b64 exec, exec, s[10:11]
	s_waitcnt lgkmcnt(0)
	s_barrier
	s_and_saveexec_b64 s[10:11], s[0:1]
	s_cbranch_execz .LBB367_89
; %bb.88:
	ds_read_b32 v2, v8 offset:72
.LBB367_89:
	s_or_b64 exec, exec, s[10:11]
	s_waitcnt lgkmcnt(0)
	ds_bpermute_b32 v3, v21, v2
	s_waitcnt lgkmcnt(0)
	v_add_f32_e32 v2, v2, v3
	ds_bpermute_b32 v5, v9, v2
	s_and_saveexec_b64 s[0:1], s[6:7]
	s_cbranch_execz .LBB367_102
; %bb.90:
	s_waitcnt lgkmcnt(0)
	v_add_f32_e32 v2, 0x358637bd, v5
	v_div_scale_f32 v3, s[6:7], v2, v2, 1.0
	v_rcp_f32_e32 v6, v3
	v_div_scale_f32 v7, vcc, 1.0, v2, 1.0
	s_mov_b64 s[10:11], -1
	v_fma_f32 v8, -v3, v6, 1.0
	v_fmac_f32_e32 v6, v8, v6
	v_mul_f32_e32 v8, v7, v6
	v_fma_f32 v9, -v3, v8, v7
	v_fmac_f32_e32 v8, v9, v6
	v_fma_f32 v3, -v3, v8, v7
	v_div_fmas_f32 v3, v3, v6, v8
	v_div_fixup_f32 v2, v3, v2, 1.0
	v_xad_u32 v3, v0, -1, s5
	v_subrev_u32_e32 v6, s40, v3
	s_movk_i32 s5, 0x7f
	v_cmp_lt_u32_e32 vcc, s5, v6
	v_mov_b32_e32 v3, v0
	s_and_saveexec_b64 s[6:7], vcc
	s_cbranch_execz .LBB367_99
; %bb.91:
	v_lshrrev_b32_e32 v6, 7, v6
	v_add_u32_e32 v8, -1, v6
	v_lshrrev_b32_e32 v7, 1, v8
	v_mov_b32_e32 v3, v2
	v_add_u32_e32 v7, 1, v7
	v_cmp_lt_u32_e32 vcc, 13, v8
	v_mov_b32_e32 v12, 0
	s_and_saveexec_b64 s[10:11], vcc
	s_cbranch_execz .LBB367_95
; %bb.92:
	v_mov_b32_e32 v9, 0x50
	v_and_b32_e32 v8, -8, v7
	v_lshl_add_u32 v9, v0, 2, v9
	s_mov_b32 s5, 0
	s_mov_b64 s[14:15], 0
.LBB367_93:                             ; =>This Inner Loop Header: Depth=1
	ds_read2st64_b32 v[12:13], v9 offset1:2
	ds_read2st64_b32 v[16:17], v9 offset0:4 offset1:6
	ds_read2st64_b32 v[22:23], v9 offset0:8 offset1:10
	;; [unrolled: 1-line block ×3, first 2 shown]
	v_add_u32_e32 v8, -8, v8
	s_waitcnt lgkmcnt(3)
	v_pk_mul_f32 v[12:13], v[2:3], v[12:13]
	s_waitcnt lgkmcnt(2)
	v_pk_mul_f32 v[16:17], v[2:3], v[16:17]
	ds_write2st64_b32 v9, v12, v13 offset1:2
	ds_write2st64_b32 v9, v16, v17 offset0:4 offset1:6
	ds_read2st64_b32 v[16:17], v9 offset0:16 offset1:18
	s_waitcnt lgkmcnt(4)
	v_pk_mul_f32 v[12:13], v[2:3], v[22:23]
	ds_write2st64_b32 v9, v12, v13 offset0:8 offset1:10
	s_waitcnt lgkmcnt(4)
	v_pk_mul_f32 v[12:13], v[2:3], v[24:25]
	ds_write2st64_b32 v9, v12, v13 offset0:12 offset1:14
	ds_read2st64_b32 v[12:13], v9 offset0:20 offset1:22
	s_waitcnt lgkmcnt(3)
	v_pk_mul_f32 v[16:17], v[2:3], v[16:17]
	ds_read2st64_b32 v[22:23], v9 offset0:24 offset1:26
	ds_write2st64_b32 v9, v16, v17 offset0:16 offset1:18
	ds_read2st64_b32 v[16:17], v9 offset0:28 offset1:30
	s_waitcnt lgkmcnt(3)
	v_pk_mul_f32 v[12:13], v[2:3], v[12:13]
	ds_write2st64_b32 v9, v12, v13 offset0:20 offset1:22
	s_waitcnt lgkmcnt(3)
	v_pk_mul_f32 v[12:13], v[2:3], v[22:23]
	ds_write2st64_b32 v9, v12, v13 offset0:24 offset1:26
	s_waitcnt lgkmcnt(2)
	v_pk_mul_f32 v[12:13], v[2:3], v[16:17]
	s_add_i32 s5, s5, 16
	v_cmp_eq_u32_e32 vcc, 0, v8
	ds_write2st64_b32 v9, v12, v13 offset0:28 offset1:30
	v_add_u32_e32 v9, 0x2000, v9
	s_or_b64 s[14:15], vcc, s[14:15]
	v_mov_b32_e32 v12, s5
	s_andn2_b64 exec, exec, s[14:15]
	s_cbranch_execnz .LBB367_93
; %bb.94:
	s_or_b64 exec, exec, s[14:15]
.LBB367_95:
	s_or_b64 exec, exec, s[10:11]
	v_and_b32_e32 v7, 7, v7
	v_cmp_ne_u32_e32 vcc, 0, v7
	s_and_saveexec_b64 s[10:11], vcc
	s_cbranch_execz .LBB367_98
; %bb.96:
	v_lshlrev_b32_e32 v8, 9, v12
	v_lshlrev_b32_e32 v9, 2, v0
	s_movk_i32 s5, 0x50
	v_add3_u32 v8, v8, v9, s5
	s_mov_b64 s[14:15], 0
.LBB367_97:                             ; =>This Inner Loop Header: Depth=1
	ds_read2st64_b32 v[12:13], v8 offset1:2
	v_add_u32_e32 v7, -1, v7
	v_cmp_eq_u32_e32 vcc, 0, v7
	s_or_b64 s[14:15], vcc, s[14:15]
	s_waitcnt lgkmcnt(0)
	v_pk_mul_f32 v[12:13], v[2:3], v[12:13]
	ds_write2st64_b32 v8, v12, v13 offset1:2
	v_add_u32_e32 v8, 0x400, v8
	s_andn2_b64 exec, exec, s[14:15]
	s_cbranch_execnz .LBB367_97
.LBB367_98:
	s_or_b64 exec, exec, s[10:11]
	v_add_u32_e32 v6, 1, v6
	v_and_b32_e32 v7, 0x3fffffe, v6
	v_cmp_ne_u32_e32 vcc, v6, v7
	v_lshl_add_u32 v3, v7, 7, v0
	s_orn2_b64 s[10:11], vcc, exec
.LBB367_99:
	s_or_b64 exec, exec, s[6:7]
	s_and_b64 exec, exec, s[10:11]
	s_cbranch_execz .LBB367_102
; %bb.100:
	v_mov_b32_e32 v6, 0x50
	v_lshl_add_u32 v6, v3, 2, v6
	s_mov_b64 s[6:7], 0
.LBB367_101:                            ; =>This Inner Loop Header: Depth=1
	ds_read_b32 v7, v6
	v_add_u32_e32 v3, 0x80, v3
	v_cmp_le_i32_e32 vcc, s3, v3
	s_or_b64 s[6:7], vcc, s[6:7]
	s_waitcnt lgkmcnt(0)
	v_mul_f32_e32 v7, v2, v7
	ds_write_b32 v6, v7
	v_add_u32_e32 v6, 0x200, v6
	s_andn2_b64 exec, exec, s[6:7]
	s_cbranch_execnz .LBB367_101
.LBB367_102:
	s_or_b64 exec, exec, s[0:1]
	v_cmp_eq_u32_e32 vcc, 0, v0
	s_waitcnt lgkmcnt(0)
	s_barrier
	s_and_saveexec_b64 s[0:1], vcc
	s_cbranch_execz .LBB367_104
; %bb.103:
	s_mul_i32 s3, s12, s24
	s_mul_i32 s6, s3, s25
	s_ashr_i32 s7, s6, 31
	s_lshl_b64 s[6:7], s[6:7], 2
	s_add_u32 s5, s22, s6
	s_mul_i32 s2, s12, s2
	s_addc_u32 s10, s23, s7
	s_ashr_i32 s3, s2, 31
	s_lshl_b64 s[2:3], s[2:3], 2
	s_add_u32 s14, s5, s2
	s_addc_u32 s15, s10, s3
	s_ashr_i32 s5, s4, 31
	s_lshl_b64 s[10:11], s[4:5], 2
	s_add_u32 s14, s14, s10
	s_addc_u32 s15, s15, s11
	s_add_u32 s5, s20, s6
	s_addc_u32 s6, s21, s7
	;; [unrolled: 2-line block ×3, first 2 shown]
	s_add_u32 s2, s2, s10
	v_mov_b32_e32 v2, 0
	s_addc_u32 s3, s3, s11
	global_store_dword v2, v4, s[14:15]
	global_store_dword v2, v5, s[2:3]
.LBB367_104:
	s_or_b64 exec, exec, s[0:1]
	v_mov_b32_e32 v13, 0
	v_and_b32_e32 v22, 3, v0
	v_mov_b32_e32 v12, v13
	s_and_saveexec_b64 s[2:3], s[8:9]
	s_cbranch_execz .LBB367_272
; %bb.105:
	s_ashr_i32 s1, s42, 31
	s_add_u32 s0, s36, s42
	v_and_b32_e32 v2, 24, v14
	s_addc_u32 s1, s37, s1
	s_load_dword s10, s[18:19], 0x0
	v_and_b32_e32 v14, 0x1f8, v14
	v_mov_b32_e32 v15, 0
	s_add_i32 s11, s41, -1
	v_lshl_add_u64 v[16:17], s[0:1], 0, v[14:15]
	v_lshl_add_u32 v3, v18, 5, s40
	s_lshl_b64 s[0:1], s[34:35], 2
	v_add3_u32 v14, v3, v2, 7
	v_lshlrev_b32_e32 v2, 5, v22
	s_add_u32 s0, s30, s0
	v_lshl_or_b32 v2, v18, 7, v2
	s_addc_u32 s1, s31, s1
	s_mov_b32 s5, s13
	v_add_u32_e32 v23, 0x50, v2
	v_lshl_add_u64 v[18:19], v[10:11], 2, s[0:1]
	s_mov_b64 s[6:7], 0
	s_mov_b32 s13, 0x7f800000
	s_movk_i32 s14, 0x7fff
	v_mov_b32_e32 v12, 0
	v_mov_b32_e32 v13, v15
	s_branch .LBB367_107
.LBB367_106:                            ;   in Loop: Header=BB367_107 Depth=1
	s_or_b64 exec, exec, s[0:1]
	v_and_b32_e32 v33, 0xffff0000, v7
	v_and_b32_e32 v32, 0xffff0000, v5
	;; [unrolled: 1-line block ×4, first 2 shown]
	v_pk_add_f32 v[4:5], v[4:5], v[32:33]
	v_and_b32_e32 v31, 0xffff0000, v31
	v_and_b32_e32 v30, 0xffff0000, v9
	v_and_b32_e32 v9, 0xffff0000, v11
	v_and_b32_e32 v8, 0xffff0000, v8
	v_mov_b32_e32 v6, v5
	v_pk_add_f32 v[4:5], v[4:5], v[6:7]
	v_pk_add_f32 v[6:7], v[8:9], v[30:31]
	v_and_b32_e32 v8, 0xffff0000, v27
	v_pk_add_f32 v[4:5], v[4:5], v[6:7]
	v_mov_b32_e32 v6, v7
	v_pk_add_f32 v[4:5], v[4:5], v[6:7]
	v_and_b32_e32 v7, 0xffff0000, v3
	v_and_b32_e32 v27, 0xffff0000, v26
	;; [unrolled: 1-line block ×5, first 2 shown]
	v_pk_add_f32 v[2:3], v[2:3], v[26:27]
	v_and_b32_e32 v6, 0xffff0000, v28
	v_and_b32_e32 v9, 0xffff0000, v29
	v_mov_b32_e32 v24, v3
	v_pk_add_f32 v[2:3], v[2:3], v[24:25]
	v_pk_add_f32 v[6:7], v[8:9], v[6:7]
	v_add_u32_e32 v10, 2, v10
	v_pk_add_f32 v[2:3], v[2:3], v[6:7]
	v_mov_b32_e32 v6, v7
	v_pk_add_f32 v[2:3], v[2:3], v[6:7]
	v_pk_add_f32 v[4:5], v[12:13], v[4:5]
	v_mov_b32_e32 v3, v2
	v_pk_add_f32 v[12:13], v[12:13], v[2:3]
	v_cmp_le_i32_e32 vcc, s27, v10
	v_mov_b32_e32 v12, v4
	v_add_u32_e32 v14, 64, v14
	v_add_u32_e32 v23, 0x100, v23
	s_or_b64 s[6:7], vcc, s[6:7]
	v_lshl_add_u64 v[18:19], v[18:19], 0, 8
	s_andn2_b64 exec, exec, s[6:7]
	s_cbranch_execz .LBB367_271
.LBB367_107:                            ; =>This Inner Loop Header: Depth=1
	global_load_dword v24, v[18:19], off
	ds_read2_b64 v[6:9], v23 offset1:1
	ds_read2_b64 v[2:5], v23 offset0:2 offset1:3
                                        ; implicit-def: $vgpr32
	s_waitcnt lgkmcnt(0)
	v_and_b32_e32 v11, 0x7f800000, v6
	v_cmp_ne_u32_e32 vcc, s13, v11
	s_and_saveexec_b64 s[0:1], vcc
	s_xor_b64 s[0:1], exec, s[0:1]
; %bb.108:                              ;   in Loop: Header=BB367_107 Depth=1
	v_bfe_u32 v11, v6, 16, 1
	v_add3_u32 v32, v6, v11, s14
; %bb.109:                              ;   in Loop: Header=BB367_107 Depth=1
	s_andn2_saveexec_b64 s[0:1], s[0:1]
; %bb.110:                              ;   in Loop: Header=BB367_107 Depth=1
	v_or_b32_e32 v11, 0x10000, v6
	v_cmp_eq_u32_sdwa vcc, v6, v15 src0_sel:WORD_0 src1_sel:DWORD
	s_nop 1
	v_cndmask_b32_e32 v32, v11, v6, vcc
; %bb.111:                              ;   in Loop: Header=BB367_107 Depth=1
	s_or_b64 exec, exec, s[0:1]
	v_and_b32_e32 v6, 0x7f800000, v7
	v_cmp_ne_u32_e32 vcc, s13, v6
                                        ; implicit-def: $vgpr33
	s_and_saveexec_b64 s[0:1], vcc
	s_xor_b64 s[0:1], exec, s[0:1]
; %bb.112:                              ;   in Loop: Header=BB367_107 Depth=1
	v_bfe_u32 v6, v7, 16, 1
	v_add3_u32 v33, v7, v6, s14
; %bb.113:                              ;   in Loop: Header=BB367_107 Depth=1
	s_andn2_saveexec_b64 s[0:1], s[0:1]
; %bb.114:                              ;   in Loop: Header=BB367_107 Depth=1
	v_or_b32_e32 v6, 0x10000, v7
	v_cmp_eq_u32_sdwa vcc, v7, v15 src0_sel:WORD_0 src1_sel:DWORD
	s_nop 1
	v_cndmask_b32_e32 v33, v6, v7, vcc
; %bb.115:                              ;   in Loop: Header=BB367_107 Depth=1
	s_or_b64 exec, exec, s[0:1]
	v_and_b32_e32 v6, 0x7f800000, v8
	v_cmp_ne_u32_e32 vcc, s13, v6
                                        ; implicit-def: $vgpr34
	s_and_saveexec_b64 s[0:1], vcc
	s_xor_b64 s[0:1], exec, s[0:1]
; %bb.116:                              ;   in Loop: Header=BB367_107 Depth=1
	v_bfe_u32 v6, v8, 16, 1
	v_add3_u32 v34, v8, v6, s14
; %bb.117:                              ;   in Loop: Header=BB367_107 Depth=1
	s_andn2_saveexec_b64 s[0:1], s[0:1]
; %bb.118:                              ;   in Loop: Header=BB367_107 Depth=1
	v_or_b32_e32 v6, 0x10000, v8
	v_cmp_eq_u32_sdwa vcc, v8, v15 src0_sel:WORD_0 src1_sel:DWORD
	s_nop 1
	v_cndmask_b32_e32 v34, v6, v8, vcc
; %bb.119:                              ;   in Loop: Header=BB367_107 Depth=1
	s_or_b64 exec, exec, s[0:1]
	v_and_b32_e32 v6, 0x7f800000, v9
	v_cmp_ne_u32_e32 vcc, s13, v6
                                        ; implicit-def: $vgpr35
	s_and_saveexec_b64 s[0:1], vcc
	s_xor_b64 s[0:1], exec, s[0:1]
; %bb.120:                              ;   in Loop: Header=BB367_107 Depth=1
	v_bfe_u32 v6, v9, 16, 1
	v_add3_u32 v35, v9, v6, s14
                                        ; implicit-def: $vgpr6_vgpr7_vgpr8_vgpr9
; %bb.121:                              ;   in Loop: Header=BB367_107 Depth=1
	s_andn2_saveexec_b64 s[0:1], s[0:1]
; %bb.122:                              ;   in Loop: Header=BB367_107 Depth=1
	v_or_b32_e32 v6, 0x10000, v9
	v_cmp_eq_u32_sdwa vcc, v9, v15 src0_sel:WORD_0 src1_sel:DWORD
	s_nop 1
	v_cndmask_b32_e32 v35, v6, v9, vcc
; %bb.123:                              ;   in Loop: Header=BB367_107 Depth=1
	s_or_b64 exec, exec, s[0:1]
	v_and_b32_e32 v6, 0x7f800000, v2
	v_cmp_ne_u32_e32 vcc, s13, v6
                                        ; implicit-def: $vgpr8
	s_and_saveexec_b64 s[0:1], vcc
	s_xor_b64 s[0:1], exec, s[0:1]
; %bb.124:                              ;   in Loop: Header=BB367_107 Depth=1
	v_bfe_u32 v6, v2, 16, 1
	v_add3_u32 v8, v2, v6, s14
; %bb.125:                              ;   in Loop: Header=BB367_107 Depth=1
	s_andn2_saveexec_b64 s[0:1], s[0:1]
; %bb.126:                              ;   in Loop: Header=BB367_107 Depth=1
	v_or_b32_e32 v6, 0x10000, v2
	v_cmp_eq_u32_sdwa vcc, v2, v15 src0_sel:WORD_0 src1_sel:DWORD
	s_nop 1
	v_cndmask_b32_e32 v8, v6, v2, vcc
; %bb.127:                              ;   in Loop: Header=BB367_107 Depth=1
	s_or_b64 exec, exec, s[0:1]
	v_and_b32_e32 v2, 0x7f800000, v3
	v_cmp_ne_u32_e32 vcc, s13, v2
                                        ; implicit-def: $vgpr9
	s_and_saveexec_b64 s[0:1], vcc
	s_xor_b64 s[0:1], exec, s[0:1]
; %bb.128:                              ;   in Loop: Header=BB367_107 Depth=1
	v_bfe_u32 v2, v3, 16, 1
	v_add3_u32 v9, v3, v2, s14
; %bb.129:                              ;   in Loop: Header=BB367_107 Depth=1
	s_andn2_saveexec_b64 s[0:1], s[0:1]
; %bb.130:                              ;   in Loop: Header=BB367_107 Depth=1
	v_or_b32_e32 v2, 0x10000, v3
	v_cmp_eq_u32_sdwa vcc, v3, v15 src0_sel:WORD_0 src1_sel:DWORD
	s_nop 1
	v_cndmask_b32_e32 v9, v2, v3, vcc
; %bb.131:                              ;   in Loop: Header=BB367_107 Depth=1
	s_or_b64 exec, exec, s[0:1]
	v_and_b32_e32 v2, 0x7f800000, v4
	v_cmp_ne_u32_e32 vcc, s13, v2
                                        ; implicit-def: $vgpr11
	s_and_saveexec_b64 s[0:1], vcc
	s_xor_b64 s[0:1], exec, s[0:1]
; %bb.132:                              ;   in Loop: Header=BB367_107 Depth=1
	v_bfe_u32 v2, v4, 16, 1
	v_add3_u32 v11, v4, v2, s14
; %bb.133:                              ;   in Loop: Header=BB367_107 Depth=1
	s_andn2_saveexec_b64 s[0:1], s[0:1]
; %bb.134:                              ;   in Loop: Header=BB367_107 Depth=1
	v_or_b32_e32 v2, 0x10000, v4
	v_cmp_eq_u32_sdwa vcc, v4, v15 src0_sel:WORD_0 src1_sel:DWORD
	s_nop 1
	v_cndmask_b32_e32 v11, v2, v4, vcc
; %bb.135:                              ;   in Loop: Header=BB367_107 Depth=1
	s_or_b64 exec, exec, s[0:1]
	v_and_b32_e32 v2, 0x7f800000, v5
	v_cmp_ne_u32_e32 vcc, s13, v2
                                        ; implicit-def: $vgpr31
	s_and_saveexec_b64 s[0:1], vcc
	s_xor_b64 s[0:1], exec, s[0:1]
; %bb.136:                              ;   in Loop: Header=BB367_107 Depth=1
	v_bfe_u32 v2, v5, 16, 1
	v_add3_u32 v31, v5, v2, s14
                                        ; implicit-def: $vgpr2_vgpr3_vgpr4_vgpr5
; %bb.137:                              ;   in Loop: Header=BB367_107 Depth=1
	s_andn2_saveexec_b64 s[0:1], s[0:1]
; %bb.138:                              ;   in Loop: Header=BB367_107 Depth=1
	v_or_b32_e32 v2, 0x10000, v5
	v_cmp_eq_u32_sdwa vcc, v5, v15 src0_sel:WORD_0 src1_sel:DWORD
	s_nop 1
	v_cndmask_b32_e32 v31, v2, v5, vcc
; %bb.139:                              ;   in Loop: Header=BB367_107 Depth=1
	s_or_b64 exec, exec, s[0:1]
	s_waitcnt vmcnt(0)
	v_mad_i64_i32 v[2:3], s[0:1], v24, s5, v[16:17]
	global_load_dwordx2 v[4:5], v[2:3], off
	s_waitcnt vmcnt(0)
	v_and_b32_e32 v6, 0xff, v4
	v_cvt_f32_fp8_sdwa v6, v6 src0_sel:BYTE_0
	s_nop 0
	v_mul_f32_e32 v7, s10, v6
	v_and_b32_e32 v6, 0x7f800000, v7
	v_cmp_ne_u32_e32 vcc, s13, v6
                                        ; implicit-def: $vgpr6
	s_and_saveexec_b64 s[0:1], vcc
	s_xor_b64 s[0:1], exec, s[0:1]
; %bb.140:                              ;   in Loop: Header=BB367_107 Depth=1
	v_bfe_u32 v6, v7, 16, 1
	v_add3_u32 v6, v7, v6, s14
                                        ; implicit-def: $vgpr7
; %bb.141:                              ;   in Loop: Header=BB367_107 Depth=1
	s_andn2_saveexec_b64 s[0:1], s[0:1]
; %bb.142:                              ;   in Loop: Header=BB367_107 Depth=1
	v_or_b32_e32 v6, 0x10000, v7
	v_cmp_eq_u32_sdwa vcc, v7, v15 src0_sel:WORD_0 src1_sel:DWORD
	s_nop 1
	v_cndmask_b32_e32 v6, v6, v7, vcc
; %bb.143:                              ;   in Loop: Header=BB367_107 Depth=1
	s_or_b64 exec, exec, s[0:1]
	v_bfe_u32 v7, v4, 8, 8
	v_cvt_f32_fp8_sdwa v7, v7 src0_sel:BYTE_0
	s_nop 0
	v_mul_f32_e32 v24, s10, v7
	v_and_b32_e32 v7, 0x7f800000, v24
	v_cmp_ne_u32_e32 vcc, s13, v7
                                        ; implicit-def: $vgpr7
	s_and_saveexec_b64 s[0:1], vcc
	s_xor_b64 s[0:1], exec, s[0:1]
; %bb.144:                              ;   in Loop: Header=BB367_107 Depth=1
	v_bfe_u32 v7, v24, 16, 1
	v_add3_u32 v7, v24, v7, s14
                                        ; implicit-def: $vgpr24
; %bb.145:                              ;   in Loop: Header=BB367_107 Depth=1
	s_andn2_saveexec_b64 s[0:1], s[0:1]
; %bb.146:                              ;   in Loop: Header=BB367_107 Depth=1
	v_or_b32_e32 v7, 0x10000, v24
	v_cmp_eq_u32_sdwa vcc, v24, v15 src0_sel:WORD_0 src1_sel:DWORD
	s_nop 1
	v_cndmask_b32_e32 v7, v7, v24, vcc
; %bb.147:                              ;   in Loop: Header=BB367_107 Depth=1
	s_or_b64 exec, exec, s[0:1]
	v_bfe_u32 v24, v4, 16, 8
	v_cvt_f32_fp8_sdwa v24, v24 src0_sel:BYTE_0
	s_nop 0
	v_mul_f32_e32 v24, s10, v24
	v_and_b32_e32 v25, 0x7f800000, v24
	v_cmp_ne_u32_e32 vcc, s13, v25
                                        ; implicit-def: $vgpr25
	s_and_saveexec_b64 s[0:1], vcc
	s_xor_b64 s[0:1], exec, s[0:1]
; %bb.148:                              ;   in Loop: Header=BB367_107 Depth=1
	v_bfe_u32 v25, v24, 16, 1
	v_add3_u32 v25, v24, v25, s14
                                        ; implicit-def: $vgpr24
; %bb.149:                              ;   in Loop: Header=BB367_107 Depth=1
	s_andn2_saveexec_b64 s[0:1], s[0:1]
; %bb.150:                              ;   in Loop: Header=BB367_107 Depth=1
	v_or_b32_e32 v25, 0x10000, v24
	v_cmp_eq_u32_sdwa vcc, v24, v15 src0_sel:WORD_0 src1_sel:DWORD
	s_nop 1
	v_cndmask_b32_e32 v25, v25, v24, vcc
; %bb.151:                              ;   in Loop: Header=BB367_107 Depth=1
	s_or_b64 exec, exec, s[0:1]
	v_lshrrev_b32_e32 v4, 24, v4
	v_cvt_f32_fp8_sdwa v4, v4 src0_sel:BYTE_0
	s_nop 0
	v_mul_f32_e32 v24, s10, v4
	v_and_b32_e32 v4, 0x7f800000, v24
	v_cmp_ne_u32_e32 vcc, s13, v4
                                        ; implicit-def: $vgpr4
	s_and_saveexec_b64 s[0:1], vcc
	s_xor_b64 s[0:1], exec, s[0:1]
; %bb.152:                              ;   in Loop: Header=BB367_107 Depth=1
	v_bfe_u32 v4, v24, 16, 1
	v_add3_u32 v4, v24, v4, s14
                                        ; implicit-def: $vgpr24
; %bb.153:                              ;   in Loop: Header=BB367_107 Depth=1
	s_andn2_saveexec_b64 s[0:1], s[0:1]
; %bb.154:                              ;   in Loop: Header=BB367_107 Depth=1
	v_or_b32_e32 v4, 0x10000, v24
	v_cmp_eq_u32_sdwa vcc, v24, v15 src0_sel:WORD_0 src1_sel:DWORD
	s_nop 1
	v_cndmask_b32_e32 v4, v4, v24, vcc
; %bb.155:                              ;   in Loop: Header=BB367_107 Depth=1
	s_or_b64 exec, exec, s[0:1]
	v_and_b32_e32 v24, 0xff, v5
	v_cvt_f32_fp8_sdwa v24, v24 src0_sel:BYTE_0
	s_nop 0
	v_mul_f32_e32 v24, s10, v24
	v_and_b32_e32 v26, 0x7f800000, v24
	v_cmp_ne_u32_e32 vcc, s13, v26
                                        ; implicit-def: $vgpr26
	s_and_saveexec_b64 s[0:1], vcc
	s_xor_b64 s[0:1], exec, s[0:1]
; %bb.156:                              ;   in Loop: Header=BB367_107 Depth=1
	v_bfe_u32 v26, v24, 16, 1
	v_add3_u32 v26, v24, v26, s14
                                        ; implicit-def: $vgpr24
; %bb.157:                              ;   in Loop: Header=BB367_107 Depth=1
	s_andn2_saveexec_b64 s[0:1], s[0:1]
; %bb.158:                              ;   in Loop: Header=BB367_107 Depth=1
	v_or_b32_e32 v26, 0x10000, v24
	v_cmp_eq_u32_sdwa vcc, v24, v15 src0_sel:WORD_0 src1_sel:DWORD
	s_nop 1
	v_cndmask_b32_e32 v26, v26, v24, vcc
; %bb.159:                              ;   in Loop: Header=BB367_107 Depth=1
	s_or_b64 exec, exec, s[0:1]
	v_bfe_u32 v24, v5, 8, 8
	v_cvt_f32_fp8_sdwa v24, v24 src0_sel:BYTE_0
	s_nop 0
	v_mul_f32_e32 v24, s10, v24
	v_and_b32_e32 v27, 0x7f800000, v24
	v_cmp_ne_u32_e32 vcc, s13, v27
                                        ; implicit-def: $vgpr27
	s_and_saveexec_b64 s[0:1], vcc
	s_xor_b64 s[0:1], exec, s[0:1]
; %bb.160:                              ;   in Loop: Header=BB367_107 Depth=1
	v_bfe_u32 v27, v24, 16, 1
	v_add3_u32 v27, v24, v27, s14
                                        ; implicit-def: $vgpr24
; %bb.161:                              ;   in Loop: Header=BB367_107 Depth=1
	s_andn2_saveexec_b64 s[0:1], s[0:1]
; %bb.162:                              ;   in Loop: Header=BB367_107 Depth=1
	v_or_b32_e32 v27, 0x10000, v24
	v_cmp_eq_u32_sdwa vcc, v24, v15 src0_sel:WORD_0 src1_sel:DWORD
	s_nop 1
	v_cndmask_b32_e32 v27, v27, v24, vcc
; %bb.163:                              ;   in Loop: Header=BB367_107 Depth=1
	s_or_b64 exec, exec, s[0:1]
	v_bfe_u32 v24, v5, 16, 8
	v_cvt_f32_fp8_sdwa v24, v24 src0_sel:BYTE_0
	s_nop 0
	v_mul_f32_e32 v24, s10, v24
	v_and_b32_e32 v28, 0x7f800000, v24
	v_cmp_ne_u32_e32 vcc, s13, v28
                                        ; implicit-def: $vgpr28
	s_and_saveexec_b64 s[0:1], vcc
	s_xor_b64 s[0:1], exec, s[0:1]
; %bb.164:                              ;   in Loop: Header=BB367_107 Depth=1
	v_bfe_u32 v28, v24, 16, 1
	v_add3_u32 v28, v24, v28, s14
                                        ; implicit-def: $vgpr24
; %bb.165:                              ;   in Loop: Header=BB367_107 Depth=1
	s_andn2_saveexec_b64 s[0:1], s[0:1]
; %bb.166:                              ;   in Loop: Header=BB367_107 Depth=1
	v_or_b32_e32 v28, 0x10000, v24
	v_cmp_eq_u32_sdwa vcc, v24, v15 src0_sel:WORD_0 src1_sel:DWORD
	s_nop 1
	v_cndmask_b32_e32 v28, v28, v24, vcc
; %bb.167:                              ;   in Loop: Header=BB367_107 Depth=1
	s_or_b64 exec, exec, s[0:1]
	v_lshrrev_b32_e32 v5, 24, v5
	v_cvt_f32_fp8_sdwa v5, v5 src0_sel:BYTE_0
                                        ; implicit-def: $vgpr29
	s_nop 0
	v_mul_f32_e32 v5, s10, v5
	v_and_b32_e32 v24, 0x7f800000, v5
	v_cmp_ne_u32_e32 vcc, s13, v24
	s_and_saveexec_b64 s[0:1], vcc
	s_xor_b64 s[0:1], exec, s[0:1]
; %bb.168:                              ;   in Loop: Header=BB367_107 Depth=1
	v_bfe_u32 v24, v5, 16, 1
	v_add3_u32 v29, v5, v24, s14
                                        ; implicit-def: $vgpr5
; %bb.169:                              ;   in Loop: Header=BB367_107 Depth=1
	s_andn2_saveexec_b64 s[0:1], s[0:1]
; %bb.170:                              ;   in Loop: Header=BB367_107 Depth=1
	v_or_b32_e32 v24, 0x10000, v5
	v_cmp_eq_u32_sdwa vcc, v5, v15 src0_sel:WORD_0 src1_sel:DWORD
	s_nop 1
	v_cndmask_b32_e32 v29, v24, v5, vcc
; %bb.171:                              ;   in Loop: Header=BB367_107 Depth=1
	s_or_b64 exec, exec, s[0:1]
	v_cmp_eq_u32_e32 vcc, s11, v10
	v_add_u32_e32 v24, -7, v14
	v_lshrrev_b32_e32 v38, 16, v27
	v_lshrrev_b32_e32 v37, 16, v26
	;; [unrolled: 1-line block ×8, first 2 shown]
	v_add_u32_e32 v30, -6, v14
	v_add_u32_e32 v29, -5, v14
	;; [unrolled: 1-line block ×6, first 2 shown]
	s_and_saveexec_b64 s[8:9], vcc
	s_cbranch_execz .LBB367_173
; %bb.172:                              ;   in Loop: Header=BB367_107 Depth=1
	v_cmp_gt_i32_e64 s[0:1], s33, v24
	s_nop 1
	v_cndmask_b32_e64 v4, 0, v4, s[0:1]
	v_cmp_gt_i32_e64 s[0:1], s33, v30
	s_nop 1
	v_cndmask_b32_e64 v5, 0, v5, s[0:1]
	;; [unrolled: 3-line block ×8, first 2 shown]
.LBB367_173:                            ;   in Loop: Header=BB367_107 Depth=1
	s_or_b64 exec, exec, s[8:9]
	v_and_b32_e32 v32, 0xffff0000, v32
	v_lshlrev_b32_e32 v4, 16, v4
	v_mul_f32_e32 v6, v32, v4
	v_and_b32_e32 v4, 0x7f800000, v6
	v_cmp_ne_u32_e64 s[0:1], s13, v4
                                        ; implicit-def: $vgpr4
	s_and_saveexec_b64 s[8:9], s[0:1]
	s_xor_b64 s[0:1], exec, s[8:9]
; %bb.174:                              ;   in Loop: Header=BB367_107 Depth=1
	v_bfe_u32 v4, v6, 16, 1
	v_add3_u32 v4, v6, v4, s14
                                        ; implicit-def: $vgpr6
; %bb.175:                              ;   in Loop: Header=BB367_107 Depth=1
	s_andn2_saveexec_b64 s[8:9], s[0:1]
; %bb.176:                              ;   in Loop: Header=BB367_107 Depth=1
	v_or_b32_e32 v4, 0x10000, v6
	v_cmp_eq_u32_sdwa s[0:1], v6, v15 src0_sel:WORD_0 src1_sel:DWORD
	s_nop 1
	v_cndmask_b32_e64 v4, v4, v6, s[0:1]
; %bb.177:                              ;   in Loop: Header=BB367_107 Depth=1
	s_or_b64 exec, exec, s[8:9]
	v_and_b32_e32 v33, 0xffff0000, v33
	v_lshlrev_b32_e32 v5, 16, v5
	v_mul_f32_e32 v6, v33, v5
	v_and_b32_e32 v5, 0x7f800000, v6
	v_cmp_ne_u32_e64 s[0:1], s13, v5
                                        ; implicit-def: $vgpr5
	s_and_saveexec_b64 s[8:9], s[0:1]
	s_xor_b64 s[0:1], exec, s[8:9]
; %bb.178:                              ;   in Loop: Header=BB367_107 Depth=1
	v_bfe_u32 v5, v6, 16, 1
	v_add3_u32 v5, v6, v5, s14
                                        ; implicit-def: $vgpr6
; %bb.179:                              ;   in Loop: Header=BB367_107 Depth=1
	s_andn2_saveexec_b64 s[8:9], s[0:1]
; %bb.180:                              ;   in Loop: Header=BB367_107 Depth=1
	v_or_b32_e32 v5, 0x10000, v6
	v_cmp_eq_u32_sdwa s[0:1], v6, v15 src0_sel:WORD_0 src1_sel:DWORD
	s_nop 1
	v_cndmask_b32_e64 v5, v5, v6, s[0:1]
; %bb.181:                              ;   in Loop: Header=BB367_107 Depth=1
	s_or_b64 exec, exec, s[8:9]
	v_and_b32_e32 v34, 0xffff0000, v34
	v_lshlrev_b32_e32 v6, 16, v41
	v_mul_f32_e32 v7, v34, v6
	v_and_b32_e32 v6, 0x7f800000, v7
	v_cmp_ne_u32_e64 s[0:1], s13, v6
                                        ; implicit-def: $vgpr6
	s_and_saveexec_b64 s[8:9], s[0:1]
	s_xor_b64 s[0:1], exec, s[8:9]
; %bb.182:                              ;   in Loop: Header=BB367_107 Depth=1
	v_bfe_u32 v6, v7, 16, 1
	v_add3_u32 v6, v7, v6, s14
                                        ; implicit-def: $vgpr7
; %bb.183:                              ;   in Loop: Header=BB367_107 Depth=1
	s_andn2_saveexec_b64 s[8:9], s[0:1]
; %bb.184:                              ;   in Loop: Header=BB367_107 Depth=1
	v_or_b32_e32 v6, 0x10000, v7
	v_cmp_eq_u32_sdwa s[0:1], v7, v15 src0_sel:WORD_0 src1_sel:DWORD
	s_nop 1
	v_cndmask_b32_e64 v6, v6, v7, s[0:1]
; %bb.185:                              ;   in Loop: Header=BB367_107 Depth=1
	s_or_b64 exec, exec, s[8:9]
	v_and_b32_e32 v35, 0xffff0000, v35
	v_lshlrev_b32_e32 v7, 16, v36
	v_mul_f32_e32 v36, v35, v7
	v_and_b32_e32 v7, 0x7f800000, v36
	v_cmp_ne_u32_e64 s[0:1], s13, v7
                                        ; implicit-def: $vgpr7
	s_and_saveexec_b64 s[8:9], s[0:1]
	s_xor_b64 s[0:1], exec, s[8:9]
; %bb.186:                              ;   in Loop: Header=BB367_107 Depth=1
	v_bfe_u32 v7, v36, 16, 1
	v_add3_u32 v7, v36, v7, s14
                                        ; implicit-def: $vgpr36
; %bb.187:                              ;   in Loop: Header=BB367_107 Depth=1
	s_andn2_saveexec_b64 s[8:9], s[0:1]
; %bb.188:                              ;   in Loop: Header=BB367_107 Depth=1
	v_or_b32_e32 v7, 0x10000, v36
	v_cmp_eq_u32_sdwa s[0:1], v36, v15 src0_sel:WORD_0 src1_sel:DWORD
	s_nop 1
	v_cndmask_b32_e64 v7, v7, v36, s[0:1]
; %bb.189:                              ;   in Loop: Header=BB367_107 Depth=1
	s_or_b64 exec, exec, s[8:9]
	v_and_b32_e32 v36, 0xffff0000, v8
	v_lshlrev_b32_e32 v8, 16, v37
	v_mul_f32_e32 v37, v36, v8
	v_and_b32_e32 v8, 0x7f800000, v37
	v_cmp_ne_u32_e64 s[0:1], s13, v8
                                        ; implicit-def: $vgpr8
	s_and_saveexec_b64 s[8:9], s[0:1]
	s_xor_b64 s[0:1], exec, s[8:9]
; %bb.190:                              ;   in Loop: Header=BB367_107 Depth=1
	v_bfe_u32 v8, v37, 16, 1
	v_add3_u32 v8, v37, v8, s14
                                        ; implicit-def: $vgpr37
; %bb.191:                              ;   in Loop: Header=BB367_107 Depth=1
	s_andn2_saveexec_b64 s[8:9], s[0:1]
; %bb.192:                              ;   in Loop: Header=BB367_107 Depth=1
	v_or_b32_e32 v8, 0x10000, v37
	v_cmp_eq_u32_sdwa s[0:1], v37, v15 src0_sel:WORD_0 src1_sel:DWORD
	s_nop 1
	v_cndmask_b32_e64 v8, v8, v37, s[0:1]
; %bb.193:                              ;   in Loop: Header=BB367_107 Depth=1
	s_or_b64 exec, exec, s[8:9]
	v_and_b32_e32 v37, 0xffff0000, v9
	v_lshlrev_b32_e32 v9, 16, v38
	v_mul_f32_e32 v38, v37, v9
	v_and_b32_e32 v9, 0x7f800000, v38
	v_cmp_ne_u32_e64 s[0:1], s13, v9
                                        ; implicit-def: $vgpr9
	s_and_saveexec_b64 s[8:9], s[0:1]
	s_xor_b64 s[0:1], exec, s[8:9]
; %bb.194:                              ;   in Loop: Header=BB367_107 Depth=1
	v_bfe_u32 v9, v38, 16, 1
	v_add3_u32 v9, v38, v9, s14
                                        ; implicit-def: $vgpr38
; %bb.195:                              ;   in Loop: Header=BB367_107 Depth=1
	s_andn2_saveexec_b64 s[8:9], s[0:1]
; %bb.196:                              ;   in Loop: Header=BB367_107 Depth=1
	v_or_b32_e32 v9, 0x10000, v38
	v_cmp_eq_u32_sdwa s[0:1], v38, v15 src0_sel:WORD_0 src1_sel:DWORD
	s_nop 1
	v_cndmask_b32_e64 v9, v9, v38, s[0:1]
; %bb.197:                              ;   in Loop: Header=BB367_107 Depth=1
	s_or_b64 exec, exec, s[8:9]
	v_and_b32_e32 v38, 0xffff0000, v11
	v_lshlrev_b32_e32 v11, 16, v39
	v_mul_f32_e32 v39, v38, v11
	v_and_b32_e32 v11, 0x7f800000, v39
	v_cmp_ne_u32_e64 s[0:1], s13, v11
                                        ; implicit-def: $vgpr11
	s_and_saveexec_b64 s[8:9], s[0:1]
	s_xor_b64 s[0:1], exec, s[8:9]
; %bb.198:                              ;   in Loop: Header=BB367_107 Depth=1
	v_bfe_u32 v11, v39, 16, 1
	v_add3_u32 v11, v39, v11, s14
                                        ; implicit-def: $vgpr39
; %bb.199:                              ;   in Loop: Header=BB367_107 Depth=1
	s_andn2_saveexec_b64 s[8:9], s[0:1]
; %bb.200:                              ;   in Loop: Header=BB367_107 Depth=1
	v_or_b32_e32 v11, 0x10000, v39
	v_cmp_eq_u32_sdwa s[0:1], v39, v15 src0_sel:WORD_0 src1_sel:DWORD
	s_nop 1
	v_cndmask_b32_e64 v11, v11, v39, s[0:1]
; %bb.201:                              ;   in Loop: Header=BB367_107 Depth=1
	s_or_b64 exec, exec, s[8:9]
	v_and_b32_e32 v39, 0xffff0000, v31
	v_lshlrev_b32_e32 v31, 16, v40
	v_mul_f32_e32 v40, v39, v31
	v_and_b32_e32 v31, 0x7f800000, v40
	v_cmp_ne_u32_e64 s[0:1], s13, v31
                                        ; implicit-def: $vgpr31
	s_and_saveexec_b64 s[8:9], s[0:1]
	s_xor_b64 s[0:1], exec, s[8:9]
; %bb.202:                              ;   in Loop: Header=BB367_107 Depth=1
	v_bfe_u32 v31, v40, 16, 1
	v_add3_u32 v31, v40, v31, s14
                                        ; implicit-def: $vgpr40
; %bb.203:                              ;   in Loop: Header=BB367_107 Depth=1
	s_andn2_saveexec_b64 s[8:9], s[0:1]
; %bb.204:                              ;   in Loop: Header=BB367_107 Depth=1
	v_or_b32_e32 v31, 0x10000, v40
	v_cmp_eq_u32_sdwa s[0:1], v40, v15 src0_sel:WORD_0 src1_sel:DWORD
	s_nop 1
	v_cndmask_b32_e64 v31, v31, v40, s[0:1]
; %bb.205:                              ;   in Loop: Header=BB367_107 Depth=1
	s_or_b64 exec, exec, s[8:9]
	global_load_dwordx2 v[2:3], v[2:3], off offset:512
	s_waitcnt vmcnt(0)
	v_and_b32_e32 v40, 0xff, v2
	v_cvt_f32_fp8_sdwa v40, v40 src0_sel:BYTE_0
	s_nop 0
	v_mul_f32_e32 v41, s10, v40
	v_and_b32_e32 v40, 0x7f800000, v41
	v_cmp_ne_u32_e64 s[0:1], s13, v40
                                        ; implicit-def: $vgpr40
	s_and_saveexec_b64 s[8:9], s[0:1]
	s_xor_b64 s[0:1], exec, s[8:9]
; %bb.206:                              ;   in Loop: Header=BB367_107 Depth=1
	v_bfe_u32 v40, v41, 16, 1
	v_add3_u32 v40, v41, v40, s14
                                        ; implicit-def: $vgpr41
; %bb.207:                              ;   in Loop: Header=BB367_107 Depth=1
	s_andn2_saveexec_b64 s[8:9], s[0:1]
; %bb.208:                              ;   in Loop: Header=BB367_107 Depth=1
	v_or_b32_e32 v40, 0x10000, v41
	v_cmp_eq_u32_sdwa s[0:1], v41, v15 src0_sel:WORD_0 src1_sel:DWORD
	s_nop 1
	v_cndmask_b32_e64 v40, v40, v41, s[0:1]
; %bb.209:                              ;   in Loop: Header=BB367_107 Depth=1
	s_or_b64 exec, exec, s[8:9]
	v_bfe_u32 v41, v2, 8, 8
	v_cvt_f32_fp8_sdwa v41, v41 src0_sel:BYTE_0
	s_nop 0
	v_mul_f32_e32 v42, s10, v41
	v_and_b32_e32 v41, 0x7f800000, v42
	v_cmp_ne_u32_e64 s[0:1], s13, v41
                                        ; implicit-def: $vgpr41
	s_and_saveexec_b64 s[8:9], s[0:1]
	s_xor_b64 s[0:1], exec, s[8:9]
; %bb.210:                              ;   in Loop: Header=BB367_107 Depth=1
	v_bfe_u32 v41, v42, 16, 1
	v_add3_u32 v41, v42, v41, s14
                                        ; implicit-def: $vgpr42
; %bb.211:                              ;   in Loop: Header=BB367_107 Depth=1
	s_andn2_saveexec_b64 s[8:9], s[0:1]
; %bb.212:                              ;   in Loop: Header=BB367_107 Depth=1
	v_or_b32_e32 v41, 0x10000, v42
	v_cmp_eq_u32_sdwa s[0:1], v42, v15 src0_sel:WORD_0 src1_sel:DWORD
	s_nop 1
	v_cndmask_b32_e64 v41, v41, v42, s[0:1]
; %bb.213:                              ;   in Loop: Header=BB367_107 Depth=1
	s_or_b64 exec, exec, s[8:9]
	v_bfe_u32 v42, v2, 16, 8
	v_cvt_f32_fp8_sdwa v42, v42 src0_sel:BYTE_0
	s_nop 0
	v_mul_f32_e32 v42, s10, v42
	v_and_b32_e32 v43, 0x7f800000, v42
	v_cmp_ne_u32_e64 s[0:1], s13, v43
                                        ; implicit-def: $vgpr43
	s_and_saveexec_b64 s[8:9], s[0:1]
	s_xor_b64 s[0:1], exec, s[8:9]
; %bb.214:                              ;   in Loop: Header=BB367_107 Depth=1
	v_bfe_u32 v43, v42, 16, 1
	v_add3_u32 v43, v42, v43, s14
                                        ; implicit-def: $vgpr42
; %bb.215:                              ;   in Loop: Header=BB367_107 Depth=1
	s_andn2_saveexec_b64 s[8:9], s[0:1]
; %bb.216:                              ;   in Loop: Header=BB367_107 Depth=1
	v_or_b32_e32 v43, 0x10000, v42
	v_cmp_eq_u32_sdwa s[0:1], v42, v15 src0_sel:WORD_0 src1_sel:DWORD
	s_nop 1
	v_cndmask_b32_e64 v43, v43, v42, s[0:1]
; %bb.217:                              ;   in Loop: Header=BB367_107 Depth=1
	s_or_b64 exec, exec, s[8:9]
	v_lshrrev_b32_e32 v2, 24, v2
	v_cvt_f32_fp8_sdwa v2, v2 src0_sel:BYTE_0
	s_nop 0
	v_mul_f32_e32 v42, s10, v2
	v_and_b32_e32 v2, 0x7f800000, v42
	v_cmp_ne_u32_e64 s[0:1], s13, v2
                                        ; implicit-def: $vgpr2
	s_and_saveexec_b64 s[8:9], s[0:1]
	s_xor_b64 s[0:1], exec, s[8:9]
; %bb.218:                              ;   in Loop: Header=BB367_107 Depth=1
	v_bfe_u32 v2, v42, 16, 1
	v_add3_u32 v2, v42, v2, s14
                                        ; implicit-def: $vgpr42
; %bb.219:                              ;   in Loop: Header=BB367_107 Depth=1
	s_andn2_saveexec_b64 s[8:9], s[0:1]
; %bb.220:                              ;   in Loop: Header=BB367_107 Depth=1
	v_or_b32_e32 v2, 0x10000, v42
	v_cmp_eq_u32_sdwa s[0:1], v42, v15 src0_sel:WORD_0 src1_sel:DWORD
	s_nop 1
	v_cndmask_b32_e64 v2, v2, v42, s[0:1]
; %bb.221:                              ;   in Loop: Header=BB367_107 Depth=1
	s_or_b64 exec, exec, s[8:9]
	v_and_b32_e32 v42, 0xff, v3
	v_cvt_f32_fp8_sdwa v42, v42 src0_sel:BYTE_0
	s_nop 0
	v_mul_f32_e32 v42, s10, v42
	v_and_b32_e32 v44, 0x7f800000, v42
	v_cmp_ne_u32_e64 s[0:1], s13, v44
                                        ; implicit-def: $vgpr44
	s_and_saveexec_b64 s[8:9], s[0:1]
	s_xor_b64 s[0:1], exec, s[8:9]
; %bb.222:                              ;   in Loop: Header=BB367_107 Depth=1
	v_bfe_u32 v44, v42, 16, 1
	v_add3_u32 v44, v42, v44, s14
                                        ; implicit-def: $vgpr42
; %bb.223:                              ;   in Loop: Header=BB367_107 Depth=1
	s_andn2_saveexec_b64 s[8:9], s[0:1]
; %bb.224:                              ;   in Loop: Header=BB367_107 Depth=1
	v_or_b32_e32 v44, 0x10000, v42
	v_cmp_eq_u32_sdwa s[0:1], v42, v15 src0_sel:WORD_0 src1_sel:DWORD
	s_nop 1
	v_cndmask_b32_e64 v44, v44, v42, s[0:1]
; %bb.225:                              ;   in Loop: Header=BB367_107 Depth=1
	s_or_b64 exec, exec, s[8:9]
	v_bfe_u32 v42, v3, 8, 8
	v_cvt_f32_fp8_sdwa v42, v42 src0_sel:BYTE_0
	s_nop 0
	v_mul_f32_e32 v45, s10, v42
	v_and_b32_e32 v42, 0x7f800000, v45
	v_cmp_ne_u32_e64 s[0:1], s13, v42
                                        ; implicit-def: $vgpr42
	s_and_saveexec_b64 s[8:9], s[0:1]
	s_xor_b64 s[0:1], exec, s[8:9]
; %bb.226:                              ;   in Loop: Header=BB367_107 Depth=1
	v_bfe_u32 v42, v45, 16, 1
	v_add3_u32 v42, v45, v42, s14
                                        ; implicit-def: $vgpr45
; %bb.227:                              ;   in Loop: Header=BB367_107 Depth=1
	s_andn2_saveexec_b64 s[8:9], s[0:1]
; %bb.228:                              ;   in Loop: Header=BB367_107 Depth=1
	v_or_b32_e32 v42, 0x10000, v45
	v_cmp_eq_u32_sdwa s[0:1], v45, v15 src0_sel:WORD_0 src1_sel:DWORD
	s_nop 1
	v_cndmask_b32_e64 v42, v42, v45, s[0:1]
; %bb.229:                              ;   in Loop: Header=BB367_107 Depth=1
	s_or_b64 exec, exec, s[8:9]
	v_bfe_u32 v45, v3, 16, 8
	v_cvt_f32_fp8_sdwa v45, v45 src0_sel:BYTE_0
	s_nop 0
	v_mul_f32_e32 v45, s10, v45
	v_and_b32_e32 v46, 0x7f800000, v45
	v_cmp_ne_u32_e64 s[0:1], s13, v46
                                        ; implicit-def: $vgpr46
	s_and_saveexec_b64 s[8:9], s[0:1]
	s_xor_b64 s[0:1], exec, s[8:9]
; %bb.230:                              ;   in Loop: Header=BB367_107 Depth=1
	v_bfe_u32 v46, v45, 16, 1
	v_add3_u32 v46, v45, v46, s14
                                        ; implicit-def: $vgpr45
; %bb.231:                              ;   in Loop: Header=BB367_107 Depth=1
	s_andn2_saveexec_b64 s[8:9], s[0:1]
; %bb.232:                              ;   in Loop: Header=BB367_107 Depth=1
	v_or_b32_e32 v46, 0x10000, v45
	v_cmp_eq_u32_sdwa s[0:1], v45, v15 src0_sel:WORD_0 src1_sel:DWORD
	s_nop 1
	v_cndmask_b32_e64 v46, v46, v45, s[0:1]
; %bb.233:                              ;   in Loop: Header=BB367_107 Depth=1
	s_or_b64 exec, exec, s[8:9]
	v_lshrrev_b32_e32 v3, 24, v3
	v_cvt_f32_fp8_sdwa v3, v3 src0_sel:BYTE_0
	s_nop 0
	v_mul_f32_e32 v45, s10, v3
	v_and_b32_e32 v3, 0x7f800000, v45
	v_cmp_ne_u32_e64 s[0:1], s13, v3
                                        ; implicit-def: $vgpr3
	s_and_saveexec_b64 s[8:9], s[0:1]
	s_xor_b64 s[0:1], exec, s[8:9]
; %bb.234:                              ;   in Loop: Header=BB367_107 Depth=1
	v_bfe_u32 v3, v45, 16, 1
	v_add3_u32 v3, v45, v3, s14
                                        ; implicit-def: $vgpr45
; %bb.235:                              ;   in Loop: Header=BB367_107 Depth=1
	s_andn2_saveexec_b64 s[8:9], s[0:1]
; %bb.236:                              ;   in Loop: Header=BB367_107 Depth=1
	v_or_b32_e32 v3, 0x10000, v45
	v_cmp_eq_u32_sdwa s[0:1], v45, v15 src0_sel:WORD_0 src1_sel:DWORD
	s_nop 1
	v_cndmask_b32_e64 v3, v3, v45, s[0:1]
; %bb.237:                              ;   in Loop: Header=BB367_107 Depth=1
	s_or_b64 exec, exec, s[8:9]
	v_lshrrev_b32_e32 v42, 16, v42
	v_lshrrev_b32_e32 v44, 16, v44
	;; [unrolled: 1-line block ×8, first 2 shown]
	s_and_saveexec_b64 s[0:1], vcc
	s_cbranch_execz .LBB367_239
; %bb.238:                              ;   in Loop: Header=BB367_107 Depth=1
	v_cmp_gt_i32_e32 vcc, s33, v24
	s_nop 1
	v_cndmask_b32_e32 v2, 0, v2, vcc
	v_cmp_gt_i32_e32 vcc, s33, v30
	s_nop 1
	v_cndmask_b32_e32 v41, 0, v41, vcc
	;; [unrolled: 3-line block ×8, first 2 shown]
.LBB367_239:                            ;   in Loop: Header=BB367_107 Depth=1
	s_or_b64 exec, exec, s[0:1]
	v_lshlrev_b32_e32 v2, 16, v2
	v_mul_f32_e32 v24, v32, v2
	v_and_b32_e32 v2, 0x7f800000, v24
	v_cmp_ne_u32_e32 vcc, s13, v2
                                        ; implicit-def: $vgpr2
	s_and_saveexec_b64 s[0:1], vcc
	s_xor_b64 s[0:1], exec, s[0:1]
; %bb.240:                              ;   in Loop: Header=BB367_107 Depth=1
	v_bfe_u32 v2, v24, 16, 1
	v_add3_u32 v2, v24, v2, s14
                                        ; implicit-def: $vgpr24
; %bb.241:                              ;   in Loop: Header=BB367_107 Depth=1
	s_andn2_saveexec_b64 s[0:1], s[0:1]
; %bb.242:                              ;   in Loop: Header=BB367_107 Depth=1
	v_or_b32_e32 v2, 0x10000, v24
	v_cmp_eq_u32_sdwa vcc, v24, v15 src0_sel:WORD_0 src1_sel:DWORD
	s_nop 1
	v_cndmask_b32_e32 v2, v2, v24, vcc
; %bb.243:                              ;   in Loop: Header=BB367_107 Depth=1
	s_or_b64 exec, exec, s[0:1]
	v_lshlrev_b32_e32 v24, 16, v41
	v_mul_f32_e32 v25, v33, v24
	v_and_b32_e32 v24, 0x7f800000, v25
	v_cmp_ne_u32_e32 vcc, s13, v24
                                        ; implicit-def: $vgpr24
	s_and_saveexec_b64 s[0:1], vcc
	s_xor_b64 s[0:1], exec, s[0:1]
; %bb.244:                              ;   in Loop: Header=BB367_107 Depth=1
	v_bfe_u32 v24, v25, 16, 1
	v_add3_u32 v24, v25, v24, s14
                                        ; implicit-def: $vgpr25
; %bb.245:                              ;   in Loop: Header=BB367_107 Depth=1
	s_andn2_saveexec_b64 s[0:1], s[0:1]
; %bb.246:                              ;   in Loop: Header=BB367_107 Depth=1
	v_or_b32_e32 v24, 0x10000, v25
	v_cmp_eq_u32_sdwa vcc, v25, v15 src0_sel:WORD_0 src1_sel:DWORD
	s_nop 1
	v_cndmask_b32_e32 v24, v24, v25, vcc
; %bb.247:                              ;   in Loop: Header=BB367_107 Depth=1
	s_or_b64 exec, exec, s[0:1]
	v_lshlrev_b32_e32 v25, 16, v43
	v_mul_f32_e32 v26, v34, v25
	v_and_b32_e32 v25, 0x7f800000, v26
	v_cmp_ne_u32_e32 vcc, s13, v25
                                        ; implicit-def: $vgpr25
	s_and_saveexec_b64 s[0:1], vcc
	s_xor_b64 s[0:1], exec, s[0:1]
; %bb.248:                              ;   in Loop: Header=BB367_107 Depth=1
	v_bfe_u32 v25, v26, 16, 1
	v_add3_u32 v25, v26, v25, s14
                                        ; implicit-def: $vgpr26
; %bb.249:                              ;   in Loop: Header=BB367_107 Depth=1
	s_andn2_saveexec_b64 s[0:1], s[0:1]
; %bb.250:                              ;   in Loop: Header=BB367_107 Depth=1
	v_or_b32_e32 v25, 0x10000, v26
	v_cmp_eq_u32_sdwa vcc, v26, v15 src0_sel:WORD_0 src1_sel:DWORD
	s_nop 1
	v_cndmask_b32_e32 v25, v25, v26, vcc
; %bb.251:                              ;   in Loop: Header=BB367_107 Depth=1
	s_or_b64 exec, exec, s[0:1]
	v_lshlrev_b32_e32 v26, 16, v45
	v_mul_f32_e32 v27, v35, v26
	v_and_b32_e32 v26, 0x7f800000, v27
	v_cmp_ne_u32_e32 vcc, s13, v26
                                        ; implicit-def: $vgpr26
	s_and_saveexec_b64 s[0:1], vcc
	s_xor_b64 s[0:1], exec, s[0:1]
; %bb.252:                              ;   in Loop: Header=BB367_107 Depth=1
	v_bfe_u32 v26, v27, 16, 1
	v_add3_u32 v26, v27, v26, s14
                                        ; implicit-def: $vgpr27
; %bb.253:                              ;   in Loop: Header=BB367_107 Depth=1
	s_andn2_saveexec_b64 s[0:1], s[0:1]
; %bb.254:                              ;   in Loop: Header=BB367_107 Depth=1
	v_or_b32_e32 v26, 0x10000, v27
	v_cmp_eq_u32_sdwa vcc, v27, v15 src0_sel:WORD_0 src1_sel:DWORD
	s_nop 1
	v_cndmask_b32_e32 v26, v26, v27, vcc
; %bb.255:                              ;   in Loop: Header=BB367_107 Depth=1
	s_or_b64 exec, exec, s[0:1]
	v_lshlrev_b32_e32 v27, 16, v44
	v_mul_f32_e32 v28, v36, v27
	v_and_b32_e32 v27, 0x7f800000, v28
	v_cmp_ne_u32_e32 vcc, s13, v27
                                        ; implicit-def: $vgpr27
	s_and_saveexec_b64 s[0:1], vcc
	s_xor_b64 s[0:1], exec, s[0:1]
; %bb.256:                              ;   in Loop: Header=BB367_107 Depth=1
	v_bfe_u32 v27, v28, 16, 1
	v_add3_u32 v27, v28, v27, s14
                                        ; implicit-def: $vgpr28
; %bb.257:                              ;   in Loop: Header=BB367_107 Depth=1
	s_andn2_saveexec_b64 s[0:1], s[0:1]
; %bb.258:                              ;   in Loop: Header=BB367_107 Depth=1
	v_or_b32_e32 v27, 0x10000, v28
	v_cmp_eq_u32_sdwa vcc, v28, v15 src0_sel:WORD_0 src1_sel:DWORD
	s_nop 1
	v_cndmask_b32_e32 v27, v27, v28, vcc
; %bb.259:                              ;   in Loop: Header=BB367_107 Depth=1
	s_or_b64 exec, exec, s[0:1]
	v_lshlrev_b32_e32 v28, 16, v42
	v_mul_f32_e32 v29, v37, v28
	v_and_b32_e32 v28, 0x7f800000, v29
	v_cmp_ne_u32_e32 vcc, s13, v28
                                        ; implicit-def: $vgpr28
	s_and_saveexec_b64 s[0:1], vcc
	s_xor_b64 s[0:1], exec, s[0:1]
; %bb.260:                              ;   in Loop: Header=BB367_107 Depth=1
	v_bfe_u32 v28, v29, 16, 1
	v_add3_u32 v28, v29, v28, s14
                                        ; implicit-def: $vgpr29
; %bb.261:                              ;   in Loop: Header=BB367_107 Depth=1
	s_andn2_saveexec_b64 s[0:1], s[0:1]
; %bb.262:                              ;   in Loop: Header=BB367_107 Depth=1
	v_or_b32_e32 v28, 0x10000, v29
	v_cmp_eq_u32_sdwa vcc, v29, v15 src0_sel:WORD_0 src1_sel:DWORD
	s_nop 1
	v_cndmask_b32_e32 v28, v28, v29, vcc
; %bb.263:                              ;   in Loop: Header=BB367_107 Depth=1
	s_or_b64 exec, exec, s[0:1]
	v_lshlrev_b32_e32 v29, 16, v40
	v_mul_f32_e32 v30, v38, v29
	v_and_b32_e32 v29, 0x7f800000, v30
	v_cmp_ne_u32_e32 vcc, s13, v29
                                        ; implicit-def: $vgpr29
	s_and_saveexec_b64 s[0:1], vcc
	s_xor_b64 s[0:1], exec, s[0:1]
; %bb.264:                              ;   in Loop: Header=BB367_107 Depth=1
	v_bfe_u32 v29, v30, 16, 1
	v_add3_u32 v29, v30, v29, s14
                                        ; implicit-def: $vgpr30
; %bb.265:                              ;   in Loop: Header=BB367_107 Depth=1
	s_andn2_saveexec_b64 s[0:1], s[0:1]
; %bb.266:                              ;   in Loop: Header=BB367_107 Depth=1
	v_or_b32_e32 v29, 0x10000, v30
	v_cmp_eq_u32_sdwa vcc, v30, v15 src0_sel:WORD_0 src1_sel:DWORD
	s_nop 1
	v_cndmask_b32_e32 v29, v29, v30, vcc
; %bb.267:                              ;   in Loop: Header=BB367_107 Depth=1
	s_or_b64 exec, exec, s[0:1]
	v_lshlrev_b32_e32 v3, 16, v3
	v_mul_f32_e32 v30, v39, v3
	v_and_b32_e32 v3, 0x7f800000, v30
	v_cmp_ne_u32_e32 vcc, s13, v3
                                        ; implicit-def: $vgpr3
	s_and_saveexec_b64 s[0:1], vcc
	s_xor_b64 s[0:1], exec, s[0:1]
; %bb.268:                              ;   in Loop: Header=BB367_107 Depth=1
	v_bfe_u32 v3, v30, 16, 1
	v_add3_u32 v3, v30, v3, s14
                                        ; implicit-def: $vgpr30
; %bb.269:                              ;   in Loop: Header=BB367_107 Depth=1
	s_andn2_saveexec_b64 s[0:1], s[0:1]
	s_cbranch_execz .LBB367_106
; %bb.270:                              ;   in Loop: Header=BB367_107 Depth=1
	v_or_b32_e32 v3, 0x10000, v30
	v_cmp_eq_u32_sdwa vcc, v30, v15 src0_sel:WORD_0 src1_sel:DWORD
	s_nop 1
	v_cndmask_b32_e32 v3, v3, v30, vcc
	s_branch .LBB367_106
.LBB367_271:
	s_or_b64 exec, exec, s[6:7]
.LBB367_272:
	s_or_b64 exec, exec, s[2:3]
	ds_bpermute_b32 v2, v20, v12
	ds_bpermute_b32 v3, v20, v13
	v_and_b32_e32 v6, 0x3c3, v0
	v_cmp_eq_u32_e32 vcc, 64, v6
	s_waitcnt lgkmcnt(0)
	s_barrier
	v_pk_add_f32 v[2:3], v[12:13], v[2:3]
	ds_bpermute_b32 v4, v21, v2
	ds_bpermute_b32 v5, v21, v3
	s_waitcnt lgkmcnt(0)
	v_pk_add_f32 v[2:3], v[2:3], v[4:5]
	s_and_saveexec_b64 s[0:1], vcc
	s_cbranch_execz .LBB367_274
; %bb.273:
	v_add_u32_e32 v1, 0x50, v1
	v_add_u32_e32 v4, 0x50, v0
	ds_write_b32 v1, v2
	ds_write_b32 v4, v3
.LBB367_274:
	s_or_b64 exec, exec, s[0:1]
	v_cmp_gt_u32_e32 vcc, 64, v0
	s_waitcnt lgkmcnt(0)
	s_barrier
	s_and_saveexec_b64 s[2:3], vcc
	s_cbranch_execz .LBB367_280
; %bb.275:
	v_cmp_eq_u32_e64 s[0:1], 0, v22
	v_lshrrev_b32_e32 v1, 2, v0
	s_and_saveexec_b64 s[6:7], s[0:1]
	s_cbranch_execz .LBB367_277
; %bb.276:
	v_mov_b32_e32 v4, 0x50
	v_lshl_add_u32 v4, v1, 2, v4
	ds_read_b32 v4, v4
	s_waitcnt lgkmcnt(0)
	v_add_f32_e32 v2, v2, v4
.LBB367_277:
	s_or_b64 exec, exec, s[6:7]
	s_and_saveexec_b64 s[6:7], s[0:1]
	s_cbranch_execz .LBB367_279
; %bb.278:
	v_mov_b32_e32 v4, 0x50
	v_lshl_add_u32 v1, v1, 2, v4
	ds_read_b32 v1, v1 offset:64
	s_waitcnt lgkmcnt(0)
	v_add_f32_e32 v3, v3, v1
.LBB367_279:
	s_or_b64 exec, exec, s[6:7]
.LBB367_280:
	s_or_b64 exec, exec, s[2:3]
	s_barrier
	s_and_saveexec_b64 s[0:1], vcc
	s_cbranch_execz .LBB367_291
; %bb.281:
	v_cmp_eq_u32_e32 vcc, 0, v22
	s_and_b64 exec, exec, vcc
	s_cbranch_execz .LBB367_291
; %bb.282:
	s_mov_b32 s0, 0x7f800000
	v_and_b32_e32 v1, 0x7f800000, v2
	v_cmp_ne_u32_e32 vcc, s0, v1
                                        ; implicit-def: $vgpr4
	s_and_saveexec_b64 s[0:1], vcc
	s_xor_b64 s[0:1], exec, s[0:1]
; %bb.283:
	v_bfe_u32 v1, v2, 16, 1
	s_movk_i32 s2, 0x7fff
	v_add3_u32 v4, v2, v1, s2
; %bb.284:
	s_andn2_saveexec_b64 s[0:1], s[0:1]
; %bb.285:
	v_mov_b32_e32 v1, 0
	v_or_b32_e32 v4, 0x10000, v2
	v_cmp_eq_u32_sdwa vcc, v2, v1 src0_sel:WORD_0 src1_sel:DWORD
	s_nop 1
	v_cndmask_b32_e32 v4, v4, v2, vcc
; %bb.286:
	s_or_b64 exec, exec, s[0:1]
	s_mul_i32 s0, s12, s24
	s_mul_i32 s0, s0, s25
	s_lshl_b32 s0, s0, 5
	s_ashr_i32 s1, s0, 31
	s_lshl_b64 s[0:1], s[0:1], 1
	s_add_u32 s2, s28, s0
	s_mul_i32 s0, s12, s26
	s_addc_u32 s3, s29, s1
	s_ashr_i32 s1, s0, 31
	s_lshl_b64 s[0:1], s[0:1], 1
	s_add_u32 s2, s2, s0
	s_addc_u32 s3, s3, s1
	s_lshl_b32 s0, s4, 5
	s_ashr_i32 s1, s0, 31
	s_lshl_b64 s[0:1], s[0:1], 1
	s_add_u32 s0, s2, s0
	v_lshrrev_b32_e32 v0, 1, v0
	s_mov_b32 s2, 0x7f800000
	v_and_b32_e32 v2, 0x7f800000, v3
	s_addc_u32 s1, s3, s1
	v_and_b32_e32 v0, 0x1fe, v0
	v_mov_b32_e32 v1, 0
	v_cmp_ne_u32_e32 vcc, s2, v2
	global_store_short_d16_hi v0, v4, s[0:1]
                                        ; implicit-def: $vgpr4
	s_and_saveexec_b64 s[2:3], vcc
	s_xor_b64 s[2:3], exec, s[2:3]
; %bb.287:
	v_bfe_u32 v2, v3, 16, 1
	s_movk_i32 s4, 0x7fff
	v_add3_u32 v4, v3, v2, s4
                                        ; implicit-def: $vgpr2_vgpr3
; %bb.288:
	s_or_saveexec_b64 s[2:3], s[2:3]
	v_lshl_add_u64 v[0:1], s[0:1], 0, v[0:1]
	s_xor_b64 exec, exec, s[2:3]
; %bb.289:
	v_mov_b32_e32 v2, 0
	v_or_b32_e32 v4, 0x10000, v3
	v_cmp_eq_u32_sdwa vcc, v3, v2 src0_sel:WORD_0 src1_sel:DWORD
	s_nop 1
	v_cndmask_b32_e32 v4, v4, v3, vcc
; %bb.290:
	s_or_b64 exec, exec, s[2:3]
	global_store_short_d16_hi v[0:1], v4, off offset:32
.LBB367_291:
	s_endpgm
	.section	.rodata,"a",@progbits
	.p2align	6, 0x0
	.amdhsa_kernel _ZN4vllm25paged_attention_v2_kernelI14__hip_bfloat16hLi32ELi32ELi128ELNS_18Fp8KVCacheDataTypeE1ELb0ELi512EEEvPfS3_PT_PKS4_PKT0_SA_ifPKiSC_iPKfiiiSE_SE_iiiii
		.amdhsa_group_segment_fixed_size 80
		.amdhsa_private_segment_fixed_size 0
		.amdhsa_kernarg_size 400
		.amdhsa_user_sgpr_count 2
		.amdhsa_user_sgpr_dispatch_ptr 0
		.amdhsa_user_sgpr_queue_ptr 0
		.amdhsa_user_sgpr_kernarg_segment_ptr 1
		.amdhsa_user_sgpr_dispatch_id 0
		.amdhsa_user_sgpr_kernarg_preload_length 0
		.amdhsa_user_sgpr_kernarg_preload_offset 0
		.amdhsa_user_sgpr_private_segment_size 0
		.amdhsa_uses_dynamic_stack 0
		.amdhsa_enable_private_segment 0
		.amdhsa_system_sgpr_workgroup_id_x 1
		.amdhsa_system_sgpr_workgroup_id_y 1
		.amdhsa_system_sgpr_workgroup_id_z 1
		.amdhsa_system_sgpr_workgroup_info 0
		.amdhsa_system_vgpr_workitem_id 0
		.amdhsa_next_free_vgpr 51
		.amdhsa_next_free_sgpr 47
		.amdhsa_accum_offset 52
		.amdhsa_reserve_vcc 1
		.amdhsa_float_round_mode_32 0
		.amdhsa_float_round_mode_16_64 0
		.amdhsa_float_denorm_mode_32 3
		.amdhsa_float_denorm_mode_16_64 3
		.amdhsa_dx10_clamp 1
		.amdhsa_ieee_mode 1
		.amdhsa_fp16_overflow 0
		.amdhsa_tg_split 0
		.amdhsa_exception_fp_ieee_invalid_op 0
		.amdhsa_exception_fp_denorm_src 0
		.amdhsa_exception_fp_ieee_div_zero 0
		.amdhsa_exception_fp_ieee_overflow 0
		.amdhsa_exception_fp_ieee_underflow 0
		.amdhsa_exception_fp_ieee_inexact 0
		.amdhsa_exception_int_div_zero 0
	.end_amdhsa_kernel
	.section	.text._ZN4vllm25paged_attention_v2_kernelI14__hip_bfloat16hLi32ELi32ELi128ELNS_18Fp8KVCacheDataTypeE1ELb0ELi512EEEvPfS3_PT_PKS4_PKT0_SA_ifPKiSC_iPKfiiiSE_SE_iiiii,"axG",@progbits,_ZN4vllm25paged_attention_v2_kernelI14__hip_bfloat16hLi32ELi32ELi128ELNS_18Fp8KVCacheDataTypeE1ELb0ELi512EEEvPfS3_PT_PKS4_PKT0_SA_ifPKiSC_iPKfiiiSE_SE_iiiii,comdat
.Lfunc_end367:
	.size	_ZN4vllm25paged_attention_v2_kernelI14__hip_bfloat16hLi32ELi32ELi128ELNS_18Fp8KVCacheDataTypeE1ELb0ELi512EEEvPfS3_PT_PKS4_PKT0_SA_ifPKiSC_iPKfiiiSE_SE_iiiii, .Lfunc_end367-_ZN4vllm25paged_attention_v2_kernelI14__hip_bfloat16hLi32ELi32ELi128ELNS_18Fp8KVCacheDataTypeE1ELb0ELi512EEEvPfS3_PT_PKS4_PKT0_SA_ifPKiSC_iPKfiiiSE_SE_iiiii
                                        ; -- End function
	.section	.AMDGPU.csdata,"",@progbits
; Kernel info:
; codeLenInByte = 9332
; NumSgprs: 53
; NumVgprs: 51
; NumAgprs: 0
; TotalNumVgprs: 51
; ScratchSize: 0
; MemoryBound: 0
; FloatMode: 240
; IeeeMode: 1
; LDSByteSize: 80 bytes/workgroup (compile time only)
; SGPRBlocks: 6
; VGPRBlocks: 6
; NumSGPRsForWavesPerEU: 53
; NumVGPRsForWavesPerEU: 51
; AccumOffset: 52
; Occupancy: 8
; WaveLimiterHint : 1
; COMPUTE_PGM_RSRC2:SCRATCH_EN: 0
; COMPUTE_PGM_RSRC2:USER_SGPR: 2
; COMPUTE_PGM_RSRC2:TRAP_HANDLER: 0
; COMPUTE_PGM_RSRC2:TGID_X_EN: 1
; COMPUTE_PGM_RSRC2:TGID_Y_EN: 1
; COMPUTE_PGM_RSRC2:TGID_Z_EN: 1
; COMPUTE_PGM_RSRC2:TIDIG_COMP_CNT: 0
; COMPUTE_PGM_RSRC3_GFX90A:ACCUM_OFFSET: 12
; COMPUTE_PGM_RSRC3_GFX90A:TG_SPLIT: 0
	.section	.text._ZN4vllm25paged_attention_v2_kernelI14__hip_bfloat16hLi64ELi32ELi128ELNS_18Fp8KVCacheDataTypeE1ELb0ELi512EEEvPfS3_PT_PKS4_PKT0_SA_ifPKiSC_iPKfiiiSE_SE_iiiii,"axG",@progbits,_ZN4vllm25paged_attention_v2_kernelI14__hip_bfloat16hLi64ELi32ELi128ELNS_18Fp8KVCacheDataTypeE1ELb0ELi512EEEvPfS3_PT_PKS4_PKT0_SA_ifPKiSC_iPKfiiiSE_SE_iiiii,comdat
	.protected	_ZN4vllm25paged_attention_v2_kernelI14__hip_bfloat16hLi64ELi32ELi128ELNS_18Fp8KVCacheDataTypeE1ELb0ELi512EEEvPfS3_PT_PKS4_PKT0_SA_ifPKiSC_iPKfiiiSE_SE_iiiii ; -- Begin function _ZN4vllm25paged_attention_v2_kernelI14__hip_bfloat16hLi64ELi32ELi128ELNS_18Fp8KVCacheDataTypeE1ELb0ELi512EEEvPfS3_PT_PKS4_PKT0_SA_ifPKiSC_iPKfiiiSE_SE_iiiii
	.globl	_ZN4vllm25paged_attention_v2_kernelI14__hip_bfloat16hLi64ELi32ELi128ELNS_18Fp8KVCacheDataTypeE1ELb0ELi512EEEvPfS3_PT_PKS4_PKT0_SA_ifPKiSC_iPKfiiiSE_SE_iiiii
	.p2align	8
	.type	_ZN4vllm25paged_attention_v2_kernelI14__hip_bfloat16hLi64ELi32ELi128ELNS_18Fp8KVCacheDataTypeE1ELb0ELi512EEEvPfS3_PT_PKS4_PKT0_SA_ifPKiSC_iPKfiiiSE_SE_iiiii,@function
_ZN4vllm25paged_attention_v2_kernelI14__hip_bfloat16hLi64ELi32ELi128ELNS_18Fp8KVCacheDataTypeE1ELb0ELi512EEEvPfS3_PT_PKS4_PKT0_SA_ifPKiSC_iPKfiiiSE_SE_iiiii: ; @_ZN4vllm25paged_attention_v2_kernelI14__hip_bfloat16hLi64ELi32ELi128ELNS_18Fp8KVCacheDataTypeE1ELb0ELi512EEEvPfS3_PT_PKS4_PKT0_SA_ifPKiSC_iPKfiiiSE_SE_iiiii
; %bb.0:
	s_load_dwordx2 s[6:7], s[0:1], 0x40
	s_mov_b32 s24, s3
	s_ashr_i32 s25, s3, 31
	s_lshl_b64 s[8:9], s[24:25], 2
	s_waitcnt lgkmcnt(0)
	s_add_u32 s6, s6, s8
	s_addc_u32 s7, s7, s9
	s_load_dword s33, s[6:7], 0x0
	s_lshl_b32 s40, s4, 9
	s_waitcnt lgkmcnt(0)
	s_cmp_ge_i32 s40, s33
	s_cbranch_scc1 .LBB368_496
; %bb.1:
	s_load_dword s25, s[0:1], 0x90
	s_load_dwordx2 s[10:11], s[0:1], 0x30
	s_waitcnt lgkmcnt(0)
	s_abs_i32 s6, s25
	s_abs_i32 s3, s10
	v_cvt_f32_u32_e32 v1, s3
	s_sub_i32 s7, 0, s3
	s_xor_b32 s5, s25, s10
	s_ashr_i32 s5, s5, 31
	v_rcp_iflag_f32_e32 v1, v1
	s_nop 0
	v_mul_f32_e32 v1, 0x4f7ffffe, v1
	v_cvt_u32_f32_e32 v1, v1
	s_nop 0
	v_readfirstlane_b32 s8, v1
	s_mul_i32 s7, s7, s8
	s_mul_hi_u32 s7, s8, s7
	s_add_i32 s8, s8, s7
	s_mul_hi_u32 s7, s6, s8
	s_mul_i32 s8, s7, s3
	s_sub_i32 s6, s6, s8
	s_add_i32 s9, s7, 1
	s_sub_i32 s8, s6, s3
	s_cmp_ge_u32 s6, s3
	s_cselect_b32 s7, s9, s7
	s_cselect_b32 s6, s8, s6
	s_add_i32 s8, s7, 1
	s_cmp_ge_u32 s6, s3
	s_cselect_b32 s3, s8, s7
	s_xor_b32 s3, s3, s5
	s_sub_i32 s12, s3, s5
	s_abs_i32 s8, s12
	v_cvt_f32_u32_e32 v1, s8
	s_load_dwordx2 s[6:7], s[0:1], 0x50
	s_sub_i32 s3, 0, s8
	s_abs_i32 s9, s2
	v_rcp_iflag_f32_e32 v1, v1
	s_mov_b32 s5, 0
	v_mul_f32_e32 v1, 0x4f7ffffe, v1
	v_cvt_u32_f32_e32 v1, v1
	s_nop 0
	v_readfirstlane_b32 s10, v1
	s_mul_i32 s3, s3, s10
	s_mul_hi_u32 s3, s10, s3
	s_add_i32 s10, s10, s3
	s_waitcnt lgkmcnt(0)
	s_cmp_eq_u64 s[6:7], 0
	s_mul_hi_u32 s10, s9, s10
	s_cbranch_scc1 .LBB368_3
; %bb.2:
	s_ashr_i32 s3, s2, 31
	s_lshl_b64 s[14:15], s[2:3], 2
	s_add_u32 s6, s6, s14
	s_addc_u32 s7, s7, s15
	s_load_dword s5, s[6:7], 0x0
.LBB368_3:
	s_ashr_i32 s17, s12, 31
	s_load_dwordx4 s[12:15], s[0:1], 0x58
	s_ashr_i32 s16, s2, 31
	v_and_b32_e32 v6, 1, v0
	s_lshl_b32 s26, s2, 6
	v_cmp_gt_u32_e32 vcc, 16, v0
	v_lshlrev_b32_e32 v16, 3, v0
	s_and_saveexec_b64 s[6:7], vcc
	s_cbranch_execz .LBB368_5
; %bb.4:
	s_load_dwordx2 s[18:19], s[0:1], 0x18
	s_waitcnt lgkmcnt(0)
	s_mul_i32 s20, s24, s12
	s_ashr_i32 s21, s20, 31
	s_lshl_b64 s[20:21], s[20:21], 1
	v_lshlrev_b32_e32 v1, 2, v0
	s_add_u32 s3, s18, s20
	s_addc_u32 s12, s19, s21
	s_ashr_i32 s27, s26, 31
	s_lshl_b64 s[18:19], s[26:27], 1
	s_add_u32 s18, s3, s18
	s_addc_u32 s19, s12, s19
	global_load_dwordx2 v[2:3], v16, s[18:19]
	v_and_b32_e32 v1, 0xff8, v1
	v_lshl_add_u32 v1, v6, 6, v1
	s_waitcnt vmcnt(0)
	ds_write_b64 v1, v[2:3]
.LBB368_5:
	s_or_b64 exec, exec, s[6:7]
	s_add_i32 s3, s33, 31
	s_ashr_i32 s6, s3, 31
	s_lshr_b32 s6, s6, 27
	s_add_i32 s3, s3, s6
	s_ashr_i32 s41, s3, 5
	s_lshl_b32 s3, s4, 4
	s_mul_i32 s7, s10, s8
	s_add_i32 s6, s3, 16
	s_sub_i32 s7, s9, s7
	s_min_i32 s27, s6, s41
	s_xor_b32 s6, s16, s17
	s_add_i32 s9, s10, 1
	s_waitcnt lgkmcnt(0)
	s_sub_i32 s12, s7, s8
	s_cmp_ge_u32 s7, s8
	s_cselect_b32 s9, s9, s10
	s_cselect_b32 s7, s12, s7
	s_add_i32 s10, s9, 1
	s_cmp_ge_u32 s7, s8
	s_load_dwordx2 s[30:31], s[0:1], 0x38
	s_load_dword s8, s[0:1], 0x48
	v_lshrrev_b32_e32 v20, 6, v0
	s_cselect_b32 s7, s10, s9
	s_xor_b32 s7, s7, s6
	v_or_b32_e32 v10, s3, v20
	s_waitcnt lgkmcnt(0)
	s_mul_i32 s34, s24, s8
	s_sub_i32 s42, s7, s6
	s_ashr_i32 s35, s34, 31
	v_cmp_gt_i32_e64 s[8:9], s27, v10
	v_cmp_le_i32_e32 vcc, s27, v10
	v_mbcnt_lo_u32_b32 v7, -1, 0
	s_barrier
	s_waitcnt lgkmcnt(0)
                                        ; implicit-def: $sgpr10
                                        ; implicit-def: $vgpr12
                                        ; implicit-def: $vgpr13
	s_and_saveexec_b64 s[6:7], vcc
	s_xor_b64 s[6:7], exec, s[6:7]
; %bb.6:
	v_mbcnt_hi_u32_b32 v12, -1, v7
	v_and_b32_e32 v1, 64, v12
	v_add_u32_e32 v13, 64, v1
	s_mov_b32 s10, 0xff7fffff
                                        ; implicit-def: $vgpr6
                                        ; implicit-def: $vgpr7
; %bb.7:
	s_or_saveexec_b64 s[38:39], s[6:7]
	s_load_dwordx4 s[20:23], s[0:1], 0x0
	s_load_dwordx2 s[28:29], s[0:1], 0x10
	s_load_dword s12, s[0:1], 0x98
	s_load_dwordx2 s[36:37], s[0:1], 0x28
	s_load_dwordx4 s[16:19], s[0:1], 0x68
	v_mov_b32_e32 v43, s10
	s_mul_i32 s42, s42, s14
	v_ashrrev_i32_e32 v11, 31, v10
	s_xor_b64 exec, exec, s[38:39]
	s_cbranch_execz .LBB368_141
; %bb.8:
	s_load_dwordx2 s[0:1], s[0:1], 0x20
	v_mbcnt_hi_u32_b32 v12, -1, v7
	s_ashr_i32 s6, s42, 31
	v_lshlrev_b32_e32 v1, 6, v6
	v_and_b32_e32 v9, 64, v12
	v_bfe_u32 v8, v0, 1, 5
	s_waitcnt lgkmcnt(0)
	s_add_u32 s0, s0, s42
	ds_read_b128 v[22:25], v1
	ds_read_b128 v[28:31], v1 offset:16
	ds_read_b128 v[36:39], v1 offset:32
	;; [unrolled: 1-line block ×3, first 2 shown]
	v_xor_b32_e32 v7, 1, v12
	v_add_u32_e32 v13, 64, v9
	v_lshlrev_b32_e32 v2, 4, v8
	s_addc_u32 s1, s1, s6
	v_mov_b32_e32 v3, 0
	v_cmp_lt_i32_e32 vcc, v7, v13
	s_load_dword s43, s[16:17], 0x0
	v_lshl_add_u64 v[4:5], s[0:1], 0, v[2:3]
	v_lshlrev_b32_e32 v2, 2, v6
	v_cndmask_b32_e32 v7, v12, v7, vcc
	v_cmp_eq_u32_e32 vcc, 0, v6
	s_sub_i32 s44, 1, s33
	v_lshlrev_b32_e32 v6, 5, v20
	s_lshl_b64 s[0:1], s[34:35], 2
	v_add3_u32 v49, s40, v6, v8
	v_lshlrev_b32_e32 v6, 2, v8
	s_add_u32 s0, s30, s0
	v_lshl_or_b32 v6, v20, 7, v6
	s_addc_u32 s1, s31, s1
	s_mov_b32 s10, s13
	s_waitcnt lgkmcnt(0)
	v_lshlrev_b32_e32 v1, 16, v22
	v_and_b32_e32 v14, 0xffff0000, v22
	v_lshlrev_b32_e32 v15, 16, v23
	v_and_b32_e32 v17, 0xffff0000, v23
	;; [unrolled: 2-line block ×16, first 2 shown]
	v_lshlrev_b32_e32 v48, 2, v7
	v_cmp_neq_f32_e64 s[6:7], s5, 0
	v_add_u32_e32 v50, 0x90, v6
	v_lshl_add_u64 v[6:7], v[10:11], 2, s[0:1]
	s_mov_b64 s[14:15], 0
	v_mov_b32_e32 v43, 0xff7fffff
	s_mov_b32 s45, 0x7f800000
	s_movk_i32 s46, 0x7fff
	v_mov_b32_e32 v51, v10
	s_branch .LBB368_10
.LBB368_9:                              ;   in Loop: Header=BB368_10 Depth=1
	s_or_b64 exec, exec, s[16:17]
	v_add_u32_e32 v51, 2, v51
	v_cmp_le_i32_e64 s[0:1], s27, v51
	v_add_u32_e32 v49, 64, v49
	v_add_u32_e32 v50, 0x100, v50
	s_or_b64 s[14:15], s[0:1], s[14:15]
	v_lshl_add_u64 v[6:7], v[6:7], 0, 8
	s_andn2_b64 exec, exec, s[14:15]
	s_cbranch_execz .LBB368_140
.LBB368_10:                             ; =>This Inner Loop Header: Depth=1
	global_load_dword v8, v[6:7], off
	s_waitcnt vmcnt(0) lgkmcnt(0)
	v_mad_i64_i32 v[8:9], s[0:1], v8, s10, v[4:5]
	v_lshl_add_u64 v[8:9], v[8:9], 0, v[2:3]
	global_load_dword v55, v[8:9], off
	s_waitcnt vmcnt(0)
	v_and_b32_e32 v52, 0xff, v55
	v_cvt_f32_fp8_sdwa v52, v52 src0_sel:BYTE_0
	s_nop 0
	v_mul_f32_e32 v53, s43, v52
	v_and_b32_e32 v52, 0x7f800000, v53
	v_cmp_ne_u32_e64 s[0:1], s45, v52
                                        ; implicit-def: $vgpr52
	s_and_saveexec_b64 s[16:17], s[0:1]
	s_xor_b64 s[0:1], exec, s[16:17]
; %bb.11:                               ;   in Loop: Header=BB368_10 Depth=1
	v_bfe_u32 v52, v53, 16, 1
	v_add3_u32 v52, v53, v52, s46
                                        ; implicit-def: $vgpr53
; %bb.12:                               ;   in Loop: Header=BB368_10 Depth=1
	s_andn2_saveexec_b64 s[16:17], s[0:1]
; %bb.13:                               ;   in Loop: Header=BB368_10 Depth=1
	v_or_b32_e32 v52, 0x10000, v53
	v_cmp_eq_u32_sdwa s[0:1], v53, v3 src0_sel:WORD_0 src1_sel:DWORD
	s_nop 1
	v_cndmask_b32_e64 v52, v52, v53, s[0:1]
; %bb.14:                               ;   in Loop: Header=BB368_10 Depth=1
	s_or_b64 exec, exec, s[16:17]
	v_bfe_u32 v53, v55, 8, 8
	v_cvt_f32_fp8_sdwa v53, v53 src0_sel:BYTE_0
	s_nop 0
	v_mul_f32_e32 v54, s43, v53
	v_and_b32_e32 v53, 0x7f800000, v54
	v_cmp_ne_u32_e64 s[0:1], s45, v53
                                        ; implicit-def: $vgpr53
	s_and_saveexec_b64 s[16:17], s[0:1]
	s_xor_b64 s[0:1], exec, s[16:17]
; %bb.15:                               ;   in Loop: Header=BB368_10 Depth=1
	v_bfe_u32 v53, v54, 16, 1
	v_add3_u32 v53, v54, v53, s46
                                        ; implicit-def: $vgpr54
; %bb.16:                               ;   in Loop: Header=BB368_10 Depth=1
	s_andn2_saveexec_b64 s[16:17], s[0:1]
; %bb.17:                               ;   in Loop: Header=BB368_10 Depth=1
	v_or_b32_e32 v53, 0x10000, v54
	v_cmp_eq_u32_sdwa s[0:1], v54, v3 src0_sel:WORD_0 src1_sel:DWORD
	s_nop 1
	v_cndmask_b32_e64 v53, v53, v54, s[0:1]
; %bb.18:                               ;   in Loop: Header=BB368_10 Depth=1
	s_or_b64 exec, exec, s[16:17]
	v_bfe_u32 v54, v55, 16, 8
	v_cvt_f32_fp8_sdwa v54, v54 src0_sel:BYTE_0
	s_nop 0
	v_mul_f32_e32 v56, s43, v54
	v_and_b32_e32 v54, 0x7f800000, v56
	v_cmp_ne_u32_e64 s[0:1], s45, v54
                                        ; implicit-def: $vgpr54
	s_and_saveexec_b64 s[16:17], s[0:1]
	s_xor_b64 s[0:1], exec, s[16:17]
; %bb.19:                               ;   in Loop: Header=BB368_10 Depth=1
	v_bfe_u32 v54, v56, 16, 1
	v_add3_u32 v54, v56, v54, s46
                                        ; implicit-def: $vgpr56
; %bb.20:                               ;   in Loop: Header=BB368_10 Depth=1
	s_andn2_saveexec_b64 s[16:17], s[0:1]
; %bb.21:                               ;   in Loop: Header=BB368_10 Depth=1
	v_or_b32_e32 v54, 0x10000, v56
	v_cmp_eq_u32_sdwa s[0:1], v56, v3 src0_sel:WORD_0 src1_sel:DWORD
	s_nop 1
	v_cndmask_b32_e64 v54, v54, v56, s[0:1]
; %bb.22:                               ;   in Loop: Header=BB368_10 Depth=1
	s_or_b64 exec, exec, s[16:17]
	v_lshrrev_b32_e32 v55, 24, v55
	v_cvt_f32_fp8_sdwa v55, v55 src0_sel:BYTE_0
	s_nop 0
	v_mul_f32_e32 v56, s43, v55
	v_and_b32_e32 v55, 0x7f800000, v56
	v_cmp_ne_u32_e64 s[0:1], s45, v55
                                        ; implicit-def: $vgpr55
	s_and_saveexec_b64 s[16:17], s[0:1]
	s_xor_b64 s[0:1], exec, s[16:17]
; %bb.23:                               ;   in Loop: Header=BB368_10 Depth=1
	v_bfe_u32 v55, v56, 16, 1
	v_add3_u32 v55, v56, v55, s46
                                        ; implicit-def: $vgpr56
; %bb.24:                               ;   in Loop: Header=BB368_10 Depth=1
	s_andn2_saveexec_b64 s[16:17], s[0:1]
; %bb.25:                               ;   in Loop: Header=BB368_10 Depth=1
	v_or_b32_e32 v55, 0x10000, v56
	v_cmp_eq_u32_sdwa s[0:1], v56, v3 src0_sel:WORD_0 src1_sel:DWORD
	s_nop 1
	v_cndmask_b32_e64 v55, v55, v56, s[0:1]
; %bb.26:                               ;   in Loop: Header=BB368_10 Depth=1
	s_or_b64 exec, exec, s[16:17]
	global_load_dword v59, v[8:9], off offset:8
	s_waitcnt vmcnt(0)
	v_and_b32_e32 v56, 0xff, v59
	v_cvt_f32_fp8_sdwa v56, v56 src0_sel:BYTE_0
	s_nop 0
	v_mul_f32_e32 v57, s43, v56
	v_and_b32_e32 v56, 0x7f800000, v57
	v_cmp_ne_u32_e64 s[0:1], s45, v56
                                        ; implicit-def: $vgpr56
	s_and_saveexec_b64 s[16:17], s[0:1]
	s_xor_b64 s[0:1], exec, s[16:17]
; %bb.27:                               ;   in Loop: Header=BB368_10 Depth=1
	v_bfe_u32 v56, v57, 16, 1
	v_add3_u32 v56, v57, v56, s46
                                        ; implicit-def: $vgpr57
; %bb.28:                               ;   in Loop: Header=BB368_10 Depth=1
	s_andn2_saveexec_b64 s[16:17], s[0:1]
; %bb.29:                               ;   in Loop: Header=BB368_10 Depth=1
	v_or_b32_e32 v56, 0x10000, v57
	v_cmp_eq_u32_sdwa s[0:1], v57, v3 src0_sel:WORD_0 src1_sel:DWORD
	s_nop 1
	v_cndmask_b32_e64 v56, v56, v57, s[0:1]
; %bb.30:                               ;   in Loop: Header=BB368_10 Depth=1
	s_or_b64 exec, exec, s[16:17]
	v_bfe_u32 v57, v59, 8, 8
	v_cvt_f32_fp8_sdwa v57, v57 src0_sel:BYTE_0
	s_nop 0
	v_mul_f32_e32 v58, s43, v57
	v_and_b32_e32 v57, 0x7f800000, v58
	v_cmp_ne_u32_e64 s[0:1], s45, v57
                                        ; implicit-def: $vgpr57
	s_and_saveexec_b64 s[16:17], s[0:1]
	s_xor_b64 s[0:1], exec, s[16:17]
; %bb.31:                               ;   in Loop: Header=BB368_10 Depth=1
	v_bfe_u32 v57, v58, 16, 1
	v_add3_u32 v57, v58, v57, s46
                                        ; implicit-def: $vgpr58
; %bb.32:                               ;   in Loop: Header=BB368_10 Depth=1
	s_andn2_saveexec_b64 s[16:17], s[0:1]
; %bb.33:                               ;   in Loop: Header=BB368_10 Depth=1
	v_or_b32_e32 v57, 0x10000, v58
	v_cmp_eq_u32_sdwa s[0:1], v58, v3 src0_sel:WORD_0 src1_sel:DWORD
	s_nop 1
	v_cndmask_b32_e64 v57, v57, v58, s[0:1]
; %bb.34:                               ;   in Loop: Header=BB368_10 Depth=1
	s_or_b64 exec, exec, s[16:17]
	v_bfe_u32 v58, v59, 16, 8
	v_cvt_f32_fp8_sdwa v58, v58 src0_sel:BYTE_0
	s_nop 0
	v_mul_f32_e32 v60, s43, v58
	v_and_b32_e32 v58, 0x7f800000, v60
	v_cmp_ne_u32_e64 s[0:1], s45, v58
                                        ; implicit-def: $vgpr58
	s_and_saveexec_b64 s[16:17], s[0:1]
	s_xor_b64 s[0:1], exec, s[16:17]
; %bb.35:                               ;   in Loop: Header=BB368_10 Depth=1
	v_bfe_u32 v58, v60, 16, 1
	v_add3_u32 v58, v60, v58, s46
                                        ; implicit-def: $vgpr60
; %bb.36:                               ;   in Loop: Header=BB368_10 Depth=1
	s_andn2_saveexec_b64 s[16:17], s[0:1]
; %bb.37:                               ;   in Loop: Header=BB368_10 Depth=1
	v_or_b32_e32 v58, 0x10000, v60
	v_cmp_eq_u32_sdwa s[0:1], v60, v3 src0_sel:WORD_0 src1_sel:DWORD
	s_nop 1
	v_cndmask_b32_e64 v58, v58, v60, s[0:1]
; %bb.38:                               ;   in Loop: Header=BB368_10 Depth=1
	s_or_b64 exec, exec, s[16:17]
	v_lshrrev_b32_e32 v59, 24, v59
	v_cvt_f32_fp8_sdwa v59, v59 src0_sel:BYTE_0
	s_nop 0
	v_mul_f32_e32 v60, s43, v59
	v_and_b32_e32 v59, 0x7f800000, v60
	v_cmp_ne_u32_e64 s[0:1], s45, v59
                                        ; implicit-def: $vgpr59
	s_and_saveexec_b64 s[16:17], s[0:1]
	s_xor_b64 s[0:1], exec, s[16:17]
; %bb.39:                               ;   in Loop: Header=BB368_10 Depth=1
	v_bfe_u32 v59, v60, 16, 1
	v_add3_u32 v59, v60, v59, s46
                                        ; implicit-def: $vgpr60
; %bb.40:                               ;   in Loop: Header=BB368_10 Depth=1
	s_andn2_saveexec_b64 s[16:17], s[0:1]
; %bb.41:                               ;   in Loop: Header=BB368_10 Depth=1
	v_or_b32_e32 v59, 0x10000, v60
	v_cmp_eq_u32_sdwa s[0:1], v60, v3 src0_sel:WORD_0 src1_sel:DWORD
	s_nop 1
	v_cndmask_b32_e64 v59, v59, v60, s[0:1]
; %bb.42:                               ;   in Loop: Header=BB368_10 Depth=1
	s_or_b64 exec, exec, s[16:17]
	global_load_dword v63, v[8:9], off offset:512
	s_waitcnt vmcnt(0)
	v_and_b32_e32 v60, 0xff, v63
	v_cvt_f32_fp8_sdwa v60, v60 src0_sel:BYTE_0
	s_nop 0
	v_mul_f32_e32 v61, s43, v60
	v_and_b32_e32 v60, 0x7f800000, v61
	v_cmp_ne_u32_e64 s[0:1], s45, v60
                                        ; implicit-def: $vgpr60
	s_and_saveexec_b64 s[16:17], s[0:1]
	s_xor_b64 s[0:1], exec, s[16:17]
; %bb.43:                               ;   in Loop: Header=BB368_10 Depth=1
	v_bfe_u32 v60, v61, 16, 1
	v_add3_u32 v60, v61, v60, s46
                                        ; implicit-def: $vgpr61
; %bb.44:                               ;   in Loop: Header=BB368_10 Depth=1
	s_andn2_saveexec_b64 s[16:17], s[0:1]
; %bb.45:                               ;   in Loop: Header=BB368_10 Depth=1
	v_or_b32_e32 v60, 0x10000, v61
	v_cmp_eq_u32_sdwa s[0:1], v61, v3 src0_sel:WORD_0 src1_sel:DWORD
	s_nop 1
	v_cndmask_b32_e64 v60, v60, v61, s[0:1]
; %bb.46:                               ;   in Loop: Header=BB368_10 Depth=1
	s_or_b64 exec, exec, s[16:17]
	v_bfe_u32 v61, v63, 8, 8
	v_cvt_f32_fp8_sdwa v61, v61 src0_sel:BYTE_0
	s_nop 0
	v_mul_f32_e32 v62, s43, v61
	v_and_b32_e32 v61, 0x7f800000, v62
	v_cmp_ne_u32_e64 s[0:1], s45, v61
                                        ; implicit-def: $vgpr61
	s_and_saveexec_b64 s[16:17], s[0:1]
	s_xor_b64 s[0:1], exec, s[16:17]
; %bb.47:                               ;   in Loop: Header=BB368_10 Depth=1
	v_bfe_u32 v61, v62, 16, 1
	v_add3_u32 v61, v62, v61, s46
                                        ; implicit-def: $vgpr62
; %bb.48:                               ;   in Loop: Header=BB368_10 Depth=1
	s_andn2_saveexec_b64 s[16:17], s[0:1]
; %bb.49:                               ;   in Loop: Header=BB368_10 Depth=1
	v_or_b32_e32 v61, 0x10000, v62
	v_cmp_eq_u32_sdwa s[0:1], v62, v3 src0_sel:WORD_0 src1_sel:DWORD
	s_nop 1
	v_cndmask_b32_e64 v61, v61, v62, s[0:1]
; %bb.50:                               ;   in Loop: Header=BB368_10 Depth=1
	s_or_b64 exec, exec, s[16:17]
	v_bfe_u32 v62, v63, 16, 8
	v_cvt_f32_fp8_sdwa v62, v62 src0_sel:BYTE_0
	s_nop 0
	v_mul_f32_e32 v64, s43, v62
	v_and_b32_e32 v62, 0x7f800000, v64
	v_cmp_ne_u32_e64 s[0:1], s45, v62
                                        ; implicit-def: $vgpr62
	s_and_saveexec_b64 s[16:17], s[0:1]
	s_xor_b64 s[0:1], exec, s[16:17]
; %bb.51:                               ;   in Loop: Header=BB368_10 Depth=1
	v_bfe_u32 v62, v64, 16, 1
	v_add3_u32 v62, v64, v62, s46
                                        ; implicit-def: $vgpr64
; %bb.52:                               ;   in Loop: Header=BB368_10 Depth=1
	s_andn2_saveexec_b64 s[16:17], s[0:1]
; %bb.53:                               ;   in Loop: Header=BB368_10 Depth=1
	v_or_b32_e32 v62, 0x10000, v64
	v_cmp_eq_u32_sdwa s[0:1], v64, v3 src0_sel:WORD_0 src1_sel:DWORD
	s_nop 1
	v_cndmask_b32_e64 v62, v62, v64, s[0:1]
; %bb.54:                               ;   in Loop: Header=BB368_10 Depth=1
	s_or_b64 exec, exec, s[16:17]
	v_lshrrev_b32_e32 v63, 24, v63
	v_cvt_f32_fp8_sdwa v63, v63 src0_sel:BYTE_0
	s_nop 0
	v_mul_f32_e32 v64, s43, v63
	v_and_b32_e32 v63, 0x7f800000, v64
	v_cmp_ne_u32_e64 s[0:1], s45, v63
                                        ; implicit-def: $vgpr63
	s_and_saveexec_b64 s[16:17], s[0:1]
	s_xor_b64 s[0:1], exec, s[16:17]
; %bb.55:                               ;   in Loop: Header=BB368_10 Depth=1
	v_bfe_u32 v63, v64, 16, 1
	v_add3_u32 v63, v64, v63, s46
                                        ; implicit-def: $vgpr64
; %bb.56:                               ;   in Loop: Header=BB368_10 Depth=1
	s_andn2_saveexec_b64 s[16:17], s[0:1]
; %bb.57:                               ;   in Loop: Header=BB368_10 Depth=1
	v_or_b32_e32 v63, 0x10000, v64
	v_cmp_eq_u32_sdwa s[0:1], v64, v3 src0_sel:WORD_0 src1_sel:DWORD
	s_nop 1
	v_cndmask_b32_e64 v63, v63, v64, s[0:1]
; %bb.58:                               ;   in Loop: Header=BB368_10 Depth=1
	s_or_b64 exec, exec, s[16:17]
	global_load_dword v67, v[8:9], off offset:520
	s_waitcnt vmcnt(0)
	v_and_b32_e32 v64, 0xff, v67
	v_cvt_f32_fp8_sdwa v64, v64 src0_sel:BYTE_0
	s_nop 0
	v_mul_f32_e32 v65, s43, v64
	v_and_b32_e32 v64, 0x7f800000, v65
	v_cmp_ne_u32_e64 s[0:1], s45, v64
                                        ; implicit-def: $vgpr64
	s_and_saveexec_b64 s[16:17], s[0:1]
	s_xor_b64 s[0:1], exec, s[16:17]
; %bb.59:                               ;   in Loop: Header=BB368_10 Depth=1
	v_bfe_u32 v64, v65, 16, 1
	v_add3_u32 v64, v65, v64, s46
                                        ; implicit-def: $vgpr65
; %bb.60:                               ;   in Loop: Header=BB368_10 Depth=1
	s_andn2_saveexec_b64 s[16:17], s[0:1]
; %bb.61:                               ;   in Loop: Header=BB368_10 Depth=1
	v_or_b32_e32 v64, 0x10000, v65
	v_cmp_eq_u32_sdwa s[0:1], v65, v3 src0_sel:WORD_0 src1_sel:DWORD
	s_nop 1
	v_cndmask_b32_e64 v64, v64, v65, s[0:1]
; %bb.62:                               ;   in Loop: Header=BB368_10 Depth=1
	s_or_b64 exec, exec, s[16:17]
	v_bfe_u32 v65, v67, 8, 8
	v_cvt_f32_fp8_sdwa v65, v65 src0_sel:BYTE_0
	s_nop 0
	v_mul_f32_e32 v66, s43, v65
	v_and_b32_e32 v65, 0x7f800000, v66
	v_cmp_ne_u32_e64 s[0:1], s45, v65
                                        ; implicit-def: $vgpr65
	s_and_saveexec_b64 s[16:17], s[0:1]
	s_xor_b64 s[0:1], exec, s[16:17]
; %bb.63:                               ;   in Loop: Header=BB368_10 Depth=1
	v_bfe_u32 v65, v66, 16, 1
	v_add3_u32 v65, v66, v65, s46
                                        ; implicit-def: $vgpr66
; %bb.64:                               ;   in Loop: Header=BB368_10 Depth=1
	s_andn2_saveexec_b64 s[16:17], s[0:1]
; %bb.65:                               ;   in Loop: Header=BB368_10 Depth=1
	v_or_b32_e32 v65, 0x10000, v66
	v_cmp_eq_u32_sdwa s[0:1], v66, v3 src0_sel:WORD_0 src1_sel:DWORD
	s_nop 1
	v_cndmask_b32_e64 v65, v65, v66, s[0:1]
; %bb.66:                               ;   in Loop: Header=BB368_10 Depth=1
	s_or_b64 exec, exec, s[16:17]
	v_bfe_u32 v66, v67, 16, 8
	v_cvt_f32_fp8_sdwa v66, v66 src0_sel:BYTE_0
	s_nop 0
	v_mul_f32_e32 v68, s43, v66
	v_and_b32_e32 v66, 0x7f800000, v68
	v_cmp_ne_u32_e64 s[0:1], s45, v66
                                        ; implicit-def: $vgpr66
	s_and_saveexec_b64 s[16:17], s[0:1]
	s_xor_b64 s[0:1], exec, s[16:17]
; %bb.67:                               ;   in Loop: Header=BB368_10 Depth=1
	v_bfe_u32 v66, v68, 16, 1
	v_add3_u32 v66, v68, v66, s46
                                        ; implicit-def: $vgpr68
; %bb.68:                               ;   in Loop: Header=BB368_10 Depth=1
	s_andn2_saveexec_b64 s[16:17], s[0:1]
; %bb.69:                               ;   in Loop: Header=BB368_10 Depth=1
	v_or_b32_e32 v66, 0x10000, v68
	v_cmp_eq_u32_sdwa s[0:1], v68, v3 src0_sel:WORD_0 src1_sel:DWORD
	s_nop 1
	v_cndmask_b32_e64 v66, v66, v68, s[0:1]
; %bb.70:                               ;   in Loop: Header=BB368_10 Depth=1
	s_or_b64 exec, exec, s[16:17]
	v_lshrrev_b32_e32 v67, 24, v67
	v_cvt_f32_fp8_sdwa v67, v67 src0_sel:BYTE_0
	s_nop 0
	v_mul_f32_e32 v68, s43, v67
	v_and_b32_e32 v67, 0x7f800000, v68
	v_cmp_ne_u32_e64 s[0:1], s45, v67
                                        ; implicit-def: $vgpr67
	s_and_saveexec_b64 s[16:17], s[0:1]
	s_xor_b64 s[0:1], exec, s[16:17]
; %bb.71:                               ;   in Loop: Header=BB368_10 Depth=1
	v_bfe_u32 v67, v68, 16, 1
	v_add3_u32 v67, v68, v67, s46
                                        ; implicit-def: $vgpr68
; %bb.72:                               ;   in Loop: Header=BB368_10 Depth=1
	s_andn2_saveexec_b64 s[16:17], s[0:1]
; %bb.73:                               ;   in Loop: Header=BB368_10 Depth=1
	v_or_b32_e32 v67, 0x10000, v68
	v_cmp_eq_u32_sdwa s[0:1], v68, v3 src0_sel:WORD_0 src1_sel:DWORD
	s_nop 1
	v_cndmask_b32_e64 v67, v67, v68, s[0:1]
; %bb.74:                               ;   in Loop: Header=BB368_10 Depth=1
	s_or_b64 exec, exec, s[16:17]
	global_load_dword v71, v[8:9], off offset:1024
	s_waitcnt vmcnt(0)
	v_and_b32_e32 v68, 0xff, v71
	v_cvt_f32_fp8_sdwa v68, v68 src0_sel:BYTE_0
	s_nop 0
	v_mul_f32_e32 v69, s43, v68
	v_and_b32_e32 v68, 0x7f800000, v69
	v_cmp_ne_u32_e64 s[0:1], s45, v68
                                        ; implicit-def: $vgpr68
	s_and_saveexec_b64 s[16:17], s[0:1]
	s_xor_b64 s[0:1], exec, s[16:17]
; %bb.75:                               ;   in Loop: Header=BB368_10 Depth=1
	v_bfe_u32 v68, v69, 16, 1
	v_add3_u32 v68, v69, v68, s46
                                        ; implicit-def: $vgpr69
; %bb.76:                               ;   in Loop: Header=BB368_10 Depth=1
	s_andn2_saveexec_b64 s[16:17], s[0:1]
; %bb.77:                               ;   in Loop: Header=BB368_10 Depth=1
	v_or_b32_e32 v68, 0x10000, v69
	v_cmp_eq_u32_sdwa s[0:1], v69, v3 src0_sel:WORD_0 src1_sel:DWORD
	s_nop 1
	v_cndmask_b32_e64 v68, v68, v69, s[0:1]
; %bb.78:                               ;   in Loop: Header=BB368_10 Depth=1
	s_or_b64 exec, exec, s[16:17]
	v_bfe_u32 v69, v71, 8, 8
	v_cvt_f32_fp8_sdwa v69, v69 src0_sel:BYTE_0
	s_nop 0
	v_mul_f32_e32 v70, s43, v69
	v_and_b32_e32 v69, 0x7f800000, v70
	v_cmp_ne_u32_e64 s[0:1], s45, v69
                                        ; implicit-def: $vgpr69
	s_and_saveexec_b64 s[16:17], s[0:1]
	s_xor_b64 s[0:1], exec, s[16:17]
; %bb.79:                               ;   in Loop: Header=BB368_10 Depth=1
	v_bfe_u32 v69, v70, 16, 1
	v_add3_u32 v69, v70, v69, s46
                                        ; implicit-def: $vgpr70
; %bb.80:                               ;   in Loop: Header=BB368_10 Depth=1
	s_andn2_saveexec_b64 s[16:17], s[0:1]
; %bb.81:                               ;   in Loop: Header=BB368_10 Depth=1
	v_or_b32_e32 v69, 0x10000, v70
	v_cmp_eq_u32_sdwa s[0:1], v70, v3 src0_sel:WORD_0 src1_sel:DWORD
	s_nop 1
	v_cndmask_b32_e64 v69, v69, v70, s[0:1]
; %bb.82:                               ;   in Loop: Header=BB368_10 Depth=1
	s_or_b64 exec, exec, s[16:17]
	v_bfe_u32 v70, v71, 16, 8
	v_cvt_f32_fp8_sdwa v70, v70 src0_sel:BYTE_0
	s_nop 0
	v_mul_f32_e32 v72, s43, v70
	v_and_b32_e32 v70, 0x7f800000, v72
	v_cmp_ne_u32_e64 s[0:1], s45, v70
                                        ; implicit-def: $vgpr70
	s_and_saveexec_b64 s[16:17], s[0:1]
	s_xor_b64 s[0:1], exec, s[16:17]
; %bb.83:                               ;   in Loop: Header=BB368_10 Depth=1
	v_bfe_u32 v70, v72, 16, 1
	v_add3_u32 v70, v72, v70, s46
                                        ; implicit-def: $vgpr72
; %bb.84:                               ;   in Loop: Header=BB368_10 Depth=1
	s_andn2_saveexec_b64 s[16:17], s[0:1]
; %bb.85:                               ;   in Loop: Header=BB368_10 Depth=1
	v_or_b32_e32 v70, 0x10000, v72
	v_cmp_eq_u32_sdwa s[0:1], v72, v3 src0_sel:WORD_0 src1_sel:DWORD
	s_nop 1
	v_cndmask_b32_e64 v70, v70, v72, s[0:1]
; %bb.86:                               ;   in Loop: Header=BB368_10 Depth=1
	s_or_b64 exec, exec, s[16:17]
	v_lshrrev_b32_e32 v71, 24, v71
	v_cvt_f32_fp8_sdwa v71, v71 src0_sel:BYTE_0
	s_nop 0
	v_mul_f32_e32 v72, s43, v71
	v_and_b32_e32 v71, 0x7f800000, v72
	v_cmp_ne_u32_e64 s[0:1], s45, v71
                                        ; implicit-def: $vgpr71
	s_and_saveexec_b64 s[16:17], s[0:1]
	s_xor_b64 s[0:1], exec, s[16:17]
; %bb.87:                               ;   in Loop: Header=BB368_10 Depth=1
	v_bfe_u32 v71, v72, 16, 1
	v_add3_u32 v71, v72, v71, s46
                                        ; implicit-def: $vgpr72
; %bb.88:                               ;   in Loop: Header=BB368_10 Depth=1
	s_andn2_saveexec_b64 s[16:17], s[0:1]
; %bb.89:                               ;   in Loop: Header=BB368_10 Depth=1
	v_or_b32_e32 v71, 0x10000, v72
	v_cmp_eq_u32_sdwa s[0:1], v72, v3 src0_sel:WORD_0 src1_sel:DWORD
	s_nop 1
	v_cndmask_b32_e64 v71, v71, v72, s[0:1]
; %bb.90:                               ;   in Loop: Header=BB368_10 Depth=1
	s_or_b64 exec, exec, s[16:17]
	global_load_dword v75, v[8:9], off offset:1032
	s_waitcnt vmcnt(0)
	v_and_b32_e32 v72, 0xff, v75
	v_cvt_f32_fp8_sdwa v72, v72 src0_sel:BYTE_0
	s_nop 0
	v_mul_f32_e32 v73, s43, v72
	v_and_b32_e32 v72, 0x7f800000, v73
	v_cmp_ne_u32_e64 s[0:1], s45, v72
                                        ; implicit-def: $vgpr72
	s_and_saveexec_b64 s[16:17], s[0:1]
	s_xor_b64 s[0:1], exec, s[16:17]
; %bb.91:                               ;   in Loop: Header=BB368_10 Depth=1
	v_bfe_u32 v72, v73, 16, 1
	v_add3_u32 v72, v73, v72, s46
                                        ; implicit-def: $vgpr73
; %bb.92:                               ;   in Loop: Header=BB368_10 Depth=1
	s_andn2_saveexec_b64 s[16:17], s[0:1]
; %bb.93:                               ;   in Loop: Header=BB368_10 Depth=1
	v_or_b32_e32 v72, 0x10000, v73
	v_cmp_eq_u32_sdwa s[0:1], v73, v3 src0_sel:WORD_0 src1_sel:DWORD
	s_nop 1
	v_cndmask_b32_e64 v72, v72, v73, s[0:1]
; %bb.94:                               ;   in Loop: Header=BB368_10 Depth=1
	s_or_b64 exec, exec, s[16:17]
	v_bfe_u32 v73, v75, 8, 8
	v_cvt_f32_fp8_sdwa v73, v73 src0_sel:BYTE_0
	s_nop 0
	v_mul_f32_e32 v74, s43, v73
	v_and_b32_e32 v73, 0x7f800000, v74
	v_cmp_ne_u32_e64 s[0:1], s45, v73
                                        ; implicit-def: $vgpr73
	s_and_saveexec_b64 s[16:17], s[0:1]
	s_xor_b64 s[0:1], exec, s[16:17]
; %bb.95:                               ;   in Loop: Header=BB368_10 Depth=1
	v_bfe_u32 v73, v74, 16, 1
	v_add3_u32 v73, v74, v73, s46
                                        ; implicit-def: $vgpr74
; %bb.96:                               ;   in Loop: Header=BB368_10 Depth=1
	s_andn2_saveexec_b64 s[16:17], s[0:1]
; %bb.97:                               ;   in Loop: Header=BB368_10 Depth=1
	v_or_b32_e32 v73, 0x10000, v74
	v_cmp_eq_u32_sdwa s[0:1], v74, v3 src0_sel:WORD_0 src1_sel:DWORD
	s_nop 1
	v_cndmask_b32_e64 v73, v73, v74, s[0:1]
; %bb.98:                               ;   in Loop: Header=BB368_10 Depth=1
	s_or_b64 exec, exec, s[16:17]
	v_bfe_u32 v74, v75, 16, 8
	v_cvt_f32_fp8_sdwa v74, v74 src0_sel:BYTE_0
	s_nop 0
	v_mul_f32_e32 v76, s43, v74
	v_and_b32_e32 v74, 0x7f800000, v76
	v_cmp_ne_u32_e64 s[0:1], s45, v74
                                        ; implicit-def: $vgpr74
	s_and_saveexec_b64 s[16:17], s[0:1]
	s_xor_b64 s[0:1], exec, s[16:17]
; %bb.99:                               ;   in Loop: Header=BB368_10 Depth=1
	v_bfe_u32 v74, v76, 16, 1
	v_add3_u32 v74, v76, v74, s46
                                        ; implicit-def: $vgpr76
; %bb.100:                              ;   in Loop: Header=BB368_10 Depth=1
	s_andn2_saveexec_b64 s[16:17], s[0:1]
; %bb.101:                              ;   in Loop: Header=BB368_10 Depth=1
	v_or_b32_e32 v74, 0x10000, v76
	v_cmp_eq_u32_sdwa s[0:1], v76, v3 src0_sel:WORD_0 src1_sel:DWORD
	s_nop 1
	v_cndmask_b32_e64 v74, v74, v76, s[0:1]
; %bb.102:                              ;   in Loop: Header=BB368_10 Depth=1
	s_or_b64 exec, exec, s[16:17]
	v_lshrrev_b32_e32 v75, 24, v75
	v_cvt_f32_fp8_sdwa v75, v75 src0_sel:BYTE_0
	s_nop 0
	v_mul_f32_e32 v76, s43, v75
	v_and_b32_e32 v75, 0x7f800000, v76
	v_cmp_ne_u32_e64 s[0:1], s45, v75
                                        ; implicit-def: $vgpr75
	s_and_saveexec_b64 s[16:17], s[0:1]
	s_xor_b64 s[0:1], exec, s[16:17]
; %bb.103:                              ;   in Loop: Header=BB368_10 Depth=1
	v_bfe_u32 v75, v76, 16, 1
	v_add3_u32 v75, v76, v75, s46
                                        ; implicit-def: $vgpr76
; %bb.104:                              ;   in Loop: Header=BB368_10 Depth=1
	s_andn2_saveexec_b64 s[16:17], s[0:1]
; %bb.105:                              ;   in Loop: Header=BB368_10 Depth=1
	v_or_b32_e32 v75, 0x10000, v76
	v_cmp_eq_u32_sdwa s[0:1], v76, v3 src0_sel:WORD_0 src1_sel:DWORD
	s_nop 1
	v_cndmask_b32_e64 v75, v75, v76, s[0:1]
; %bb.106:                              ;   in Loop: Header=BB368_10 Depth=1
	s_or_b64 exec, exec, s[16:17]
	global_load_dword v79, v[8:9], off offset:1536
	s_waitcnt vmcnt(0)
	v_and_b32_e32 v76, 0xff, v79
	v_cvt_f32_fp8_sdwa v76, v76 src0_sel:BYTE_0
	s_nop 0
	v_mul_f32_e32 v77, s43, v76
	v_and_b32_e32 v76, 0x7f800000, v77
	v_cmp_ne_u32_e64 s[0:1], s45, v76
                                        ; implicit-def: $vgpr76
	s_and_saveexec_b64 s[16:17], s[0:1]
	s_xor_b64 s[0:1], exec, s[16:17]
; %bb.107:                              ;   in Loop: Header=BB368_10 Depth=1
	v_bfe_u32 v76, v77, 16, 1
	v_add3_u32 v76, v77, v76, s46
                                        ; implicit-def: $vgpr77
; %bb.108:                              ;   in Loop: Header=BB368_10 Depth=1
	s_andn2_saveexec_b64 s[16:17], s[0:1]
; %bb.109:                              ;   in Loop: Header=BB368_10 Depth=1
	v_or_b32_e32 v76, 0x10000, v77
	v_cmp_eq_u32_sdwa s[0:1], v77, v3 src0_sel:WORD_0 src1_sel:DWORD
	s_nop 1
	v_cndmask_b32_e64 v76, v76, v77, s[0:1]
; %bb.110:                              ;   in Loop: Header=BB368_10 Depth=1
	s_or_b64 exec, exec, s[16:17]
	v_bfe_u32 v77, v79, 8, 8
	v_cvt_f32_fp8_sdwa v77, v77 src0_sel:BYTE_0
	s_nop 0
	v_mul_f32_e32 v78, s43, v77
	v_and_b32_e32 v77, 0x7f800000, v78
	v_cmp_ne_u32_e64 s[0:1], s45, v77
                                        ; implicit-def: $vgpr77
	s_and_saveexec_b64 s[16:17], s[0:1]
	s_xor_b64 s[0:1], exec, s[16:17]
; %bb.111:                              ;   in Loop: Header=BB368_10 Depth=1
	v_bfe_u32 v77, v78, 16, 1
	v_add3_u32 v77, v78, v77, s46
                                        ; implicit-def: $vgpr78
; %bb.112:                              ;   in Loop: Header=BB368_10 Depth=1
	s_andn2_saveexec_b64 s[16:17], s[0:1]
; %bb.113:                              ;   in Loop: Header=BB368_10 Depth=1
	v_or_b32_e32 v77, 0x10000, v78
	v_cmp_eq_u32_sdwa s[0:1], v78, v3 src0_sel:WORD_0 src1_sel:DWORD
	s_nop 1
	v_cndmask_b32_e64 v77, v77, v78, s[0:1]
; %bb.114:                              ;   in Loop: Header=BB368_10 Depth=1
	s_or_b64 exec, exec, s[16:17]
	v_bfe_u32 v78, v79, 16, 8
	v_cvt_f32_fp8_sdwa v78, v78 src0_sel:BYTE_0
	s_nop 0
	v_mul_f32_e32 v80, s43, v78
	v_and_b32_e32 v78, 0x7f800000, v80
	v_cmp_ne_u32_e64 s[0:1], s45, v78
                                        ; implicit-def: $vgpr78
	s_and_saveexec_b64 s[16:17], s[0:1]
	s_xor_b64 s[0:1], exec, s[16:17]
; %bb.115:                              ;   in Loop: Header=BB368_10 Depth=1
	v_bfe_u32 v78, v80, 16, 1
	v_add3_u32 v78, v80, v78, s46
                                        ; implicit-def: $vgpr80
; %bb.116:                              ;   in Loop: Header=BB368_10 Depth=1
	s_andn2_saveexec_b64 s[16:17], s[0:1]
; %bb.117:                              ;   in Loop: Header=BB368_10 Depth=1
	v_or_b32_e32 v78, 0x10000, v80
	v_cmp_eq_u32_sdwa s[0:1], v80, v3 src0_sel:WORD_0 src1_sel:DWORD
	s_nop 1
	v_cndmask_b32_e64 v78, v78, v80, s[0:1]
; %bb.118:                              ;   in Loop: Header=BB368_10 Depth=1
	s_or_b64 exec, exec, s[16:17]
	v_lshrrev_b32_e32 v79, 24, v79
	v_cvt_f32_fp8_sdwa v79, v79 src0_sel:BYTE_0
	s_nop 0
	v_mul_f32_e32 v80, s43, v79
	v_and_b32_e32 v79, 0x7f800000, v80
	v_cmp_ne_u32_e64 s[0:1], s45, v79
                                        ; implicit-def: $vgpr79
	s_and_saveexec_b64 s[16:17], s[0:1]
	s_xor_b64 s[0:1], exec, s[16:17]
; %bb.119:                              ;   in Loop: Header=BB368_10 Depth=1
	v_bfe_u32 v79, v80, 16, 1
	v_add3_u32 v79, v80, v79, s46
                                        ; implicit-def: $vgpr80
; %bb.120:                              ;   in Loop: Header=BB368_10 Depth=1
	s_andn2_saveexec_b64 s[16:17], s[0:1]
; %bb.121:                              ;   in Loop: Header=BB368_10 Depth=1
	v_or_b32_e32 v79, 0x10000, v80
	v_cmp_eq_u32_sdwa s[0:1], v80, v3 src0_sel:WORD_0 src1_sel:DWORD
	s_nop 1
	v_cndmask_b32_e64 v79, v79, v80, s[0:1]
; %bb.122:                              ;   in Loop: Header=BB368_10 Depth=1
	s_or_b64 exec, exec, s[16:17]
	global_load_dword v9, v[8:9], off offset:1544
	s_waitcnt vmcnt(0)
	v_and_b32_e32 v8, 0xff, v9
	v_cvt_f32_fp8_sdwa v8, v8 src0_sel:BYTE_0
	s_nop 0
	v_mul_f32_e32 v80, s43, v8
	v_and_b32_e32 v8, 0x7f800000, v80
	v_cmp_ne_u32_e64 s[0:1], s45, v8
                                        ; implicit-def: $vgpr8
	s_and_saveexec_b64 s[16:17], s[0:1]
	s_xor_b64 s[0:1], exec, s[16:17]
; %bb.123:                              ;   in Loop: Header=BB368_10 Depth=1
	v_bfe_u32 v8, v80, 16, 1
	v_add3_u32 v8, v80, v8, s46
                                        ; implicit-def: $vgpr80
; %bb.124:                              ;   in Loop: Header=BB368_10 Depth=1
	s_andn2_saveexec_b64 s[16:17], s[0:1]
; %bb.125:                              ;   in Loop: Header=BB368_10 Depth=1
	v_or_b32_e32 v8, 0x10000, v80
	v_cmp_eq_u32_sdwa s[0:1], v80, v3 src0_sel:WORD_0 src1_sel:DWORD
	s_nop 1
	v_cndmask_b32_e64 v8, v8, v80, s[0:1]
; %bb.126:                              ;   in Loop: Header=BB368_10 Depth=1
	s_or_b64 exec, exec, s[16:17]
	v_bfe_u32 v80, v9, 8, 8
	v_cvt_f32_fp8_sdwa v80, v80 src0_sel:BYTE_0
	s_nop 0
	v_mul_f32_e32 v81, s43, v80
	v_and_b32_e32 v80, 0x7f800000, v81
	v_cmp_ne_u32_e64 s[0:1], s45, v80
                                        ; implicit-def: $vgpr80
	s_and_saveexec_b64 s[16:17], s[0:1]
	s_xor_b64 s[0:1], exec, s[16:17]
; %bb.127:                              ;   in Loop: Header=BB368_10 Depth=1
	v_bfe_u32 v80, v81, 16, 1
	v_add3_u32 v80, v81, v80, s46
                                        ; implicit-def: $vgpr81
; %bb.128:                              ;   in Loop: Header=BB368_10 Depth=1
	s_andn2_saveexec_b64 s[16:17], s[0:1]
; %bb.129:                              ;   in Loop: Header=BB368_10 Depth=1
	v_or_b32_e32 v80, 0x10000, v81
	v_cmp_eq_u32_sdwa s[0:1], v81, v3 src0_sel:WORD_0 src1_sel:DWORD
	s_nop 1
	v_cndmask_b32_e64 v80, v80, v81, s[0:1]
; %bb.130:                              ;   in Loop: Header=BB368_10 Depth=1
	s_or_b64 exec, exec, s[16:17]
	v_bfe_u32 v81, v9, 16, 8
	v_cvt_f32_fp8_sdwa v81, v81 src0_sel:BYTE_0
	s_nop 0
	v_mul_f32_e32 v82, s43, v81
	v_and_b32_e32 v81, 0x7f800000, v82
	v_cmp_ne_u32_e64 s[0:1], s45, v81
                                        ; implicit-def: $vgpr81
	s_and_saveexec_b64 s[16:17], s[0:1]
	s_xor_b64 s[0:1], exec, s[16:17]
; %bb.131:                              ;   in Loop: Header=BB368_10 Depth=1
	v_bfe_u32 v81, v82, 16, 1
	v_add3_u32 v81, v82, v81, s46
                                        ; implicit-def: $vgpr82
; %bb.132:                              ;   in Loop: Header=BB368_10 Depth=1
	s_andn2_saveexec_b64 s[16:17], s[0:1]
; %bb.133:                              ;   in Loop: Header=BB368_10 Depth=1
	v_or_b32_e32 v81, 0x10000, v82
	v_cmp_eq_u32_sdwa s[0:1], v82, v3 src0_sel:WORD_0 src1_sel:DWORD
	s_nop 1
	v_cndmask_b32_e64 v81, v81, v82, s[0:1]
; %bb.134:                              ;   in Loop: Header=BB368_10 Depth=1
	s_or_b64 exec, exec, s[16:17]
	v_lshrrev_b32_e32 v9, 24, v9
	v_cvt_f32_fp8_sdwa v9, v9 src0_sel:BYTE_0
	s_nop 0
	v_mul_f32_e32 v82, s43, v9
	v_and_b32_e32 v9, 0x7f800000, v82
	v_cmp_ne_u32_e64 s[0:1], s45, v9
                                        ; implicit-def: $vgpr9
	s_and_saveexec_b64 s[16:17], s[0:1]
	s_xor_b64 s[0:1], exec, s[16:17]
; %bb.135:                              ;   in Loop: Header=BB368_10 Depth=1
	v_bfe_u32 v9, v82, 16, 1
	v_add3_u32 v9, v82, v9, s46
                                        ; implicit-def: $vgpr82
; %bb.136:                              ;   in Loop: Header=BB368_10 Depth=1
	s_andn2_saveexec_b64 s[16:17], s[0:1]
; %bb.137:                              ;   in Loop: Header=BB368_10 Depth=1
	v_or_b32_e32 v9, 0x10000, v82
	v_cmp_eq_u32_sdwa s[0:1], v82, v3 src0_sel:WORD_0 src1_sel:DWORD
	s_nop 1
	v_cndmask_b32_e64 v9, v9, v82, s[0:1]
; %bb.138:                              ;   in Loop: Header=BB368_10 Depth=1
	s_or_b64 exec, exec, s[16:17]
	v_and_b32_e32 v56, 0xffff0000, v56
	v_and_b32_e32 v57, 0xffff0000, v57
	;; [unrolled: 1-line block ×3, first 2 shown]
	v_mul_f32_e32 v56, v18, v56
	v_and_b32_e32 v58, 0xffff0000, v58
	v_and_b32_e32 v53, 0xffff0000, v53
	v_fmac_f32_e32 v56, v1, v52
	v_mul_f32_e32 v52, v19, v57
	v_and_b32_e32 v61, 0xffff0000, v61
	v_and_b32_e32 v60, 0xffff0000, v60
	;; [unrolled: 1-line block ×4, first 2 shown]
	v_fmac_f32_e32 v52, v14, v53
	v_mul_f32_e32 v53, v21, v58
	v_and_b32_e32 v65, 0xffff0000, v65
	v_and_b32_e32 v64, 0xffff0000, v64
	;; [unrolled: 1-line block ×4, first 2 shown]
	v_fmac_f32_e32 v53, v15, v54
	v_mul_f32_e32 v54, v22, v59
	v_fmac_f32_e32 v56, v23, v60
	v_fmac_f32_e32 v52, v24, v61
	v_and_b32_e32 v69, 0xffff0000, v69
	v_and_b32_e32 v68, 0xffff0000, v68
	v_and_b32_e32 v66, 0xffff0000, v66
	v_and_b32_e32 v63, 0xffff0000, v63
	v_fmac_f32_e32 v54, v17, v55
	v_fmac_f32_e32 v53, v25, v62
	v_fmac_f32_e32 v56, v27, v64
	v_fmac_f32_e32 v52, v28, v65
	v_and_b32_e32 v73, 0xffff0000, v73
	v_and_b32_e32 v72, 0xffff0000, v72
	v_and_b32_e32 v70, 0xffff0000, v70
	v_and_b32_e32 v67, 0xffff0000, v67
	v_fmac_f32_e32 v54, v26, v63
	v_fmac_f32_e32 v53, v29, v66
	;; [unrolled: 8-line block ×4, first 2 shown]
	v_fmac_f32_e32 v56, v39, v76
	v_fmac_f32_e32 v52, v40, v77
	v_and_b32_e32 v79, 0xffff0000, v79
	v_and_b32_e32 v81, 0xffff0000, v81
	v_fmac_f32_e32 v54, v38, v75
	v_fmac_f32_e32 v53, v41, v78
	;; [unrolled: 1-line block ×4, first 2 shown]
	v_and_b32_e32 v9, 0xffff0000, v9
	v_fmac_f32_e32 v54, v42, v79
	v_fmac_f32_e32 v53, v46, v81
	v_add_f32_e32 v8, v56, v52
	v_fmac_f32_e32 v54, v47, v9
	v_add_f32_e32 v8, v8, v53
	v_add_f32_e32 v8, v8, v54
	ds_bpermute_b32 v9, v48, v8
	s_and_saveexec_b64 s[16:17], vcc
	s_cbranch_execz .LBB368_9
; %bb.139:                              ;   in Loop: Header=BB368_10 Depth=1
	v_add_u32_e32 v52, s44, v49
	v_cvt_f32_i32_e32 v52, v52
	s_waitcnt lgkmcnt(0)
	v_add_f32_e32 v8, v8, v9
	v_cmp_gt_i32_e64 s[0:1], s33, v49
	v_max_f32_e32 v9, v43, v43
	v_mul_f32_e32 v52, s5, v52
	v_cndmask_b32_e64 v52, 0, v52, s[6:7]
	v_fmac_f32_e32 v52, s11, v8
	v_cndmask_b32_e64 v8, 0, v52, s[0:1]
	ds_write_b32 v50, v8
	v_max_f32_e32 v8, v9, v52
	v_cndmask_b32_e64 v43, v43, v8, s[0:1]
	s_branch .LBB368_9
.LBB368_140:
	s_or_b64 exec, exec, s[14:15]
.LBB368_141:
	s_or_b64 exec, exec, s[38:39]
	v_xor_b32_e32 v1, 32, v12
	v_cmp_lt_i32_e32 vcc, v1, v13
	v_xor_b32_e32 v4, 16, v12
	v_max_f32_e32 v3, v43, v43
	v_cndmask_b32_e32 v1, v12, v1, vcc
	v_lshlrev_b32_e32 v2, 2, v1
	ds_bpermute_b32 v1, v2, v43
	v_cmp_lt_i32_e32 vcc, v4, v13
	v_xor_b32_e32 v5, 8, v12
	v_xor_b32_e32 v6, 4, v12
	;; [unrolled: 1-line block ×3, first 2 shown]
	s_waitcnt lgkmcnt(0)
	v_max_f32_e32 v1, v1, v1
	v_max_f32_e32 v1, v3, v1
	v_cndmask_b32_e32 v3, v12, v4, vcc
	v_lshlrev_b32_e32 v3, 2, v3
	ds_bpermute_b32 v4, v3, v1
	v_cmp_lt_i32_e32 vcc, v5, v13
	s_waitcnt lgkmcnt(0)
	v_max_f32_e32 v4, v4, v4
	v_max_f32_e32 v1, v1, v4
	v_cndmask_b32_e32 v4, v12, v5, vcc
	v_lshlrev_b32_e32 v5, 2, v4
	ds_bpermute_b32 v4, v5, v1
	v_cmp_lt_i32_e32 vcc, v6, v13
	s_waitcnt lgkmcnt(0)
	v_max_f32_e32 v4, v4, v4
	v_max_f32_e32 v1, v1, v4
	v_cndmask_b32_e32 v4, v12, v6, vcc
	v_lshlrev_b32_e32 v6, 2, v4
	ds_bpermute_b32 v4, v6, v1
	v_cmp_lt_i32_e32 vcc, v7, v13
	s_waitcnt lgkmcnt(0)
	v_max_f32_e32 v4, v4, v4
	v_max_f32_e32 v4, v1, v4
	v_cndmask_b32_e32 v1, v12, v7, vcc
	v_lshlrev_b32_e32 v22, 2, v1
	ds_bpermute_b32 v8, v22, v4
	v_and_b32_e32 v1, 63, v0
	v_cmp_eq_u32_e32 vcc, 0, v1
	v_lshlrev_b32_e32 v7, 2, v20
	s_and_saveexec_b64 s[0:1], vcc
	s_cbranch_execz .LBB368_143
; %bb.142:
	s_waitcnt lgkmcnt(0)
	v_max_f32_e32 v8, v8, v8
	v_max_f32_e32 v4, v4, v4
	;; [unrolled: 1-line block ×3, first 2 shown]
	ds_write_b32 v7, v4 offset:128
.LBB368_143:
	s_or_b64 exec, exec, s[0:1]
	v_cmp_gt_u32_e64 s[0:1], 2, v1
	v_mov_b32_e32 v4, 0xff7fffff
	s_waitcnt lgkmcnt(0)
	v_lshlrev_b32_e32 v8, 2, v1
	s_barrier
	s_and_saveexec_b64 s[6:7], s[0:1]
	s_cbranch_execz .LBB368_145
; %bb.144:
	ds_read_b32 v4, v8 offset:128
.LBB368_145:
	s_or_b64 exec, exec, s[6:7]
	v_xor_b32_e32 v9, 1, v12
	v_cmp_lt_i32_e64 s[6:7], v9, v13
	s_sub_i32 s3, s27, s3
	s_lshl_b32 s3, s3, 5
	v_cndmask_b32_e64 v9, v12, v9, s[6:7]
	v_lshlrev_b32_e32 v23, 2, v9
	s_waitcnt lgkmcnt(0)
	ds_bpermute_b32 v9, v23, v4
	v_max_f32_e32 v4, v4, v4
	s_add_i32 s3, s3, s40
	s_min_i32 s5, s3, s33
	s_sub_i32 s3, s5, s40
	s_waitcnt lgkmcnt(0)
	v_max_f32_e32 v9, v9, v9
	v_max_f32_e32 v4, v4, v9
	v_lshlrev_b32_e32 v9, 2, v12
	v_and_b32_e32 v9, 0xffffff00, v9
	ds_bpermute_b32 v4, v9, v4
	v_cmp_gt_i32_e64 s[6:7], s3, v0
	v_mov_b32_e32 v12, 0
	s_and_saveexec_b64 s[14:15], s[6:7]
	s_cbranch_execz .LBB368_149
; %bb.146:
	v_mov_b32_e32 v12, 0x90
	v_lshl_add_u32 v13, v0, 2, v12
	s_mov_b64 s[16:17], 0
	v_mov_b32_e32 v12, 0
	v_mov_b32_e32 v14, v0
.LBB368_147:                            ; =>This Inner Loop Header: Depth=1
	ds_read_b32 v15, v13
	v_add_u32_e32 v14, 0x80, v14
	v_cmp_le_i32_e64 s[10:11], s3, v14
	s_or_b64 s[16:17], s[10:11], s[16:17]
	s_waitcnt lgkmcnt(0)
	v_sub_f32_e32 v15, v15, v4
	v_mul_f32_e32 v15, 0x3fb8aa3b, v15
	v_exp_f32_e32 v15, v15
	ds_write_b32 v13, v15
	v_add_f32_e32 v12, v12, v15
	v_add_u32_e32 v13, 0x200, v13
	s_andn2_b64 exec, exec, s[16:17]
	s_cbranch_execnz .LBB368_147
; %bb.148:
	s_or_b64 exec, exec, s[16:17]
.LBB368_149:
	s_or_b64 exec, exec, s[14:15]
	ds_bpermute_b32 v2, v2, v12
	s_waitcnt lgkmcnt(0)
	v_add_f32_e32 v2, v12, v2
	ds_bpermute_b32 v3, v3, v2
	s_waitcnt lgkmcnt(0)
	v_add_f32_e32 v2, v2, v3
	;; [unrolled: 3-line block ×6, first 2 shown]
	s_and_saveexec_b64 s[10:11], vcc
	s_cbranch_execz .LBB368_151
; %bb.150:
	ds_write_b32 v7, v2 offset:136
.LBB368_151:
	s_or_b64 exec, exec, s[10:11]
	s_waitcnt lgkmcnt(0)
	s_barrier
	s_and_saveexec_b64 s[10:11], s[0:1]
	s_cbranch_execz .LBB368_153
; %bb.152:
	ds_read_b32 v2, v8 offset:136
.LBB368_153:
	s_or_b64 exec, exec, s[10:11]
	s_waitcnt lgkmcnt(0)
	ds_bpermute_b32 v3, v23, v2
	s_waitcnt lgkmcnt(0)
	v_add_f32_e32 v2, v2, v3
	ds_bpermute_b32 v5, v9, v2
	s_and_saveexec_b64 s[0:1], s[6:7]
	s_cbranch_execz .LBB368_166
; %bb.154:
	s_waitcnt lgkmcnt(0)
	v_add_f32_e32 v2, 0x358637bd, v5
	v_div_scale_f32 v3, s[6:7], v2, v2, 1.0
	v_rcp_f32_e32 v6, v3
	v_div_scale_f32 v7, vcc, 1.0, v2, 1.0
	s_mov_b64 s[10:11], -1
	v_fma_f32 v8, -v3, v6, 1.0
	v_fmac_f32_e32 v6, v8, v6
	v_mul_f32_e32 v8, v7, v6
	v_fma_f32 v9, -v3, v8, v7
	v_fmac_f32_e32 v8, v9, v6
	v_fma_f32 v3, -v3, v8, v7
	v_div_fmas_f32 v3, v3, v6, v8
	v_div_fixup_f32 v2, v3, v2, 1.0
	v_xad_u32 v3, v0, -1, s5
	v_subrev_u32_e32 v6, s40, v3
	s_movk_i32 s5, 0x7f
	v_cmp_lt_u32_e32 vcc, s5, v6
	v_mov_b32_e32 v3, v0
	s_and_saveexec_b64 s[6:7], vcc
	s_cbranch_execz .LBB368_163
; %bb.155:
	v_lshrrev_b32_e32 v6, 7, v6
	v_add_u32_e32 v8, -1, v6
	v_lshrrev_b32_e32 v7, 1, v8
	v_mov_b32_e32 v3, v2
	v_add_u32_e32 v7, 1, v7
	v_cmp_lt_u32_e32 vcc, 13, v8
	v_mov_b32_e32 v12, 0
	s_and_saveexec_b64 s[10:11], vcc
	s_cbranch_execz .LBB368_159
; %bb.156:
	v_mov_b32_e32 v9, 0x90
	v_and_b32_e32 v8, -8, v7
	v_lshl_add_u32 v9, v0, 2, v9
	s_mov_b32 s5, 0
	s_mov_b64 s[14:15], 0
.LBB368_157:                            ; =>This Inner Loop Header: Depth=1
	ds_read2st64_b32 v[12:13], v9 offset1:2
	ds_read2st64_b32 v[14:15], v9 offset0:4 offset1:6
	ds_read2st64_b32 v[18:19], v9 offset0:8 offset1:10
	;; [unrolled: 1-line block ×3, first 2 shown]
	v_add_u32_e32 v8, -8, v8
	s_waitcnt lgkmcnt(3)
	v_pk_mul_f32 v[12:13], v[2:3], v[12:13]
	s_waitcnt lgkmcnt(2)
	v_pk_mul_f32 v[14:15], v[2:3], v[14:15]
	ds_write2st64_b32 v9, v12, v13 offset1:2
	ds_write2st64_b32 v9, v14, v15 offset0:4 offset1:6
	ds_read2st64_b32 v[14:15], v9 offset0:16 offset1:18
	s_waitcnt lgkmcnt(4)
	v_pk_mul_f32 v[12:13], v[2:3], v[18:19]
	ds_write2st64_b32 v9, v12, v13 offset0:8 offset1:10
	s_waitcnt lgkmcnt(4)
	v_pk_mul_f32 v[12:13], v[2:3], v[24:25]
	ds_write2st64_b32 v9, v12, v13 offset0:12 offset1:14
	ds_read2st64_b32 v[12:13], v9 offset0:20 offset1:22
	s_waitcnt lgkmcnt(3)
	v_pk_mul_f32 v[14:15], v[2:3], v[14:15]
	ds_read2st64_b32 v[18:19], v9 offset0:24 offset1:26
	ds_write2st64_b32 v9, v14, v15 offset0:16 offset1:18
	ds_read2st64_b32 v[14:15], v9 offset0:28 offset1:30
	s_waitcnt lgkmcnt(3)
	v_pk_mul_f32 v[12:13], v[2:3], v[12:13]
	ds_write2st64_b32 v9, v12, v13 offset0:20 offset1:22
	s_waitcnt lgkmcnt(3)
	v_pk_mul_f32 v[12:13], v[2:3], v[18:19]
	ds_write2st64_b32 v9, v12, v13 offset0:24 offset1:26
	s_waitcnt lgkmcnt(2)
	v_pk_mul_f32 v[12:13], v[2:3], v[14:15]
	s_add_i32 s5, s5, 16
	v_cmp_eq_u32_e32 vcc, 0, v8
	ds_write2st64_b32 v9, v12, v13 offset0:28 offset1:30
	v_add_u32_e32 v9, 0x2000, v9
	s_or_b64 s[14:15], vcc, s[14:15]
	v_mov_b32_e32 v12, s5
	s_andn2_b64 exec, exec, s[14:15]
	s_cbranch_execnz .LBB368_157
; %bb.158:
	s_or_b64 exec, exec, s[14:15]
.LBB368_159:
	s_or_b64 exec, exec, s[10:11]
	v_and_b32_e32 v7, 7, v7
	v_cmp_ne_u32_e32 vcc, 0, v7
	s_and_saveexec_b64 s[10:11], vcc
	s_cbranch_execz .LBB368_162
; %bb.160:
	v_lshlrev_b32_e32 v8, 9, v12
	v_lshlrev_b32_e32 v9, 2, v0
	s_movk_i32 s5, 0x90
	v_add3_u32 v8, v8, v9, s5
	s_mov_b64 s[14:15], 0
.LBB368_161:                            ; =>This Inner Loop Header: Depth=1
	ds_read2st64_b32 v[12:13], v8 offset1:2
	v_add_u32_e32 v7, -1, v7
	v_cmp_eq_u32_e32 vcc, 0, v7
	s_or_b64 s[14:15], vcc, s[14:15]
	s_waitcnt lgkmcnt(0)
	v_pk_mul_f32 v[12:13], v[2:3], v[12:13]
	ds_write2st64_b32 v8, v12, v13 offset1:2
	v_add_u32_e32 v8, 0x400, v8
	s_andn2_b64 exec, exec, s[14:15]
	s_cbranch_execnz .LBB368_161
.LBB368_162:
	s_or_b64 exec, exec, s[10:11]
	v_add_u32_e32 v6, 1, v6
	v_and_b32_e32 v7, 0x3fffffe, v6
	v_cmp_ne_u32_e32 vcc, v6, v7
	v_lshl_add_u32 v3, v7, 7, v0
	s_orn2_b64 s[10:11], vcc, exec
.LBB368_163:
	s_or_b64 exec, exec, s[6:7]
	s_and_b64 exec, exec, s[10:11]
	s_cbranch_execz .LBB368_166
; %bb.164:
	v_mov_b32_e32 v6, 0x90
	v_lshl_add_u32 v6, v3, 2, v6
	s_mov_b64 s[6:7], 0
.LBB368_165:                            ; =>This Inner Loop Header: Depth=1
	ds_read_b32 v7, v6
	v_add_u32_e32 v3, 0x80, v3
	v_cmp_le_i32_e32 vcc, s3, v3
	s_or_b64 s[6:7], vcc, s[6:7]
	s_waitcnt lgkmcnt(0)
	v_mul_f32_e32 v7, v2, v7
	ds_write_b32 v6, v7
	v_add_u32_e32 v6, 0x200, v6
	s_andn2_b64 exec, exec, s[6:7]
	s_cbranch_execnz .LBB368_165
.LBB368_166:
	s_or_b64 exec, exec, s[0:1]
	v_cmp_eq_u32_e32 vcc, 0, v0
	s_waitcnt lgkmcnt(0)
	s_barrier
	s_and_saveexec_b64 s[0:1], vcc
	s_cbranch_execz .LBB368_168
; %bb.167:
	s_mul_i32 s3, s12, s24
	s_mul_i32 s6, s3, s25
	s_ashr_i32 s7, s6, 31
	s_lshl_b64 s[6:7], s[6:7], 2
	s_add_u32 s5, s22, s6
	s_mul_i32 s2, s12, s2
	s_addc_u32 s10, s23, s7
	s_ashr_i32 s3, s2, 31
	s_lshl_b64 s[2:3], s[2:3], 2
	s_add_u32 s14, s5, s2
	s_addc_u32 s15, s10, s3
	s_ashr_i32 s5, s4, 31
	s_lshl_b64 s[10:11], s[4:5], 2
	s_add_u32 s14, s14, s10
	s_addc_u32 s15, s15, s11
	s_add_u32 s5, s20, s6
	s_addc_u32 s6, s21, s7
	;; [unrolled: 2-line block ×3, first 2 shown]
	s_add_u32 s2, s2, s10
	v_mov_b32_e32 v2, 0
	s_addc_u32 s3, s3, s11
	global_store_dword v2, v4, s[14:15]
	global_store_dword v2, v5, s[2:3]
.LBB368_168:
	s_or_b64 exec, exec, s[0:1]
	v_mov_b32_e32 v13, 0
	v_and_b32_e32 v24, 3, v0
	v_mov_b32_e32 v12, 0
	v_mov_b32_e32 v15, 0
	;; [unrolled: 1-line block ×3, first 2 shown]
	s_and_saveexec_b64 s[2:3], s[8:9]
	s_cbranch_execz .LBB368_468
; %bb.169:
	s_ashr_i32 s1, s42, 31
	s_add_u32 s0, s36, s42
	v_and_b32_e32 v2, 24, v16
	s_addc_u32 s1, s37, s1
	s_load_dword s10, s[18:19], 0x0
	v_and_b32_e32 v16, 0x1f8, v16
	v_mov_b32_e32 v17, 0
	s_add_i32 s11, s41, -1
	v_lshl_add_u64 v[18:19], s[0:1], 0, v[16:17]
	v_lshl_add_u32 v3, v20, 5, s40
	s_lshl_b64 s[0:1], s[34:35], 2
	v_add3_u32 v16, v3, v2, 7
	v_lshlrev_b32_e32 v2, 5, v24
	s_add_u32 s0, s30, s0
	v_lshl_or_b32 v2, v20, 7, v2
	s_addc_u32 s1, s31, s1
	s_mov_b32 s5, s13
	v_add_u32_e32 v25, 0x90, v2
	v_lshl_add_u64 v[20:21], v[10:11], 2, s[0:1]
	s_mov_b64 s[6:7], 0
	s_mov_b32 s13, 0x7f800000
	s_movk_i32 s14, 0x7fff
	v_mov_b32_e32 v14, 0
	v_mov_b32_e32 v15, 0
	;; [unrolled: 1-line block ×4, first 2 shown]
	s_branch .LBB368_171
.LBB368_170:                            ;   in Loop: Header=BB368_171 Depth=1
	s_or_b64 exec, exec, s[0:1]
	v_and_b32_e32 v37, 0xffff0000, v9
	v_and_b32_e32 v36, 0xffff0000, v7
	;; [unrolled: 1-line block ×8, first 2 shown]
	v_pk_add_f32 v[6:7], v[6:7], v[36:37]
	v_pk_add_f32 v[8:9], v[26:27], v[34:35]
	v_add_f32_e32 v6, v6, v7
	v_add_f32_e32 v6, v6, v8
	v_add_f32_e32 v6, v6, v9
	v_and_b32_e32 v27, 0xffff0000, v47
	v_and_b32_e32 v26, 0xffff0000, v45
	v_and_b32_e32 v35, 0xffff0000, v46
	v_and_b32_e32 v34, 0xffff0000, v44
	v_add_f32_e32 v14, v14, v6
	v_and_b32_e32 v7, 0xffff0000, v51
	v_and_b32_e32 v6, 0xffff0000, v49
	v_and_b32_e32 v9, 0xffff0000, v50
	v_and_b32_e32 v8, 0xffff0000, v48
	v_pk_add_f32 v[26:27], v[34:35], v[26:27]
	v_pk_add_f32 v[6:7], v[8:9], v[6:7]
	v_add_f32_e32 v8, v26, v27
	v_add_f32_e32 v6, v8, v6
	v_add_f32_e32 v6, v6, v7
	v_and_b32_e32 v27, 0xffff0000, v53
	v_and_b32_e32 v26, 0xffff0000, v5
	v_and_b32_e32 v5, 0xffff0000, v52
	v_and_b32_e32 v4, 0xffff0000, v4
	v_add_f32_e32 v15, v15, v6
	v_and_b32_e32 v7, 0xffff0000, v57
	v_and_b32_e32 v6, 0xffff0000, v55
	v_and_b32_e32 v9, 0xffff0000, v56
	v_and_b32_e32 v8, 0xffff0000, v54
	;; [unrolled: 14-line block ×3, first 2 shown]
	v_pk_add_f32 v[2:3], v[2:3], v[8:9]
	v_pk_add_f32 v[4:5], v[6:7], v[4:5]
	v_add_f32_e32 v2, v2, v3
	v_add_f32_e32 v2, v2, v4
	v_add_u32_e32 v10, 2, v10
	v_add_f32_e32 v2, v2, v5
	v_cmp_le_i32_e32 vcc, s27, v10
	v_add_f32_e32 v13, v13, v2
	v_add_u32_e32 v16, 64, v16
	v_add_u32_e32 v25, 0x100, v25
	s_or_b64 s[6:7], vcc, s[6:7]
	v_lshl_add_u64 v[20:21], v[20:21], 0, 8
	s_andn2_b64 exec, exec, s[6:7]
	s_cbranch_execz .LBB368_467
.LBB368_171:                            ; =>This Inner Loop Header: Depth=1
	global_load_dword v28, v[20:21], off
	ds_read2_b64 v[6:9], v25 offset1:1
	ds_read2_b64 v[2:5], v25 offset0:2 offset1:3
                                        ; implicit-def: $vgpr36
	s_waitcnt lgkmcnt(0)
	v_and_b32_e32 v11, 0x7f800000, v6
	v_cmp_ne_u32_e32 vcc, s13, v11
	s_and_saveexec_b64 s[0:1], vcc
	s_xor_b64 s[0:1], exec, s[0:1]
; %bb.172:                              ;   in Loop: Header=BB368_171 Depth=1
	v_bfe_u32 v11, v6, 16, 1
	v_add3_u32 v36, v6, v11, s14
; %bb.173:                              ;   in Loop: Header=BB368_171 Depth=1
	s_andn2_saveexec_b64 s[0:1], s[0:1]
; %bb.174:                              ;   in Loop: Header=BB368_171 Depth=1
	v_or_b32_e32 v11, 0x10000, v6
	v_cmp_eq_u32_sdwa vcc, v6, v17 src0_sel:WORD_0 src1_sel:DWORD
	s_nop 1
	v_cndmask_b32_e32 v36, v11, v6, vcc
; %bb.175:                              ;   in Loop: Header=BB368_171 Depth=1
	s_or_b64 exec, exec, s[0:1]
	v_and_b32_e32 v6, 0x7f800000, v7
	v_cmp_ne_u32_e32 vcc, s13, v6
                                        ; implicit-def: $vgpr37
	s_and_saveexec_b64 s[0:1], vcc
	s_xor_b64 s[0:1], exec, s[0:1]
; %bb.176:                              ;   in Loop: Header=BB368_171 Depth=1
	v_bfe_u32 v6, v7, 16, 1
	v_add3_u32 v37, v7, v6, s14
; %bb.177:                              ;   in Loop: Header=BB368_171 Depth=1
	s_andn2_saveexec_b64 s[0:1], s[0:1]
; %bb.178:                              ;   in Loop: Header=BB368_171 Depth=1
	v_or_b32_e32 v6, 0x10000, v7
	v_cmp_eq_u32_sdwa vcc, v7, v17 src0_sel:WORD_0 src1_sel:DWORD
	s_nop 1
	v_cndmask_b32_e32 v37, v6, v7, vcc
; %bb.179:                              ;   in Loop: Header=BB368_171 Depth=1
	s_or_b64 exec, exec, s[0:1]
	v_and_b32_e32 v6, 0x7f800000, v8
	v_cmp_ne_u32_e32 vcc, s13, v6
                                        ; implicit-def: $vgpr38
	s_and_saveexec_b64 s[0:1], vcc
	s_xor_b64 s[0:1], exec, s[0:1]
; %bb.180:                              ;   in Loop: Header=BB368_171 Depth=1
	v_bfe_u32 v6, v8, 16, 1
	v_add3_u32 v38, v8, v6, s14
; %bb.181:                              ;   in Loop: Header=BB368_171 Depth=1
	s_andn2_saveexec_b64 s[0:1], s[0:1]
; %bb.182:                              ;   in Loop: Header=BB368_171 Depth=1
	v_or_b32_e32 v6, 0x10000, v8
	v_cmp_eq_u32_sdwa vcc, v8, v17 src0_sel:WORD_0 src1_sel:DWORD
	s_nop 1
	v_cndmask_b32_e32 v38, v6, v8, vcc
; %bb.183:                              ;   in Loop: Header=BB368_171 Depth=1
	s_or_b64 exec, exec, s[0:1]
	v_and_b32_e32 v6, 0x7f800000, v9
	v_cmp_ne_u32_e32 vcc, s13, v6
                                        ; implicit-def: $vgpr39
	s_and_saveexec_b64 s[0:1], vcc
	s_xor_b64 s[0:1], exec, s[0:1]
; %bb.184:                              ;   in Loop: Header=BB368_171 Depth=1
	v_bfe_u32 v6, v9, 16, 1
	v_add3_u32 v39, v9, v6, s14
                                        ; implicit-def: $vgpr6_vgpr7_vgpr8_vgpr9
; %bb.185:                              ;   in Loop: Header=BB368_171 Depth=1
	s_andn2_saveexec_b64 s[0:1], s[0:1]
; %bb.186:                              ;   in Loop: Header=BB368_171 Depth=1
	v_or_b32_e32 v6, 0x10000, v9
	v_cmp_eq_u32_sdwa vcc, v9, v17 src0_sel:WORD_0 src1_sel:DWORD
	s_nop 1
	v_cndmask_b32_e32 v39, v6, v9, vcc
; %bb.187:                              ;   in Loop: Header=BB368_171 Depth=1
	s_or_b64 exec, exec, s[0:1]
	v_and_b32_e32 v6, 0x7f800000, v2
	v_cmp_ne_u32_e32 vcc, s13, v6
                                        ; implicit-def: $vgpr11
	s_and_saveexec_b64 s[0:1], vcc
	s_xor_b64 s[0:1], exec, s[0:1]
; %bb.188:                              ;   in Loop: Header=BB368_171 Depth=1
	v_bfe_u32 v6, v2, 16, 1
	v_add3_u32 v11, v2, v6, s14
; %bb.189:                              ;   in Loop: Header=BB368_171 Depth=1
	s_andn2_saveexec_b64 s[0:1], s[0:1]
; %bb.190:                              ;   in Loop: Header=BB368_171 Depth=1
	v_or_b32_e32 v6, 0x10000, v2
	v_cmp_eq_u32_sdwa vcc, v2, v17 src0_sel:WORD_0 src1_sel:DWORD
	s_nop 1
	v_cndmask_b32_e32 v11, v6, v2, vcc
; %bb.191:                              ;   in Loop: Header=BB368_171 Depth=1
	s_or_b64 exec, exec, s[0:1]
	v_and_b32_e32 v2, 0x7f800000, v3
	v_cmp_ne_u32_e32 vcc, s13, v2
                                        ; implicit-def: $vgpr26
	s_and_saveexec_b64 s[0:1], vcc
	s_xor_b64 s[0:1], exec, s[0:1]
; %bb.192:                              ;   in Loop: Header=BB368_171 Depth=1
	v_bfe_u32 v2, v3, 16, 1
	v_add3_u32 v26, v3, v2, s14
; %bb.193:                              ;   in Loop: Header=BB368_171 Depth=1
	s_andn2_saveexec_b64 s[0:1], s[0:1]
; %bb.194:                              ;   in Loop: Header=BB368_171 Depth=1
	v_or_b32_e32 v2, 0x10000, v3
	v_cmp_eq_u32_sdwa vcc, v3, v17 src0_sel:WORD_0 src1_sel:DWORD
	s_nop 1
	v_cndmask_b32_e32 v26, v2, v3, vcc
; %bb.195:                              ;   in Loop: Header=BB368_171 Depth=1
	s_or_b64 exec, exec, s[0:1]
	v_and_b32_e32 v2, 0x7f800000, v4
	v_cmp_ne_u32_e32 vcc, s13, v2
                                        ; implicit-def: $vgpr27
	s_and_saveexec_b64 s[0:1], vcc
	s_xor_b64 s[0:1], exec, s[0:1]
; %bb.196:                              ;   in Loop: Header=BB368_171 Depth=1
	v_bfe_u32 v2, v4, 16, 1
	v_add3_u32 v27, v4, v2, s14
; %bb.197:                              ;   in Loop: Header=BB368_171 Depth=1
	s_andn2_saveexec_b64 s[0:1], s[0:1]
; %bb.198:                              ;   in Loop: Header=BB368_171 Depth=1
	v_or_b32_e32 v2, 0x10000, v4
	v_cmp_eq_u32_sdwa vcc, v4, v17 src0_sel:WORD_0 src1_sel:DWORD
	s_nop 1
	v_cndmask_b32_e32 v27, v2, v4, vcc
; %bb.199:                              ;   in Loop: Header=BB368_171 Depth=1
	s_or_b64 exec, exec, s[0:1]
	v_and_b32_e32 v2, 0x7f800000, v5
	v_cmp_ne_u32_e32 vcc, s13, v2
                                        ; implicit-def: $vgpr35
	s_and_saveexec_b64 s[0:1], vcc
	s_xor_b64 s[0:1], exec, s[0:1]
; %bb.200:                              ;   in Loop: Header=BB368_171 Depth=1
	v_bfe_u32 v2, v5, 16, 1
	v_add3_u32 v35, v5, v2, s14
                                        ; implicit-def: $vgpr2_vgpr3_vgpr4_vgpr5
; %bb.201:                              ;   in Loop: Header=BB368_171 Depth=1
	s_andn2_saveexec_b64 s[0:1], s[0:1]
; %bb.202:                              ;   in Loop: Header=BB368_171 Depth=1
	v_or_b32_e32 v2, 0x10000, v5
	v_cmp_eq_u32_sdwa vcc, v5, v17 src0_sel:WORD_0 src1_sel:DWORD
	s_nop 1
	v_cndmask_b32_e32 v35, v2, v5, vcc
; %bb.203:                              ;   in Loop: Header=BB368_171 Depth=1
	s_or_b64 exec, exec, s[0:1]
	s_waitcnt vmcnt(0)
	v_mad_i64_i32 v[2:3], s[0:1], v28, s5, v[18:19]
	global_load_dwordx2 v[4:5], v[2:3], off
	s_waitcnt vmcnt(0)
	v_and_b32_e32 v6, 0xff, v4
	v_cvt_f32_fp8_sdwa v6, v6 src0_sel:BYTE_0
	s_nop 0
	v_mul_f32_e32 v7, s10, v6
	v_and_b32_e32 v6, 0x7f800000, v7
	v_cmp_ne_u32_e32 vcc, s13, v6
                                        ; implicit-def: $vgpr6
	s_and_saveexec_b64 s[0:1], vcc
	s_xor_b64 s[0:1], exec, s[0:1]
; %bb.204:                              ;   in Loop: Header=BB368_171 Depth=1
	v_bfe_u32 v6, v7, 16, 1
	v_add3_u32 v6, v7, v6, s14
                                        ; implicit-def: $vgpr7
; %bb.205:                              ;   in Loop: Header=BB368_171 Depth=1
	s_andn2_saveexec_b64 s[0:1], s[0:1]
; %bb.206:                              ;   in Loop: Header=BB368_171 Depth=1
	v_or_b32_e32 v6, 0x10000, v7
	v_cmp_eq_u32_sdwa vcc, v7, v17 src0_sel:WORD_0 src1_sel:DWORD
	s_nop 1
	v_cndmask_b32_e32 v6, v6, v7, vcc
; %bb.207:                              ;   in Loop: Header=BB368_171 Depth=1
	s_or_b64 exec, exec, s[0:1]
	v_bfe_u32 v7, v4, 8, 8
	v_cvt_f32_fp8_sdwa v7, v7 src0_sel:BYTE_0
	s_nop 0
	v_mul_f32_e32 v8, s10, v7
	v_and_b32_e32 v7, 0x7f800000, v8
	v_cmp_ne_u32_e32 vcc, s13, v7
                                        ; implicit-def: $vgpr7
	s_and_saveexec_b64 s[0:1], vcc
	s_xor_b64 s[0:1], exec, s[0:1]
; %bb.208:                              ;   in Loop: Header=BB368_171 Depth=1
	v_bfe_u32 v7, v8, 16, 1
	v_add3_u32 v7, v8, v7, s14
                                        ; implicit-def: $vgpr8
; %bb.209:                              ;   in Loop: Header=BB368_171 Depth=1
	s_andn2_saveexec_b64 s[0:1], s[0:1]
; %bb.210:                              ;   in Loop: Header=BB368_171 Depth=1
	v_or_b32_e32 v7, 0x10000, v8
	v_cmp_eq_u32_sdwa vcc, v8, v17 src0_sel:WORD_0 src1_sel:DWORD
	s_nop 1
	v_cndmask_b32_e32 v7, v7, v8, vcc
; %bb.211:                              ;   in Loop: Header=BB368_171 Depth=1
	s_or_b64 exec, exec, s[0:1]
	v_bfe_u32 v8, v4, 16, 8
	v_cvt_f32_fp8_sdwa v8, v8 src0_sel:BYTE_0
	s_nop 0
	v_mul_f32_e32 v9, s10, v8
	v_and_b32_e32 v8, 0x7f800000, v9
	v_cmp_ne_u32_e32 vcc, s13, v8
                                        ; implicit-def: $vgpr8
	s_and_saveexec_b64 s[0:1], vcc
	s_xor_b64 s[0:1], exec, s[0:1]
; %bb.212:                              ;   in Loop: Header=BB368_171 Depth=1
	v_bfe_u32 v8, v9, 16, 1
	v_add3_u32 v8, v9, v8, s14
                                        ; implicit-def: $vgpr9
; %bb.213:                              ;   in Loop: Header=BB368_171 Depth=1
	s_andn2_saveexec_b64 s[0:1], s[0:1]
; %bb.214:                              ;   in Loop: Header=BB368_171 Depth=1
	v_or_b32_e32 v8, 0x10000, v9
	v_cmp_eq_u32_sdwa vcc, v9, v17 src0_sel:WORD_0 src1_sel:DWORD
	s_nop 1
	v_cndmask_b32_e32 v8, v8, v9, vcc
; %bb.215:                              ;   in Loop: Header=BB368_171 Depth=1
	s_or_b64 exec, exec, s[0:1]
	v_lshrrev_b32_e32 v4, 24, v4
	v_cvt_f32_fp8_sdwa v4, v4 src0_sel:BYTE_0
	s_nop 0
	v_mul_f32_e32 v9, s10, v4
	v_and_b32_e32 v4, 0x7f800000, v9
	v_cmp_ne_u32_e32 vcc, s13, v4
                                        ; implicit-def: $vgpr4
	s_and_saveexec_b64 s[0:1], vcc
	s_xor_b64 s[0:1], exec, s[0:1]
; %bb.216:                              ;   in Loop: Header=BB368_171 Depth=1
	v_bfe_u32 v4, v9, 16, 1
	v_add3_u32 v4, v9, v4, s14
                                        ; implicit-def: $vgpr9
; %bb.217:                              ;   in Loop: Header=BB368_171 Depth=1
	s_andn2_saveexec_b64 s[0:1], s[0:1]
; %bb.218:                              ;   in Loop: Header=BB368_171 Depth=1
	v_or_b32_e32 v4, 0x10000, v9
	v_cmp_eq_u32_sdwa vcc, v9, v17 src0_sel:WORD_0 src1_sel:DWORD
	s_nop 1
	v_cndmask_b32_e32 v4, v4, v9, vcc
; %bb.219:                              ;   in Loop: Header=BB368_171 Depth=1
	s_or_b64 exec, exec, s[0:1]
	v_and_b32_e32 v9, 0xff, v5
	v_cvt_f32_fp8_sdwa v9, v9 src0_sel:BYTE_0
	s_nop 0
	v_mul_f32_e32 v28, s10, v9
	v_and_b32_e32 v9, 0x7f800000, v28
	v_cmp_ne_u32_e32 vcc, s13, v9
                                        ; implicit-def: $vgpr9
	s_and_saveexec_b64 s[0:1], vcc
	s_xor_b64 s[0:1], exec, s[0:1]
; %bb.220:                              ;   in Loop: Header=BB368_171 Depth=1
	v_bfe_u32 v9, v28, 16, 1
	v_add3_u32 v9, v28, v9, s14
                                        ; implicit-def: $vgpr28
; %bb.221:                              ;   in Loop: Header=BB368_171 Depth=1
	s_andn2_saveexec_b64 s[0:1], s[0:1]
; %bb.222:                              ;   in Loop: Header=BB368_171 Depth=1
	v_or_b32_e32 v9, 0x10000, v28
	v_cmp_eq_u32_sdwa vcc, v28, v17 src0_sel:WORD_0 src1_sel:DWORD
	s_nop 1
	v_cndmask_b32_e32 v9, v9, v28, vcc
; %bb.223:                              ;   in Loop: Header=BB368_171 Depth=1
	s_or_b64 exec, exec, s[0:1]
	v_bfe_u32 v28, v5, 8, 8
	v_cvt_f32_fp8_sdwa v28, v28 src0_sel:BYTE_0
	s_nop 0
	v_mul_f32_e32 v28, s10, v28
	v_and_b32_e32 v29, 0x7f800000, v28
	v_cmp_ne_u32_e32 vcc, s13, v29
                                        ; implicit-def: $vgpr29
	s_and_saveexec_b64 s[0:1], vcc
	s_xor_b64 s[0:1], exec, s[0:1]
; %bb.224:                              ;   in Loop: Header=BB368_171 Depth=1
	v_bfe_u32 v29, v28, 16, 1
	v_add3_u32 v29, v28, v29, s14
                                        ; implicit-def: $vgpr28
; %bb.225:                              ;   in Loop: Header=BB368_171 Depth=1
	s_andn2_saveexec_b64 s[0:1], s[0:1]
; %bb.226:                              ;   in Loop: Header=BB368_171 Depth=1
	v_or_b32_e32 v29, 0x10000, v28
	v_cmp_eq_u32_sdwa vcc, v28, v17 src0_sel:WORD_0 src1_sel:DWORD
	s_nop 1
	v_cndmask_b32_e32 v29, v29, v28, vcc
; %bb.227:                              ;   in Loop: Header=BB368_171 Depth=1
	s_or_b64 exec, exec, s[0:1]
	v_bfe_u32 v28, v5, 16, 8
	v_cvt_f32_fp8_sdwa v28, v28 src0_sel:BYTE_0
	s_nop 0
	v_mul_f32_e32 v28, s10, v28
	v_and_b32_e32 v30, 0x7f800000, v28
	v_cmp_ne_u32_e32 vcc, s13, v30
                                        ; implicit-def: $vgpr30
	s_and_saveexec_b64 s[0:1], vcc
	s_xor_b64 s[0:1], exec, s[0:1]
; %bb.228:                              ;   in Loop: Header=BB368_171 Depth=1
	v_bfe_u32 v30, v28, 16, 1
	v_add3_u32 v30, v28, v30, s14
                                        ; implicit-def: $vgpr28
; %bb.229:                              ;   in Loop: Header=BB368_171 Depth=1
	s_andn2_saveexec_b64 s[0:1], s[0:1]
; %bb.230:                              ;   in Loop: Header=BB368_171 Depth=1
	v_or_b32_e32 v30, 0x10000, v28
	v_cmp_eq_u32_sdwa vcc, v28, v17 src0_sel:WORD_0 src1_sel:DWORD
	s_nop 1
	v_cndmask_b32_e32 v30, v30, v28, vcc
; %bb.231:                              ;   in Loop: Header=BB368_171 Depth=1
	s_or_b64 exec, exec, s[0:1]
	v_lshrrev_b32_e32 v5, 24, v5
	v_cvt_f32_fp8_sdwa v5, v5 src0_sel:BYTE_0
                                        ; implicit-def: $vgpr31
	s_nop 0
	v_mul_f32_e32 v5, s10, v5
	v_and_b32_e32 v28, 0x7f800000, v5
	v_cmp_ne_u32_e32 vcc, s13, v28
	s_and_saveexec_b64 s[0:1], vcc
	s_xor_b64 s[0:1], exec, s[0:1]
; %bb.232:                              ;   in Loop: Header=BB368_171 Depth=1
	v_bfe_u32 v28, v5, 16, 1
	v_add3_u32 v31, v5, v28, s14
                                        ; implicit-def: $vgpr5
; %bb.233:                              ;   in Loop: Header=BB368_171 Depth=1
	s_andn2_saveexec_b64 s[0:1], s[0:1]
; %bb.234:                              ;   in Loop: Header=BB368_171 Depth=1
	v_or_b32_e32 v28, 0x10000, v5
	v_cmp_eq_u32_sdwa vcc, v5, v17 src0_sel:WORD_0 src1_sel:DWORD
	s_nop 1
	v_cndmask_b32_e32 v31, v28, v5, vcc
; %bb.235:                              ;   in Loop: Header=BB368_171 Depth=1
	s_or_b64 exec, exec, s[0:1]
	v_cmp_eq_u32_e32 vcc, s11, v10
	v_add_u32_e32 v28, -7, v16
	v_lshrrev_b32_e32 v42, 16, v29
	v_lshrrev_b32_e32 v41, 16, v9
	;; [unrolled: 1-line block ×8, first 2 shown]
	v_add_u32_e32 v34, -6, v16
	v_add_u32_e32 v33, -5, v16
	;; [unrolled: 1-line block ×6, first 2 shown]
	s_and_saveexec_b64 s[8:9], vcc
	s_cbranch_execz .LBB368_237
; %bb.236:                              ;   in Loop: Header=BB368_171 Depth=1
	v_cmp_gt_i32_e64 s[0:1], s33, v28
	s_nop 1
	v_cndmask_b32_e64 v6, 0, v6, s[0:1]
	v_cmp_gt_i32_e64 s[0:1], s33, v34
	s_nop 1
	v_cndmask_b32_e64 v7, 0, v7, s[0:1]
	v_cmp_gt_i32_e64 s[0:1], s33, v33
	s_nop 1
	v_cndmask_b32_e64 v8, 0, v8, s[0:1]
	v_cmp_gt_i32_e64 s[0:1], s33, v32
	s_nop 1
	v_cndmask_b32_e64 v9, 0, v9, s[0:1]
	v_cmp_gt_i32_e64 s[0:1], s33, v31
	s_nop 1
	v_cndmask_b32_e64 v41, 0, v41, s[0:1]
	v_cmp_gt_i32_e64 s[0:1], s33, v30
	s_nop 1
	v_cndmask_b32_e64 v42, 0, v42, s[0:1]
	v_cmp_gt_i32_e64 s[0:1], s33, v29
	s_nop 1
	v_cndmask_b32_e64 v5, 0, v5, s[0:1]
	v_cmp_gt_i32_e64 s[0:1], s33, v16
	s_nop 1
	v_cndmask_b32_e64 v4, 0, v4, s[0:1]
.LBB368_237:                            ;   in Loop: Header=BB368_171 Depth=1
	s_or_b64 exec, exec, s[8:9]
	v_and_b32_e32 v36, 0xffff0000, v36
	v_lshlrev_b32_e32 v6, 16, v6
	v_mul_f32_e32 v40, v36, v6
	v_and_b32_e32 v6, 0x7f800000, v40
	v_cmp_ne_u32_e64 s[0:1], s13, v6
                                        ; implicit-def: $vgpr6
	s_and_saveexec_b64 s[8:9], s[0:1]
	s_xor_b64 s[0:1], exec, s[8:9]
; %bb.238:                              ;   in Loop: Header=BB368_171 Depth=1
	v_bfe_u32 v6, v40, 16, 1
	v_add3_u32 v6, v40, v6, s14
                                        ; implicit-def: $vgpr40
; %bb.239:                              ;   in Loop: Header=BB368_171 Depth=1
	s_andn2_saveexec_b64 s[8:9], s[0:1]
; %bb.240:                              ;   in Loop: Header=BB368_171 Depth=1
	v_or_b32_e32 v6, 0x10000, v40
	v_cmp_eq_u32_sdwa s[0:1], v40, v17 src0_sel:WORD_0 src1_sel:DWORD
	s_nop 1
	v_cndmask_b32_e64 v6, v6, v40, s[0:1]
; %bb.241:                              ;   in Loop: Header=BB368_171 Depth=1
	s_or_b64 exec, exec, s[8:9]
	v_and_b32_e32 v37, 0xffff0000, v37
	v_lshlrev_b32_e32 v7, 16, v7
	v_mul_f32_e32 v40, v37, v7
	v_and_b32_e32 v7, 0x7f800000, v40
	v_cmp_ne_u32_e64 s[0:1], s13, v7
                                        ; implicit-def: $vgpr7
	s_and_saveexec_b64 s[8:9], s[0:1]
	s_xor_b64 s[0:1], exec, s[8:9]
; %bb.242:                              ;   in Loop: Header=BB368_171 Depth=1
	v_bfe_u32 v7, v40, 16, 1
	v_add3_u32 v7, v40, v7, s14
                                        ; implicit-def: $vgpr40
; %bb.243:                              ;   in Loop: Header=BB368_171 Depth=1
	s_andn2_saveexec_b64 s[8:9], s[0:1]
; %bb.244:                              ;   in Loop: Header=BB368_171 Depth=1
	v_or_b32_e32 v7, 0x10000, v40
	v_cmp_eq_u32_sdwa s[0:1], v40, v17 src0_sel:WORD_0 src1_sel:DWORD
	s_nop 1
	v_cndmask_b32_e64 v7, v7, v40, s[0:1]
; %bb.245:                              ;   in Loop: Header=BB368_171 Depth=1
	s_or_b64 exec, exec, s[8:9]
	v_and_b32_e32 v38, 0xffff0000, v38
	v_lshlrev_b32_e32 v8, 16, v8
	v_mul_f32_e32 v40, v38, v8
	v_and_b32_e32 v8, 0x7f800000, v40
	v_cmp_ne_u32_e64 s[0:1], s13, v8
                                        ; implicit-def: $vgpr8
	s_and_saveexec_b64 s[8:9], s[0:1]
	s_xor_b64 s[0:1], exec, s[8:9]
; %bb.246:                              ;   in Loop: Header=BB368_171 Depth=1
	v_bfe_u32 v8, v40, 16, 1
	v_add3_u32 v8, v40, v8, s14
                                        ; implicit-def: $vgpr40
; %bb.247:                              ;   in Loop: Header=BB368_171 Depth=1
	s_andn2_saveexec_b64 s[8:9], s[0:1]
; %bb.248:                              ;   in Loop: Header=BB368_171 Depth=1
	v_or_b32_e32 v8, 0x10000, v40
	v_cmp_eq_u32_sdwa s[0:1], v40, v17 src0_sel:WORD_0 src1_sel:DWORD
	s_nop 1
	v_cndmask_b32_e64 v8, v8, v40, s[0:1]
; %bb.249:                              ;   in Loop: Header=BB368_171 Depth=1
	s_or_b64 exec, exec, s[8:9]
	v_and_b32_e32 v39, 0xffff0000, v39
	v_lshlrev_b32_e32 v9, 16, v9
	v_mul_f32_e32 v40, v39, v9
	v_and_b32_e32 v9, 0x7f800000, v40
	v_cmp_ne_u32_e64 s[0:1], s13, v9
                                        ; implicit-def: $vgpr9
	s_and_saveexec_b64 s[8:9], s[0:1]
	s_xor_b64 s[0:1], exec, s[8:9]
; %bb.250:                              ;   in Loop: Header=BB368_171 Depth=1
	v_bfe_u32 v9, v40, 16, 1
	v_add3_u32 v9, v40, v9, s14
                                        ; implicit-def: $vgpr40
; %bb.251:                              ;   in Loop: Header=BB368_171 Depth=1
	s_andn2_saveexec_b64 s[8:9], s[0:1]
; %bb.252:                              ;   in Loop: Header=BB368_171 Depth=1
	v_or_b32_e32 v9, 0x10000, v40
	v_cmp_eq_u32_sdwa s[0:1], v40, v17 src0_sel:WORD_0 src1_sel:DWORD
	s_nop 1
	v_cndmask_b32_e64 v9, v9, v40, s[0:1]
; %bb.253:                              ;   in Loop: Header=BB368_171 Depth=1
	s_or_b64 exec, exec, s[8:9]
	v_and_b32_e32 v40, 0xffff0000, v11
	v_lshlrev_b32_e32 v11, 16, v41
	v_mul_f32_e32 v41, v40, v11
	v_and_b32_e32 v11, 0x7f800000, v41
	v_cmp_ne_u32_e64 s[0:1], s13, v11
                                        ; implicit-def: $vgpr11
	s_and_saveexec_b64 s[8:9], s[0:1]
	s_xor_b64 s[0:1], exec, s[8:9]
; %bb.254:                              ;   in Loop: Header=BB368_171 Depth=1
	v_bfe_u32 v11, v41, 16, 1
	v_add3_u32 v11, v41, v11, s14
                                        ; implicit-def: $vgpr41
; %bb.255:                              ;   in Loop: Header=BB368_171 Depth=1
	s_andn2_saveexec_b64 s[8:9], s[0:1]
; %bb.256:                              ;   in Loop: Header=BB368_171 Depth=1
	v_or_b32_e32 v11, 0x10000, v41
	v_cmp_eq_u32_sdwa s[0:1], v41, v17 src0_sel:WORD_0 src1_sel:DWORD
	s_nop 1
	v_cndmask_b32_e64 v11, v11, v41, s[0:1]
; %bb.257:                              ;   in Loop: Header=BB368_171 Depth=1
	s_or_b64 exec, exec, s[8:9]
	v_and_b32_e32 v41, 0xffff0000, v26
	v_lshlrev_b32_e32 v26, 16, v42
	v_mul_f32_e32 v42, v41, v26
	v_and_b32_e32 v26, 0x7f800000, v42
	v_cmp_ne_u32_e64 s[0:1], s13, v26
                                        ; implicit-def: $vgpr26
	s_and_saveexec_b64 s[8:9], s[0:1]
	s_xor_b64 s[0:1], exec, s[8:9]
; %bb.258:                              ;   in Loop: Header=BB368_171 Depth=1
	v_bfe_u32 v26, v42, 16, 1
	v_add3_u32 v26, v42, v26, s14
                                        ; implicit-def: $vgpr42
; %bb.259:                              ;   in Loop: Header=BB368_171 Depth=1
	s_andn2_saveexec_b64 s[8:9], s[0:1]
; %bb.260:                              ;   in Loop: Header=BB368_171 Depth=1
	v_or_b32_e32 v26, 0x10000, v42
	v_cmp_eq_u32_sdwa s[0:1], v42, v17 src0_sel:WORD_0 src1_sel:DWORD
	s_nop 1
	v_cndmask_b32_e64 v26, v26, v42, s[0:1]
; %bb.261:                              ;   in Loop: Header=BB368_171 Depth=1
	s_or_b64 exec, exec, s[8:9]
	v_and_b32_e32 v42, 0xffff0000, v27
	v_lshlrev_b32_e32 v5, 16, v5
	v_mul_f32_e32 v5, v42, v5
	v_and_b32_e32 v27, 0x7f800000, v5
	v_cmp_ne_u32_e64 s[0:1], s13, v27
                                        ; implicit-def: $vgpr27
	s_and_saveexec_b64 s[8:9], s[0:1]
	s_xor_b64 s[0:1], exec, s[8:9]
; %bb.262:                              ;   in Loop: Header=BB368_171 Depth=1
	v_bfe_u32 v27, v5, 16, 1
	v_add3_u32 v27, v5, v27, s14
                                        ; implicit-def: $vgpr5
; %bb.263:                              ;   in Loop: Header=BB368_171 Depth=1
	s_andn2_saveexec_b64 s[8:9], s[0:1]
; %bb.264:                              ;   in Loop: Header=BB368_171 Depth=1
	v_or_b32_e32 v27, 0x10000, v5
	v_cmp_eq_u32_sdwa s[0:1], v5, v17 src0_sel:WORD_0 src1_sel:DWORD
	s_nop 1
	v_cndmask_b32_e64 v27, v27, v5, s[0:1]
; %bb.265:                              ;   in Loop: Header=BB368_171 Depth=1
	s_or_b64 exec, exec, s[8:9]
	v_and_b32_e32 v43, 0xffff0000, v35
	v_lshlrev_b32_e32 v4, 16, v4
	v_mul_f32_e32 v4, v43, v4
	v_and_b32_e32 v5, 0x7f800000, v4
	v_cmp_ne_u32_e64 s[0:1], s13, v5
                                        ; implicit-def: $vgpr35
	s_and_saveexec_b64 s[8:9], s[0:1]
	s_xor_b64 s[0:1], exec, s[8:9]
; %bb.266:                              ;   in Loop: Header=BB368_171 Depth=1
	v_bfe_u32 v5, v4, 16, 1
	v_add3_u32 v35, v4, v5, s14
                                        ; implicit-def: $vgpr4
; %bb.267:                              ;   in Loop: Header=BB368_171 Depth=1
	s_andn2_saveexec_b64 s[8:9], s[0:1]
; %bb.268:                              ;   in Loop: Header=BB368_171 Depth=1
	v_or_b32_e32 v5, 0x10000, v4
	v_cmp_eq_u32_sdwa s[0:1], v4, v17 src0_sel:WORD_0 src1_sel:DWORD
	s_nop 1
	v_cndmask_b32_e64 v35, v5, v4, s[0:1]
; %bb.269:                              ;   in Loop: Header=BB368_171 Depth=1
	s_or_b64 exec, exec, s[8:9]
	global_load_dwordx2 v[4:5], v[2:3], off offset:512
	s_waitcnt vmcnt(0)
	v_and_b32_e32 v44, 0xff, v4
	v_cvt_f32_fp8_sdwa v44, v44 src0_sel:BYTE_0
	s_nop 0
	v_mul_f32_e32 v45, s10, v44
	v_and_b32_e32 v44, 0x7f800000, v45
	v_cmp_ne_u32_e64 s[0:1], s13, v44
                                        ; implicit-def: $vgpr44
	s_and_saveexec_b64 s[8:9], s[0:1]
	s_xor_b64 s[0:1], exec, s[8:9]
; %bb.270:                              ;   in Loop: Header=BB368_171 Depth=1
	v_bfe_u32 v44, v45, 16, 1
	v_add3_u32 v44, v45, v44, s14
                                        ; implicit-def: $vgpr45
; %bb.271:                              ;   in Loop: Header=BB368_171 Depth=1
	s_andn2_saveexec_b64 s[8:9], s[0:1]
; %bb.272:                              ;   in Loop: Header=BB368_171 Depth=1
	v_or_b32_e32 v44, 0x10000, v45
	v_cmp_eq_u32_sdwa s[0:1], v45, v17 src0_sel:WORD_0 src1_sel:DWORD
	s_nop 1
	v_cndmask_b32_e64 v44, v44, v45, s[0:1]
; %bb.273:                              ;   in Loop: Header=BB368_171 Depth=1
	s_or_b64 exec, exec, s[8:9]
	v_bfe_u32 v45, v4, 8, 8
	v_cvt_f32_fp8_sdwa v45, v45 src0_sel:BYTE_0
	s_nop 0
	v_mul_f32_e32 v46, s10, v45
	v_and_b32_e32 v45, 0x7f800000, v46
	v_cmp_ne_u32_e64 s[0:1], s13, v45
                                        ; implicit-def: $vgpr45
	s_and_saveexec_b64 s[8:9], s[0:1]
	s_xor_b64 s[0:1], exec, s[8:9]
; %bb.274:                              ;   in Loop: Header=BB368_171 Depth=1
	v_bfe_u32 v45, v46, 16, 1
	v_add3_u32 v45, v46, v45, s14
                                        ; implicit-def: $vgpr46
; %bb.275:                              ;   in Loop: Header=BB368_171 Depth=1
	s_andn2_saveexec_b64 s[8:9], s[0:1]
; %bb.276:                              ;   in Loop: Header=BB368_171 Depth=1
	v_or_b32_e32 v45, 0x10000, v46
	v_cmp_eq_u32_sdwa s[0:1], v46, v17 src0_sel:WORD_0 src1_sel:DWORD
	s_nop 1
	v_cndmask_b32_e64 v45, v45, v46, s[0:1]
; %bb.277:                              ;   in Loop: Header=BB368_171 Depth=1
	s_or_b64 exec, exec, s[8:9]
	v_bfe_u32 v46, v4, 16, 8
	v_cvt_f32_fp8_sdwa v46, v46 src0_sel:BYTE_0
	s_nop 0
	v_mul_f32_e32 v47, s10, v46
	v_and_b32_e32 v46, 0x7f800000, v47
	v_cmp_ne_u32_e64 s[0:1], s13, v46
                                        ; implicit-def: $vgpr46
	s_and_saveexec_b64 s[8:9], s[0:1]
	s_xor_b64 s[0:1], exec, s[8:9]
; %bb.278:                              ;   in Loop: Header=BB368_171 Depth=1
	v_bfe_u32 v46, v47, 16, 1
	v_add3_u32 v46, v47, v46, s14
                                        ; implicit-def: $vgpr47
; %bb.279:                              ;   in Loop: Header=BB368_171 Depth=1
	s_andn2_saveexec_b64 s[8:9], s[0:1]
; %bb.280:                              ;   in Loop: Header=BB368_171 Depth=1
	v_or_b32_e32 v46, 0x10000, v47
	v_cmp_eq_u32_sdwa s[0:1], v47, v17 src0_sel:WORD_0 src1_sel:DWORD
	s_nop 1
	v_cndmask_b32_e64 v46, v46, v47, s[0:1]
; %bb.281:                              ;   in Loop: Header=BB368_171 Depth=1
	s_or_b64 exec, exec, s[8:9]
	v_lshrrev_b32_e32 v4, 24, v4
	v_cvt_f32_fp8_sdwa v4, v4 src0_sel:BYTE_0
	s_nop 0
	v_mul_f32_e32 v47, s10, v4
	v_and_b32_e32 v4, 0x7f800000, v47
	v_cmp_ne_u32_e64 s[0:1], s13, v4
                                        ; implicit-def: $vgpr4
	s_and_saveexec_b64 s[8:9], s[0:1]
	s_xor_b64 s[0:1], exec, s[8:9]
; %bb.282:                              ;   in Loop: Header=BB368_171 Depth=1
	v_bfe_u32 v4, v47, 16, 1
	v_add3_u32 v4, v47, v4, s14
                                        ; implicit-def: $vgpr47
; %bb.283:                              ;   in Loop: Header=BB368_171 Depth=1
	s_andn2_saveexec_b64 s[8:9], s[0:1]
; %bb.284:                              ;   in Loop: Header=BB368_171 Depth=1
	v_or_b32_e32 v4, 0x10000, v47
	v_cmp_eq_u32_sdwa s[0:1], v47, v17 src0_sel:WORD_0 src1_sel:DWORD
	s_nop 1
	v_cndmask_b32_e64 v4, v4, v47, s[0:1]
; %bb.285:                              ;   in Loop: Header=BB368_171 Depth=1
	s_or_b64 exec, exec, s[8:9]
	v_and_b32_e32 v47, 0xff, v5
	v_cvt_f32_fp8_sdwa v47, v47 src0_sel:BYTE_0
	s_nop 0
	v_mul_f32_e32 v48, s10, v47
	v_and_b32_e32 v47, 0x7f800000, v48
	v_cmp_ne_u32_e64 s[0:1], s13, v47
                                        ; implicit-def: $vgpr47
	s_and_saveexec_b64 s[8:9], s[0:1]
	s_xor_b64 s[0:1], exec, s[8:9]
; %bb.286:                              ;   in Loop: Header=BB368_171 Depth=1
	v_bfe_u32 v47, v48, 16, 1
	v_add3_u32 v47, v48, v47, s14
                                        ; implicit-def: $vgpr48
; %bb.287:                              ;   in Loop: Header=BB368_171 Depth=1
	s_andn2_saveexec_b64 s[8:9], s[0:1]
; %bb.288:                              ;   in Loop: Header=BB368_171 Depth=1
	v_or_b32_e32 v47, 0x10000, v48
	v_cmp_eq_u32_sdwa s[0:1], v48, v17 src0_sel:WORD_0 src1_sel:DWORD
	s_nop 1
	v_cndmask_b32_e64 v47, v47, v48, s[0:1]
; %bb.289:                              ;   in Loop: Header=BB368_171 Depth=1
	s_or_b64 exec, exec, s[8:9]
	v_bfe_u32 v48, v5, 8, 8
	v_cvt_f32_fp8_sdwa v48, v48 src0_sel:BYTE_0
	s_nop 0
	v_mul_f32_e32 v49, s10, v48
	v_and_b32_e32 v48, 0x7f800000, v49
	v_cmp_ne_u32_e64 s[0:1], s13, v48
                                        ; implicit-def: $vgpr48
	s_and_saveexec_b64 s[8:9], s[0:1]
	s_xor_b64 s[0:1], exec, s[8:9]
; %bb.290:                              ;   in Loop: Header=BB368_171 Depth=1
	v_bfe_u32 v48, v49, 16, 1
	v_add3_u32 v48, v49, v48, s14
                                        ; implicit-def: $vgpr49
; %bb.291:                              ;   in Loop: Header=BB368_171 Depth=1
	s_andn2_saveexec_b64 s[8:9], s[0:1]
; %bb.292:                              ;   in Loop: Header=BB368_171 Depth=1
	v_or_b32_e32 v48, 0x10000, v49
	v_cmp_eq_u32_sdwa s[0:1], v49, v17 src0_sel:WORD_0 src1_sel:DWORD
	s_nop 1
	v_cndmask_b32_e64 v48, v48, v49, s[0:1]
; %bb.293:                              ;   in Loop: Header=BB368_171 Depth=1
	s_or_b64 exec, exec, s[8:9]
	v_bfe_u32 v49, v5, 16, 8
	v_cvt_f32_fp8_sdwa v49, v49 src0_sel:BYTE_0
	s_nop 0
	v_mul_f32_e32 v49, s10, v49
	v_and_b32_e32 v50, 0x7f800000, v49
	v_cmp_ne_u32_e64 s[0:1], s13, v50
                                        ; implicit-def: $vgpr50
	s_and_saveexec_b64 s[8:9], s[0:1]
	s_xor_b64 s[0:1], exec, s[8:9]
; %bb.294:                              ;   in Loop: Header=BB368_171 Depth=1
	v_bfe_u32 v50, v49, 16, 1
	v_add3_u32 v50, v49, v50, s14
                                        ; implicit-def: $vgpr49
; %bb.295:                              ;   in Loop: Header=BB368_171 Depth=1
	s_andn2_saveexec_b64 s[8:9], s[0:1]
; %bb.296:                              ;   in Loop: Header=BB368_171 Depth=1
	v_or_b32_e32 v50, 0x10000, v49
	v_cmp_eq_u32_sdwa s[0:1], v49, v17 src0_sel:WORD_0 src1_sel:DWORD
	s_nop 1
	v_cndmask_b32_e64 v50, v50, v49, s[0:1]
; %bb.297:                              ;   in Loop: Header=BB368_171 Depth=1
	s_or_b64 exec, exec, s[8:9]
	v_lshrrev_b32_e32 v5, 24, v5
	v_cvt_f32_fp8_sdwa v5, v5 src0_sel:BYTE_0
                                        ; implicit-def: $vgpr51
	s_nop 0
	v_mul_f32_e32 v5, s10, v5
	v_and_b32_e32 v49, 0x7f800000, v5
	v_cmp_ne_u32_e64 s[0:1], s13, v49
	s_and_saveexec_b64 s[8:9], s[0:1]
	s_xor_b64 s[0:1], exec, s[8:9]
; %bb.298:                              ;   in Loop: Header=BB368_171 Depth=1
	v_bfe_u32 v49, v5, 16, 1
	v_add3_u32 v51, v5, v49, s14
                                        ; implicit-def: $vgpr5
; %bb.299:                              ;   in Loop: Header=BB368_171 Depth=1
	s_andn2_saveexec_b64 s[8:9], s[0:1]
; %bb.300:                              ;   in Loop: Header=BB368_171 Depth=1
	v_or_b32_e32 v49, 0x10000, v5
	v_cmp_eq_u32_sdwa s[0:1], v5, v17 src0_sel:WORD_0 src1_sel:DWORD
	s_nop 1
	v_cndmask_b32_e64 v51, v49, v5, s[0:1]
; %bb.301:                              ;   in Loop: Header=BB368_171 Depth=1
	s_or_b64 exec, exec, s[8:9]
	v_lshrrev_b32_e32 v49, 16, v48
	v_lshrrev_b32_e32 v48, 16, v47
	;; [unrolled: 1-line block ×8, first 2 shown]
	s_and_saveexec_b64 s[8:9], vcc
	s_cbranch_execz .LBB368_303
; %bb.302:                              ;   in Loop: Header=BB368_171 Depth=1
	v_cmp_gt_i32_e64 s[0:1], s33, v28
	s_nop 1
	v_cndmask_b32_e64 v44, 0, v44, s[0:1]
	v_cmp_gt_i32_e64 s[0:1], s33, v34
	s_nop 1
	v_cndmask_b32_e64 v45, 0, v45, s[0:1]
	;; [unrolled: 3-line block ×8, first 2 shown]
.LBB368_303:                            ;   in Loop: Header=BB368_171 Depth=1
	s_or_b64 exec, exec, s[8:9]
	v_lshlrev_b32_e32 v44, 16, v44
	v_mul_f32_e32 v50, v36, v44
	v_and_b32_e32 v44, 0x7f800000, v50
	v_cmp_ne_u32_e64 s[0:1], s13, v44
                                        ; implicit-def: $vgpr44
	s_and_saveexec_b64 s[8:9], s[0:1]
	s_xor_b64 s[0:1], exec, s[8:9]
; %bb.304:                              ;   in Loop: Header=BB368_171 Depth=1
	v_bfe_u32 v44, v50, 16, 1
	v_add3_u32 v44, v50, v44, s14
                                        ; implicit-def: $vgpr50
; %bb.305:                              ;   in Loop: Header=BB368_171 Depth=1
	s_andn2_saveexec_b64 s[8:9], s[0:1]
; %bb.306:                              ;   in Loop: Header=BB368_171 Depth=1
	v_or_b32_e32 v44, 0x10000, v50
	v_cmp_eq_u32_sdwa s[0:1], v50, v17 src0_sel:WORD_0 src1_sel:DWORD
	s_nop 1
	v_cndmask_b32_e64 v44, v44, v50, s[0:1]
; %bb.307:                              ;   in Loop: Header=BB368_171 Depth=1
	s_or_b64 exec, exec, s[8:9]
	v_lshlrev_b32_e32 v45, 16, v45
	v_mul_f32_e32 v50, v37, v45
	v_and_b32_e32 v45, 0x7f800000, v50
	v_cmp_ne_u32_e64 s[0:1], s13, v45
                                        ; implicit-def: $vgpr45
	s_and_saveexec_b64 s[8:9], s[0:1]
	s_xor_b64 s[0:1], exec, s[8:9]
; %bb.308:                              ;   in Loop: Header=BB368_171 Depth=1
	v_bfe_u32 v45, v50, 16, 1
	v_add3_u32 v45, v50, v45, s14
                                        ; implicit-def: $vgpr50
; %bb.309:                              ;   in Loop: Header=BB368_171 Depth=1
	s_andn2_saveexec_b64 s[8:9], s[0:1]
; %bb.310:                              ;   in Loop: Header=BB368_171 Depth=1
	v_or_b32_e32 v45, 0x10000, v50
	v_cmp_eq_u32_sdwa s[0:1], v50, v17 src0_sel:WORD_0 src1_sel:DWORD
	s_nop 1
	v_cndmask_b32_e64 v45, v45, v50, s[0:1]
; %bb.311:                              ;   in Loop: Header=BB368_171 Depth=1
	s_or_b64 exec, exec, s[8:9]
	v_lshlrev_b32_e32 v46, 16, v46
	v_mul_f32_e32 v50, v38, v46
	v_and_b32_e32 v46, 0x7f800000, v50
	v_cmp_ne_u32_e64 s[0:1], s13, v46
                                        ; implicit-def: $vgpr46
	s_and_saveexec_b64 s[8:9], s[0:1]
	s_xor_b64 s[0:1], exec, s[8:9]
; %bb.312:                              ;   in Loop: Header=BB368_171 Depth=1
	v_bfe_u32 v46, v50, 16, 1
	v_add3_u32 v46, v50, v46, s14
                                        ; implicit-def: $vgpr50
; %bb.313:                              ;   in Loop: Header=BB368_171 Depth=1
	s_andn2_saveexec_b64 s[8:9], s[0:1]
; %bb.314:                              ;   in Loop: Header=BB368_171 Depth=1
	v_or_b32_e32 v46, 0x10000, v50
	v_cmp_eq_u32_sdwa s[0:1], v50, v17 src0_sel:WORD_0 src1_sel:DWORD
	s_nop 1
	v_cndmask_b32_e64 v46, v46, v50, s[0:1]
; %bb.315:                              ;   in Loop: Header=BB368_171 Depth=1
	s_or_b64 exec, exec, s[8:9]
	v_lshlrev_b32_e32 v47, 16, v47
	v_mul_f32_e32 v50, v39, v47
	v_and_b32_e32 v47, 0x7f800000, v50
	v_cmp_ne_u32_e64 s[0:1], s13, v47
                                        ; implicit-def: $vgpr47
	s_and_saveexec_b64 s[8:9], s[0:1]
	s_xor_b64 s[0:1], exec, s[8:9]
; %bb.316:                              ;   in Loop: Header=BB368_171 Depth=1
	v_bfe_u32 v47, v50, 16, 1
	v_add3_u32 v47, v50, v47, s14
                                        ; implicit-def: $vgpr50
; %bb.317:                              ;   in Loop: Header=BB368_171 Depth=1
	s_andn2_saveexec_b64 s[8:9], s[0:1]
; %bb.318:                              ;   in Loop: Header=BB368_171 Depth=1
	v_or_b32_e32 v47, 0x10000, v50
	v_cmp_eq_u32_sdwa s[0:1], v50, v17 src0_sel:WORD_0 src1_sel:DWORD
	s_nop 1
	v_cndmask_b32_e64 v47, v47, v50, s[0:1]
; %bb.319:                              ;   in Loop: Header=BB368_171 Depth=1
	s_or_b64 exec, exec, s[8:9]
	v_lshlrev_b32_e32 v48, 16, v48
	v_mul_f32_e32 v50, v40, v48
	v_and_b32_e32 v48, 0x7f800000, v50
	v_cmp_ne_u32_e64 s[0:1], s13, v48
                                        ; implicit-def: $vgpr48
	s_and_saveexec_b64 s[8:9], s[0:1]
	s_xor_b64 s[0:1], exec, s[8:9]
; %bb.320:                              ;   in Loop: Header=BB368_171 Depth=1
	v_bfe_u32 v48, v50, 16, 1
	v_add3_u32 v48, v50, v48, s14
                                        ; implicit-def: $vgpr50
; %bb.321:                              ;   in Loop: Header=BB368_171 Depth=1
	s_andn2_saveexec_b64 s[8:9], s[0:1]
; %bb.322:                              ;   in Loop: Header=BB368_171 Depth=1
	v_or_b32_e32 v48, 0x10000, v50
	v_cmp_eq_u32_sdwa s[0:1], v50, v17 src0_sel:WORD_0 src1_sel:DWORD
	s_nop 1
	v_cndmask_b32_e64 v48, v48, v50, s[0:1]
; %bb.323:                              ;   in Loop: Header=BB368_171 Depth=1
	s_or_b64 exec, exec, s[8:9]
	v_lshlrev_b32_e32 v49, 16, v49
	v_mul_f32_e32 v50, v41, v49
	v_and_b32_e32 v49, 0x7f800000, v50
	v_cmp_ne_u32_e64 s[0:1], s13, v49
                                        ; implicit-def: $vgpr49
	s_and_saveexec_b64 s[8:9], s[0:1]
	s_xor_b64 s[0:1], exec, s[8:9]
; %bb.324:                              ;   in Loop: Header=BB368_171 Depth=1
	v_bfe_u32 v49, v50, 16, 1
	v_add3_u32 v49, v50, v49, s14
                                        ; implicit-def: $vgpr50
; %bb.325:                              ;   in Loop: Header=BB368_171 Depth=1
	s_andn2_saveexec_b64 s[8:9], s[0:1]
; %bb.326:                              ;   in Loop: Header=BB368_171 Depth=1
	v_or_b32_e32 v49, 0x10000, v50
	v_cmp_eq_u32_sdwa s[0:1], v50, v17 src0_sel:WORD_0 src1_sel:DWORD
	s_nop 1
	v_cndmask_b32_e64 v49, v49, v50, s[0:1]
; %bb.327:                              ;   in Loop: Header=BB368_171 Depth=1
	s_or_b64 exec, exec, s[8:9]
	v_lshlrev_b32_e32 v5, 16, v5
	v_mul_f32_e32 v5, v42, v5
	v_and_b32_e32 v50, 0x7f800000, v5
	v_cmp_ne_u32_e64 s[0:1], s13, v50
                                        ; implicit-def: $vgpr50
	s_and_saveexec_b64 s[8:9], s[0:1]
	s_xor_b64 s[0:1], exec, s[8:9]
; %bb.328:                              ;   in Loop: Header=BB368_171 Depth=1
	v_bfe_u32 v50, v5, 16, 1
	v_add3_u32 v50, v5, v50, s14
                                        ; implicit-def: $vgpr5
; %bb.329:                              ;   in Loop: Header=BB368_171 Depth=1
	s_andn2_saveexec_b64 s[8:9], s[0:1]
; %bb.330:                              ;   in Loop: Header=BB368_171 Depth=1
	v_or_b32_e32 v50, 0x10000, v5
	v_cmp_eq_u32_sdwa s[0:1], v5, v17 src0_sel:WORD_0 src1_sel:DWORD
	s_nop 1
	v_cndmask_b32_e64 v50, v50, v5, s[0:1]
; %bb.331:                              ;   in Loop: Header=BB368_171 Depth=1
	s_or_b64 exec, exec, s[8:9]
	v_lshlrev_b32_e32 v4, 16, v4
	v_mul_f32_e32 v4, v43, v4
	v_and_b32_e32 v5, 0x7f800000, v4
	v_cmp_ne_u32_e64 s[0:1], s13, v5
                                        ; implicit-def: $vgpr51
	s_and_saveexec_b64 s[8:9], s[0:1]
	s_xor_b64 s[0:1], exec, s[8:9]
; %bb.332:                              ;   in Loop: Header=BB368_171 Depth=1
	v_bfe_u32 v5, v4, 16, 1
	v_add3_u32 v51, v4, v5, s14
                                        ; implicit-def: $vgpr4
; %bb.333:                              ;   in Loop: Header=BB368_171 Depth=1
	s_andn2_saveexec_b64 s[8:9], s[0:1]
; %bb.334:                              ;   in Loop: Header=BB368_171 Depth=1
	v_or_b32_e32 v5, 0x10000, v4
	v_cmp_eq_u32_sdwa s[0:1], v4, v17 src0_sel:WORD_0 src1_sel:DWORD
	s_nop 1
	v_cndmask_b32_e64 v51, v5, v4, s[0:1]
; %bb.335:                              ;   in Loop: Header=BB368_171 Depth=1
	s_or_b64 exec, exec, s[8:9]
	global_load_dwordx2 v[4:5], v[2:3], off offset:1024
	s_waitcnt vmcnt(0)
	v_and_b32_e32 v52, 0xff, v4
	v_cvt_f32_fp8_sdwa v52, v52 src0_sel:BYTE_0
	s_nop 0
	v_mul_f32_e32 v53, s10, v52
	v_and_b32_e32 v52, 0x7f800000, v53
	v_cmp_ne_u32_e64 s[0:1], s13, v52
                                        ; implicit-def: $vgpr52
	s_and_saveexec_b64 s[8:9], s[0:1]
	s_xor_b64 s[0:1], exec, s[8:9]
; %bb.336:                              ;   in Loop: Header=BB368_171 Depth=1
	v_bfe_u32 v52, v53, 16, 1
	v_add3_u32 v52, v53, v52, s14
                                        ; implicit-def: $vgpr53
; %bb.337:                              ;   in Loop: Header=BB368_171 Depth=1
	s_andn2_saveexec_b64 s[8:9], s[0:1]
; %bb.338:                              ;   in Loop: Header=BB368_171 Depth=1
	v_or_b32_e32 v52, 0x10000, v53
	v_cmp_eq_u32_sdwa s[0:1], v53, v17 src0_sel:WORD_0 src1_sel:DWORD
	s_nop 1
	v_cndmask_b32_e64 v52, v52, v53, s[0:1]
; %bb.339:                              ;   in Loop: Header=BB368_171 Depth=1
	s_or_b64 exec, exec, s[8:9]
	v_bfe_u32 v53, v4, 8, 8
	v_cvt_f32_fp8_sdwa v53, v53 src0_sel:BYTE_0
	s_nop 0
	v_mul_f32_e32 v54, s10, v53
	v_and_b32_e32 v53, 0x7f800000, v54
	v_cmp_ne_u32_e64 s[0:1], s13, v53
                                        ; implicit-def: $vgpr53
	s_and_saveexec_b64 s[8:9], s[0:1]
	s_xor_b64 s[0:1], exec, s[8:9]
; %bb.340:                              ;   in Loop: Header=BB368_171 Depth=1
	v_bfe_u32 v53, v54, 16, 1
	v_add3_u32 v53, v54, v53, s14
                                        ; implicit-def: $vgpr54
; %bb.341:                              ;   in Loop: Header=BB368_171 Depth=1
	s_andn2_saveexec_b64 s[8:9], s[0:1]
; %bb.342:                              ;   in Loop: Header=BB368_171 Depth=1
	v_or_b32_e32 v53, 0x10000, v54
	v_cmp_eq_u32_sdwa s[0:1], v54, v17 src0_sel:WORD_0 src1_sel:DWORD
	s_nop 1
	v_cndmask_b32_e64 v53, v53, v54, s[0:1]
; %bb.343:                              ;   in Loop: Header=BB368_171 Depth=1
	s_or_b64 exec, exec, s[8:9]
	v_bfe_u32 v54, v4, 16, 8
	v_cvt_f32_fp8_sdwa v54, v54 src0_sel:BYTE_0
	s_nop 0
	v_mul_f32_e32 v55, s10, v54
	v_and_b32_e32 v54, 0x7f800000, v55
	v_cmp_ne_u32_e64 s[0:1], s13, v54
                                        ; implicit-def: $vgpr54
	s_and_saveexec_b64 s[8:9], s[0:1]
	s_xor_b64 s[0:1], exec, s[8:9]
; %bb.344:                              ;   in Loop: Header=BB368_171 Depth=1
	v_bfe_u32 v54, v55, 16, 1
	v_add3_u32 v54, v55, v54, s14
                                        ; implicit-def: $vgpr55
; %bb.345:                              ;   in Loop: Header=BB368_171 Depth=1
	s_andn2_saveexec_b64 s[8:9], s[0:1]
; %bb.346:                              ;   in Loop: Header=BB368_171 Depth=1
	v_or_b32_e32 v54, 0x10000, v55
	v_cmp_eq_u32_sdwa s[0:1], v55, v17 src0_sel:WORD_0 src1_sel:DWORD
	s_nop 1
	v_cndmask_b32_e64 v54, v54, v55, s[0:1]
; %bb.347:                              ;   in Loop: Header=BB368_171 Depth=1
	s_or_b64 exec, exec, s[8:9]
	v_lshrrev_b32_e32 v4, 24, v4
	v_cvt_f32_fp8_sdwa v4, v4 src0_sel:BYTE_0
	s_nop 0
	v_mul_f32_e32 v55, s10, v4
	v_and_b32_e32 v4, 0x7f800000, v55
	v_cmp_ne_u32_e64 s[0:1], s13, v4
                                        ; implicit-def: $vgpr4
	s_and_saveexec_b64 s[8:9], s[0:1]
	s_xor_b64 s[0:1], exec, s[8:9]
; %bb.348:                              ;   in Loop: Header=BB368_171 Depth=1
	v_bfe_u32 v4, v55, 16, 1
	v_add3_u32 v4, v55, v4, s14
                                        ; implicit-def: $vgpr55
; %bb.349:                              ;   in Loop: Header=BB368_171 Depth=1
	s_andn2_saveexec_b64 s[8:9], s[0:1]
; %bb.350:                              ;   in Loop: Header=BB368_171 Depth=1
	v_or_b32_e32 v4, 0x10000, v55
	v_cmp_eq_u32_sdwa s[0:1], v55, v17 src0_sel:WORD_0 src1_sel:DWORD
	s_nop 1
	v_cndmask_b32_e64 v4, v4, v55, s[0:1]
; %bb.351:                              ;   in Loop: Header=BB368_171 Depth=1
	s_or_b64 exec, exec, s[8:9]
	v_and_b32_e32 v55, 0xff, v5
	v_cvt_f32_fp8_sdwa v55, v55 src0_sel:BYTE_0
	s_nop 0
	v_mul_f32_e32 v55, s10, v55
	v_and_b32_e32 v56, 0x7f800000, v55
	v_cmp_ne_u32_e64 s[0:1], s13, v56
                                        ; implicit-def: $vgpr56
	s_and_saveexec_b64 s[8:9], s[0:1]
	s_xor_b64 s[0:1], exec, s[8:9]
; %bb.352:                              ;   in Loop: Header=BB368_171 Depth=1
	v_bfe_u32 v56, v55, 16, 1
	v_add3_u32 v56, v55, v56, s14
                                        ; implicit-def: $vgpr55
; %bb.353:                              ;   in Loop: Header=BB368_171 Depth=1
	s_andn2_saveexec_b64 s[8:9], s[0:1]
; %bb.354:                              ;   in Loop: Header=BB368_171 Depth=1
	v_or_b32_e32 v56, 0x10000, v55
	v_cmp_eq_u32_sdwa s[0:1], v55, v17 src0_sel:WORD_0 src1_sel:DWORD
	s_nop 1
	v_cndmask_b32_e64 v56, v56, v55, s[0:1]
; %bb.355:                              ;   in Loop: Header=BB368_171 Depth=1
	s_or_b64 exec, exec, s[8:9]
	v_bfe_u32 v55, v5, 8, 8
	v_cvt_f32_fp8_sdwa v55, v55 src0_sel:BYTE_0
	s_nop 0
	v_mul_f32_e32 v57, s10, v55
	v_and_b32_e32 v55, 0x7f800000, v57
	v_cmp_ne_u32_e64 s[0:1], s13, v55
                                        ; implicit-def: $vgpr55
	s_and_saveexec_b64 s[8:9], s[0:1]
	s_xor_b64 s[0:1], exec, s[8:9]
; %bb.356:                              ;   in Loop: Header=BB368_171 Depth=1
	v_bfe_u32 v55, v57, 16, 1
	v_add3_u32 v55, v57, v55, s14
                                        ; implicit-def: $vgpr57
; %bb.357:                              ;   in Loop: Header=BB368_171 Depth=1
	s_andn2_saveexec_b64 s[8:9], s[0:1]
; %bb.358:                              ;   in Loop: Header=BB368_171 Depth=1
	v_or_b32_e32 v55, 0x10000, v57
	v_cmp_eq_u32_sdwa s[0:1], v57, v17 src0_sel:WORD_0 src1_sel:DWORD
	s_nop 1
	v_cndmask_b32_e64 v55, v55, v57, s[0:1]
; %bb.359:                              ;   in Loop: Header=BB368_171 Depth=1
	s_or_b64 exec, exec, s[8:9]
	v_bfe_u32 v57, v5, 16, 8
	v_cvt_f32_fp8_sdwa v57, v57 src0_sel:BYTE_0
	s_nop 0
	v_mul_f32_e32 v58, s10, v57
	v_and_b32_e32 v57, 0x7f800000, v58
	v_cmp_ne_u32_e64 s[0:1], s13, v57
                                        ; implicit-def: $vgpr57
	s_and_saveexec_b64 s[8:9], s[0:1]
	s_xor_b64 s[0:1], exec, s[8:9]
; %bb.360:                              ;   in Loop: Header=BB368_171 Depth=1
	v_bfe_u32 v57, v58, 16, 1
	v_add3_u32 v57, v58, v57, s14
                                        ; implicit-def: $vgpr58
; %bb.361:                              ;   in Loop: Header=BB368_171 Depth=1
	s_andn2_saveexec_b64 s[8:9], s[0:1]
; %bb.362:                              ;   in Loop: Header=BB368_171 Depth=1
	v_or_b32_e32 v57, 0x10000, v58
	v_cmp_eq_u32_sdwa s[0:1], v58, v17 src0_sel:WORD_0 src1_sel:DWORD
	s_nop 1
	v_cndmask_b32_e64 v57, v57, v58, s[0:1]
; %bb.363:                              ;   in Loop: Header=BB368_171 Depth=1
	s_or_b64 exec, exec, s[8:9]
	v_lshrrev_b32_e32 v5, 24, v5
	v_cvt_f32_fp8_sdwa v5, v5 src0_sel:BYTE_0
                                        ; implicit-def: $vgpr60
	s_nop 0
	v_mul_f32_e32 v5, s10, v5
	v_and_b32_e32 v58, 0x7f800000, v5
	v_cmp_ne_u32_e64 s[0:1], s13, v58
	s_and_saveexec_b64 s[8:9], s[0:1]
	s_xor_b64 s[0:1], exec, s[8:9]
; %bb.364:                              ;   in Loop: Header=BB368_171 Depth=1
	v_bfe_u32 v58, v5, 16, 1
	v_add3_u32 v60, v5, v58, s14
                                        ; implicit-def: $vgpr5
; %bb.365:                              ;   in Loop: Header=BB368_171 Depth=1
	s_andn2_saveexec_b64 s[8:9], s[0:1]
; %bb.366:                              ;   in Loop: Header=BB368_171 Depth=1
	v_or_b32_e32 v58, 0x10000, v5
	v_cmp_eq_u32_sdwa s[0:1], v5, v17 src0_sel:WORD_0 src1_sel:DWORD
	s_nop 1
	v_cndmask_b32_e64 v60, v58, v5, s[0:1]
; %bb.367:                              ;   in Loop: Header=BB368_171 Depth=1
	s_or_b64 exec, exec, s[8:9]
	v_lshrrev_b32_e32 v55, 16, v55
	v_lshrrev_b32_e32 v58, 16, v56
	v_lshrrev_b32_e32 v59, 16, v4
	v_lshrrev_b32_e32 v54, 16, v54
	v_lshrrev_b32_e32 v5, 16, v53
	v_lshrrev_b32_e32 v4, 16, v52
	v_lshrrev_b32_e32 v56, 16, v57
	v_lshrrev_b32_e32 v57, 16, v60
	s_and_saveexec_b64 s[8:9], vcc
	s_cbranch_execz .LBB368_369
; %bb.368:                              ;   in Loop: Header=BB368_171 Depth=1
	v_cmp_gt_i32_e64 s[0:1], s33, v28
	s_nop 1
	v_cndmask_b32_e64 v4, 0, v4, s[0:1]
	v_cmp_gt_i32_e64 s[0:1], s33, v34
	s_nop 1
	v_cndmask_b32_e64 v5, 0, v5, s[0:1]
	;; [unrolled: 3-line block ×8, first 2 shown]
.LBB368_369:                            ;   in Loop: Header=BB368_171 Depth=1
	s_or_b64 exec, exec, s[8:9]
	v_lshlrev_b32_e32 v4, 16, v4
	v_mul_f32_e32 v52, v36, v4
	v_and_b32_e32 v4, 0x7f800000, v52
	v_cmp_ne_u32_e64 s[0:1], s13, v4
                                        ; implicit-def: $vgpr4
	s_and_saveexec_b64 s[8:9], s[0:1]
	s_xor_b64 s[0:1], exec, s[8:9]
; %bb.370:                              ;   in Loop: Header=BB368_171 Depth=1
	v_bfe_u32 v4, v52, 16, 1
	v_add3_u32 v4, v52, v4, s14
                                        ; implicit-def: $vgpr52
; %bb.371:                              ;   in Loop: Header=BB368_171 Depth=1
	s_andn2_saveexec_b64 s[8:9], s[0:1]
; %bb.372:                              ;   in Loop: Header=BB368_171 Depth=1
	v_or_b32_e32 v4, 0x10000, v52
	v_cmp_eq_u32_sdwa s[0:1], v52, v17 src0_sel:WORD_0 src1_sel:DWORD
	s_nop 1
	v_cndmask_b32_e64 v4, v4, v52, s[0:1]
; %bb.373:                              ;   in Loop: Header=BB368_171 Depth=1
	s_or_b64 exec, exec, s[8:9]
	v_lshlrev_b32_e32 v5, 16, v5
	v_mul_f32_e32 v52, v37, v5
	v_and_b32_e32 v5, 0x7f800000, v52
	v_cmp_ne_u32_e64 s[0:1], s13, v5
                                        ; implicit-def: $vgpr5
	s_and_saveexec_b64 s[8:9], s[0:1]
	s_xor_b64 s[0:1], exec, s[8:9]
; %bb.374:                              ;   in Loop: Header=BB368_171 Depth=1
	v_bfe_u32 v5, v52, 16, 1
	v_add3_u32 v5, v52, v5, s14
                                        ; implicit-def: $vgpr52
; %bb.375:                              ;   in Loop: Header=BB368_171 Depth=1
	s_andn2_saveexec_b64 s[8:9], s[0:1]
; %bb.376:                              ;   in Loop: Header=BB368_171 Depth=1
	v_or_b32_e32 v5, 0x10000, v52
	v_cmp_eq_u32_sdwa s[0:1], v52, v17 src0_sel:WORD_0 src1_sel:DWORD
	s_nop 1
	v_cndmask_b32_e64 v5, v5, v52, s[0:1]
; %bb.377:                              ;   in Loop: Header=BB368_171 Depth=1
	s_or_b64 exec, exec, s[8:9]
	v_lshlrev_b32_e32 v52, 16, v54
	v_mul_f32_e32 v53, v38, v52
	v_and_b32_e32 v52, 0x7f800000, v53
	v_cmp_ne_u32_e64 s[0:1], s13, v52
                                        ; implicit-def: $vgpr52
	s_and_saveexec_b64 s[8:9], s[0:1]
	s_xor_b64 s[0:1], exec, s[8:9]
; %bb.378:                              ;   in Loop: Header=BB368_171 Depth=1
	v_bfe_u32 v52, v53, 16, 1
	v_add3_u32 v52, v53, v52, s14
                                        ; implicit-def: $vgpr53
; %bb.379:                              ;   in Loop: Header=BB368_171 Depth=1
	s_andn2_saveexec_b64 s[8:9], s[0:1]
; %bb.380:                              ;   in Loop: Header=BB368_171 Depth=1
	v_or_b32_e32 v52, 0x10000, v53
	v_cmp_eq_u32_sdwa s[0:1], v53, v17 src0_sel:WORD_0 src1_sel:DWORD
	s_nop 1
	v_cndmask_b32_e64 v52, v52, v53, s[0:1]
; %bb.381:                              ;   in Loop: Header=BB368_171 Depth=1
	s_or_b64 exec, exec, s[8:9]
	v_lshlrev_b32_e32 v53, 16, v59
	v_mul_f32_e32 v54, v39, v53
	v_and_b32_e32 v53, 0x7f800000, v54
	v_cmp_ne_u32_e64 s[0:1], s13, v53
                                        ; implicit-def: $vgpr53
	s_and_saveexec_b64 s[8:9], s[0:1]
	s_xor_b64 s[0:1], exec, s[8:9]
; %bb.382:                              ;   in Loop: Header=BB368_171 Depth=1
	v_bfe_u32 v53, v54, 16, 1
	v_add3_u32 v53, v54, v53, s14
                                        ; implicit-def: $vgpr54
; %bb.383:                              ;   in Loop: Header=BB368_171 Depth=1
	s_andn2_saveexec_b64 s[8:9], s[0:1]
; %bb.384:                              ;   in Loop: Header=BB368_171 Depth=1
	v_or_b32_e32 v53, 0x10000, v54
	v_cmp_eq_u32_sdwa s[0:1], v54, v17 src0_sel:WORD_0 src1_sel:DWORD
	s_nop 1
	v_cndmask_b32_e64 v53, v53, v54, s[0:1]
; %bb.385:                              ;   in Loop: Header=BB368_171 Depth=1
	s_or_b64 exec, exec, s[8:9]
	v_lshlrev_b32_e32 v54, 16, v58
	v_mul_f32_e32 v58, v40, v54
	v_and_b32_e32 v54, 0x7f800000, v58
	v_cmp_ne_u32_e64 s[0:1], s13, v54
                                        ; implicit-def: $vgpr54
	s_and_saveexec_b64 s[8:9], s[0:1]
	s_xor_b64 s[0:1], exec, s[8:9]
; %bb.386:                              ;   in Loop: Header=BB368_171 Depth=1
	v_bfe_u32 v54, v58, 16, 1
	v_add3_u32 v54, v58, v54, s14
                                        ; implicit-def: $vgpr58
; %bb.387:                              ;   in Loop: Header=BB368_171 Depth=1
	s_andn2_saveexec_b64 s[8:9], s[0:1]
; %bb.388:                              ;   in Loop: Header=BB368_171 Depth=1
	v_or_b32_e32 v54, 0x10000, v58
	v_cmp_eq_u32_sdwa s[0:1], v58, v17 src0_sel:WORD_0 src1_sel:DWORD
	s_nop 1
	v_cndmask_b32_e64 v54, v54, v58, s[0:1]
; %bb.389:                              ;   in Loop: Header=BB368_171 Depth=1
	s_or_b64 exec, exec, s[8:9]
	v_lshlrev_b32_e32 v55, 16, v55
	v_mul_f32_e32 v58, v41, v55
	v_and_b32_e32 v55, 0x7f800000, v58
	v_cmp_ne_u32_e64 s[0:1], s13, v55
                                        ; implicit-def: $vgpr55
	s_and_saveexec_b64 s[8:9], s[0:1]
	s_xor_b64 s[0:1], exec, s[8:9]
; %bb.390:                              ;   in Loop: Header=BB368_171 Depth=1
	v_bfe_u32 v55, v58, 16, 1
	v_add3_u32 v55, v58, v55, s14
                                        ; implicit-def: $vgpr58
; %bb.391:                              ;   in Loop: Header=BB368_171 Depth=1
	s_andn2_saveexec_b64 s[8:9], s[0:1]
; %bb.392:                              ;   in Loop: Header=BB368_171 Depth=1
	v_or_b32_e32 v55, 0x10000, v58
	v_cmp_eq_u32_sdwa s[0:1], v58, v17 src0_sel:WORD_0 src1_sel:DWORD
	s_nop 1
	v_cndmask_b32_e64 v55, v55, v58, s[0:1]
; %bb.393:                              ;   in Loop: Header=BB368_171 Depth=1
	s_or_b64 exec, exec, s[8:9]
	v_lshlrev_b32_e32 v56, 16, v56
	v_mul_f32_e32 v58, v42, v56
	v_and_b32_e32 v56, 0x7f800000, v58
	v_cmp_ne_u32_e64 s[0:1], s13, v56
                                        ; implicit-def: $vgpr56
	s_and_saveexec_b64 s[8:9], s[0:1]
	s_xor_b64 s[0:1], exec, s[8:9]
; %bb.394:                              ;   in Loop: Header=BB368_171 Depth=1
	v_bfe_u32 v56, v58, 16, 1
	v_add3_u32 v56, v58, v56, s14
                                        ; implicit-def: $vgpr58
; %bb.395:                              ;   in Loop: Header=BB368_171 Depth=1
	s_andn2_saveexec_b64 s[8:9], s[0:1]
; %bb.396:                              ;   in Loop: Header=BB368_171 Depth=1
	v_or_b32_e32 v56, 0x10000, v58
	v_cmp_eq_u32_sdwa s[0:1], v58, v17 src0_sel:WORD_0 src1_sel:DWORD
	s_nop 1
	v_cndmask_b32_e64 v56, v56, v58, s[0:1]
; %bb.397:                              ;   in Loop: Header=BB368_171 Depth=1
	s_or_b64 exec, exec, s[8:9]
	v_lshlrev_b32_e32 v57, 16, v57
	v_mul_f32_e32 v58, v43, v57
	v_and_b32_e32 v57, 0x7f800000, v58
	v_cmp_ne_u32_e64 s[0:1], s13, v57
                                        ; implicit-def: $vgpr57
	s_and_saveexec_b64 s[8:9], s[0:1]
	s_xor_b64 s[0:1], exec, s[8:9]
; %bb.398:                              ;   in Loop: Header=BB368_171 Depth=1
	v_bfe_u32 v57, v58, 16, 1
	v_add3_u32 v57, v58, v57, s14
                                        ; implicit-def: $vgpr58
; %bb.399:                              ;   in Loop: Header=BB368_171 Depth=1
	s_andn2_saveexec_b64 s[8:9], s[0:1]
; %bb.400:                              ;   in Loop: Header=BB368_171 Depth=1
	v_or_b32_e32 v57, 0x10000, v58
	v_cmp_eq_u32_sdwa s[0:1], v58, v17 src0_sel:WORD_0 src1_sel:DWORD
	s_nop 1
	v_cndmask_b32_e64 v57, v57, v58, s[0:1]
; %bb.401:                              ;   in Loop: Header=BB368_171 Depth=1
	s_or_b64 exec, exec, s[8:9]
	global_load_dwordx2 v[2:3], v[2:3], off offset:1536
	s_waitcnt vmcnt(0)
	v_and_b32_e32 v58, 0xff, v2
	v_cvt_f32_fp8_sdwa v58, v58 src0_sel:BYTE_0
	s_nop 0
	v_mul_f32_e32 v59, s10, v58
	v_and_b32_e32 v58, 0x7f800000, v59
	v_cmp_ne_u32_e64 s[0:1], s13, v58
                                        ; implicit-def: $vgpr58
	s_and_saveexec_b64 s[8:9], s[0:1]
	s_xor_b64 s[0:1], exec, s[8:9]
; %bb.402:                              ;   in Loop: Header=BB368_171 Depth=1
	v_bfe_u32 v58, v59, 16, 1
	v_add3_u32 v58, v59, v58, s14
                                        ; implicit-def: $vgpr59
; %bb.403:                              ;   in Loop: Header=BB368_171 Depth=1
	s_andn2_saveexec_b64 s[8:9], s[0:1]
; %bb.404:                              ;   in Loop: Header=BB368_171 Depth=1
	v_or_b32_e32 v58, 0x10000, v59
	v_cmp_eq_u32_sdwa s[0:1], v59, v17 src0_sel:WORD_0 src1_sel:DWORD
	s_nop 1
	v_cndmask_b32_e64 v58, v58, v59, s[0:1]
; %bb.405:                              ;   in Loop: Header=BB368_171 Depth=1
	s_or_b64 exec, exec, s[8:9]
	v_bfe_u32 v59, v2, 8, 8
	v_cvt_f32_fp8_sdwa v59, v59 src0_sel:BYTE_0
	s_nop 0
	v_mul_f32_e32 v60, s10, v59
	v_and_b32_e32 v59, 0x7f800000, v60
	v_cmp_ne_u32_e64 s[0:1], s13, v59
                                        ; implicit-def: $vgpr59
	s_and_saveexec_b64 s[8:9], s[0:1]
	s_xor_b64 s[0:1], exec, s[8:9]
; %bb.406:                              ;   in Loop: Header=BB368_171 Depth=1
	v_bfe_u32 v59, v60, 16, 1
	v_add3_u32 v59, v60, v59, s14
                                        ; implicit-def: $vgpr60
; %bb.407:                              ;   in Loop: Header=BB368_171 Depth=1
	s_andn2_saveexec_b64 s[8:9], s[0:1]
; %bb.408:                              ;   in Loop: Header=BB368_171 Depth=1
	v_or_b32_e32 v59, 0x10000, v60
	v_cmp_eq_u32_sdwa s[0:1], v60, v17 src0_sel:WORD_0 src1_sel:DWORD
	s_nop 1
	v_cndmask_b32_e64 v59, v59, v60, s[0:1]
; %bb.409:                              ;   in Loop: Header=BB368_171 Depth=1
	s_or_b64 exec, exec, s[8:9]
	v_bfe_u32 v60, v2, 16, 8
	v_cvt_f32_fp8_sdwa v60, v60 src0_sel:BYTE_0
	s_nop 0
	v_mul_f32_e32 v60, s10, v60
	v_and_b32_e32 v61, 0x7f800000, v60
	v_cmp_ne_u32_e64 s[0:1], s13, v61
                                        ; implicit-def: $vgpr61
	s_and_saveexec_b64 s[8:9], s[0:1]
	s_xor_b64 s[0:1], exec, s[8:9]
; %bb.410:                              ;   in Loop: Header=BB368_171 Depth=1
	v_bfe_u32 v61, v60, 16, 1
	v_add3_u32 v61, v60, v61, s14
                                        ; implicit-def: $vgpr60
; %bb.411:                              ;   in Loop: Header=BB368_171 Depth=1
	s_andn2_saveexec_b64 s[8:9], s[0:1]
; %bb.412:                              ;   in Loop: Header=BB368_171 Depth=1
	v_or_b32_e32 v61, 0x10000, v60
	v_cmp_eq_u32_sdwa s[0:1], v60, v17 src0_sel:WORD_0 src1_sel:DWORD
	s_nop 1
	v_cndmask_b32_e64 v61, v61, v60, s[0:1]
; %bb.413:                              ;   in Loop: Header=BB368_171 Depth=1
	s_or_b64 exec, exec, s[8:9]
	v_lshrrev_b32_e32 v2, 24, v2
	v_cvt_f32_fp8_sdwa v2, v2 src0_sel:BYTE_0
	s_nop 0
	v_mul_f32_e32 v60, s10, v2
	v_and_b32_e32 v2, 0x7f800000, v60
	v_cmp_ne_u32_e64 s[0:1], s13, v2
                                        ; implicit-def: $vgpr2
	s_and_saveexec_b64 s[8:9], s[0:1]
	s_xor_b64 s[0:1], exec, s[8:9]
; %bb.414:                              ;   in Loop: Header=BB368_171 Depth=1
	v_bfe_u32 v2, v60, 16, 1
	v_add3_u32 v2, v60, v2, s14
                                        ; implicit-def: $vgpr60
; %bb.415:                              ;   in Loop: Header=BB368_171 Depth=1
	s_andn2_saveexec_b64 s[8:9], s[0:1]
; %bb.416:                              ;   in Loop: Header=BB368_171 Depth=1
	v_or_b32_e32 v2, 0x10000, v60
	v_cmp_eq_u32_sdwa s[0:1], v60, v17 src0_sel:WORD_0 src1_sel:DWORD
	s_nop 1
	v_cndmask_b32_e64 v2, v2, v60, s[0:1]
; %bb.417:                              ;   in Loop: Header=BB368_171 Depth=1
	s_or_b64 exec, exec, s[8:9]
	v_and_b32_e32 v60, 0xff, v3
	v_cvt_f32_fp8_sdwa v60, v60 src0_sel:BYTE_0
	s_nop 0
	v_mul_f32_e32 v60, s10, v60
	v_and_b32_e32 v62, 0x7f800000, v60
	v_cmp_ne_u32_e64 s[0:1], s13, v62
                                        ; implicit-def: $vgpr62
	s_and_saveexec_b64 s[8:9], s[0:1]
	s_xor_b64 s[0:1], exec, s[8:9]
; %bb.418:                              ;   in Loop: Header=BB368_171 Depth=1
	v_bfe_u32 v62, v60, 16, 1
	v_add3_u32 v62, v60, v62, s14
                                        ; implicit-def: $vgpr60
; %bb.419:                              ;   in Loop: Header=BB368_171 Depth=1
	s_andn2_saveexec_b64 s[8:9], s[0:1]
; %bb.420:                              ;   in Loop: Header=BB368_171 Depth=1
	v_or_b32_e32 v62, 0x10000, v60
	v_cmp_eq_u32_sdwa s[0:1], v60, v17 src0_sel:WORD_0 src1_sel:DWORD
	s_nop 1
	v_cndmask_b32_e64 v62, v62, v60, s[0:1]
; %bb.421:                              ;   in Loop: Header=BB368_171 Depth=1
	s_or_b64 exec, exec, s[8:9]
	v_bfe_u32 v60, v3, 8, 8
	v_cvt_f32_fp8_sdwa v60, v60 src0_sel:BYTE_0
	s_nop 0
	v_mul_f32_e32 v63, s10, v60
	v_and_b32_e32 v60, 0x7f800000, v63
	v_cmp_ne_u32_e64 s[0:1], s13, v60
                                        ; implicit-def: $vgpr60
	s_and_saveexec_b64 s[8:9], s[0:1]
	s_xor_b64 s[0:1], exec, s[8:9]
; %bb.422:                              ;   in Loop: Header=BB368_171 Depth=1
	v_bfe_u32 v60, v63, 16, 1
	v_add3_u32 v60, v63, v60, s14
                                        ; implicit-def: $vgpr63
; %bb.423:                              ;   in Loop: Header=BB368_171 Depth=1
	s_andn2_saveexec_b64 s[8:9], s[0:1]
; %bb.424:                              ;   in Loop: Header=BB368_171 Depth=1
	v_or_b32_e32 v60, 0x10000, v63
	v_cmp_eq_u32_sdwa s[0:1], v63, v17 src0_sel:WORD_0 src1_sel:DWORD
	s_nop 1
	v_cndmask_b32_e64 v60, v60, v63, s[0:1]
; %bb.425:                              ;   in Loop: Header=BB368_171 Depth=1
	s_or_b64 exec, exec, s[8:9]
	v_bfe_u32 v63, v3, 16, 8
	v_cvt_f32_fp8_sdwa v63, v63 src0_sel:BYTE_0
	s_nop 0
	v_mul_f32_e32 v63, s10, v63
	v_and_b32_e32 v64, 0x7f800000, v63
	v_cmp_ne_u32_e64 s[0:1], s13, v64
                                        ; implicit-def: $vgpr64
	s_and_saveexec_b64 s[8:9], s[0:1]
	s_xor_b64 s[0:1], exec, s[8:9]
; %bb.426:                              ;   in Loop: Header=BB368_171 Depth=1
	v_bfe_u32 v64, v63, 16, 1
	v_add3_u32 v64, v63, v64, s14
                                        ; implicit-def: $vgpr63
; %bb.427:                              ;   in Loop: Header=BB368_171 Depth=1
	s_andn2_saveexec_b64 s[8:9], s[0:1]
; %bb.428:                              ;   in Loop: Header=BB368_171 Depth=1
	v_or_b32_e32 v64, 0x10000, v63
	v_cmp_eq_u32_sdwa s[0:1], v63, v17 src0_sel:WORD_0 src1_sel:DWORD
	s_nop 1
	v_cndmask_b32_e64 v64, v64, v63, s[0:1]
; %bb.429:                              ;   in Loop: Header=BB368_171 Depth=1
	s_or_b64 exec, exec, s[8:9]
	v_lshrrev_b32_e32 v3, 24, v3
	v_cvt_f32_fp8_sdwa v3, v3 src0_sel:BYTE_0
                                        ; implicit-def: $vgpr65
	s_nop 0
	v_mul_f32_e32 v3, s10, v3
	v_and_b32_e32 v63, 0x7f800000, v3
	v_cmp_ne_u32_e64 s[0:1], s13, v63
	s_and_saveexec_b64 s[8:9], s[0:1]
	s_xor_b64 s[0:1], exec, s[8:9]
; %bb.430:                              ;   in Loop: Header=BB368_171 Depth=1
	v_bfe_u32 v63, v3, 16, 1
	v_add3_u32 v65, v3, v63, s14
                                        ; implicit-def: $vgpr3
; %bb.431:                              ;   in Loop: Header=BB368_171 Depth=1
	s_andn2_saveexec_b64 s[8:9], s[0:1]
; %bb.432:                              ;   in Loop: Header=BB368_171 Depth=1
	v_or_b32_e32 v63, 0x10000, v3
	v_cmp_eq_u32_sdwa s[0:1], v3, v17 src0_sel:WORD_0 src1_sel:DWORD
	s_nop 1
	v_cndmask_b32_e64 v65, v63, v3, s[0:1]
; %bb.433:                              ;   in Loop: Header=BB368_171 Depth=1
	s_or_b64 exec, exec, s[8:9]
	v_lshrrev_b32_e32 v60, 16, v60
	v_lshrrev_b32_e32 v62, 16, v62
	;; [unrolled: 1-line block ×8, first 2 shown]
	s_and_saveexec_b64 s[0:1], vcc
	s_cbranch_execz .LBB368_435
; %bb.434:                              ;   in Loop: Header=BB368_171 Depth=1
	v_cmp_gt_i32_e32 vcc, s33, v28
	s_nop 1
	v_cndmask_b32_e32 v2, 0, v2, vcc
	v_cmp_gt_i32_e32 vcc, s33, v34
	s_nop 1
	v_cndmask_b32_e32 v3, 0, v3, vcc
	;; [unrolled: 3-line block ×8, first 2 shown]
.LBB368_435:                            ;   in Loop: Header=BB368_171 Depth=1
	s_or_b64 exec, exec, s[0:1]
	v_lshlrev_b32_e32 v2, 16, v2
	v_mul_f32_e32 v28, v36, v2
	v_and_b32_e32 v2, 0x7f800000, v28
	v_cmp_ne_u32_e32 vcc, s13, v2
                                        ; implicit-def: $vgpr2
	s_and_saveexec_b64 s[0:1], vcc
	s_xor_b64 s[0:1], exec, s[0:1]
; %bb.436:                              ;   in Loop: Header=BB368_171 Depth=1
	v_bfe_u32 v2, v28, 16, 1
	v_add3_u32 v2, v28, v2, s14
                                        ; implicit-def: $vgpr28
; %bb.437:                              ;   in Loop: Header=BB368_171 Depth=1
	s_andn2_saveexec_b64 s[0:1], s[0:1]
; %bb.438:                              ;   in Loop: Header=BB368_171 Depth=1
	v_or_b32_e32 v2, 0x10000, v28
	v_cmp_eq_u32_sdwa vcc, v28, v17 src0_sel:WORD_0 src1_sel:DWORD
	s_nop 1
	v_cndmask_b32_e32 v2, v2, v28, vcc
; %bb.439:                              ;   in Loop: Header=BB368_171 Depth=1
	s_or_b64 exec, exec, s[0:1]
	v_lshlrev_b32_e32 v3, 16, v3
	v_mul_f32_e32 v28, v37, v3
	v_and_b32_e32 v3, 0x7f800000, v28
	v_cmp_ne_u32_e32 vcc, s13, v3
                                        ; implicit-def: $vgpr3
	s_and_saveexec_b64 s[0:1], vcc
	s_xor_b64 s[0:1], exec, s[0:1]
; %bb.440:                              ;   in Loop: Header=BB368_171 Depth=1
	v_bfe_u32 v3, v28, 16, 1
	v_add3_u32 v3, v28, v3, s14
                                        ; implicit-def: $vgpr28
; %bb.441:                              ;   in Loop: Header=BB368_171 Depth=1
	s_andn2_saveexec_b64 s[0:1], s[0:1]
; %bb.442:                              ;   in Loop: Header=BB368_171 Depth=1
	v_or_b32_e32 v3, 0x10000, v28
	v_cmp_eq_u32_sdwa vcc, v28, v17 src0_sel:WORD_0 src1_sel:DWORD
	s_nop 1
	v_cndmask_b32_e32 v3, v3, v28, vcc
; %bb.443:                              ;   in Loop: Header=BB368_171 Depth=1
	s_or_b64 exec, exec, s[0:1]
	v_lshlrev_b32_e32 v28, 16, v61
	v_mul_f32_e32 v29, v38, v28
	v_and_b32_e32 v28, 0x7f800000, v29
	v_cmp_ne_u32_e32 vcc, s13, v28
                                        ; implicit-def: $vgpr28
	s_and_saveexec_b64 s[0:1], vcc
	s_xor_b64 s[0:1], exec, s[0:1]
; %bb.444:                              ;   in Loop: Header=BB368_171 Depth=1
	v_bfe_u32 v28, v29, 16, 1
	v_add3_u32 v28, v29, v28, s14
                                        ; implicit-def: $vgpr29
; %bb.445:                              ;   in Loop: Header=BB368_171 Depth=1
	s_andn2_saveexec_b64 s[0:1], s[0:1]
; %bb.446:                              ;   in Loop: Header=BB368_171 Depth=1
	v_or_b32_e32 v28, 0x10000, v29
	v_cmp_eq_u32_sdwa vcc, v29, v17 src0_sel:WORD_0 src1_sel:DWORD
	s_nop 1
	v_cndmask_b32_e32 v28, v28, v29, vcc
; %bb.447:                              ;   in Loop: Header=BB368_171 Depth=1
	s_or_b64 exec, exec, s[0:1]
	v_lshlrev_b32_e32 v29, 16, v63
	v_mul_f32_e32 v30, v39, v29
	v_and_b32_e32 v29, 0x7f800000, v30
	v_cmp_ne_u32_e32 vcc, s13, v29
                                        ; implicit-def: $vgpr29
	s_and_saveexec_b64 s[0:1], vcc
	s_xor_b64 s[0:1], exec, s[0:1]
; %bb.448:                              ;   in Loop: Header=BB368_171 Depth=1
	v_bfe_u32 v29, v30, 16, 1
	v_add3_u32 v29, v30, v29, s14
                                        ; implicit-def: $vgpr30
; %bb.449:                              ;   in Loop: Header=BB368_171 Depth=1
	s_andn2_saveexec_b64 s[0:1], s[0:1]
; %bb.450:                              ;   in Loop: Header=BB368_171 Depth=1
	v_or_b32_e32 v29, 0x10000, v30
	v_cmp_eq_u32_sdwa vcc, v30, v17 src0_sel:WORD_0 src1_sel:DWORD
	s_nop 1
	v_cndmask_b32_e32 v29, v29, v30, vcc
; %bb.451:                              ;   in Loop: Header=BB368_171 Depth=1
	s_or_b64 exec, exec, s[0:1]
	v_lshlrev_b32_e32 v30, 16, v62
	v_mul_f32_e32 v31, v40, v30
	v_and_b32_e32 v30, 0x7f800000, v31
	v_cmp_ne_u32_e32 vcc, s13, v30
                                        ; implicit-def: $vgpr30
	s_and_saveexec_b64 s[0:1], vcc
	s_xor_b64 s[0:1], exec, s[0:1]
; %bb.452:                              ;   in Loop: Header=BB368_171 Depth=1
	v_bfe_u32 v30, v31, 16, 1
	v_add3_u32 v30, v31, v30, s14
                                        ; implicit-def: $vgpr31
; %bb.453:                              ;   in Loop: Header=BB368_171 Depth=1
	s_andn2_saveexec_b64 s[0:1], s[0:1]
; %bb.454:                              ;   in Loop: Header=BB368_171 Depth=1
	v_or_b32_e32 v30, 0x10000, v31
	v_cmp_eq_u32_sdwa vcc, v31, v17 src0_sel:WORD_0 src1_sel:DWORD
	s_nop 1
	v_cndmask_b32_e32 v30, v30, v31, vcc
; %bb.455:                              ;   in Loop: Header=BB368_171 Depth=1
	s_or_b64 exec, exec, s[0:1]
	v_lshlrev_b32_e32 v31, 16, v60
	v_mul_f32_e32 v32, v41, v31
	v_and_b32_e32 v31, 0x7f800000, v32
	v_cmp_ne_u32_e32 vcc, s13, v31
                                        ; implicit-def: $vgpr31
	s_and_saveexec_b64 s[0:1], vcc
	s_xor_b64 s[0:1], exec, s[0:1]
; %bb.456:                              ;   in Loop: Header=BB368_171 Depth=1
	v_bfe_u32 v31, v32, 16, 1
	v_add3_u32 v31, v32, v31, s14
                                        ; implicit-def: $vgpr32
; %bb.457:                              ;   in Loop: Header=BB368_171 Depth=1
	s_andn2_saveexec_b64 s[0:1], s[0:1]
; %bb.458:                              ;   in Loop: Header=BB368_171 Depth=1
	v_or_b32_e32 v31, 0x10000, v32
	v_cmp_eq_u32_sdwa vcc, v32, v17 src0_sel:WORD_0 src1_sel:DWORD
	s_nop 1
	v_cndmask_b32_e32 v31, v31, v32, vcc
; %bb.459:                              ;   in Loop: Header=BB368_171 Depth=1
	s_or_b64 exec, exec, s[0:1]
	v_lshlrev_b32_e32 v32, 16, v59
	v_mul_f32_e32 v33, v42, v32
	v_and_b32_e32 v32, 0x7f800000, v33
	v_cmp_ne_u32_e32 vcc, s13, v32
                                        ; implicit-def: $vgpr32
	s_and_saveexec_b64 s[0:1], vcc
	s_xor_b64 s[0:1], exec, s[0:1]
; %bb.460:                              ;   in Loop: Header=BB368_171 Depth=1
	v_bfe_u32 v32, v33, 16, 1
	v_add3_u32 v32, v33, v32, s14
                                        ; implicit-def: $vgpr33
; %bb.461:                              ;   in Loop: Header=BB368_171 Depth=1
	s_andn2_saveexec_b64 s[0:1], s[0:1]
; %bb.462:                              ;   in Loop: Header=BB368_171 Depth=1
	v_or_b32_e32 v32, 0x10000, v33
	v_cmp_eq_u32_sdwa vcc, v33, v17 src0_sel:WORD_0 src1_sel:DWORD
	s_nop 1
	v_cndmask_b32_e32 v32, v32, v33, vcc
; %bb.463:                              ;   in Loop: Header=BB368_171 Depth=1
	s_or_b64 exec, exec, s[0:1]
	v_lshlrev_b32_e32 v33, 16, v58
	v_mul_f32_e32 v34, v43, v33
	v_and_b32_e32 v33, 0x7f800000, v34
	v_cmp_ne_u32_e32 vcc, s13, v33
                                        ; implicit-def: $vgpr33
	s_and_saveexec_b64 s[0:1], vcc
	s_xor_b64 s[0:1], exec, s[0:1]
; %bb.464:                              ;   in Loop: Header=BB368_171 Depth=1
	v_bfe_u32 v33, v34, 16, 1
	v_add3_u32 v33, v34, v33, s14
                                        ; implicit-def: $vgpr34
; %bb.465:                              ;   in Loop: Header=BB368_171 Depth=1
	s_andn2_saveexec_b64 s[0:1], s[0:1]
	s_cbranch_execz .LBB368_170
; %bb.466:                              ;   in Loop: Header=BB368_171 Depth=1
	v_or_b32_e32 v33, 0x10000, v34
	v_cmp_eq_u32_sdwa vcc, v34, v17 src0_sel:WORD_0 src1_sel:DWORD
	s_nop 1
	v_cndmask_b32_e32 v33, v33, v34, vcc
	s_branch .LBB368_170
.LBB368_467:
	s_or_b64 exec, exec, s[6:7]
.LBB368_468:
	s_or_b64 exec, exec, s[2:3]
	ds_bpermute_b32 v2, v22, v14
	ds_bpermute_b32 v3, v22, v15
	;; [unrolled: 1-line block ×4, first 2 shown]
	s_waitcnt lgkmcnt(0)
	s_barrier
	v_pk_add_f32 v[2:3], v[14:15], v[2:3]
	ds_bpermute_b32 v6, v23, v2
	ds_bpermute_b32 v7, v23, v3
	v_pk_add_f32 v[8:9], v[12:13], v[4:5]
	ds_bpermute_b32 v10, v23, v8
	ds_bpermute_b32 v11, v23, v9
	s_waitcnt lgkmcnt(0)
	v_pk_add_f32 v[4:5], v[2:3], v[6:7]
	v_and_b32_e32 v6, 0x3c3, v0
	v_cmp_eq_u32_e32 vcc, 64, v6
	v_pk_add_f32 v[2:3], v[8:9], v[10:11]
	s_and_saveexec_b64 s[0:1], vcc
	s_cbranch_execz .LBB368_470
; %bb.469:
	v_add_u32_e32 v1, 0x90, v1
	ds_write2_b32 v1, v4, v5 offset1:16
	ds_write2_b32 v1, v2, v3 offset0:32 offset1:48
.LBB368_470:
	s_or_b64 exec, exec, s[0:1]
	v_cmp_gt_u32_e32 vcc, 64, v0
	s_waitcnt lgkmcnt(0)
	s_barrier
	s_and_saveexec_b64 s[2:3], vcc
	s_cbranch_execz .LBB368_477
; %bb.471:
	v_cmp_eq_u32_e64 s[0:1], 0, v24
	v_lshrrev_b32_e32 v1, 2, v0
	s_and_saveexec_b64 s[6:7], s[0:1]
	s_cbranch_execnz .LBB368_497
; %bb.472:
	s_or_b64 exec, exec, s[6:7]
	s_and_saveexec_b64 s[6:7], s[0:1]
	s_cbranch_execnz .LBB368_498
.LBB368_473:
	s_or_b64 exec, exec, s[6:7]
	s_and_saveexec_b64 s[6:7], s[0:1]
	s_cbranch_execnz .LBB368_499
.LBB368_474:
	s_or_b64 exec, exec, s[6:7]
	s_and_saveexec_b64 s[6:7], s[0:1]
	s_cbranch_execz .LBB368_476
.LBB368_475:
	v_mov_b32_e32 v6, 0x90
	v_lshl_add_u32 v1, v1, 2, v6
	ds_read_b32 v1, v1 offset:192
	s_waitcnt lgkmcnt(0)
	v_add_f32_e32 v3, v3, v1
.LBB368_476:
	s_or_b64 exec, exec, s[6:7]
.LBB368_477:
	s_or_b64 exec, exec, s[2:3]
	s_barrier
	s_and_saveexec_b64 s[0:1], vcc
	s_cbranch_execz .LBB368_496
; %bb.478:
	v_cmp_eq_u32_e32 vcc, 0, v24
	s_and_b64 exec, exec, vcc
	s_cbranch_execz .LBB368_496
; %bb.479:
	s_mov_b32 s0, 0x7f800000
	v_and_b32_e32 v1, 0x7f800000, v4
	v_cmp_ne_u32_e32 vcc, s0, v1
                                        ; implicit-def: $vgpr6
	s_and_saveexec_b64 s[0:1], vcc
	s_xor_b64 s[0:1], exec, s[0:1]
; %bb.480:
	v_bfe_u32 v1, v4, 16, 1
	s_movk_i32 s2, 0x7fff
	v_add3_u32 v6, v4, v1, s2
; %bb.481:
	s_andn2_saveexec_b64 s[0:1], s[0:1]
; %bb.482:
	v_mov_b32_e32 v1, 0
	v_or_b32_e32 v6, 0x10000, v4
	v_cmp_eq_u32_sdwa vcc, v4, v1 src0_sel:WORD_0 src1_sel:DWORD
	s_nop 1
	v_cndmask_b32_e32 v6, v6, v4, vcc
; %bb.483:
	s_or_b64 exec, exec, s[0:1]
	s_mul_i32 s0, s12, s24
	s_mul_i32 s0, s0, s25
	s_lshl_b32 s0, s0, 6
	s_ashr_i32 s1, s0, 31
	s_lshl_b64 s[0:1], s[0:1], 1
	s_add_u32 s2, s28, s0
	s_mul_i32 s0, s12, s26
	s_addc_u32 s3, s29, s1
	s_ashr_i32 s1, s0, 31
	s_lshl_b64 s[0:1], s[0:1], 1
	s_add_u32 s2, s2, s0
	s_addc_u32 s3, s3, s1
	s_lshl_b32 s0, s4, 6
	s_ashr_i32 s1, s0, 31
	s_lshl_b64 s[0:1], s[0:1], 1
	s_add_u32 s0, s2, s0
	v_lshrrev_b32_e32 v0, 1, v0
	s_mov_b32 s2, 0x7f800000
	v_and_b32_e32 v4, 0x7f800000, v5
	s_addc_u32 s1, s3, s1
	v_and_b32_e32 v0, 0x1fe, v0
	v_mov_b32_e32 v1, 0
	v_cmp_ne_u32_e32 vcc, s2, v4
	global_store_short_d16_hi v0, v6, s[0:1]
                                        ; implicit-def: $vgpr4
	s_and_saveexec_b64 s[2:3], vcc
	s_xor_b64 s[2:3], exec, s[2:3]
; %bb.484:
	v_bfe_u32 v4, v5, 16, 1
	s_movk_i32 s4, 0x7fff
	v_add3_u32 v4, v5, v4, s4
; %bb.485:
	s_or_saveexec_b64 s[2:3], s[2:3]
	v_lshl_add_u64 v[6:7], s[0:1], 0, v[0:1]
	s_xor_b64 exec, exec, s[2:3]
; %bb.486:
	v_mov_b32_e32 v0, 0
	v_or_b32_e32 v1, 0x10000, v5
	v_cmp_eq_u32_sdwa vcc, v5, v0 src0_sel:WORD_0 src1_sel:DWORD
	s_nop 1
	v_cndmask_b32_e32 v4, v1, v5, vcc
; %bb.487:
	s_or_b64 exec, exec, s[2:3]
	s_mov_b32 s0, 0x7f800000
	v_and_b32_e32 v0, 0x7f800000, v2
	v_cmp_ne_u32_e32 vcc, s0, v0
	global_store_short_d16_hi v[6:7], v4, off offset:32
                                        ; implicit-def: $vgpr0
	s_and_saveexec_b64 s[0:1], vcc
	s_xor_b64 s[0:1], exec, s[0:1]
; %bb.488:
	v_bfe_u32 v0, v2, 16, 1
	s_movk_i32 s2, 0x7fff
	v_add3_u32 v0, v2, v0, s2
; %bb.489:
	s_andn2_saveexec_b64 s[0:1], s[0:1]
; %bb.490:
	v_mov_b32_e32 v0, 0
	v_or_b32_e32 v1, 0x10000, v2
	v_cmp_eq_u32_sdwa vcc, v2, v0 src0_sel:WORD_0 src1_sel:DWORD
	s_nop 1
	v_cndmask_b32_e32 v0, v1, v2, vcc
; %bb.491:
	s_or_b64 exec, exec, s[0:1]
	global_store_short_d16_hi v[6:7], v0, off offset:64
	s_mov_b32 s0, 0x7f800000
	v_and_b32_e32 v0, 0x7f800000, v3
	v_cmp_ne_u32_e32 vcc, s0, v0
                                        ; implicit-def: $vgpr4
	s_and_saveexec_b64 s[0:1], vcc
	s_xor_b64 s[0:1], exec, s[0:1]
; %bb.492:
	v_bfe_u32 v0, v3, 16, 1
	s_movk_i32 s2, 0x7fff
	v_add3_u32 v4, v3, v0, s2
                                        ; implicit-def: $vgpr0_vgpr1_vgpr2_vgpr3
; %bb.493:
	s_andn2_saveexec_b64 s[0:1], s[0:1]
; %bb.494:
	v_mov_b32_e32 v0, 0
	v_or_b32_e32 v1, 0x10000, v3
	v_cmp_eq_u32_sdwa vcc, v3, v0 src0_sel:WORD_0 src1_sel:DWORD
	s_nop 1
	v_cndmask_b32_e32 v4, v1, v3, vcc
; %bb.495:
	s_or_b64 exec, exec, s[0:1]
	global_store_short_d16_hi v[6:7], v4, off offset:96
.LBB368_496:
	s_endpgm
.LBB368_497:
	v_mov_b32_e32 v6, 0x90
	v_lshl_add_u32 v6, v1, 2, v6
	ds_read_b32 v6, v6
	s_waitcnt lgkmcnt(0)
	v_add_f32_e32 v4, v4, v6
	s_or_b64 exec, exec, s[6:7]
	s_and_saveexec_b64 s[6:7], s[0:1]
	s_cbranch_execz .LBB368_473
.LBB368_498:
	v_mov_b32_e32 v6, 0x90
	v_lshl_add_u32 v6, v1, 2, v6
	ds_read_b32 v6, v6 offset:64
	s_waitcnt lgkmcnt(0)
	v_add_f32_e32 v5, v5, v6
	s_or_b64 exec, exec, s[6:7]
	s_and_saveexec_b64 s[6:7], s[0:1]
	s_cbranch_execz .LBB368_474
.LBB368_499:
	v_mov_b32_e32 v6, 0x90
	v_lshl_add_u32 v6, v1, 2, v6
	ds_read_b32 v6, v6 offset:128
	s_waitcnt lgkmcnt(0)
	v_add_f32_e32 v2, v2, v6
	s_or_b64 exec, exec, s[6:7]
	s_and_saveexec_b64 s[6:7], s[0:1]
	s_cbranch_execnz .LBB368_475
	s_branch .LBB368_476
	.section	.rodata,"a",@progbits
	.p2align	6, 0x0
	.amdhsa_kernel _ZN4vllm25paged_attention_v2_kernelI14__hip_bfloat16hLi64ELi32ELi128ELNS_18Fp8KVCacheDataTypeE1ELb0ELi512EEEvPfS3_PT_PKS4_PKT0_SA_ifPKiSC_iPKfiiiSE_SE_iiiii
		.amdhsa_group_segment_fixed_size 144
		.amdhsa_private_segment_fixed_size 0
		.amdhsa_kernarg_size 400
		.amdhsa_user_sgpr_count 2
		.amdhsa_user_sgpr_dispatch_ptr 0
		.amdhsa_user_sgpr_queue_ptr 0
		.amdhsa_user_sgpr_kernarg_segment_ptr 1
		.amdhsa_user_sgpr_dispatch_id 0
		.amdhsa_user_sgpr_kernarg_preload_length 0
		.amdhsa_user_sgpr_kernarg_preload_offset 0
		.amdhsa_user_sgpr_private_segment_size 0
		.amdhsa_uses_dynamic_stack 0
		.amdhsa_enable_private_segment 0
		.amdhsa_system_sgpr_workgroup_id_x 1
		.amdhsa_system_sgpr_workgroup_id_y 1
		.amdhsa_system_sgpr_workgroup_id_z 1
		.amdhsa_system_sgpr_workgroup_info 0
		.amdhsa_system_vgpr_workitem_id 0
		.amdhsa_next_free_vgpr 83
		.amdhsa_next_free_sgpr 47
		.amdhsa_accum_offset 84
		.amdhsa_reserve_vcc 1
		.amdhsa_float_round_mode_32 0
		.amdhsa_float_round_mode_16_64 0
		.amdhsa_float_denorm_mode_32 3
		.amdhsa_float_denorm_mode_16_64 3
		.amdhsa_dx10_clamp 1
		.amdhsa_ieee_mode 1
		.amdhsa_fp16_overflow 0
		.amdhsa_tg_split 0
		.amdhsa_exception_fp_ieee_invalid_op 0
		.amdhsa_exception_fp_denorm_src 0
		.amdhsa_exception_fp_ieee_div_zero 0
		.amdhsa_exception_fp_ieee_overflow 0
		.amdhsa_exception_fp_ieee_underflow 0
		.amdhsa_exception_fp_ieee_inexact 0
		.amdhsa_exception_int_div_zero 0
	.end_amdhsa_kernel
	.section	.text._ZN4vllm25paged_attention_v2_kernelI14__hip_bfloat16hLi64ELi32ELi128ELNS_18Fp8KVCacheDataTypeE1ELb0ELi512EEEvPfS3_PT_PKS4_PKT0_SA_ifPKiSC_iPKfiiiSE_SE_iiiii,"axG",@progbits,_ZN4vllm25paged_attention_v2_kernelI14__hip_bfloat16hLi64ELi32ELi128ELNS_18Fp8KVCacheDataTypeE1ELb0ELi512EEEvPfS3_PT_PKS4_PKT0_SA_ifPKiSC_iPKfiiiSE_SE_iiiii,comdat
.Lfunc_end368:
	.size	_ZN4vllm25paged_attention_v2_kernelI14__hip_bfloat16hLi64ELi32ELi128ELNS_18Fp8KVCacheDataTypeE1ELb0ELi512EEEvPfS3_PT_PKS4_PKT0_SA_ifPKiSC_iPKfiiiSE_SE_iiiii, .Lfunc_end368-_ZN4vllm25paged_attention_v2_kernelI14__hip_bfloat16hLi64ELi32ELi128ELNS_18Fp8KVCacheDataTypeE1ELb0ELi512EEEvPfS3_PT_PKS4_PKT0_SA_ifPKiSC_iPKfiiiSE_SE_iiiii
                                        ; -- End function
	.section	.AMDGPU.csdata,"",@progbits
; Kernel info:
; codeLenInByte = 15132
; NumSgprs: 53
; NumVgprs: 83
; NumAgprs: 0
; TotalNumVgprs: 83
; ScratchSize: 0
; MemoryBound: 0
; FloatMode: 240
; IeeeMode: 1
; LDSByteSize: 144 bytes/workgroup (compile time only)
; SGPRBlocks: 6
; VGPRBlocks: 10
; NumSGPRsForWavesPerEU: 53
; NumVGPRsForWavesPerEU: 83
; AccumOffset: 84
; Occupancy: 5
; WaveLimiterHint : 1
; COMPUTE_PGM_RSRC2:SCRATCH_EN: 0
; COMPUTE_PGM_RSRC2:USER_SGPR: 2
; COMPUTE_PGM_RSRC2:TRAP_HANDLER: 0
; COMPUTE_PGM_RSRC2:TGID_X_EN: 1
; COMPUTE_PGM_RSRC2:TGID_Y_EN: 1
; COMPUTE_PGM_RSRC2:TGID_Z_EN: 1
; COMPUTE_PGM_RSRC2:TIDIG_COMP_CNT: 0
; COMPUTE_PGM_RSRC3_GFX90A:ACCUM_OFFSET: 20
; COMPUTE_PGM_RSRC3_GFX90A:TG_SPLIT: 0
	.section	.text._ZN4vllm25paged_attention_v2_kernelI14__hip_bfloat16hLi80ELi32ELi128ELNS_18Fp8KVCacheDataTypeE1ELb0ELi512EEEvPfS3_PT_PKS4_PKT0_SA_ifPKiSC_iPKfiiiSE_SE_iiiii,"axG",@progbits,_ZN4vllm25paged_attention_v2_kernelI14__hip_bfloat16hLi80ELi32ELi128ELNS_18Fp8KVCacheDataTypeE1ELb0ELi512EEEvPfS3_PT_PKS4_PKT0_SA_ifPKiSC_iPKfiiiSE_SE_iiiii,comdat
	.protected	_ZN4vllm25paged_attention_v2_kernelI14__hip_bfloat16hLi80ELi32ELi128ELNS_18Fp8KVCacheDataTypeE1ELb0ELi512EEEvPfS3_PT_PKS4_PKT0_SA_ifPKiSC_iPKfiiiSE_SE_iiiii ; -- Begin function _ZN4vllm25paged_attention_v2_kernelI14__hip_bfloat16hLi80ELi32ELi128ELNS_18Fp8KVCacheDataTypeE1ELb0ELi512EEEvPfS3_PT_PKS4_PKT0_SA_ifPKiSC_iPKfiiiSE_SE_iiiii
	.globl	_ZN4vllm25paged_attention_v2_kernelI14__hip_bfloat16hLi80ELi32ELi128ELNS_18Fp8KVCacheDataTypeE1ELb0ELi512EEEvPfS3_PT_PKS4_PKT0_SA_ifPKiSC_iPKfiiiSE_SE_iiiii
	.p2align	8
	.type	_ZN4vllm25paged_attention_v2_kernelI14__hip_bfloat16hLi80ELi32ELi128ELNS_18Fp8KVCacheDataTypeE1ELb0ELi512EEEvPfS3_PT_PKS4_PKT0_SA_ifPKiSC_iPKfiiiSE_SE_iiiii,@function
_ZN4vllm25paged_attention_v2_kernelI14__hip_bfloat16hLi80ELi32ELi128ELNS_18Fp8KVCacheDataTypeE1ELb0ELi512EEEvPfS3_PT_PKS4_PKT0_SA_ifPKiSC_iPKfiiiSE_SE_iiiii: ; @_ZN4vllm25paged_attention_v2_kernelI14__hip_bfloat16hLi80ELi32ELi128ELNS_18Fp8KVCacheDataTypeE1ELb0ELi512EEEvPfS3_PT_PKS4_PKT0_SA_ifPKiSC_iPKfiiiSE_SE_iiiii
; %bb.0:
	s_load_dwordx2 s[6:7], s[0:1], 0x40
	s_mov_b32 s24, s3
	s_ashr_i32 s25, s3, 31
	s_lshl_b64 s[8:9], s[24:25], 2
	s_waitcnt lgkmcnt(0)
	s_add_u32 s6, s6, s8
	s_addc_u32 s7, s7, s9
	s_load_dword s33, s[6:7], 0x0
	s_lshl_b32 s40, s4, 9
	s_waitcnt lgkmcnt(0)
	s_cmp_ge_i32 s40, s33
	s_cbranch_scc1 .LBB369_599
; %bb.1:
	s_load_dword s25, s[0:1], 0x90
	s_load_dwordx2 s[10:11], s[0:1], 0x30
	s_waitcnt lgkmcnt(0)
	s_abs_i32 s6, s25
	s_abs_i32 s3, s10
	v_cvt_f32_u32_e32 v1, s3
	s_sub_i32 s7, 0, s3
	s_xor_b32 s5, s25, s10
	s_ashr_i32 s5, s5, 31
	v_rcp_iflag_f32_e32 v1, v1
	s_nop 0
	v_mul_f32_e32 v1, 0x4f7ffffe, v1
	v_cvt_u32_f32_e32 v1, v1
	s_nop 0
	v_readfirstlane_b32 s8, v1
	s_mul_i32 s7, s7, s8
	s_mul_hi_u32 s7, s8, s7
	s_add_i32 s8, s8, s7
	s_mul_hi_u32 s7, s6, s8
	s_mul_i32 s8, s7, s3
	s_sub_i32 s6, s6, s8
	s_add_i32 s9, s7, 1
	s_sub_i32 s8, s6, s3
	s_cmp_ge_u32 s6, s3
	s_cselect_b32 s7, s9, s7
	s_cselect_b32 s6, s8, s6
	s_add_i32 s8, s7, 1
	s_cmp_ge_u32 s6, s3
	s_cselect_b32 s3, s8, s7
	s_xor_b32 s3, s3, s5
	s_sub_i32 s12, s3, s5
	s_abs_i32 s8, s12
	v_cvt_f32_u32_e32 v1, s8
	s_load_dwordx2 s[6:7], s[0:1], 0x50
	s_sub_i32 s3, 0, s8
	s_abs_i32 s9, s2
	v_rcp_iflag_f32_e32 v1, v1
	s_mov_b32 s5, 0
	v_mul_f32_e32 v1, 0x4f7ffffe, v1
	v_cvt_u32_f32_e32 v1, v1
	s_nop 0
	v_readfirstlane_b32 s10, v1
	s_mul_i32 s3, s3, s10
	s_mul_hi_u32 s3, s10, s3
	s_add_i32 s10, s10, s3
	s_waitcnt lgkmcnt(0)
	s_cmp_eq_u64 s[6:7], 0
	s_mul_hi_u32 s10, s9, s10
	s_cbranch_scc1 .LBB369_3
; %bb.2:
	s_ashr_i32 s3, s2, 31
	s_lshl_b64 s[14:15], s[2:3], 2
	s_add_u32 s6, s6, s14
	s_addc_u32 s7, s7, s15
	s_load_dword s5, s[6:7], 0x0
.LBB369_3:
	s_ashr_i32 s17, s12, 31
	s_load_dwordx4 s[12:15], s[0:1], 0x58
	s_ashr_i32 s16, s2, 31
	v_and_b32_e32 v6, 1, v0
	s_movk_i32 s3, 0x50
	s_mul_i32 s26, s2, 0x50
	v_cmp_gt_u32_e32 vcc, 20, v0
	v_lshlrev_b32_e32 v17, 3, v0
	s_and_saveexec_b64 s[6:7], vcc
	s_cbranch_execz .LBB369_5
; %bb.4:
	s_load_dwordx2 s[18:19], s[0:1], 0x18
	s_waitcnt lgkmcnt(0)
	s_mul_i32 s20, s24, s12
	s_ashr_i32 s21, s20, 31
	s_lshl_b64 s[20:21], s[20:21], 1
	v_lshlrev_b32_e32 v1, 2, v0
	s_add_u32 s12, s18, s20
	s_addc_u32 s15, s19, s21
	s_ashr_i32 s27, s26, 31
	s_lshl_b64 s[18:19], s[26:27], 1
	s_add_u32 s18, s12, s18
	s_addc_u32 s19, s15, s19
	global_load_dwordx2 v[2:3], v17, s[18:19]
	v_and_b32_e32 v1, 0xff8, v1
	v_mad_u32_u24 v1, v6, s3, v1
	s_waitcnt vmcnt(0)
	ds_write_b64 v1, v[2:3]
.LBB369_5:
	s_or_b64 exec, exec, s[6:7]
	s_add_i32 s3, s33, 31
	s_ashr_i32 s6, s3, 31
	s_lshr_b32 s6, s6, 27
	s_add_i32 s3, s3, s6
	s_ashr_i32 s41, s3, 5
	s_lshl_b32 s3, s4, 4
	s_mul_i32 s7, s10, s8
	s_add_i32 s6, s3, 16
	s_sub_i32 s7, s9, s7
	s_min_i32 s27, s6, s41
	s_xor_b32 s6, s16, s17
	s_add_i32 s9, s10, 1
	s_waitcnt lgkmcnt(0)
	s_sub_i32 s12, s7, s8
	s_cmp_ge_u32 s7, s8
	s_cselect_b32 s9, s9, s10
	s_cselect_b32 s7, s12, s7
	s_add_i32 s10, s9, 1
	s_cmp_ge_u32 s7, s8
	s_load_dwordx2 s[30:31], s[0:1], 0x38
	s_load_dword s8, s[0:1], 0x48
	v_lshrrev_b32_e32 v20, 6, v0
	s_cselect_b32 s7, s10, s9
	s_xor_b32 s7, s7, s6
	v_or_b32_e32 v10, s3, v20
	s_waitcnt lgkmcnt(0)
	s_mul_i32 s34, s24, s8
	s_sub_i32 s42, s7, s6
	s_ashr_i32 s35, s34, 31
	v_cmp_gt_i32_e64 s[8:9], s27, v10
	v_cmp_le_i32_e32 vcc, s27, v10
	v_mbcnt_lo_u32_b32 v7, -1, 0
	s_barrier
	s_waitcnt lgkmcnt(0)
                                        ; implicit-def: $sgpr10
                                        ; implicit-def: $vgpr12
                                        ; implicit-def: $vgpr13
	s_and_saveexec_b64 s[6:7], vcc
	s_xor_b64 s[6:7], exec, s[6:7]
; %bb.6:
	v_mbcnt_hi_u32_b32 v12, -1, v7
	v_and_b32_e32 v1, 64, v12
	v_add_u32_e32 v13, 64, v1
	s_mov_b32 s10, 0xff7fffff
                                        ; implicit-def: $vgpr6
                                        ; implicit-def: $vgpr7
; %bb.7:
	s_or_saveexec_b64 s[38:39], s[6:7]
	s_load_dwordx4 s[20:23], s[0:1], 0x0
	s_load_dwordx2 s[28:29], s[0:1], 0x10
	s_load_dword s12, s[0:1], 0x98
	s_load_dwordx2 s[36:37], s[0:1], 0x28
	s_load_dwordx4 s[16:19], s[0:1], 0x68
	v_mov_b32_e32 v51, s10
	s_mul_i32 s42, s42, s14
	v_ashrrev_i32_e32 v11, 31, v10
	s_xor_b64 exec, exec, s[38:39]
	s_cbranch_execz .LBB369_173
; %bb.8:
	s_load_dwordx2 s[0:1], s[0:1], 0x20
	v_mul_u32_u24_e32 v9, 0x50, v6
	v_mbcnt_hi_u32_b32 v12, -1, v7
	s_ashr_i32 s6, s42, 31
	ds_read_b128 v[22:25], v9
	ds_read_b128 v[28:31], v9 offset:16
	ds_read_b128 v[36:39], v9 offset:32
	;; [unrolled: 1-line block ×4, first 2 shown]
	v_and_b32_e32 v9, 64, v12
	v_bfe_u32 v8, v0, 1, 5
	s_waitcnt lgkmcnt(0)
	s_add_u32 s0, s0, s42
	v_xor_b32_e32 v7, 1, v12
	v_add_u32_e32 v13, 64, v9
	v_lshlrev_b32_e32 v2, 4, v8
	s_addc_u32 s1, s1, s6
	v_mov_b32_e32 v3, 0
	v_cmp_lt_i32_e32 vcc, v7, v13
	s_load_dword s43, s[16:17], 0x0
	v_lshl_add_u64 v[4:5], s[0:1], 0, v[2:3]
	v_lshlrev_b32_e32 v2, 2, v6
	v_cndmask_b32_e32 v7, v12, v7, vcc
	v_cmp_eq_u32_e32 vcc, 0, v6
	s_sub_i32 s44, 1, s33
	v_lshlrev_b32_e32 v6, 5, v20
	s_lshl_b64 s[0:1], s[34:35], 2
	v_add3_u32 v57, s40, v6, v8
	v_lshlrev_b32_e32 v6, 2, v8
	s_add_u32 s0, s30, s0
	v_lshl_or_b32 v6, v20, 7, v6
	s_addc_u32 s1, s31, s1
	s_mov_b32 s10, s13
	v_lshlrev_b32_e32 v1, 16, v22
	v_and_b32_e32 v14, 0xffff0000, v22
	v_lshlrev_b32_e32 v15, 16, v23
	v_and_b32_e32 v16, 0xffff0000, v23
	;; [unrolled: 2-line block ×20, first 2 shown]
	v_lshlrev_b32_e32 v56, 2, v7
	v_cmp_neq_f32_e64 s[6:7], s5, 0
	v_add_u32_e32 v58, 0xb0, v6
	v_lshl_add_u64 v[6:7], v[10:11], 2, s[0:1]
	s_mov_b64 s[14:15], 0
	v_mov_b32_e32 v51, 0xff7fffff
	s_mov_b32 s45, 0x7f800000
	s_movk_i32 s46, 0x7fff
	v_mov_b32_e32 v59, v10
	s_branch .LBB369_10
.LBB369_9:                              ;   in Loop: Header=BB369_10 Depth=1
	s_or_b64 exec, exec, s[16:17]
	v_add_u32_e32 v59, 2, v59
	v_cmp_le_i32_e64 s[0:1], s27, v59
	v_add_u32_e32 v57, 64, v57
	v_add_u32_e32 v58, 0x100, v58
	s_or_b64 s[14:15], s[0:1], s[14:15]
	v_lshl_add_u64 v[6:7], v[6:7], 0, 8
	s_andn2_b64 exec, exec, s[14:15]
	s_cbranch_execz .LBB369_172
.LBB369_10:                             ; =>This Inner Loop Header: Depth=1
	global_load_dword v8, v[6:7], off
	s_waitcnt vmcnt(0) lgkmcnt(0)
	v_mad_i64_i32 v[8:9], s[0:1], v8, s10, v[4:5]
	v_lshl_add_u64 v[8:9], v[8:9], 0, v[2:3]
	global_load_dword v63, v[8:9], off
	s_waitcnt vmcnt(0)
	v_and_b32_e32 v60, 0xff, v63
	v_cvt_f32_fp8_sdwa v60, v60 src0_sel:BYTE_0
	s_waitcnt lgkmcnt(0)
	v_mul_f32_e32 v61, s43, v60
	v_and_b32_e32 v60, 0x7f800000, v61
	v_cmp_ne_u32_e64 s[0:1], s45, v60
                                        ; implicit-def: $vgpr60
	s_and_saveexec_b64 s[16:17], s[0:1]
	s_xor_b64 s[0:1], exec, s[16:17]
; %bb.11:                               ;   in Loop: Header=BB369_10 Depth=1
	v_bfe_u32 v60, v61, 16, 1
	v_add3_u32 v60, v61, v60, s46
                                        ; implicit-def: $vgpr61
; %bb.12:                               ;   in Loop: Header=BB369_10 Depth=1
	s_andn2_saveexec_b64 s[16:17], s[0:1]
; %bb.13:                               ;   in Loop: Header=BB369_10 Depth=1
	v_or_b32_e32 v60, 0x10000, v61
	v_cmp_eq_u32_sdwa s[0:1], v61, v3 src0_sel:WORD_0 src1_sel:DWORD
	s_nop 1
	v_cndmask_b32_e64 v60, v60, v61, s[0:1]
; %bb.14:                               ;   in Loop: Header=BB369_10 Depth=1
	s_or_b64 exec, exec, s[16:17]
	v_bfe_u32 v61, v63, 8, 8
	v_cvt_f32_fp8_sdwa v61, v61 src0_sel:BYTE_0
	s_nop 0
	v_mul_f32_e32 v62, s43, v61
	v_and_b32_e32 v61, 0x7f800000, v62
	v_cmp_ne_u32_e64 s[0:1], s45, v61
                                        ; implicit-def: $vgpr61
	s_and_saveexec_b64 s[16:17], s[0:1]
	s_xor_b64 s[0:1], exec, s[16:17]
; %bb.15:                               ;   in Loop: Header=BB369_10 Depth=1
	v_bfe_u32 v61, v62, 16, 1
	v_add3_u32 v61, v62, v61, s46
                                        ; implicit-def: $vgpr62
; %bb.16:                               ;   in Loop: Header=BB369_10 Depth=1
	s_andn2_saveexec_b64 s[16:17], s[0:1]
; %bb.17:                               ;   in Loop: Header=BB369_10 Depth=1
	v_or_b32_e32 v61, 0x10000, v62
	v_cmp_eq_u32_sdwa s[0:1], v62, v3 src0_sel:WORD_0 src1_sel:DWORD
	s_nop 1
	v_cndmask_b32_e64 v61, v61, v62, s[0:1]
; %bb.18:                               ;   in Loop: Header=BB369_10 Depth=1
	s_or_b64 exec, exec, s[16:17]
	v_bfe_u32 v62, v63, 16, 8
	v_cvt_f32_fp8_sdwa v62, v62 src0_sel:BYTE_0
	s_nop 0
	v_mul_f32_e32 v64, s43, v62
	v_and_b32_e32 v62, 0x7f800000, v64
	v_cmp_ne_u32_e64 s[0:1], s45, v62
                                        ; implicit-def: $vgpr62
	s_and_saveexec_b64 s[16:17], s[0:1]
	s_xor_b64 s[0:1], exec, s[16:17]
; %bb.19:                               ;   in Loop: Header=BB369_10 Depth=1
	v_bfe_u32 v62, v64, 16, 1
	v_add3_u32 v62, v64, v62, s46
                                        ; implicit-def: $vgpr64
; %bb.20:                               ;   in Loop: Header=BB369_10 Depth=1
	s_andn2_saveexec_b64 s[16:17], s[0:1]
; %bb.21:                               ;   in Loop: Header=BB369_10 Depth=1
	v_or_b32_e32 v62, 0x10000, v64
	v_cmp_eq_u32_sdwa s[0:1], v64, v3 src0_sel:WORD_0 src1_sel:DWORD
	s_nop 1
	v_cndmask_b32_e64 v62, v62, v64, s[0:1]
; %bb.22:                               ;   in Loop: Header=BB369_10 Depth=1
	s_or_b64 exec, exec, s[16:17]
	v_lshrrev_b32_e32 v63, 24, v63
	v_cvt_f32_fp8_sdwa v63, v63 src0_sel:BYTE_0
	s_nop 0
	v_mul_f32_e32 v64, s43, v63
	v_and_b32_e32 v63, 0x7f800000, v64
	v_cmp_ne_u32_e64 s[0:1], s45, v63
                                        ; implicit-def: $vgpr63
	s_and_saveexec_b64 s[16:17], s[0:1]
	s_xor_b64 s[0:1], exec, s[16:17]
; %bb.23:                               ;   in Loop: Header=BB369_10 Depth=1
	v_bfe_u32 v63, v64, 16, 1
	v_add3_u32 v63, v64, v63, s46
                                        ; implicit-def: $vgpr64
; %bb.24:                               ;   in Loop: Header=BB369_10 Depth=1
	s_andn2_saveexec_b64 s[16:17], s[0:1]
; %bb.25:                               ;   in Loop: Header=BB369_10 Depth=1
	v_or_b32_e32 v63, 0x10000, v64
	v_cmp_eq_u32_sdwa s[0:1], v64, v3 src0_sel:WORD_0 src1_sel:DWORD
	s_nop 1
	v_cndmask_b32_e64 v63, v63, v64, s[0:1]
; %bb.26:                               ;   in Loop: Header=BB369_10 Depth=1
	s_or_b64 exec, exec, s[16:17]
	global_load_dword v67, v[8:9], off offset:8
	s_waitcnt vmcnt(0)
	v_and_b32_e32 v64, 0xff, v67
	v_cvt_f32_fp8_sdwa v64, v64 src0_sel:BYTE_0
	s_nop 0
	v_mul_f32_e32 v65, s43, v64
	v_and_b32_e32 v64, 0x7f800000, v65
	v_cmp_ne_u32_e64 s[0:1], s45, v64
                                        ; implicit-def: $vgpr64
	s_and_saveexec_b64 s[16:17], s[0:1]
	s_xor_b64 s[0:1], exec, s[16:17]
; %bb.27:                               ;   in Loop: Header=BB369_10 Depth=1
	v_bfe_u32 v64, v65, 16, 1
	v_add3_u32 v64, v65, v64, s46
                                        ; implicit-def: $vgpr65
; %bb.28:                               ;   in Loop: Header=BB369_10 Depth=1
	s_andn2_saveexec_b64 s[16:17], s[0:1]
; %bb.29:                               ;   in Loop: Header=BB369_10 Depth=1
	v_or_b32_e32 v64, 0x10000, v65
	v_cmp_eq_u32_sdwa s[0:1], v65, v3 src0_sel:WORD_0 src1_sel:DWORD
	s_nop 1
	v_cndmask_b32_e64 v64, v64, v65, s[0:1]
; %bb.30:                               ;   in Loop: Header=BB369_10 Depth=1
	s_or_b64 exec, exec, s[16:17]
	v_bfe_u32 v65, v67, 8, 8
	v_cvt_f32_fp8_sdwa v65, v65 src0_sel:BYTE_0
	s_nop 0
	v_mul_f32_e32 v66, s43, v65
	v_and_b32_e32 v65, 0x7f800000, v66
	v_cmp_ne_u32_e64 s[0:1], s45, v65
                                        ; implicit-def: $vgpr65
	s_and_saveexec_b64 s[16:17], s[0:1]
	s_xor_b64 s[0:1], exec, s[16:17]
; %bb.31:                               ;   in Loop: Header=BB369_10 Depth=1
	v_bfe_u32 v65, v66, 16, 1
	v_add3_u32 v65, v66, v65, s46
                                        ; implicit-def: $vgpr66
; %bb.32:                               ;   in Loop: Header=BB369_10 Depth=1
	s_andn2_saveexec_b64 s[16:17], s[0:1]
; %bb.33:                               ;   in Loop: Header=BB369_10 Depth=1
	v_or_b32_e32 v65, 0x10000, v66
	v_cmp_eq_u32_sdwa s[0:1], v66, v3 src0_sel:WORD_0 src1_sel:DWORD
	s_nop 1
	v_cndmask_b32_e64 v65, v65, v66, s[0:1]
; %bb.34:                               ;   in Loop: Header=BB369_10 Depth=1
	s_or_b64 exec, exec, s[16:17]
	v_bfe_u32 v66, v67, 16, 8
	v_cvt_f32_fp8_sdwa v66, v66 src0_sel:BYTE_0
	s_nop 0
	v_mul_f32_e32 v68, s43, v66
	v_and_b32_e32 v66, 0x7f800000, v68
	v_cmp_ne_u32_e64 s[0:1], s45, v66
                                        ; implicit-def: $vgpr66
	s_and_saveexec_b64 s[16:17], s[0:1]
	s_xor_b64 s[0:1], exec, s[16:17]
; %bb.35:                               ;   in Loop: Header=BB369_10 Depth=1
	v_bfe_u32 v66, v68, 16, 1
	v_add3_u32 v66, v68, v66, s46
                                        ; implicit-def: $vgpr68
; %bb.36:                               ;   in Loop: Header=BB369_10 Depth=1
	s_andn2_saveexec_b64 s[16:17], s[0:1]
; %bb.37:                               ;   in Loop: Header=BB369_10 Depth=1
	v_or_b32_e32 v66, 0x10000, v68
	v_cmp_eq_u32_sdwa s[0:1], v68, v3 src0_sel:WORD_0 src1_sel:DWORD
	s_nop 1
	v_cndmask_b32_e64 v66, v66, v68, s[0:1]
; %bb.38:                               ;   in Loop: Header=BB369_10 Depth=1
	s_or_b64 exec, exec, s[16:17]
	v_lshrrev_b32_e32 v67, 24, v67
	v_cvt_f32_fp8_sdwa v67, v67 src0_sel:BYTE_0
	s_nop 0
	v_mul_f32_e32 v68, s43, v67
	v_and_b32_e32 v67, 0x7f800000, v68
	v_cmp_ne_u32_e64 s[0:1], s45, v67
                                        ; implicit-def: $vgpr67
	s_and_saveexec_b64 s[16:17], s[0:1]
	s_xor_b64 s[0:1], exec, s[16:17]
; %bb.39:                               ;   in Loop: Header=BB369_10 Depth=1
	v_bfe_u32 v67, v68, 16, 1
	v_add3_u32 v67, v68, v67, s46
                                        ; implicit-def: $vgpr68
; %bb.40:                               ;   in Loop: Header=BB369_10 Depth=1
	s_andn2_saveexec_b64 s[16:17], s[0:1]
; %bb.41:                               ;   in Loop: Header=BB369_10 Depth=1
	v_or_b32_e32 v67, 0x10000, v68
	v_cmp_eq_u32_sdwa s[0:1], v68, v3 src0_sel:WORD_0 src1_sel:DWORD
	s_nop 1
	v_cndmask_b32_e64 v67, v67, v68, s[0:1]
; %bb.42:                               ;   in Loop: Header=BB369_10 Depth=1
	s_or_b64 exec, exec, s[16:17]
	global_load_dword v71, v[8:9], off offset:512
	s_waitcnt vmcnt(0)
	v_and_b32_e32 v68, 0xff, v71
	v_cvt_f32_fp8_sdwa v68, v68 src0_sel:BYTE_0
	s_nop 0
	v_mul_f32_e32 v69, s43, v68
	v_and_b32_e32 v68, 0x7f800000, v69
	v_cmp_ne_u32_e64 s[0:1], s45, v68
                                        ; implicit-def: $vgpr68
	s_and_saveexec_b64 s[16:17], s[0:1]
	s_xor_b64 s[0:1], exec, s[16:17]
; %bb.43:                               ;   in Loop: Header=BB369_10 Depth=1
	v_bfe_u32 v68, v69, 16, 1
	v_add3_u32 v68, v69, v68, s46
                                        ; implicit-def: $vgpr69
; %bb.44:                               ;   in Loop: Header=BB369_10 Depth=1
	s_andn2_saveexec_b64 s[16:17], s[0:1]
; %bb.45:                               ;   in Loop: Header=BB369_10 Depth=1
	v_or_b32_e32 v68, 0x10000, v69
	v_cmp_eq_u32_sdwa s[0:1], v69, v3 src0_sel:WORD_0 src1_sel:DWORD
	s_nop 1
	v_cndmask_b32_e64 v68, v68, v69, s[0:1]
; %bb.46:                               ;   in Loop: Header=BB369_10 Depth=1
	s_or_b64 exec, exec, s[16:17]
	v_bfe_u32 v69, v71, 8, 8
	v_cvt_f32_fp8_sdwa v69, v69 src0_sel:BYTE_0
	s_nop 0
	v_mul_f32_e32 v70, s43, v69
	v_and_b32_e32 v69, 0x7f800000, v70
	v_cmp_ne_u32_e64 s[0:1], s45, v69
                                        ; implicit-def: $vgpr69
	s_and_saveexec_b64 s[16:17], s[0:1]
	s_xor_b64 s[0:1], exec, s[16:17]
; %bb.47:                               ;   in Loop: Header=BB369_10 Depth=1
	v_bfe_u32 v69, v70, 16, 1
	v_add3_u32 v69, v70, v69, s46
                                        ; implicit-def: $vgpr70
; %bb.48:                               ;   in Loop: Header=BB369_10 Depth=1
	s_andn2_saveexec_b64 s[16:17], s[0:1]
; %bb.49:                               ;   in Loop: Header=BB369_10 Depth=1
	v_or_b32_e32 v69, 0x10000, v70
	v_cmp_eq_u32_sdwa s[0:1], v70, v3 src0_sel:WORD_0 src1_sel:DWORD
	s_nop 1
	v_cndmask_b32_e64 v69, v69, v70, s[0:1]
; %bb.50:                               ;   in Loop: Header=BB369_10 Depth=1
	s_or_b64 exec, exec, s[16:17]
	v_bfe_u32 v70, v71, 16, 8
	v_cvt_f32_fp8_sdwa v70, v70 src0_sel:BYTE_0
	s_nop 0
	v_mul_f32_e32 v72, s43, v70
	v_and_b32_e32 v70, 0x7f800000, v72
	v_cmp_ne_u32_e64 s[0:1], s45, v70
                                        ; implicit-def: $vgpr70
	s_and_saveexec_b64 s[16:17], s[0:1]
	s_xor_b64 s[0:1], exec, s[16:17]
; %bb.51:                               ;   in Loop: Header=BB369_10 Depth=1
	v_bfe_u32 v70, v72, 16, 1
	v_add3_u32 v70, v72, v70, s46
                                        ; implicit-def: $vgpr72
; %bb.52:                               ;   in Loop: Header=BB369_10 Depth=1
	s_andn2_saveexec_b64 s[16:17], s[0:1]
; %bb.53:                               ;   in Loop: Header=BB369_10 Depth=1
	v_or_b32_e32 v70, 0x10000, v72
	v_cmp_eq_u32_sdwa s[0:1], v72, v3 src0_sel:WORD_0 src1_sel:DWORD
	s_nop 1
	v_cndmask_b32_e64 v70, v70, v72, s[0:1]
; %bb.54:                               ;   in Loop: Header=BB369_10 Depth=1
	s_or_b64 exec, exec, s[16:17]
	v_lshrrev_b32_e32 v71, 24, v71
	v_cvt_f32_fp8_sdwa v71, v71 src0_sel:BYTE_0
	s_nop 0
	v_mul_f32_e32 v72, s43, v71
	v_and_b32_e32 v71, 0x7f800000, v72
	v_cmp_ne_u32_e64 s[0:1], s45, v71
                                        ; implicit-def: $vgpr71
	s_and_saveexec_b64 s[16:17], s[0:1]
	s_xor_b64 s[0:1], exec, s[16:17]
; %bb.55:                               ;   in Loop: Header=BB369_10 Depth=1
	v_bfe_u32 v71, v72, 16, 1
	v_add3_u32 v71, v72, v71, s46
                                        ; implicit-def: $vgpr72
; %bb.56:                               ;   in Loop: Header=BB369_10 Depth=1
	s_andn2_saveexec_b64 s[16:17], s[0:1]
; %bb.57:                               ;   in Loop: Header=BB369_10 Depth=1
	v_or_b32_e32 v71, 0x10000, v72
	v_cmp_eq_u32_sdwa s[0:1], v72, v3 src0_sel:WORD_0 src1_sel:DWORD
	s_nop 1
	v_cndmask_b32_e64 v71, v71, v72, s[0:1]
; %bb.58:                               ;   in Loop: Header=BB369_10 Depth=1
	s_or_b64 exec, exec, s[16:17]
	global_load_dword v75, v[8:9], off offset:520
	s_waitcnt vmcnt(0)
	v_and_b32_e32 v72, 0xff, v75
	v_cvt_f32_fp8_sdwa v72, v72 src0_sel:BYTE_0
	s_nop 0
	v_mul_f32_e32 v73, s43, v72
	v_and_b32_e32 v72, 0x7f800000, v73
	v_cmp_ne_u32_e64 s[0:1], s45, v72
                                        ; implicit-def: $vgpr72
	s_and_saveexec_b64 s[16:17], s[0:1]
	s_xor_b64 s[0:1], exec, s[16:17]
; %bb.59:                               ;   in Loop: Header=BB369_10 Depth=1
	v_bfe_u32 v72, v73, 16, 1
	v_add3_u32 v72, v73, v72, s46
                                        ; implicit-def: $vgpr73
; %bb.60:                               ;   in Loop: Header=BB369_10 Depth=1
	s_andn2_saveexec_b64 s[16:17], s[0:1]
; %bb.61:                               ;   in Loop: Header=BB369_10 Depth=1
	v_or_b32_e32 v72, 0x10000, v73
	v_cmp_eq_u32_sdwa s[0:1], v73, v3 src0_sel:WORD_0 src1_sel:DWORD
	s_nop 1
	v_cndmask_b32_e64 v72, v72, v73, s[0:1]
; %bb.62:                               ;   in Loop: Header=BB369_10 Depth=1
	s_or_b64 exec, exec, s[16:17]
	v_bfe_u32 v73, v75, 8, 8
	v_cvt_f32_fp8_sdwa v73, v73 src0_sel:BYTE_0
	s_nop 0
	v_mul_f32_e32 v74, s43, v73
	v_and_b32_e32 v73, 0x7f800000, v74
	v_cmp_ne_u32_e64 s[0:1], s45, v73
                                        ; implicit-def: $vgpr73
	s_and_saveexec_b64 s[16:17], s[0:1]
	s_xor_b64 s[0:1], exec, s[16:17]
; %bb.63:                               ;   in Loop: Header=BB369_10 Depth=1
	v_bfe_u32 v73, v74, 16, 1
	v_add3_u32 v73, v74, v73, s46
                                        ; implicit-def: $vgpr74
; %bb.64:                               ;   in Loop: Header=BB369_10 Depth=1
	s_andn2_saveexec_b64 s[16:17], s[0:1]
; %bb.65:                               ;   in Loop: Header=BB369_10 Depth=1
	v_or_b32_e32 v73, 0x10000, v74
	v_cmp_eq_u32_sdwa s[0:1], v74, v3 src0_sel:WORD_0 src1_sel:DWORD
	s_nop 1
	v_cndmask_b32_e64 v73, v73, v74, s[0:1]
; %bb.66:                               ;   in Loop: Header=BB369_10 Depth=1
	s_or_b64 exec, exec, s[16:17]
	v_bfe_u32 v74, v75, 16, 8
	v_cvt_f32_fp8_sdwa v74, v74 src0_sel:BYTE_0
	s_nop 0
	v_mul_f32_e32 v76, s43, v74
	v_and_b32_e32 v74, 0x7f800000, v76
	v_cmp_ne_u32_e64 s[0:1], s45, v74
                                        ; implicit-def: $vgpr74
	s_and_saveexec_b64 s[16:17], s[0:1]
	s_xor_b64 s[0:1], exec, s[16:17]
; %bb.67:                               ;   in Loop: Header=BB369_10 Depth=1
	v_bfe_u32 v74, v76, 16, 1
	v_add3_u32 v74, v76, v74, s46
                                        ; implicit-def: $vgpr76
; %bb.68:                               ;   in Loop: Header=BB369_10 Depth=1
	s_andn2_saveexec_b64 s[16:17], s[0:1]
; %bb.69:                               ;   in Loop: Header=BB369_10 Depth=1
	v_or_b32_e32 v74, 0x10000, v76
	v_cmp_eq_u32_sdwa s[0:1], v76, v3 src0_sel:WORD_0 src1_sel:DWORD
	s_nop 1
	v_cndmask_b32_e64 v74, v74, v76, s[0:1]
; %bb.70:                               ;   in Loop: Header=BB369_10 Depth=1
	s_or_b64 exec, exec, s[16:17]
	v_lshrrev_b32_e32 v75, 24, v75
	v_cvt_f32_fp8_sdwa v75, v75 src0_sel:BYTE_0
	s_nop 0
	v_mul_f32_e32 v76, s43, v75
	v_and_b32_e32 v75, 0x7f800000, v76
	v_cmp_ne_u32_e64 s[0:1], s45, v75
                                        ; implicit-def: $vgpr75
	s_and_saveexec_b64 s[16:17], s[0:1]
	s_xor_b64 s[0:1], exec, s[16:17]
; %bb.71:                               ;   in Loop: Header=BB369_10 Depth=1
	v_bfe_u32 v75, v76, 16, 1
	v_add3_u32 v75, v76, v75, s46
                                        ; implicit-def: $vgpr76
; %bb.72:                               ;   in Loop: Header=BB369_10 Depth=1
	s_andn2_saveexec_b64 s[16:17], s[0:1]
; %bb.73:                               ;   in Loop: Header=BB369_10 Depth=1
	v_or_b32_e32 v75, 0x10000, v76
	v_cmp_eq_u32_sdwa s[0:1], v76, v3 src0_sel:WORD_0 src1_sel:DWORD
	s_nop 1
	v_cndmask_b32_e64 v75, v75, v76, s[0:1]
; %bb.74:                               ;   in Loop: Header=BB369_10 Depth=1
	s_or_b64 exec, exec, s[16:17]
	global_load_dword v79, v[8:9], off offset:1024
	s_waitcnt vmcnt(0)
	v_and_b32_e32 v76, 0xff, v79
	v_cvt_f32_fp8_sdwa v76, v76 src0_sel:BYTE_0
	s_nop 0
	v_mul_f32_e32 v77, s43, v76
	v_and_b32_e32 v76, 0x7f800000, v77
	v_cmp_ne_u32_e64 s[0:1], s45, v76
                                        ; implicit-def: $vgpr76
	s_and_saveexec_b64 s[16:17], s[0:1]
	s_xor_b64 s[0:1], exec, s[16:17]
; %bb.75:                               ;   in Loop: Header=BB369_10 Depth=1
	v_bfe_u32 v76, v77, 16, 1
	v_add3_u32 v76, v77, v76, s46
                                        ; implicit-def: $vgpr77
; %bb.76:                               ;   in Loop: Header=BB369_10 Depth=1
	s_andn2_saveexec_b64 s[16:17], s[0:1]
; %bb.77:                               ;   in Loop: Header=BB369_10 Depth=1
	v_or_b32_e32 v76, 0x10000, v77
	v_cmp_eq_u32_sdwa s[0:1], v77, v3 src0_sel:WORD_0 src1_sel:DWORD
	s_nop 1
	v_cndmask_b32_e64 v76, v76, v77, s[0:1]
; %bb.78:                               ;   in Loop: Header=BB369_10 Depth=1
	s_or_b64 exec, exec, s[16:17]
	v_bfe_u32 v77, v79, 8, 8
	v_cvt_f32_fp8_sdwa v77, v77 src0_sel:BYTE_0
	s_nop 0
	v_mul_f32_e32 v78, s43, v77
	v_and_b32_e32 v77, 0x7f800000, v78
	v_cmp_ne_u32_e64 s[0:1], s45, v77
                                        ; implicit-def: $vgpr77
	s_and_saveexec_b64 s[16:17], s[0:1]
	s_xor_b64 s[0:1], exec, s[16:17]
; %bb.79:                               ;   in Loop: Header=BB369_10 Depth=1
	v_bfe_u32 v77, v78, 16, 1
	v_add3_u32 v77, v78, v77, s46
                                        ; implicit-def: $vgpr78
; %bb.80:                               ;   in Loop: Header=BB369_10 Depth=1
	s_andn2_saveexec_b64 s[16:17], s[0:1]
; %bb.81:                               ;   in Loop: Header=BB369_10 Depth=1
	v_or_b32_e32 v77, 0x10000, v78
	v_cmp_eq_u32_sdwa s[0:1], v78, v3 src0_sel:WORD_0 src1_sel:DWORD
	s_nop 1
	v_cndmask_b32_e64 v77, v77, v78, s[0:1]
; %bb.82:                               ;   in Loop: Header=BB369_10 Depth=1
	s_or_b64 exec, exec, s[16:17]
	v_bfe_u32 v78, v79, 16, 8
	v_cvt_f32_fp8_sdwa v78, v78 src0_sel:BYTE_0
	s_nop 0
	v_mul_f32_e32 v80, s43, v78
	v_and_b32_e32 v78, 0x7f800000, v80
	v_cmp_ne_u32_e64 s[0:1], s45, v78
                                        ; implicit-def: $vgpr78
	s_and_saveexec_b64 s[16:17], s[0:1]
	s_xor_b64 s[0:1], exec, s[16:17]
; %bb.83:                               ;   in Loop: Header=BB369_10 Depth=1
	v_bfe_u32 v78, v80, 16, 1
	v_add3_u32 v78, v80, v78, s46
                                        ; implicit-def: $vgpr80
; %bb.84:                               ;   in Loop: Header=BB369_10 Depth=1
	s_andn2_saveexec_b64 s[16:17], s[0:1]
; %bb.85:                               ;   in Loop: Header=BB369_10 Depth=1
	v_or_b32_e32 v78, 0x10000, v80
	v_cmp_eq_u32_sdwa s[0:1], v80, v3 src0_sel:WORD_0 src1_sel:DWORD
	s_nop 1
	v_cndmask_b32_e64 v78, v78, v80, s[0:1]
; %bb.86:                               ;   in Loop: Header=BB369_10 Depth=1
	s_or_b64 exec, exec, s[16:17]
	v_lshrrev_b32_e32 v79, 24, v79
	v_cvt_f32_fp8_sdwa v79, v79 src0_sel:BYTE_0
	s_nop 0
	v_mul_f32_e32 v80, s43, v79
	v_and_b32_e32 v79, 0x7f800000, v80
	v_cmp_ne_u32_e64 s[0:1], s45, v79
                                        ; implicit-def: $vgpr79
	s_and_saveexec_b64 s[16:17], s[0:1]
	s_xor_b64 s[0:1], exec, s[16:17]
; %bb.87:                               ;   in Loop: Header=BB369_10 Depth=1
	v_bfe_u32 v79, v80, 16, 1
	v_add3_u32 v79, v80, v79, s46
                                        ; implicit-def: $vgpr80
; %bb.88:                               ;   in Loop: Header=BB369_10 Depth=1
	s_andn2_saveexec_b64 s[16:17], s[0:1]
; %bb.89:                               ;   in Loop: Header=BB369_10 Depth=1
	v_or_b32_e32 v79, 0x10000, v80
	v_cmp_eq_u32_sdwa s[0:1], v80, v3 src0_sel:WORD_0 src1_sel:DWORD
	s_nop 1
	v_cndmask_b32_e64 v79, v79, v80, s[0:1]
; %bb.90:                               ;   in Loop: Header=BB369_10 Depth=1
	s_or_b64 exec, exec, s[16:17]
	global_load_dword v83, v[8:9], off offset:1032
	s_waitcnt vmcnt(0)
	v_and_b32_e32 v80, 0xff, v83
	v_cvt_f32_fp8_sdwa v80, v80 src0_sel:BYTE_0
	s_nop 0
	v_mul_f32_e32 v81, s43, v80
	v_and_b32_e32 v80, 0x7f800000, v81
	v_cmp_ne_u32_e64 s[0:1], s45, v80
                                        ; implicit-def: $vgpr80
	s_and_saveexec_b64 s[16:17], s[0:1]
	s_xor_b64 s[0:1], exec, s[16:17]
; %bb.91:                               ;   in Loop: Header=BB369_10 Depth=1
	v_bfe_u32 v80, v81, 16, 1
	v_add3_u32 v80, v81, v80, s46
                                        ; implicit-def: $vgpr81
; %bb.92:                               ;   in Loop: Header=BB369_10 Depth=1
	s_andn2_saveexec_b64 s[16:17], s[0:1]
; %bb.93:                               ;   in Loop: Header=BB369_10 Depth=1
	v_or_b32_e32 v80, 0x10000, v81
	v_cmp_eq_u32_sdwa s[0:1], v81, v3 src0_sel:WORD_0 src1_sel:DWORD
	s_nop 1
	v_cndmask_b32_e64 v80, v80, v81, s[0:1]
; %bb.94:                               ;   in Loop: Header=BB369_10 Depth=1
	s_or_b64 exec, exec, s[16:17]
	v_bfe_u32 v81, v83, 8, 8
	v_cvt_f32_fp8_sdwa v81, v81 src0_sel:BYTE_0
	s_nop 0
	v_mul_f32_e32 v82, s43, v81
	v_and_b32_e32 v81, 0x7f800000, v82
	v_cmp_ne_u32_e64 s[0:1], s45, v81
                                        ; implicit-def: $vgpr81
	s_and_saveexec_b64 s[16:17], s[0:1]
	s_xor_b64 s[0:1], exec, s[16:17]
; %bb.95:                               ;   in Loop: Header=BB369_10 Depth=1
	v_bfe_u32 v81, v82, 16, 1
	v_add3_u32 v81, v82, v81, s46
                                        ; implicit-def: $vgpr82
; %bb.96:                               ;   in Loop: Header=BB369_10 Depth=1
	s_andn2_saveexec_b64 s[16:17], s[0:1]
; %bb.97:                               ;   in Loop: Header=BB369_10 Depth=1
	v_or_b32_e32 v81, 0x10000, v82
	v_cmp_eq_u32_sdwa s[0:1], v82, v3 src0_sel:WORD_0 src1_sel:DWORD
	s_nop 1
	v_cndmask_b32_e64 v81, v81, v82, s[0:1]
; %bb.98:                               ;   in Loop: Header=BB369_10 Depth=1
	s_or_b64 exec, exec, s[16:17]
	v_bfe_u32 v82, v83, 16, 8
	v_cvt_f32_fp8_sdwa v82, v82 src0_sel:BYTE_0
	s_nop 0
	v_mul_f32_e32 v84, s43, v82
	v_and_b32_e32 v82, 0x7f800000, v84
	v_cmp_ne_u32_e64 s[0:1], s45, v82
                                        ; implicit-def: $vgpr82
	s_and_saveexec_b64 s[16:17], s[0:1]
	s_xor_b64 s[0:1], exec, s[16:17]
; %bb.99:                               ;   in Loop: Header=BB369_10 Depth=1
	v_bfe_u32 v82, v84, 16, 1
	v_add3_u32 v82, v84, v82, s46
                                        ; implicit-def: $vgpr84
; %bb.100:                              ;   in Loop: Header=BB369_10 Depth=1
	s_andn2_saveexec_b64 s[16:17], s[0:1]
; %bb.101:                              ;   in Loop: Header=BB369_10 Depth=1
	v_or_b32_e32 v82, 0x10000, v84
	v_cmp_eq_u32_sdwa s[0:1], v84, v3 src0_sel:WORD_0 src1_sel:DWORD
	s_nop 1
	v_cndmask_b32_e64 v82, v82, v84, s[0:1]
; %bb.102:                              ;   in Loop: Header=BB369_10 Depth=1
	s_or_b64 exec, exec, s[16:17]
	v_lshrrev_b32_e32 v83, 24, v83
	v_cvt_f32_fp8_sdwa v83, v83 src0_sel:BYTE_0
	s_nop 0
	v_mul_f32_e32 v84, s43, v83
	v_and_b32_e32 v83, 0x7f800000, v84
	v_cmp_ne_u32_e64 s[0:1], s45, v83
                                        ; implicit-def: $vgpr83
	s_and_saveexec_b64 s[16:17], s[0:1]
	s_xor_b64 s[0:1], exec, s[16:17]
; %bb.103:                              ;   in Loop: Header=BB369_10 Depth=1
	v_bfe_u32 v83, v84, 16, 1
	v_add3_u32 v83, v84, v83, s46
                                        ; implicit-def: $vgpr84
; %bb.104:                              ;   in Loop: Header=BB369_10 Depth=1
	s_andn2_saveexec_b64 s[16:17], s[0:1]
; %bb.105:                              ;   in Loop: Header=BB369_10 Depth=1
	v_or_b32_e32 v83, 0x10000, v84
	v_cmp_eq_u32_sdwa s[0:1], v84, v3 src0_sel:WORD_0 src1_sel:DWORD
	s_nop 1
	v_cndmask_b32_e64 v83, v83, v84, s[0:1]
; %bb.106:                              ;   in Loop: Header=BB369_10 Depth=1
	s_or_b64 exec, exec, s[16:17]
	global_load_dword v87, v[8:9], off offset:1536
	s_waitcnt vmcnt(0)
	v_and_b32_e32 v84, 0xff, v87
	v_cvt_f32_fp8_sdwa v84, v84 src0_sel:BYTE_0
	s_nop 0
	v_mul_f32_e32 v85, s43, v84
	v_and_b32_e32 v84, 0x7f800000, v85
	v_cmp_ne_u32_e64 s[0:1], s45, v84
                                        ; implicit-def: $vgpr84
	s_and_saveexec_b64 s[16:17], s[0:1]
	s_xor_b64 s[0:1], exec, s[16:17]
; %bb.107:                              ;   in Loop: Header=BB369_10 Depth=1
	v_bfe_u32 v84, v85, 16, 1
	v_add3_u32 v84, v85, v84, s46
                                        ; implicit-def: $vgpr85
; %bb.108:                              ;   in Loop: Header=BB369_10 Depth=1
	s_andn2_saveexec_b64 s[16:17], s[0:1]
; %bb.109:                              ;   in Loop: Header=BB369_10 Depth=1
	v_or_b32_e32 v84, 0x10000, v85
	v_cmp_eq_u32_sdwa s[0:1], v85, v3 src0_sel:WORD_0 src1_sel:DWORD
	s_nop 1
	v_cndmask_b32_e64 v84, v84, v85, s[0:1]
; %bb.110:                              ;   in Loop: Header=BB369_10 Depth=1
	s_or_b64 exec, exec, s[16:17]
	v_bfe_u32 v85, v87, 8, 8
	v_cvt_f32_fp8_sdwa v85, v85 src0_sel:BYTE_0
	s_nop 0
	v_mul_f32_e32 v86, s43, v85
	v_and_b32_e32 v85, 0x7f800000, v86
	v_cmp_ne_u32_e64 s[0:1], s45, v85
                                        ; implicit-def: $vgpr85
	s_and_saveexec_b64 s[16:17], s[0:1]
	s_xor_b64 s[0:1], exec, s[16:17]
; %bb.111:                              ;   in Loop: Header=BB369_10 Depth=1
	v_bfe_u32 v85, v86, 16, 1
	v_add3_u32 v85, v86, v85, s46
                                        ; implicit-def: $vgpr86
; %bb.112:                              ;   in Loop: Header=BB369_10 Depth=1
	s_andn2_saveexec_b64 s[16:17], s[0:1]
; %bb.113:                              ;   in Loop: Header=BB369_10 Depth=1
	v_or_b32_e32 v85, 0x10000, v86
	v_cmp_eq_u32_sdwa s[0:1], v86, v3 src0_sel:WORD_0 src1_sel:DWORD
	s_nop 1
	v_cndmask_b32_e64 v85, v85, v86, s[0:1]
; %bb.114:                              ;   in Loop: Header=BB369_10 Depth=1
	s_or_b64 exec, exec, s[16:17]
	v_bfe_u32 v86, v87, 16, 8
	v_cvt_f32_fp8_sdwa v86, v86 src0_sel:BYTE_0
	s_nop 0
	v_mul_f32_e32 v88, s43, v86
	v_and_b32_e32 v86, 0x7f800000, v88
	v_cmp_ne_u32_e64 s[0:1], s45, v86
                                        ; implicit-def: $vgpr86
	s_and_saveexec_b64 s[16:17], s[0:1]
	s_xor_b64 s[0:1], exec, s[16:17]
; %bb.115:                              ;   in Loop: Header=BB369_10 Depth=1
	v_bfe_u32 v86, v88, 16, 1
	v_add3_u32 v86, v88, v86, s46
                                        ; implicit-def: $vgpr88
; %bb.116:                              ;   in Loop: Header=BB369_10 Depth=1
	s_andn2_saveexec_b64 s[16:17], s[0:1]
; %bb.117:                              ;   in Loop: Header=BB369_10 Depth=1
	v_or_b32_e32 v86, 0x10000, v88
	v_cmp_eq_u32_sdwa s[0:1], v88, v3 src0_sel:WORD_0 src1_sel:DWORD
	s_nop 1
	v_cndmask_b32_e64 v86, v86, v88, s[0:1]
; %bb.118:                              ;   in Loop: Header=BB369_10 Depth=1
	s_or_b64 exec, exec, s[16:17]
	v_lshrrev_b32_e32 v87, 24, v87
	v_cvt_f32_fp8_sdwa v87, v87 src0_sel:BYTE_0
	s_nop 0
	v_mul_f32_e32 v88, s43, v87
	v_and_b32_e32 v87, 0x7f800000, v88
	v_cmp_ne_u32_e64 s[0:1], s45, v87
                                        ; implicit-def: $vgpr87
	s_and_saveexec_b64 s[16:17], s[0:1]
	s_xor_b64 s[0:1], exec, s[16:17]
; %bb.119:                              ;   in Loop: Header=BB369_10 Depth=1
	v_bfe_u32 v87, v88, 16, 1
	v_add3_u32 v87, v88, v87, s46
                                        ; implicit-def: $vgpr88
; %bb.120:                              ;   in Loop: Header=BB369_10 Depth=1
	s_andn2_saveexec_b64 s[16:17], s[0:1]
; %bb.121:                              ;   in Loop: Header=BB369_10 Depth=1
	v_or_b32_e32 v87, 0x10000, v88
	v_cmp_eq_u32_sdwa s[0:1], v88, v3 src0_sel:WORD_0 src1_sel:DWORD
	s_nop 1
	v_cndmask_b32_e64 v87, v87, v88, s[0:1]
; %bb.122:                              ;   in Loop: Header=BB369_10 Depth=1
	s_or_b64 exec, exec, s[16:17]
	global_load_dword v91, v[8:9], off offset:1544
	s_waitcnt vmcnt(0)
	v_and_b32_e32 v88, 0xff, v91
	v_cvt_f32_fp8_sdwa v88, v88 src0_sel:BYTE_0
	s_nop 0
	v_mul_f32_e32 v89, s43, v88
	v_and_b32_e32 v88, 0x7f800000, v89
	v_cmp_ne_u32_e64 s[0:1], s45, v88
                                        ; implicit-def: $vgpr88
	s_and_saveexec_b64 s[16:17], s[0:1]
	s_xor_b64 s[0:1], exec, s[16:17]
; %bb.123:                              ;   in Loop: Header=BB369_10 Depth=1
	v_bfe_u32 v88, v89, 16, 1
	v_add3_u32 v88, v89, v88, s46
                                        ; implicit-def: $vgpr89
; %bb.124:                              ;   in Loop: Header=BB369_10 Depth=1
	s_andn2_saveexec_b64 s[16:17], s[0:1]
; %bb.125:                              ;   in Loop: Header=BB369_10 Depth=1
	v_or_b32_e32 v88, 0x10000, v89
	v_cmp_eq_u32_sdwa s[0:1], v89, v3 src0_sel:WORD_0 src1_sel:DWORD
	s_nop 1
	v_cndmask_b32_e64 v88, v88, v89, s[0:1]
; %bb.126:                              ;   in Loop: Header=BB369_10 Depth=1
	s_or_b64 exec, exec, s[16:17]
	v_bfe_u32 v89, v91, 8, 8
	v_cvt_f32_fp8_sdwa v89, v89 src0_sel:BYTE_0
	s_nop 0
	v_mul_f32_e32 v90, s43, v89
	v_and_b32_e32 v89, 0x7f800000, v90
	v_cmp_ne_u32_e64 s[0:1], s45, v89
                                        ; implicit-def: $vgpr89
	s_and_saveexec_b64 s[16:17], s[0:1]
	s_xor_b64 s[0:1], exec, s[16:17]
; %bb.127:                              ;   in Loop: Header=BB369_10 Depth=1
	v_bfe_u32 v89, v90, 16, 1
	v_add3_u32 v89, v90, v89, s46
                                        ; implicit-def: $vgpr90
; %bb.128:                              ;   in Loop: Header=BB369_10 Depth=1
	s_andn2_saveexec_b64 s[16:17], s[0:1]
; %bb.129:                              ;   in Loop: Header=BB369_10 Depth=1
	v_or_b32_e32 v89, 0x10000, v90
	v_cmp_eq_u32_sdwa s[0:1], v90, v3 src0_sel:WORD_0 src1_sel:DWORD
	s_nop 1
	v_cndmask_b32_e64 v89, v89, v90, s[0:1]
; %bb.130:                              ;   in Loop: Header=BB369_10 Depth=1
	s_or_b64 exec, exec, s[16:17]
	v_bfe_u32 v90, v91, 16, 8
	v_cvt_f32_fp8_sdwa v90, v90 src0_sel:BYTE_0
	s_nop 0
	v_mul_f32_e32 v92, s43, v90
	v_and_b32_e32 v90, 0x7f800000, v92
	v_cmp_ne_u32_e64 s[0:1], s45, v90
                                        ; implicit-def: $vgpr90
	s_and_saveexec_b64 s[16:17], s[0:1]
	s_xor_b64 s[0:1], exec, s[16:17]
; %bb.131:                              ;   in Loop: Header=BB369_10 Depth=1
	v_bfe_u32 v90, v92, 16, 1
	v_add3_u32 v90, v92, v90, s46
                                        ; implicit-def: $vgpr92
; %bb.132:                              ;   in Loop: Header=BB369_10 Depth=1
	s_andn2_saveexec_b64 s[16:17], s[0:1]
; %bb.133:                              ;   in Loop: Header=BB369_10 Depth=1
	v_or_b32_e32 v90, 0x10000, v92
	v_cmp_eq_u32_sdwa s[0:1], v92, v3 src0_sel:WORD_0 src1_sel:DWORD
	s_nop 1
	v_cndmask_b32_e64 v90, v90, v92, s[0:1]
; %bb.134:                              ;   in Loop: Header=BB369_10 Depth=1
	s_or_b64 exec, exec, s[16:17]
	v_lshrrev_b32_e32 v91, 24, v91
	v_cvt_f32_fp8_sdwa v91, v91 src0_sel:BYTE_0
	s_nop 0
	v_mul_f32_e32 v92, s43, v91
	v_and_b32_e32 v91, 0x7f800000, v92
	v_cmp_ne_u32_e64 s[0:1], s45, v91
                                        ; implicit-def: $vgpr91
	s_and_saveexec_b64 s[16:17], s[0:1]
	s_xor_b64 s[0:1], exec, s[16:17]
; %bb.135:                              ;   in Loop: Header=BB369_10 Depth=1
	v_bfe_u32 v91, v92, 16, 1
	v_add3_u32 v91, v92, v91, s46
                                        ; implicit-def: $vgpr92
; %bb.136:                              ;   in Loop: Header=BB369_10 Depth=1
	s_andn2_saveexec_b64 s[16:17], s[0:1]
; %bb.137:                              ;   in Loop: Header=BB369_10 Depth=1
	v_or_b32_e32 v91, 0x10000, v92
	v_cmp_eq_u32_sdwa s[0:1], v92, v3 src0_sel:WORD_0 src1_sel:DWORD
	s_nop 1
	v_cndmask_b32_e64 v91, v91, v92, s[0:1]
; %bb.138:                              ;   in Loop: Header=BB369_10 Depth=1
	s_or_b64 exec, exec, s[16:17]
	global_load_dword v95, v[8:9], off offset:2048
	s_waitcnt vmcnt(0)
	v_and_b32_e32 v92, 0xff, v95
	v_cvt_f32_fp8_sdwa v92, v92 src0_sel:BYTE_0
	s_nop 0
	v_mul_f32_e32 v93, s43, v92
	v_and_b32_e32 v92, 0x7f800000, v93
	v_cmp_ne_u32_e64 s[0:1], s45, v92
                                        ; implicit-def: $vgpr92
	s_and_saveexec_b64 s[16:17], s[0:1]
	s_xor_b64 s[0:1], exec, s[16:17]
; %bb.139:                              ;   in Loop: Header=BB369_10 Depth=1
	v_bfe_u32 v92, v93, 16, 1
	v_add3_u32 v92, v93, v92, s46
                                        ; implicit-def: $vgpr93
; %bb.140:                              ;   in Loop: Header=BB369_10 Depth=1
	s_andn2_saveexec_b64 s[16:17], s[0:1]
; %bb.141:                              ;   in Loop: Header=BB369_10 Depth=1
	v_or_b32_e32 v92, 0x10000, v93
	v_cmp_eq_u32_sdwa s[0:1], v93, v3 src0_sel:WORD_0 src1_sel:DWORD
	s_nop 1
	v_cndmask_b32_e64 v92, v92, v93, s[0:1]
; %bb.142:                              ;   in Loop: Header=BB369_10 Depth=1
	s_or_b64 exec, exec, s[16:17]
	v_bfe_u32 v93, v95, 8, 8
	v_cvt_f32_fp8_sdwa v93, v93 src0_sel:BYTE_0
	s_nop 0
	v_mul_f32_e32 v94, s43, v93
	v_and_b32_e32 v93, 0x7f800000, v94
	v_cmp_ne_u32_e64 s[0:1], s45, v93
                                        ; implicit-def: $vgpr93
	s_and_saveexec_b64 s[16:17], s[0:1]
	s_xor_b64 s[0:1], exec, s[16:17]
; %bb.143:                              ;   in Loop: Header=BB369_10 Depth=1
	v_bfe_u32 v93, v94, 16, 1
	v_add3_u32 v93, v94, v93, s46
                                        ; implicit-def: $vgpr94
; %bb.144:                              ;   in Loop: Header=BB369_10 Depth=1
	s_andn2_saveexec_b64 s[16:17], s[0:1]
; %bb.145:                              ;   in Loop: Header=BB369_10 Depth=1
	v_or_b32_e32 v93, 0x10000, v94
	v_cmp_eq_u32_sdwa s[0:1], v94, v3 src0_sel:WORD_0 src1_sel:DWORD
	s_nop 1
	v_cndmask_b32_e64 v93, v93, v94, s[0:1]
; %bb.146:                              ;   in Loop: Header=BB369_10 Depth=1
	s_or_b64 exec, exec, s[16:17]
	v_bfe_u32 v94, v95, 16, 8
	v_cvt_f32_fp8_sdwa v94, v94 src0_sel:BYTE_0
	s_nop 0
	v_mul_f32_e32 v96, s43, v94
	v_and_b32_e32 v94, 0x7f800000, v96
	v_cmp_ne_u32_e64 s[0:1], s45, v94
                                        ; implicit-def: $vgpr94
	s_and_saveexec_b64 s[16:17], s[0:1]
	s_xor_b64 s[0:1], exec, s[16:17]
; %bb.147:                              ;   in Loop: Header=BB369_10 Depth=1
	v_bfe_u32 v94, v96, 16, 1
	v_add3_u32 v94, v96, v94, s46
                                        ; implicit-def: $vgpr96
; %bb.148:                              ;   in Loop: Header=BB369_10 Depth=1
	s_andn2_saveexec_b64 s[16:17], s[0:1]
; %bb.149:                              ;   in Loop: Header=BB369_10 Depth=1
	v_or_b32_e32 v94, 0x10000, v96
	v_cmp_eq_u32_sdwa s[0:1], v96, v3 src0_sel:WORD_0 src1_sel:DWORD
	s_nop 1
	v_cndmask_b32_e64 v94, v94, v96, s[0:1]
; %bb.150:                              ;   in Loop: Header=BB369_10 Depth=1
	s_or_b64 exec, exec, s[16:17]
	v_lshrrev_b32_e32 v95, 24, v95
	v_cvt_f32_fp8_sdwa v95, v95 src0_sel:BYTE_0
	s_nop 0
	v_mul_f32_e32 v96, s43, v95
	v_and_b32_e32 v95, 0x7f800000, v96
	v_cmp_ne_u32_e64 s[0:1], s45, v95
                                        ; implicit-def: $vgpr95
	s_and_saveexec_b64 s[16:17], s[0:1]
	s_xor_b64 s[0:1], exec, s[16:17]
; %bb.151:                              ;   in Loop: Header=BB369_10 Depth=1
	v_bfe_u32 v95, v96, 16, 1
	v_add3_u32 v95, v96, v95, s46
                                        ; implicit-def: $vgpr96
; %bb.152:                              ;   in Loop: Header=BB369_10 Depth=1
	s_andn2_saveexec_b64 s[16:17], s[0:1]
; %bb.153:                              ;   in Loop: Header=BB369_10 Depth=1
	v_or_b32_e32 v95, 0x10000, v96
	v_cmp_eq_u32_sdwa s[0:1], v96, v3 src0_sel:WORD_0 src1_sel:DWORD
	s_nop 1
	v_cndmask_b32_e64 v95, v95, v96, s[0:1]
; %bb.154:                              ;   in Loop: Header=BB369_10 Depth=1
	s_or_b64 exec, exec, s[16:17]
	global_load_dword v9, v[8:9], off offset:2056
	s_waitcnt vmcnt(0)
	v_and_b32_e32 v8, 0xff, v9
	v_cvt_f32_fp8_sdwa v8, v8 src0_sel:BYTE_0
	s_nop 0
	v_mul_f32_e32 v96, s43, v8
	v_and_b32_e32 v8, 0x7f800000, v96
	v_cmp_ne_u32_e64 s[0:1], s45, v8
                                        ; implicit-def: $vgpr8
	s_and_saveexec_b64 s[16:17], s[0:1]
	s_xor_b64 s[0:1], exec, s[16:17]
; %bb.155:                              ;   in Loop: Header=BB369_10 Depth=1
	v_bfe_u32 v8, v96, 16, 1
	v_add3_u32 v8, v96, v8, s46
                                        ; implicit-def: $vgpr96
; %bb.156:                              ;   in Loop: Header=BB369_10 Depth=1
	s_andn2_saveexec_b64 s[16:17], s[0:1]
; %bb.157:                              ;   in Loop: Header=BB369_10 Depth=1
	v_or_b32_e32 v8, 0x10000, v96
	v_cmp_eq_u32_sdwa s[0:1], v96, v3 src0_sel:WORD_0 src1_sel:DWORD
	s_nop 1
	v_cndmask_b32_e64 v8, v8, v96, s[0:1]
; %bb.158:                              ;   in Loop: Header=BB369_10 Depth=1
	s_or_b64 exec, exec, s[16:17]
	v_bfe_u32 v96, v9, 8, 8
	v_cvt_f32_fp8_sdwa v96, v96 src0_sel:BYTE_0
	s_nop 0
	v_mul_f32_e32 v96, s43, v96
	v_and_b32_e32 v97, 0x7f800000, v96
	v_cmp_ne_u32_e64 s[0:1], s45, v97
                                        ; implicit-def: $vgpr97
	s_and_saveexec_b64 s[16:17], s[0:1]
	s_xor_b64 s[0:1], exec, s[16:17]
; %bb.159:                              ;   in Loop: Header=BB369_10 Depth=1
	v_bfe_u32 v97, v96, 16, 1
	v_add3_u32 v97, v96, v97, s46
                                        ; implicit-def: $vgpr96
; %bb.160:                              ;   in Loop: Header=BB369_10 Depth=1
	s_andn2_saveexec_b64 s[16:17], s[0:1]
; %bb.161:                              ;   in Loop: Header=BB369_10 Depth=1
	v_or_b32_e32 v97, 0x10000, v96
	v_cmp_eq_u32_sdwa s[0:1], v96, v3 src0_sel:WORD_0 src1_sel:DWORD
	s_nop 1
	v_cndmask_b32_e64 v97, v97, v96, s[0:1]
; %bb.162:                              ;   in Loop: Header=BB369_10 Depth=1
	s_or_b64 exec, exec, s[16:17]
	v_bfe_u32 v96, v9, 16, 8
	v_cvt_f32_fp8_sdwa v96, v96 src0_sel:BYTE_0
	s_nop 0
	v_mul_f32_e32 v98, s43, v96
	v_and_b32_e32 v96, 0x7f800000, v98
	v_cmp_ne_u32_e64 s[0:1], s45, v96
                                        ; implicit-def: $vgpr96
	s_and_saveexec_b64 s[16:17], s[0:1]
	s_xor_b64 s[0:1], exec, s[16:17]
; %bb.163:                              ;   in Loop: Header=BB369_10 Depth=1
	v_bfe_u32 v96, v98, 16, 1
	v_add3_u32 v96, v98, v96, s46
                                        ; implicit-def: $vgpr98
; %bb.164:                              ;   in Loop: Header=BB369_10 Depth=1
	s_andn2_saveexec_b64 s[16:17], s[0:1]
; %bb.165:                              ;   in Loop: Header=BB369_10 Depth=1
	v_or_b32_e32 v96, 0x10000, v98
	v_cmp_eq_u32_sdwa s[0:1], v98, v3 src0_sel:WORD_0 src1_sel:DWORD
	s_nop 1
	v_cndmask_b32_e64 v96, v96, v98, s[0:1]
; %bb.166:                              ;   in Loop: Header=BB369_10 Depth=1
	s_or_b64 exec, exec, s[16:17]
	v_lshrrev_b32_e32 v9, 24, v9
	v_cvt_f32_fp8_sdwa v9, v9 src0_sel:BYTE_0
	s_nop 0
	v_mul_f32_e32 v98, s43, v9
	v_and_b32_e32 v9, 0x7f800000, v98
	v_cmp_ne_u32_e64 s[0:1], s45, v9
                                        ; implicit-def: $vgpr9
	s_and_saveexec_b64 s[16:17], s[0:1]
	s_xor_b64 s[0:1], exec, s[16:17]
; %bb.167:                              ;   in Loop: Header=BB369_10 Depth=1
	v_bfe_u32 v9, v98, 16, 1
	v_add3_u32 v9, v98, v9, s46
                                        ; implicit-def: $vgpr98
; %bb.168:                              ;   in Loop: Header=BB369_10 Depth=1
	s_andn2_saveexec_b64 s[16:17], s[0:1]
; %bb.169:                              ;   in Loop: Header=BB369_10 Depth=1
	v_or_b32_e32 v9, 0x10000, v98
	v_cmp_eq_u32_sdwa s[0:1], v98, v3 src0_sel:WORD_0 src1_sel:DWORD
	s_nop 1
	v_cndmask_b32_e64 v9, v9, v98, s[0:1]
; %bb.170:                              ;   in Loop: Header=BB369_10 Depth=1
	s_or_b64 exec, exec, s[16:17]
	v_and_b32_e32 v64, 0xffff0000, v64
	v_and_b32_e32 v65, 0xffff0000, v65
	;; [unrolled: 1-line block ×3, first 2 shown]
	v_mul_f32_e32 v64, v18, v64
	v_and_b32_e32 v66, 0xffff0000, v66
	v_and_b32_e32 v61, 0xffff0000, v61
	v_fmac_f32_e32 v64, v1, v60
	v_mul_f32_e32 v60, v19, v65
	v_and_b32_e32 v69, 0xffff0000, v69
	v_and_b32_e32 v68, 0xffff0000, v68
	;; [unrolled: 1-line block ×4, first 2 shown]
	v_fmac_f32_e32 v60, v14, v61
	v_mul_f32_e32 v61, v21, v66
	v_and_b32_e32 v73, 0xffff0000, v73
	v_and_b32_e32 v72, 0xffff0000, v72
	;; [unrolled: 1-line block ×4, first 2 shown]
	v_fmac_f32_e32 v61, v15, v62
	v_mul_f32_e32 v62, v22, v67
	v_fmac_f32_e32 v64, v23, v68
	v_fmac_f32_e32 v60, v24, v69
	v_and_b32_e32 v77, 0xffff0000, v77
	v_and_b32_e32 v76, 0xffff0000, v76
	v_and_b32_e32 v74, 0xffff0000, v74
	v_and_b32_e32 v71, 0xffff0000, v71
	v_fmac_f32_e32 v62, v16, v63
	v_fmac_f32_e32 v61, v25, v70
	v_fmac_f32_e32 v64, v27, v72
	v_fmac_f32_e32 v60, v28, v73
	v_and_b32_e32 v81, 0xffff0000, v81
	v_and_b32_e32 v80, 0xffff0000, v80
	v_and_b32_e32 v78, 0xffff0000, v78
	v_and_b32_e32 v75, 0xffff0000, v75
	v_fmac_f32_e32 v62, v26, v71
	v_fmac_f32_e32 v61, v29, v74
	;; [unrolled: 8-line block ×6, first 2 shown]
	v_fmac_f32_e32 v64, v47, v92
	v_fmac_f32_e32 v60, v48, v93
	v_and_b32_e32 v95, 0xffff0000, v95
	v_and_b32_e32 v96, 0xffff0000, v96
	v_fmac_f32_e32 v62, v46, v91
	v_fmac_f32_e32 v61, v49, v94
	;; [unrolled: 1-line block ×4, first 2 shown]
	v_and_b32_e32 v9, 0xffff0000, v9
	v_fmac_f32_e32 v62, v50, v95
	v_fmac_f32_e32 v61, v54, v96
	v_add_f32_e32 v8, v64, v60
	v_fmac_f32_e32 v62, v55, v9
	v_add_f32_e32 v8, v8, v61
	v_add_f32_e32 v8, v8, v62
	ds_bpermute_b32 v9, v56, v8
	s_and_saveexec_b64 s[16:17], vcc
	s_cbranch_execz .LBB369_9
; %bb.171:                              ;   in Loop: Header=BB369_10 Depth=1
	v_add_u32_e32 v60, s44, v57
	v_cvt_f32_i32_e32 v60, v60
	s_waitcnt lgkmcnt(0)
	v_add_f32_e32 v8, v8, v9
	v_cmp_gt_i32_e64 s[0:1], s33, v57
	v_max_f32_e32 v9, v51, v51
	v_mul_f32_e32 v60, s5, v60
	v_cndmask_b32_e64 v60, 0, v60, s[6:7]
	v_fmac_f32_e32 v60, s11, v8
	v_cndmask_b32_e64 v8, 0, v60, s[0:1]
	ds_write_b32 v58, v8
	v_max_f32_e32 v8, v9, v60
	v_cndmask_b32_e64 v51, v51, v8, s[0:1]
	s_branch .LBB369_9
.LBB369_172:
	s_or_b64 exec, exec, s[14:15]
.LBB369_173:
	s_or_b64 exec, exec, s[38:39]
	v_xor_b32_e32 v1, 32, v12
	v_cmp_lt_i32_e32 vcc, v1, v13
	v_xor_b32_e32 v4, 16, v12
	v_max_f32_e32 v3, v51, v51
	v_cndmask_b32_e32 v1, v12, v1, vcc
	v_lshlrev_b32_e32 v2, 2, v1
	ds_bpermute_b32 v1, v2, v51
	v_cmp_lt_i32_e32 vcc, v4, v13
	v_xor_b32_e32 v5, 8, v12
	v_xor_b32_e32 v6, 4, v12
	;; [unrolled: 1-line block ×3, first 2 shown]
	s_waitcnt lgkmcnt(0)
	v_max_f32_e32 v1, v1, v1
	v_max_f32_e32 v1, v3, v1
	v_cndmask_b32_e32 v3, v12, v4, vcc
	v_lshlrev_b32_e32 v3, 2, v3
	ds_bpermute_b32 v4, v3, v1
	v_cmp_lt_i32_e32 vcc, v5, v13
	s_waitcnt lgkmcnt(0)
	v_max_f32_e32 v4, v4, v4
	v_max_f32_e32 v1, v1, v4
	v_cndmask_b32_e32 v4, v12, v5, vcc
	v_lshlrev_b32_e32 v5, 2, v4
	ds_bpermute_b32 v4, v5, v1
	v_cmp_lt_i32_e32 vcc, v6, v13
	;; [unrolled: 7-line block ×3, first 2 shown]
	s_waitcnt lgkmcnt(0)
	v_max_f32_e32 v4, v4, v4
	v_max_f32_e32 v4, v1, v4
	v_cndmask_b32_e32 v1, v12, v7, vcc
	v_lshlrev_b32_e32 v22, 2, v1
	ds_bpermute_b32 v8, v22, v4
	v_and_b32_e32 v1, 63, v0
	v_cmp_eq_u32_e32 vcc, 0, v1
	v_lshlrev_b32_e32 v7, 2, v20
	s_and_saveexec_b64 s[0:1], vcc
	s_cbranch_execz .LBB369_175
; %bb.174:
	s_waitcnt lgkmcnt(0)
	v_max_f32_e32 v8, v8, v8
	v_max_f32_e32 v4, v4, v4
	;; [unrolled: 1-line block ×3, first 2 shown]
	ds_write_b32 v7, v4 offset:160
.LBB369_175:
	s_or_b64 exec, exec, s[0:1]
	v_cmp_gt_u32_e64 s[0:1], 2, v1
	v_mov_b32_e32 v4, 0xff7fffff
	s_waitcnt lgkmcnt(0)
	v_lshlrev_b32_e32 v8, 2, v1
	s_barrier
	s_and_saveexec_b64 s[6:7], s[0:1]
	s_cbranch_execz .LBB369_177
; %bb.176:
	ds_read_b32 v4, v8 offset:160
.LBB369_177:
	s_or_b64 exec, exec, s[6:7]
	v_xor_b32_e32 v9, 1, v12
	v_cmp_lt_i32_e64 s[6:7], v9, v13
	s_sub_i32 s3, s27, s3
	s_lshl_b32 s3, s3, 5
	v_cndmask_b32_e64 v9, v12, v9, s[6:7]
	v_lshlrev_b32_e32 v23, 2, v9
	s_waitcnt lgkmcnt(0)
	ds_bpermute_b32 v9, v23, v4
	v_max_f32_e32 v4, v4, v4
	s_add_i32 s3, s3, s40
	s_min_i32 s5, s3, s33
	s_sub_i32 s3, s5, s40
	s_waitcnt lgkmcnt(0)
	v_max_f32_e32 v9, v9, v9
	v_max_f32_e32 v4, v4, v9
	v_lshlrev_b32_e32 v9, 2, v12
	v_and_b32_e32 v9, 0xffffff00, v9
	ds_bpermute_b32 v4, v9, v4
	v_cmp_gt_i32_e64 s[6:7], s3, v0
	v_mov_b32_e32 v12, 0
	s_and_saveexec_b64 s[14:15], s[6:7]
	s_cbranch_execz .LBB369_181
; %bb.178:
	v_mov_b32_e32 v12, 0xb0
	v_lshl_add_u32 v13, v0, 2, v12
	s_mov_b64 s[16:17], 0
	v_mov_b32_e32 v12, 0
	v_mov_b32_e32 v14, v0
.LBB369_179:                            ; =>This Inner Loop Header: Depth=1
	ds_read_b32 v15, v13
	v_add_u32_e32 v14, 0x80, v14
	v_cmp_le_i32_e64 s[10:11], s3, v14
	s_or_b64 s[16:17], s[10:11], s[16:17]
	s_waitcnt lgkmcnt(0)
	v_sub_f32_e32 v15, v15, v4
	v_mul_f32_e32 v15, 0x3fb8aa3b, v15
	v_exp_f32_e32 v15, v15
	ds_write_b32 v13, v15
	v_add_f32_e32 v12, v12, v15
	v_add_u32_e32 v13, 0x200, v13
	s_andn2_b64 exec, exec, s[16:17]
	s_cbranch_execnz .LBB369_179
; %bb.180:
	s_or_b64 exec, exec, s[16:17]
.LBB369_181:
	s_or_b64 exec, exec, s[14:15]
	ds_bpermute_b32 v2, v2, v12
	s_waitcnt lgkmcnt(0)
	v_add_f32_e32 v2, v12, v2
	ds_bpermute_b32 v3, v3, v2
	s_waitcnt lgkmcnt(0)
	v_add_f32_e32 v2, v2, v3
	ds_bpermute_b32 v3, v5, v2
	s_waitcnt lgkmcnt(0)
	v_add_f32_e32 v2, v2, v3
	ds_bpermute_b32 v3, v6, v2
	s_waitcnt lgkmcnt(0)
	v_add_f32_e32 v2, v2, v3
	ds_bpermute_b32 v3, v22, v2
	s_waitcnt lgkmcnt(0)
	v_add_f32_e32 v2, v2, v3
	ds_bpermute_b32 v3, v23, v2
	s_waitcnt lgkmcnt(0)
	v_add_f32_e32 v2, v2, v3
	s_and_saveexec_b64 s[10:11], vcc
	s_cbranch_execz .LBB369_183
; %bb.182:
	ds_write_b32 v7, v2 offset:168
.LBB369_183:
	s_or_b64 exec, exec, s[10:11]
	s_waitcnt lgkmcnt(0)
	s_barrier
	s_and_saveexec_b64 s[10:11], s[0:1]
	s_cbranch_execz .LBB369_185
; %bb.184:
	ds_read_b32 v2, v8 offset:168
.LBB369_185:
	s_or_b64 exec, exec, s[10:11]
	s_waitcnt lgkmcnt(0)
	ds_bpermute_b32 v3, v23, v2
	s_waitcnt lgkmcnt(0)
	v_add_f32_e32 v2, v2, v3
	ds_bpermute_b32 v5, v9, v2
	s_and_saveexec_b64 s[0:1], s[6:7]
	s_cbranch_execz .LBB369_198
; %bb.186:
	s_waitcnt lgkmcnt(0)
	v_add_f32_e32 v2, 0x358637bd, v5
	v_div_scale_f32 v3, s[6:7], v2, v2, 1.0
	v_rcp_f32_e32 v6, v3
	v_div_scale_f32 v7, vcc, 1.0, v2, 1.0
	s_mov_b64 s[10:11], -1
	v_fma_f32 v8, -v3, v6, 1.0
	v_fmac_f32_e32 v6, v8, v6
	v_mul_f32_e32 v8, v7, v6
	v_fma_f32 v9, -v3, v8, v7
	v_fmac_f32_e32 v8, v9, v6
	v_fma_f32 v3, -v3, v8, v7
	v_div_fmas_f32 v3, v3, v6, v8
	v_div_fixup_f32 v2, v3, v2, 1.0
	v_xad_u32 v3, v0, -1, s5
	v_subrev_u32_e32 v6, s40, v3
	s_movk_i32 s5, 0x7f
	v_cmp_lt_u32_e32 vcc, s5, v6
	v_mov_b32_e32 v3, v0
	s_and_saveexec_b64 s[6:7], vcc
	s_cbranch_execz .LBB369_195
; %bb.187:
	v_lshrrev_b32_e32 v6, 7, v6
	v_add_u32_e32 v8, -1, v6
	v_lshrrev_b32_e32 v7, 1, v8
	v_mov_b32_e32 v3, v2
	v_add_u32_e32 v7, 1, v7
	v_cmp_lt_u32_e32 vcc, 13, v8
	v_mov_b32_e32 v12, 0
	s_and_saveexec_b64 s[10:11], vcc
	s_cbranch_execz .LBB369_191
; %bb.188:
	v_mov_b32_e32 v9, 0xb0
	v_and_b32_e32 v8, -8, v7
	v_lshl_add_u32 v9, v0, 2, v9
	s_mov_b32 s5, 0
	s_mov_b64 s[14:15], 0
.LBB369_189:                            ; =>This Inner Loop Header: Depth=1
	ds_read2st64_b32 v[12:13], v9 offset1:2
	ds_read2st64_b32 v[14:15], v9 offset0:4 offset1:6
	ds_read2st64_b32 v[18:19], v9 offset0:8 offset1:10
	;; [unrolled: 1-line block ×3, first 2 shown]
	v_add_u32_e32 v8, -8, v8
	s_waitcnt lgkmcnt(3)
	v_pk_mul_f32 v[12:13], v[2:3], v[12:13]
	s_waitcnt lgkmcnt(2)
	v_pk_mul_f32 v[14:15], v[2:3], v[14:15]
	ds_write2st64_b32 v9, v12, v13 offset1:2
	ds_write2st64_b32 v9, v14, v15 offset0:4 offset1:6
	ds_read2st64_b32 v[14:15], v9 offset0:16 offset1:18
	s_waitcnt lgkmcnt(4)
	v_pk_mul_f32 v[12:13], v[2:3], v[18:19]
	ds_write2st64_b32 v9, v12, v13 offset0:8 offset1:10
	s_waitcnt lgkmcnt(4)
	v_pk_mul_f32 v[12:13], v[2:3], v[24:25]
	ds_write2st64_b32 v9, v12, v13 offset0:12 offset1:14
	ds_read2st64_b32 v[12:13], v9 offset0:20 offset1:22
	s_waitcnt lgkmcnt(3)
	v_pk_mul_f32 v[14:15], v[2:3], v[14:15]
	ds_read2st64_b32 v[18:19], v9 offset0:24 offset1:26
	ds_write2st64_b32 v9, v14, v15 offset0:16 offset1:18
	ds_read2st64_b32 v[14:15], v9 offset0:28 offset1:30
	s_waitcnt lgkmcnt(3)
	v_pk_mul_f32 v[12:13], v[2:3], v[12:13]
	ds_write2st64_b32 v9, v12, v13 offset0:20 offset1:22
	s_waitcnt lgkmcnt(3)
	v_pk_mul_f32 v[12:13], v[2:3], v[18:19]
	ds_write2st64_b32 v9, v12, v13 offset0:24 offset1:26
	s_waitcnt lgkmcnt(2)
	v_pk_mul_f32 v[12:13], v[2:3], v[14:15]
	s_add_i32 s5, s5, 16
	v_cmp_eq_u32_e32 vcc, 0, v8
	ds_write2st64_b32 v9, v12, v13 offset0:28 offset1:30
	v_add_u32_e32 v9, 0x2000, v9
	s_or_b64 s[14:15], vcc, s[14:15]
	v_mov_b32_e32 v12, s5
	s_andn2_b64 exec, exec, s[14:15]
	s_cbranch_execnz .LBB369_189
; %bb.190:
	s_or_b64 exec, exec, s[14:15]
.LBB369_191:
	s_or_b64 exec, exec, s[10:11]
	v_and_b32_e32 v7, 7, v7
	v_cmp_ne_u32_e32 vcc, 0, v7
	s_and_saveexec_b64 s[10:11], vcc
	s_cbranch_execz .LBB369_194
; %bb.192:
	v_lshlrev_b32_e32 v8, 9, v12
	v_lshlrev_b32_e32 v9, 2, v0
	s_movk_i32 s5, 0xb0
	v_add3_u32 v8, v8, v9, s5
	s_mov_b64 s[14:15], 0
.LBB369_193:                            ; =>This Inner Loop Header: Depth=1
	ds_read2st64_b32 v[12:13], v8 offset1:2
	v_add_u32_e32 v7, -1, v7
	v_cmp_eq_u32_e32 vcc, 0, v7
	s_or_b64 s[14:15], vcc, s[14:15]
	s_waitcnt lgkmcnt(0)
	v_pk_mul_f32 v[12:13], v[2:3], v[12:13]
	ds_write2st64_b32 v8, v12, v13 offset1:2
	v_add_u32_e32 v8, 0x400, v8
	s_andn2_b64 exec, exec, s[14:15]
	s_cbranch_execnz .LBB369_193
.LBB369_194:
	s_or_b64 exec, exec, s[10:11]
	v_add_u32_e32 v6, 1, v6
	v_and_b32_e32 v7, 0x3fffffe, v6
	v_cmp_ne_u32_e32 vcc, v6, v7
	v_lshl_add_u32 v3, v7, 7, v0
	s_orn2_b64 s[10:11], vcc, exec
.LBB369_195:
	s_or_b64 exec, exec, s[6:7]
	s_and_b64 exec, exec, s[10:11]
	s_cbranch_execz .LBB369_198
; %bb.196:
	v_mov_b32_e32 v6, 0xb0
	v_lshl_add_u32 v6, v3, 2, v6
	s_mov_b64 s[6:7], 0
.LBB369_197:                            ; =>This Inner Loop Header: Depth=1
	ds_read_b32 v7, v6
	v_add_u32_e32 v3, 0x80, v3
	v_cmp_le_i32_e32 vcc, s3, v3
	s_or_b64 s[6:7], vcc, s[6:7]
	s_waitcnt lgkmcnt(0)
	v_mul_f32_e32 v7, v2, v7
	ds_write_b32 v6, v7
	v_add_u32_e32 v6, 0x200, v6
	s_andn2_b64 exec, exec, s[6:7]
	s_cbranch_execnz .LBB369_197
.LBB369_198:
	s_or_b64 exec, exec, s[0:1]
	v_cmp_eq_u32_e32 vcc, 0, v0
	s_waitcnt lgkmcnt(0)
	s_barrier
	s_and_saveexec_b64 s[0:1], vcc
	s_cbranch_execz .LBB369_200
; %bb.199:
	s_mul_i32 s3, s12, s24
	s_mul_i32 s6, s3, s25
	s_ashr_i32 s7, s6, 31
	s_lshl_b64 s[6:7], s[6:7], 2
	s_add_u32 s5, s22, s6
	s_mul_i32 s2, s12, s2
	s_addc_u32 s10, s23, s7
	s_ashr_i32 s3, s2, 31
	s_lshl_b64 s[2:3], s[2:3], 2
	s_add_u32 s14, s5, s2
	s_addc_u32 s15, s10, s3
	s_ashr_i32 s5, s4, 31
	s_lshl_b64 s[10:11], s[4:5], 2
	s_add_u32 s14, s14, s10
	s_addc_u32 s15, s15, s11
	s_add_u32 s5, s20, s6
	s_addc_u32 s6, s21, s7
	;; [unrolled: 2-line block ×3, first 2 shown]
	s_add_u32 s2, s2, s10
	v_mov_b32_e32 v2, 0
	s_addc_u32 s3, s3, s11
	global_store_dword v2, v4, s[14:15]
	global_store_dword v2, v5, s[2:3]
.LBB369_200:
	s_or_b64 exec, exec, s[0:1]
	v_mov_b32_e32 v16, 0
	v_and_b32_e32 v24, 3, v0
	v_mov_b32_e32 v13, 0
	v_mov_b32_e32 v12, 0
	;; [unrolled: 1-line block ×4, first 2 shown]
	s_and_saveexec_b64 s[2:3], s[8:9]
	s_cbranch_execz .LBB369_566
; %bb.201:
	s_ashr_i32 s1, s42, 31
	s_add_u32 s0, s36, s42
	v_and_b32_e32 v2, 24, v17
	s_addc_u32 s1, s37, s1
	s_load_dword s10, s[18:19], 0x0
	v_and_b32_e32 v16, 0x1f8, v17
	v_mov_b32_e32 v17, 0
	s_add_i32 s11, s41, -1
	v_lshl_add_u64 v[18:19], s[0:1], 0, v[16:17]
	v_lshl_add_u32 v3, v20, 5, s40
	s_lshl_b64 s[0:1], s[34:35], 2
	v_add3_u32 v25, v3, v2, 7
	v_lshlrev_b32_e32 v2, 5, v24
	s_add_u32 s0, s30, s0
	v_lshl_or_b32 v2, v20, 7, v2
	s_addc_u32 s1, s31, s1
	s_mov_b32 s5, s13
	v_add_u32_e32 v26, 0xb0, v2
	v_lshl_add_u64 v[20:21], v[10:11], 2, s[0:1]
	s_mov_b64 s[6:7], 0
	s_mov_b32 s13, 0x7f800000
	s_movk_i32 s14, 0x7fff
	v_mov_b32_e32 v14, 0
	v_mov_b32_e32 v15, 0
	;; [unrolled: 1-line block ×5, first 2 shown]
	s_branch .LBB369_203
.LBB369_202:                            ;   in Loop: Header=BB369_203 Depth=1
	s_or_b64 exec, exec, s[0:1]
	v_and_b32_e32 v41, 0xffff0000, v9
	v_and_b32_e32 v40, 0xffff0000, v7
	;; [unrolled: 1-line block ×8, first 2 shown]
	v_pk_add_f32 v[6:7], v[6:7], v[40:41]
	v_pk_add_f32 v[8:9], v[38:39], v[36:37]
	v_add_f32_e32 v6, v6, v7
	v_add_f32_e32 v6, v6, v8
	v_add_f32_e32 v6, v6, v9
	v_and_b32_e32 v37, 0xffff0000, v48
	v_and_b32_e32 v36, 0xffff0000, v46
	v_and_b32_e32 v39, 0xffff0000, v47
	v_and_b32_e32 v38, 0xffff0000, v45
	v_add_f32_e32 v14, v14, v6
	v_and_b32_e32 v7, 0xffff0000, v52
	v_and_b32_e32 v6, 0xffff0000, v50
	v_and_b32_e32 v9, 0xffff0000, v51
	v_and_b32_e32 v8, 0xffff0000, v49
	v_pk_add_f32 v[36:37], v[38:39], v[36:37]
	v_pk_add_f32 v[6:7], v[8:9], v[6:7]
	v_add_f32_e32 v8, v36, v37
	v_add_f32_e32 v6, v8, v6
	v_add_f32_e32 v6, v6, v7
	v_and_b32_e32 v37, 0xffff0000, v56
	v_and_b32_e32 v36, 0xffff0000, v54
	v_and_b32_e32 v39, 0xffff0000, v55
	v_and_b32_e32 v38, 0xffff0000, v53
	v_add_f32_e32 v15, v15, v6
	v_and_b32_e32 v7, 0xffff0000, v60
	v_and_b32_e32 v6, 0xffff0000, v58
	v_and_b32_e32 v9, 0xffff0000, v59
	v_and_b32_e32 v8, 0xffff0000, v57
	;; [unrolled: 14-line block ×4, first 2 shown]
	v_pk_add_f32 v[2:3], v[2:3], v[8:9]
	v_pk_add_f32 v[4:5], v[6:7], v[4:5]
	v_add_f32_e32 v2, v2, v3
	v_add_f32_e32 v2, v2, v4
	v_add_u32_e32 v10, 2, v10
	v_add_f32_e32 v2, v2, v5
	v_cmp_le_i32_e32 vcc, s27, v10
	v_add_f32_e32 v16, v16, v2
	v_add_u32_e32 v25, 64, v25
	v_add_u32_e32 v26, 0x100, v26
	s_or_b64 s[6:7], vcc, s[6:7]
	v_lshl_add_u64 v[20:21], v[20:21], 0, 8
	s_andn2_b64 exec, exec, s[6:7]
	s_cbranch_execz .LBB369_565
.LBB369_203:                            ; =>This Inner Loop Header: Depth=1
	global_load_dword v29, v[20:21], off
	ds_read2_b64 v[6:9], v26 offset1:1
	ds_read2_b64 v[2:5], v26 offset0:2 offset1:3
                                        ; implicit-def: $vgpr37
	s_waitcnt lgkmcnt(0)
	v_and_b32_e32 v11, 0x7f800000, v6
	v_cmp_ne_u32_e32 vcc, s13, v11
	s_and_saveexec_b64 s[0:1], vcc
	s_xor_b64 s[0:1], exec, s[0:1]
; %bb.204:                              ;   in Loop: Header=BB369_203 Depth=1
	v_bfe_u32 v11, v6, 16, 1
	v_add3_u32 v37, v6, v11, s14
; %bb.205:                              ;   in Loop: Header=BB369_203 Depth=1
	s_andn2_saveexec_b64 s[0:1], s[0:1]
; %bb.206:                              ;   in Loop: Header=BB369_203 Depth=1
	v_or_b32_e32 v11, 0x10000, v6
	v_cmp_eq_u32_sdwa vcc, v6, v17 src0_sel:WORD_0 src1_sel:DWORD
	s_nop 1
	v_cndmask_b32_e32 v37, v11, v6, vcc
; %bb.207:                              ;   in Loop: Header=BB369_203 Depth=1
	s_or_b64 exec, exec, s[0:1]
	v_and_b32_e32 v6, 0x7f800000, v7
	v_cmp_ne_u32_e32 vcc, s13, v6
                                        ; implicit-def: $vgpr38
	s_and_saveexec_b64 s[0:1], vcc
	s_xor_b64 s[0:1], exec, s[0:1]
; %bb.208:                              ;   in Loop: Header=BB369_203 Depth=1
	v_bfe_u32 v6, v7, 16, 1
	v_add3_u32 v38, v7, v6, s14
; %bb.209:                              ;   in Loop: Header=BB369_203 Depth=1
	s_andn2_saveexec_b64 s[0:1], s[0:1]
; %bb.210:                              ;   in Loop: Header=BB369_203 Depth=1
	v_or_b32_e32 v6, 0x10000, v7
	v_cmp_eq_u32_sdwa vcc, v7, v17 src0_sel:WORD_0 src1_sel:DWORD
	s_nop 1
	v_cndmask_b32_e32 v38, v6, v7, vcc
; %bb.211:                              ;   in Loop: Header=BB369_203 Depth=1
	s_or_b64 exec, exec, s[0:1]
	v_and_b32_e32 v6, 0x7f800000, v8
	v_cmp_ne_u32_e32 vcc, s13, v6
                                        ; implicit-def: $vgpr39
	s_and_saveexec_b64 s[0:1], vcc
	s_xor_b64 s[0:1], exec, s[0:1]
; %bb.212:                              ;   in Loop: Header=BB369_203 Depth=1
	v_bfe_u32 v6, v8, 16, 1
	v_add3_u32 v39, v8, v6, s14
; %bb.213:                              ;   in Loop: Header=BB369_203 Depth=1
	s_andn2_saveexec_b64 s[0:1], s[0:1]
; %bb.214:                              ;   in Loop: Header=BB369_203 Depth=1
	v_or_b32_e32 v6, 0x10000, v8
	v_cmp_eq_u32_sdwa vcc, v8, v17 src0_sel:WORD_0 src1_sel:DWORD
	s_nop 1
	v_cndmask_b32_e32 v39, v6, v8, vcc
; %bb.215:                              ;   in Loop: Header=BB369_203 Depth=1
	s_or_b64 exec, exec, s[0:1]
	v_and_b32_e32 v6, 0x7f800000, v9
	v_cmp_ne_u32_e32 vcc, s13, v6
                                        ; implicit-def: $vgpr40
	s_and_saveexec_b64 s[0:1], vcc
	s_xor_b64 s[0:1], exec, s[0:1]
; %bb.216:                              ;   in Loop: Header=BB369_203 Depth=1
	v_bfe_u32 v6, v9, 16, 1
	v_add3_u32 v40, v9, v6, s14
                                        ; implicit-def: $vgpr6_vgpr7_vgpr8_vgpr9
; %bb.217:                              ;   in Loop: Header=BB369_203 Depth=1
	s_andn2_saveexec_b64 s[0:1], s[0:1]
; %bb.218:                              ;   in Loop: Header=BB369_203 Depth=1
	v_or_b32_e32 v6, 0x10000, v9
	v_cmp_eq_u32_sdwa vcc, v9, v17 src0_sel:WORD_0 src1_sel:DWORD
	s_nop 1
	v_cndmask_b32_e32 v40, v6, v9, vcc
; %bb.219:                              ;   in Loop: Header=BB369_203 Depth=1
	s_or_b64 exec, exec, s[0:1]
	v_and_b32_e32 v6, 0x7f800000, v2
	v_cmp_ne_u32_e32 vcc, s13, v6
                                        ; implicit-def: $vgpr11
	s_and_saveexec_b64 s[0:1], vcc
	s_xor_b64 s[0:1], exec, s[0:1]
; %bb.220:                              ;   in Loop: Header=BB369_203 Depth=1
	v_bfe_u32 v6, v2, 16, 1
	v_add3_u32 v11, v2, v6, s14
; %bb.221:                              ;   in Loop: Header=BB369_203 Depth=1
	s_andn2_saveexec_b64 s[0:1], s[0:1]
; %bb.222:                              ;   in Loop: Header=BB369_203 Depth=1
	v_or_b32_e32 v6, 0x10000, v2
	v_cmp_eq_u32_sdwa vcc, v2, v17 src0_sel:WORD_0 src1_sel:DWORD
	s_nop 1
	v_cndmask_b32_e32 v11, v6, v2, vcc
; %bb.223:                              ;   in Loop: Header=BB369_203 Depth=1
	s_or_b64 exec, exec, s[0:1]
	v_and_b32_e32 v2, 0x7f800000, v3
	v_cmp_ne_u32_e32 vcc, s13, v2
                                        ; implicit-def: $vgpr27
	s_and_saveexec_b64 s[0:1], vcc
	s_xor_b64 s[0:1], exec, s[0:1]
; %bb.224:                              ;   in Loop: Header=BB369_203 Depth=1
	v_bfe_u32 v2, v3, 16, 1
	v_add3_u32 v27, v3, v2, s14
; %bb.225:                              ;   in Loop: Header=BB369_203 Depth=1
	s_andn2_saveexec_b64 s[0:1], s[0:1]
; %bb.226:                              ;   in Loop: Header=BB369_203 Depth=1
	v_or_b32_e32 v2, 0x10000, v3
	v_cmp_eq_u32_sdwa vcc, v3, v17 src0_sel:WORD_0 src1_sel:DWORD
	s_nop 1
	v_cndmask_b32_e32 v27, v2, v3, vcc
; %bb.227:                              ;   in Loop: Header=BB369_203 Depth=1
	s_or_b64 exec, exec, s[0:1]
	v_and_b32_e32 v2, 0x7f800000, v4
	v_cmp_ne_u32_e32 vcc, s13, v2
                                        ; implicit-def: $vgpr28
	s_and_saveexec_b64 s[0:1], vcc
	s_xor_b64 s[0:1], exec, s[0:1]
; %bb.228:                              ;   in Loop: Header=BB369_203 Depth=1
	v_bfe_u32 v2, v4, 16, 1
	v_add3_u32 v28, v4, v2, s14
; %bb.229:                              ;   in Loop: Header=BB369_203 Depth=1
	s_andn2_saveexec_b64 s[0:1], s[0:1]
; %bb.230:                              ;   in Loop: Header=BB369_203 Depth=1
	v_or_b32_e32 v2, 0x10000, v4
	v_cmp_eq_u32_sdwa vcc, v4, v17 src0_sel:WORD_0 src1_sel:DWORD
	s_nop 1
	v_cndmask_b32_e32 v28, v2, v4, vcc
; %bb.231:                              ;   in Loop: Header=BB369_203 Depth=1
	s_or_b64 exec, exec, s[0:1]
	v_and_b32_e32 v2, 0x7f800000, v5
	v_cmp_ne_u32_e32 vcc, s13, v2
                                        ; implicit-def: $vgpr36
	s_and_saveexec_b64 s[0:1], vcc
	s_xor_b64 s[0:1], exec, s[0:1]
; %bb.232:                              ;   in Loop: Header=BB369_203 Depth=1
	v_bfe_u32 v2, v5, 16, 1
	v_add3_u32 v36, v5, v2, s14
                                        ; implicit-def: $vgpr2_vgpr3_vgpr4_vgpr5
; %bb.233:                              ;   in Loop: Header=BB369_203 Depth=1
	s_andn2_saveexec_b64 s[0:1], s[0:1]
; %bb.234:                              ;   in Loop: Header=BB369_203 Depth=1
	v_or_b32_e32 v2, 0x10000, v5
	v_cmp_eq_u32_sdwa vcc, v5, v17 src0_sel:WORD_0 src1_sel:DWORD
	s_nop 1
	v_cndmask_b32_e32 v36, v2, v5, vcc
; %bb.235:                              ;   in Loop: Header=BB369_203 Depth=1
	s_or_b64 exec, exec, s[0:1]
	s_waitcnt vmcnt(0)
	v_mad_i64_i32 v[2:3], s[0:1], v29, s5, v[18:19]
	global_load_dwordx2 v[4:5], v[2:3], off
	s_waitcnt vmcnt(0)
	v_and_b32_e32 v6, 0xff, v4
	v_cvt_f32_fp8_sdwa v6, v6 src0_sel:BYTE_0
	s_nop 0
	v_mul_f32_e32 v7, s10, v6
	v_and_b32_e32 v6, 0x7f800000, v7
	v_cmp_ne_u32_e32 vcc, s13, v6
                                        ; implicit-def: $vgpr6
	s_and_saveexec_b64 s[0:1], vcc
	s_xor_b64 s[0:1], exec, s[0:1]
; %bb.236:                              ;   in Loop: Header=BB369_203 Depth=1
	v_bfe_u32 v6, v7, 16, 1
	v_add3_u32 v6, v7, v6, s14
                                        ; implicit-def: $vgpr7
; %bb.237:                              ;   in Loop: Header=BB369_203 Depth=1
	s_andn2_saveexec_b64 s[0:1], s[0:1]
; %bb.238:                              ;   in Loop: Header=BB369_203 Depth=1
	v_or_b32_e32 v6, 0x10000, v7
	v_cmp_eq_u32_sdwa vcc, v7, v17 src0_sel:WORD_0 src1_sel:DWORD
	s_nop 1
	v_cndmask_b32_e32 v6, v6, v7, vcc
; %bb.239:                              ;   in Loop: Header=BB369_203 Depth=1
	s_or_b64 exec, exec, s[0:1]
	v_bfe_u32 v7, v4, 8, 8
	v_cvt_f32_fp8_sdwa v7, v7 src0_sel:BYTE_0
	s_nop 0
	v_mul_f32_e32 v8, s10, v7
	v_and_b32_e32 v7, 0x7f800000, v8
	v_cmp_ne_u32_e32 vcc, s13, v7
                                        ; implicit-def: $vgpr7
	s_and_saveexec_b64 s[0:1], vcc
	s_xor_b64 s[0:1], exec, s[0:1]
; %bb.240:                              ;   in Loop: Header=BB369_203 Depth=1
	v_bfe_u32 v7, v8, 16, 1
	v_add3_u32 v7, v8, v7, s14
                                        ; implicit-def: $vgpr8
; %bb.241:                              ;   in Loop: Header=BB369_203 Depth=1
	s_andn2_saveexec_b64 s[0:1], s[0:1]
; %bb.242:                              ;   in Loop: Header=BB369_203 Depth=1
	v_or_b32_e32 v7, 0x10000, v8
	v_cmp_eq_u32_sdwa vcc, v8, v17 src0_sel:WORD_0 src1_sel:DWORD
	s_nop 1
	v_cndmask_b32_e32 v7, v7, v8, vcc
; %bb.243:                              ;   in Loop: Header=BB369_203 Depth=1
	s_or_b64 exec, exec, s[0:1]
	v_bfe_u32 v8, v4, 16, 8
	v_cvt_f32_fp8_sdwa v8, v8 src0_sel:BYTE_0
	s_nop 0
	v_mul_f32_e32 v9, s10, v8
	v_and_b32_e32 v8, 0x7f800000, v9
	v_cmp_ne_u32_e32 vcc, s13, v8
                                        ; implicit-def: $vgpr8
	s_and_saveexec_b64 s[0:1], vcc
	s_xor_b64 s[0:1], exec, s[0:1]
; %bb.244:                              ;   in Loop: Header=BB369_203 Depth=1
	v_bfe_u32 v8, v9, 16, 1
	v_add3_u32 v8, v9, v8, s14
                                        ; implicit-def: $vgpr9
; %bb.245:                              ;   in Loop: Header=BB369_203 Depth=1
	s_andn2_saveexec_b64 s[0:1], s[0:1]
; %bb.246:                              ;   in Loop: Header=BB369_203 Depth=1
	v_or_b32_e32 v8, 0x10000, v9
	v_cmp_eq_u32_sdwa vcc, v9, v17 src0_sel:WORD_0 src1_sel:DWORD
	s_nop 1
	v_cndmask_b32_e32 v8, v8, v9, vcc
; %bb.247:                              ;   in Loop: Header=BB369_203 Depth=1
	s_or_b64 exec, exec, s[0:1]
	v_lshrrev_b32_e32 v4, 24, v4
	v_cvt_f32_fp8_sdwa v4, v4 src0_sel:BYTE_0
	s_nop 0
	v_mul_f32_e32 v9, s10, v4
	v_and_b32_e32 v4, 0x7f800000, v9
	v_cmp_ne_u32_e32 vcc, s13, v4
                                        ; implicit-def: $vgpr4
	s_and_saveexec_b64 s[0:1], vcc
	s_xor_b64 s[0:1], exec, s[0:1]
; %bb.248:                              ;   in Loop: Header=BB369_203 Depth=1
	v_bfe_u32 v4, v9, 16, 1
	v_add3_u32 v4, v9, v4, s14
                                        ; implicit-def: $vgpr9
; %bb.249:                              ;   in Loop: Header=BB369_203 Depth=1
	s_andn2_saveexec_b64 s[0:1], s[0:1]
; %bb.250:                              ;   in Loop: Header=BB369_203 Depth=1
	v_or_b32_e32 v4, 0x10000, v9
	v_cmp_eq_u32_sdwa vcc, v9, v17 src0_sel:WORD_0 src1_sel:DWORD
	s_nop 1
	v_cndmask_b32_e32 v4, v4, v9, vcc
; %bb.251:                              ;   in Loop: Header=BB369_203 Depth=1
	s_or_b64 exec, exec, s[0:1]
	v_and_b32_e32 v9, 0xff, v5
	v_cvt_f32_fp8_sdwa v9, v9 src0_sel:BYTE_0
	s_nop 0
	v_mul_f32_e32 v29, s10, v9
	v_and_b32_e32 v9, 0x7f800000, v29
	v_cmp_ne_u32_e32 vcc, s13, v9
                                        ; implicit-def: $vgpr9
	s_and_saveexec_b64 s[0:1], vcc
	s_xor_b64 s[0:1], exec, s[0:1]
; %bb.252:                              ;   in Loop: Header=BB369_203 Depth=1
	v_bfe_u32 v9, v29, 16, 1
	v_add3_u32 v9, v29, v9, s14
                                        ; implicit-def: $vgpr29
; %bb.253:                              ;   in Loop: Header=BB369_203 Depth=1
	s_andn2_saveexec_b64 s[0:1], s[0:1]
; %bb.254:                              ;   in Loop: Header=BB369_203 Depth=1
	v_or_b32_e32 v9, 0x10000, v29
	v_cmp_eq_u32_sdwa vcc, v29, v17 src0_sel:WORD_0 src1_sel:DWORD
	s_nop 1
	v_cndmask_b32_e32 v9, v9, v29, vcc
; %bb.255:                              ;   in Loop: Header=BB369_203 Depth=1
	s_or_b64 exec, exec, s[0:1]
	v_bfe_u32 v29, v5, 8, 8
	v_cvt_f32_fp8_sdwa v29, v29 src0_sel:BYTE_0
	s_nop 0
	v_mul_f32_e32 v29, s10, v29
	v_and_b32_e32 v30, 0x7f800000, v29
	v_cmp_ne_u32_e32 vcc, s13, v30
                                        ; implicit-def: $vgpr30
	s_and_saveexec_b64 s[0:1], vcc
	s_xor_b64 s[0:1], exec, s[0:1]
; %bb.256:                              ;   in Loop: Header=BB369_203 Depth=1
	v_bfe_u32 v30, v29, 16, 1
	v_add3_u32 v30, v29, v30, s14
                                        ; implicit-def: $vgpr29
; %bb.257:                              ;   in Loop: Header=BB369_203 Depth=1
	s_andn2_saveexec_b64 s[0:1], s[0:1]
; %bb.258:                              ;   in Loop: Header=BB369_203 Depth=1
	v_or_b32_e32 v30, 0x10000, v29
	v_cmp_eq_u32_sdwa vcc, v29, v17 src0_sel:WORD_0 src1_sel:DWORD
	s_nop 1
	v_cndmask_b32_e32 v30, v30, v29, vcc
; %bb.259:                              ;   in Loop: Header=BB369_203 Depth=1
	s_or_b64 exec, exec, s[0:1]
	v_bfe_u32 v29, v5, 16, 8
	v_cvt_f32_fp8_sdwa v29, v29 src0_sel:BYTE_0
	s_nop 0
	v_mul_f32_e32 v29, s10, v29
	v_and_b32_e32 v31, 0x7f800000, v29
	v_cmp_ne_u32_e32 vcc, s13, v31
                                        ; implicit-def: $vgpr31
	s_and_saveexec_b64 s[0:1], vcc
	s_xor_b64 s[0:1], exec, s[0:1]
; %bb.260:                              ;   in Loop: Header=BB369_203 Depth=1
	v_bfe_u32 v31, v29, 16, 1
	v_add3_u32 v31, v29, v31, s14
                                        ; implicit-def: $vgpr29
; %bb.261:                              ;   in Loop: Header=BB369_203 Depth=1
	s_andn2_saveexec_b64 s[0:1], s[0:1]
; %bb.262:                              ;   in Loop: Header=BB369_203 Depth=1
	v_or_b32_e32 v31, 0x10000, v29
	v_cmp_eq_u32_sdwa vcc, v29, v17 src0_sel:WORD_0 src1_sel:DWORD
	s_nop 1
	v_cndmask_b32_e32 v31, v31, v29, vcc
; %bb.263:                              ;   in Loop: Header=BB369_203 Depth=1
	s_or_b64 exec, exec, s[0:1]
	v_lshrrev_b32_e32 v5, 24, v5
	v_cvt_f32_fp8_sdwa v5, v5 src0_sel:BYTE_0
                                        ; implicit-def: $vgpr32
	s_nop 0
	v_mul_f32_e32 v5, s10, v5
	v_and_b32_e32 v29, 0x7f800000, v5
	v_cmp_ne_u32_e32 vcc, s13, v29
	s_and_saveexec_b64 s[0:1], vcc
	s_xor_b64 s[0:1], exec, s[0:1]
; %bb.264:                              ;   in Loop: Header=BB369_203 Depth=1
	v_bfe_u32 v29, v5, 16, 1
	v_add3_u32 v32, v5, v29, s14
                                        ; implicit-def: $vgpr5
; %bb.265:                              ;   in Loop: Header=BB369_203 Depth=1
	s_andn2_saveexec_b64 s[0:1], s[0:1]
; %bb.266:                              ;   in Loop: Header=BB369_203 Depth=1
	v_or_b32_e32 v29, 0x10000, v5
	v_cmp_eq_u32_sdwa vcc, v5, v17 src0_sel:WORD_0 src1_sel:DWORD
	s_nop 1
	v_cndmask_b32_e32 v32, v29, v5, vcc
; %bb.267:                              ;   in Loop: Header=BB369_203 Depth=1
	s_or_b64 exec, exec, s[0:1]
	v_cmp_eq_u32_e32 vcc, s11, v10
	v_add_u32_e32 v29, -7, v25
	v_lshrrev_b32_e32 v43, 16, v30
	v_lshrrev_b32_e32 v42, 16, v9
	v_lshrrev_b32_e32 v9, 16, v4
	v_lshrrev_b32_e32 v8, 16, v8
	v_lshrrev_b32_e32 v7, 16, v7
	v_lshrrev_b32_e32 v6, 16, v6
	v_lshrrev_b32_e32 v5, 16, v31
	v_lshrrev_b32_e32 v4, 16, v32
	v_add_u32_e32 v35, -6, v25
	v_add_u32_e32 v34, -5, v25
	;; [unrolled: 1-line block ×6, first 2 shown]
	s_and_saveexec_b64 s[8:9], vcc
	s_cbranch_execz .LBB369_269
; %bb.268:                              ;   in Loop: Header=BB369_203 Depth=1
	v_cmp_gt_i32_e64 s[0:1], s33, v29
	s_nop 1
	v_cndmask_b32_e64 v6, 0, v6, s[0:1]
	v_cmp_gt_i32_e64 s[0:1], s33, v35
	s_nop 1
	v_cndmask_b32_e64 v7, 0, v7, s[0:1]
	;; [unrolled: 3-line block ×8, first 2 shown]
.LBB369_269:                            ;   in Loop: Header=BB369_203 Depth=1
	s_or_b64 exec, exec, s[8:9]
	v_and_b32_e32 v37, 0xffff0000, v37
	v_lshlrev_b32_e32 v6, 16, v6
	v_mul_f32_e32 v41, v37, v6
	v_and_b32_e32 v6, 0x7f800000, v41
	v_cmp_ne_u32_e64 s[0:1], s13, v6
                                        ; implicit-def: $vgpr6
	s_and_saveexec_b64 s[8:9], s[0:1]
	s_xor_b64 s[0:1], exec, s[8:9]
; %bb.270:                              ;   in Loop: Header=BB369_203 Depth=1
	v_bfe_u32 v6, v41, 16, 1
	v_add3_u32 v6, v41, v6, s14
                                        ; implicit-def: $vgpr41
; %bb.271:                              ;   in Loop: Header=BB369_203 Depth=1
	s_andn2_saveexec_b64 s[8:9], s[0:1]
; %bb.272:                              ;   in Loop: Header=BB369_203 Depth=1
	v_or_b32_e32 v6, 0x10000, v41
	v_cmp_eq_u32_sdwa s[0:1], v41, v17 src0_sel:WORD_0 src1_sel:DWORD
	s_nop 1
	v_cndmask_b32_e64 v6, v6, v41, s[0:1]
; %bb.273:                              ;   in Loop: Header=BB369_203 Depth=1
	s_or_b64 exec, exec, s[8:9]
	v_and_b32_e32 v38, 0xffff0000, v38
	v_lshlrev_b32_e32 v7, 16, v7
	v_mul_f32_e32 v41, v38, v7
	v_and_b32_e32 v7, 0x7f800000, v41
	v_cmp_ne_u32_e64 s[0:1], s13, v7
                                        ; implicit-def: $vgpr7
	s_and_saveexec_b64 s[8:9], s[0:1]
	s_xor_b64 s[0:1], exec, s[8:9]
; %bb.274:                              ;   in Loop: Header=BB369_203 Depth=1
	v_bfe_u32 v7, v41, 16, 1
	v_add3_u32 v7, v41, v7, s14
                                        ; implicit-def: $vgpr41
; %bb.275:                              ;   in Loop: Header=BB369_203 Depth=1
	s_andn2_saveexec_b64 s[8:9], s[0:1]
; %bb.276:                              ;   in Loop: Header=BB369_203 Depth=1
	v_or_b32_e32 v7, 0x10000, v41
	v_cmp_eq_u32_sdwa s[0:1], v41, v17 src0_sel:WORD_0 src1_sel:DWORD
	s_nop 1
	v_cndmask_b32_e64 v7, v7, v41, s[0:1]
; %bb.277:                              ;   in Loop: Header=BB369_203 Depth=1
	s_or_b64 exec, exec, s[8:9]
	v_and_b32_e32 v39, 0xffff0000, v39
	v_lshlrev_b32_e32 v8, 16, v8
	v_mul_f32_e32 v41, v39, v8
	v_and_b32_e32 v8, 0x7f800000, v41
	v_cmp_ne_u32_e64 s[0:1], s13, v8
                                        ; implicit-def: $vgpr8
	s_and_saveexec_b64 s[8:9], s[0:1]
	s_xor_b64 s[0:1], exec, s[8:9]
; %bb.278:                              ;   in Loop: Header=BB369_203 Depth=1
	v_bfe_u32 v8, v41, 16, 1
	v_add3_u32 v8, v41, v8, s14
                                        ; implicit-def: $vgpr41
; %bb.279:                              ;   in Loop: Header=BB369_203 Depth=1
	s_andn2_saveexec_b64 s[8:9], s[0:1]
; %bb.280:                              ;   in Loop: Header=BB369_203 Depth=1
	v_or_b32_e32 v8, 0x10000, v41
	v_cmp_eq_u32_sdwa s[0:1], v41, v17 src0_sel:WORD_0 src1_sel:DWORD
	s_nop 1
	v_cndmask_b32_e64 v8, v8, v41, s[0:1]
; %bb.281:                              ;   in Loop: Header=BB369_203 Depth=1
	s_or_b64 exec, exec, s[8:9]
	v_and_b32_e32 v40, 0xffff0000, v40
	v_lshlrev_b32_e32 v9, 16, v9
	v_mul_f32_e32 v41, v40, v9
	v_and_b32_e32 v9, 0x7f800000, v41
	v_cmp_ne_u32_e64 s[0:1], s13, v9
                                        ; implicit-def: $vgpr9
	s_and_saveexec_b64 s[8:9], s[0:1]
	s_xor_b64 s[0:1], exec, s[8:9]
; %bb.282:                              ;   in Loop: Header=BB369_203 Depth=1
	v_bfe_u32 v9, v41, 16, 1
	v_add3_u32 v9, v41, v9, s14
                                        ; implicit-def: $vgpr41
; %bb.283:                              ;   in Loop: Header=BB369_203 Depth=1
	s_andn2_saveexec_b64 s[8:9], s[0:1]
; %bb.284:                              ;   in Loop: Header=BB369_203 Depth=1
	v_or_b32_e32 v9, 0x10000, v41
	v_cmp_eq_u32_sdwa s[0:1], v41, v17 src0_sel:WORD_0 src1_sel:DWORD
	s_nop 1
	v_cndmask_b32_e64 v9, v9, v41, s[0:1]
; %bb.285:                              ;   in Loop: Header=BB369_203 Depth=1
	s_or_b64 exec, exec, s[8:9]
	v_and_b32_e32 v41, 0xffff0000, v11
	v_lshlrev_b32_e32 v11, 16, v42
	v_mul_f32_e32 v42, v41, v11
	v_and_b32_e32 v11, 0x7f800000, v42
	v_cmp_ne_u32_e64 s[0:1], s13, v11
                                        ; implicit-def: $vgpr11
	s_and_saveexec_b64 s[8:9], s[0:1]
	s_xor_b64 s[0:1], exec, s[8:9]
; %bb.286:                              ;   in Loop: Header=BB369_203 Depth=1
	v_bfe_u32 v11, v42, 16, 1
	v_add3_u32 v11, v42, v11, s14
                                        ; implicit-def: $vgpr42
; %bb.287:                              ;   in Loop: Header=BB369_203 Depth=1
	s_andn2_saveexec_b64 s[8:9], s[0:1]
; %bb.288:                              ;   in Loop: Header=BB369_203 Depth=1
	v_or_b32_e32 v11, 0x10000, v42
	v_cmp_eq_u32_sdwa s[0:1], v42, v17 src0_sel:WORD_0 src1_sel:DWORD
	s_nop 1
	v_cndmask_b32_e64 v11, v11, v42, s[0:1]
; %bb.289:                              ;   in Loop: Header=BB369_203 Depth=1
	s_or_b64 exec, exec, s[8:9]
	v_and_b32_e32 v42, 0xffff0000, v27
	v_lshlrev_b32_e32 v27, 16, v43
	v_mul_f32_e32 v43, v42, v27
	v_and_b32_e32 v27, 0x7f800000, v43
	v_cmp_ne_u32_e64 s[0:1], s13, v27
                                        ; implicit-def: $vgpr27
	s_and_saveexec_b64 s[8:9], s[0:1]
	s_xor_b64 s[0:1], exec, s[8:9]
; %bb.290:                              ;   in Loop: Header=BB369_203 Depth=1
	v_bfe_u32 v27, v43, 16, 1
	v_add3_u32 v27, v43, v27, s14
                                        ; implicit-def: $vgpr43
; %bb.291:                              ;   in Loop: Header=BB369_203 Depth=1
	s_andn2_saveexec_b64 s[8:9], s[0:1]
; %bb.292:                              ;   in Loop: Header=BB369_203 Depth=1
	v_or_b32_e32 v27, 0x10000, v43
	v_cmp_eq_u32_sdwa s[0:1], v43, v17 src0_sel:WORD_0 src1_sel:DWORD
	s_nop 1
	v_cndmask_b32_e64 v27, v27, v43, s[0:1]
; %bb.293:                              ;   in Loop: Header=BB369_203 Depth=1
	s_or_b64 exec, exec, s[8:9]
	v_and_b32_e32 v43, 0xffff0000, v28
	v_lshlrev_b32_e32 v5, 16, v5
	v_mul_f32_e32 v5, v43, v5
	v_and_b32_e32 v28, 0x7f800000, v5
	v_cmp_ne_u32_e64 s[0:1], s13, v28
                                        ; implicit-def: $vgpr28
	s_and_saveexec_b64 s[8:9], s[0:1]
	s_xor_b64 s[0:1], exec, s[8:9]
; %bb.294:                              ;   in Loop: Header=BB369_203 Depth=1
	v_bfe_u32 v28, v5, 16, 1
	v_add3_u32 v28, v5, v28, s14
                                        ; implicit-def: $vgpr5
; %bb.295:                              ;   in Loop: Header=BB369_203 Depth=1
	s_andn2_saveexec_b64 s[8:9], s[0:1]
; %bb.296:                              ;   in Loop: Header=BB369_203 Depth=1
	v_or_b32_e32 v28, 0x10000, v5
	v_cmp_eq_u32_sdwa s[0:1], v5, v17 src0_sel:WORD_0 src1_sel:DWORD
	s_nop 1
	v_cndmask_b32_e64 v28, v28, v5, s[0:1]
; %bb.297:                              ;   in Loop: Header=BB369_203 Depth=1
	s_or_b64 exec, exec, s[8:9]
	v_and_b32_e32 v44, 0xffff0000, v36
	v_lshlrev_b32_e32 v4, 16, v4
	v_mul_f32_e32 v4, v44, v4
	v_and_b32_e32 v5, 0x7f800000, v4
	v_cmp_ne_u32_e64 s[0:1], s13, v5
                                        ; implicit-def: $vgpr36
	s_and_saveexec_b64 s[8:9], s[0:1]
	s_xor_b64 s[0:1], exec, s[8:9]
; %bb.298:                              ;   in Loop: Header=BB369_203 Depth=1
	v_bfe_u32 v5, v4, 16, 1
	v_add3_u32 v36, v4, v5, s14
                                        ; implicit-def: $vgpr4
; %bb.299:                              ;   in Loop: Header=BB369_203 Depth=1
	s_andn2_saveexec_b64 s[8:9], s[0:1]
; %bb.300:                              ;   in Loop: Header=BB369_203 Depth=1
	v_or_b32_e32 v5, 0x10000, v4
	v_cmp_eq_u32_sdwa s[0:1], v4, v17 src0_sel:WORD_0 src1_sel:DWORD
	s_nop 1
	v_cndmask_b32_e64 v36, v5, v4, s[0:1]
; %bb.301:                              ;   in Loop: Header=BB369_203 Depth=1
	s_or_b64 exec, exec, s[8:9]
	global_load_dwordx2 v[4:5], v[2:3], off offset:512
	s_waitcnt vmcnt(0)
	v_and_b32_e32 v45, 0xff, v4
	v_cvt_f32_fp8_sdwa v45, v45 src0_sel:BYTE_0
	s_nop 0
	v_mul_f32_e32 v46, s10, v45
	v_and_b32_e32 v45, 0x7f800000, v46
	v_cmp_ne_u32_e64 s[0:1], s13, v45
                                        ; implicit-def: $vgpr45
	s_and_saveexec_b64 s[8:9], s[0:1]
	s_xor_b64 s[0:1], exec, s[8:9]
; %bb.302:                              ;   in Loop: Header=BB369_203 Depth=1
	v_bfe_u32 v45, v46, 16, 1
	v_add3_u32 v45, v46, v45, s14
                                        ; implicit-def: $vgpr46
; %bb.303:                              ;   in Loop: Header=BB369_203 Depth=1
	s_andn2_saveexec_b64 s[8:9], s[0:1]
; %bb.304:                              ;   in Loop: Header=BB369_203 Depth=1
	v_or_b32_e32 v45, 0x10000, v46
	v_cmp_eq_u32_sdwa s[0:1], v46, v17 src0_sel:WORD_0 src1_sel:DWORD
	s_nop 1
	v_cndmask_b32_e64 v45, v45, v46, s[0:1]
; %bb.305:                              ;   in Loop: Header=BB369_203 Depth=1
	s_or_b64 exec, exec, s[8:9]
	v_bfe_u32 v46, v4, 8, 8
	v_cvt_f32_fp8_sdwa v46, v46 src0_sel:BYTE_0
	s_nop 0
	v_mul_f32_e32 v47, s10, v46
	v_and_b32_e32 v46, 0x7f800000, v47
	v_cmp_ne_u32_e64 s[0:1], s13, v46
                                        ; implicit-def: $vgpr46
	s_and_saveexec_b64 s[8:9], s[0:1]
	s_xor_b64 s[0:1], exec, s[8:9]
; %bb.306:                              ;   in Loop: Header=BB369_203 Depth=1
	v_bfe_u32 v46, v47, 16, 1
	v_add3_u32 v46, v47, v46, s14
                                        ; implicit-def: $vgpr47
; %bb.307:                              ;   in Loop: Header=BB369_203 Depth=1
	s_andn2_saveexec_b64 s[8:9], s[0:1]
; %bb.308:                              ;   in Loop: Header=BB369_203 Depth=1
	v_or_b32_e32 v46, 0x10000, v47
	v_cmp_eq_u32_sdwa s[0:1], v47, v17 src0_sel:WORD_0 src1_sel:DWORD
	s_nop 1
	v_cndmask_b32_e64 v46, v46, v47, s[0:1]
; %bb.309:                              ;   in Loop: Header=BB369_203 Depth=1
	s_or_b64 exec, exec, s[8:9]
	v_bfe_u32 v47, v4, 16, 8
	v_cvt_f32_fp8_sdwa v47, v47 src0_sel:BYTE_0
	s_nop 0
	v_mul_f32_e32 v48, s10, v47
	v_and_b32_e32 v47, 0x7f800000, v48
	v_cmp_ne_u32_e64 s[0:1], s13, v47
                                        ; implicit-def: $vgpr47
	s_and_saveexec_b64 s[8:9], s[0:1]
	s_xor_b64 s[0:1], exec, s[8:9]
; %bb.310:                              ;   in Loop: Header=BB369_203 Depth=1
	v_bfe_u32 v47, v48, 16, 1
	v_add3_u32 v47, v48, v47, s14
                                        ; implicit-def: $vgpr48
; %bb.311:                              ;   in Loop: Header=BB369_203 Depth=1
	s_andn2_saveexec_b64 s[8:9], s[0:1]
; %bb.312:                              ;   in Loop: Header=BB369_203 Depth=1
	v_or_b32_e32 v47, 0x10000, v48
	v_cmp_eq_u32_sdwa s[0:1], v48, v17 src0_sel:WORD_0 src1_sel:DWORD
	s_nop 1
	v_cndmask_b32_e64 v47, v47, v48, s[0:1]
; %bb.313:                              ;   in Loop: Header=BB369_203 Depth=1
	s_or_b64 exec, exec, s[8:9]
	v_lshrrev_b32_e32 v4, 24, v4
	v_cvt_f32_fp8_sdwa v4, v4 src0_sel:BYTE_0
	s_nop 0
	v_mul_f32_e32 v48, s10, v4
	v_and_b32_e32 v4, 0x7f800000, v48
	v_cmp_ne_u32_e64 s[0:1], s13, v4
                                        ; implicit-def: $vgpr4
	s_and_saveexec_b64 s[8:9], s[0:1]
	s_xor_b64 s[0:1], exec, s[8:9]
; %bb.314:                              ;   in Loop: Header=BB369_203 Depth=1
	v_bfe_u32 v4, v48, 16, 1
	v_add3_u32 v4, v48, v4, s14
                                        ; implicit-def: $vgpr48
; %bb.315:                              ;   in Loop: Header=BB369_203 Depth=1
	s_andn2_saveexec_b64 s[8:9], s[0:1]
; %bb.316:                              ;   in Loop: Header=BB369_203 Depth=1
	v_or_b32_e32 v4, 0x10000, v48
	v_cmp_eq_u32_sdwa s[0:1], v48, v17 src0_sel:WORD_0 src1_sel:DWORD
	s_nop 1
	v_cndmask_b32_e64 v4, v4, v48, s[0:1]
; %bb.317:                              ;   in Loop: Header=BB369_203 Depth=1
	s_or_b64 exec, exec, s[8:9]
	v_and_b32_e32 v48, 0xff, v5
	v_cvt_f32_fp8_sdwa v48, v48 src0_sel:BYTE_0
	s_nop 0
	v_mul_f32_e32 v49, s10, v48
	v_and_b32_e32 v48, 0x7f800000, v49
	v_cmp_ne_u32_e64 s[0:1], s13, v48
                                        ; implicit-def: $vgpr48
	s_and_saveexec_b64 s[8:9], s[0:1]
	s_xor_b64 s[0:1], exec, s[8:9]
; %bb.318:                              ;   in Loop: Header=BB369_203 Depth=1
	v_bfe_u32 v48, v49, 16, 1
	v_add3_u32 v48, v49, v48, s14
                                        ; implicit-def: $vgpr49
; %bb.319:                              ;   in Loop: Header=BB369_203 Depth=1
	s_andn2_saveexec_b64 s[8:9], s[0:1]
; %bb.320:                              ;   in Loop: Header=BB369_203 Depth=1
	v_or_b32_e32 v48, 0x10000, v49
	v_cmp_eq_u32_sdwa s[0:1], v49, v17 src0_sel:WORD_0 src1_sel:DWORD
	s_nop 1
	v_cndmask_b32_e64 v48, v48, v49, s[0:1]
; %bb.321:                              ;   in Loop: Header=BB369_203 Depth=1
	s_or_b64 exec, exec, s[8:9]
	v_bfe_u32 v49, v5, 8, 8
	v_cvt_f32_fp8_sdwa v49, v49 src0_sel:BYTE_0
	s_nop 0
	v_mul_f32_e32 v50, s10, v49
	v_and_b32_e32 v49, 0x7f800000, v50
	v_cmp_ne_u32_e64 s[0:1], s13, v49
                                        ; implicit-def: $vgpr49
	s_and_saveexec_b64 s[8:9], s[0:1]
	s_xor_b64 s[0:1], exec, s[8:9]
; %bb.322:                              ;   in Loop: Header=BB369_203 Depth=1
	v_bfe_u32 v49, v50, 16, 1
	v_add3_u32 v49, v50, v49, s14
                                        ; implicit-def: $vgpr50
; %bb.323:                              ;   in Loop: Header=BB369_203 Depth=1
	s_andn2_saveexec_b64 s[8:9], s[0:1]
; %bb.324:                              ;   in Loop: Header=BB369_203 Depth=1
	v_or_b32_e32 v49, 0x10000, v50
	v_cmp_eq_u32_sdwa s[0:1], v50, v17 src0_sel:WORD_0 src1_sel:DWORD
	s_nop 1
	v_cndmask_b32_e64 v49, v49, v50, s[0:1]
; %bb.325:                              ;   in Loop: Header=BB369_203 Depth=1
	s_or_b64 exec, exec, s[8:9]
	v_bfe_u32 v50, v5, 16, 8
	v_cvt_f32_fp8_sdwa v50, v50 src0_sel:BYTE_0
	s_nop 0
	v_mul_f32_e32 v50, s10, v50
	v_and_b32_e32 v51, 0x7f800000, v50
	v_cmp_ne_u32_e64 s[0:1], s13, v51
                                        ; implicit-def: $vgpr51
	s_and_saveexec_b64 s[8:9], s[0:1]
	s_xor_b64 s[0:1], exec, s[8:9]
; %bb.326:                              ;   in Loop: Header=BB369_203 Depth=1
	v_bfe_u32 v51, v50, 16, 1
	v_add3_u32 v51, v50, v51, s14
                                        ; implicit-def: $vgpr50
; %bb.327:                              ;   in Loop: Header=BB369_203 Depth=1
	s_andn2_saveexec_b64 s[8:9], s[0:1]
; %bb.328:                              ;   in Loop: Header=BB369_203 Depth=1
	v_or_b32_e32 v51, 0x10000, v50
	v_cmp_eq_u32_sdwa s[0:1], v50, v17 src0_sel:WORD_0 src1_sel:DWORD
	s_nop 1
	v_cndmask_b32_e64 v51, v51, v50, s[0:1]
; %bb.329:                              ;   in Loop: Header=BB369_203 Depth=1
	s_or_b64 exec, exec, s[8:9]
	v_lshrrev_b32_e32 v5, 24, v5
	v_cvt_f32_fp8_sdwa v5, v5 src0_sel:BYTE_0
                                        ; implicit-def: $vgpr52
	s_nop 0
	v_mul_f32_e32 v5, s10, v5
	v_and_b32_e32 v50, 0x7f800000, v5
	v_cmp_ne_u32_e64 s[0:1], s13, v50
	s_and_saveexec_b64 s[8:9], s[0:1]
	s_xor_b64 s[0:1], exec, s[8:9]
; %bb.330:                              ;   in Loop: Header=BB369_203 Depth=1
	v_bfe_u32 v50, v5, 16, 1
	v_add3_u32 v52, v5, v50, s14
                                        ; implicit-def: $vgpr5
; %bb.331:                              ;   in Loop: Header=BB369_203 Depth=1
	s_andn2_saveexec_b64 s[8:9], s[0:1]
; %bb.332:                              ;   in Loop: Header=BB369_203 Depth=1
	v_or_b32_e32 v50, 0x10000, v5
	v_cmp_eq_u32_sdwa s[0:1], v5, v17 src0_sel:WORD_0 src1_sel:DWORD
	s_nop 1
	v_cndmask_b32_e64 v52, v50, v5, s[0:1]
; %bb.333:                              ;   in Loop: Header=BB369_203 Depth=1
	s_or_b64 exec, exec, s[8:9]
	v_lshrrev_b32_e32 v50, 16, v49
	v_lshrrev_b32_e32 v49, 16, v48
	;; [unrolled: 1-line block ×8, first 2 shown]
	s_and_saveexec_b64 s[8:9], vcc
	s_cbranch_execz .LBB369_335
; %bb.334:                              ;   in Loop: Header=BB369_203 Depth=1
	v_cmp_gt_i32_e64 s[0:1], s33, v29
	s_nop 1
	v_cndmask_b32_e64 v45, 0, v45, s[0:1]
	v_cmp_gt_i32_e64 s[0:1], s33, v35
	s_nop 1
	v_cndmask_b32_e64 v46, 0, v46, s[0:1]
	;; [unrolled: 3-line block ×8, first 2 shown]
.LBB369_335:                            ;   in Loop: Header=BB369_203 Depth=1
	s_or_b64 exec, exec, s[8:9]
	v_lshlrev_b32_e32 v45, 16, v45
	v_mul_f32_e32 v51, v37, v45
	v_and_b32_e32 v45, 0x7f800000, v51
	v_cmp_ne_u32_e64 s[0:1], s13, v45
                                        ; implicit-def: $vgpr45
	s_and_saveexec_b64 s[8:9], s[0:1]
	s_xor_b64 s[0:1], exec, s[8:9]
; %bb.336:                              ;   in Loop: Header=BB369_203 Depth=1
	v_bfe_u32 v45, v51, 16, 1
	v_add3_u32 v45, v51, v45, s14
                                        ; implicit-def: $vgpr51
; %bb.337:                              ;   in Loop: Header=BB369_203 Depth=1
	s_andn2_saveexec_b64 s[8:9], s[0:1]
; %bb.338:                              ;   in Loop: Header=BB369_203 Depth=1
	v_or_b32_e32 v45, 0x10000, v51
	v_cmp_eq_u32_sdwa s[0:1], v51, v17 src0_sel:WORD_0 src1_sel:DWORD
	s_nop 1
	v_cndmask_b32_e64 v45, v45, v51, s[0:1]
; %bb.339:                              ;   in Loop: Header=BB369_203 Depth=1
	s_or_b64 exec, exec, s[8:9]
	v_lshlrev_b32_e32 v46, 16, v46
	v_mul_f32_e32 v51, v38, v46
	v_and_b32_e32 v46, 0x7f800000, v51
	v_cmp_ne_u32_e64 s[0:1], s13, v46
                                        ; implicit-def: $vgpr46
	s_and_saveexec_b64 s[8:9], s[0:1]
	s_xor_b64 s[0:1], exec, s[8:9]
; %bb.340:                              ;   in Loop: Header=BB369_203 Depth=1
	v_bfe_u32 v46, v51, 16, 1
	v_add3_u32 v46, v51, v46, s14
                                        ; implicit-def: $vgpr51
; %bb.341:                              ;   in Loop: Header=BB369_203 Depth=1
	s_andn2_saveexec_b64 s[8:9], s[0:1]
; %bb.342:                              ;   in Loop: Header=BB369_203 Depth=1
	v_or_b32_e32 v46, 0x10000, v51
	v_cmp_eq_u32_sdwa s[0:1], v51, v17 src0_sel:WORD_0 src1_sel:DWORD
	s_nop 1
	v_cndmask_b32_e64 v46, v46, v51, s[0:1]
; %bb.343:                              ;   in Loop: Header=BB369_203 Depth=1
	s_or_b64 exec, exec, s[8:9]
	v_lshlrev_b32_e32 v47, 16, v47
	v_mul_f32_e32 v51, v39, v47
	v_and_b32_e32 v47, 0x7f800000, v51
	v_cmp_ne_u32_e64 s[0:1], s13, v47
                                        ; implicit-def: $vgpr47
	s_and_saveexec_b64 s[8:9], s[0:1]
	s_xor_b64 s[0:1], exec, s[8:9]
; %bb.344:                              ;   in Loop: Header=BB369_203 Depth=1
	v_bfe_u32 v47, v51, 16, 1
	v_add3_u32 v47, v51, v47, s14
                                        ; implicit-def: $vgpr51
; %bb.345:                              ;   in Loop: Header=BB369_203 Depth=1
	s_andn2_saveexec_b64 s[8:9], s[0:1]
; %bb.346:                              ;   in Loop: Header=BB369_203 Depth=1
	v_or_b32_e32 v47, 0x10000, v51
	v_cmp_eq_u32_sdwa s[0:1], v51, v17 src0_sel:WORD_0 src1_sel:DWORD
	s_nop 1
	v_cndmask_b32_e64 v47, v47, v51, s[0:1]
; %bb.347:                              ;   in Loop: Header=BB369_203 Depth=1
	s_or_b64 exec, exec, s[8:9]
	v_lshlrev_b32_e32 v48, 16, v48
	v_mul_f32_e32 v51, v40, v48
	v_and_b32_e32 v48, 0x7f800000, v51
	v_cmp_ne_u32_e64 s[0:1], s13, v48
                                        ; implicit-def: $vgpr48
	s_and_saveexec_b64 s[8:9], s[0:1]
	s_xor_b64 s[0:1], exec, s[8:9]
; %bb.348:                              ;   in Loop: Header=BB369_203 Depth=1
	v_bfe_u32 v48, v51, 16, 1
	v_add3_u32 v48, v51, v48, s14
                                        ; implicit-def: $vgpr51
; %bb.349:                              ;   in Loop: Header=BB369_203 Depth=1
	s_andn2_saveexec_b64 s[8:9], s[0:1]
; %bb.350:                              ;   in Loop: Header=BB369_203 Depth=1
	v_or_b32_e32 v48, 0x10000, v51
	v_cmp_eq_u32_sdwa s[0:1], v51, v17 src0_sel:WORD_0 src1_sel:DWORD
	s_nop 1
	v_cndmask_b32_e64 v48, v48, v51, s[0:1]
; %bb.351:                              ;   in Loop: Header=BB369_203 Depth=1
	s_or_b64 exec, exec, s[8:9]
	v_lshlrev_b32_e32 v49, 16, v49
	v_mul_f32_e32 v51, v41, v49
	v_and_b32_e32 v49, 0x7f800000, v51
	v_cmp_ne_u32_e64 s[0:1], s13, v49
                                        ; implicit-def: $vgpr49
	s_and_saveexec_b64 s[8:9], s[0:1]
	s_xor_b64 s[0:1], exec, s[8:9]
; %bb.352:                              ;   in Loop: Header=BB369_203 Depth=1
	v_bfe_u32 v49, v51, 16, 1
	v_add3_u32 v49, v51, v49, s14
                                        ; implicit-def: $vgpr51
; %bb.353:                              ;   in Loop: Header=BB369_203 Depth=1
	s_andn2_saveexec_b64 s[8:9], s[0:1]
; %bb.354:                              ;   in Loop: Header=BB369_203 Depth=1
	v_or_b32_e32 v49, 0x10000, v51
	v_cmp_eq_u32_sdwa s[0:1], v51, v17 src0_sel:WORD_0 src1_sel:DWORD
	s_nop 1
	v_cndmask_b32_e64 v49, v49, v51, s[0:1]
; %bb.355:                              ;   in Loop: Header=BB369_203 Depth=1
	s_or_b64 exec, exec, s[8:9]
	v_lshlrev_b32_e32 v50, 16, v50
	v_mul_f32_e32 v51, v42, v50
	v_and_b32_e32 v50, 0x7f800000, v51
	v_cmp_ne_u32_e64 s[0:1], s13, v50
                                        ; implicit-def: $vgpr50
	s_and_saveexec_b64 s[8:9], s[0:1]
	s_xor_b64 s[0:1], exec, s[8:9]
; %bb.356:                              ;   in Loop: Header=BB369_203 Depth=1
	v_bfe_u32 v50, v51, 16, 1
	v_add3_u32 v50, v51, v50, s14
                                        ; implicit-def: $vgpr51
; %bb.357:                              ;   in Loop: Header=BB369_203 Depth=1
	s_andn2_saveexec_b64 s[8:9], s[0:1]
; %bb.358:                              ;   in Loop: Header=BB369_203 Depth=1
	v_or_b32_e32 v50, 0x10000, v51
	v_cmp_eq_u32_sdwa s[0:1], v51, v17 src0_sel:WORD_0 src1_sel:DWORD
	s_nop 1
	v_cndmask_b32_e64 v50, v50, v51, s[0:1]
; %bb.359:                              ;   in Loop: Header=BB369_203 Depth=1
	s_or_b64 exec, exec, s[8:9]
	v_lshlrev_b32_e32 v5, 16, v5
	v_mul_f32_e32 v5, v43, v5
	v_and_b32_e32 v51, 0x7f800000, v5
	v_cmp_ne_u32_e64 s[0:1], s13, v51
                                        ; implicit-def: $vgpr51
	s_and_saveexec_b64 s[8:9], s[0:1]
	s_xor_b64 s[0:1], exec, s[8:9]
; %bb.360:                              ;   in Loop: Header=BB369_203 Depth=1
	v_bfe_u32 v51, v5, 16, 1
	v_add3_u32 v51, v5, v51, s14
                                        ; implicit-def: $vgpr5
; %bb.361:                              ;   in Loop: Header=BB369_203 Depth=1
	s_andn2_saveexec_b64 s[8:9], s[0:1]
; %bb.362:                              ;   in Loop: Header=BB369_203 Depth=1
	v_or_b32_e32 v51, 0x10000, v5
	v_cmp_eq_u32_sdwa s[0:1], v5, v17 src0_sel:WORD_0 src1_sel:DWORD
	s_nop 1
	v_cndmask_b32_e64 v51, v51, v5, s[0:1]
; %bb.363:                              ;   in Loop: Header=BB369_203 Depth=1
	s_or_b64 exec, exec, s[8:9]
	v_lshlrev_b32_e32 v4, 16, v4
	v_mul_f32_e32 v4, v44, v4
	v_and_b32_e32 v5, 0x7f800000, v4
	v_cmp_ne_u32_e64 s[0:1], s13, v5
                                        ; implicit-def: $vgpr52
	s_and_saveexec_b64 s[8:9], s[0:1]
	s_xor_b64 s[0:1], exec, s[8:9]
; %bb.364:                              ;   in Loop: Header=BB369_203 Depth=1
	v_bfe_u32 v5, v4, 16, 1
	v_add3_u32 v52, v4, v5, s14
                                        ; implicit-def: $vgpr4
; %bb.365:                              ;   in Loop: Header=BB369_203 Depth=1
	s_andn2_saveexec_b64 s[8:9], s[0:1]
; %bb.366:                              ;   in Loop: Header=BB369_203 Depth=1
	v_or_b32_e32 v5, 0x10000, v4
	v_cmp_eq_u32_sdwa s[0:1], v4, v17 src0_sel:WORD_0 src1_sel:DWORD
	s_nop 1
	v_cndmask_b32_e64 v52, v5, v4, s[0:1]
; %bb.367:                              ;   in Loop: Header=BB369_203 Depth=1
	s_or_b64 exec, exec, s[8:9]
	global_load_dwordx2 v[4:5], v[2:3], off offset:1024
	s_waitcnt vmcnt(0)
	v_and_b32_e32 v53, 0xff, v4
	v_cvt_f32_fp8_sdwa v53, v53 src0_sel:BYTE_0
	s_nop 0
	v_mul_f32_e32 v54, s10, v53
	v_and_b32_e32 v53, 0x7f800000, v54
	v_cmp_ne_u32_e64 s[0:1], s13, v53
                                        ; implicit-def: $vgpr53
	s_and_saveexec_b64 s[8:9], s[0:1]
	s_xor_b64 s[0:1], exec, s[8:9]
; %bb.368:                              ;   in Loop: Header=BB369_203 Depth=1
	v_bfe_u32 v53, v54, 16, 1
	v_add3_u32 v53, v54, v53, s14
                                        ; implicit-def: $vgpr54
; %bb.369:                              ;   in Loop: Header=BB369_203 Depth=1
	s_andn2_saveexec_b64 s[8:9], s[0:1]
; %bb.370:                              ;   in Loop: Header=BB369_203 Depth=1
	v_or_b32_e32 v53, 0x10000, v54
	v_cmp_eq_u32_sdwa s[0:1], v54, v17 src0_sel:WORD_0 src1_sel:DWORD
	s_nop 1
	v_cndmask_b32_e64 v53, v53, v54, s[0:1]
; %bb.371:                              ;   in Loop: Header=BB369_203 Depth=1
	s_or_b64 exec, exec, s[8:9]
	v_bfe_u32 v54, v4, 8, 8
	v_cvt_f32_fp8_sdwa v54, v54 src0_sel:BYTE_0
	s_nop 0
	v_mul_f32_e32 v55, s10, v54
	v_and_b32_e32 v54, 0x7f800000, v55
	v_cmp_ne_u32_e64 s[0:1], s13, v54
                                        ; implicit-def: $vgpr54
	s_and_saveexec_b64 s[8:9], s[0:1]
	s_xor_b64 s[0:1], exec, s[8:9]
; %bb.372:                              ;   in Loop: Header=BB369_203 Depth=1
	v_bfe_u32 v54, v55, 16, 1
	v_add3_u32 v54, v55, v54, s14
                                        ; implicit-def: $vgpr55
; %bb.373:                              ;   in Loop: Header=BB369_203 Depth=1
	s_andn2_saveexec_b64 s[8:9], s[0:1]
; %bb.374:                              ;   in Loop: Header=BB369_203 Depth=1
	v_or_b32_e32 v54, 0x10000, v55
	v_cmp_eq_u32_sdwa s[0:1], v55, v17 src0_sel:WORD_0 src1_sel:DWORD
	s_nop 1
	v_cndmask_b32_e64 v54, v54, v55, s[0:1]
; %bb.375:                              ;   in Loop: Header=BB369_203 Depth=1
	s_or_b64 exec, exec, s[8:9]
	v_bfe_u32 v55, v4, 16, 8
	v_cvt_f32_fp8_sdwa v55, v55 src0_sel:BYTE_0
	s_nop 0
	v_mul_f32_e32 v56, s10, v55
	v_and_b32_e32 v55, 0x7f800000, v56
	v_cmp_ne_u32_e64 s[0:1], s13, v55
                                        ; implicit-def: $vgpr55
	s_and_saveexec_b64 s[8:9], s[0:1]
	s_xor_b64 s[0:1], exec, s[8:9]
; %bb.376:                              ;   in Loop: Header=BB369_203 Depth=1
	v_bfe_u32 v55, v56, 16, 1
	v_add3_u32 v55, v56, v55, s14
                                        ; implicit-def: $vgpr56
; %bb.377:                              ;   in Loop: Header=BB369_203 Depth=1
	s_andn2_saveexec_b64 s[8:9], s[0:1]
; %bb.378:                              ;   in Loop: Header=BB369_203 Depth=1
	v_or_b32_e32 v55, 0x10000, v56
	v_cmp_eq_u32_sdwa s[0:1], v56, v17 src0_sel:WORD_0 src1_sel:DWORD
	s_nop 1
	v_cndmask_b32_e64 v55, v55, v56, s[0:1]
; %bb.379:                              ;   in Loop: Header=BB369_203 Depth=1
	s_or_b64 exec, exec, s[8:9]
	v_lshrrev_b32_e32 v4, 24, v4
	v_cvt_f32_fp8_sdwa v4, v4 src0_sel:BYTE_0
	s_nop 0
	v_mul_f32_e32 v56, s10, v4
	v_and_b32_e32 v4, 0x7f800000, v56
	v_cmp_ne_u32_e64 s[0:1], s13, v4
                                        ; implicit-def: $vgpr4
	s_and_saveexec_b64 s[8:9], s[0:1]
	s_xor_b64 s[0:1], exec, s[8:9]
; %bb.380:                              ;   in Loop: Header=BB369_203 Depth=1
	v_bfe_u32 v4, v56, 16, 1
	v_add3_u32 v4, v56, v4, s14
                                        ; implicit-def: $vgpr56
; %bb.381:                              ;   in Loop: Header=BB369_203 Depth=1
	s_andn2_saveexec_b64 s[8:9], s[0:1]
; %bb.382:                              ;   in Loop: Header=BB369_203 Depth=1
	v_or_b32_e32 v4, 0x10000, v56
	v_cmp_eq_u32_sdwa s[0:1], v56, v17 src0_sel:WORD_0 src1_sel:DWORD
	s_nop 1
	v_cndmask_b32_e64 v4, v4, v56, s[0:1]
; %bb.383:                              ;   in Loop: Header=BB369_203 Depth=1
	s_or_b64 exec, exec, s[8:9]
	v_and_b32_e32 v56, 0xff, v5
	v_cvt_f32_fp8_sdwa v56, v56 src0_sel:BYTE_0
	s_nop 0
	v_mul_f32_e32 v57, s10, v56
	v_and_b32_e32 v56, 0x7f800000, v57
	v_cmp_ne_u32_e64 s[0:1], s13, v56
                                        ; implicit-def: $vgpr56
	s_and_saveexec_b64 s[8:9], s[0:1]
	s_xor_b64 s[0:1], exec, s[8:9]
; %bb.384:                              ;   in Loop: Header=BB369_203 Depth=1
	v_bfe_u32 v56, v57, 16, 1
	v_add3_u32 v56, v57, v56, s14
                                        ; implicit-def: $vgpr57
; %bb.385:                              ;   in Loop: Header=BB369_203 Depth=1
	s_andn2_saveexec_b64 s[8:9], s[0:1]
; %bb.386:                              ;   in Loop: Header=BB369_203 Depth=1
	v_or_b32_e32 v56, 0x10000, v57
	v_cmp_eq_u32_sdwa s[0:1], v57, v17 src0_sel:WORD_0 src1_sel:DWORD
	s_nop 1
	v_cndmask_b32_e64 v56, v56, v57, s[0:1]
; %bb.387:                              ;   in Loop: Header=BB369_203 Depth=1
	s_or_b64 exec, exec, s[8:9]
	v_bfe_u32 v57, v5, 8, 8
	v_cvt_f32_fp8_sdwa v57, v57 src0_sel:BYTE_0
	s_nop 0
	v_mul_f32_e32 v58, s10, v57
	v_and_b32_e32 v57, 0x7f800000, v58
	v_cmp_ne_u32_e64 s[0:1], s13, v57
                                        ; implicit-def: $vgpr57
	s_and_saveexec_b64 s[8:9], s[0:1]
	s_xor_b64 s[0:1], exec, s[8:9]
; %bb.388:                              ;   in Loop: Header=BB369_203 Depth=1
	v_bfe_u32 v57, v58, 16, 1
	v_add3_u32 v57, v58, v57, s14
                                        ; implicit-def: $vgpr58
; %bb.389:                              ;   in Loop: Header=BB369_203 Depth=1
	s_andn2_saveexec_b64 s[8:9], s[0:1]
; %bb.390:                              ;   in Loop: Header=BB369_203 Depth=1
	v_or_b32_e32 v57, 0x10000, v58
	v_cmp_eq_u32_sdwa s[0:1], v58, v17 src0_sel:WORD_0 src1_sel:DWORD
	s_nop 1
	v_cndmask_b32_e64 v57, v57, v58, s[0:1]
; %bb.391:                              ;   in Loop: Header=BB369_203 Depth=1
	s_or_b64 exec, exec, s[8:9]
	v_bfe_u32 v58, v5, 16, 8
	v_cvt_f32_fp8_sdwa v58, v58 src0_sel:BYTE_0
	s_nop 0
	v_mul_f32_e32 v58, s10, v58
	v_and_b32_e32 v59, 0x7f800000, v58
	v_cmp_ne_u32_e64 s[0:1], s13, v59
                                        ; implicit-def: $vgpr59
	s_and_saveexec_b64 s[8:9], s[0:1]
	s_xor_b64 s[0:1], exec, s[8:9]
; %bb.392:                              ;   in Loop: Header=BB369_203 Depth=1
	v_bfe_u32 v59, v58, 16, 1
	v_add3_u32 v59, v58, v59, s14
                                        ; implicit-def: $vgpr58
; %bb.393:                              ;   in Loop: Header=BB369_203 Depth=1
	s_andn2_saveexec_b64 s[8:9], s[0:1]
; %bb.394:                              ;   in Loop: Header=BB369_203 Depth=1
	v_or_b32_e32 v59, 0x10000, v58
	v_cmp_eq_u32_sdwa s[0:1], v58, v17 src0_sel:WORD_0 src1_sel:DWORD
	s_nop 1
	v_cndmask_b32_e64 v59, v59, v58, s[0:1]
; %bb.395:                              ;   in Loop: Header=BB369_203 Depth=1
	s_or_b64 exec, exec, s[8:9]
	v_lshrrev_b32_e32 v5, 24, v5
	v_cvt_f32_fp8_sdwa v5, v5 src0_sel:BYTE_0
                                        ; implicit-def: $vgpr60
	s_nop 0
	v_mul_f32_e32 v5, s10, v5
	v_and_b32_e32 v58, 0x7f800000, v5
	v_cmp_ne_u32_e64 s[0:1], s13, v58
	s_and_saveexec_b64 s[8:9], s[0:1]
	s_xor_b64 s[0:1], exec, s[8:9]
; %bb.396:                              ;   in Loop: Header=BB369_203 Depth=1
	v_bfe_u32 v58, v5, 16, 1
	v_add3_u32 v60, v5, v58, s14
                                        ; implicit-def: $vgpr5
; %bb.397:                              ;   in Loop: Header=BB369_203 Depth=1
	s_andn2_saveexec_b64 s[8:9], s[0:1]
; %bb.398:                              ;   in Loop: Header=BB369_203 Depth=1
	v_or_b32_e32 v58, 0x10000, v5
	v_cmp_eq_u32_sdwa s[0:1], v5, v17 src0_sel:WORD_0 src1_sel:DWORD
	s_nop 1
	v_cndmask_b32_e64 v60, v58, v5, s[0:1]
; %bb.399:                              ;   in Loop: Header=BB369_203 Depth=1
	s_or_b64 exec, exec, s[8:9]
	v_lshrrev_b32_e32 v58, 16, v57
	v_lshrrev_b32_e32 v57, 16, v56
	;; [unrolled: 1-line block ×8, first 2 shown]
	s_and_saveexec_b64 s[8:9], vcc
	s_cbranch_execz .LBB369_401
; %bb.400:                              ;   in Loop: Header=BB369_203 Depth=1
	v_cmp_gt_i32_e64 s[0:1], s33, v29
	s_nop 1
	v_cndmask_b32_e64 v53, 0, v53, s[0:1]
	v_cmp_gt_i32_e64 s[0:1], s33, v35
	s_nop 1
	v_cndmask_b32_e64 v54, 0, v54, s[0:1]
	;; [unrolled: 3-line block ×8, first 2 shown]
.LBB369_401:                            ;   in Loop: Header=BB369_203 Depth=1
	s_or_b64 exec, exec, s[8:9]
	v_lshlrev_b32_e32 v53, 16, v53
	v_mul_f32_e32 v59, v37, v53
	v_and_b32_e32 v53, 0x7f800000, v59
	v_cmp_ne_u32_e64 s[0:1], s13, v53
                                        ; implicit-def: $vgpr53
	s_and_saveexec_b64 s[8:9], s[0:1]
	s_xor_b64 s[0:1], exec, s[8:9]
; %bb.402:                              ;   in Loop: Header=BB369_203 Depth=1
	v_bfe_u32 v53, v59, 16, 1
	v_add3_u32 v53, v59, v53, s14
                                        ; implicit-def: $vgpr59
; %bb.403:                              ;   in Loop: Header=BB369_203 Depth=1
	s_andn2_saveexec_b64 s[8:9], s[0:1]
; %bb.404:                              ;   in Loop: Header=BB369_203 Depth=1
	v_or_b32_e32 v53, 0x10000, v59
	v_cmp_eq_u32_sdwa s[0:1], v59, v17 src0_sel:WORD_0 src1_sel:DWORD
	s_nop 1
	v_cndmask_b32_e64 v53, v53, v59, s[0:1]
; %bb.405:                              ;   in Loop: Header=BB369_203 Depth=1
	s_or_b64 exec, exec, s[8:9]
	v_lshlrev_b32_e32 v54, 16, v54
	v_mul_f32_e32 v59, v38, v54
	v_and_b32_e32 v54, 0x7f800000, v59
	v_cmp_ne_u32_e64 s[0:1], s13, v54
                                        ; implicit-def: $vgpr54
	s_and_saveexec_b64 s[8:9], s[0:1]
	s_xor_b64 s[0:1], exec, s[8:9]
; %bb.406:                              ;   in Loop: Header=BB369_203 Depth=1
	v_bfe_u32 v54, v59, 16, 1
	v_add3_u32 v54, v59, v54, s14
                                        ; implicit-def: $vgpr59
; %bb.407:                              ;   in Loop: Header=BB369_203 Depth=1
	s_andn2_saveexec_b64 s[8:9], s[0:1]
; %bb.408:                              ;   in Loop: Header=BB369_203 Depth=1
	v_or_b32_e32 v54, 0x10000, v59
	v_cmp_eq_u32_sdwa s[0:1], v59, v17 src0_sel:WORD_0 src1_sel:DWORD
	s_nop 1
	v_cndmask_b32_e64 v54, v54, v59, s[0:1]
; %bb.409:                              ;   in Loop: Header=BB369_203 Depth=1
	s_or_b64 exec, exec, s[8:9]
	v_lshlrev_b32_e32 v55, 16, v55
	v_mul_f32_e32 v59, v39, v55
	v_and_b32_e32 v55, 0x7f800000, v59
	v_cmp_ne_u32_e64 s[0:1], s13, v55
                                        ; implicit-def: $vgpr55
	s_and_saveexec_b64 s[8:9], s[0:1]
	s_xor_b64 s[0:1], exec, s[8:9]
; %bb.410:                              ;   in Loop: Header=BB369_203 Depth=1
	v_bfe_u32 v55, v59, 16, 1
	v_add3_u32 v55, v59, v55, s14
                                        ; implicit-def: $vgpr59
; %bb.411:                              ;   in Loop: Header=BB369_203 Depth=1
	s_andn2_saveexec_b64 s[8:9], s[0:1]
; %bb.412:                              ;   in Loop: Header=BB369_203 Depth=1
	v_or_b32_e32 v55, 0x10000, v59
	v_cmp_eq_u32_sdwa s[0:1], v59, v17 src0_sel:WORD_0 src1_sel:DWORD
	s_nop 1
	v_cndmask_b32_e64 v55, v55, v59, s[0:1]
; %bb.413:                              ;   in Loop: Header=BB369_203 Depth=1
	s_or_b64 exec, exec, s[8:9]
	v_lshlrev_b32_e32 v56, 16, v56
	v_mul_f32_e32 v59, v40, v56
	v_and_b32_e32 v56, 0x7f800000, v59
	v_cmp_ne_u32_e64 s[0:1], s13, v56
                                        ; implicit-def: $vgpr56
	s_and_saveexec_b64 s[8:9], s[0:1]
	s_xor_b64 s[0:1], exec, s[8:9]
; %bb.414:                              ;   in Loop: Header=BB369_203 Depth=1
	v_bfe_u32 v56, v59, 16, 1
	v_add3_u32 v56, v59, v56, s14
                                        ; implicit-def: $vgpr59
; %bb.415:                              ;   in Loop: Header=BB369_203 Depth=1
	s_andn2_saveexec_b64 s[8:9], s[0:1]
; %bb.416:                              ;   in Loop: Header=BB369_203 Depth=1
	v_or_b32_e32 v56, 0x10000, v59
	v_cmp_eq_u32_sdwa s[0:1], v59, v17 src0_sel:WORD_0 src1_sel:DWORD
	s_nop 1
	v_cndmask_b32_e64 v56, v56, v59, s[0:1]
; %bb.417:                              ;   in Loop: Header=BB369_203 Depth=1
	s_or_b64 exec, exec, s[8:9]
	v_lshlrev_b32_e32 v57, 16, v57
	v_mul_f32_e32 v59, v41, v57
	v_and_b32_e32 v57, 0x7f800000, v59
	v_cmp_ne_u32_e64 s[0:1], s13, v57
                                        ; implicit-def: $vgpr57
	s_and_saveexec_b64 s[8:9], s[0:1]
	s_xor_b64 s[0:1], exec, s[8:9]
; %bb.418:                              ;   in Loop: Header=BB369_203 Depth=1
	v_bfe_u32 v57, v59, 16, 1
	v_add3_u32 v57, v59, v57, s14
                                        ; implicit-def: $vgpr59
; %bb.419:                              ;   in Loop: Header=BB369_203 Depth=1
	s_andn2_saveexec_b64 s[8:9], s[0:1]
; %bb.420:                              ;   in Loop: Header=BB369_203 Depth=1
	v_or_b32_e32 v57, 0x10000, v59
	v_cmp_eq_u32_sdwa s[0:1], v59, v17 src0_sel:WORD_0 src1_sel:DWORD
	s_nop 1
	v_cndmask_b32_e64 v57, v57, v59, s[0:1]
; %bb.421:                              ;   in Loop: Header=BB369_203 Depth=1
	s_or_b64 exec, exec, s[8:9]
	v_lshlrev_b32_e32 v58, 16, v58
	v_mul_f32_e32 v59, v42, v58
	v_and_b32_e32 v58, 0x7f800000, v59
	v_cmp_ne_u32_e64 s[0:1], s13, v58
                                        ; implicit-def: $vgpr58
	s_and_saveexec_b64 s[8:9], s[0:1]
	s_xor_b64 s[0:1], exec, s[8:9]
; %bb.422:                              ;   in Loop: Header=BB369_203 Depth=1
	v_bfe_u32 v58, v59, 16, 1
	v_add3_u32 v58, v59, v58, s14
                                        ; implicit-def: $vgpr59
; %bb.423:                              ;   in Loop: Header=BB369_203 Depth=1
	s_andn2_saveexec_b64 s[8:9], s[0:1]
; %bb.424:                              ;   in Loop: Header=BB369_203 Depth=1
	v_or_b32_e32 v58, 0x10000, v59
	v_cmp_eq_u32_sdwa s[0:1], v59, v17 src0_sel:WORD_0 src1_sel:DWORD
	s_nop 1
	v_cndmask_b32_e64 v58, v58, v59, s[0:1]
; %bb.425:                              ;   in Loop: Header=BB369_203 Depth=1
	s_or_b64 exec, exec, s[8:9]
	v_lshlrev_b32_e32 v5, 16, v5
	v_mul_f32_e32 v5, v43, v5
	v_and_b32_e32 v59, 0x7f800000, v5
	v_cmp_ne_u32_e64 s[0:1], s13, v59
                                        ; implicit-def: $vgpr59
	s_and_saveexec_b64 s[8:9], s[0:1]
	s_xor_b64 s[0:1], exec, s[8:9]
; %bb.426:                              ;   in Loop: Header=BB369_203 Depth=1
	v_bfe_u32 v59, v5, 16, 1
	v_add3_u32 v59, v5, v59, s14
                                        ; implicit-def: $vgpr5
; %bb.427:                              ;   in Loop: Header=BB369_203 Depth=1
	s_andn2_saveexec_b64 s[8:9], s[0:1]
; %bb.428:                              ;   in Loop: Header=BB369_203 Depth=1
	v_or_b32_e32 v59, 0x10000, v5
	v_cmp_eq_u32_sdwa s[0:1], v5, v17 src0_sel:WORD_0 src1_sel:DWORD
	s_nop 1
	v_cndmask_b32_e64 v59, v59, v5, s[0:1]
; %bb.429:                              ;   in Loop: Header=BB369_203 Depth=1
	s_or_b64 exec, exec, s[8:9]
	v_lshlrev_b32_e32 v4, 16, v4
	v_mul_f32_e32 v4, v44, v4
	v_and_b32_e32 v5, 0x7f800000, v4
	v_cmp_ne_u32_e64 s[0:1], s13, v5
                                        ; implicit-def: $vgpr60
	s_and_saveexec_b64 s[8:9], s[0:1]
	s_xor_b64 s[0:1], exec, s[8:9]
; %bb.430:                              ;   in Loop: Header=BB369_203 Depth=1
	v_bfe_u32 v5, v4, 16, 1
	v_add3_u32 v60, v4, v5, s14
                                        ; implicit-def: $vgpr4
; %bb.431:                              ;   in Loop: Header=BB369_203 Depth=1
	s_andn2_saveexec_b64 s[8:9], s[0:1]
; %bb.432:                              ;   in Loop: Header=BB369_203 Depth=1
	v_or_b32_e32 v5, 0x10000, v4
	v_cmp_eq_u32_sdwa s[0:1], v4, v17 src0_sel:WORD_0 src1_sel:DWORD
	s_nop 1
	v_cndmask_b32_e64 v60, v5, v4, s[0:1]
; %bb.433:                              ;   in Loop: Header=BB369_203 Depth=1
	s_or_b64 exec, exec, s[8:9]
	global_load_dwordx2 v[4:5], v[2:3], off offset:1536
	s_waitcnt vmcnt(0)
	v_and_b32_e32 v61, 0xff, v4
	v_cvt_f32_fp8_sdwa v61, v61 src0_sel:BYTE_0
	s_nop 0
	v_mul_f32_e32 v62, s10, v61
	v_and_b32_e32 v61, 0x7f800000, v62
	v_cmp_ne_u32_e64 s[0:1], s13, v61
                                        ; implicit-def: $vgpr61
	s_and_saveexec_b64 s[8:9], s[0:1]
	s_xor_b64 s[0:1], exec, s[8:9]
; %bb.434:                              ;   in Loop: Header=BB369_203 Depth=1
	v_bfe_u32 v61, v62, 16, 1
	v_add3_u32 v61, v62, v61, s14
                                        ; implicit-def: $vgpr62
; %bb.435:                              ;   in Loop: Header=BB369_203 Depth=1
	s_andn2_saveexec_b64 s[8:9], s[0:1]
; %bb.436:                              ;   in Loop: Header=BB369_203 Depth=1
	v_or_b32_e32 v61, 0x10000, v62
	v_cmp_eq_u32_sdwa s[0:1], v62, v17 src0_sel:WORD_0 src1_sel:DWORD
	s_nop 1
	v_cndmask_b32_e64 v61, v61, v62, s[0:1]
; %bb.437:                              ;   in Loop: Header=BB369_203 Depth=1
	s_or_b64 exec, exec, s[8:9]
	v_bfe_u32 v62, v4, 8, 8
	v_cvt_f32_fp8_sdwa v62, v62 src0_sel:BYTE_0
	s_nop 0
	v_mul_f32_e32 v63, s10, v62
	v_and_b32_e32 v62, 0x7f800000, v63
	v_cmp_ne_u32_e64 s[0:1], s13, v62
                                        ; implicit-def: $vgpr62
	s_and_saveexec_b64 s[8:9], s[0:1]
	s_xor_b64 s[0:1], exec, s[8:9]
; %bb.438:                              ;   in Loop: Header=BB369_203 Depth=1
	v_bfe_u32 v62, v63, 16, 1
	v_add3_u32 v62, v63, v62, s14
                                        ; implicit-def: $vgpr63
; %bb.439:                              ;   in Loop: Header=BB369_203 Depth=1
	s_andn2_saveexec_b64 s[8:9], s[0:1]
; %bb.440:                              ;   in Loop: Header=BB369_203 Depth=1
	v_or_b32_e32 v62, 0x10000, v63
	v_cmp_eq_u32_sdwa s[0:1], v63, v17 src0_sel:WORD_0 src1_sel:DWORD
	s_nop 1
	v_cndmask_b32_e64 v62, v62, v63, s[0:1]
; %bb.441:                              ;   in Loop: Header=BB369_203 Depth=1
	s_or_b64 exec, exec, s[8:9]
	v_bfe_u32 v63, v4, 16, 8
	v_cvt_f32_fp8_sdwa v63, v63 src0_sel:BYTE_0
	s_nop 0
	v_mul_f32_e32 v64, s10, v63
	v_and_b32_e32 v63, 0x7f800000, v64
	v_cmp_ne_u32_e64 s[0:1], s13, v63
                                        ; implicit-def: $vgpr63
	s_and_saveexec_b64 s[8:9], s[0:1]
	s_xor_b64 s[0:1], exec, s[8:9]
; %bb.442:                              ;   in Loop: Header=BB369_203 Depth=1
	v_bfe_u32 v63, v64, 16, 1
	v_add3_u32 v63, v64, v63, s14
                                        ; implicit-def: $vgpr64
; %bb.443:                              ;   in Loop: Header=BB369_203 Depth=1
	s_andn2_saveexec_b64 s[8:9], s[0:1]
; %bb.444:                              ;   in Loop: Header=BB369_203 Depth=1
	v_or_b32_e32 v63, 0x10000, v64
	v_cmp_eq_u32_sdwa s[0:1], v64, v17 src0_sel:WORD_0 src1_sel:DWORD
	s_nop 1
	v_cndmask_b32_e64 v63, v63, v64, s[0:1]
; %bb.445:                              ;   in Loop: Header=BB369_203 Depth=1
	s_or_b64 exec, exec, s[8:9]
	v_lshrrev_b32_e32 v4, 24, v4
	v_cvt_f32_fp8_sdwa v4, v4 src0_sel:BYTE_0
	s_nop 0
	v_mul_f32_e32 v64, s10, v4
	v_and_b32_e32 v4, 0x7f800000, v64
	v_cmp_ne_u32_e64 s[0:1], s13, v4
                                        ; implicit-def: $vgpr4
	s_and_saveexec_b64 s[8:9], s[0:1]
	s_xor_b64 s[0:1], exec, s[8:9]
; %bb.446:                              ;   in Loop: Header=BB369_203 Depth=1
	v_bfe_u32 v4, v64, 16, 1
	v_add3_u32 v4, v64, v4, s14
                                        ; implicit-def: $vgpr64
; %bb.447:                              ;   in Loop: Header=BB369_203 Depth=1
	s_andn2_saveexec_b64 s[8:9], s[0:1]
; %bb.448:                              ;   in Loop: Header=BB369_203 Depth=1
	v_or_b32_e32 v4, 0x10000, v64
	v_cmp_eq_u32_sdwa s[0:1], v64, v17 src0_sel:WORD_0 src1_sel:DWORD
	s_nop 1
	v_cndmask_b32_e64 v4, v4, v64, s[0:1]
; %bb.449:                              ;   in Loop: Header=BB369_203 Depth=1
	s_or_b64 exec, exec, s[8:9]
	v_and_b32_e32 v64, 0xff, v5
	v_cvt_f32_fp8_sdwa v64, v64 src0_sel:BYTE_0
	s_nop 0
	v_mul_f32_e32 v64, s10, v64
	v_and_b32_e32 v65, 0x7f800000, v64
	v_cmp_ne_u32_e64 s[0:1], s13, v65
                                        ; implicit-def: $vgpr65
	s_and_saveexec_b64 s[8:9], s[0:1]
	s_xor_b64 s[0:1], exec, s[8:9]
; %bb.450:                              ;   in Loop: Header=BB369_203 Depth=1
	v_bfe_u32 v65, v64, 16, 1
	v_add3_u32 v65, v64, v65, s14
                                        ; implicit-def: $vgpr64
; %bb.451:                              ;   in Loop: Header=BB369_203 Depth=1
	s_andn2_saveexec_b64 s[8:9], s[0:1]
; %bb.452:                              ;   in Loop: Header=BB369_203 Depth=1
	v_or_b32_e32 v65, 0x10000, v64
	v_cmp_eq_u32_sdwa s[0:1], v64, v17 src0_sel:WORD_0 src1_sel:DWORD
	s_nop 1
	v_cndmask_b32_e64 v65, v65, v64, s[0:1]
; %bb.453:                              ;   in Loop: Header=BB369_203 Depth=1
	s_or_b64 exec, exec, s[8:9]
	v_bfe_u32 v64, v5, 8, 8
	v_cvt_f32_fp8_sdwa v64, v64 src0_sel:BYTE_0
	s_nop 0
	v_mul_f32_e32 v66, s10, v64
	v_and_b32_e32 v64, 0x7f800000, v66
	v_cmp_ne_u32_e64 s[0:1], s13, v64
                                        ; implicit-def: $vgpr64
	s_and_saveexec_b64 s[8:9], s[0:1]
	s_xor_b64 s[0:1], exec, s[8:9]
; %bb.454:                              ;   in Loop: Header=BB369_203 Depth=1
	v_bfe_u32 v64, v66, 16, 1
	v_add3_u32 v64, v66, v64, s14
                                        ; implicit-def: $vgpr66
; %bb.455:                              ;   in Loop: Header=BB369_203 Depth=1
	s_andn2_saveexec_b64 s[8:9], s[0:1]
; %bb.456:                              ;   in Loop: Header=BB369_203 Depth=1
	v_or_b32_e32 v64, 0x10000, v66
	v_cmp_eq_u32_sdwa s[0:1], v66, v17 src0_sel:WORD_0 src1_sel:DWORD
	s_nop 1
	v_cndmask_b32_e64 v64, v64, v66, s[0:1]
; %bb.457:                              ;   in Loop: Header=BB369_203 Depth=1
	s_or_b64 exec, exec, s[8:9]
	v_bfe_u32 v66, v5, 16, 8
	v_cvt_f32_fp8_sdwa v66, v66 src0_sel:BYTE_0
	s_nop 0
	v_mul_f32_e32 v67, s10, v66
	v_and_b32_e32 v66, 0x7f800000, v67
	v_cmp_ne_u32_e64 s[0:1], s13, v66
                                        ; implicit-def: $vgpr66
	s_and_saveexec_b64 s[8:9], s[0:1]
	s_xor_b64 s[0:1], exec, s[8:9]
; %bb.458:                              ;   in Loop: Header=BB369_203 Depth=1
	v_bfe_u32 v66, v67, 16, 1
	v_add3_u32 v66, v67, v66, s14
                                        ; implicit-def: $vgpr67
; %bb.459:                              ;   in Loop: Header=BB369_203 Depth=1
	s_andn2_saveexec_b64 s[8:9], s[0:1]
; %bb.460:                              ;   in Loop: Header=BB369_203 Depth=1
	v_or_b32_e32 v66, 0x10000, v67
	v_cmp_eq_u32_sdwa s[0:1], v67, v17 src0_sel:WORD_0 src1_sel:DWORD
	s_nop 1
	v_cndmask_b32_e64 v66, v66, v67, s[0:1]
; %bb.461:                              ;   in Loop: Header=BB369_203 Depth=1
	s_or_b64 exec, exec, s[8:9]
	v_lshrrev_b32_e32 v5, 24, v5
	v_cvt_f32_fp8_sdwa v5, v5 src0_sel:BYTE_0
                                        ; implicit-def: $vgpr69
	s_nop 0
	v_mul_f32_e32 v5, s10, v5
	v_and_b32_e32 v67, 0x7f800000, v5
	v_cmp_ne_u32_e64 s[0:1], s13, v67
	s_and_saveexec_b64 s[8:9], s[0:1]
	s_xor_b64 s[0:1], exec, s[8:9]
; %bb.462:                              ;   in Loop: Header=BB369_203 Depth=1
	v_bfe_u32 v67, v5, 16, 1
	v_add3_u32 v69, v5, v67, s14
                                        ; implicit-def: $vgpr5
; %bb.463:                              ;   in Loop: Header=BB369_203 Depth=1
	s_andn2_saveexec_b64 s[8:9], s[0:1]
; %bb.464:                              ;   in Loop: Header=BB369_203 Depth=1
	v_or_b32_e32 v67, 0x10000, v5
	v_cmp_eq_u32_sdwa s[0:1], v5, v17 src0_sel:WORD_0 src1_sel:DWORD
	s_nop 1
	v_cndmask_b32_e64 v69, v67, v5, s[0:1]
; %bb.465:                              ;   in Loop: Header=BB369_203 Depth=1
	s_or_b64 exec, exec, s[8:9]
	v_lshrrev_b32_e32 v64, 16, v64
	v_lshrrev_b32_e32 v67, 16, v65
	v_lshrrev_b32_e32 v68, 16, v4
	v_lshrrev_b32_e32 v63, 16, v63
	v_lshrrev_b32_e32 v5, 16, v62
	v_lshrrev_b32_e32 v4, 16, v61
	v_lshrrev_b32_e32 v65, 16, v66
	v_lshrrev_b32_e32 v66, 16, v69
	s_and_saveexec_b64 s[8:9], vcc
	s_cbranch_execz .LBB369_467
; %bb.466:                              ;   in Loop: Header=BB369_203 Depth=1
	v_cmp_gt_i32_e64 s[0:1], s33, v29
	s_nop 1
	v_cndmask_b32_e64 v4, 0, v4, s[0:1]
	v_cmp_gt_i32_e64 s[0:1], s33, v35
	s_nop 1
	v_cndmask_b32_e64 v5, 0, v5, s[0:1]
	v_cmp_gt_i32_e64 s[0:1], s33, v34
	s_nop 1
	v_cndmask_b32_e64 v63, 0, v63, s[0:1]
	v_cmp_gt_i32_e64 s[0:1], s33, v33
	s_nop 1
	v_cndmask_b32_e64 v68, 0, v68, s[0:1]
	v_cmp_gt_i32_e64 s[0:1], s33, v32
	s_nop 1
	v_cndmask_b32_e64 v67, 0, v67, s[0:1]
	v_cmp_gt_i32_e64 s[0:1], s33, v31
	s_nop 1
	v_cndmask_b32_e64 v64, 0, v64, s[0:1]
	v_cmp_gt_i32_e64 s[0:1], s33, v30
	s_nop 1
	v_cndmask_b32_e64 v65, 0, v65, s[0:1]
	v_cmp_gt_i32_e64 s[0:1], s33, v25
	s_nop 1
	v_cndmask_b32_e64 v66, 0, v66, s[0:1]
.LBB369_467:                            ;   in Loop: Header=BB369_203 Depth=1
	s_or_b64 exec, exec, s[8:9]
	v_lshlrev_b32_e32 v4, 16, v4
	v_mul_f32_e32 v61, v37, v4
	v_and_b32_e32 v4, 0x7f800000, v61
	v_cmp_ne_u32_e64 s[0:1], s13, v4
                                        ; implicit-def: $vgpr4
	s_and_saveexec_b64 s[8:9], s[0:1]
	s_xor_b64 s[0:1], exec, s[8:9]
; %bb.468:                              ;   in Loop: Header=BB369_203 Depth=1
	v_bfe_u32 v4, v61, 16, 1
	v_add3_u32 v4, v61, v4, s14
                                        ; implicit-def: $vgpr61
; %bb.469:                              ;   in Loop: Header=BB369_203 Depth=1
	s_andn2_saveexec_b64 s[8:9], s[0:1]
; %bb.470:                              ;   in Loop: Header=BB369_203 Depth=1
	v_or_b32_e32 v4, 0x10000, v61
	v_cmp_eq_u32_sdwa s[0:1], v61, v17 src0_sel:WORD_0 src1_sel:DWORD
	s_nop 1
	v_cndmask_b32_e64 v4, v4, v61, s[0:1]
; %bb.471:                              ;   in Loop: Header=BB369_203 Depth=1
	s_or_b64 exec, exec, s[8:9]
	v_lshlrev_b32_e32 v5, 16, v5
	v_mul_f32_e32 v61, v38, v5
	v_and_b32_e32 v5, 0x7f800000, v61
	v_cmp_ne_u32_e64 s[0:1], s13, v5
                                        ; implicit-def: $vgpr5
	s_and_saveexec_b64 s[8:9], s[0:1]
	s_xor_b64 s[0:1], exec, s[8:9]
; %bb.472:                              ;   in Loop: Header=BB369_203 Depth=1
	v_bfe_u32 v5, v61, 16, 1
	v_add3_u32 v5, v61, v5, s14
                                        ; implicit-def: $vgpr61
; %bb.473:                              ;   in Loop: Header=BB369_203 Depth=1
	s_andn2_saveexec_b64 s[8:9], s[0:1]
; %bb.474:                              ;   in Loop: Header=BB369_203 Depth=1
	v_or_b32_e32 v5, 0x10000, v61
	v_cmp_eq_u32_sdwa s[0:1], v61, v17 src0_sel:WORD_0 src1_sel:DWORD
	s_nop 1
	v_cndmask_b32_e64 v5, v5, v61, s[0:1]
; %bb.475:                              ;   in Loop: Header=BB369_203 Depth=1
	s_or_b64 exec, exec, s[8:9]
	v_lshlrev_b32_e32 v61, 16, v63
	v_mul_f32_e32 v62, v39, v61
	v_and_b32_e32 v61, 0x7f800000, v62
	v_cmp_ne_u32_e64 s[0:1], s13, v61
                                        ; implicit-def: $vgpr61
	s_and_saveexec_b64 s[8:9], s[0:1]
	s_xor_b64 s[0:1], exec, s[8:9]
; %bb.476:                              ;   in Loop: Header=BB369_203 Depth=1
	v_bfe_u32 v61, v62, 16, 1
	v_add3_u32 v61, v62, v61, s14
                                        ; implicit-def: $vgpr62
; %bb.477:                              ;   in Loop: Header=BB369_203 Depth=1
	s_andn2_saveexec_b64 s[8:9], s[0:1]
; %bb.478:                              ;   in Loop: Header=BB369_203 Depth=1
	v_or_b32_e32 v61, 0x10000, v62
	v_cmp_eq_u32_sdwa s[0:1], v62, v17 src0_sel:WORD_0 src1_sel:DWORD
	s_nop 1
	v_cndmask_b32_e64 v61, v61, v62, s[0:1]
; %bb.479:                              ;   in Loop: Header=BB369_203 Depth=1
	s_or_b64 exec, exec, s[8:9]
	v_lshlrev_b32_e32 v62, 16, v68
	v_mul_f32_e32 v63, v40, v62
	v_and_b32_e32 v62, 0x7f800000, v63
	v_cmp_ne_u32_e64 s[0:1], s13, v62
                                        ; implicit-def: $vgpr62
	s_and_saveexec_b64 s[8:9], s[0:1]
	s_xor_b64 s[0:1], exec, s[8:9]
; %bb.480:                              ;   in Loop: Header=BB369_203 Depth=1
	v_bfe_u32 v62, v63, 16, 1
	v_add3_u32 v62, v63, v62, s14
                                        ; implicit-def: $vgpr63
; %bb.481:                              ;   in Loop: Header=BB369_203 Depth=1
	s_andn2_saveexec_b64 s[8:9], s[0:1]
; %bb.482:                              ;   in Loop: Header=BB369_203 Depth=1
	v_or_b32_e32 v62, 0x10000, v63
	v_cmp_eq_u32_sdwa s[0:1], v63, v17 src0_sel:WORD_0 src1_sel:DWORD
	s_nop 1
	v_cndmask_b32_e64 v62, v62, v63, s[0:1]
; %bb.483:                              ;   in Loop: Header=BB369_203 Depth=1
	s_or_b64 exec, exec, s[8:9]
	v_lshlrev_b32_e32 v63, 16, v67
	v_mul_f32_e32 v67, v41, v63
	v_and_b32_e32 v63, 0x7f800000, v67
	v_cmp_ne_u32_e64 s[0:1], s13, v63
                                        ; implicit-def: $vgpr63
	s_and_saveexec_b64 s[8:9], s[0:1]
	s_xor_b64 s[0:1], exec, s[8:9]
; %bb.484:                              ;   in Loop: Header=BB369_203 Depth=1
	v_bfe_u32 v63, v67, 16, 1
	v_add3_u32 v63, v67, v63, s14
                                        ; implicit-def: $vgpr67
; %bb.485:                              ;   in Loop: Header=BB369_203 Depth=1
	s_andn2_saveexec_b64 s[8:9], s[0:1]
; %bb.486:                              ;   in Loop: Header=BB369_203 Depth=1
	v_or_b32_e32 v63, 0x10000, v67
	v_cmp_eq_u32_sdwa s[0:1], v67, v17 src0_sel:WORD_0 src1_sel:DWORD
	s_nop 1
	v_cndmask_b32_e64 v63, v63, v67, s[0:1]
; %bb.487:                              ;   in Loop: Header=BB369_203 Depth=1
	s_or_b64 exec, exec, s[8:9]
	v_lshlrev_b32_e32 v64, 16, v64
	v_mul_f32_e32 v67, v42, v64
	v_and_b32_e32 v64, 0x7f800000, v67
	v_cmp_ne_u32_e64 s[0:1], s13, v64
                                        ; implicit-def: $vgpr64
	s_and_saveexec_b64 s[8:9], s[0:1]
	s_xor_b64 s[0:1], exec, s[8:9]
; %bb.488:                              ;   in Loop: Header=BB369_203 Depth=1
	v_bfe_u32 v64, v67, 16, 1
	v_add3_u32 v64, v67, v64, s14
                                        ; implicit-def: $vgpr67
; %bb.489:                              ;   in Loop: Header=BB369_203 Depth=1
	s_andn2_saveexec_b64 s[8:9], s[0:1]
; %bb.490:                              ;   in Loop: Header=BB369_203 Depth=1
	v_or_b32_e32 v64, 0x10000, v67
	v_cmp_eq_u32_sdwa s[0:1], v67, v17 src0_sel:WORD_0 src1_sel:DWORD
	s_nop 1
	v_cndmask_b32_e64 v64, v64, v67, s[0:1]
; %bb.491:                              ;   in Loop: Header=BB369_203 Depth=1
	s_or_b64 exec, exec, s[8:9]
	v_lshlrev_b32_e32 v65, 16, v65
	v_mul_f32_e32 v67, v43, v65
	v_and_b32_e32 v65, 0x7f800000, v67
	v_cmp_ne_u32_e64 s[0:1], s13, v65
                                        ; implicit-def: $vgpr65
	s_and_saveexec_b64 s[8:9], s[0:1]
	s_xor_b64 s[0:1], exec, s[8:9]
; %bb.492:                              ;   in Loop: Header=BB369_203 Depth=1
	v_bfe_u32 v65, v67, 16, 1
	v_add3_u32 v65, v67, v65, s14
                                        ; implicit-def: $vgpr67
; %bb.493:                              ;   in Loop: Header=BB369_203 Depth=1
	s_andn2_saveexec_b64 s[8:9], s[0:1]
; %bb.494:                              ;   in Loop: Header=BB369_203 Depth=1
	v_or_b32_e32 v65, 0x10000, v67
	v_cmp_eq_u32_sdwa s[0:1], v67, v17 src0_sel:WORD_0 src1_sel:DWORD
	s_nop 1
	v_cndmask_b32_e64 v65, v65, v67, s[0:1]
; %bb.495:                              ;   in Loop: Header=BB369_203 Depth=1
	s_or_b64 exec, exec, s[8:9]
	v_lshlrev_b32_e32 v66, 16, v66
	v_mul_f32_e32 v67, v44, v66
	v_and_b32_e32 v66, 0x7f800000, v67
	v_cmp_ne_u32_e64 s[0:1], s13, v66
                                        ; implicit-def: $vgpr66
	s_and_saveexec_b64 s[8:9], s[0:1]
	s_xor_b64 s[0:1], exec, s[8:9]
; %bb.496:                              ;   in Loop: Header=BB369_203 Depth=1
	v_bfe_u32 v66, v67, 16, 1
	v_add3_u32 v66, v67, v66, s14
                                        ; implicit-def: $vgpr67
; %bb.497:                              ;   in Loop: Header=BB369_203 Depth=1
	s_andn2_saveexec_b64 s[8:9], s[0:1]
; %bb.498:                              ;   in Loop: Header=BB369_203 Depth=1
	v_or_b32_e32 v66, 0x10000, v67
	v_cmp_eq_u32_sdwa s[0:1], v67, v17 src0_sel:WORD_0 src1_sel:DWORD
	s_nop 1
	v_cndmask_b32_e64 v66, v66, v67, s[0:1]
; %bb.499:                              ;   in Loop: Header=BB369_203 Depth=1
	s_or_b64 exec, exec, s[8:9]
	global_load_dwordx2 v[2:3], v[2:3], off offset:2048
	s_waitcnt vmcnt(0)
	v_and_b32_e32 v67, 0xff, v2
	v_cvt_f32_fp8_sdwa v67, v67 src0_sel:BYTE_0
	s_nop 0
	v_mul_f32_e32 v68, s10, v67
	v_and_b32_e32 v67, 0x7f800000, v68
	v_cmp_ne_u32_e64 s[0:1], s13, v67
                                        ; implicit-def: $vgpr67
	s_and_saveexec_b64 s[8:9], s[0:1]
	s_xor_b64 s[0:1], exec, s[8:9]
; %bb.500:                              ;   in Loop: Header=BB369_203 Depth=1
	v_bfe_u32 v67, v68, 16, 1
	v_add3_u32 v67, v68, v67, s14
                                        ; implicit-def: $vgpr68
; %bb.501:                              ;   in Loop: Header=BB369_203 Depth=1
	s_andn2_saveexec_b64 s[8:9], s[0:1]
; %bb.502:                              ;   in Loop: Header=BB369_203 Depth=1
	v_or_b32_e32 v67, 0x10000, v68
	v_cmp_eq_u32_sdwa s[0:1], v68, v17 src0_sel:WORD_0 src1_sel:DWORD
	s_nop 1
	v_cndmask_b32_e64 v67, v67, v68, s[0:1]
; %bb.503:                              ;   in Loop: Header=BB369_203 Depth=1
	s_or_b64 exec, exec, s[8:9]
	v_bfe_u32 v68, v2, 8, 8
	v_cvt_f32_fp8_sdwa v68, v68 src0_sel:BYTE_0
	s_nop 0
	v_mul_f32_e32 v69, s10, v68
	v_and_b32_e32 v68, 0x7f800000, v69
	v_cmp_ne_u32_e64 s[0:1], s13, v68
                                        ; implicit-def: $vgpr68
	s_and_saveexec_b64 s[8:9], s[0:1]
	s_xor_b64 s[0:1], exec, s[8:9]
; %bb.504:                              ;   in Loop: Header=BB369_203 Depth=1
	v_bfe_u32 v68, v69, 16, 1
	v_add3_u32 v68, v69, v68, s14
                                        ; implicit-def: $vgpr69
; %bb.505:                              ;   in Loop: Header=BB369_203 Depth=1
	s_andn2_saveexec_b64 s[8:9], s[0:1]
; %bb.506:                              ;   in Loop: Header=BB369_203 Depth=1
	v_or_b32_e32 v68, 0x10000, v69
	v_cmp_eq_u32_sdwa s[0:1], v69, v17 src0_sel:WORD_0 src1_sel:DWORD
	s_nop 1
	v_cndmask_b32_e64 v68, v68, v69, s[0:1]
; %bb.507:                              ;   in Loop: Header=BB369_203 Depth=1
	s_or_b64 exec, exec, s[8:9]
	v_bfe_u32 v69, v2, 16, 8
	v_cvt_f32_fp8_sdwa v69, v69 src0_sel:BYTE_0
	s_nop 0
	v_mul_f32_e32 v69, s10, v69
	v_and_b32_e32 v70, 0x7f800000, v69
	v_cmp_ne_u32_e64 s[0:1], s13, v70
                                        ; implicit-def: $vgpr70
	s_and_saveexec_b64 s[8:9], s[0:1]
	s_xor_b64 s[0:1], exec, s[8:9]
; %bb.508:                              ;   in Loop: Header=BB369_203 Depth=1
	v_bfe_u32 v70, v69, 16, 1
	v_add3_u32 v70, v69, v70, s14
                                        ; implicit-def: $vgpr69
; %bb.509:                              ;   in Loop: Header=BB369_203 Depth=1
	s_andn2_saveexec_b64 s[8:9], s[0:1]
; %bb.510:                              ;   in Loop: Header=BB369_203 Depth=1
	v_or_b32_e32 v70, 0x10000, v69
	v_cmp_eq_u32_sdwa s[0:1], v69, v17 src0_sel:WORD_0 src1_sel:DWORD
	s_nop 1
	v_cndmask_b32_e64 v70, v70, v69, s[0:1]
; %bb.511:                              ;   in Loop: Header=BB369_203 Depth=1
	s_or_b64 exec, exec, s[8:9]
	v_lshrrev_b32_e32 v2, 24, v2
	v_cvt_f32_fp8_sdwa v2, v2 src0_sel:BYTE_0
	s_nop 0
	v_mul_f32_e32 v69, s10, v2
	v_and_b32_e32 v2, 0x7f800000, v69
	v_cmp_ne_u32_e64 s[0:1], s13, v2
                                        ; implicit-def: $vgpr2
	s_and_saveexec_b64 s[8:9], s[0:1]
	s_xor_b64 s[0:1], exec, s[8:9]
; %bb.512:                              ;   in Loop: Header=BB369_203 Depth=1
	v_bfe_u32 v2, v69, 16, 1
	v_add3_u32 v2, v69, v2, s14
                                        ; implicit-def: $vgpr69
; %bb.513:                              ;   in Loop: Header=BB369_203 Depth=1
	s_andn2_saveexec_b64 s[8:9], s[0:1]
; %bb.514:                              ;   in Loop: Header=BB369_203 Depth=1
	v_or_b32_e32 v2, 0x10000, v69
	v_cmp_eq_u32_sdwa s[0:1], v69, v17 src0_sel:WORD_0 src1_sel:DWORD
	s_nop 1
	v_cndmask_b32_e64 v2, v2, v69, s[0:1]
; %bb.515:                              ;   in Loop: Header=BB369_203 Depth=1
	s_or_b64 exec, exec, s[8:9]
	v_and_b32_e32 v69, 0xff, v3
	v_cvt_f32_fp8_sdwa v69, v69 src0_sel:BYTE_0
	s_nop 0
	v_mul_f32_e32 v69, s10, v69
	v_and_b32_e32 v71, 0x7f800000, v69
	v_cmp_ne_u32_e64 s[0:1], s13, v71
                                        ; implicit-def: $vgpr71
	s_and_saveexec_b64 s[8:9], s[0:1]
	s_xor_b64 s[0:1], exec, s[8:9]
; %bb.516:                              ;   in Loop: Header=BB369_203 Depth=1
	v_bfe_u32 v71, v69, 16, 1
	v_add3_u32 v71, v69, v71, s14
                                        ; implicit-def: $vgpr69
; %bb.517:                              ;   in Loop: Header=BB369_203 Depth=1
	s_andn2_saveexec_b64 s[8:9], s[0:1]
; %bb.518:                              ;   in Loop: Header=BB369_203 Depth=1
	v_or_b32_e32 v71, 0x10000, v69
	v_cmp_eq_u32_sdwa s[0:1], v69, v17 src0_sel:WORD_0 src1_sel:DWORD
	s_nop 1
	v_cndmask_b32_e64 v71, v71, v69, s[0:1]
; %bb.519:                              ;   in Loop: Header=BB369_203 Depth=1
	s_or_b64 exec, exec, s[8:9]
	v_bfe_u32 v69, v3, 8, 8
	v_cvt_f32_fp8_sdwa v69, v69 src0_sel:BYTE_0
	s_nop 0
	v_mul_f32_e32 v72, s10, v69
	v_and_b32_e32 v69, 0x7f800000, v72
	v_cmp_ne_u32_e64 s[0:1], s13, v69
                                        ; implicit-def: $vgpr69
	s_and_saveexec_b64 s[8:9], s[0:1]
	s_xor_b64 s[0:1], exec, s[8:9]
; %bb.520:                              ;   in Loop: Header=BB369_203 Depth=1
	v_bfe_u32 v69, v72, 16, 1
	v_add3_u32 v69, v72, v69, s14
                                        ; implicit-def: $vgpr72
; %bb.521:                              ;   in Loop: Header=BB369_203 Depth=1
	s_andn2_saveexec_b64 s[8:9], s[0:1]
; %bb.522:                              ;   in Loop: Header=BB369_203 Depth=1
	v_or_b32_e32 v69, 0x10000, v72
	v_cmp_eq_u32_sdwa s[0:1], v72, v17 src0_sel:WORD_0 src1_sel:DWORD
	s_nop 1
	v_cndmask_b32_e64 v69, v69, v72, s[0:1]
; %bb.523:                              ;   in Loop: Header=BB369_203 Depth=1
	s_or_b64 exec, exec, s[8:9]
	v_bfe_u32 v72, v3, 16, 8
	v_cvt_f32_fp8_sdwa v72, v72 src0_sel:BYTE_0
	s_nop 0
	v_mul_f32_e32 v72, s10, v72
	v_and_b32_e32 v73, 0x7f800000, v72
	v_cmp_ne_u32_e64 s[0:1], s13, v73
                                        ; implicit-def: $vgpr73
	s_and_saveexec_b64 s[8:9], s[0:1]
	s_xor_b64 s[0:1], exec, s[8:9]
; %bb.524:                              ;   in Loop: Header=BB369_203 Depth=1
	v_bfe_u32 v73, v72, 16, 1
	v_add3_u32 v73, v72, v73, s14
                                        ; implicit-def: $vgpr72
; %bb.525:                              ;   in Loop: Header=BB369_203 Depth=1
	s_andn2_saveexec_b64 s[8:9], s[0:1]
; %bb.526:                              ;   in Loop: Header=BB369_203 Depth=1
	v_or_b32_e32 v73, 0x10000, v72
	v_cmp_eq_u32_sdwa s[0:1], v72, v17 src0_sel:WORD_0 src1_sel:DWORD
	s_nop 1
	v_cndmask_b32_e64 v73, v73, v72, s[0:1]
; %bb.527:                              ;   in Loop: Header=BB369_203 Depth=1
	s_or_b64 exec, exec, s[8:9]
	v_lshrrev_b32_e32 v3, 24, v3
	v_cvt_f32_fp8_sdwa v3, v3 src0_sel:BYTE_0
                                        ; implicit-def: $vgpr74
	s_nop 0
	v_mul_f32_e32 v3, s10, v3
	v_and_b32_e32 v72, 0x7f800000, v3
	v_cmp_ne_u32_e64 s[0:1], s13, v72
	s_and_saveexec_b64 s[8:9], s[0:1]
	s_xor_b64 s[0:1], exec, s[8:9]
; %bb.528:                              ;   in Loop: Header=BB369_203 Depth=1
	v_bfe_u32 v72, v3, 16, 1
	v_add3_u32 v74, v3, v72, s14
                                        ; implicit-def: $vgpr3
; %bb.529:                              ;   in Loop: Header=BB369_203 Depth=1
	s_andn2_saveexec_b64 s[8:9], s[0:1]
; %bb.530:                              ;   in Loop: Header=BB369_203 Depth=1
	v_or_b32_e32 v72, 0x10000, v3
	v_cmp_eq_u32_sdwa s[0:1], v3, v17 src0_sel:WORD_0 src1_sel:DWORD
	s_nop 1
	v_cndmask_b32_e64 v74, v72, v3, s[0:1]
; %bb.531:                              ;   in Loop: Header=BB369_203 Depth=1
	s_or_b64 exec, exec, s[8:9]
	v_lshrrev_b32_e32 v69, 16, v69
	v_lshrrev_b32_e32 v71, 16, v71
	;; [unrolled: 1-line block ×8, first 2 shown]
	s_and_saveexec_b64 s[0:1], vcc
	s_cbranch_execz .LBB369_533
; %bb.532:                              ;   in Loop: Header=BB369_203 Depth=1
	v_cmp_gt_i32_e32 vcc, s33, v29
	s_nop 1
	v_cndmask_b32_e32 v2, 0, v2, vcc
	v_cmp_gt_i32_e32 vcc, s33, v35
	s_nop 1
	v_cndmask_b32_e32 v3, 0, v3, vcc
	;; [unrolled: 3-line block ×8, first 2 shown]
.LBB369_533:                            ;   in Loop: Header=BB369_203 Depth=1
	s_or_b64 exec, exec, s[0:1]
	v_lshlrev_b32_e32 v2, 16, v2
	v_mul_f32_e32 v29, v37, v2
	v_and_b32_e32 v2, 0x7f800000, v29
	v_cmp_ne_u32_e32 vcc, s13, v2
                                        ; implicit-def: $vgpr2
	s_and_saveexec_b64 s[0:1], vcc
	s_xor_b64 s[0:1], exec, s[0:1]
; %bb.534:                              ;   in Loop: Header=BB369_203 Depth=1
	v_bfe_u32 v2, v29, 16, 1
	v_add3_u32 v2, v29, v2, s14
                                        ; implicit-def: $vgpr29
; %bb.535:                              ;   in Loop: Header=BB369_203 Depth=1
	s_andn2_saveexec_b64 s[0:1], s[0:1]
; %bb.536:                              ;   in Loop: Header=BB369_203 Depth=1
	v_or_b32_e32 v2, 0x10000, v29
	v_cmp_eq_u32_sdwa vcc, v29, v17 src0_sel:WORD_0 src1_sel:DWORD
	s_nop 1
	v_cndmask_b32_e32 v2, v2, v29, vcc
; %bb.537:                              ;   in Loop: Header=BB369_203 Depth=1
	s_or_b64 exec, exec, s[0:1]
	v_lshlrev_b32_e32 v3, 16, v3
	v_mul_f32_e32 v29, v38, v3
	v_and_b32_e32 v3, 0x7f800000, v29
	v_cmp_ne_u32_e32 vcc, s13, v3
                                        ; implicit-def: $vgpr3
	s_and_saveexec_b64 s[0:1], vcc
	s_xor_b64 s[0:1], exec, s[0:1]
; %bb.538:                              ;   in Loop: Header=BB369_203 Depth=1
	v_bfe_u32 v3, v29, 16, 1
	v_add3_u32 v3, v29, v3, s14
                                        ; implicit-def: $vgpr29
; %bb.539:                              ;   in Loop: Header=BB369_203 Depth=1
	s_andn2_saveexec_b64 s[0:1], s[0:1]
; %bb.540:                              ;   in Loop: Header=BB369_203 Depth=1
	v_or_b32_e32 v3, 0x10000, v29
	v_cmp_eq_u32_sdwa vcc, v29, v17 src0_sel:WORD_0 src1_sel:DWORD
	s_nop 1
	v_cndmask_b32_e32 v3, v3, v29, vcc
; %bb.541:                              ;   in Loop: Header=BB369_203 Depth=1
	s_or_b64 exec, exec, s[0:1]
	v_lshlrev_b32_e32 v29, 16, v70
	v_mul_f32_e32 v30, v39, v29
	v_and_b32_e32 v29, 0x7f800000, v30
	v_cmp_ne_u32_e32 vcc, s13, v29
                                        ; implicit-def: $vgpr29
	s_and_saveexec_b64 s[0:1], vcc
	s_xor_b64 s[0:1], exec, s[0:1]
; %bb.542:                              ;   in Loop: Header=BB369_203 Depth=1
	v_bfe_u32 v29, v30, 16, 1
	v_add3_u32 v29, v30, v29, s14
                                        ; implicit-def: $vgpr30
; %bb.543:                              ;   in Loop: Header=BB369_203 Depth=1
	s_andn2_saveexec_b64 s[0:1], s[0:1]
; %bb.544:                              ;   in Loop: Header=BB369_203 Depth=1
	v_or_b32_e32 v29, 0x10000, v30
	v_cmp_eq_u32_sdwa vcc, v30, v17 src0_sel:WORD_0 src1_sel:DWORD
	s_nop 1
	v_cndmask_b32_e32 v29, v29, v30, vcc
; %bb.545:                              ;   in Loop: Header=BB369_203 Depth=1
	s_or_b64 exec, exec, s[0:1]
	v_lshlrev_b32_e32 v30, 16, v72
	v_mul_f32_e32 v31, v40, v30
	v_and_b32_e32 v30, 0x7f800000, v31
	v_cmp_ne_u32_e32 vcc, s13, v30
                                        ; implicit-def: $vgpr30
	s_and_saveexec_b64 s[0:1], vcc
	s_xor_b64 s[0:1], exec, s[0:1]
; %bb.546:                              ;   in Loop: Header=BB369_203 Depth=1
	v_bfe_u32 v30, v31, 16, 1
	v_add3_u32 v30, v31, v30, s14
                                        ; implicit-def: $vgpr31
; %bb.547:                              ;   in Loop: Header=BB369_203 Depth=1
	s_andn2_saveexec_b64 s[0:1], s[0:1]
; %bb.548:                              ;   in Loop: Header=BB369_203 Depth=1
	v_or_b32_e32 v30, 0x10000, v31
	v_cmp_eq_u32_sdwa vcc, v31, v17 src0_sel:WORD_0 src1_sel:DWORD
	s_nop 1
	v_cndmask_b32_e32 v30, v30, v31, vcc
; %bb.549:                              ;   in Loop: Header=BB369_203 Depth=1
	s_or_b64 exec, exec, s[0:1]
	v_lshlrev_b32_e32 v31, 16, v71
	v_mul_f32_e32 v32, v41, v31
	v_and_b32_e32 v31, 0x7f800000, v32
	v_cmp_ne_u32_e32 vcc, s13, v31
                                        ; implicit-def: $vgpr31
	s_and_saveexec_b64 s[0:1], vcc
	s_xor_b64 s[0:1], exec, s[0:1]
; %bb.550:                              ;   in Loop: Header=BB369_203 Depth=1
	v_bfe_u32 v31, v32, 16, 1
	v_add3_u32 v31, v32, v31, s14
                                        ; implicit-def: $vgpr32
; %bb.551:                              ;   in Loop: Header=BB369_203 Depth=1
	s_andn2_saveexec_b64 s[0:1], s[0:1]
; %bb.552:                              ;   in Loop: Header=BB369_203 Depth=1
	v_or_b32_e32 v31, 0x10000, v32
	v_cmp_eq_u32_sdwa vcc, v32, v17 src0_sel:WORD_0 src1_sel:DWORD
	s_nop 1
	v_cndmask_b32_e32 v31, v31, v32, vcc
; %bb.553:                              ;   in Loop: Header=BB369_203 Depth=1
	s_or_b64 exec, exec, s[0:1]
	v_lshlrev_b32_e32 v32, 16, v69
	v_mul_f32_e32 v33, v42, v32
	v_and_b32_e32 v32, 0x7f800000, v33
	v_cmp_ne_u32_e32 vcc, s13, v32
                                        ; implicit-def: $vgpr32
	s_and_saveexec_b64 s[0:1], vcc
	s_xor_b64 s[0:1], exec, s[0:1]
; %bb.554:                              ;   in Loop: Header=BB369_203 Depth=1
	v_bfe_u32 v32, v33, 16, 1
	v_add3_u32 v32, v33, v32, s14
                                        ; implicit-def: $vgpr33
; %bb.555:                              ;   in Loop: Header=BB369_203 Depth=1
	s_andn2_saveexec_b64 s[0:1], s[0:1]
; %bb.556:                              ;   in Loop: Header=BB369_203 Depth=1
	v_or_b32_e32 v32, 0x10000, v33
	v_cmp_eq_u32_sdwa vcc, v33, v17 src0_sel:WORD_0 src1_sel:DWORD
	s_nop 1
	v_cndmask_b32_e32 v32, v32, v33, vcc
; %bb.557:                              ;   in Loop: Header=BB369_203 Depth=1
	s_or_b64 exec, exec, s[0:1]
	v_lshlrev_b32_e32 v33, 16, v68
	v_mul_f32_e32 v34, v43, v33
	v_and_b32_e32 v33, 0x7f800000, v34
	v_cmp_ne_u32_e32 vcc, s13, v33
                                        ; implicit-def: $vgpr33
	s_and_saveexec_b64 s[0:1], vcc
	s_xor_b64 s[0:1], exec, s[0:1]
; %bb.558:                              ;   in Loop: Header=BB369_203 Depth=1
	v_bfe_u32 v33, v34, 16, 1
	v_add3_u32 v33, v34, v33, s14
                                        ; implicit-def: $vgpr34
; %bb.559:                              ;   in Loop: Header=BB369_203 Depth=1
	s_andn2_saveexec_b64 s[0:1], s[0:1]
; %bb.560:                              ;   in Loop: Header=BB369_203 Depth=1
	v_or_b32_e32 v33, 0x10000, v34
	v_cmp_eq_u32_sdwa vcc, v34, v17 src0_sel:WORD_0 src1_sel:DWORD
	s_nop 1
	v_cndmask_b32_e32 v33, v33, v34, vcc
; %bb.561:                              ;   in Loop: Header=BB369_203 Depth=1
	s_or_b64 exec, exec, s[0:1]
	v_lshlrev_b32_e32 v34, 16, v67
	v_mul_f32_e32 v35, v44, v34
	v_and_b32_e32 v34, 0x7f800000, v35
	v_cmp_ne_u32_e32 vcc, s13, v34
                                        ; implicit-def: $vgpr34
	s_and_saveexec_b64 s[0:1], vcc
	s_xor_b64 s[0:1], exec, s[0:1]
; %bb.562:                              ;   in Loop: Header=BB369_203 Depth=1
	v_bfe_u32 v34, v35, 16, 1
	v_add3_u32 v34, v35, v34, s14
                                        ; implicit-def: $vgpr35
; %bb.563:                              ;   in Loop: Header=BB369_203 Depth=1
	s_andn2_saveexec_b64 s[0:1], s[0:1]
	s_cbranch_execz .LBB369_202
; %bb.564:                              ;   in Loop: Header=BB369_203 Depth=1
	v_or_b32_e32 v34, 0x10000, v35
	v_cmp_eq_u32_sdwa vcc, v35, v17 src0_sel:WORD_0 src1_sel:DWORD
	s_nop 1
	v_cndmask_b32_e32 v34, v34, v35, vcc
	s_branch .LBB369_202
.LBB369_565:
	s_or_b64 exec, exec, s[6:7]
.LBB369_566:
	s_or_b64 exec, exec, s[2:3]
	ds_bpermute_b32 v2, v22, v14
	ds_bpermute_b32 v3, v22, v15
	ds_bpermute_b32 v4, v22, v12
	ds_bpermute_b32 v5, v22, v13
	ds_bpermute_b32 v10, v22, v16
	s_waitcnt lgkmcnt(0)
	v_pk_add_f32 v[2:3], v[14:15], v[2:3]
	ds_bpermute_b32 v6, v23, v2
	v_pk_add_f32 v[4:5], v[12:13], v[4:5]
	ds_bpermute_b32 v7, v23, v3
	ds_bpermute_b32 v8, v23, v4
	;; [unrolled: 1-line block ×3, first 2 shown]
	v_add_f32_e32 v10, v16, v10
	ds_bpermute_b32 v11, v23, v10
	s_waitcnt lgkmcnt(3)
	v_pk_add_f32 v[6:7], v[2:3], v[6:7]
	s_barrier
	s_waitcnt lgkmcnt(1)
	v_pk_add_f32 v[2:3], v[4:5], v[8:9]
	v_and_b32_e32 v5, 0x3c3, v0
	s_waitcnt lgkmcnt(0)
	v_add_f32_e32 v4, v10, v11
	v_cmp_eq_u32_e32 vcc, 64, v5
	s_and_saveexec_b64 s[0:1], vcc
	s_cbranch_execz .LBB369_568
; %bb.567:
	v_add_u32_e32 v1, 0xb0, v1
	ds_write2_b32 v1, v6, v7 offset1:16
	ds_write2_b32 v1, v2, v3 offset0:32 offset1:48
	ds_write_b32 v1, v4 offset:256
.LBB369_568:
	s_or_b64 exec, exec, s[0:1]
	v_cmp_gt_u32_e32 vcc, 64, v0
	s_waitcnt lgkmcnt(0)
	s_barrier
	s_and_saveexec_b64 s[2:3], vcc
	s_cbranch_execz .LBB369_576
; %bb.569:
	v_cmp_eq_u32_e64 s[0:1], 0, v24
	v_lshrrev_b32_e32 v1, 2, v0
	s_and_saveexec_b64 s[6:7], s[0:1]
	s_cbranch_execnz .LBB369_600
; %bb.570:
	s_or_b64 exec, exec, s[6:7]
	s_and_saveexec_b64 s[6:7], s[0:1]
	s_cbranch_execnz .LBB369_601
.LBB369_571:
	s_or_b64 exec, exec, s[6:7]
	s_and_saveexec_b64 s[6:7], s[0:1]
	s_cbranch_execnz .LBB369_602
.LBB369_572:
	s_or_b64 exec, exec, s[6:7]
	s_and_saveexec_b64 s[6:7], s[0:1]
	s_cbranch_execnz .LBB369_603
.LBB369_573:
	s_or_b64 exec, exec, s[6:7]
	s_and_saveexec_b64 s[6:7], s[0:1]
	s_cbranch_execz .LBB369_575
.LBB369_574:
	v_mov_b32_e32 v5, 0xb0
	v_lshl_add_u32 v1, v1, 2, v5
	ds_read_b32 v1, v1 offset:256
	s_waitcnt lgkmcnt(0)
	v_add_f32_e32 v4, v4, v1
.LBB369_575:
	s_or_b64 exec, exec, s[6:7]
.LBB369_576:
	s_or_b64 exec, exec, s[2:3]
	s_barrier
	s_and_saveexec_b64 s[0:1], vcc
	s_cbranch_execz .LBB369_599
; %bb.577:
	v_cmp_eq_u32_e32 vcc, 0, v24
	s_and_b64 exec, exec, vcc
	s_cbranch_execz .LBB369_599
; %bb.578:
	s_mov_b32 s0, 0x7f800000
	v_and_b32_e32 v1, 0x7f800000, v6
	v_cmp_ne_u32_e32 vcc, s0, v1
                                        ; implicit-def: $vgpr5
	s_and_saveexec_b64 s[0:1], vcc
	s_xor_b64 s[0:1], exec, s[0:1]
; %bb.579:
	v_bfe_u32 v1, v6, 16, 1
	s_movk_i32 s2, 0x7fff
	v_add3_u32 v5, v6, v1, s2
; %bb.580:
	s_andn2_saveexec_b64 s[0:1], s[0:1]
; %bb.581:
	v_mov_b32_e32 v1, 0
	v_or_b32_e32 v5, 0x10000, v6
	v_cmp_eq_u32_sdwa vcc, v6, v1 src0_sel:WORD_0 src1_sel:DWORD
	s_nop 1
	v_cndmask_b32_e32 v5, v5, v6, vcc
; %bb.582:
	s_or_b64 exec, exec, s[0:1]
	s_mul_i32 s0, s12, s24
	s_mul_i32 s0, s0, s25
	s_mulk_i32 s0, 0x50
	s_ashr_i32 s1, s0, 31
	s_lshl_b64 s[0:1], s[0:1], 1
	s_add_u32 s2, s28, s0
	s_mul_i32 s0, s12, s26
	s_addc_u32 s3, s29, s1
	s_ashr_i32 s1, s0, 31
	s_lshl_b64 s[0:1], s[0:1], 1
	s_add_u32 s2, s2, s0
	s_mul_i32 s0, s4, 0x50
	s_addc_u32 s3, s3, s1
	s_ashr_i32 s1, s0, 31
	s_lshl_b64 s[0:1], s[0:1], 1
	s_add_u32 s0, s2, s0
	v_lshrrev_b32_e32 v0, 1, v0
	s_addc_u32 s1, s3, s1
	v_and_b32_e32 v0, 0x1fe, v0
	global_store_short_d16_hi v0, v5, s[0:1]
	s_mov_b32 s2, 0x7f800000
	v_and_b32_e32 v5, 0x7f800000, v7
	v_mov_b32_e32 v1, 0
	v_cmp_ne_u32_e32 vcc, s2, v5
                                        ; implicit-def: $vgpr5
	s_and_saveexec_b64 s[2:3], vcc
	s_xor_b64 s[2:3], exec, s[2:3]
; %bb.583:
	v_bfe_u32 v5, v7, 16, 1
	s_movk_i32 s4, 0x7fff
	v_add3_u32 v5, v7, v5, s4
; %bb.584:
	s_or_saveexec_b64 s[2:3], s[2:3]
	v_lshl_add_u64 v[8:9], s[0:1], 0, v[0:1]
	s_xor_b64 exec, exec, s[2:3]
; %bb.585:
	v_mov_b32_e32 v0, 0
	v_or_b32_e32 v1, 0x10000, v7
	v_cmp_eq_u32_sdwa vcc, v7, v0 src0_sel:WORD_0 src1_sel:DWORD
	s_nop 1
	v_cndmask_b32_e32 v5, v1, v7, vcc
; %bb.586:
	s_or_b64 exec, exec, s[2:3]
	s_mov_b32 s0, 0x7f800000
	v_and_b32_e32 v0, 0x7f800000, v2
	v_cmp_ne_u32_e32 vcc, s0, v0
	global_store_short_d16_hi v[8:9], v5, off offset:32
                                        ; implicit-def: $vgpr0
	s_and_saveexec_b64 s[0:1], vcc
	s_xor_b64 s[0:1], exec, s[0:1]
; %bb.587:
	v_bfe_u32 v0, v2, 16, 1
	s_movk_i32 s2, 0x7fff
	v_add3_u32 v0, v2, v0, s2
; %bb.588:
	s_andn2_saveexec_b64 s[0:1], s[0:1]
; %bb.589:
	v_mov_b32_e32 v0, 0
	v_or_b32_e32 v1, 0x10000, v2
	v_cmp_eq_u32_sdwa vcc, v2, v0 src0_sel:WORD_0 src1_sel:DWORD
	s_nop 1
	v_cndmask_b32_e32 v0, v1, v2, vcc
; %bb.590:
	s_or_b64 exec, exec, s[0:1]
	global_store_short_d16_hi v[8:9], v0, off offset:64
	s_mov_b32 s0, 0x7f800000
	v_and_b32_e32 v0, 0x7f800000, v3
	v_cmp_ne_u32_e32 vcc, s0, v0
                                        ; implicit-def: $vgpr0
	s_and_saveexec_b64 s[0:1], vcc
	s_xor_b64 s[0:1], exec, s[0:1]
; %bb.591:
	v_bfe_u32 v0, v3, 16, 1
	s_movk_i32 s2, 0x7fff
	v_add3_u32 v0, v3, v0, s2
; %bb.592:
	s_andn2_saveexec_b64 s[0:1], s[0:1]
; %bb.593:
	v_mov_b32_e32 v0, 0
	v_or_b32_e32 v1, 0x10000, v3
	v_cmp_eq_u32_sdwa vcc, v3, v0 src0_sel:WORD_0 src1_sel:DWORD
	s_nop 1
	v_cndmask_b32_e32 v0, v1, v3, vcc
; %bb.594:
	s_or_b64 exec, exec, s[0:1]
	global_store_short_d16_hi v[8:9], v0, off offset:96
	s_mov_b32 s0, 0x7f800000
	v_and_b32_e32 v0, 0x7f800000, v4
	v_cmp_ne_u32_e32 vcc, s0, v0
                                        ; implicit-def: $vgpr5
	s_and_saveexec_b64 s[0:1], vcc
	s_xor_b64 s[0:1], exec, s[0:1]
; %bb.595:
	v_bfe_u32 v0, v4, 16, 1
	s_movk_i32 s2, 0x7fff
	v_add3_u32 v5, v4, v0, s2
                                        ; implicit-def: $vgpr0_vgpr1_vgpr2_vgpr3_vgpr4
; %bb.596:
	s_andn2_saveexec_b64 s[0:1], s[0:1]
; %bb.597:
	v_mov_b32_e32 v0, 0
	v_or_b32_e32 v1, 0x10000, v4
	v_cmp_eq_u32_sdwa vcc, v4, v0 src0_sel:WORD_0 src1_sel:DWORD
	s_nop 1
	v_cndmask_b32_e32 v5, v1, v4, vcc
; %bb.598:
	s_or_b64 exec, exec, s[0:1]
	global_store_short_d16_hi v[8:9], v5, off offset:128
.LBB369_599:
	s_endpgm
.LBB369_600:
	v_mov_b32_e32 v5, 0xb0
	v_lshl_add_u32 v5, v1, 2, v5
	ds_read_b32 v5, v5
	s_waitcnt lgkmcnt(0)
	v_add_f32_e32 v6, v6, v5
	s_or_b64 exec, exec, s[6:7]
	s_and_saveexec_b64 s[6:7], s[0:1]
	s_cbranch_execz .LBB369_571
.LBB369_601:
	v_mov_b32_e32 v5, 0xb0
	v_lshl_add_u32 v5, v1, 2, v5
	ds_read_b32 v5, v5 offset:64
	s_waitcnt lgkmcnt(0)
	v_add_f32_e32 v7, v7, v5
	s_or_b64 exec, exec, s[6:7]
	s_and_saveexec_b64 s[6:7], s[0:1]
	s_cbranch_execz .LBB369_572
.LBB369_602:
	v_mov_b32_e32 v5, 0xb0
	v_lshl_add_u32 v5, v1, 2, v5
	ds_read_b32 v5, v5 offset:128
	s_waitcnt lgkmcnt(0)
	v_add_f32_e32 v2, v2, v5
	s_or_b64 exec, exec, s[6:7]
	s_and_saveexec_b64 s[6:7], s[0:1]
	s_cbranch_execz .LBB369_573
.LBB369_603:
	v_mov_b32_e32 v5, 0xb0
	v_lshl_add_u32 v5, v1, 2, v5
	ds_read_b32 v5, v5 offset:192
	s_waitcnt lgkmcnt(0)
	v_add_f32_e32 v3, v3, v5
	s_or_b64 exec, exec, s[6:7]
	s_and_saveexec_b64 s[6:7], s[0:1]
	s_cbranch_execnz .LBB369_574
	s_branch .LBB369_575
	.section	.rodata,"a",@progbits
	.p2align	6, 0x0
	.amdhsa_kernel _ZN4vllm25paged_attention_v2_kernelI14__hip_bfloat16hLi80ELi32ELi128ELNS_18Fp8KVCacheDataTypeE1ELb0ELi512EEEvPfS3_PT_PKS4_PKT0_SA_ifPKiSC_iPKfiiiSE_SE_iiiii
		.amdhsa_group_segment_fixed_size 176
		.amdhsa_private_segment_fixed_size 0
		.amdhsa_kernarg_size 400
		.amdhsa_user_sgpr_count 2
		.amdhsa_user_sgpr_dispatch_ptr 0
		.amdhsa_user_sgpr_queue_ptr 0
		.amdhsa_user_sgpr_kernarg_segment_ptr 1
		.amdhsa_user_sgpr_dispatch_id 0
		.amdhsa_user_sgpr_kernarg_preload_length 0
		.amdhsa_user_sgpr_kernarg_preload_offset 0
		.amdhsa_user_sgpr_private_segment_size 0
		.amdhsa_uses_dynamic_stack 0
		.amdhsa_enable_private_segment 0
		.amdhsa_system_sgpr_workgroup_id_x 1
		.amdhsa_system_sgpr_workgroup_id_y 1
		.amdhsa_system_sgpr_workgroup_id_z 1
		.amdhsa_system_sgpr_workgroup_info 0
		.amdhsa_system_vgpr_workitem_id 0
		.amdhsa_next_free_vgpr 99
		.amdhsa_next_free_sgpr 47
		.amdhsa_accum_offset 100
		.amdhsa_reserve_vcc 1
		.amdhsa_float_round_mode_32 0
		.amdhsa_float_round_mode_16_64 0
		.amdhsa_float_denorm_mode_32 3
		.amdhsa_float_denorm_mode_16_64 3
		.amdhsa_dx10_clamp 1
		.amdhsa_ieee_mode 1
		.amdhsa_fp16_overflow 0
		.amdhsa_tg_split 0
		.amdhsa_exception_fp_ieee_invalid_op 0
		.amdhsa_exception_fp_denorm_src 0
		.amdhsa_exception_fp_ieee_div_zero 0
		.amdhsa_exception_fp_ieee_overflow 0
		.amdhsa_exception_fp_ieee_underflow 0
		.amdhsa_exception_fp_ieee_inexact 0
		.amdhsa_exception_int_div_zero 0
	.end_amdhsa_kernel
	.section	.text._ZN4vllm25paged_attention_v2_kernelI14__hip_bfloat16hLi80ELi32ELi128ELNS_18Fp8KVCacheDataTypeE1ELb0ELi512EEEvPfS3_PT_PKS4_PKT0_SA_ifPKiSC_iPKfiiiSE_SE_iiiii,"axG",@progbits,_ZN4vllm25paged_attention_v2_kernelI14__hip_bfloat16hLi80ELi32ELi128ELNS_18Fp8KVCacheDataTypeE1ELb0ELi512EEEvPfS3_PT_PKS4_PKT0_SA_ifPKiSC_iPKfiiiSE_SE_iiiii,comdat
.Lfunc_end369:
	.size	_ZN4vllm25paged_attention_v2_kernelI14__hip_bfloat16hLi80ELi32ELi128ELNS_18Fp8KVCacheDataTypeE1ELb0ELi512EEEvPfS3_PT_PKS4_PKT0_SA_ifPKiSC_iPKfiiiSE_SE_iiiii, .Lfunc_end369-_ZN4vllm25paged_attention_v2_kernelI14__hip_bfloat16hLi80ELi32ELi128ELNS_18Fp8KVCacheDataTypeE1ELb0ELi512EEEvPfS3_PT_PKS4_PKT0_SA_ifPKiSC_iPKfiiiSE_SE_iiiii
                                        ; -- End function
	.section	.AMDGPU.csdata,"",@progbits
; Kernel info:
; codeLenInByte = 18084
; NumSgprs: 53
; NumVgprs: 99
; NumAgprs: 0
; TotalNumVgprs: 99
; ScratchSize: 0
; MemoryBound: 0
; FloatMode: 240
; IeeeMode: 1
; LDSByteSize: 176 bytes/workgroup (compile time only)
; SGPRBlocks: 6
; VGPRBlocks: 12
; NumSGPRsForWavesPerEU: 53
; NumVGPRsForWavesPerEU: 99
; AccumOffset: 100
; Occupancy: 4
; WaveLimiterHint : 1
; COMPUTE_PGM_RSRC2:SCRATCH_EN: 0
; COMPUTE_PGM_RSRC2:USER_SGPR: 2
; COMPUTE_PGM_RSRC2:TRAP_HANDLER: 0
; COMPUTE_PGM_RSRC2:TGID_X_EN: 1
; COMPUTE_PGM_RSRC2:TGID_Y_EN: 1
; COMPUTE_PGM_RSRC2:TGID_Z_EN: 1
; COMPUTE_PGM_RSRC2:TIDIG_COMP_CNT: 0
; COMPUTE_PGM_RSRC3_GFX90A:ACCUM_OFFSET: 24
; COMPUTE_PGM_RSRC3_GFX90A:TG_SPLIT: 0
	.section	.text._ZN4vllm25paged_attention_v2_kernelI14__hip_bfloat16hLi96ELi32ELi128ELNS_18Fp8KVCacheDataTypeE1ELb0ELi512EEEvPfS3_PT_PKS4_PKT0_SA_ifPKiSC_iPKfiiiSE_SE_iiiii,"axG",@progbits,_ZN4vllm25paged_attention_v2_kernelI14__hip_bfloat16hLi96ELi32ELi128ELNS_18Fp8KVCacheDataTypeE1ELb0ELi512EEEvPfS3_PT_PKS4_PKT0_SA_ifPKiSC_iPKfiiiSE_SE_iiiii,comdat
	.protected	_ZN4vllm25paged_attention_v2_kernelI14__hip_bfloat16hLi96ELi32ELi128ELNS_18Fp8KVCacheDataTypeE1ELb0ELi512EEEvPfS3_PT_PKS4_PKT0_SA_ifPKiSC_iPKfiiiSE_SE_iiiii ; -- Begin function _ZN4vllm25paged_attention_v2_kernelI14__hip_bfloat16hLi96ELi32ELi128ELNS_18Fp8KVCacheDataTypeE1ELb0ELi512EEEvPfS3_PT_PKS4_PKT0_SA_ifPKiSC_iPKfiiiSE_SE_iiiii
	.globl	_ZN4vllm25paged_attention_v2_kernelI14__hip_bfloat16hLi96ELi32ELi128ELNS_18Fp8KVCacheDataTypeE1ELb0ELi512EEEvPfS3_PT_PKS4_PKT0_SA_ifPKiSC_iPKfiiiSE_SE_iiiii
	.p2align	8
	.type	_ZN4vllm25paged_attention_v2_kernelI14__hip_bfloat16hLi96ELi32ELi128ELNS_18Fp8KVCacheDataTypeE1ELb0ELi512EEEvPfS3_PT_PKS4_PKT0_SA_ifPKiSC_iPKfiiiSE_SE_iiiii,@function
_ZN4vllm25paged_attention_v2_kernelI14__hip_bfloat16hLi96ELi32ELi128ELNS_18Fp8KVCacheDataTypeE1ELb0ELi512EEEvPfS3_PT_PKS4_PKT0_SA_ifPKiSC_iPKfiiiSE_SE_iiiii: ; @_ZN4vllm25paged_attention_v2_kernelI14__hip_bfloat16hLi96ELi32ELi128ELNS_18Fp8KVCacheDataTypeE1ELb0ELi512EEEvPfS3_PT_PKS4_PKT0_SA_ifPKiSC_iPKfiiiSE_SE_iiiii
; %bb.0:
	s_load_dwordx2 s[6:7], s[0:1], 0x40
	s_mov_b32 s24, s3
	s_ashr_i32 s25, s3, 31
	s_lshl_b64 s[8:9], s[24:25], 2
	s_waitcnt lgkmcnt(0)
	s_add_u32 s6, s6, s8
	s_addc_u32 s7, s7, s9
	s_load_dword s33, s[6:7], 0x0
	s_lshl_b32 s40, s4, 9
	s_waitcnt lgkmcnt(0)
	s_cmp_ge_i32 s40, s33
	s_cbranch_scc1 .LBB370_702
; %bb.1:
	s_load_dword s25, s[0:1], 0x90
	s_load_dwordx2 s[10:11], s[0:1], 0x30
	s_waitcnt lgkmcnt(0)
	s_abs_i32 s6, s25
	s_abs_i32 s3, s10
	v_cvt_f32_u32_e32 v1, s3
	s_sub_i32 s7, 0, s3
	s_xor_b32 s5, s25, s10
	s_ashr_i32 s5, s5, 31
	v_rcp_iflag_f32_e32 v1, v1
	s_nop 0
	v_mul_f32_e32 v1, 0x4f7ffffe, v1
	v_cvt_u32_f32_e32 v1, v1
	s_nop 0
	v_readfirstlane_b32 s8, v1
	s_mul_i32 s7, s7, s8
	s_mul_hi_u32 s7, s8, s7
	s_add_i32 s8, s8, s7
	s_mul_hi_u32 s7, s6, s8
	s_mul_i32 s8, s7, s3
	s_sub_i32 s6, s6, s8
	s_add_i32 s9, s7, 1
	s_sub_i32 s8, s6, s3
	s_cmp_ge_u32 s6, s3
	s_cselect_b32 s7, s9, s7
	s_cselect_b32 s6, s8, s6
	s_add_i32 s8, s7, 1
	s_cmp_ge_u32 s6, s3
	s_cselect_b32 s3, s8, s7
	s_xor_b32 s3, s3, s5
	s_sub_i32 s12, s3, s5
	s_abs_i32 s8, s12
	v_cvt_f32_u32_e32 v1, s8
	s_load_dwordx2 s[6:7], s[0:1], 0x50
	s_sub_i32 s3, 0, s8
	s_abs_i32 s9, s2
	v_rcp_iflag_f32_e32 v1, v1
	s_mov_b32 s5, 0
	v_mul_f32_e32 v1, 0x4f7ffffe, v1
	v_cvt_u32_f32_e32 v1, v1
	s_nop 0
	v_readfirstlane_b32 s10, v1
	s_mul_i32 s3, s3, s10
	s_mul_hi_u32 s3, s10, s3
	s_add_i32 s10, s10, s3
	s_waitcnt lgkmcnt(0)
	s_cmp_eq_u64 s[6:7], 0
	s_mul_hi_u32 s10, s9, s10
	s_cbranch_scc1 .LBB370_3
; %bb.2:
	s_ashr_i32 s3, s2, 31
	s_lshl_b64 s[14:15], s[2:3], 2
	s_add_u32 s6, s6, s14
	s_addc_u32 s7, s7, s15
	s_load_dword s5, s[6:7], 0x0
.LBB370_3:
	s_ashr_i32 s17, s12, 31
	s_load_dwordx4 s[12:15], s[0:1], 0x58
	s_ashr_i32 s16, s2, 31
	v_and_b32_e32 v6, 1, v0
	s_movk_i32 s3, 0x60
	s_mul_i32 s26, s2, 0x60
	v_cmp_gt_u32_e32 vcc, 24, v0
	v_lshlrev_b32_e32 v18, 3, v0
	s_and_saveexec_b64 s[6:7], vcc
	s_cbranch_execz .LBB370_5
; %bb.4:
	s_load_dwordx2 s[18:19], s[0:1], 0x18
	s_waitcnt lgkmcnt(0)
	s_mul_i32 s20, s24, s12
	s_ashr_i32 s21, s20, 31
	s_lshl_b64 s[20:21], s[20:21], 1
	v_lshlrev_b32_e32 v1, 2, v0
	s_add_u32 s12, s18, s20
	s_addc_u32 s15, s19, s21
	s_ashr_i32 s27, s26, 31
	s_lshl_b64 s[18:19], s[26:27], 1
	s_add_u32 s18, s12, s18
	s_addc_u32 s19, s15, s19
	global_load_dwordx2 v[2:3], v18, s[18:19]
	v_and_b32_e32 v1, 0xff8, v1
	v_mad_u32_u24 v1, v6, s3, v1
	s_waitcnt vmcnt(0)
	ds_write_b64 v1, v[2:3]
.LBB370_5:
	s_or_b64 exec, exec, s[6:7]
	s_add_i32 s3, s33, 31
	s_ashr_i32 s6, s3, 31
	s_lshr_b32 s6, s6, 27
	s_add_i32 s3, s3, s6
	s_ashr_i32 s41, s3, 5
	s_lshl_b32 s3, s4, 4
	s_mul_i32 s7, s10, s8
	s_add_i32 s6, s3, 16
	s_sub_i32 s7, s9, s7
	s_min_i32 s27, s6, s41
	s_xor_b32 s6, s16, s17
	s_add_i32 s9, s10, 1
	s_waitcnt lgkmcnt(0)
	s_sub_i32 s12, s7, s8
	s_cmp_ge_u32 s7, s8
	s_cselect_b32 s9, s9, s10
	s_cselect_b32 s7, s12, s7
	s_add_i32 s10, s9, 1
	s_cmp_ge_u32 s7, s8
	s_load_dwordx2 s[30:31], s[0:1], 0x38
	s_load_dword s8, s[0:1], 0x48
	v_lshrrev_b32_e32 v22, 6, v0
	s_cselect_b32 s7, s10, s9
	s_xor_b32 s7, s7, s6
	v_or_b32_e32 v10, s3, v22
	s_waitcnt lgkmcnt(0)
	s_mul_i32 s34, s24, s8
	s_sub_i32 s42, s7, s6
	s_ashr_i32 s35, s34, 31
	v_cmp_gt_i32_e64 s[8:9], s27, v10
	v_cmp_le_i32_e32 vcc, s27, v10
	v_mbcnt_lo_u32_b32 v7, -1, 0
	s_barrier
	s_waitcnt lgkmcnt(0)
                                        ; implicit-def: $sgpr10
                                        ; implicit-def: $vgpr12
                                        ; implicit-def: $vgpr13
	s_and_saveexec_b64 s[6:7], vcc
	s_xor_b64 s[6:7], exec, s[6:7]
; %bb.6:
	v_mbcnt_hi_u32_b32 v12, -1, v7
	v_and_b32_e32 v1, 64, v12
	v_add_u32_e32 v13, 64, v1
	s_mov_b32 s10, 0xff7fffff
                                        ; implicit-def: $vgpr6
                                        ; implicit-def: $vgpr7
; %bb.7:
	s_or_saveexec_b64 s[38:39], s[6:7]
	s_load_dwordx4 s[20:23], s[0:1], 0x0
	s_load_dwordx2 s[28:29], s[0:1], 0x10
	s_load_dword s12, s[0:1], 0x98
	s_load_dwordx2 s[36:37], s[0:1], 0x28
	s_load_dwordx4 s[16:19], s[0:1], 0x68
	v_mov_b32_e32 v63, s10
	s_mul_i32 s42, s42, s14
	v_ashrrev_i32_e32 v11, 31, v10
	s_xor_b64 exec, exec, s[38:39]
	s_cbranch_execz .LBB370_205
; %bb.8:
	s_load_dwordx2 s[0:1], s[0:1], 0x20
	s_ashr_i32 s6, s42, 31
	v_bfe_u32 v8, v0, 1, 5
	v_lshlrev_b32_e32 v2, 4, v8
	v_mul_u32_u24_e32 v4, 0x60, v6
	s_waitcnt lgkmcnt(0)
	s_add_u32 s0, s0, s42
	s_addc_u32 s1, s1, s6
	v_mov_b32_e32 v3, 0
	v_mbcnt_hi_u32_b32 v12, -1, v7
	ds_read_b128 v[24:27], v4
	ds_read_b128 v[28:31], v4 offset:16
	ds_read_b128 v[36:39], v4 offset:32
	;; [unrolled: 1-line block ×5, first 2 shown]
	v_lshl_add_u64 v[4:5], s[0:1], 0, v[2:3]
	v_lshlrev_b32_e32 v2, 2, v6
	v_cmp_eq_u32_e32 vcc, 0, v6
	v_and_b32_e32 v6, 64, v12
	v_xor_b32_e32 v7, 1, v12
	v_add_u32_e32 v13, 64, v6
	v_cmp_lt_i32_e64 s[0:1], v7, v13
	s_load_dword s43, s[16:17], 0x0
	s_sub_i32 s44, 1, s33
	v_cndmask_b32_e64 v6, v12, v7, s[0:1]
	v_lshlrev_b32_e32 v64, 2, v6
	v_lshlrev_b32_e32 v6, 5, v22
	s_lshl_b64 s[0:1], s[34:35], 2
	v_add3_u32 v65, s40, v6, v8
	v_lshlrev_b32_e32 v6, 2, v8
	s_add_u32 s0, s30, s0
	v_lshl_or_b32 v6, v22, 7, v6
	s_addc_u32 s1, s31, s1
	s_mov_b32 s10, s13
	s_waitcnt lgkmcnt(0)
	v_lshlrev_b32_e32 v1, 16, v24
	v_and_b32_e32 v14, 0xffff0000, v24
	v_lshlrev_b32_e32 v15, 16, v25
	v_and_b32_e32 v16, 0xffff0000, v25
	;; [unrolled: 2-line block ×24, first 2 shown]
	v_cmp_neq_f32_e64 s[6:7], s5, 0
	v_add_u32_e32 v66, 0xd0, v6
	s_mov_b64 s[14:15], 0
	s_mov_b32 s45, 0x7f800000
	s_movk_i32 s46, 0x7fff
	v_mov_b32_e32 v63, 0xff7fffff
	v_mov_b32_e32 v67, v10
	v_lshl_add_u64 v[6:7], v[10:11], 2, s[0:1]
	s_branch .LBB370_10
.LBB370_9:                              ;   in Loop: Header=BB370_10 Depth=1
	s_or_b64 exec, exec, s[16:17]
	v_add_u32_e32 v67, 2, v67
	v_cmp_le_i32_e64 s[0:1], s27, v67
	v_add_u32_e32 v65, 64, v65
	v_add_u32_e32 v66, 0x100, v66
	s_or_b64 s[14:15], s[0:1], s[14:15]
	v_lshl_add_u64 v[6:7], v[6:7], 0, 8
	s_andn2_b64 exec, exec, s[14:15]
	s_cbranch_execz .LBB370_204
.LBB370_10:                             ; =>This Inner Loop Header: Depth=1
	global_load_dword v8, v[6:7], off
	s_waitcnt vmcnt(0) lgkmcnt(0)
	v_mad_i64_i32 v[8:9], s[0:1], v8, s10, v[4:5]
	v_lshl_add_u64 v[8:9], v[8:9], 0, v[2:3]
	global_load_dword v71, v[8:9], off
	s_waitcnt vmcnt(0)
	v_and_b32_e32 v68, 0xff, v71
	v_cvt_f32_fp8_sdwa v68, v68 src0_sel:BYTE_0
	s_nop 0
	v_mul_f32_e32 v69, s43, v68
	v_and_b32_e32 v68, 0x7f800000, v69
	v_cmp_ne_u32_e64 s[0:1], s45, v68
                                        ; implicit-def: $vgpr68
	s_and_saveexec_b64 s[16:17], s[0:1]
	s_xor_b64 s[0:1], exec, s[16:17]
; %bb.11:                               ;   in Loop: Header=BB370_10 Depth=1
	v_bfe_u32 v68, v69, 16, 1
	v_add3_u32 v68, v69, v68, s46
                                        ; implicit-def: $vgpr69
; %bb.12:                               ;   in Loop: Header=BB370_10 Depth=1
	s_andn2_saveexec_b64 s[16:17], s[0:1]
; %bb.13:                               ;   in Loop: Header=BB370_10 Depth=1
	v_or_b32_e32 v68, 0x10000, v69
	v_cmp_eq_u32_sdwa s[0:1], v69, v3 src0_sel:WORD_0 src1_sel:DWORD
	s_nop 1
	v_cndmask_b32_e64 v68, v68, v69, s[0:1]
; %bb.14:                               ;   in Loop: Header=BB370_10 Depth=1
	s_or_b64 exec, exec, s[16:17]
	v_bfe_u32 v69, v71, 8, 8
	v_cvt_f32_fp8_sdwa v69, v69 src0_sel:BYTE_0
	s_nop 0
	v_mul_f32_e32 v70, s43, v69
	v_and_b32_e32 v69, 0x7f800000, v70
	v_cmp_ne_u32_e64 s[0:1], s45, v69
                                        ; implicit-def: $vgpr69
	s_and_saveexec_b64 s[16:17], s[0:1]
	s_xor_b64 s[0:1], exec, s[16:17]
; %bb.15:                               ;   in Loop: Header=BB370_10 Depth=1
	v_bfe_u32 v69, v70, 16, 1
	v_add3_u32 v69, v70, v69, s46
                                        ; implicit-def: $vgpr70
; %bb.16:                               ;   in Loop: Header=BB370_10 Depth=1
	s_andn2_saveexec_b64 s[16:17], s[0:1]
; %bb.17:                               ;   in Loop: Header=BB370_10 Depth=1
	v_or_b32_e32 v69, 0x10000, v70
	v_cmp_eq_u32_sdwa s[0:1], v70, v3 src0_sel:WORD_0 src1_sel:DWORD
	s_nop 1
	v_cndmask_b32_e64 v69, v69, v70, s[0:1]
; %bb.18:                               ;   in Loop: Header=BB370_10 Depth=1
	s_or_b64 exec, exec, s[16:17]
	v_bfe_u32 v70, v71, 16, 8
	v_cvt_f32_fp8_sdwa v70, v70 src0_sel:BYTE_0
	s_nop 0
	v_mul_f32_e32 v72, s43, v70
	v_and_b32_e32 v70, 0x7f800000, v72
	v_cmp_ne_u32_e64 s[0:1], s45, v70
                                        ; implicit-def: $vgpr70
	s_and_saveexec_b64 s[16:17], s[0:1]
	s_xor_b64 s[0:1], exec, s[16:17]
; %bb.19:                               ;   in Loop: Header=BB370_10 Depth=1
	v_bfe_u32 v70, v72, 16, 1
	v_add3_u32 v70, v72, v70, s46
                                        ; implicit-def: $vgpr72
; %bb.20:                               ;   in Loop: Header=BB370_10 Depth=1
	s_andn2_saveexec_b64 s[16:17], s[0:1]
; %bb.21:                               ;   in Loop: Header=BB370_10 Depth=1
	v_or_b32_e32 v70, 0x10000, v72
	v_cmp_eq_u32_sdwa s[0:1], v72, v3 src0_sel:WORD_0 src1_sel:DWORD
	s_nop 1
	v_cndmask_b32_e64 v70, v70, v72, s[0:1]
; %bb.22:                               ;   in Loop: Header=BB370_10 Depth=1
	s_or_b64 exec, exec, s[16:17]
	v_lshrrev_b32_e32 v71, 24, v71
	v_cvt_f32_fp8_sdwa v71, v71 src0_sel:BYTE_0
	s_nop 0
	v_mul_f32_e32 v72, s43, v71
	v_and_b32_e32 v71, 0x7f800000, v72
	v_cmp_ne_u32_e64 s[0:1], s45, v71
                                        ; implicit-def: $vgpr71
	s_and_saveexec_b64 s[16:17], s[0:1]
	s_xor_b64 s[0:1], exec, s[16:17]
; %bb.23:                               ;   in Loop: Header=BB370_10 Depth=1
	v_bfe_u32 v71, v72, 16, 1
	v_add3_u32 v71, v72, v71, s46
                                        ; implicit-def: $vgpr72
; %bb.24:                               ;   in Loop: Header=BB370_10 Depth=1
	s_andn2_saveexec_b64 s[16:17], s[0:1]
; %bb.25:                               ;   in Loop: Header=BB370_10 Depth=1
	v_or_b32_e32 v71, 0x10000, v72
	v_cmp_eq_u32_sdwa s[0:1], v72, v3 src0_sel:WORD_0 src1_sel:DWORD
	s_nop 1
	v_cndmask_b32_e64 v71, v71, v72, s[0:1]
; %bb.26:                               ;   in Loop: Header=BB370_10 Depth=1
	s_or_b64 exec, exec, s[16:17]
	global_load_dword v75, v[8:9], off offset:8
	s_waitcnt vmcnt(0)
	v_and_b32_e32 v72, 0xff, v75
	v_cvt_f32_fp8_sdwa v72, v72 src0_sel:BYTE_0
	s_nop 0
	v_mul_f32_e32 v73, s43, v72
	v_and_b32_e32 v72, 0x7f800000, v73
	v_cmp_ne_u32_e64 s[0:1], s45, v72
                                        ; implicit-def: $vgpr72
	s_and_saveexec_b64 s[16:17], s[0:1]
	s_xor_b64 s[0:1], exec, s[16:17]
; %bb.27:                               ;   in Loop: Header=BB370_10 Depth=1
	v_bfe_u32 v72, v73, 16, 1
	v_add3_u32 v72, v73, v72, s46
                                        ; implicit-def: $vgpr73
; %bb.28:                               ;   in Loop: Header=BB370_10 Depth=1
	s_andn2_saveexec_b64 s[16:17], s[0:1]
; %bb.29:                               ;   in Loop: Header=BB370_10 Depth=1
	v_or_b32_e32 v72, 0x10000, v73
	v_cmp_eq_u32_sdwa s[0:1], v73, v3 src0_sel:WORD_0 src1_sel:DWORD
	s_nop 1
	v_cndmask_b32_e64 v72, v72, v73, s[0:1]
; %bb.30:                               ;   in Loop: Header=BB370_10 Depth=1
	s_or_b64 exec, exec, s[16:17]
	v_bfe_u32 v73, v75, 8, 8
	v_cvt_f32_fp8_sdwa v73, v73 src0_sel:BYTE_0
	s_nop 0
	v_mul_f32_e32 v74, s43, v73
	v_and_b32_e32 v73, 0x7f800000, v74
	v_cmp_ne_u32_e64 s[0:1], s45, v73
                                        ; implicit-def: $vgpr73
	s_and_saveexec_b64 s[16:17], s[0:1]
	s_xor_b64 s[0:1], exec, s[16:17]
; %bb.31:                               ;   in Loop: Header=BB370_10 Depth=1
	v_bfe_u32 v73, v74, 16, 1
	v_add3_u32 v73, v74, v73, s46
                                        ; implicit-def: $vgpr74
; %bb.32:                               ;   in Loop: Header=BB370_10 Depth=1
	s_andn2_saveexec_b64 s[16:17], s[0:1]
; %bb.33:                               ;   in Loop: Header=BB370_10 Depth=1
	v_or_b32_e32 v73, 0x10000, v74
	v_cmp_eq_u32_sdwa s[0:1], v74, v3 src0_sel:WORD_0 src1_sel:DWORD
	s_nop 1
	v_cndmask_b32_e64 v73, v73, v74, s[0:1]
; %bb.34:                               ;   in Loop: Header=BB370_10 Depth=1
	s_or_b64 exec, exec, s[16:17]
	v_bfe_u32 v74, v75, 16, 8
	v_cvt_f32_fp8_sdwa v74, v74 src0_sel:BYTE_0
	s_nop 0
	v_mul_f32_e32 v76, s43, v74
	v_and_b32_e32 v74, 0x7f800000, v76
	v_cmp_ne_u32_e64 s[0:1], s45, v74
                                        ; implicit-def: $vgpr74
	s_and_saveexec_b64 s[16:17], s[0:1]
	s_xor_b64 s[0:1], exec, s[16:17]
; %bb.35:                               ;   in Loop: Header=BB370_10 Depth=1
	v_bfe_u32 v74, v76, 16, 1
	v_add3_u32 v74, v76, v74, s46
                                        ; implicit-def: $vgpr76
; %bb.36:                               ;   in Loop: Header=BB370_10 Depth=1
	s_andn2_saveexec_b64 s[16:17], s[0:1]
; %bb.37:                               ;   in Loop: Header=BB370_10 Depth=1
	v_or_b32_e32 v74, 0x10000, v76
	v_cmp_eq_u32_sdwa s[0:1], v76, v3 src0_sel:WORD_0 src1_sel:DWORD
	s_nop 1
	v_cndmask_b32_e64 v74, v74, v76, s[0:1]
; %bb.38:                               ;   in Loop: Header=BB370_10 Depth=1
	s_or_b64 exec, exec, s[16:17]
	v_lshrrev_b32_e32 v75, 24, v75
	v_cvt_f32_fp8_sdwa v75, v75 src0_sel:BYTE_0
	s_nop 0
	v_mul_f32_e32 v76, s43, v75
	v_and_b32_e32 v75, 0x7f800000, v76
	v_cmp_ne_u32_e64 s[0:1], s45, v75
                                        ; implicit-def: $vgpr75
	s_and_saveexec_b64 s[16:17], s[0:1]
	s_xor_b64 s[0:1], exec, s[16:17]
; %bb.39:                               ;   in Loop: Header=BB370_10 Depth=1
	v_bfe_u32 v75, v76, 16, 1
	v_add3_u32 v75, v76, v75, s46
                                        ; implicit-def: $vgpr76
; %bb.40:                               ;   in Loop: Header=BB370_10 Depth=1
	s_andn2_saveexec_b64 s[16:17], s[0:1]
; %bb.41:                               ;   in Loop: Header=BB370_10 Depth=1
	v_or_b32_e32 v75, 0x10000, v76
	v_cmp_eq_u32_sdwa s[0:1], v76, v3 src0_sel:WORD_0 src1_sel:DWORD
	s_nop 1
	v_cndmask_b32_e64 v75, v75, v76, s[0:1]
; %bb.42:                               ;   in Loop: Header=BB370_10 Depth=1
	s_or_b64 exec, exec, s[16:17]
	global_load_dword v79, v[8:9], off offset:512
	s_waitcnt vmcnt(0)
	v_and_b32_e32 v76, 0xff, v79
	v_cvt_f32_fp8_sdwa v76, v76 src0_sel:BYTE_0
	s_nop 0
	v_mul_f32_e32 v77, s43, v76
	v_and_b32_e32 v76, 0x7f800000, v77
	v_cmp_ne_u32_e64 s[0:1], s45, v76
                                        ; implicit-def: $vgpr76
	s_and_saveexec_b64 s[16:17], s[0:1]
	s_xor_b64 s[0:1], exec, s[16:17]
; %bb.43:                               ;   in Loop: Header=BB370_10 Depth=1
	v_bfe_u32 v76, v77, 16, 1
	v_add3_u32 v76, v77, v76, s46
                                        ; implicit-def: $vgpr77
; %bb.44:                               ;   in Loop: Header=BB370_10 Depth=1
	s_andn2_saveexec_b64 s[16:17], s[0:1]
; %bb.45:                               ;   in Loop: Header=BB370_10 Depth=1
	v_or_b32_e32 v76, 0x10000, v77
	v_cmp_eq_u32_sdwa s[0:1], v77, v3 src0_sel:WORD_0 src1_sel:DWORD
	s_nop 1
	v_cndmask_b32_e64 v76, v76, v77, s[0:1]
; %bb.46:                               ;   in Loop: Header=BB370_10 Depth=1
	s_or_b64 exec, exec, s[16:17]
	v_bfe_u32 v77, v79, 8, 8
	v_cvt_f32_fp8_sdwa v77, v77 src0_sel:BYTE_0
	s_nop 0
	v_mul_f32_e32 v78, s43, v77
	v_and_b32_e32 v77, 0x7f800000, v78
	v_cmp_ne_u32_e64 s[0:1], s45, v77
                                        ; implicit-def: $vgpr77
	s_and_saveexec_b64 s[16:17], s[0:1]
	s_xor_b64 s[0:1], exec, s[16:17]
; %bb.47:                               ;   in Loop: Header=BB370_10 Depth=1
	v_bfe_u32 v77, v78, 16, 1
	v_add3_u32 v77, v78, v77, s46
                                        ; implicit-def: $vgpr78
; %bb.48:                               ;   in Loop: Header=BB370_10 Depth=1
	s_andn2_saveexec_b64 s[16:17], s[0:1]
; %bb.49:                               ;   in Loop: Header=BB370_10 Depth=1
	v_or_b32_e32 v77, 0x10000, v78
	v_cmp_eq_u32_sdwa s[0:1], v78, v3 src0_sel:WORD_0 src1_sel:DWORD
	s_nop 1
	v_cndmask_b32_e64 v77, v77, v78, s[0:1]
; %bb.50:                               ;   in Loop: Header=BB370_10 Depth=1
	s_or_b64 exec, exec, s[16:17]
	v_bfe_u32 v78, v79, 16, 8
	v_cvt_f32_fp8_sdwa v78, v78 src0_sel:BYTE_0
	s_nop 0
	v_mul_f32_e32 v80, s43, v78
	v_and_b32_e32 v78, 0x7f800000, v80
	v_cmp_ne_u32_e64 s[0:1], s45, v78
                                        ; implicit-def: $vgpr78
	s_and_saveexec_b64 s[16:17], s[0:1]
	s_xor_b64 s[0:1], exec, s[16:17]
; %bb.51:                               ;   in Loop: Header=BB370_10 Depth=1
	v_bfe_u32 v78, v80, 16, 1
	v_add3_u32 v78, v80, v78, s46
                                        ; implicit-def: $vgpr80
; %bb.52:                               ;   in Loop: Header=BB370_10 Depth=1
	s_andn2_saveexec_b64 s[16:17], s[0:1]
; %bb.53:                               ;   in Loop: Header=BB370_10 Depth=1
	v_or_b32_e32 v78, 0x10000, v80
	v_cmp_eq_u32_sdwa s[0:1], v80, v3 src0_sel:WORD_0 src1_sel:DWORD
	s_nop 1
	v_cndmask_b32_e64 v78, v78, v80, s[0:1]
; %bb.54:                               ;   in Loop: Header=BB370_10 Depth=1
	s_or_b64 exec, exec, s[16:17]
	v_lshrrev_b32_e32 v79, 24, v79
	v_cvt_f32_fp8_sdwa v79, v79 src0_sel:BYTE_0
	s_nop 0
	v_mul_f32_e32 v80, s43, v79
	v_and_b32_e32 v79, 0x7f800000, v80
	v_cmp_ne_u32_e64 s[0:1], s45, v79
                                        ; implicit-def: $vgpr79
	s_and_saveexec_b64 s[16:17], s[0:1]
	s_xor_b64 s[0:1], exec, s[16:17]
; %bb.55:                               ;   in Loop: Header=BB370_10 Depth=1
	v_bfe_u32 v79, v80, 16, 1
	v_add3_u32 v79, v80, v79, s46
                                        ; implicit-def: $vgpr80
; %bb.56:                               ;   in Loop: Header=BB370_10 Depth=1
	s_andn2_saveexec_b64 s[16:17], s[0:1]
; %bb.57:                               ;   in Loop: Header=BB370_10 Depth=1
	v_or_b32_e32 v79, 0x10000, v80
	v_cmp_eq_u32_sdwa s[0:1], v80, v3 src0_sel:WORD_0 src1_sel:DWORD
	s_nop 1
	v_cndmask_b32_e64 v79, v79, v80, s[0:1]
; %bb.58:                               ;   in Loop: Header=BB370_10 Depth=1
	s_or_b64 exec, exec, s[16:17]
	global_load_dword v83, v[8:9], off offset:520
	s_waitcnt vmcnt(0)
	v_and_b32_e32 v80, 0xff, v83
	v_cvt_f32_fp8_sdwa v80, v80 src0_sel:BYTE_0
	s_nop 0
	v_mul_f32_e32 v81, s43, v80
	v_and_b32_e32 v80, 0x7f800000, v81
	v_cmp_ne_u32_e64 s[0:1], s45, v80
                                        ; implicit-def: $vgpr80
	s_and_saveexec_b64 s[16:17], s[0:1]
	s_xor_b64 s[0:1], exec, s[16:17]
; %bb.59:                               ;   in Loop: Header=BB370_10 Depth=1
	v_bfe_u32 v80, v81, 16, 1
	v_add3_u32 v80, v81, v80, s46
                                        ; implicit-def: $vgpr81
; %bb.60:                               ;   in Loop: Header=BB370_10 Depth=1
	s_andn2_saveexec_b64 s[16:17], s[0:1]
; %bb.61:                               ;   in Loop: Header=BB370_10 Depth=1
	v_or_b32_e32 v80, 0x10000, v81
	v_cmp_eq_u32_sdwa s[0:1], v81, v3 src0_sel:WORD_0 src1_sel:DWORD
	s_nop 1
	v_cndmask_b32_e64 v80, v80, v81, s[0:1]
; %bb.62:                               ;   in Loop: Header=BB370_10 Depth=1
	s_or_b64 exec, exec, s[16:17]
	v_bfe_u32 v81, v83, 8, 8
	v_cvt_f32_fp8_sdwa v81, v81 src0_sel:BYTE_0
	s_nop 0
	v_mul_f32_e32 v82, s43, v81
	v_and_b32_e32 v81, 0x7f800000, v82
	v_cmp_ne_u32_e64 s[0:1], s45, v81
                                        ; implicit-def: $vgpr81
	s_and_saveexec_b64 s[16:17], s[0:1]
	s_xor_b64 s[0:1], exec, s[16:17]
; %bb.63:                               ;   in Loop: Header=BB370_10 Depth=1
	v_bfe_u32 v81, v82, 16, 1
	v_add3_u32 v81, v82, v81, s46
                                        ; implicit-def: $vgpr82
; %bb.64:                               ;   in Loop: Header=BB370_10 Depth=1
	s_andn2_saveexec_b64 s[16:17], s[0:1]
; %bb.65:                               ;   in Loop: Header=BB370_10 Depth=1
	v_or_b32_e32 v81, 0x10000, v82
	v_cmp_eq_u32_sdwa s[0:1], v82, v3 src0_sel:WORD_0 src1_sel:DWORD
	s_nop 1
	v_cndmask_b32_e64 v81, v81, v82, s[0:1]
; %bb.66:                               ;   in Loop: Header=BB370_10 Depth=1
	s_or_b64 exec, exec, s[16:17]
	v_bfe_u32 v82, v83, 16, 8
	v_cvt_f32_fp8_sdwa v82, v82 src0_sel:BYTE_0
	s_nop 0
	v_mul_f32_e32 v84, s43, v82
	v_and_b32_e32 v82, 0x7f800000, v84
	v_cmp_ne_u32_e64 s[0:1], s45, v82
                                        ; implicit-def: $vgpr82
	s_and_saveexec_b64 s[16:17], s[0:1]
	s_xor_b64 s[0:1], exec, s[16:17]
; %bb.67:                               ;   in Loop: Header=BB370_10 Depth=1
	v_bfe_u32 v82, v84, 16, 1
	v_add3_u32 v82, v84, v82, s46
                                        ; implicit-def: $vgpr84
; %bb.68:                               ;   in Loop: Header=BB370_10 Depth=1
	s_andn2_saveexec_b64 s[16:17], s[0:1]
; %bb.69:                               ;   in Loop: Header=BB370_10 Depth=1
	v_or_b32_e32 v82, 0x10000, v84
	v_cmp_eq_u32_sdwa s[0:1], v84, v3 src0_sel:WORD_0 src1_sel:DWORD
	s_nop 1
	v_cndmask_b32_e64 v82, v82, v84, s[0:1]
; %bb.70:                               ;   in Loop: Header=BB370_10 Depth=1
	s_or_b64 exec, exec, s[16:17]
	v_lshrrev_b32_e32 v83, 24, v83
	v_cvt_f32_fp8_sdwa v83, v83 src0_sel:BYTE_0
	s_nop 0
	v_mul_f32_e32 v84, s43, v83
	v_and_b32_e32 v83, 0x7f800000, v84
	v_cmp_ne_u32_e64 s[0:1], s45, v83
                                        ; implicit-def: $vgpr83
	s_and_saveexec_b64 s[16:17], s[0:1]
	s_xor_b64 s[0:1], exec, s[16:17]
; %bb.71:                               ;   in Loop: Header=BB370_10 Depth=1
	v_bfe_u32 v83, v84, 16, 1
	v_add3_u32 v83, v84, v83, s46
                                        ; implicit-def: $vgpr84
; %bb.72:                               ;   in Loop: Header=BB370_10 Depth=1
	s_andn2_saveexec_b64 s[16:17], s[0:1]
; %bb.73:                               ;   in Loop: Header=BB370_10 Depth=1
	v_or_b32_e32 v83, 0x10000, v84
	v_cmp_eq_u32_sdwa s[0:1], v84, v3 src0_sel:WORD_0 src1_sel:DWORD
	s_nop 1
	v_cndmask_b32_e64 v83, v83, v84, s[0:1]
; %bb.74:                               ;   in Loop: Header=BB370_10 Depth=1
	s_or_b64 exec, exec, s[16:17]
	global_load_dword v87, v[8:9], off offset:1024
	s_waitcnt vmcnt(0)
	v_and_b32_e32 v84, 0xff, v87
	v_cvt_f32_fp8_sdwa v84, v84 src0_sel:BYTE_0
	s_nop 0
	v_mul_f32_e32 v85, s43, v84
	v_and_b32_e32 v84, 0x7f800000, v85
	v_cmp_ne_u32_e64 s[0:1], s45, v84
                                        ; implicit-def: $vgpr84
	s_and_saveexec_b64 s[16:17], s[0:1]
	s_xor_b64 s[0:1], exec, s[16:17]
; %bb.75:                               ;   in Loop: Header=BB370_10 Depth=1
	v_bfe_u32 v84, v85, 16, 1
	v_add3_u32 v84, v85, v84, s46
                                        ; implicit-def: $vgpr85
; %bb.76:                               ;   in Loop: Header=BB370_10 Depth=1
	s_andn2_saveexec_b64 s[16:17], s[0:1]
; %bb.77:                               ;   in Loop: Header=BB370_10 Depth=1
	v_or_b32_e32 v84, 0x10000, v85
	v_cmp_eq_u32_sdwa s[0:1], v85, v3 src0_sel:WORD_0 src1_sel:DWORD
	s_nop 1
	v_cndmask_b32_e64 v84, v84, v85, s[0:1]
; %bb.78:                               ;   in Loop: Header=BB370_10 Depth=1
	s_or_b64 exec, exec, s[16:17]
	v_bfe_u32 v85, v87, 8, 8
	v_cvt_f32_fp8_sdwa v85, v85 src0_sel:BYTE_0
	s_nop 0
	v_mul_f32_e32 v86, s43, v85
	v_and_b32_e32 v85, 0x7f800000, v86
	v_cmp_ne_u32_e64 s[0:1], s45, v85
                                        ; implicit-def: $vgpr85
	s_and_saveexec_b64 s[16:17], s[0:1]
	s_xor_b64 s[0:1], exec, s[16:17]
; %bb.79:                               ;   in Loop: Header=BB370_10 Depth=1
	v_bfe_u32 v85, v86, 16, 1
	v_add3_u32 v85, v86, v85, s46
                                        ; implicit-def: $vgpr86
; %bb.80:                               ;   in Loop: Header=BB370_10 Depth=1
	s_andn2_saveexec_b64 s[16:17], s[0:1]
; %bb.81:                               ;   in Loop: Header=BB370_10 Depth=1
	v_or_b32_e32 v85, 0x10000, v86
	v_cmp_eq_u32_sdwa s[0:1], v86, v3 src0_sel:WORD_0 src1_sel:DWORD
	s_nop 1
	v_cndmask_b32_e64 v85, v85, v86, s[0:1]
; %bb.82:                               ;   in Loop: Header=BB370_10 Depth=1
	s_or_b64 exec, exec, s[16:17]
	v_bfe_u32 v86, v87, 16, 8
	v_cvt_f32_fp8_sdwa v86, v86 src0_sel:BYTE_0
	s_nop 0
	v_mul_f32_e32 v88, s43, v86
	v_and_b32_e32 v86, 0x7f800000, v88
	v_cmp_ne_u32_e64 s[0:1], s45, v86
                                        ; implicit-def: $vgpr86
	s_and_saveexec_b64 s[16:17], s[0:1]
	s_xor_b64 s[0:1], exec, s[16:17]
; %bb.83:                               ;   in Loop: Header=BB370_10 Depth=1
	v_bfe_u32 v86, v88, 16, 1
	v_add3_u32 v86, v88, v86, s46
                                        ; implicit-def: $vgpr88
; %bb.84:                               ;   in Loop: Header=BB370_10 Depth=1
	s_andn2_saveexec_b64 s[16:17], s[0:1]
; %bb.85:                               ;   in Loop: Header=BB370_10 Depth=1
	v_or_b32_e32 v86, 0x10000, v88
	v_cmp_eq_u32_sdwa s[0:1], v88, v3 src0_sel:WORD_0 src1_sel:DWORD
	s_nop 1
	v_cndmask_b32_e64 v86, v86, v88, s[0:1]
; %bb.86:                               ;   in Loop: Header=BB370_10 Depth=1
	s_or_b64 exec, exec, s[16:17]
	v_lshrrev_b32_e32 v87, 24, v87
	v_cvt_f32_fp8_sdwa v87, v87 src0_sel:BYTE_0
	s_nop 0
	v_mul_f32_e32 v88, s43, v87
	v_and_b32_e32 v87, 0x7f800000, v88
	v_cmp_ne_u32_e64 s[0:1], s45, v87
                                        ; implicit-def: $vgpr87
	s_and_saveexec_b64 s[16:17], s[0:1]
	s_xor_b64 s[0:1], exec, s[16:17]
; %bb.87:                               ;   in Loop: Header=BB370_10 Depth=1
	v_bfe_u32 v87, v88, 16, 1
	v_add3_u32 v87, v88, v87, s46
                                        ; implicit-def: $vgpr88
; %bb.88:                               ;   in Loop: Header=BB370_10 Depth=1
	s_andn2_saveexec_b64 s[16:17], s[0:1]
; %bb.89:                               ;   in Loop: Header=BB370_10 Depth=1
	v_or_b32_e32 v87, 0x10000, v88
	v_cmp_eq_u32_sdwa s[0:1], v88, v3 src0_sel:WORD_0 src1_sel:DWORD
	s_nop 1
	v_cndmask_b32_e64 v87, v87, v88, s[0:1]
; %bb.90:                               ;   in Loop: Header=BB370_10 Depth=1
	s_or_b64 exec, exec, s[16:17]
	global_load_dword v91, v[8:9], off offset:1032
	s_waitcnt vmcnt(0)
	v_and_b32_e32 v88, 0xff, v91
	v_cvt_f32_fp8_sdwa v88, v88 src0_sel:BYTE_0
	s_nop 0
	v_mul_f32_e32 v89, s43, v88
	v_and_b32_e32 v88, 0x7f800000, v89
	v_cmp_ne_u32_e64 s[0:1], s45, v88
                                        ; implicit-def: $vgpr88
	s_and_saveexec_b64 s[16:17], s[0:1]
	s_xor_b64 s[0:1], exec, s[16:17]
; %bb.91:                               ;   in Loop: Header=BB370_10 Depth=1
	v_bfe_u32 v88, v89, 16, 1
	v_add3_u32 v88, v89, v88, s46
                                        ; implicit-def: $vgpr89
; %bb.92:                               ;   in Loop: Header=BB370_10 Depth=1
	s_andn2_saveexec_b64 s[16:17], s[0:1]
; %bb.93:                               ;   in Loop: Header=BB370_10 Depth=1
	v_or_b32_e32 v88, 0x10000, v89
	v_cmp_eq_u32_sdwa s[0:1], v89, v3 src0_sel:WORD_0 src1_sel:DWORD
	s_nop 1
	v_cndmask_b32_e64 v88, v88, v89, s[0:1]
; %bb.94:                               ;   in Loop: Header=BB370_10 Depth=1
	s_or_b64 exec, exec, s[16:17]
	v_bfe_u32 v89, v91, 8, 8
	v_cvt_f32_fp8_sdwa v89, v89 src0_sel:BYTE_0
	s_nop 0
	v_mul_f32_e32 v90, s43, v89
	v_and_b32_e32 v89, 0x7f800000, v90
	v_cmp_ne_u32_e64 s[0:1], s45, v89
                                        ; implicit-def: $vgpr89
	s_and_saveexec_b64 s[16:17], s[0:1]
	s_xor_b64 s[0:1], exec, s[16:17]
; %bb.95:                               ;   in Loop: Header=BB370_10 Depth=1
	v_bfe_u32 v89, v90, 16, 1
	v_add3_u32 v89, v90, v89, s46
                                        ; implicit-def: $vgpr90
; %bb.96:                               ;   in Loop: Header=BB370_10 Depth=1
	s_andn2_saveexec_b64 s[16:17], s[0:1]
; %bb.97:                               ;   in Loop: Header=BB370_10 Depth=1
	v_or_b32_e32 v89, 0x10000, v90
	v_cmp_eq_u32_sdwa s[0:1], v90, v3 src0_sel:WORD_0 src1_sel:DWORD
	s_nop 1
	v_cndmask_b32_e64 v89, v89, v90, s[0:1]
; %bb.98:                               ;   in Loop: Header=BB370_10 Depth=1
	s_or_b64 exec, exec, s[16:17]
	v_bfe_u32 v90, v91, 16, 8
	v_cvt_f32_fp8_sdwa v90, v90 src0_sel:BYTE_0
	s_nop 0
	v_mul_f32_e32 v92, s43, v90
	v_and_b32_e32 v90, 0x7f800000, v92
	v_cmp_ne_u32_e64 s[0:1], s45, v90
                                        ; implicit-def: $vgpr90
	s_and_saveexec_b64 s[16:17], s[0:1]
	s_xor_b64 s[0:1], exec, s[16:17]
; %bb.99:                               ;   in Loop: Header=BB370_10 Depth=1
	v_bfe_u32 v90, v92, 16, 1
	v_add3_u32 v90, v92, v90, s46
                                        ; implicit-def: $vgpr92
; %bb.100:                              ;   in Loop: Header=BB370_10 Depth=1
	s_andn2_saveexec_b64 s[16:17], s[0:1]
; %bb.101:                              ;   in Loop: Header=BB370_10 Depth=1
	v_or_b32_e32 v90, 0x10000, v92
	v_cmp_eq_u32_sdwa s[0:1], v92, v3 src0_sel:WORD_0 src1_sel:DWORD
	s_nop 1
	v_cndmask_b32_e64 v90, v90, v92, s[0:1]
; %bb.102:                              ;   in Loop: Header=BB370_10 Depth=1
	s_or_b64 exec, exec, s[16:17]
	v_lshrrev_b32_e32 v91, 24, v91
	v_cvt_f32_fp8_sdwa v91, v91 src0_sel:BYTE_0
	s_nop 0
	v_mul_f32_e32 v92, s43, v91
	v_and_b32_e32 v91, 0x7f800000, v92
	v_cmp_ne_u32_e64 s[0:1], s45, v91
                                        ; implicit-def: $vgpr91
	s_and_saveexec_b64 s[16:17], s[0:1]
	s_xor_b64 s[0:1], exec, s[16:17]
; %bb.103:                              ;   in Loop: Header=BB370_10 Depth=1
	v_bfe_u32 v91, v92, 16, 1
	v_add3_u32 v91, v92, v91, s46
                                        ; implicit-def: $vgpr92
; %bb.104:                              ;   in Loop: Header=BB370_10 Depth=1
	s_andn2_saveexec_b64 s[16:17], s[0:1]
; %bb.105:                              ;   in Loop: Header=BB370_10 Depth=1
	v_or_b32_e32 v91, 0x10000, v92
	v_cmp_eq_u32_sdwa s[0:1], v92, v3 src0_sel:WORD_0 src1_sel:DWORD
	s_nop 1
	v_cndmask_b32_e64 v91, v91, v92, s[0:1]
; %bb.106:                              ;   in Loop: Header=BB370_10 Depth=1
	s_or_b64 exec, exec, s[16:17]
	global_load_dword v95, v[8:9], off offset:1536
	s_waitcnt vmcnt(0)
	v_and_b32_e32 v92, 0xff, v95
	v_cvt_f32_fp8_sdwa v92, v92 src0_sel:BYTE_0
	s_nop 0
	v_mul_f32_e32 v93, s43, v92
	v_and_b32_e32 v92, 0x7f800000, v93
	v_cmp_ne_u32_e64 s[0:1], s45, v92
                                        ; implicit-def: $vgpr92
	s_and_saveexec_b64 s[16:17], s[0:1]
	s_xor_b64 s[0:1], exec, s[16:17]
; %bb.107:                              ;   in Loop: Header=BB370_10 Depth=1
	v_bfe_u32 v92, v93, 16, 1
	v_add3_u32 v92, v93, v92, s46
                                        ; implicit-def: $vgpr93
; %bb.108:                              ;   in Loop: Header=BB370_10 Depth=1
	s_andn2_saveexec_b64 s[16:17], s[0:1]
; %bb.109:                              ;   in Loop: Header=BB370_10 Depth=1
	v_or_b32_e32 v92, 0x10000, v93
	v_cmp_eq_u32_sdwa s[0:1], v93, v3 src0_sel:WORD_0 src1_sel:DWORD
	s_nop 1
	v_cndmask_b32_e64 v92, v92, v93, s[0:1]
; %bb.110:                              ;   in Loop: Header=BB370_10 Depth=1
	s_or_b64 exec, exec, s[16:17]
	v_bfe_u32 v93, v95, 8, 8
	v_cvt_f32_fp8_sdwa v93, v93 src0_sel:BYTE_0
	s_nop 0
	v_mul_f32_e32 v94, s43, v93
	v_and_b32_e32 v93, 0x7f800000, v94
	v_cmp_ne_u32_e64 s[0:1], s45, v93
                                        ; implicit-def: $vgpr93
	s_and_saveexec_b64 s[16:17], s[0:1]
	s_xor_b64 s[0:1], exec, s[16:17]
; %bb.111:                              ;   in Loop: Header=BB370_10 Depth=1
	v_bfe_u32 v93, v94, 16, 1
	v_add3_u32 v93, v94, v93, s46
                                        ; implicit-def: $vgpr94
; %bb.112:                              ;   in Loop: Header=BB370_10 Depth=1
	s_andn2_saveexec_b64 s[16:17], s[0:1]
; %bb.113:                              ;   in Loop: Header=BB370_10 Depth=1
	v_or_b32_e32 v93, 0x10000, v94
	v_cmp_eq_u32_sdwa s[0:1], v94, v3 src0_sel:WORD_0 src1_sel:DWORD
	s_nop 1
	v_cndmask_b32_e64 v93, v93, v94, s[0:1]
; %bb.114:                              ;   in Loop: Header=BB370_10 Depth=1
	s_or_b64 exec, exec, s[16:17]
	v_bfe_u32 v94, v95, 16, 8
	v_cvt_f32_fp8_sdwa v94, v94 src0_sel:BYTE_0
	s_nop 0
	v_mul_f32_e32 v96, s43, v94
	v_and_b32_e32 v94, 0x7f800000, v96
	v_cmp_ne_u32_e64 s[0:1], s45, v94
                                        ; implicit-def: $vgpr94
	s_and_saveexec_b64 s[16:17], s[0:1]
	s_xor_b64 s[0:1], exec, s[16:17]
; %bb.115:                              ;   in Loop: Header=BB370_10 Depth=1
	v_bfe_u32 v94, v96, 16, 1
	v_add3_u32 v94, v96, v94, s46
                                        ; implicit-def: $vgpr96
; %bb.116:                              ;   in Loop: Header=BB370_10 Depth=1
	s_andn2_saveexec_b64 s[16:17], s[0:1]
; %bb.117:                              ;   in Loop: Header=BB370_10 Depth=1
	v_or_b32_e32 v94, 0x10000, v96
	v_cmp_eq_u32_sdwa s[0:1], v96, v3 src0_sel:WORD_0 src1_sel:DWORD
	s_nop 1
	v_cndmask_b32_e64 v94, v94, v96, s[0:1]
; %bb.118:                              ;   in Loop: Header=BB370_10 Depth=1
	s_or_b64 exec, exec, s[16:17]
	v_lshrrev_b32_e32 v95, 24, v95
	v_cvt_f32_fp8_sdwa v95, v95 src0_sel:BYTE_0
	s_nop 0
	v_mul_f32_e32 v96, s43, v95
	v_and_b32_e32 v95, 0x7f800000, v96
	v_cmp_ne_u32_e64 s[0:1], s45, v95
                                        ; implicit-def: $vgpr95
	s_and_saveexec_b64 s[16:17], s[0:1]
	s_xor_b64 s[0:1], exec, s[16:17]
; %bb.119:                              ;   in Loop: Header=BB370_10 Depth=1
	v_bfe_u32 v95, v96, 16, 1
	v_add3_u32 v95, v96, v95, s46
                                        ; implicit-def: $vgpr96
; %bb.120:                              ;   in Loop: Header=BB370_10 Depth=1
	s_andn2_saveexec_b64 s[16:17], s[0:1]
; %bb.121:                              ;   in Loop: Header=BB370_10 Depth=1
	v_or_b32_e32 v95, 0x10000, v96
	v_cmp_eq_u32_sdwa s[0:1], v96, v3 src0_sel:WORD_0 src1_sel:DWORD
	s_nop 1
	v_cndmask_b32_e64 v95, v95, v96, s[0:1]
; %bb.122:                              ;   in Loop: Header=BB370_10 Depth=1
	s_or_b64 exec, exec, s[16:17]
	global_load_dword v99, v[8:9], off offset:1544
	s_waitcnt vmcnt(0)
	v_and_b32_e32 v96, 0xff, v99
	v_cvt_f32_fp8_sdwa v96, v96 src0_sel:BYTE_0
	s_nop 0
	v_mul_f32_e32 v97, s43, v96
	v_and_b32_e32 v96, 0x7f800000, v97
	v_cmp_ne_u32_e64 s[0:1], s45, v96
                                        ; implicit-def: $vgpr96
	s_and_saveexec_b64 s[16:17], s[0:1]
	s_xor_b64 s[0:1], exec, s[16:17]
; %bb.123:                              ;   in Loop: Header=BB370_10 Depth=1
	v_bfe_u32 v96, v97, 16, 1
	v_add3_u32 v96, v97, v96, s46
                                        ; implicit-def: $vgpr97
; %bb.124:                              ;   in Loop: Header=BB370_10 Depth=1
	s_andn2_saveexec_b64 s[16:17], s[0:1]
; %bb.125:                              ;   in Loop: Header=BB370_10 Depth=1
	v_or_b32_e32 v96, 0x10000, v97
	v_cmp_eq_u32_sdwa s[0:1], v97, v3 src0_sel:WORD_0 src1_sel:DWORD
	s_nop 1
	v_cndmask_b32_e64 v96, v96, v97, s[0:1]
; %bb.126:                              ;   in Loop: Header=BB370_10 Depth=1
	s_or_b64 exec, exec, s[16:17]
	v_bfe_u32 v97, v99, 8, 8
	v_cvt_f32_fp8_sdwa v97, v97 src0_sel:BYTE_0
	s_nop 0
	v_mul_f32_e32 v98, s43, v97
	v_and_b32_e32 v97, 0x7f800000, v98
	v_cmp_ne_u32_e64 s[0:1], s45, v97
                                        ; implicit-def: $vgpr97
	s_and_saveexec_b64 s[16:17], s[0:1]
	s_xor_b64 s[0:1], exec, s[16:17]
; %bb.127:                              ;   in Loop: Header=BB370_10 Depth=1
	v_bfe_u32 v97, v98, 16, 1
	v_add3_u32 v97, v98, v97, s46
                                        ; implicit-def: $vgpr98
; %bb.128:                              ;   in Loop: Header=BB370_10 Depth=1
	s_andn2_saveexec_b64 s[16:17], s[0:1]
; %bb.129:                              ;   in Loop: Header=BB370_10 Depth=1
	v_or_b32_e32 v97, 0x10000, v98
	v_cmp_eq_u32_sdwa s[0:1], v98, v3 src0_sel:WORD_0 src1_sel:DWORD
	s_nop 1
	v_cndmask_b32_e64 v97, v97, v98, s[0:1]
; %bb.130:                              ;   in Loop: Header=BB370_10 Depth=1
	s_or_b64 exec, exec, s[16:17]
	v_bfe_u32 v98, v99, 16, 8
	v_cvt_f32_fp8_sdwa v98, v98 src0_sel:BYTE_0
	s_nop 0
	v_mul_f32_e32 v100, s43, v98
	v_and_b32_e32 v98, 0x7f800000, v100
	v_cmp_ne_u32_e64 s[0:1], s45, v98
                                        ; implicit-def: $vgpr98
	s_and_saveexec_b64 s[16:17], s[0:1]
	s_xor_b64 s[0:1], exec, s[16:17]
; %bb.131:                              ;   in Loop: Header=BB370_10 Depth=1
	v_bfe_u32 v98, v100, 16, 1
	v_add3_u32 v98, v100, v98, s46
                                        ; implicit-def: $vgpr100
; %bb.132:                              ;   in Loop: Header=BB370_10 Depth=1
	s_andn2_saveexec_b64 s[16:17], s[0:1]
; %bb.133:                              ;   in Loop: Header=BB370_10 Depth=1
	v_or_b32_e32 v98, 0x10000, v100
	v_cmp_eq_u32_sdwa s[0:1], v100, v3 src0_sel:WORD_0 src1_sel:DWORD
	s_nop 1
	v_cndmask_b32_e64 v98, v98, v100, s[0:1]
; %bb.134:                              ;   in Loop: Header=BB370_10 Depth=1
	s_or_b64 exec, exec, s[16:17]
	v_lshrrev_b32_e32 v99, 24, v99
	v_cvt_f32_fp8_sdwa v99, v99 src0_sel:BYTE_0
	s_nop 0
	v_mul_f32_e32 v100, s43, v99
	v_and_b32_e32 v99, 0x7f800000, v100
	v_cmp_ne_u32_e64 s[0:1], s45, v99
                                        ; implicit-def: $vgpr99
	s_and_saveexec_b64 s[16:17], s[0:1]
	s_xor_b64 s[0:1], exec, s[16:17]
; %bb.135:                              ;   in Loop: Header=BB370_10 Depth=1
	v_bfe_u32 v99, v100, 16, 1
	v_add3_u32 v99, v100, v99, s46
                                        ; implicit-def: $vgpr100
; %bb.136:                              ;   in Loop: Header=BB370_10 Depth=1
	s_andn2_saveexec_b64 s[16:17], s[0:1]
; %bb.137:                              ;   in Loop: Header=BB370_10 Depth=1
	v_or_b32_e32 v99, 0x10000, v100
	v_cmp_eq_u32_sdwa s[0:1], v100, v3 src0_sel:WORD_0 src1_sel:DWORD
	s_nop 1
	v_cndmask_b32_e64 v99, v99, v100, s[0:1]
; %bb.138:                              ;   in Loop: Header=BB370_10 Depth=1
	s_or_b64 exec, exec, s[16:17]
	global_load_dword v103, v[8:9], off offset:2048
	s_waitcnt vmcnt(0)
	v_and_b32_e32 v100, 0xff, v103
	v_cvt_f32_fp8_sdwa v100, v100 src0_sel:BYTE_0
	s_nop 0
	v_mul_f32_e32 v101, s43, v100
	v_and_b32_e32 v100, 0x7f800000, v101
	v_cmp_ne_u32_e64 s[0:1], s45, v100
                                        ; implicit-def: $vgpr100
	s_and_saveexec_b64 s[16:17], s[0:1]
	s_xor_b64 s[0:1], exec, s[16:17]
; %bb.139:                              ;   in Loop: Header=BB370_10 Depth=1
	v_bfe_u32 v100, v101, 16, 1
	v_add3_u32 v100, v101, v100, s46
                                        ; implicit-def: $vgpr101
; %bb.140:                              ;   in Loop: Header=BB370_10 Depth=1
	s_andn2_saveexec_b64 s[16:17], s[0:1]
; %bb.141:                              ;   in Loop: Header=BB370_10 Depth=1
	v_or_b32_e32 v100, 0x10000, v101
	v_cmp_eq_u32_sdwa s[0:1], v101, v3 src0_sel:WORD_0 src1_sel:DWORD
	s_nop 1
	v_cndmask_b32_e64 v100, v100, v101, s[0:1]
; %bb.142:                              ;   in Loop: Header=BB370_10 Depth=1
	s_or_b64 exec, exec, s[16:17]
	v_bfe_u32 v101, v103, 8, 8
	v_cvt_f32_fp8_sdwa v101, v101 src0_sel:BYTE_0
	s_nop 0
	v_mul_f32_e32 v102, s43, v101
	v_and_b32_e32 v101, 0x7f800000, v102
	v_cmp_ne_u32_e64 s[0:1], s45, v101
                                        ; implicit-def: $vgpr101
	s_and_saveexec_b64 s[16:17], s[0:1]
	s_xor_b64 s[0:1], exec, s[16:17]
; %bb.143:                              ;   in Loop: Header=BB370_10 Depth=1
	v_bfe_u32 v101, v102, 16, 1
	v_add3_u32 v101, v102, v101, s46
                                        ; implicit-def: $vgpr102
; %bb.144:                              ;   in Loop: Header=BB370_10 Depth=1
	s_andn2_saveexec_b64 s[16:17], s[0:1]
; %bb.145:                              ;   in Loop: Header=BB370_10 Depth=1
	v_or_b32_e32 v101, 0x10000, v102
	v_cmp_eq_u32_sdwa s[0:1], v102, v3 src0_sel:WORD_0 src1_sel:DWORD
	s_nop 1
	v_cndmask_b32_e64 v101, v101, v102, s[0:1]
; %bb.146:                              ;   in Loop: Header=BB370_10 Depth=1
	s_or_b64 exec, exec, s[16:17]
	v_bfe_u32 v102, v103, 16, 8
	v_cvt_f32_fp8_sdwa v102, v102 src0_sel:BYTE_0
	s_nop 0
	v_mul_f32_e32 v104, s43, v102
	v_and_b32_e32 v102, 0x7f800000, v104
	v_cmp_ne_u32_e64 s[0:1], s45, v102
                                        ; implicit-def: $vgpr102
	s_and_saveexec_b64 s[16:17], s[0:1]
	s_xor_b64 s[0:1], exec, s[16:17]
; %bb.147:                              ;   in Loop: Header=BB370_10 Depth=1
	v_bfe_u32 v102, v104, 16, 1
	v_add3_u32 v102, v104, v102, s46
                                        ; implicit-def: $vgpr104
; %bb.148:                              ;   in Loop: Header=BB370_10 Depth=1
	s_andn2_saveexec_b64 s[16:17], s[0:1]
; %bb.149:                              ;   in Loop: Header=BB370_10 Depth=1
	v_or_b32_e32 v102, 0x10000, v104
	v_cmp_eq_u32_sdwa s[0:1], v104, v3 src0_sel:WORD_0 src1_sel:DWORD
	s_nop 1
	v_cndmask_b32_e64 v102, v102, v104, s[0:1]
; %bb.150:                              ;   in Loop: Header=BB370_10 Depth=1
	s_or_b64 exec, exec, s[16:17]
	v_lshrrev_b32_e32 v103, 24, v103
	v_cvt_f32_fp8_sdwa v103, v103 src0_sel:BYTE_0
	s_nop 0
	v_mul_f32_e32 v104, s43, v103
	v_and_b32_e32 v103, 0x7f800000, v104
	v_cmp_ne_u32_e64 s[0:1], s45, v103
                                        ; implicit-def: $vgpr103
	s_and_saveexec_b64 s[16:17], s[0:1]
	s_xor_b64 s[0:1], exec, s[16:17]
; %bb.151:                              ;   in Loop: Header=BB370_10 Depth=1
	v_bfe_u32 v103, v104, 16, 1
	v_add3_u32 v103, v104, v103, s46
                                        ; implicit-def: $vgpr104
; %bb.152:                              ;   in Loop: Header=BB370_10 Depth=1
	s_andn2_saveexec_b64 s[16:17], s[0:1]
; %bb.153:                              ;   in Loop: Header=BB370_10 Depth=1
	v_or_b32_e32 v103, 0x10000, v104
	v_cmp_eq_u32_sdwa s[0:1], v104, v3 src0_sel:WORD_0 src1_sel:DWORD
	s_nop 1
	v_cndmask_b32_e64 v103, v103, v104, s[0:1]
; %bb.154:                              ;   in Loop: Header=BB370_10 Depth=1
	s_or_b64 exec, exec, s[16:17]
	global_load_dword v107, v[8:9], off offset:2056
	s_waitcnt vmcnt(0)
	v_and_b32_e32 v104, 0xff, v107
	v_cvt_f32_fp8_sdwa v104, v104 src0_sel:BYTE_0
	s_nop 0
	v_mul_f32_e32 v105, s43, v104
	v_and_b32_e32 v104, 0x7f800000, v105
	v_cmp_ne_u32_e64 s[0:1], s45, v104
                                        ; implicit-def: $vgpr104
	s_and_saveexec_b64 s[16:17], s[0:1]
	s_xor_b64 s[0:1], exec, s[16:17]
; %bb.155:                              ;   in Loop: Header=BB370_10 Depth=1
	v_bfe_u32 v104, v105, 16, 1
	v_add3_u32 v104, v105, v104, s46
                                        ; implicit-def: $vgpr105
; %bb.156:                              ;   in Loop: Header=BB370_10 Depth=1
	s_andn2_saveexec_b64 s[16:17], s[0:1]
; %bb.157:                              ;   in Loop: Header=BB370_10 Depth=1
	v_or_b32_e32 v104, 0x10000, v105
	v_cmp_eq_u32_sdwa s[0:1], v105, v3 src0_sel:WORD_0 src1_sel:DWORD
	s_nop 1
	v_cndmask_b32_e64 v104, v104, v105, s[0:1]
; %bb.158:                              ;   in Loop: Header=BB370_10 Depth=1
	s_or_b64 exec, exec, s[16:17]
	v_bfe_u32 v105, v107, 8, 8
	v_cvt_f32_fp8_sdwa v105, v105 src0_sel:BYTE_0
	s_nop 0
	v_mul_f32_e32 v106, s43, v105
	v_and_b32_e32 v105, 0x7f800000, v106
	v_cmp_ne_u32_e64 s[0:1], s45, v105
                                        ; implicit-def: $vgpr105
	s_and_saveexec_b64 s[16:17], s[0:1]
	s_xor_b64 s[0:1], exec, s[16:17]
; %bb.159:                              ;   in Loop: Header=BB370_10 Depth=1
	v_bfe_u32 v105, v106, 16, 1
	v_add3_u32 v105, v106, v105, s46
                                        ; implicit-def: $vgpr106
; %bb.160:                              ;   in Loop: Header=BB370_10 Depth=1
	s_andn2_saveexec_b64 s[16:17], s[0:1]
; %bb.161:                              ;   in Loop: Header=BB370_10 Depth=1
	v_or_b32_e32 v105, 0x10000, v106
	v_cmp_eq_u32_sdwa s[0:1], v106, v3 src0_sel:WORD_0 src1_sel:DWORD
	s_nop 1
	v_cndmask_b32_e64 v105, v105, v106, s[0:1]
; %bb.162:                              ;   in Loop: Header=BB370_10 Depth=1
	s_or_b64 exec, exec, s[16:17]
	v_bfe_u32 v106, v107, 16, 8
	v_cvt_f32_fp8_sdwa v106, v106 src0_sel:BYTE_0
	s_nop 0
	v_mul_f32_e32 v108, s43, v106
	v_and_b32_e32 v106, 0x7f800000, v108
	v_cmp_ne_u32_e64 s[0:1], s45, v106
                                        ; implicit-def: $vgpr106
	s_and_saveexec_b64 s[16:17], s[0:1]
	s_xor_b64 s[0:1], exec, s[16:17]
; %bb.163:                              ;   in Loop: Header=BB370_10 Depth=1
	v_bfe_u32 v106, v108, 16, 1
	v_add3_u32 v106, v108, v106, s46
                                        ; implicit-def: $vgpr108
; %bb.164:                              ;   in Loop: Header=BB370_10 Depth=1
	s_andn2_saveexec_b64 s[16:17], s[0:1]
; %bb.165:                              ;   in Loop: Header=BB370_10 Depth=1
	v_or_b32_e32 v106, 0x10000, v108
	v_cmp_eq_u32_sdwa s[0:1], v108, v3 src0_sel:WORD_0 src1_sel:DWORD
	s_nop 1
	v_cndmask_b32_e64 v106, v106, v108, s[0:1]
; %bb.166:                              ;   in Loop: Header=BB370_10 Depth=1
	s_or_b64 exec, exec, s[16:17]
	v_lshrrev_b32_e32 v107, 24, v107
	v_cvt_f32_fp8_sdwa v107, v107 src0_sel:BYTE_0
	s_nop 0
	v_mul_f32_e32 v108, s43, v107
	v_and_b32_e32 v107, 0x7f800000, v108
	v_cmp_ne_u32_e64 s[0:1], s45, v107
                                        ; implicit-def: $vgpr107
	s_and_saveexec_b64 s[16:17], s[0:1]
	s_xor_b64 s[0:1], exec, s[16:17]
; %bb.167:                              ;   in Loop: Header=BB370_10 Depth=1
	v_bfe_u32 v107, v108, 16, 1
	v_add3_u32 v107, v108, v107, s46
                                        ; implicit-def: $vgpr108
; %bb.168:                              ;   in Loop: Header=BB370_10 Depth=1
	s_andn2_saveexec_b64 s[16:17], s[0:1]
; %bb.169:                              ;   in Loop: Header=BB370_10 Depth=1
	v_or_b32_e32 v107, 0x10000, v108
	v_cmp_eq_u32_sdwa s[0:1], v108, v3 src0_sel:WORD_0 src1_sel:DWORD
	s_nop 1
	v_cndmask_b32_e64 v107, v107, v108, s[0:1]
; %bb.170:                              ;   in Loop: Header=BB370_10 Depth=1
	s_or_b64 exec, exec, s[16:17]
	global_load_dword v111, v[8:9], off offset:2560
	s_waitcnt vmcnt(0)
	v_and_b32_e32 v108, 0xff, v111
	v_cvt_f32_fp8_sdwa v108, v108 src0_sel:BYTE_0
	s_nop 0
	v_mul_f32_e32 v109, s43, v108
	v_and_b32_e32 v108, 0x7f800000, v109
	v_cmp_ne_u32_e64 s[0:1], s45, v108
                                        ; implicit-def: $vgpr108
	s_and_saveexec_b64 s[16:17], s[0:1]
	s_xor_b64 s[0:1], exec, s[16:17]
; %bb.171:                              ;   in Loop: Header=BB370_10 Depth=1
	v_bfe_u32 v108, v109, 16, 1
	v_add3_u32 v108, v109, v108, s46
                                        ; implicit-def: $vgpr109
; %bb.172:                              ;   in Loop: Header=BB370_10 Depth=1
	s_andn2_saveexec_b64 s[16:17], s[0:1]
; %bb.173:                              ;   in Loop: Header=BB370_10 Depth=1
	v_or_b32_e32 v108, 0x10000, v109
	v_cmp_eq_u32_sdwa s[0:1], v109, v3 src0_sel:WORD_0 src1_sel:DWORD
	s_nop 1
	v_cndmask_b32_e64 v108, v108, v109, s[0:1]
; %bb.174:                              ;   in Loop: Header=BB370_10 Depth=1
	s_or_b64 exec, exec, s[16:17]
	v_bfe_u32 v109, v111, 8, 8
	v_cvt_f32_fp8_sdwa v109, v109 src0_sel:BYTE_0
	s_nop 0
	v_mul_f32_e32 v110, s43, v109
	v_and_b32_e32 v109, 0x7f800000, v110
	v_cmp_ne_u32_e64 s[0:1], s45, v109
                                        ; implicit-def: $vgpr109
	s_and_saveexec_b64 s[16:17], s[0:1]
	s_xor_b64 s[0:1], exec, s[16:17]
; %bb.175:                              ;   in Loop: Header=BB370_10 Depth=1
	v_bfe_u32 v109, v110, 16, 1
	v_add3_u32 v109, v110, v109, s46
                                        ; implicit-def: $vgpr110
; %bb.176:                              ;   in Loop: Header=BB370_10 Depth=1
	s_andn2_saveexec_b64 s[16:17], s[0:1]
; %bb.177:                              ;   in Loop: Header=BB370_10 Depth=1
	v_or_b32_e32 v109, 0x10000, v110
	v_cmp_eq_u32_sdwa s[0:1], v110, v3 src0_sel:WORD_0 src1_sel:DWORD
	s_nop 1
	v_cndmask_b32_e64 v109, v109, v110, s[0:1]
; %bb.178:                              ;   in Loop: Header=BB370_10 Depth=1
	s_or_b64 exec, exec, s[16:17]
	v_bfe_u32 v110, v111, 16, 8
	v_cvt_f32_fp8_sdwa v110, v110 src0_sel:BYTE_0
	s_nop 0
	v_mul_f32_e32 v112, s43, v110
	v_and_b32_e32 v110, 0x7f800000, v112
	v_cmp_ne_u32_e64 s[0:1], s45, v110
                                        ; implicit-def: $vgpr110
	s_and_saveexec_b64 s[16:17], s[0:1]
	s_xor_b64 s[0:1], exec, s[16:17]
; %bb.179:                              ;   in Loop: Header=BB370_10 Depth=1
	v_bfe_u32 v110, v112, 16, 1
	v_add3_u32 v110, v112, v110, s46
                                        ; implicit-def: $vgpr112
; %bb.180:                              ;   in Loop: Header=BB370_10 Depth=1
	s_andn2_saveexec_b64 s[16:17], s[0:1]
; %bb.181:                              ;   in Loop: Header=BB370_10 Depth=1
	v_or_b32_e32 v110, 0x10000, v112
	v_cmp_eq_u32_sdwa s[0:1], v112, v3 src0_sel:WORD_0 src1_sel:DWORD
	s_nop 1
	v_cndmask_b32_e64 v110, v110, v112, s[0:1]
; %bb.182:                              ;   in Loop: Header=BB370_10 Depth=1
	s_or_b64 exec, exec, s[16:17]
	v_lshrrev_b32_e32 v111, 24, v111
	v_cvt_f32_fp8_sdwa v111, v111 src0_sel:BYTE_0
	s_nop 0
	v_mul_f32_e32 v112, s43, v111
	v_and_b32_e32 v111, 0x7f800000, v112
	v_cmp_ne_u32_e64 s[0:1], s45, v111
                                        ; implicit-def: $vgpr111
	s_and_saveexec_b64 s[16:17], s[0:1]
	s_xor_b64 s[0:1], exec, s[16:17]
; %bb.183:                              ;   in Loop: Header=BB370_10 Depth=1
	v_bfe_u32 v111, v112, 16, 1
	v_add3_u32 v111, v112, v111, s46
                                        ; implicit-def: $vgpr112
; %bb.184:                              ;   in Loop: Header=BB370_10 Depth=1
	s_andn2_saveexec_b64 s[16:17], s[0:1]
; %bb.185:                              ;   in Loop: Header=BB370_10 Depth=1
	v_or_b32_e32 v111, 0x10000, v112
	v_cmp_eq_u32_sdwa s[0:1], v112, v3 src0_sel:WORD_0 src1_sel:DWORD
	s_nop 1
	v_cndmask_b32_e64 v111, v111, v112, s[0:1]
; %bb.186:                              ;   in Loop: Header=BB370_10 Depth=1
	s_or_b64 exec, exec, s[16:17]
	global_load_dword v9, v[8:9], off offset:2568
	s_waitcnt vmcnt(0)
	v_and_b32_e32 v8, 0xff, v9
	v_cvt_f32_fp8_sdwa v8, v8 src0_sel:BYTE_0
	s_nop 0
	v_mul_f32_e32 v112, s43, v8
	v_and_b32_e32 v8, 0x7f800000, v112
	v_cmp_ne_u32_e64 s[0:1], s45, v8
                                        ; implicit-def: $vgpr8
	s_and_saveexec_b64 s[16:17], s[0:1]
	s_xor_b64 s[0:1], exec, s[16:17]
; %bb.187:                              ;   in Loop: Header=BB370_10 Depth=1
	v_bfe_u32 v8, v112, 16, 1
	v_add3_u32 v8, v112, v8, s46
                                        ; implicit-def: $vgpr112
; %bb.188:                              ;   in Loop: Header=BB370_10 Depth=1
	s_andn2_saveexec_b64 s[16:17], s[0:1]
; %bb.189:                              ;   in Loop: Header=BB370_10 Depth=1
	v_or_b32_e32 v8, 0x10000, v112
	v_cmp_eq_u32_sdwa s[0:1], v112, v3 src0_sel:WORD_0 src1_sel:DWORD
	s_nop 1
	v_cndmask_b32_e64 v8, v8, v112, s[0:1]
; %bb.190:                              ;   in Loop: Header=BB370_10 Depth=1
	s_or_b64 exec, exec, s[16:17]
	v_bfe_u32 v112, v9, 8, 8
	v_cvt_f32_fp8_sdwa v112, v112 src0_sel:BYTE_0
	s_nop 0
	v_mul_f32_e32 v112, s43, v112
	v_and_b32_e32 v113, 0x7f800000, v112
	v_cmp_ne_u32_e64 s[0:1], s45, v113
                                        ; implicit-def: $vgpr113
	s_and_saveexec_b64 s[16:17], s[0:1]
	s_xor_b64 s[0:1], exec, s[16:17]
; %bb.191:                              ;   in Loop: Header=BB370_10 Depth=1
	v_bfe_u32 v113, v112, 16, 1
	v_add3_u32 v113, v112, v113, s46
                                        ; implicit-def: $vgpr112
; %bb.192:                              ;   in Loop: Header=BB370_10 Depth=1
	s_andn2_saveexec_b64 s[16:17], s[0:1]
; %bb.193:                              ;   in Loop: Header=BB370_10 Depth=1
	v_or_b32_e32 v113, 0x10000, v112
	v_cmp_eq_u32_sdwa s[0:1], v112, v3 src0_sel:WORD_0 src1_sel:DWORD
	s_nop 1
	v_cndmask_b32_e64 v113, v113, v112, s[0:1]
; %bb.194:                              ;   in Loop: Header=BB370_10 Depth=1
	s_or_b64 exec, exec, s[16:17]
	v_bfe_u32 v112, v9, 16, 8
	v_cvt_f32_fp8_sdwa v112, v112 src0_sel:BYTE_0
	s_nop 0
	v_mul_f32_e32 v114, s43, v112
	v_and_b32_e32 v112, 0x7f800000, v114
	v_cmp_ne_u32_e64 s[0:1], s45, v112
                                        ; implicit-def: $vgpr112
	s_and_saveexec_b64 s[16:17], s[0:1]
	s_xor_b64 s[0:1], exec, s[16:17]
; %bb.195:                              ;   in Loop: Header=BB370_10 Depth=1
	v_bfe_u32 v112, v114, 16, 1
	v_add3_u32 v112, v114, v112, s46
                                        ; implicit-def: $vgpr114
; %bb.196:                              ;   in Loop: Header=BB370_10 Depth=1
	s_andn2_saveexec_b64 s[16:17], s[0:1]
; %bb.197:                              ;   in Loop: Header=BB370_10 Depth=1
	v_or_b32_e32 v112, 0x10000, v114
	v_cmp_eq_u32_sdwa s[0:1], v114, v3 src0_sel:WORD_0 src1_sel:DWORD
	s_nop 1
	v_cndmask_b32_e64 v112, v112, v114, s[0:1]
; %bb.198:                              ;   in Loop: Header=BB370_10 Depth=1
	s_or_b64 exec, exec, s[16:17]
	v_lshrrev_b32_e32 v9, 24, v9
	v_cvt_f32_fp8_sdwa v9, v9 src0_sel:BYTE_0
	s_nop 0
	v_mul_f32_e32 v114, s43, v9
	v_and_b32_e32 v9, 0x7f800000, v114
	v_cmp_ne_u32_e64 s[0:1], s45, v9
                                        ; implicit-def: $vgpr9
	s_and_saveexec_b64 s[16:17], s[0:1]
	s_xor_b64 s[0:1], exec, s[16:17]
; %bb.199:                              ;   in Loop: Header=BB370_10 Depth=1
	v_bfe_u32 v9, v114, 16, 1
	v_add3_u32 v9, v114, v9, s46
                                        ; implicit-def: $vgpr114
; %bb.200:                              ;   in Loop: Header=BB370_10 Depth=1
	s_andn2_saveexec_b64 s[16:17], s[0:1]
; %bb.201:                              ;   in Loop: Header=BB370_10 Depth=1
	v_or_b32_e32 v9, 0x10000, v114
	v_cmp_eq_u32_sdwa s[0:1], v114, v3 src0_sel:WORD_0 src1_sel:DWORD
	s_nop 1
	v_cndmask_b32_e64 v9, v9, v114, s[0:1]
; %bb.202:                              ;   in Loop: Header=BB370_10 Depth=1
	s_or_b64 exec, exec, s[16:17]
	v_and_b32_e32 v72, 0xffff0000, v72
	v_and_b32_e32 v73, 0xffff0000, v73
	;; [unrolled: 1-line block ×3, first 2 shown]
	v_mul_f32_e32 v72, v17, v72
	v_and_b32_e32 v74, 0xffff0000, v74
	v_and_b32_e32 v69, 0xffff0000, v69
	v_fmac_f32_e32 v72, v1, v68
	v_mul_f32_e32 v68, v19, v73
	v_and_b32_e32 v77, 0xffff0000, v77
	v_and_b32_e32 v76, 0xffff0000, v76
	;; [unrolled: 1-line block ×4, first 2 shown]
	v_fmac_f32_e32 v68, v14, v69
	v_mul_f32_e32 v69, v20, v74
	v_and_b32_e32 v81, 0xffff0000, v81
	v_and_b32_e32 v80, 0xffff0000, v80
	;; [unrolled: 1-line block ×4, first 2 shown]
	v_fmac_f32_e32 v69, v15, v70
	v_mul_f32_e32 v70, v21, v75
	v_fmac_f32_e32 v72, v23, v76
	v_fmac_f32_e32 v68, v24, v77
	v_and_b32_e32 v85, 0xffff0000, v85
	v_and_b32_e32 v84, 0xffff0000, v84
	v_and_b32_e32 v82, 0xffff0000, v82
	v_and_b32_e32 v79, 0xffff0000, v79
	v_fmac_f32_e32 v70, v16, v71
	v_fmac_f32_e32 v69, v25, v78
	v_fmac_f32_e32 v72, v27, v80
	v_fmac_f32_e32 v68, v28, v81
	v_and_b32_e32 v89, 0xffff0000, v89
	v_and_b32_e32 v88, 0xffff0000, v88
	v_and_b32_e32 v86, 0xffff0000, v86
	v_and_b32_e32 v83, 0xffff0000, v83
	v_fmac_f32_e32 v70, v26, v79
	v_fmac_f32_e32 v69, v29, v82
	;; [unrolled: 8-line block ×8, first 2 shown]
	v_fmac_f32_e32 v72, v55, v108
	v_fmac_f32_e32 v68, v56, v109
	v_and_b32_e32 v111, 0xffff0000, v111
	v_and_b32_e32 v112, 0xffff0000, v112
	v_fmac_f32_e32 v70, v54, v107
	v_fmac_f32_e32 v69, v57, v110
	;; [unrolled: 1-line block ×4, first 2 shown]
	v_and_b32_e32 v9, 0xffff0000, v9
	v_fmac_f32_e32 v70, v58, v111
	v_fmac_f32_e32 v69, v61, v112
	v_add_f32_e32 v8, v72, v68
	v_fmac_f32_e32 v70, v62, v9
	v_add_f32_e32 v8, v8, v69
	v_add_f32_e32 v8, v8, v70
	ds_bpermute_b32 v9, v64, v8
	s_and_saveexec_b64 s[16:17], vcc
	s_cbranch_execz .LBB370_9
; %bb.203:                              ;   in Loop: Header=BB370_10 Depth=1
	v_add_u32_e32 v68, s44, v65
	v_cvt_f32_i32_e32 v68, v68
	s_waitcnt lgkmcnt(0)
	v_add_f32_e32 v8, v8, v9
	v_cmp_gt_i32_e64 s[0:1], s33, v65
	v_max_f32_e32 v9, v63, v63
	v_mul_f32_e32 v68, s5, v68
	v_cndmask_b32_e64 v68, 0, v68, s[6:7]
	v_fmac_f32_e32 v68, s11, v8
	v_cndmask_b32_e64 v8, 0, v68, s[0:1]
	ds_write_b32 v66, v8
	v_max_f32_e32 v8, v9, v68
	v_cndmask_b32_e64 v63, v63, v8, s[0:1]
	s_branch .LBB370_9
.LBB370_204:
	s_or_b64 exec, exec, s[14:15]
.LBB370_205:
	s_or_b64 exec, exec, s[38:39]
	v_xor_b32_e32 v1, 32, v12
	v_cmp_lt_i32_e32 vcc, v1, v13
	v_xor_b32_e32 v4, 16, v12
	v_max_f32_e32 v3, v63, v63
	v_cndmask_b32_e32 v1, v12, v1, vcc
	v_lshlrev_b32_e32 v2, 2, v1
	ds_bpermute_b32 v1, v2, v63
	v_cmp_lt_i32_e32 vcc, v4, v13
	v_xor_b32_e32 v5, 8, v12
	v_xor_b32_e32 v6, 4, v12
	;; [unrolled: 1-line block ×3, first 2 shown]
	s_waitcnt lgkmcnt(0)
	v_max_f32_e32 v1, v1, v1
	v_max_f32_e32 v1, v3, v1
	v_cndmask_b32_e32 v3, v12, v4, vcc
	v_lshlrev_b32_e32 v3, 2, v3
	ds_bpermute_b32 v4, v3, v1
	v_cmp_lt_i32_e32 vcc, v5, v13
	s_waitcnt lgkmcnt(0)
	v_max_f32_e32 v4, v4, v4
	v_max_f32_e32 v1, v1, v4
	v_cndmask_b32_e32 v4, v12, v5, vcc
	v_lshlrev_b32_e32 v5, 2, v4
	ds_bpermute_b32 v4, v5, v1
	v_cmp_lt_i32_e32 vcc, v6, v13
	;; [unrolled: 7-line block ×3, first 2 shown]
	s_waitcnt lgkmcnt(0)
	v_max_f32_e32 v4, v4, v4
	v_max_f32_e32 v4, v1, v4
	v_cndmask_b32_e32 v1, v12, v7, vcc
	v_lshlrev_b32_e32 v24, 2, v1
	ds_bpermute_b32 v8, v24, v4
	v_and_b32_e32 v1, 63, v0
	v_cmp_eq_u32_e32 vcc, 0, v1
	v_lshlrev_b32_e32 v7, 2, v22
	s_and_saveexec_b64 s[0:1], vcc
	s_cbranch_execz .LBB370_207
; %bb.206:
	s_waitcnt lgkmcnt(0)
	v_max_f32_e32 v8, v8, v8
	v_max_f32_e32 v4, v4, v4
	;; [unrolled: 1-line block ×3, first 2 shown]
	ds_write_b32 v7, v4 offset:192
.LBB370_207:
	s_or_b64 exec, exec, s[0:1]
	v_cmp_gt_u32_e64 s[0:1], 2, v1
	v_mov_b32_e32 v4, 0xff7fffff
	s_waitcnt lgkmcnt(0)
	v_lshlrev_b32_e32 v8, 2, v1
	s_barrier
	s_and_saveexec_b64 s[6:7], s[0:1]
	s_cbranch_execz .LBB370_209
; %bb.208:
	ds_read_b32 v4, v8 offset:192
.LBB370_209:
	s_or_b64 exec, exec, s[6:7]
	v_xor_b32_e32 v9, 1, v12
	v_cmp_lt_i32_e64 s[6:7], v9, v13
	s_sub_i32 s3, s27, s3
	s_lshl_b32 s3, s3, 5
	v_cndmask_b32_e64 v9, v12, v9, s[6:7]
	v_lshlrev_b32_e32 v25, 2, v9
	s_waitcnt lgkmcnt(0)
	ds_bpermute_b32 v9, v25, v4
	v_max_f32_e32 v4, v4, v4
	s_add_i32 s3, s3, s40
	s_min_i32 s5, s3, s33
	s_sub_i32 s3, s5, s40
	s_waitcnt lgkmcnt(0)
	v_max_f32_e32 v9, v9, v9
	v_max_f32_e32 v4, v4, v9
	v_lshlrev_b32_e32 v9, 2, v12
	v_and_b32_e32 v9, 0xffffff00, v9
	ds_bpermute_b32 v4, v9, v4
	v_cmp_gt_i32_e64 s[6:7], s3, v0
	v_mov_b32_e32 v12, 0
	s_and_saveexec_b64 s[14:15], s[6:7]
	s_cbranch_execz .LBB370_213
; %bb.210:
	v_mov_b32_e32 v12, 0xd0
	v_lshl_add_u32 v13, v0, 2, v12
	s_mov_b64 s[16:17], 0
	v_mov_b32_e32 v12, 0
	v_mov_b32_e32 v14, v0
.LBB370_211:                            ; =>This Inner Loop Header: Depth=1
	ds_read_b32 v15, v13
	v_add_u32_e32 v14, 0x80, v14
	v_cmp_le_i32_e64 s[10:11], s3, v14
	s_or_b64 s[16:17], s[10:11], s[16:17]
	s_waitcnt lgkmcnt(0)
	v_sub_f32_e32 v15, v15, v4
	v_mul_f32_e32 v15, 0x3fb8aa3b, v15
	v_exp_f32_e32 v15, v15
	ds_write_b32 v13, v15
	v_add_f32_e32 v12, v12, v15
	v_add_u32_e32 v13, 0x200, v13
	s_andn2_b64 exec, exec, s[16:17]
	s_cbranch_execnz .LBB370_211
; %bb.212:
	s_or_b64 exec, exec, s[16:17]
.LBB370_213:
	s_or_b64 exec, exec, s[14:15]
	ds_bpermute_b32 v2, v2, v12
	s_waitcnt lgkmcnt(0)
	v_add_f32_e32 v2, v12, v2
	ds_bpermute_b32 v3, v3, v2
	s_waitcnt lgkmcnt(0)
	v_add_f32_e32 v2, v2, v3
	;; [unrolled: 3-line block ×6, first 2 shown]
	s_and_saveexec_b64 s[10:11], vcc
	s_cbranch_execz .LBB370_215
; %bb.214:
	ds_write_b32 v7, v2 offset:200
.LBB370_215:
	s_or_b64 exec, exec, s[10:11]
	s_waitcnt lgkmcnt(0)
	s_barrier
	s_and_saveexec_b64 s[10:11], s[0:1]
	s_cbranch_execz .LBB370_217
; %bb.216:
	ds_read_b32 v2, v8 offset:200
.LBB370_217:
	s_or_b64 exec, exec, s[10:11]
	s_waitcnt lgkmcnt(0)
	ds_bpermute_b32 v3, v25, v2
	s_waitcnt lgkmcnt(0)
	v_add_f32_e32 v2, v2, v3
	ds_bpermute_b32 v5, v9, v2
	s_and_saveexec_b64 s[0:1], s[6:7]
	s_cbranch_execz .LBB370_230
; %bb.218:
	s_waitcnt lgkmcnt(0)
	v_add_f32_e32 v2, 0x358637bd, v5
	v_div_scale_f32 v3, s[6:7], v2, v2, 1.0
	v_rcp_f32_e32 v6, v3
	v_div_scale_f32 v7, vcc, 1.0, v2, 1.0
	s_mov_b64 s[10:11], -1
	v_fma_f32 v8, -v3, v6, 1.0
	v_fmac_f32_e32 v6, v8, v6
	v_mul_f32_e32 v8, v7, v6
	v_fma_f32 v9, -v3, v8, v7
	v_fmac_f32_e32 v8, v9, v6
	v_fma_f32 v3, -v3, v8, v7
	v_div_fmas_f32 v3, v3, v6, v8
	v_div_fixup_f32 v2, v3, v2, 1.0
	v_xad_u32 v3, v0, -1, s5
	v_subrev_u32_e32 v6, s40, v3
	s_movk_i32 s5, 0x7f
	v_cmp_lt_u32_e32 vcc, s5, v6
	v_mov_b32_e32 v3, v0
	s_and_saveexec_b64 s[6:7], vcc
	s_cbranch_execz .LBB370_227
; %bb.219:
	v_lshrrev_b32_e32 v6, 7, v6
	v_add_u32_e32 v8, -1, v6
	v_lshrrev_b32_e32 v7, 1, v8
	v_mov_b32_e32 v3, v2
	v_add_u32_e32 v7, 1, v7
	v_cmp_lt_u32_e32 vcc, 13, v8
	v_mov_b32_e32 v12, 0
	s_and_saveexec_b64 s[10:11], vcc
	s_cbranch_execz .LBB370_223
; %bb.220:
	v_mov_b32_e32 v9, 0xd0
	v_and_b32_e32 v8, -8, v7
	v_lshl_add_u32 v9, v0, 2, v9
	s_mov_b32 s5, 0
	s_mov_b64 s[14:15], 0
.LBB370_221:                            ; =>This Inner Loop Header: Depth=1
	ds_read2st64_b32 v[12:13], v9 offset1:2
	ds_read2st64_b32 v[14:15], v9 offset0:4 offset1:6
	ds_read2st64_b32 v[16:17], v9 offset0:8 offset1:10
	;; [unrolled: 1-line block ×3, first 2 shown]
	v_add_u32_e32 v8, -8, v8
	s_waitcnt lgkmcnt(3)
	v_pk_mul_f32 v[12:13], v[2:3], v[12:13]
	s_waitcnt lgkmcnt(2)
	v_pk_mul_f32 v[14:15], v[2:3], v[14:15]
	ds_write2st64_b32 v9, v12, v13 offset1:2
	ds_write2st64_b32 v9, v14, v15 offset0:4 offset1:6
	ds_read2st64_b32 v[14:15], v9 offset0:16 offset1:18
	s_waitcnt lgkmcnt(4)
	v_pk_mul_f32 v[12:13], v[2:3], v[16:17]
	ds_write2st64_b32 v9, v12, v13 offset0:8 offset1:10
	s_waitcnt lgkmcnt(4)
	v_pk_mul_f32 v[12:13], v[2:3], v[20:21]
	ds_write2st64_b32 v9, v12, v13 offset0:12 offset1:14
	ds_read2st64_b32 v[12:13], v9 offset0:20 offset1:22
	s_waitcnt lgkmcnt(3)
	v_pk_mul_f32 v[14:15], v[2:3], v[14:15]
	ds_read2st64_b32 v[16:17], v9 offset0:24 offset1:26
	ds_write2st64_b32 v9, v14, v15 offset0:16 offset1:18
	ds_read2st64_b32 v[14:15], v9 offset0:28 offset1:30
	s_waitcnt lgkmcnt(3)
	v_pk_mul_f32 v[12:13], v[2:3], v[12:13]
	ds_write2st64_b32 v9, v12, v13 offset0:20 offset1:22
	s_waitcnt lgkmcnt(3)
	v_pk_mul_f32 v[12:13], v[2:3], v[16:17]
	ds_write2st64_b32 v9, v12, v13 offset0:24 offset1:26
	s_waitcnt lgkmcnt(2)
	v_pk_mul_f32 v[12:13], v[2:3], v[14:15]
	s_add_i32 s5, s5, 16
	v_cmp_eq_u32_e32 vcc, 0, v8
	ds_write2st64_b32 v9, v12, v13 offset0:28 offset1:30
	v_add_u32_e32 v9, 0x2000, v9
	s_or_b64 s[14:15], vcc, s[14:15]
	v_mov_b32_e32 v12, s5
	s_andn2_b64 exec, exec, s[14:15]
	s_cbranch_execnz .LBB370_221
; %bb.222:
	s_or_b64 exec, exec, s[14:15]
.LBB370_223:
	s_or_b64 exec, exec, s[10:11]
	v_and_b32_e32 v7, 7, v7
	v_cmp_ne_u32_e32 vcc, 0, v7
	s_and_saveexec_b64 s[10:11], vcc
	s_cbranch_execz .LBB370_226
; %bb.224:
	v_lshlrev_b32_e32 v8, 9, v12
	v_lshlrev_b32_e32 v9, 2, v0
	s_movk_i32 s5, 0xd0
	v_add3_u32 v8, v8, v9, s5
	s_mov_b64 s[14:15], 0
.LBB370_225:                            ; =>This Inner Loop Header: Depth=1
	ds_read2st64_b32 v[12:13], v8 offset1:2
	v_add_u32_e32 v7, -1, v7
	v_cmp_eq_u32_e32 vcc, 0, v7
	s_or_b64 s[14:15], vcc, s[14:15]
	s_waitcnt lgkmcnt(0)
	v_pk_mul_f32 v[12:13], v[2:3], v[12:13]
	ds_write2st64_b32 v8, v12, v13 offset1:2
	v_add_u32_e32 v8, 0x400, v8
	s_andn2_b64 exec, exec, s[14:15]
	s_cbranch_execnz .LBB370_225
.LBB370_226:
	s_or_b64 exec, exec, s[10:11]
	v_add_u32_e32 v6, 1, v6
	v_and_b32_e32 v7, 0x3fffffe, v6
	v_cmp_ne_u32_e32 vcc, v6, v7
	v_lshl_add_u32 v3, v7, 7, v0
	s_orn2_b64 s[10:11], vcc, exec
.LBB370_227:
	s_or_b64 exec, exec, s[6:7]
	s_and_b64 exec, exec, s[10:11]
	s_cbranch_execz .LBB370_230
; %bb.228:
	v_mov_b32_e32 v6, 0xd0
	v_lshl_add_u32 v6, v3, 2, v6
	s_mov_b64 s[6:7], 0
.LBB370_229:                            ; =>This Inner Loop Header: Depth=1
	ds_read_b32 v7, v6
	v_add_u32_e32 v3, 0x80, v3
	v_cmp_le_i32_e32 vcc, s3, v3
	s_or_b64 s[6:7], vcc, s[6:7]
	s_waitcnt lgkmcnt(0)
	v_mul_f32_e32 v7, v2, v7
	ds_write_b32 v6, v7
	v_add_u32_e32 v6, 0x200, v6
	s_andn2_b64 exec, exec, s[6:7]
	s_cbranch_execnz .LBB370_229
.LBB370_230:
	s_or_b64 exec, exec, s[0:1]
	v_cmp_eq_u32_e32 vcc, 0, v0
	s_waitcnt lgkmcnt(0)
	s_barrier
	s_and_saveexec_b64 s[0:1], vcc
	s_cbranch_execz .LBB370_232
; %bb.231:
	s_mul_i32 s3, s12, s24
	s_mul_i32 s6, s3, s25
	s_ashr_i32 s7, s6, 31
	s_lshl_b64 s[6:7], s[6:7], 2
	s_add_u32 s5, s22, s6
	s_mul_i32 s2, s12, s2
	s_addc_u32 s10, s23, s7
	s_ashr_i32 s3, s2, 31
	s_lshl_b64 s[2:3], s[2:3], 2
	s_add_u32 s14, s5, s2
	s_addc_u32 s15, s10, s3
	s_ashr_i32 s5, s4, 31
	s_lshl_b64 s[10:11], s[4:5], 2
	s_add_u32 s14, s14, s10
	s_addc_u32 s15, s15, s11
	s_add_u32 s5, s20, s6
	s_addc_u32 s6, s21, s7
	;; [unrolled: 2-line block ×3, first 2 shown]
	s_add_u32 s2, s2, s10
	v_mov_b32_e32 v2, 0
	s_addc_u32 s3, s3, s11
	global_store_dword v2, v4, s[14:15]
	global_store_dword v2, v5, s[2:3]
.LBB370_232:
	s_or_b64 exec, exec, s[0:1]
	v_mov_b32_e32 v13, 0
	v_and_b32_e32 v26, 3, v0
	v_mov_b32_e32 v12, 0
	v_mov_b32_e32 v15, 0
	;; [unrolled: 1-line block ×5, first 2 shown]
	s_and_saveexec_b64 s[2:3], s[8:9]
	s_cbranch_execz .LBB370_664
; %bb.233:
	s_ashr_i32 s1, s42, 31
	s_add_u32 s0, s36, s42
	v_and_b32_e32 v2, 24, v18
	s_addc_u32 s1, s37, s1
	s_load_dword s10, s[18:19], 0x0
	v_and_b32_e32 v18, 0x1f8, v18
	v_mov_b32_e32 v19, 0
	s_add_i32 s11, s41, -1
	v_lshl_add_u64 v[20:21], s[0:1], 0, v[18:19]
	v_lshl_add_u32 v3, v22, 5, s40
	s_lshl_b64 s[0:1], s[34:35], 2
	v_add3_u32 v18, v3, v2, 7
	v_lshlrev_b32_e32 v2, 5, v26
	s_add_u32 s0, s30, s0
	v_lshl_or_b32 v2, v22, 7, v2
	s_addc_u32 s1, s31, s1
	s_mov_b32 s5, s13
	v_add_u32_e32 v27, 0xd0, v2
	v_lshl_add_u64 v[22:23], v[10:11], 2, s[0:1]
	s_mov_b64 s[6:7], 0
	s_mov_b32 s13, 0x7f800000
	s_movk_i32 s14, 0x7fff
	v_mov_b32_e32 v16, 0
	v_mov_b32_e32 v17, 0
	;; [unrolled: 1-line block ×6, first 2 shown]
	s_branch .LBB370_235
.LBB370_234:                            ;   in Loop: Header=BB370_235 Depth=1
	s_or_b64 exec, exec, s[0:1]
	v_and_b32_e32 v39, 0xffff0000, v9
	v_and_b32_e32 v38, 0xffff0000, v7
	;; [unrolled: 1-line block ×8, first 2 shown]
	v_pk_add_f32 v[6:7], v[6:7], v[38:39]
	v_pk_add_f32 v[8:9], v[28:29], v[36:37]
	v_add_f32_e32 v6, v6, v7
	v_add_f32_e32 v6, v6, v8
	v_add_f32_e32 v6, v6, v9
	v_and_b32_e32 v29, 0xffff0000, v49
	v_and_b32_e32 v28, 0xffff0000, v47
	v_and_b32_e32 v37, 0xffff0000, v48
	v_and_b32_e32 v36, 0xffff0000, v46
	v_add_f32_e32 v16, v16, v6
	v_and_b32_e32 v7, 0xffff0000, v53
	v_and_b32_e32 v6, 0xffff0000, v51
	v_and_b32_e32 v9, 0xffff0000, v52
	v_and_b32_e32 v8, 0xffff0000, v50
	v_pk_add_f32 v[28:29], v[36:37], v[28:29]
	v_pk_add_f32 v[6:7], v[8:9], v[6:7]
	v_add_f32_e32 v8, v28, v29
	v_add_f32_e32 v6, v8, v6
	v_add_f32_e32 v6, v6, v7
	v_and_b32_e32 v29, 0xffff0000, v57
	v_and_b32_e32 v28, 0xffff0000, v55
	v_and_b32_e32 v37, 0xffff0000, v56
	v_and_b32_e32 v36, 0xffff0000, v54
	v_add_f32_e32 v17, v17, v6
	v_and_b32_e32 v7, 0xffff0000, v61
	v_and_b32_e32 v6, 0xffff0000, v59
	v_and_b32_e32 v9, 0xffff0000, v60
	v_and_b32_e32 v8, 0xffff0000, v58
	;; [unrolled: 14-line block ×5, first 2 shown]
	v_pk_add_f32 v[2:3], v[2:3], v[8:9]
	v_pk_add_f32 v[4:5], v[6:7], v[4:5]
	v_add_f32_e32 v2, v2, v3
	v_add_f32_e32 v2, v2, v4
	v_add_u32_e32 v10, 2, v10
	v_add_f32_e32 v2, v2, v5
	v_cmp_le_i32_e32 vcc, s27, v10
	v_add_f32_e32 v13, v13, v2
	v_add_u32_e32 v18, 64, v18
	v_add_u32_e32 v27, 0x100, v27
	s_or_b64 s[6:7], vcc, s[6:7]
	v_lshl_add_u64 v[22:23], v[22:23], 0, 8
	s_andn2_b64 exec, exec, s[6:7]
	s_cbranch_execz .LBB370_663
.LBB370_235:                            ; =>This Inner Loop Header: Depth=1
	global_load_dword v30, v[22:23], off
	ds_read2_b64 v[6:9], v27 offset1:1
	ds_read2_b64 v[2:5], v27 offset0:2 offset1:3
                                        ; implicit-def: $vgpr38
	s_waitcnt lgkmcnt(0)
	v_and_b32_e32 v11, 0x7f800000, v6
	v_cmp_ne_u32_e32 vcc, s13, v11
	s_and_saveexec_b64 s[0:1], vcc
	s_xor_b64 s[0:1], exec, s[0:1]
; %bb.236:                              ;   in Loop: Header=BB370_235 Depth=1
	v_bfe_u32 v11, v6, 16, 1
	v_add3_u32 v38, v6, v11, s14
; %bb.237:                              ;   in Loop: Header=BB370_235 Depth=1
	s_andn2_saveexec_b64 s[0:1], s[0:1]
; %bb.238:                              ;   in Loop: Header=BB370_235 Depth=1
	v_or_b32_e32 v11, 0x10000, v6
	v_cmp_eq_u32_sdwa vcc, v6, v19 src0_sel:WORD_0 src1_sel:DWORD
	s_nop 1
	v_cndmask_b32_e32 v38, v11, v6, vcc
; %bb.239:                              ;   in Loop: Header=BB370_235 Depth=1
	s_or_b64 exec, exec, s[0:1]
	v_and_b32_e32 v6, 0x7f800000, v7
	v_cmp_ne_u32_e32 vcc, s13, v6
                                        ; implicit-def: $vgpr39
	s_and_saveexec_b64 s[0:1], vcc
	s_xor_b64 s[0:1], exec, s[0:1]
; %bb.240:                              ;   in Loop: Header=BB370_235 Depth=1
	v_bfe_u32 v6, v7, 16, 1
	v_add3_u32 v39, v7, v6, s14
; %bb.241:                              ;   in Loop: Header=BB370_235 Depth=1
	s_andn2_saveexec_b64 s[0:1], s[0:1]
; %bb.242:                              ;   in Loop: Header=BB370_235 Depth=1
	v_or_b32_e32 v6, 0x10000, v7
	v_cmp_eq_u32_sdwa vcc, v7, v19 src0_sel:WORD_0 src1_sel:DWORD
	s_nop 1
	v_cndmask_b32_e32 v39, v6, v7, vcc
; %bb.243:                              ;   in Loop: Header=BB370_235 Depth=1
	s_or_b64 exec, exec, s[0:1]
	v_and_b32_e32 v6, 0x7f800000, v8
	v_cmp_ne_u32_e32 vcc, s13, v6
                                        ; implicit-def: $vgpr40
	s_and_saveexec_b64 s[0:1], vcc
	s_xor_b64 s[0:1], exec, s[0:1]
; %bb.244:                              ;   in Loop: Header=BB370_235 Depth=1
	v_bfe_u32 v6, v8, 16, 1
	v_add3_u32 v40, v8, v6, s14
; %bb.245:                              ;   in Loop: Header=BB370_235 Depth=1
	s_andn2_saveexec_b64 s[0:1], s[0:1]
; %bb.246:                              ;   in Loop: Header=BB370_235 Depth=1
	v_or_b32_e32 v6, 0x10000, v8
	v_cmp_eq_u32_sdwa vcc, v8, v19 src0_sel:WORD_0 src1_sel:DWORD
	s_nop 1
	v_cndmask_b32_e32 v40, v6, v8, vcc
; %bb.247:                              ;   in Loop: Header=BB370_235 Depth=1
	s_or_b64 exec, exec, s[0:1]
	v_and_b32_e32 v6, 0x7f800000, v9
	v_cmp_ne_u32_e32 vcc, s13, v6
                                        ; implicit-def: $vgpr41
	s_and_saveexec_b64 s[0:1], vcc
	s_xor_b64 s[0:1], exec, s[0:1]
; %bb.248:                              ;   in Loop: Header=BB370_235 Depth=1
	v_bfe_u32 v6, v9, 16, 1
	v_add3_u32 v41, v9, v6, s14
                                        ; implicit-def: $vgpr6_vgpr7_vgpr8_vgpr9
; %bb.249:                              ;   in Loop: Header=BB370_235 Depth=1
	s_andn2_saveexec_b64 s[0:1], s[0:1]
; %bb.250:                              ;   in Loop: Header=BB370_235 Depth=1
	v_or_b32_e32 v6, 0x10000, v9
	v_cmp_eq_u32_sdwa vcc, v9, v19 src0_sel:WORD_0 src1_sel:DWORD
	s_nop 1
	v_cndmask_b32_e32 v41, v6, v9, vcc
; %bb.251:                              ;   in Loop: Header=BB370_235 Depth=1
	s_or_b64 exec, exec, s[0:1]
	v_and_b32_e32 v6, 0x7f800000, v2
	v_cmp_ne_u32_e32 vcc, s13, v6
                                        ; implicit-def: $vgpr11
	s_and_saveexec_b64 s[0:1], vcc
	s_xor_b64 s[0:1], exec, s[0:1]
; %bb.252:                              ;   in Loop: Header=BB370_235 Depth=1
	v_bfe_u32 v6, v2, 16, 1
	v_add3_u32 v11, v2, v6, s14
; %bb.253:                              ;   in Loop: Header=BB370_235 Depth=1
	s_andn2_saveexec_b64 s[0:1], s[0:1]
; %bb.254:                              ;   in Loop: Header=BB370_235 Depth=1
	v_or_b32_e32 v6, 0x10000, v2
	v_cmp_eq_u32_sdwa vcc, v2, v19 src0_sel:WORD_0 src1_sel:DWORD
	s_nop 1
	v_cndmask_b32_e32 v11, v6, v2, vcc
; %bb.255:                              ;   in Loop: Header=BB370_235 Depth=1
	s_or_b64 exec, exec, s[0:1]
	v_and_b32_e32 v2, 0x7f800000, v3
	v_cmp_ne_u32_e32 vcc, s13, v2
                                        ; implicit-def: $vgpr28
	s_and_saveexec_b64 s[0:1], vcc
	s_xor_b64 s[0:1], exec, s[0:1]
; %bb.256:                              ;   in Loop: Header=BB370_235 Depth=1
	v_bfe_u32 v2, v3, 16, 1
	v_add3_u32 v28, v3, v2, s14
; %bb.257:                              ;   in Loop: Header=BB370_235 Depth=1
	s_andn2_saveexec_b64 s[0:1], s[0:1]
; %bb.258:                              ;   in Loop: Header=BB370_235 Depth=1
	v_or_b32_e32 v2, 0x10000, v3
	v_cmp_eq_u32_sdwa vcc, v3, v19 src0_sel:WORD_0 src1_sel:DWORD
	s_nop 1
	v_cndmask_b32_e32 v28, v2, v3, vcc
; %bb.259:                              ;   in Loop: Header=BB370_235 Depth=1
	s_or_b64 exec, exec, s[0:1]
	v_and_b32_e32 v2, 0x7f800000, v4
	v_cmp_ne_u32_e32 vcc, s13, v2
                                        ; implicit-def: $vgpr29
	s_and_saveexec_b64 s[0:1], vcc
	s_xor_b64 s[0:1], exec, s[0:1]
; %bb.260:                              ;   in Loop: Header=BB370_235 Depth=1
	v_bfe_u32 v2, v4, 16, 1
	v_add3_u32 v29, v4, v2, s14
; %bb.261:                              ;   in Loop: Header=BB370_235 Depth=1
	s_andn2_saveexec_b64 s[0:1], s[0:1]
; %bb.262:                              ;   in Loop: Header=BB370_235 Depth=1
	v_or_b32_e32 v2, 0x10000, v4
	v_cmp_eq_u32_sdwa vcc, v4, v19 src0_sel:WORD_0 src1_sel:DWORD
	s_nop 1
	v_cndmask_b32_e32 v29, v2, v4, vcc
; %bb.263:                              ;   in Loop: Header=BB370_235 Depth=1
	s_or_b64 exec, exec, s[0:1]
	v_and_b32_e32 v2, 0x7f800000, v5
	v_cmp_ne_u32_e32 vcc, s13, v2
                                        ; implicit-def: $vgpr37
	s_and_saveexec_b64 s[0:1], vcc
	s_xor_b64 s[0:1], exec, s[0:1]
; %bb.264:                              ;   in Loop: Header=BB370_235 Depth=1
	v_bfe_u32 v2, v5, 16, 1
	v_add3_u32 v37, v5, v2, s14
                                        ; implicit-def: $vgpr2_vgpr3_vgpr4_vgpr5
; %bb.265:                              ;   in Loop: Header=BB370_235 Depth=1
	s_andn2_saveexec_b64 s[0:1], s[0:1]
; %bb.266:                              ;   in Loop: Header=BB370_235 Depth=1
	v_or_b32_e32 v2, 0x10000, v5
	v_cmp_eq_u32_sdwa vcc, v5, v19 src0_sel:WORD_0 src1_sel:DWORD
	s_nop 1
	v_cndmask_b32_e32 v37, v2, v5, vcc
; %bb.267:                              ;   in Loop: Header=BB370_235 Depth=1
	s_or_b64 exec, exec, s[0:1]
	s_waitcnt vmcnt(0)
	v_mad_i64_i32 v[2:3], s[0:1], v30, s5, v[20:21]
	global_load_dwordx2 v[4:5], v[2:3], off
	s_waitcnt vmcnt(0)
	v_and_b32_e32 v6, 0xff, v4
	v_cvt_f32_fp8_sdwa v6, v6 src0_sel:BYTE_0
	s_nop 0
	v_mul_f32_e32 v7, s10, v6
	v_and_b32_e32 v6, 0x7f800000, v7
	v_cmp_ne_u32_e32 vcc, s13, v6
                                        ; implicit-def: $vgpr6
	s_and_saveexec_b64 s[0:1], vcc
	s_xor_b64 s[0:1], exec, s[0:1]
; %bb.268:                              ;   in Loop: Header=BB370_235 Depth=1
	v_bfe_u32 v6, v7, 16, 1
	v_add3_u32 v6, v7, v6, s14
                                        ; implicit-def: $vgpr7
; %bb.269:                              ;   in Loop: Header=BB370_235 Depth=1
	s_andn2_saveexec_b64 s[0:1], s[0:1]
; %bb.270:                              ;   in Loop: Header=BB370_235 Depth=1
	v_or_b32_e32 v6, 0x10000, v7
	v_cmp_eq_u32_sdwa vcc, v7, v19 src0_sel:WORD_0 src1_sel:DWORD
	s_nop 1
	v_cndmask_b32_e32 v6, v6, v7, vcc
; %bb.271:                              ;   in Loop: Header=BB370_235 Depth=1
	s_or_b64 exec, exec, s[0:1]
	v_bfe_u32 v7, v4, 8, 8
	v_cvt_f32_fp8_sdwa v7, v7 src0_sel:BYTE_0
	s_nop 0
	v_mul_f32_e32 v8, s10, v7
	v_and_b32_e32 v7, 0x7f800000, v8
	v_cmp_ne_u32_e32 vcc, s13, v7
                                        ; implicit-def: $vgpr7
	s_and_saveexec_b64 s[0:1], vcc
	s_xor_b64 s[0:1], exec, s[0:1]
; %bb.272:                              ;   in Loop: Header=BB370_235 Depth=1
	v_bfe_u32 v7, v8, 16, 1
	v_add3_u32 v7, v8, v7, s14
                                        ; implicit-def: $vgpr8
; %bb.273:                              ;   in Loop: Header=BB370_235 Depth=1
	s_andn2_saveexec_b64 s[0:1], s[0:1]
; %bb.274:                              ;   in Loop: Header=BB370_235 Depth=1
	v_or_b32_e32 v7, 0x10000, v8
	v_cmp_eq_u32_sdwa vcc, v8, v19 src0_sel:WORD_0 src1_sel:DWORD
	s_nop 1
	v_cndmask_b32_e32 v7, v7, v8, vcc
; %bb.275:                              ;   in Loop: Header=BB370_235 Depth=1
	s_or_b64 exec, exec, s[0:1]
	v_bfe_u32 v8, v4, 16, 8
	v_cvt_f32_fp8_sdwa v8, v8 src0_sel:BYTE_0
	s_nop 0
	v_mul_f32_e32 v9, s10, v8
	v_and_b32_e32 v8, 0x7f800000, v9
	v_cmp_ne_u32_e32 vcc, s13, v8
                                        ; implicit-def: $vgpr8
	s_and_saveexec_b64 s[0:1], vcc
	s_xor_b64 s[0:1], exec, s[0:1]
; %bb.276:                              ;   in Loop: Header=BB370_235 Depth=1
	v_bfe_u32 v8, v9, 16, 1
	v_add3_u32 v8, v9, v8, s14
                                        ; implicit-def: $vgpr9
; %bb.277:                              ;   in Loop: Header=BB370_235 Depth=1
	s_andn2_saveexec_b64 s[0:1], s[0:1]
; %bb.278:                              ;   in Loop: Header=BB370_235 Depth=1
	v_or_b32_e32 v8, 0x10000, v9
	v_cmp_eq_u32_sdwa vcc, v9, v19 src0_sel:WORD_0 src1_sel:DWORD
	s_nop 1
	v_cndmask_b32_e32 v8, v8, v9, vcc
; %bb.279:                              ;   in Loop: Header=BB370_235 Depth=1
	s_or_b64 exec, exec, s[0:1]
	v_lshrrev_b32_e32 v4, 24, v4
	v_cvt_f32_fp8_sdwa v4, v4 src0_sel:BYTE_0
	s_nop 0
	v_mul_f32_e32 v9, s10, v4
	v_and_b32_e32 v4, 0x7f800000, v9
	v_cmp_ne_u32_e32 vcc, s13, v4
                                        ; implicit-def: $vgpr4
	s_and_saveexec_b64 s[0:1], vcc
	s_xor_b64 s[0:1], exec, s[0:1]
; %bb.280:                              ;   in Loop: Header=BB370_235 Depth=1
	v_bfe_u32 v4, v9, 16, 1
	v_add3_u32 v4, v9, v4, s14
                                        ; implicit-def: $vgpr9
; %bb.281:                              ;   in Loop: Header=BB370_235 Depth=1
	s_andn2_saveexec_b64 s[0:1], s[0:1]
; %bb.282:                              ;   in Loop: Header=BB370_235 Depth=1
	v_or_b32_e32 v4, 0x10000, v9
	v_cmp_eq_u32_sdwa vcc, v9, v19 src0_sel:WORD_0 src1_sel:DWORD
	s_nop 1
	v_cndmask_b32_e32 v4, v4, v9, vcc
; %bb.283:                              ;   in Loop: Header=BB370_235 Depth=1
	s_or_b64 exec, exec, s[0:1]
	v_and_b32_e32 v9, 0xff, v5
	v_cvt_f32_fp8_sdwa v9, v9 src0_sel:BYTE_0
	s_nop 0
	v_mul_f32_e32 v30, s10, v9
	v_and_b32_e32 v9, 0x7f800000, v30
	v_cmp_ne_u32_e32 vcc, s13, v9
                                        ; implicit-def: $vgpr9
	s_and_saveexec_b64 s[0:1], vcc
	s_xor_b64 s[0:1], exec, s[0:1]
; %bb.284:                              ;   in Loop: Header=BB370_235 Depth=1
	v_bfe_u32 v9, v30, 16, 1
	v_add3_u32 v9, v30, v9, s14
                                        ; implicit-def: $vgpr30
; %bb.285:                              ;   in Loop: Header=BB370_235 Depth=1
	s_andn2_saveexec_b64 s[0:1], s[0:1]
; %bb.286:                              ;   in Loop: Header=BB370_235 Depth=1
	v_or_b32_e32 v9, 0x10000, v30
	v_cmp_eq_u32_sdwa vcc, v30, v19 src0_sel:WORD_0 src1_sel:DWORD
	s_nop 1
	v_cndmask_b32_e32 v9, v9, v30, vcc
; %bb.287:                              ;   in Loop: Header=BB370_235 Depth=1
	s_or_b64 exec, exec, s[0:1]
	v_bfe_u32 v30, v5, 8, 8
	v_cvt_f32_fp8_sdwa v30, v30 src0_sel:BYTE_0
	s_nop 0
	v_mul_f32_e32 v30, s10, v30
	v_and_b32_e32 v31, 0x7f800000, v30
	v_cmp_ne_u32_e32 vcc, s13, v31
                                        ; implicit-def: $vgpr31
	s_and_saveexec_b64 s[0:1], vcc
	s_xor_b64 s[0:1], exec, s[0:1]
; %bb.288:                              ;   in Loop: Header=BB370_235 Depth=1
	v_bfe_u32 v31, v30, 16, 1
	v_add3_u32 v31, v30, v31, s14
                                        ; implicit-def: $vgpr30
; %bb.289:                              ;   in Loop: Header=BB370_235 Depth=1
	s_andn2_saveexec_b64 s[0:1], s[0:1]
; %bb.290:                              ;   in Loop: Header=BB370_235 Depth=1
	v_or_b32_e32 v31, 0x10000, v30
	v_cmp_eq_u32_sdwa vcc, v30, v19 src0_sel:WORD_0 src1_sel:DWORD
	s_nop 1
	v_cndmask_b32_e32 v31, v31, v30, vcc
; %bb.291:                              ;   in Loop: Header=BB370_235 Depth=1
	s_or_b64 exec, exec, s[0:1]
	v_bfe_u32 v30, v5, 16, 8
	v_cvt_f32_fp8_sdwa v30, v30 src0_sel:BYTE_0
	s_nop 0
	v_mul_f32_e32 v30, s10, v30
	v_and_b32_e32 v32, 0x7f800000, v30
	v_cmp_ne_u32_e32 vcc, s13, v32
                                        ; implicit-def: $vgpr32
	s_and_saveexec_b64 s[0:1], vcc
	s_xor_b64 s[0:1], exec, s[0:1]
; %bb.292:                              ;   in Loop: Header=BB370_235 Depth=1
	v_bfe_u32 v32, v30, 16, 1
	v_add3_u32 v32, v30, v32, s14
                                        ; implicit-def: $vgpr30
; %bb.293:                              ;   in Loop: Header=BB370_235 Depth=1
	s_andn2_saveexec_b64 s[0:1], s[0:1]
; %bb.294:                              ;   in Loop: Header=BB370_235 Depth=1
	v_or_b32_e32 v32, 0x10000, v30
	v_cmp_eq_u32_sdwa vcc, v30, v19 src0_sel:WORD_0 src1_sel:DWORD
	s_nop 1
	v_cndmask_b32_e32 v32, v32, v30, vcc
; %bb.295:                              ;   in Loop: Header=BB370_235 Depth=1
	s_or_b64 exec, exec, s[0:1]
	v_lshrrev_b32_e32 v5, 24, v5
	v_cvt_f32_fp8_sdwa v5, v5 src0_sel:BYTE_0
                                        ; implicit-def: $vgpr33
	s_nop 0
	v_mul_f32_e32 v5, s10, v5
	v_and_b32_e32 v30, 0x7f800000, v5
	v_cmp_ne_u32_e32 vcc, s13, v30
	s_and_saveexec_b64 s[0:1], vcc
	s_xor_b64 s[0:1], exec, s[0:1]
; %bb.296:                              ;   in Loop: Header=BB370_235 Depth=1
	v_bfe_u32 v30, v5, 16, 1
	v_add3_u32 v33, v5, v30, s14
                                        ; implicit-def: $vgpr5
; %bb.297:                              ;   in Loop: Header=BB370_235 Depth=1
	s_andn2_saveexec_b64 s[0:1], s[0:1]
; %bb.298:                              ;   in Loop: Header=BB370_235 Depth=1
	v_or_b32_e32 v30, 0x10000, v5
	v_cmp_eq_u32_sdwa vcc, v5, v19 src0_sel:WORD_0 src1_sel:DWORD
	s_nop 1
	v_cndmask_b32_e32 v33, v30, v5, vcc
; %bb.299:                              ;   in Loop: Header=BB370_235 Depth=1
	s_or_b64 exec, exec, s[0:1]
	v_cmp_eq_u32_e32 vcc, s11, v10
	v_add_u32_e32 v30, -7, v18
	v_lshrrev_b32_e32 v44, 16, v31
	v_lshrrev_b32_e32 v43, 16, v9
	;; [unrolled: 1-line block ×8, first 2 shown]
	v_add_u32_e32 v36, -6, v18
	v_add_u32_e32 v35, -5, v18
	;; [unrolled: 1-line block ×6, first 2 shown]
	s_and_saveexec_b64 s[8:9], vcc
	s_cbranch_execz .LBB370_301
; %bb.300:                              ;   in Loop: Header=BB370_235 Depth=1
	v_cmp_gt_i32_e64 s[0:1], s33, v30
	s_nop 1
	v_cndmask_b32_e64 v6, 0, v6, s[0:1]
	v_cmp_gt_i32_e64 s[0:1], s33, v36
	s_nop 1
	v_cndmask_b32_e64 v7, 0, v7, s[0:1]
	;; [unrolled: 3-line block ×8, first 2 shown]
.LBB370_301:                            ;   in Loop: Header=BB370_235 Depth=1
	s_or_b64 exec, exec, s[8:9]
	v_and_b32_e32 v38, 0xffff0000, v38
	v_lshlrev_b32_e32 v6, 16, v6
	v_mul_f32_e32 v42, v38, v6
	v_and_b32_e32 v6, 0x7f800000, v42
	v_cmp_ne_u32_e64 s[0:1], s13, v6
                                        ; implicit-def: $vgpr6
	s_and_saveexec_b64 s[8:9], s[0:1]
	s_xor_b64 s[0:1], exec, s[8:9]
; %bb.302:                              ;   in Loop: Header=BB370_235 Depth=1
	v_bfe_u32 v6, v42, 16, 1
	v_add3_u32 v6, v42, v6, s14
                                        ; implicit-def: $vgpr42
; %bb.303:                              ;   in Loop: Header=BB370_235 Depth=1
	s_andn2_saveexec_b64 s[8:9], s[0:1]
; %bb.304:                              ;   in Loop: Header=BB370_235 Depth=1
	v_or_b32_e32 v6, 0x10000, v42
	v_cmp_eq_u32_sdwa s[0:1], v42, v19 src0_sel:WORD_0 src1_sel:DWORD
	s_nop 1
	v_cndmask_b32_e64 v6, v6, v42, s[0:1]
; %bb.305:                              ;   in Loop: Header=BB370_235 Depth=1
	s_or_b64 exec, exec, s[8:9]
	v_and_b32_e32 v39, 0xffff0000, v39
	v_lshlrev_b32_e32 v7, 16, v7
	v_mul_f32_e32 v42, v39, v7
	v_and_b32_e32 v7, 0x7f800000, v42
	v_cmp_ne_u32_e64 s[0:1], s13, v7
                                        ; implicit-def: $vgpr7
	s_and_saveexec_b64 s[8:9], s[0:1]
	s_xor_b64 s[0:1], exec, s[8:9]
; %bb.306:                              ;   in Loop: Header=BB370_235 Depth=1
	v_bfe_u32 v7, v42, 16, 1
	v_add3_u32 v7, v42, v7, s14
                                        ; implicit-def: $vgpr42
; %bb.307:                              ;   in Loop: Header=BB370_235 Depth=1
	s_andn2_saveexec_b64 s[8:9], s[0:1]
; %bb.308:                              ;   in Loop: Header=BB370_235 Depth=1
	v_or_b32_e32 v7, 0x10000, v42
	v_cmp_eq_u32_sdwa s[0:1], v42, v19 src0_sel:WORD_0 src1_sel:DWORD
	s_nop 1
	v_cndmask_b32_e64 v7, v7, v42, s[0:1]
; %bb.309:                              ;   in Loop: Header=BB370_235 Depth=1
	s_or_b64 exec, exec, s[8:9]
	v_and_b32_e32 v40, 0xffff0000, v40
	v_lshlrev_b32_e32 v8, 16, v8
	v_mul_f32_e32 v42, v40, v8
	v_and_b32_e32 v8, 0x7f800000, v42
	v_cmp_ne_u32_e64 s[0:1], s13, v8
                                        ; implicit-def: $vgpr8
	s_and_saveexec_b64 s[8:9], s[0:1]
	s_xor_b64 s[0:1], exec, s[8:9]
; %bb.310:                              ;   in Loop: Header=BB370_235 Depth=1
	v_bfe_u32 v8, v42, 16, 1
	v_add3_u32 v8, v42, v8, s14
                                        ; implicit-def: $vgpr42
; %bb.311:                              ;   in Loop: Header=BB370_235 Depth=1
	s_andn2_saveexec_b64 s[8:9], s[0:1]
; %bb.312:                              ;   in Loop: Header=BB370_235 Depth=1
	v_or_b32_e32 v8, 0x10000, v42
	v_cmp_eq_u32_sdwa s[0:1], v42, v19 src0_sel:WORD_0 src1_sel:DWORD
	s_nop 1
	v_cndmask_b32_e64 v8, v8, v42, s[0:1]
; %bb.313:                              ;   in Loop: Header=BB370_235 Depth=1
	s_or_b64 exec, exec, s[8:9]
	v_and_b32_e32 v41, 0xffff0000, v41
	v_lshlrev_b32_e32 v9, 16, v9
	v_mul_f32_e32 v42, v41, v9
	v_and_b32_e32 v9, 0x7f800000, v42
	v_cmp_ne_u32_e64 s[0:1], s13, v9
                                        ; implicit-def: $vgpr9
	s_and_saveexec_b64 s[8:9], s[0:1]
	s_xor_b64 s[0:1], exec, s[8:9]
; %bb.314:                              ;   in Loop: Header=BB370_235 Depth=1
	v_bfe_u32 v9, v42, 16, 1
	v_add3_u32 v9, v42, v9, s14
                                        ; implicit-def: $vgpr42
; %bb.315:                              ;   in Loop: Header=BB370_235 Depth=1
	s_andn2_saveexec_b64 s[8:9], s[0:1]
; %bb.316:                              ;   in Loop: Header=BB370_235 Depth=1
	v_or_b32_e32 v9, 0x10000, v42
	v_cmp_eq_u32_sdwa s[0:1], v42, v19 src0_sel:WORD_0 src1_sel:DWORD
	s_nop 1
	v_cndmask_b32_e64 v9, v9, v42, s[0:1]
; %bb.317:                              ;   in Loop: Header=BB370_235 Depth=1
	s_or_b64 exec, exec, s[8:9]
	v_and_b32_e32 v42, 0xffff0000, v11
	v_lshlrev_b32_e32 v11, 16, v43
	v_mul_f32_e32 v43, v42, v11
	v_and_b32_e32 v11, 0x7f800000, v43
	v_cmp_ne_u32_e64 s[0:1], s13, v11
                                        ; implicit-def: $vgpr11
	s_and_saveexec_b64 s[8:9], s[0:1]
	s_xor_b64 s[0:1], exec, s[8:9]
; %bb.318:                              ;   in Loop: Header=BB370_235 Depth=1
	v_bfe_u32 v11, v43, 16, 1
	v_add3_u32 v11, v43, v11, s14
                                        ; implicit-def: $vgpr43
; %bb.319:                              ;   in Loop: Header=BB370_235 Depth=1
	s_andn2_saveexec_b64 s[8:9], s[0:1]
; %bb.320:                              ;   in Loop: Header=BB370_235 Depth=1
	v_or_b32_e32 v11, 0x10000, v43
	v_cmp_eq_u32_sdwa s[0:1], v43, v19 src0_sel:WORD_0 src1_sel:DWORD
	s_nop 1
	v_cndmask_b32_e64 v11, v11, v43, s[0:1]
; %bb.321:                              ;   in Loop: Header=BB370_235 Depth=1
	s_or_b64 exec, exec, s[8:9]
	v_and_b32_e32 v43, 0xffff0000, v28
	v_lshlrev_b32_e32 v28, 16, v44
	v_mul_f32_e32 v44, v43, v28
	v_and_b32_e32 v28, 0x7f800000, v44
	v_cmp_ne_u32_e64 s[0:1], s13, v28
                                        ; implicit-def: $vgpr28
	s_and_saveexec_b64 s[8:9], s[0:1]
	s_xor_b64 s[0:1], exec, s[8:9]
; %bb.322:                              ;   in Loop: Header=BB370_235 Depth=1
	v_bfe_u32 v28, v44, 16, 1
	v_add3_u32 v28, v44, v28, s14
                                        ; implicit-def: $vgpr44
; %bb.323:                              ;   in Loop: Header=BB370_235 Depth=1
	s_andn2_saveexec_b64 s[8:9], s[0:1]
; %bb.324:                              ;   in Loop: Header=BB370_235 Depth=1
	v_or_b32_e32 v28, 0x10000, v44
	v_cmp_eq_u32_sdwa s[0:1], v44, v19 src0_sel:WORD_0 src1_sel:DWORD
	s_nop 1
	v_cndmask_b32_e64 v28, v28, v44, s[0:1]
; %bb.325:                              ;   in Loop: Header=BB370_235 Depth=1
	s_or_b64 exec, exec, s[8:9]
	v_and_b32_e32 v44, 0xffff0000, v29
	v_lshlrev_b32_e32 v5, 16, v5
	v_mul_f32_e32 v5, v44, v5
	v_and_b32_e32 v29, 0x7f800000, v5
	v_cmp_ne_u32_e64 s[0:1], s13, v29
                                        ; implicit-def: $vgpr29
	s_and_saveexec_b64 s[8:9], s[0:1]
	s_xor_b64 s[0:1], exec, s[8:9]
; %bb.326:                              ;   in Loop: Header=BB370_235 Depth=1
	v_bfe_u32 v29, v5, 16, 1
	v_add3_u32 v29, v5, v29, s14
                                        ; implicit-def: $vgpr5
; %bb.327:                              ;   in Loop: Header=BB370_235 Depth=1
	s_andn2_saveexec_b64 s[8:9], s[0:1]
; %bb.328:                              ;   in Loop: Header=BB370_235 Depth=1
	v_or_b32_e32 v29, 0x10000, v5
	v_cmp_eq_u32_sdwa s[0:1], v5, v19 src0_sel:WORD_0 src1_sel:DWORD
	s_nop 1
	v_cndmask_b32_e64 v29, v29, v5, s[0:1]
; %bb.329:                              ;   in Loop: Header=BB370_235 Depth=1
	s_or_b64 exec, exec, s[8:9]
	v_and_b32_e32 v45, 0xffff0000, v37
	v_lshlrev_b32_e32 v4, 16, v4
	v_mul_f32_e32 v4, v45, v4
	v_and_b32_e32 v5, 0x7f800000, v4
	v_cmp_ne_u32_e64 s[0:1], s13, v5
                                        ; implicit-def: $vgpr37
	s_and_saveexec_b64 s[8:9], s[0:1]
	s_xor_b64 s[0:1], exec, s[8:9]
; %bb.330:                              ;   in Loop: Header=BB370_235 Depth=1
	v_bfe_u32 v5, v4, 16, 1
	v_add3_u32 v37, v4, v5, s14
                                        ; implicit-def: $vgpr4
; %bb.331:                              ;   in Loop: Header=BB370_235 Depth=1
	s_andn2_saveexec_b64 s[8:9], s[0:1]
; %bb.332:                              ;   in Loop: Header=BB370_235 Depth=1
	v_or_b32_e32 v5, 0x10000, v4
	v_cmp_eq_u32_sdwa s[0:1], v4, v19 src0_sel:WORD_0 src1_sel:DWORD
	s_nop 1
	v_cndmask_b32_e64 v37, v5, v4, s[0:1]
; %bb.333:                              ;   in Loop: Header=BB370_235 Depth=1
	s_or_b64 exec, exec, s[8:9]
	global_load_dwordx2 v[4:5], v[2:3], off offset:512
	s_waitcnt vmcnt(0)
	v_and_b32_e32 v46, 0xff, v4
	v_cvt_f32_fp8_sdwa v46, v46 src0_sel:BYTE_0
	s_nop 0
	v_mul_f32_e32 v47, s10, v46
	v_and_b32_e32 v46, 0x7f800000, v47
	v_cmp_ne_u32_e64 s[0:1], s13, v46
                                        ; implicit-def: $vgpr46
	s_and_saveexec_b64 s[8:9], s[0:1]
	s_xor_b64 s[0:1], exec, s[8:9]
; %bb.334:                              ;   in Loop: Header=BB370_235 Depth=1
	v_bfe_u32 v46, v47, 16, 1
	v_add3_u32 v46, v47, v46, s14
                                        ; implicit-def: $vgpr47
; %bb.335:                              ;   in Loop: Header=BB370_235 Depth=1
	s_andn2_saveexec_b64 s[8:9], s[0:1]
; %bb.336:                              ;   in Loop: Header=BB370_235 Depth=1
	v_or_b32_e32 v46, 0x10000, v47
	v_cmp_eq_u32_sdwa s[0:1], v47, v19 src0_sel:WORD_0 src1_sel:DWORD
	s_nop 1
	v_cndmask_b32_e64 v46, v46, v47, s[0:1]
; %bb.337:                              ;   in Loop: Header=BB370_235 Depth=1
	s_or_b64 exec, exec, s[8:9]
	v_bfe_u32 v47, v4, 8, 8
	v_cvt_f32_fp8_sdwa v47, v47 src0_sel:BYTE_0
	s_nop 0
	v_mul_f32_e32 v48, s10, v47
	v_and_b32_e32 v47, 0x7f800000, v48
	v_cmp_ne_u32_e64 s[0:1], s13, v47
                                        ; implicit-def: $vgpr47
	s_and_saveexec_b64 s[8:9], s[0:1]
	s_xor_b64 s[0:1], exec, s[8:9]
; %bb.338:                              ;   in Loop: Header=BB370_235 Depth=1
	v_bfe_u32 v47, v48, 16, 1
	v_add3_u32 v47, v48, v47, s14
                                        ; implicit-def: $vgpr48
; %bb.339:                              ;   in Loop: Header=BB370_235 Depth=1
	s_andn2_saveexec_b64 s[8:9], s[0:1]
; %bb.340:                              ;   in Loop: Header=BB370_235 Depth=1
	v_or_b32_e32 v47, 0x10000, v48
	v_cmp_eq_u32_sdwa s[0:1], v48, v19 src0_sel:WORD_0 src1_sel:DWORD
	s_nop 1
	v_cndmask_b32_e64 v47, v47, v48, s[0:1]
; %bb.341:                              ;   in Loop: Header=BB370_235 Depth=1
	s_or_b64 exec, exec, s[8:9]
	v_bfe_u32 v48, v4, 16, 8
	v_cvt_f32_fp8_sdwa v48, v48 src0_sel:BYTE_0
	s_nop 0
	v_mul_f32_e32 v49, s10, v48
	v_and_b32_e32 v48, 0x7f800000, v49
	v_cmp_ne_u32_e64 s[0:1], s13, v48
                                        ; implicit-def: $vgpr48
	s_and_saveexec_b64 s[8:9], s[0:1]
	s_xor_b64 s[0:1], exec, s[8:9]
; %bb.342:                              ;   in Loop: Header=BB370_235 Depth=1
	v_bfe_u32 v48, v49, 16, 1
	v_add3_u32 v48, v49, v48, s14
                                        ; implicit-def: $vgpr49
; %bb.343:                              ;   in Loop: Header=BB370_235 Depth=1
	s_andn2_saveexec_b64 s[8:9], s[0:1]
; %bb.344:                              ;   in Loop: Header=BB370_235 Depth=1
	v_or_b32_e32 v48, 0x10000, v49
	v_cmp_eq_u32_sdwa s[0:1], v49, v19 src0_sel:WORD_0 src1_sel:DWORD
	s_nop 1
	v_cndmask_b32_e64 v48, v48, v49, s[0:1]
; %bb.345:                              ;   in Loop: Header=BB370_235 Depth=1
	s_or_b64 exec, exec, s[8:9]
	v_lshrrev_b32_e32 v4, 24, v4
	v_cvt_f32_fp8_sdwa v4, v4 src0_sel:BYTE_0
	s_nop 0
	v_mul_f32_e32 v49, s10, v4
	v_and_b32_e32 v4, 0x7f800000, v49
	v_cmp_ne_u32_e64 s[0:1], s13, v4
                                        ; implicit-def: $vgpr4
	s_and_saveexec_b64 s[8:9], s[0:1]
	s_xor_b64 s[0:1], exec, s[8:9]
; %bb.346:                              ;   in Loop: Header=BB370_235 Depth=1
	v_bfe_u32 v4, v49, 16, 1
	v_add3_u32 v4, v49, v4, s14
                                        ; implicit-def: $vgpr49
; %bb.347:                              ;   in Loop: Header=BB370_235 Depth=1
	s_andn2_saveexec_b64 s[8:9], s[0:1]
; %bb.348:                              ;   in Loop: Header=BB370_235 Depth=1
	v_or_b32_e32 v4, 0x10000, v49
	v_cmp_eq_u32_sdwa s[0:1], v49, v19 src0_sel:WORD_0 src1_sel:DWORD
	s_nop 1
	v_cndmask_b32_e64 v4, v4, v49, s[0:1]
; %bb.349:                              ;   in Loop: Header=BB370_235 Depth=1
	s_or_b64 exec, exec, s[8:9]
	v_and_b32_e32 v49, 0xff, v5
	v_cvt_f32_fp8_sdwa v49, v49 src0_sel:BYTE_0
	s_nop 0
	v_mul_f32_e32 v50, s10, v49
	v_and_b32_e32 v49, 0x7f800000, v50
	v_cmp_ne_u32_e64 s[0:1], s13, v49
                                        ; implicit-def: $vgpr49
	s_and_saveexec_b64 s[8:9], s[0:1]
	s_xor_b64 s[0:1], exec, s[8:9]
; %bb.350:                              ;   in Loop: Header=BB370_235 Depth=1
	v_bfe_u32 v49, v50, 16, 1
	v_add3_u32 v49, v50, v49, s14
                                        ; implicit-def: $vgpr50
; %bb.351:                              ;   in Loop: Header=BB370_235 Depth=1
	s_andn2_saveexec_b64 s[8:9], s[0:1]
; %bb.352:                              ;   in Loop: Header=BB370_235 Depth=1
	v_or_b32_e32 v49, 0x10000, v50
	v_cmp_eq_u32_sdwa s[0:1], v50, v19 src0_sel:WORD_0 src1_sel:DWORD
	s_nop 1
	v_cndmask_b32_e64 v49, v49, v50, s[0:1]
; %bb.353:                              ;   in Loop: Header=BB370_235 Depth=1
	s_or_b64 exec, exec, s[8:9]
	v_bfe_u32 v50, v5, 8, 8
	v_cvt_f32_fp8_sdwa v50, v50 src0_sel:BYTE_0
	s_nop 0
	v_mul_f32_e32 v51, s10, v50
	v_and_b32_e32 v50, 0x7f800000, v51
	v_cmp_ne_u32_e64 s[0:1], s13, v50
                                        ; implicit-def: $vgpr50
	s_and_saveexec_b64 s[8:9], s[0:1]
	s_xor_b64 s[0:1], exec, s[8:9]
; %bb.354:                              ;   in Loop: Header=BB370_235 Depth=1
	v_bfe_u32 v50, v51, 16, 1
	v_add3_u32 v50, v51, v50, s14
                                        ; implicit-def: $vgpr51
; %bb.355:                              ;   in Loop: Header=BB370_235 Depth=1
	s_andn2_saveexec_b64 s[8:9], s[0:1]
; %bb.356:                              ;   in Loop: Header=BB370_235 Depth=1
	v_or_b32_e32 v50, 0x10000, v51
	v_cmp_eq_u32_sdwa s[0:1], v51, v19 src0_sel:WORD_0 src1_sel:DWORD
	s_nop 1
	v_cndmask_b32_e64 v50, v50, v51, s[0:1]
; %bb.357:                              ;   in Loop: Header=BB370_235 Depth=1
	s_or_b64 exec, exec, s[8:9]
	v_bfe_u32 v51, v5, 16, 8
	v_cvt_f32_fp8_sdwa v51, v51 src0_sel:BYTE_0
	s_nop 0
	v_mul_f32_e32 v51, s10, v51
	v_and_b32_e32 v52, 0x7f800000, v51
	v_cmp_ne_u32_e64 s[0:1], s13, v52
                                        ; implicit-def: $vgpr52
	s_and_saveexec_b64 s[8:9], s[0:1]
	s_xor_b64 s[0:1], exec, s[8:9]
; %bb.358:                              ;   in Loop: Header=BB370_235 Depth=1
	v_bfe_u32 v52, v51, 16, 1
	v_add3_u32 v52, v51, v52, s14
                                        ; implicit-def: $vgpr51
; %bb.359:                              ;   in Loop: Header=BB370_235 Depth=1
	s_andn2_saveexec_b64 s[8:9], s[0:1]
; %bb.360:                              ;   in Loop: Header=BB370_235 Depth=1
	v_or_b32_e32 v52, 0x10000, v51
	v_cmp_eq_u32_sdwa s[0:1], v51, v19 src0_sel:WORD_0 src1_sel:DWORD
	s_nop 1
	v_cndmask_b32_e64 v52, v52, v51, s[0:1]
; %bb.361:                              ;   in Loop: Header=BB370_235 Depth=1
	s_or_b64 exec, exec, s[8:9]
	v_lshrrev_b32_e32 v5, 24, v5
	v_cvt_f32_fp8_sdwa v5, v5 src0_sel:BYTE_0
                                        ; implicit-def: $vgpr53
	s_nop 0
	v_mul_f32_e32 v5, s10, v5
	v_and_b32_e32 v51, 0x7f800000, v5
	v_cmp_ne_u32_e64 s[0:1], s13, v51
	s_and_saveexec_b64 s[8:9], s[0:1]
	s_xor_b64 s[0:1], exec, s[8:9]
; %bb.362:                              ;   in Loop: Header=BB370_235 Depth=1
	v_bfe_u32 v51, v5, 16, 1
	v_add3_u32 v53, v5, v51, s14
                                        ; implicit-def: $vgpr5
; %bb.363:                              ;   in Loop: Header=BB370_235 Depth=1
	s_andn2_saveexec_b64 s[8:9], s[0:1]
; %bb.364:                              ;   in Loop: Header=BB370_235 Depth=1
	v_or_b32_e32 v51, 0x10000, v5
	v_cmp_eq_u32_sdwa s[0:1], v5, v19 src0_sel:WORD_0 src1_sel:DWORD
	s_nop 1
	v_cndmask_b32_e64 v53, v51, v5, s[0:1]
; %bb.365:                              ;   in Loop: Header=BB370_235 Depth=1
	s_or_b64 exec, exec, s[8:9]
	v_lshrrev_b32_e32 v51, 16, v50
	v_lshrrev_b32_e32 v50, 16, v49
	v_lshrrev_b32_e32 v49, 16, v4
	v_lshrrev_b32_e32 v48, 16, v48
	v_lshrrev_b32_e32 v47, 16, v47
	v_lshrrev_b32_e32 v46, 16, v46
	v_lshrrev_b32_e32 v5, 16, v52
	v_lshrrev_b32_e32 v4, 16, v53
	s_and_saveexec_b64 s[8:9], vcc
	s_cbranch_execz .LBB370_367
; %bb.366:                              ;   in Loop: Header=BB370_235 Depth=1
	v_cmp_gt_i32_e64 s[0:1], s33, v30
	s_nop 1
	v_cndmask_b32_e64 v46, 0, v46, s[0:1]
	v_cmp_gt_i32_e64 s[0:1], s33, v36
	s_nop 1
	v_cndmask_b32_e64 v47, 0, v47, s[0:1]
	;; [unrolled: 3-line block ×8, first 2 shown]
.LBB370_367:                            ;   in Loop: Header=BB370_235 Depth=1
	s_or_b64 exec, exec, s[8:9]
	v_lshlrev_b32_e32 v46, 16, v46
	v_mul_f32_e32 v52, v38, v46
	v_and_b32_e32 v46, 0x7f800000, v52
	v_cmp_ne_u32_e64 s[0:1], s13, v46
                                        ; implicit-def: $vgpr46
	s_and_saveexec_b64 s[8:9], s[0:1]
	s_xor_b64 s[0:1], exec, s[8:9]
; %bb.368:                              ;   in Loop: Header=BB370_235 Depth=1
	v_bfe_u32 v46, v52, 16, 1
	v_add3_u32 v46, v52, v46, s14
                                        ; implicit-def: $vgpr52
; %bb.369:                              ;   in Loop: Header=BB370_235 Depth=1
	s_andn2_saveexec_b64 s[8:9], s[0:1]
; %bb.370:                              ;   in Loop: Header=BB370_235 Depth=1
	v_or_b32_e32 v46, 0x10000, v52
	v_cmp_eq_u32_sdwa s[0:1], v52, v19 src0_sel:WORD_0 src1_sel:DWORD
	s_nop 1
	v_cndmask_b32_e64 v46, v46, v52, s[0:1]
; %bb.371:                              ;   in Loop: Header=BB370_235 Depth=1
	s_or_b64 exec, exec, s[8:9]
	v_lshlrev_b32_e32 v47, 16, v47
	v_mul_f32_e32 v52, v39, v47
	v_and_b32_e32 v47, 0x7f800000, v52
	v_cmp_ne_u32_e64 s[0:1], s13, v47
                                        ; implicit-def: $vgpr47
	s_and_saveexec_b64 s[8:9], s[0:1]
	s_xor_b64 s[0:1], exec, s[8:9]
; %bb.372:                              ;   in Loop: Header=BB370_235 Depth=1
	v_bfe_u32 v47, v52, 16, 1
	v_add3_u32 v47, v52, v47, s14
                                        ; implicit-def: $vgpr52
; %bb.373:                              ;   in Loop: Header=BB370_235 Depth=1
	s_andn2_saveexec_b64 s[8:9], s[0:1]
; %bb.374:                              ;   in Loop: Header=BB370_235 Depth=1
	v_or_b32_e32 v47, 0x10000, v52
	v_cmp_eq_u32_sdwa s[0:1], v52, v19 src0_sel:WORD_0 src1_sel:DWORD
	s_nop 1
	v_cndmask_b32_e64 v47, v47, v52, s[0:1]
; %bb.375:                              ;   in Loop: Header=BB370_235 Depth=1
	s_or_b64 exec, exec, s[8:9]
	v_lshlrev_b32_e32 v48, 16, v48
	v_mul_f32_e32 v52, v40, v48
	v_and_b32_e32 v48, 0x7f800000, v52
	v_cmp_ne_u32_e64 s[0:1], s13, v48
                                        ; implicit-def: $vgpr48
	s_and_saveexec_b64 s[8:9], s[0:1]
	s_xor_b64 s[0:1], exec, s[8:9]
; %bb.376:                              ;   in Loop: Header=BB370_235 Depth=1
	v_bfe_u32 v48, v52, 16, 1
	v_add3_u32 v48, v52, v48, s14
                                        ; implicit-def: $vgpr52
; %bb.377:                              ;   in Loop: Header=BB370_235 Depth=1
	s_andn2_saveexec_b64 s[8:9], s[0:1]
; %bb.378:                              ;   in Loop: Header=BB370_235 Depth=1
	v_or_b32_e32 v48, 0x10000, v52
	v_cmp_eq_u32_sdwa s[0:1], v52, v19 src0_sel:WORD_0 src1_sel:DWORD
	s_nop 1
	v_cndmask_b32_e64 v48, v48, v52, s[0:1]
; %bb.379:                              ;   in Loop: Header=BB370_235 Depth=1
	s_or_b64 exec, exec, s[8:9]
	v_lshlrev_b32_e32 v49, 16, v49
	v_mul_f32_e32 v52, v41, v49
	v_and_b32_e32 v49, 0x7f800000, v52
	v_cmp_ne_u32_e64 s[0:1], s13, v49
                                        ; implicit-def: $vgpr49
	s_and_saveexec_b64 s[8:9], s[0:1]
	s_xor_b64 s[0:1], exec, s[8:9]
; %bb.380:                              ;   in Loop: Header=BB370_235 Depth=1
	v_bfe_u32 v49, v52, 16, 1
	v_add3_u32 v49, v52, v49, s14
                                        ; implicit-def: $vgpr52
; %bb.381:                              ;   in Loop: Header=BB370_235 Depth=1
	s_andn2_saveexec_b64 s[8:9], s[0:1]
; %bb.382:                              ;   in Loop: Header=BB370_235 Depth=1
	v_or_b32_e32 v49, 0x10000, v52
	v_cmp_eq_u32_sdwa s[0:1], v52, v19 src0_sel:WORD_0 src1_sel:DWORD
	s_nop 1
	v_cndmask_b32_e64 v49, v49, v52, s[0:1]
; %bb.383:                              ;   in Loop: Header=BB370_235 Depth=1
	s_or_b64 exec, exec, s[8:9]
	v_lshlrev_b32_e32 v50, 16, v50
	v_mul_f32_e32 v52, v42, v50
	v_and_b32_e32 v50, 0x7f800000, v52
	v_cmp_ne_u32_e64 s[0:1], s13, v50
                                        ; implicit-def: $vgpr50
	s_and_saveexec_b64 s[8:9], s[0:1]
	s_xor_b64 s[0:1], exec, s[8:9]
; %bb.384:                              ;   in Loop: Header=BB370_235 Depth=1
	v_bfe_u32 v50, v52, 16, 1
	v_add3_u32 v50, v52, v50, s14
                                        ; implicit-def: $vgpr52
; %bb.385:                              ;   in Loop: Header=BB370_235 Depth=1
	s_andn2_saveexec_b64 s[8:9], s[0:1]
; %bb.386:                              ;   in Loop: Header=BB370_235 Depth=1
	v_or_b32_e32 v50, 0x10000, v52
	v_cmp_eq_u32_sdwa s[0:1], v52, v19 src0_sel:WORD_0 src1_sel:DWORD
	s_nop 1
	v_cndmask_b32_e64 v50, v50, v52, s[0:1]
; %bb.387:                              ;   in Loop: Header=BB370_235 Depth=1
	s_or_b64 exec, exec, s[8:9]
	v_lshlrev_b32_e32 v51, 16, v51
	v_mul_f32_e32 v52, v43, v51
	v_and_b32_e32 v51, 0x7f800000, v52
	v_cmp_ne_u32_e64 s[0:1], s13, v51
                                        ; implicit-def: $vgpr51
	s_and_saveexec_b64 s[8:9], s[0:1]
	s_xor_b64 s[0:1], exec, s[8:9]
; %bb.388:                              ;   in Loop: Header=BB370_235 Depth=1
	v_bfe_u32 v51, v52, 16, 1
	v_add3_u32 v51, v52, v51, s14
                                        ; implicit-def: $vgpr52
; %bb.389:                              ;   in Loop: Header=BB370_235 Depth=1
	s_andn2_saveexec_b64 s[8:9], s[0:1]
; %bb.390:                              ;   in Loop: Header=BB370_235 Depth=1
	v_or_b32_e32 v51, 0x10000, v52
	v_cmp_eq_u32_sdwa s[0:1], v52, v19 src0_sel:WORD_0 src1_sel:DWORD
	s_nop 1
	v_cndmask_b32_e64 v51, v51, v52, s[0:1]
; %bb.391:                              ;   in Loop: Header=BB370_235 Depth=1
	s_or_b64 exec, exec, s[8:9]
	v_lshlrev_b32_e32 v5, 16, v5
	v_mul_f32_e32 v5, v44, v5
	v_and_b32_e32 v52, 0x7f800000, v5
	v_cmp_ne_u32_e64 s[0:1], s13, v52
                                        ; implicit-def: $vgpr52
	s_and_saveexec_b64 s[8:9], s[0:1]
	s_xor_b64 s[0:1], exec, s[8:9]
; %bb.392:                              ;   in Loop: Header=BB370_235 Depth=1
	v_bfe_u32 v52, v5, 16, 1
	v_add3_u32 v52, v5, v52, s14
                                        ; implicit-def: $vgpr5
; %bb.393:                              ;   in Loop: Header=BB370_235 Depth=1
	s_andn2_saveexec_b64 s[8:9], s[0:1]
; %bb.394:                              ;   in Loop: Header=BB370_235 Depth=1
	v_or_b32_e32 v52, 0x10000, v5
	v_cmp_eq_u32_sdwa s[0:1], v5, v19 src0_sel:WORD_0 src1_sel:DWORD
	s_nop 1
	v_cndmask_b32_e64 v52, v52, v5, s[0:1]
; %bb.395:                              ;   in Loop: Header=BB370_235 Depth=1
	s_or_b64 exec, exec, s[8:9]
	v_lshlrev_b32_e32 v4, 16, v4
	v_mul_f32_e32 v4, v45, v4
	v_and_b32_e32 v5, 0x7f800000, v4
	v_cmp_ne_u32_e64 s[0:1], s13, v5
                                        ; implicit-def: $vgpr53
	s_and_saveexec_b64 s[8:9], s[0:1]
	s_xor_b64 s[0:1], exec, s[8:9]
; %bb.396:                              ;   in Loop: Header=BB370_235 Depth=1
	v_bfe_u32 v5, v4, 16, 1
	v_add3_u32 v53, v4, v5, s14
                                        ; implicit-def: $vgpr4
; %bb.397:                              ;   in Loop: Header=BB370_235 Depth=1
	s_andn2_saveexec_b64 s[8:9], s[0:1]
; %bb.398:                              ;   in Loop: Header=BB370_235 Depth=1
	v_or_b32_e32 v5, 0x10000, v4
	v_cmp_eq_u32_sdwa s[0:1], v4, v19 src0_sel:WORD_0 src1_sel:DWORD
	s_nop 1
	v_cndmask_b32_e64 v53, v5, v4, s[0:1]
; %bb.399:                              ;   in Loop: Header=BB370_235 Depth=1
	s_or_b64 exec, exec, s[8:9]
	global_load_dwordx2 v[4:5], v[2:3], off offset:1024
	s_waitcnt vmcnt(0)
	v_and_b32_e32 v54, 0xff, v4
	v_cvt_f32_fp8_sdwa v54, v54 src0_sel:BYTE_0
	s_nop 0
	v_mul_f32_e32 v55, s10, v54
	v_and_b32_e32 v54, 0x7f800000, v55
	v_cmp_ne_u32_e64 s[0:1], s13, v54
                                        ; implicit-def: $vgpr54
	s_and_saveexec_b64 s[8:9], s[0:1]
	s_xor_b64 s[0:1], exec, s[8:9]
; %bb.400:                              ;   in Loop: Header=BB370_235 Depth=1
	v_bfe_u32 v54, v55, 16, 1
	v_add3_u32 v54, v55, v54, s14
                                        ; implicit-def: $vgpr55
; %bb.401:                              ;   in Loop: Header=BB370_235 Depth=1
	s_andn2_saveexec_b64 s[8:9], s[0:1]
; %bb.402:                              ;   in Loop: Header=BB370_235 Depth=1
	v_or_b32_e32 v54, 0x10000, v55
	v_cmp_eq_u32_sdwa s[0:1], v55, v19 src0_sel:WORD_0 src1_sel:DWORD
	s_nop 1
	v_cndmask_b32_e64 v54, v54, v55, s[0:1]
; %bb.403:                              ;   in Loop: Header=BB370_235 Depth=1
	s_or_b64 exec, exec, s[8:9]
	v_bfe_u32 v55, v4, 8, 8
	v_cvt_f32_fp8_sdwa v55, v55 src0_sel:BYTE_0
	s_nop 0
	v_mul_f32_e32 v56, s10, v55
	v_and_b32_e32 v55, 0x7f800000, v56
	v_cmp_ne_u32_e64 s[0:1], s13, v55
                                        ; implicit-def: $vgpr55
	s_and_saveexec_b64 s[8:9], s[0:1]
	s_xor_b64 s[0:1], exec, s[8:9]
; %bb.404:                              ;   in Loop: Header=BB370_235 Depth=1
	v_bfe_u32 v55, v56, 16, 1
	v_add3_u32 v55, v56, v55, s14
                                        ; implicit-def: $vgpr56
; %bb.405:                              ;   in Loop: Header=BB370_235 Depth=1
	s_andn2_saveexec_b64 s[8:9], s[0:1]
; %bb.406:                              ;   in Loop: Header=BB370_235 Depth=1
	v_or_b32_e32 v55, 0x10000, v56
	v_cmp_eq_u32_sdwa s[0:1], v56, v19 src0_sel:WORD_0 src1_sel:DWORD
	s_nop 1
	v_cndmask_b32_e64 v55, v55, v56, s[0:1]
; %bb.407:                              ;   in Loop: Header=BB370_235 Depth=1
	s_or_b64 exec, exec, s[8:9]
	v_bfe_u32 v56, v4, 16, 8
	v_cvt_f32_fp8_sdwa v56, v56 src0_sel:BYTE_0
	s_nop 0
	v_mul_f32_e32 v57, s10, v56
	v_and_b32_e32 v56, 0x7f800000, v57
	v_cmp_ne_u32_e64 s[0:1], s13, v56
                                        ; implicit-def: $vgpr56
	s_and_saveexec_b64 s[8:9], s[0:1]
	s_xor_b64 s[0:1], exec, s[8:9]
; %bb.408:                              ;   in Loop: Header=BB370_235 Depth=1
	v_bfe_u32 v56, v57, 16, 1
	v_add3_u32 v56, v57, v56, s14
                                        ; implicit-def: $vgpr57
; %bb.409:                              ;   in Loop: Header=BB370_235 Depth=1
	s_andn2_saveexec_b64 s[8:9], s[0:1]
; %bb.410:                              ;   in Loop: Header=BB370_235 Depth=1
	v_or_b32_e32 v56, 0x10000, v57
	v_cmp_eq_u32_sdwa s[0:1], v57, v19 src0_sel:WORD_0 src1_sel:DWORD
	s_nop 1
	v_cndmask_b32_e64 v56, v56, v57, s[0:1]
; %bb.411:                              ;   in Loop: Header=BB370_235 Depth=1
	s_or_b64 exec, exec, s[8:9]
	v_lshrrev_b32_e32 v4, 24, v4
	v_cvt_f32_fp8_sdwa v4, v4 src0_sel:BYTE_0
	s_nop 0
	v_mul_f32_e32 v57, s10, v4
	v_and_b32_e32 v4, 0x7f800000, v57
	v_cmp_ne_u32_e64 s[0:1], s13, v4
                                        ; implicit-def: $vgpr4
	s_and_saveexec_b64 s[8:9], s[0:1]
	s_xor_b64 s[0:1], exec, s[8:9]
; %bb.412:                              ;   in Loop: Header=BB370_235 Depth=1
	v_bfe_u32 v4, v57, 16, 1
	v_add3_u32 v4, v57, v4, s14
                                        ; implicit-def: $vgpr57
; %bb.413:                              ;   in Loop: Header=BB370_235 Depth=1
	s_andn2_saveexec_b64 s[8:9], s[0:1]
; %bb.414:                              ;   in Loop: Header=BB370_235 Depth=1
	v_or_b32_e32 v4, 0x10000, v57
	v_cmp_eq_u32_sdwa s[0:1], v57, v19 src0_sel:WORD_0 src1_sel:DWORD
	s_nop 1
	v_cndmask_b32_e64 v4, v4, v57, s[0:1]
; %bb.415:                              ;   in Loop: Header=BB370_235 Depth=1
	s_or_b64 exec, exec, s[8:9]
	v_and_b32_e32 v57, 0xff, v5
	v_cvt_f32_fp8_sdwa v57, v57 src0_sel:BYTE_0
	s_nop 0
	v_mul_f32_e32 v58, s10, v57
	v_and_b32_e32 v57, 0x7f800000, v58
	v_cmp_ne_u32_e64 s[0:1], s13, v57
                                        ; implicit-def: $vgpr57
	s_and_saveexec_b64 s[8:9], s[0:1]
	s_xor_b64 s[0:1], exec, s[8:9]
; %bb.416:                              ;   in Loop: Header=BB370_235 Depth=1
	v_bfe_u32 v57, v58, 16, 1
	v_add3_u32 v57, v58, v57, s14
                                        ; implicit-def: $vgpr58
; %bb.417:                              ;   in Loop: Header=BB370_235 Depth=1
	s_andn2_saveexec_b64 s[8:9], s[0:1]
; %bb.418:                              ;   in Loop: Header=BB370_235 Depth=1
	v_or_b32_e32 v57, 0x10000, v58
	v_cmp_eq_u32_sdwa s[0:1], v58, v19 src0_sel:WORD_0 src1_sel:DWORD
	s_nop 1
	v_cndmask_b32_e64 v57, v57, v58, s[0:1]
; %bb.419:                              ;   in Loop: Header=BB370_235 Depth=1
	s_or_b64 exec, exec, s[8:9]
	v_bfe_u32 v58, v5, 8, 8
	v_cvt_f32_fp8_sdwa v58, v58 src0_sel:BYTE_0
	s_nop 0
	v_mul_f32_e32 v59, s10, v58
	v_and_b32_e32 v58, 0x7f800000, v59
	v_cmp_ne_u32_e64 s[0:1], s13, v58
                                        ; implicit-def: $vgpr58
	s_and_saveexec_b64 s[8:9], s[0:1]
	s_xor_b64 s[0:1], exec, s[8:9]
; %bb.420:                              ;   in Loop: Header=BB370_235 Depth=1
	v_bfe_u32 v58, v59, 16, 1
	v_add3_u32 v58, v59, v58, s14
                                        ; implicit-def: $vgpr59
; %bb.421:                              ;   in Loop: Header=BB370_235 Depth=1
	s_andn2_saveexec_b64 s[8:9], s[0:1]
; %bb.422:                              ;   in Loop: Header=BB370_235 Depth=1
	v_or_b32_e32 v58, 0x10000, v59
	v_cmp_eq_u32_sdwa s[0:1], v59, v19 src0_sel:WORD_0 src1_sel:DWORD
	s_nop 1
	v_cndmask_b32_e64 v58, v58, v59, s[0:1]
; %bb.423:                              ;   in Loop: Header=BB370_235 Depth=1
	s_or_b64 exec, exec, s[8:9]
	v_bfe_u32 v59, v5, 16, 8
	v_cvt_f32_fp8_sdwa v59, v59 src0_sel:BYTE_0
	s_nop 0
	v_mul_f32_e32 v59, s10, v59
	v_and_b32_e32 v60, 0x7f800000, v59
	v_cmp_ne_u32_e64 s[0:1], s13, v60
                                        ; implicit-def: $vgpr60
	s_and_saveexec_b64 s[8:9], s[0:1]
	s_xor_b64 s[0:1], exec, s[8:9]
; %bb.424:                              ;   in Loop: Header=BB370_235 Depth=1
	v_bfe_u32 v60, v59, 16, 1
	v_add3_u32 v60, v59, v60, s14
                                        ; implicit-def: $vgpr59
; %bb.425:                              ;   in Loop: Header=BB370_235 Depth=1
	s_andn2_saveexec_b64 s[8:9], s[0:1]
; %bb.426:                              ;   in Loop: Header=BB370_235 Depth=1
	v_or_b32_e32 v60, 0x10000, v59
	v_cmp_eq_u32_sdwa s[0:1], v59, v19 src0_sel:WORD_0 src1_sel:DWORD
	s_nop 1
	v_cndmask_b32_e64 v60, v60, v59, s[0:1]
; %bb.427:                              ;   in Loop: Header=BB370_235 Depth=1
	s_or_b64 exec, exec, s[8:9]
	v_lshrrev_b32_e32 v5, 24, v5
	v_cvt_f32_fp8_sdwa v5, v5 src0_sel:BYTE_0
                                        ; implicit-def: $vgpr61
	s_nop 0
	v_mul_f32_e32 v5, s10, v5
	v_and_b32_e32 v59, 0x7f800000, v5
	v_cmp_ne_u32_e64 s[0:1], s13, v59
	s_and_saveexec_b64 s[8:9], s[0:1]
	s_xor_b64 s[0:1], exec, s[8:9]
; %bb.428:                              ;   in Loop: Header=BB370_235 Depth=1
	v_bfe_u32 v59, v5, 16, 1
	v_add3_u32 v61, v5, v59, s14
                                        ; implicit-def: $vgpr5
; %bb.429:                              ;   in Loop: Header=BB370_235 Depth=1
	s_andn2_saveexec_b64 s[8:9], s[0:1]
; %bb.430:                              ;   in Loop: Header=BB370_235 Depth=1
	v_or_b32_e32 v59, 0x10000, v5
	v_cmp_eq_u32_sdwa s[0:1], v5, v19 src0_sel:WORD_0 src1_sel:DWORD
	s_nop 1
	v_cndmask_b32_e64 v61, v59, v5, s[0:1]
; %bb.431:                              ;   in Loop: Header=BB370_235 Depth=1
	s_or_b64 exec, exec, s[8:9]
	v_lshrrev_b32_e32 v59, 16, v58
	v_lshrrev_b32_e32 v58, 16, v57
	;; [unrolled: 1-line block ×8, first 2 shown]
	s_and_saveexec_b64 s[8:9], vcc
	s_cbranch_execz .LBB370_433
; %bb.432:                              ;   in Loop: Header=BB370_235 Depth=1
	v_cmp_gt_i32_e64 s[0:1], s33, v30
	s_nop 1
	v_cndmask_b32_e64 v54, 0, v54, s[0:1]
	v_cmp_gt_i32_e64 s[0:1], s33, v36
	s_nop 1
	v_cndmask_b32_e64 v55, 0, v55, s[0:1]
	;; [unrolled: 3-line block ×8, first 2 shown]
.LBB370_433:                            ;   in Loop: Header=BB370_235 Depth=1
	s_or_b64 exec, exec, s[8:9]
	v_lshlrev_b32_e32 v54, 16, v54
	v_mul_f32_e32 v60, v38, v54
	v_and_b32_e32 v54, 0x7f800000, v60
	v_cmp_ne_u32_e64 s[0:1], s13, v54
                                        ; implicit-def: $vgpr54
	s_and_saveexec_b64 s[8:9], s[0:1]
	s_xor_b64 s[0:1], exec, s[8:9]
; %bb.434:                              ;   in Loop: Header=BB370_235 Depth=1
	v_bfe_u32 v54, v60, 16, 1
	v_add3_u32 v54, v60, v54, s14
                                        ; implicit-def: $vgpr60
; %bb.435:                              ;   in Loop: Header=BB370_235 Depth=1
	s_andn2_saveexec_b64 s[8:9], s[0:1]
; %bb.436:                              ;   in Loop: Header=BB370_235 Depth=1
	v_or_b32_e32 v54, 0x10000, v60
	v_cmp_eq_u32_sdwa s[0:1], v60, v19 src0_sel:WORD_0 src1_sel:DWORD
	s_nop 1
	v_cndmask_b32_e64 v54, v54, v60, s[0:1]
; %bb.437:                              ;   in Loop: Header=BB370_235 Depth=1
	s_or_b64 exec, exec, s[8:9]
	v_lshlrev_b32_e32 v55, 16, v55
	v_mul_f32_e32 v60, v39, v55
	v_and_b32_e32 v55, 0x7f800000, v60
	v_cmp_ne_u32_e64 s[0:1], s13, v55
                                        ; implicit-def: $vgpr55
	s_and_saveexec_b64 s[8:9], s[0:1]
	s_xor_b64 s[0:1], exec, s[8:9]
; %bb.438:                              ;   in Loop: Header=BB370_235 Depth=1
	v_bfe_u32 v55, v60, 16, 1
	v_add3_u32 v55, v60, v55, s14
                                        ; implicit-def: $vgpr60
; %bb.439:                              ;   in Loop: Header=BB370_235 Depth=1
	s_andn2_saveexec_b64 s[8:9], s[0:1]
; %bb.440:                              ;   in Loop: Header=BB370_235 Depth=1
	v_or_b32_e32 v55, 0x10000, v60
	v_cmp_eq_u32_sdwa s[0:1], v60, v19 src0_sel:WORD_0 src1_sel:DWORD
	s_nop 1
	v_cndmask_b32_e64 v55, v55, v60, s[0:1]
; %bb.441:                              ;   in Loop: Header=BB370_235 Depth=1
	s_or_b64 exec, exec, s[8:9]
	v_lshlrev_b32_e32 v56, 16, v56
	v_mul_f32_e32 v60, v40, v56
	v_and_b32_e32 v56, 0x7f800000, v60
	v_cmp_ne_u32_e64 s[0:1], s13, v56
                                        ; implicit-def: $vgpr56
	s_and_saveexec_b64 s[8:9], s[0:1]
	s_xor_b64 s[0:1], exec, s[8:9]
; %bb.442:                              ;   in Loop: Header=BB370_235 Depth=1
	v_bfe_u32 v56, v60, 16, 1
	v_add3_u32 v56, v60, v56, s14
                                        ; implicit-def: $vgpr60
; %bb.443:                              ;   in Loop: Header=BB370_235 Depth=1
	s_andn2_saveexec_b64 s[8:9], s[0:1]
; %bb.444:                              ;   in Loop: Header=BB370_235 Depth=1
	v_or_b32_e32 v56, 0x10000, v60
	v_cmp_eq_u32_sdwa s[0:1], v60, v19 src0_sel:WORD_0 src1_sel:DWORD
	s_nop 1
	v_cndmask_b32_e64 v56, v56, v60, s[0:1]
; %bb.445:                              ;   in Loop: Header=BB370_235 Depth=1
	s_or_b64 exec, exec, s[8:9]
	v_lshlrev_b32_e32 v57, 16, v57
	v_mul_f32_e32 v60, v41, v57
	v_and_b32_e32 v57, 0x7f800000, v60
	v_cmp_ne_u32_e64 s[0:1], s13, v57
                                        ; implicit-def: $vgpr57
	s_and_saveexec_b64 s[8:9], s[0:1]
	s_xor_b64 s[0:1], exec, s[8:9]
; %bb.446:                              ;   in Loop: Header=BB370_235 Depth=1
	v_bfe_u32 v57, v60, 16, 1
	v_add3_u32 v57, v60, v57, s14
                                        ; implicit-def: $vgpr60
; %bb.447:                              ;   in Loop: Header=BB370_235 Depth=1
	s_andn2_saveexec_b64 s[8:9], s[0:1]
; %bb.448:                              ;   in Loop: Header=BB370_235 Depth=1
	v_or_b32_e32 v57, 0x10000, v60
	v_cmp_eq_u32_sdwa s[0:1], v60, v19 src0_sel:WORD_0 src1_sel:DWORD
	s_nop 1
	v_cndmask_b32_e64 v57, v57, v60, s[0:1]
; %bb.449:                              ;   in Loop: Header=BB370_235 Depth=1
	s_or_b64 exec, exec, s[8:9]
	v_lshlrev_b32_e32 v58, 16, v58
	v_mul_f32_e32 v60, v42, v58
	v_and_b32_e32 v58, 0x7f800000, v60
	v_cmp_ne_u32_e64 s[0:1], s13, v58
                                        ; implicit-def: $vgpr58
	s_and_saveexec_b64 s[8:9], s[0:1]
	s_xor_b64 s[0:1], exec, s[8:9]
; %bb.450:                              ;   in Loop: Header=BB370_235 Depth=1
	v_bfe_u32 v58, v60, 16, 1
	v_add3_u32 v58, v60, v58, s14
                                        ; implicit-def: $vgpr60
; %bb.451:                              ;   in Loop: Header=BB370_235 Depth=1
	s_andn2_saveexec_b64 s[8:9], s[0:1]
; %bb.452:                              ;   in Loop: Header=BB370_235 Depth=1
	v_or_b32_e32 v58, 0x10000, v60
	v_cmp_eq_u32_sdwa s[0:1], v60, v19 src0_sel:WORD_0 src1_sel:DWORD
	s_nop 1
	v_cndmask_b32_e64 v58, v58, v60, s[0:1]
; %bb.453:                              ;   in Loop: Header=BB370_235 Depth=1
	s_or_b64 exec, exec, s[8:9]
	v_lshlrev_b32_e32 v59, 16, v59
	v_mul_f32_e32 v60, v43, v59
	v_and_b32_e32 v59, 0x7f800000, v60
	v_cmp_ne_u32_e64 s[0:1], s13, v59
                                        ; implicit-def: $vgpr59
	s_and_saveexec_b64 s[8:9], s[0:1]
	s_xor_b64 s[0:1], exec, s[8:9]
; %bb.454:                              ;   in Loop: Header=BB370_235 Depth=1
	v_bfe_u32 v59, v60, 16, 1
	v_add3_u32 v59, v60, v59, s14
                                        ; implicit-def: $vgpr60
; %bb.455:                              ;   in Loop: Header=BB370_235 Depth=1
	s_andn2_saveexec_b64 s[8:9], s[0:1]
; %bb.456:                              ;   in Loop: Header=BB370_235 Depth=1
	v_or_b32_e32 v59, 0x10000, v60
	v_cmp_eq_u32_sdwa s[0:1], v60, v19 src0_sel:WORD_0 src1_sel:DWORD
	s_nop 1
	v_cndmask_b32_e64 v59, v59, v60, s[0:1]
; %bb.457:                              ;   in Loop: Header=BB370_235 Depth=1
	s_or_b64 exec, exec, s[8:9]
	v_lshlrev_b32_e32 v5, 16, v5
	v_mul_f32_e32 v5, v44, v5
	v_and_b32_e32 v60, 0x7f800000, v5
	v_cmp_ne_u32_e64 s[0:1], s13, v60
                                        ; implicit-def: $vgpr60
	s_and_saveexec_b64 s[8:9], s[0:1]
	s_xor_b64 s[0:1], exec, s[8:9]
; %bb.458:                              ;   in Loop: Header=BB370_235 Depth=1
	v_bfe_u32 v60, v5, 16, 1
	v_add3_u32 v60, v5, v60, s14
                                        ; implicit-def: $vgpr5
; %bb.459:                              ;   in Loop: Header=BB370_235 Depth=1
	s_andn2_saveexec_b64 s[8:9], s[0:1]
; %bb.460:                              ;   in Loop: Header=BB370_235 Depth=1
	v_or_b32_e32 v60, 0x10000, v5
	v_cmp_eq_u32_sdwa s[0:1], v5, v19 src0_sel:WORD_0 src1_sel:DWORD
	s_nop 1
	v_cndmask_b32_e64 v60, v60, v5, s[0:1]
; %bb.461:                              ;   in Loop: Header=BB370_235 Depth=1
	s_or_b64 exec, exec, s[8:9]
	v_lshlrev_b32_e32 v4, 16, v4
	v_mul_f32_e32 v4, v45, v4
	v_and_b32_e32 v5, 0x7f800000, v4
	v_cmp_ne_u32_e64 s[0:1], s13, v5
                                        ; implicit-def: $vgpr61
	s_and_saveexec_b64 s[8:9], s[0:1]
	s_xor_b64 s[0:1], exec, s[8:9]
; %bb.462:                              ;   in Loop: Header=BB370_235 Depth=1
	v_bfe_u32 v5, v4, 16, 1
	v_add3_u32 v61, v4, v5, s14
                                        ; implicit-def: $vgpr4
; %bb.463:                              ;   in Loop: Header=BB370_235 Depth=1
	s_andn2_saveexec_b64 s[8:9], s[0:1]
; %bb.464:                              ;   in Loop: Header=BB370_235 Depth=1
	v_or_b32_e32 v5, 0x10000, v4
	v_cmp_eq_u32_sdwa s[0:1], v4, v19 src0_sel:WORD_0 src1_sel:DWORD
	s_nop 1
	v_cndmask_b32_e64 v61, v5, v4, s[0:1]
; %bb.465:                              ;   in Loop: Header=BB370_235 Depth=1
	s_or_b64 exec, exec, s[8:9]
	global_load_dwordx2 v[4:5], v[2:3], off offset:1536
	s_waitcnt vmcnt(0)
	v_and_b32_e32 v62, 0xff, v4
	v_cvt_f32_fp8_sdwa v62, v62 src0_sel:BYTE_0
	s_nop 0
	v_mul_f32_e32 v63, s10, v62
	v_and_b32_e32 v62, 0x7f800000, v63
	v_cmp_ne_u32_e64 s[0:1], s13, v62
                                        ; implicit-def: $vgpr62
	s_and_saveexec_b64 s[8:9], s[0:1]
	s_xor_b64 s[0:1], exec, s[8:9]
; %bb.466:                              ;   in Loop: Header=BB370_235 Depth=1
	v_bfe_u32 v62, v63, 16, 1
	v_add3_u32 v62, v63, v62, s14
                                        ; implicit-def: $vgpr63
; %bb.467:                              ;   in Loop: Header=BB370_235 Depth=1
	s_andn2_saveexec_b64 s[8:9], s[0:1]
; %bb.468:                              ;   in Loop: Header=BB370_235 Depth=1
	v_or_b32_e32 v62, 0x10000, v63
	v_cmp_eq_u32_sdwa s[0:1], v63, v19 src0_sel:WORD_0 src1_sel:DWORD
	s_nop 1
	v_cndmask_b32_e64 v62, v62, v63, s[0:1]
; %bb.469:                              ;   in Loop: Header=BB370_235 Depth=1
	s_or_b64 exec, exec, s[8:9]
	v_bfe_u32 v63, v4, 8, 8
	v_cvt_f32_fp8_sdwa v63, v63 src0_sel:BYTE_0
	s_nop 0
	v_mul_f32_e32 v64, s10, v63
	v_and_b32_e32 v63, 0x7f800000, v64
	v_cmp_ne_u32_e64 s[0:1], s13, v63
                                        ; implicit-def: $vgpr63
	s_and_saveexec_b64 s[8:9], s[0:1]
	s_xor_b64 s[0:1], exec, s[8:9]
; %bb.470:                              ;   in Loop: Header=BB370_235 Depth=1
	v_bfe_u32 v63, v64, 16, 1
	v_add3_u32 v63, v64, v63, s14
                                        ; implicit-def: $vgpr64
; %bb.471:                              ;   in Loop: Header=BB370_235 Depth=1
	s_andn2_saveexec_b64 s[8:9], s[0:1]
; %bb.472:                              ;   in Loop: Header=BB370_235 Depth=1
	v_or_b32_e32 v63, 0x10000, v64
	v_cmp_eq_u32_sdwa s[0:1], v64, v19 src0_sel:WORD_0 src1_sel:DWORD
	s_nop 1
	v_cndmask_b32_e64 v63, v63, v64, s[0:1]
; %bb.473:                              ;   in Loop: Header=BB370_235 Depth=1
	s_or_b64 exec, exec, s[8:9]
	v_bfe_u32 v64, v4, 16, 8
	v_cvt_f32_fp8_sdwa v64, v64 src0_sel:BYTE_0
	s_nop 0
	v_mul_f32_e32 v65, s10, v64
	v_and_b32_e32 v64, 0x7f800000, v65
	v_cmp_ne_u32_e64 s[0:1], s13, v64
                                        ; implicit-def: $vgpr64
	s_and_saveexec_b64 s[8:9], s[0:1]
	s_xor_b64 s[0:1], exec, s[8:9]
; %bb.474:                              ;   in Loop: Header=BB370_235 Depth=1
	v_bfe_u32 v64, v65, 16, 1
	v_add3_u32 v64, v65, v64, s14
                                        ; implicit-def: $vgpr65
; %bb.475:                              ;   in Loop: Header=BB370_235 Depth=1
	s_andn2_saveexec_b64 s[8:9], s[0:1]
; %bb.476:                              ;   in Loop: Header=BB370_235 Depth=1
	v_or_b32_e32 v64, 0x10000, v65
	v_cmp_eq_u32_sdwa s[0:1], v65, v19 src0_sel:WORD_0 src1_sel:DWORD
	s_nop 1
	v_cndmask_b32_e64 v64, v64, v65, s[0:1]
; %bb.477:                              ;   in Loop: Header=BB370_235 Depth=1
	s_or_b64 exec, exec, s[8:9]
	v_lshrrev_b32_e32 v4, 24, v4
	v_cvt_f32_fp8_sdwa v4, v4 src0_sel:BYTE_0
	s_nop 0
	v_mul_f32_e32 v65, s10, v4
	v_and_b32_e32 v4, 0x7f800000, v65
	v_cmp_ne_u32_e64 s[0:1], s13, v4
                                        ; implicit-def: $vgpr4
	s_and_saveexec_b64 s[8:9], s[0:1]
	s_xor_b64 s[0:1], exec, s[8:9]
; %bb.478:                              ;   in Loop: Header=BB370_235 Depth=1
	v_bfe_u32 v4, v65, 16, 1
	v_add3_u32 v4, v65, v4, s14
                                        ; implicit-def: $vgpr65
; %bb.479:                              ;   in Loop: Header=BB370_235 Depth=1
	s_andn2_saveexec_b64 s[8:9], s[0:1]
; %bb.480:                              ;   in Loop: Header=BB370_235 Depth=1
	v_or_b32_e32 v4, 0x10000, v65
	v_cmp_eq_u32_sdwa s[0:1], v65, v19 src0_sel:WORD_0 src1_sel:DWORD
	s_nop 1
	v_cndmask_b32_e64 v4, v4, v65, s[0:1]
; %bb.481:                              ;   in Loop: Header=BB370_235 Depth=1
	s_or_b64 exec, exec, s[8:9]
	v_and_b32_e32 v65, 0xff, v5
	v_cvt_f32_fp8_sdwa v65, v65 src0_sel:BYTE_0
	s_nop 0
	v_mul_f32_e32 v66, s10, v65
	v_and_b32_e32 v65, 0x7f800000, v66
	v_cmp_ne_u32_e64 s[0:1], s13, v65
                                        ; implicit-def: $vgpr65
	s_and_saveexec_b64 s[8:9], s[0:1]
	s_xor_b64 s[0:1], exec, s[8:9]
; %bb.482:                              ;   in Loop: Header=BB370_235 Depth=1
	v_bfe_u32 v65, v66, 16, 1
	v_add3_u32 v65, v66, v65, s14
                                        ; implicit-def: $vgpr66
; %bb.483:                              ;   in Loop: Header=BB370_235 Depth=1
	s_andn2_saveexec_b64 s[8:9], s[0:1]
; %bb.484:                              ;   in Loop: Header=BB370_235 Depth=1
	v_or_b32_e32 v65, 0x10000, v66
	v_cmp_eq_u32_sdwa s[0:1], v66, v19 src0_sel:WORD_0 src1_sel:DWORD
	s_nop 1
	v_cndmask_b32_e64 v65, v65, v66, s[0:1]
; %bb.485:                              ;   in Loop: Header=BB370_235 Depth=1
	s_or_b64 exec, exec, s[8:9]
	v_bfe_u32 v66, v5, 8, 8
	v_cvt_f32_fp8_sdwa v66, v66 src0_sel:BYTE_0
	s_nop 0
	v_mul_f32_e32 v67, s10, v66
	v_and_b32_e32 v66, 0x7f800000, v67
	v_cmp_ne_u32_e64 s[0:1], s13, v66
                                        ; implicit-def: $vgpr66
	s_and_saveexec_b64 s[8:9], s[0:1]
	s_xor_b64 s[0:1], exec, s[8:9]
; %bb.486:                              ;   in Loop: Header=BB370_235 Depth=1
	v_bfe_u32 v66, v67, 16, 1
	v_add3_u32 v66, v67, v66, s14
                                        ; implicit-def: $vgpr67
; %bb.487:                              ;   in Loop: Header=BB370_235 Depth=1
	s_andn2_saveexec_b64 s[8:9], s[0:1]
; %bb.488:                              ;   in Loop: Header=BB370_235 Depth=1
	v_or_b32_e32 v66, 0x10000, v67
	v_cmp_eq_u32_sdwa s[0:1], v67, v19 src0_sel:WORD_0 src1_sel:DWORD
	s_nop 1
	v_cndmask_b32_e64 v66, v66, v67, s[0:1]
; %bb.489:                              ;   in Loop: Header=BB370_235 Depth=1
	s_or_b64 exec, exec, s[8:9]
	v_bfe_u32 v67, v5, 16, 8
	v_cvt_f32_fp8_sdwa v67, v67 src0_sel:BYTE_0
	s_nop 0
	v_mul_f32_e32 v67, s10, v67
	v_and_b32_e32 v68, 0x7f800000, v67
	v_cmp_ne_u32_e64 s[0:1], s13, v68
                                        ; implicit-def: $vgpr68
	s_and_saveexec_b64 s[8:9], s[0:1]
	s_xor_b64 s[0:1], exec, s[8:9]
; %bb.490:                              ;   in Loop: Header=BB370_235 Depth=1
	v_bfe_u32 v68, v67, 16, 1
	v_add3_u32 v68, v67, v68, s14
                                        ; implicit-def: $vgpr67
; %bb.491:                              ;   in Loop: Header=BB370_235 Depth=1
	s_andn2_saveexec_b64 s[8:9], s[0:1]
; %bb.492:                              ;   in Loop: Header=BB370_235 Depth=1
	v_or_b32_e32 v68, 0x10000, v67
	v_cmp_eq_u32_sdwa s[0:1], v67, v19 src0_sel:WORD_0 src1_sel:DWORD
	s_nop 1
	v_cndmask_b32_e64 v68, v68, v67, s[0:1]
; %bb.493:                              ;   in Loop: Header=BB370_235 Depth=1
	s_or_b64 exec, exec, s[8:9]
	v_lshrrev_b32_e32 v5, 24, v5
	v_cvt_f32_fp8_sdwa v5, v5 src0_sel:BYTE_0
                                        ; implicit-def: $vgpr69
	s_nop 0
	v_mul_f32_e32 v5, s10, v5
	v_and_b32_e32 v67, 0x7f800000, v5
	v_cmp_ne_u32_e64 s[0:1], s13, v67
	s_and_saveexec_b64 s[8:9], s[0:1]
	s_xor_b64 s[0:1], exec, s[8:9]
; %bb.494:                              ;   in Loop: Header=BB370_235 Depth=1
	v_bfe_u32 v67, v5, 16, 1
	v_add3_u32 v69, v5, v67, s14
                                        ; implicit-def: $vgpr5
; %bb.495:                              ;   in Loop: Header=BB370_235 Depth=1
	s_andn2_saveexec_b64 s[8:9], s[0:1]
; %bb.496:                              ;   in Loop: Header=BB370_235 Depth=1
	v_or_b32_e32 v67, 0x10000, v5
	v_cmp_eq_u32_sdwa s[0:1], v5, v19 src0_sel:WORD_0 src1_sel:DWORD
	s_nop 1
	v_cndmask_b32_e64 v69, v67, v5, s[0:1]
; %bb.497:                              ;   in Loop: Header=BB370_235 Depth=1
	s_or_b64 exec, exec, s[8:9]
	v_lshrrev_b32_e32 v67, 16, v66
	v_lshrrev_b32_e32 v66, 16, v65
	;; [unrolled: 1-line block ×8, first 2 shown]
	s_and_saveexec_b64 s[8:9], vcc
	s_cbranch_execz .LBB370_499
; %bb.498:                              ;   in Loop: Header=BB370_235 Depth=1
	v_cmp_gt_i32_e64 s[0:1], s33, v30
	s_nop 1
	v_cndmask_b32_e64 v62, 0, v62, s[0:1]
	v_cmp_gt_i32_e64 s[0:1], s33, v36
	s_nop 1
	v_cndmask_b32_e64 v63, 0, v63, s[0:1]
	;; [unrolled: 3-line block ×8, first 2 shown]
.LBB370_499:                            ;   in Loop: Header=BB370_235 Depth=1
	s_or_b64 exec, exec, s[8:9]
	v_lshlrev_b32_e32 v62, 16, v62
	v_mul_f32_e32 v68, v38, v62
	v_and_b32_e32 v62, 0x7f800000, v68
	v_cmp_ne_u32_e64 s[0:1], s13, v62
                                        ; implicit-def: $vgpr62
	s_and_saveexec_b64 s[8:9], s[0:1]
	s_xor_b64 s[0:1], exec, s[8:9]
; %bb.500:                              ;   in Loop: Header=BB370_235 Depth=1
	v_bfe_u32 v62, v68, 16, 1
	v_add3_u32 v62, v68, v62, s14
                                        ; implicit-def: $vgpr68
; %bb.501:                              ;   in Loop: Header=BB370_235 Depth=1
	s_andn2_saveexec_b64 s[8:9], s[0:1]
; %bb.502:                              ;   in Loop: Header=BB370_235 Depth=1
	v_or_b32_e32 v62, 0x10000, v68
	v_cmp_eq_u32_sdwa s[0:1], v68, v19 src0_sel:WORD_0 src1_sel:DWORD
	s_nop 1
	v_cndmask_b32_e64 v62, v62, v68, s[0:1]
; %bb.503:                              ;   in Loop: Header=BB370_235 Depth=1
	s_or_b64 exec, exec, s[8:9]
	v_lshlrev_b32_e32 v63, 16, v63
	v_mul_f32_e32 v68, v39, v63
	v_and_b32_e32 v63, 0x7f800000, v68
	v_cmp_ne_u32_e64 s[0:1], s13, v63
                                        ; implicit-def: $vgpr63
	s_and_saveexec_b64 s[8:9], s[0:1]
	s_xor_b64 s[0:1], exec, s[8:9]
; %bb.504:                              ;   in Loop: Header=BB370_235 Depth=1
	v_bfe_u32 v63, v68, 16, 1
	v_add3_u32 v63, v68, v63, s14
                                        ; implicit-def: $vgpr68
; %bb.505:                              ;   in Loop: Header=BB370_235 Depth=1
	s_andn2_saveexec_b64 s[8:9], s[0:1]
; %bb.506:                              ;   in Loop: Header=BB370_235 Depth=1
	v_or_b32_e32 v63, 0x10000, v68
	v_cmp_eq_u32_sdwa s[0:1], v68, v19 src0_sel:WORD_0 src1_sel:DWORD
	s_nop 1
	v_cndmask_b32_e64 v63, v63, v68, s[0:1]
; %bb.507:                              ;   in Loop: Header=BB370_235 Depth=1
	s_or_b64 exec, exec, s[8:9]
	v_lshlrev_b32_e32 v64, 16, v64
	v_mul_f32_e32 v68, v40, v64
	v_and_b32_e32 v64, 0x7f800000, v68
	v_cmp_ne_u32_e64 s[0:1], s13, v64
                                        ; implicit-def: $vgpr64
	s_and_saveexec_b64 s[8:9], s[0:1]
	s_xor_b64 s[0:1], exec, s[8:9]
; %bb.508:                              ;   in Loop: Header=BB370_235 Depth=1
	v_bfe_u32 v64, v68, 16, 1
	v_add3_u32 v64, v68, v64, s14
                                        ; implicit-def: $vgpr68
; %bb.509:                              ;   in Loop: Header=BB370_235 Depth=1
	s_andn2_saveexec_b64 s[8:9], s[0:1]
; %bb.510:                              ;   in Loop: Header=BB370_235 Depth=1
	v_or_b32_e32 v64, 0x10000, v68
	v_cmp_eq_u32_sdwa s[0:1], v68, v19 src0_sel:WORD_0 src1_sel:DWORD
	s_nop 1
	v_cndmask_b32_e64 v64, v64, v68, s[0:1]
; %bb.511:                              ;   in Loop: Header=BB370_235 Depth=1
	s_or_b64 exec, exec, s[8:9]
	v_lshlrev_b32_e32 v65, 16, v65
	v_mul_f32_e32 v68, v41, v65
	v_and_b32_e32 v65, 0x7f800000, v68
	v_cmp_ne_u32_e64 s[0:1], s13, v65
                                        ; implicit-def: $vgpr65
	s_and_saveexec_b64 s[8:9], s[0:1]
	s_xor_b64 s[0:1], exec, s[8:9]
; %bb.512:                              ;   in Loop: Header=BB370_235 Depth=1
	v_bfe_u32 v65, v68, 16, 1
	v_add3_u32 v65, v68, v65, s14
                                        ; implicit-def: $vgpr68
; %bb.513:                              ;   in Loop: Header=BB370_235 Depth=1
	s_andn2_saveexec_b64 s[8:9], s[0:1]
; %bb.514:                              ;   in Loop: Header=BB370_235 Depth=1
	v_or_b32_e32 v65, 0x10000, v68
	v_cmp_eq_u32_sdwa s[0:1], v68, v19 src0_sel:WORD_0 src1_sel:DWORD
	s_nop 1
	v_cndmask_b32_e64 v65, v65, v68, s[0:1]
; %bb.515:                              ;   in Loop: Header=BB370_235 Depth=1
	s_or_b64 exec, exec, s[8:9]
	v_lshlrev_b32_e32 v66, 16, v66
	v_mul_f32_e32 v68, v42, v66
	v_and_b32_e32 v66, 0x7f800000, v68
	v_cmp_ne_u32_e64 s[0:1], s13, v66
                                        ; implicit-def: $vgpr66
	s_and_saveexec_b64 s[8:9], s[0:1]
	s_xor_b64 s[0:1], exec, s[8:9]
; %bb.516:                              ;   in Loop: Header=BB370_235 Depth=1
	v_bfe_u32 v66, v68, 16, 1
	v_add3_u32 v66, v68, v66, s14
                                        ; implicit-def: $vgpr68
; %bb.517:                              ;   in Loop: Header=BB370_235 Depth=1
	s_andn2_saveexec_b64 s[8:9], s[0:1]
; %bb.518:                              ;   in Loop: Header=BB370_235 Depth=1
	v_or_b32_e32 v66, 0x10000, v68
	v_cmp_eq_u32_sdwa s[0:1], v68, v19 src0_sel:WORD_0 src1_sel:DWORD
	s_nop 1
	v_cndmask_b32_e64 v66, v66, v68, s[0:1]
; %bb.519:                              ;   in Loop: Header=BB370_235 Depth=1
	s_or_b64 exec, exec, s[8:9]
	v_lshlrev_b32_e32 v67, 16, v67
	v_mul_f32_e32 v68, v43, v67
	v_and_b32_e32 v67, 0x7f800000, v68
	v_cmp_ne_u32_e64 s[0:1], s13, v67
                                        ; implicit-def: $vgpr67
	s_and_saveexec_b64 s[8:9], s[0:1]
	s_xor_b64 s[0:1], exec, s[8:9]
; %bb.520:                              ;   in Loop: Header=BB370_235 Depth=1
	v_bfe_u32 v67, v68, 16, 1
	v_add3_u32 v67, v68, v67, s14
                                        ; implicit-def: $vgpr68
; %bb.521:                              ;   in Loop: Header=BB370_235 Depth=1
	s_andn2_saveexec_b64 s[8:9], s[0:1]
; %bb.522:                              ;   in Loop: Header=BB370_235 Depth=1
	v_or_b32_e32 v67, 0x10000, v68
	v_cmp_eq_u32_sdwa s[0:1], v68, v19 src0_sel:WORD_0 src1_sel:DWORD
	s_nop 1
	v_cndmask_b32_e64 v67, v67, v68, s[0:1]
; %bb.523:                              ;   in Loop: Header=BB370_235 Depth=1
	s_or_b64 exec, exec, s[8:9]
	v_lshlrev_b32_e32 v5, 16, v5
	v_mul_f32_e32 v5, v44, v5
	v_and_b32_e32 v68, 0x7f800000, v5
	v_cmp_ne_u32_e64 s[0:1], s13, v68
                                        ; implicit-def: $vgpr68
	s_and_saveexec_b64 s[8:9], s[0:1]
	s_xor_b64 s[0:1], exec, s[8:9]
; %bb.524:                              ;   in Loop: Header=BB370_235 Depth=1
	v_bfe_u32 v68, v5, 16, 1
	v_add3_u32 v68, v5, v68, s14
                                        ; implicit-def: $vgpr5
; %bb.525:                              ;   in Loop: Header=BB370_235 Depth=1
	s_andn2_saveexec_b64 s[8:9], s[0:1]
; %bb.526:                              ;   in Loop: Header=BB370_235 Depth=1
	v_or_b32_e32 v68, 0x10000, v5
	v_cmp_eq_u32_sdwa s[0:1], v5, v19 src0_sel:WORD_0 src1_sel:DWORD
	s_nop 1
	v_cndmask_b32_e64 v68, v68, v5, s[0:1]
; %bb.527:                              ;   in Loop: Header=BB370_235 Depth=1
	s_or_b64 exec, exec, s[8:9]
	v_lshlrev_b32_e32 v4, 16, v4
	v_mul_f32_e32 v4, v45, v4
	v_and_b32_e32 v5, 0x7f800000, v4
	v_cmp_ne_u32_e64 s[0:1], s13, v5
                                        ; implicit-def: $vgpr69
	s_and_saveexec_b64 s[8:9], s[0:1]
	s_xor_b64 s[0:1], exec, s[8:9]
; %bb.528:                              ;   in Loop: Header=BB370_235 Depth=1
	v_bfe_u32 v5, v4, 16, 1
	v_add3_u32 v69, v4, v5, s14
                                        ; implicit-def: $vgpr4
; %bb.529:                              ;   in Loop: Header=BB370_235 Depth=1
	s_andn2_saveexec_b64 s[8:9], s[0:1]
; %bb.530:                              ;   in Loop: Header=BB370_235 Depth=1
	v_or_b32_e32 v5, 0x10000, v4
	v_cmp_eq_u32_sdwa s[0:1], v4, v19 src0_sel:WORD_0 src1_sel:DWORD
	s_nop 1
	v_cndmask_b32_e64 v69, v5, v4, s[0:1]
; %bb.531:                              ;   in Loop: Header=BB370_235 Depth=1
	s_or_b64 exec, exec, s[8:9]
	global_load_dwordx2 v[4:5], v[2:3], off offset:2048
	s_waitcnt vmcnt(0)
	v_and_b32_e32 v70, 0xff, v4
	v_cvt_f32_fp8_sdwa v70, v70 src0_sel:BYTE_0
	s_nop 0
	v_mul_f32_e32 v71, s10, v70
	v_and_b32_e32 v70, 0x7f800000, v71
	v_cmp_ne_u32_e64 s[0:1], s13, v70
                                        ; implicit-def: $vgpr70
	s_and_saveexec_b64 s[8:9], s[0:1]
	s_xor_b64 s[0:1], exec, s[8:9]
; %bb.532:                              ;   in Loop: Header=BB370_235 Depth=1
	v_bfe_u32 v70, v71, 16, 1
	v_add3_u32 v70, v71, v70, s14
                                        ; implicit-def: $vgpr71
; %bb.533:                              ;   in Loop: Header=BB370_235 Depth=1
	s_andn2_saveexec_b64 s[8:9], s[0:1]
; %bb.534:                              ;   in Loop: Header=BB370_235 Depth=1
	v_or_b32_e32 v70, 0x10000, v71
	v_cmp_eq_u32_sdwa s[0:1], v71, v19 src0_sel:WORD_0 src1_sel:DWORD
	s_nop 1
	v_cndmask_b32_e64 v70, v70, v71, s[0:1]
; %bb.535:                              ;   in Loop: Header=BB370_235 Depth=1
	s_or_b64 exec, exec, s[8:9]
	v_bfe_u32 v71, v4, 8, 8
	v_cvt_f32_fp8_sdwa v71, v71 src0_sel:BYTE_0
	s_nop 0
	v_mul_f32_e32 v72, s10, v71
	v_and_b32_e32 v71, 0x7f800000, v72
	v_cmp_ne_u32_e64 s[0:1], s13, v71
                                        ; implicit-def: $vgpr71
	s_and_saveexec_b64 s[8:9], s[0:1]
	s_xor_b64 s[0:1], exec, s[8:9]
; %bb.536:                              ;   in Loop: Header=BB370_235 Depth=1
	v_bfe_u32 v71, v72, 16, 1
	v_add3_u32 v71, v72, v71, s14
                                        ; implicit-def: $vgpr72
; %bb.537:                              ;   in Loop: Header=BB370_235 Depth=1
	s_andn2_saveexec_b64 s[8:9], s[0:1]
; %bb.538:                              ;   in Loop: Header=BB370_235 Depth=1
	v_or_b32_e32 v71, 0x10000, v72
	v_cmp_eq_u32_sdwa s[0:1], v72, v19 src0_sel:WORD_0 src1_sel:DWORD
	s_nop 1
	v_cndmask_b32_e64 v71, v71, v72, s[0:1]
; %bb.539:                              ;   in Loop: Header=BB370_235 Depth=1
	s_or_b64 exec, exec, s[8:9]
	v_bfe_u32 v72, v4, 16, 8
	v_cvt_f32_fp8_sdwa v72, v72 src0_sel:BYTE_0
	s_nop 0
	v_mul_f32_e32 v73, s10, v72
	v_and_b32_e32 v72, 0x7f800000, v73
	v_cmp_ne_u32_e64 s[0:1], s13, v72
                                        ; implicit-def: $vgpr72
	s_and_saveexec_b64 s[8:9], s[0:1]
	s_xor_b64 s[0:1], exec, s[8:9]
; %bb.540:                              ;   in Loop: Header=BB370_235 Depth=1
	v_bfe_u32 v72, v73, 16, 1
	v_add3_u32 v72, v73, v72, s14
                                        ; implicit-def: $vgpr73
; %bb.541:                              ;   in Loop: Header=BB370_235 Depth=1
	s_andn2_saveexec_b64 s[8:9], s[0:1]
; %bb.542:                              ;   in Loop: Header=BB370_235 Depth=1
	v_or_b32_e32 v72, 0x10000, v73
	v_cmp_eq_u32_sdwa s[0:1], v73, v19 src0_sel:WORD_0 src1_sel:DWORD
	s_nop 1
	v_cndmask_b32_e64 v72, v72, v73, s[0:1]
; %bb.543:                              ;   in Loop: Header=BB370_235 Depth=1
	s_or_b64 exec, exec, s[8:9]
	v_lshrrev_b32_e32 v4, 24, v4
	v_cvt_f32_fp8_sdwa v4, v4 src0_sel:BYTE_0
	s_nop 0
	v_mul_f32_e32 v73, s10, v4
	v_and_b32_e32 v4, 0x7f800000, v73
	v_cmp_ne_u32_e64 s[0:1], s13, v4
                                        ; implicit-def: $vgpr4
	s_and_saveexec_b64 s[8:9], s[0:1]
	s_xor_b64 s[0:1], exec, s[8:9]
; %bb.544:                              ;   in Loop: Header=BB370_235 Depth=1
	v_bfe_u32 v4, v73, 16, 1
	v_add3_u32 v4, v73, v4, s14
                                        ; implicit-def: $vgpr73
; %bb.545:                              ;   in Loop: Header=BB370_235 Depth=1
	s_andn2_saveexec_b64 s[8:9], s[0:1]
; %bb.546:                              ;   in Loop: Header=BB370_235 Depth=1
	v_or_b32_e32 v4, 0x10000, v73
	v_cmp_eq_u32_sdwa s[0:1], v73, v19 src0_sel:WORD_0 src1_sel:DWORD
	s_nop 1
	v_cndmask_b32_e64 v4, v4, v73, s[0:1]
; %bb.547:                              ;   in Loop: Header=BB370_235 Depth=1
	s_or_b64 exec, exec, s[8:9]
	v_and_b32_e32 v73, 0xff, v5
	v_cvt_f32_fp8_sdwa v73, v73 src0_sel:BYTE_0
	s_nop 0
	v_mul_f32_e32 v73, s10, v73
	v_and_b32_e32 v74, 0x7f800000, v73
	v_cmp_ne_u32_e64 s[0:1], s13, v74
                                        ; implicit-def: $vgpr74
	s_and_saveexec_b64 s[8:9], s[0:1]
	s_xor_b64 s[0:1], exec, s[8:9]
; %bb.548:                              ;   in Loop: Header=BB370_235 Depth=1
	v_bfe_u32 v74, v73, 16, 1
	v_add3_u32 v74, v73, v74, s14
                                        ; implicit-def: $vgpr73
; %bb.549:                              ;   in Loop: Header=BB370_235 Depth=1
	s_andn2_saveexec_b64 s[8:9], s[0:1]
; %bb.550:                              ;   in Loop: Header=BB370_235 Depth=1
	v_or_b32_e32 v74, 0x10000, v73
	v_cmp_eq_u32_sdwa s[0:1], v73, v19 src0_sel:WORD_0 src1_sel:DWORD
	s_nop 1
	v_cndmask_b32_e64 v74, v74, v73, s[0:1]
; %bb.551:                              ;   in Loop: Header=BB370_235 Depth=1
	s_or_b64 exec, exec, s[8:9]
	v_bfe_u32 v73, v5, 8, 8
	v_cvt_f32_fp8_sdwa v73, v73 src0_sel:BYTE_0
	s_nop 0
	v_mul_f32_e32 v75, s10, v73
	v_and_b32_e32 v73, 0x7f800000, v75
	v_cmp_ne_u32_e64 s[0:1], s13, v73
                                        ; implicit-def: $vgpr73
	s_and_saveexec_b64 s[8:9], s[0:1]
	s_xor_b64 s[0:1], exec, s[8:9]
; %bb.552:                              ;   in Loop: Header=BB370_235 Depth=1
	v_bfe_u32 v73, v75, 16, 1
	v_add3_u32 v73, v75, v73, s14
                                        ; implicit-def: $vgpr75
; %bb.553:                              ;   in Loop: Header=BB370_235 Depth=1
	s_andn2_saveexec_b64 s[8:9], s[0:1]
; %bb.554:                              ;   in Loop: Header=BB370_235 Depth=1
	v_or_b32_e32 v73, 0x10000, v75
	v_cmp_eq_u32_sdwa s[0:1], v75, v19 src0_sel:WORD_0 src1_sel:DWORD
	s_nop 1
	v_cndmask_b32_e64 v73, v73, v75, s[0:1]
; %bb.555:                              ;   in Loop: Header=BB370_235 Depth=1
	s_or_b64 exec, exec, s[8:9]
	v_bfe_u32 v75, v5, 16, 8
	v_cvt_f32_fp8_sdwa v75, v75 src0_sel:BYTE_0
	s_nop 0
	v_mul_f32_e32 v76, s10, v75
	v_and_b32_e32 v75, 0x7f800000, v76
	v_cmp_ne_u32_e64 s[0:1], s13, v75
                                        ; implicit-def: $vgpr75
	s_and_saveexec_b64 s[8:9], s[0:1]
	s_xor_b64 s[0:1], exec, s[8:9]
; %bb.556:                              ;   in Loop: Header=BB370_235 Depth=1
	v_bfe_u32 v75, v76, 16, 1
	v_add3_u32 v75, v76, v75, s14
                                        ; implicit-def: $vgpr76
; %bb.557:                              ;   in Loop: Header=BB370_235 Depth=1
	s_andn2_saveexec_b64 s[8:9], s[0:1]
; %bb.558:                              ;   in Loop: Header=BB370_235 Depth=1
	v_or_b32_e32 v75, 0x10000, v76
	v_cmp_eq_u32_sdwa s[0:1], v76, v19 src0_sel:WORD_0 src1_sel:DWORD
	s_nop 1
	v_cndmask_b32_e64 v75, v75, v76, s[0:1]
; %bb.559:                              ;   in Loop: Header=BB370_235 Depth=1
	s_or_b64 exec, exec, s[8:9]
	v_lshrrev_b32_e32 v5, 24, v5
	v_cvt_f32_fp8_sdwa v5, v5 src0_sel:BYTE_0
                                        ; implicit-def: $vgpr78
	s_nop 0
	v_mul_f32_e32 v5, s10, v5
	v_and_b32_e32 v76, 0x7f800000, v5
	v_cmp_ne_u32_e64 s[0:1], s13, v76
	s_and_saveexec_b64 s[8:9], s[0:1]
	s_xor_b64 s[0:1], exec, s[8:9]
; %bb.560:                              ;   in Loop: Header=BB370_235 Depth=1
	v_bfe_u32 v76, v5, 16, 1
	v_add3_u32 v78, v5, v76, s14
                                        ; implicit-def: $vgpr5
; %bb.561:                              ;   in Loop: Header=BB370_235 Depth=1
	s_andn2_saveexec_b64 s[8:9], s[0:1]
; %bb.562:                              ;   in Loop: Header=BB370_235 Depth=1
	v_or_b32_e32 v76, 0x10000, v5
	v_cmp_eq_u32_sdwa s[0:1], v5, v19 src0_sel:WORD_0 src1_sel:DWORD
	s_nop 1
	v_cndmask_b32_e64 v78, v76, v5, s[0:1]
; %bb.563:                              ;   in Loop: Header=BB370_235 Depth=1
	s_or_b64 exec, exec, s[8:9]
	v_lshrrev_b32_e32 v73, 16, v73
	v_lshrrev_b32_e32 v76, 16, v74
	;; [unrolled: 1-line block ×8, first 2 shown]
	s_and_saveexec_b64 s[8:9], vcc
	s_cbranch_execz .LBB370_565
; %bb.564:                              ;   in Loop: Header=BB370_235 Depth=1
	v_cmp_gt_i32_e64 s[0:1], s33, v30
	s_nop 1
	v_cndmask_b32_e64 v4, 0, v4, s[0:1]
	v_cmp_gt_i32_e64 s[0:1], s33, v36
	s_nop 1
	v_cndmask_b32_e64 v5, 0, v5, s[0:1]
	;; [unrolled: 3-line block ×8, first 2 shown]
.LBB370_565:                            ;   in Loop: Header=BB370_235 Depth=1
	s_or_b64 exec, exec, s[8:9]
	v_lshlrev_b32_e32 v4, 16, v4
	v_mul_f32_e32 v70, v38, v4
	v_and_b32_e32 v4, 0x7f800000, v70
	v_cmp_ne_u32_e64 s[0:1], s13, v4
                                        ; implicit-def: $vgpr4
	s_and_saveexec_b64 s[8:9], s[0:1]
	s_xor_b64 s[0:1], exec, s[8:9]
; %bb.566:                              ;   in Loop: Header=BB370_235 Depth=1
	v_bfe_u32 v4, v70, 16, 1
	v_add3_u32 v4, v70, v4, s14
                                        ; implicit-def: $vgpr70
; %bb.567:                              ;   in Loop: Header=BB370_235 Depth=1
	s_andn2_saveexec_b64 s[8:9], s[0:1]
; %bb.568:                              ;   in Loop: Header=BB370_235 Depth=1
	v_or_b32_e32 v4, 0x10000, v70
	v_cmp_eq_u32_sdwa s[0:1], v70, v19 src0_sel:WORD_0 src1_sel:DWORD
	s_nop 1
	v_cndmask_b32_e64 v4, v4, v70, s[0:1]
; %bb.569:                              ;   in Loop: Header=BB370_235 Depth=1
	s_or_b64 exec, exec, s[8:9]
	v_lshlrev_b32_e32 v5, 16, v5
	v_mul_f32_e32 v70, v39, v5
	v_and_b32_e32 v5, 0x7f800000, v70
	v_cmp_ne_u32_e64 s[0:1], s13, v5
                                        ; implicit-def: $vgpr5
	s_and_saveexec_b64 s[8:9], s[0:1]
	s_xor_b64 s[0:1], exec, s[8:9]
; %bb.570:                              ;   in Loop: Header=BB370_235 Depth=1
	v_bfe_u32 v5, v70, 16, 1
	v_add3_u32 v5, v70, v5, s14
                                        ; implicit-def: $vgpr70
; %bb.571:                              ;   in Loop: Header=BB370_235 Depth=1
	s_andn2_saveexec_b64 s[8:9], s[0:1]
; %bb.572:                              ;   in Loop: Header=BB370_235 Depth=1
	v_or_b32_e32 v5, 0x10000, v70
	v_cmp_eq_u32_sdwa s[0:1], v70, v19 src0_sel:WORD_0 src1_sel:DWORD
	s_nop 1
	v_cndmask_b32_e64 v5, v5, v70, s[0:1]
; %bb.573:                              ;   in Loop: Header=BB370_235 Depth=1
	s_or_b64 exec, exec, s[8:9]
	v_lshlrev_b32_e32 v70, 16, v72
	v_mul_f32_e32 v71, v40, v70
	v_and_b32_e32 v70, 0x7f800000, v71
	v_cmp_ne_u32_e64 s[0:1], s13, v70
                                        ; implicit-def: $vgpr70
	s_and_saveexec_b64 s[8:9], s[0:1]
	s_xor_b64 s[0:1], exec, s[8:9]
; %bb.574:                              ;   in Loop: Header=BB370_235 Depth=1
	v_bfe_u32 v70, v71, 16, 1
	v_add3_u32 v70, v71, v70, s14
                                        ; implicit-def: $vgpr71
; %bb.575:                              ;   in Loop: Header=BB370_235 Depth=1
	s_andn2_saveexec_b64 s[8:9], s[0:1]
; %bb.576:                              ;   in Loop: Header=BB370_235 Depth=1
	v_or_b32_e32 v70, 0x10000, v71
	v_cmp_eq_u32_sdwa s[0:1], v71, v19 src0_sel:WORD_0 src1_sel:DWORD
	s_nop 1
	v_cndmask_b32_e64 v70, v70, v71, s[0:1]
; %bb.577:                              ;   in Loop: Header=BB370_235 Depth=1
	s_or_b64 exec, exec, s[8:9]
	v_lshlrev_b32_e32 v71, 16, v77
	v_mul_f32_e32 v72, v41, v71
	v_and_b32_e32 v71, 0x7f800000, v72
	v_cmp_ne_u32_e64 s[0:1], s13, v71
                                        ; implicit-def: $vgpr71
	s_and_saveexec_b64 s[8:9], s[0:1]
	s_xor_b64 s[0:1], exec, s[8:9]
; %bb.578:                              ;   in Loop: Header=BB370_235 Depth=1
	v_bfe_u32 v71, v72, 16, 1
	v_add3_u32 v71, v72, v71, s14
                                        ; implicit-def: $vgpr72
; %bb.579:                              ;   in Loop: Header=BB370_235 Depth=1
	s_andn2_saveexec_b64 s[8:9], s[0:1]
; %bb.580:                              ;   in Loop: Header=BB370_235 Depth=1
	v_or_b32_e32 v71, 0x10000, v72
	v_cmp_eq_u32_sdwa s[0:1], v72, v19 src0_sel:WORD_0 src1_sel:DWORD
	s_nop 1
	v_cndmask_b32_e64 v71, v71, v72, s[0:1]
; %bb.581:                              ;   in Loop: Header=BB370_235 Depth=1
	s_or_b64 exec, exec, s[8:9]
	v_lshlrev_b32_e32 v72, 16, v76
	v_mul_f32_e32 v76, v42, v72
	v_and_b32_e32 v72, 0x7f800000, v76
	v_cmp_ne_u32_e64 s[0:1], s13, v72
                                        ; implicit-def: $vgpr72
	s_and_saveexec_b64 s[8:9], s[0:1]
	s_xor_b64 s[0:1], exec, s[8:9]
; %bb.582:                              ;   in Loop: Header=BB370_235 Depth=1
	v_bfe_u32 v72, v76, 16, 1
	v_add3_u32 v72, v76, v72, s14
                                        ; implicit-def: $vgpr76
; %bb.583:                              ;   in Loop: Header=BB370_235 Depth=1
	s_andn2_saveexec_b64 s[8:9], s[0:1]
; %bb.584:                              ;   in Loop: Header=BB370_235 Depth=1
	v_or_b32_e32 v72, 0x10000, v76
	v_cmp_eq_u32_sdwa s[0:1], v76, v19 src0_sel:WORD_0 src1_sel:DWORD
	s_nop 1
	v_cndmask_b32_e64 v72, v72, v76, s[0:1]
; %bb.585:                              ;   in Loop: Header=BB370_235 Depth=1
	s_or_b64 exec, exec, s[8:9]
	v_lshlrev_b32_e32 v73, 16, v73
	v_mul_f32_e32 v76, v43, v73
	v_and_b32_e32 v73, 0x7f800000, v76
	v_cmp_ne_u32_e64 s[0:1], s13, v73
                                        ; implicit-def: $vgpr73
	s_and_saveexec_b64 s[8:9], s[0:1]
	s_xor_b64 s[0:1], exec, s[8:9]
; %bb.586:                              ;   in Loop: Header=BB370_235 Depth=1
	v_bfe_u32 v73, v76, 16, 1
	v_add3_u32 v73, v76, v73, s14
                                        ; implicit-def: $vgpr76
; %bb.587:                              ;   in Loop: Header=BB370_235 Depth=1
	s_andn2_saveexec_b64 s[8:9], s[0:1]
; %bb.588:                              ;   in Loop: Header=BB370_235 Depth=1
	v_or_b32_e32 v73, 0x10000, v76
	v_cmp_eq_u32_sdwa s[0:1], v76, v19 src0_sel:WORD_0 src1_sel:DWORD
	s_nop 1
	v_cndmask_b32_e64 v73, v73, v76, s[0:1]
; %bb.589:                              ;   in Loop: Header=BB370_235 Depth=1
	s_or_b64 exec, exec, s[8:9]
	v_lshlrev_b32_e32 v74, 16, v74
	v_mul_f32_e32 v76, v44, v74
	v_and_b32_e32 v74, 0x7f800000, v76
	v_cmp_ne_u32_e64 s[0:1], s13, v74
                                        ; implicit-def: $vgpr74
	s_and_saveexec_b64 s[8:9], s[0:1]
	s_xor_b64 s[0:1], exec, s[8:9]
; %bb.590:                              ;   in Loop: Header=BB370_235 Depth=1
	v_bfe_u32 v74, v76, 16, 1
	v_add3_u32 v74, v76, v74, s14
                                        ; implicit-def: $vgpr76
; %bb.591:                              ;   in Loop: Header=BB370_235 Depth=1
	s_andn2_saveexec_b64 s[8:9], s[0:1]
; %bb.592:                              ;   in Loop: Header=BB370_235 Depth=1
	v_or_b32_e32 v74, 0x10000, v76
	v_cmp_eq_u32_sdwa s[0:1], v76, v19 src0_sel:WORD_0 src1_sel:DWORD
	s_nop 1
	v_cndmask_b32_e64 v74, v74, v76, s[0:1]
; %bb.593:                              ;   in Loop: Header=BB370_235 Depth=1
	s_or_b64 exec, exec, s[8:9]
	v_lshlrev_b32_e32 v75, 16, v75
	v_mul_f32_e32 v76, v45, v75
	v_and_b32_e32 v75, 0x7f800000, v76
	v_cmp_ne_u32_e64 s[0:1], s13, v75
                                        ; implicit-def: $vgpr75
	s_and_saveexec_b64 s[8:9], s[0:1]
	s_xor_b64 s[0:1], exec, s[8:9]
; %bb.594:                              ;   in Loop: Header=BB370_235 Depth=1
	v_bfe_u32 v75, v76, 16, 1
	v_add3_u32 v75, v76, v75, s14
                                        ; implicit-def: $vgpr76
; %bb.595:                              ;   in Loop: Header=BB370_235 Depth=1
	s_andn2_saveexec_b64 s[8:9], s[0:1]
; %bb.596:                              ;   in Loop: Header=BB370_235 Depth=1
	v_or_b32_e32 v75, 0x10000, v76
	v_cmp_eq_u32_sdwa s[0:1], v76, v19 src0_sel:WORD_0 src1_sel:DWORD
	s_nop 1
	v_cndmask_b32_e64 v75, v75, v76, s[0:1]
; %bb.597:                              ;   in Loop: Header=BB370_235 Depth=1
	s_or_b64 exec, exec, s[8:9]
	global_load_dwordx2 v[2:3], v[2:3], off offset:2560
	s_waitcnt vmcnt(0)
	v_and_b32_e32 v76, 0xff, v2
	v_cvt_f32_fp8_sdwa v76, v76 src0_sel:BYTE_0
	s_nop 0
	v_mul_f32_e32 v77, s10, v76
	v_and_b32_e32 v76, 0x7f800000, v77
	v_cmp_ne_u32_e64 s[0:1], s13, v76
                                        ; implicit-def: $vgpr76
	s_and_saveexec_b64 s[8:9], s[0:1]
	s_xor_b64 s[0:1], exec, s[8:9]
; %bb.598:                              ;   in Loop: Header=BB370_235 Depth=1
	v_bfe_u32 v76, v77, 16, 1
	v_add3_u32 v76, v77, v76, s14
                                        ; implicit-def: $vgpr77
; %bb.599:                              ;   in Loop: Header=BB370_235 Depth=1
	s_andn2_saveexec_b64 s[8:9], s[0:1]
; %bb.600:                              ;   in Loop: Header=BB370_235 Depth=1
	v_or_b32_e32 v76, 0x10000, v77
	v_cmp_eq_u32_sdwa s[0:1], v77, v19 src0_sel:WORD_0 src1_sel:DWORD
	s_nop 1
	v_cndmask_b32_e64 v76, v76, v77, s[0:1]
; %bb.601:                              ;   in Loop: Header=BB370_235 Depth=1
	s_or_b64 exec, exec, s[8:9]
	v_bfe_u32 v77, v2, 8, 8
	v_cvt_f32_fp8_sdwa v77, v77 src0_sel:BYTE_0
	s_nop 0
	v_mul_f32_e32 v78, s10, v77
	v_and_b32_e32 v77, 0x7f800000, v78
	v_cmp_ne_u32_e64 s[0:1], s13, v77
                                        ; implicit-def: $vgpr77
	s_and_saveexec_b64 s[8:9], s[0:1]
	s_xor_b64 s[0:1], exec, s[8:9]
; %bb.602:                              ;   in Loop: Header=BB370_235 Depth=1
	v_bfe_u32 v77, v78, 16, 1
	v_add3_u32 v77, v78, v77, s14
                                        ; implicit-def: $vgpr78
; %bb.603:                              ;   in Loop: Header=BB370_235 Depth=1
	s_andn2_saveexec_b64 s[8:9], s[0:1]
; %bb.604:                              ;   in Loop: Header=BB370_235 Depth=1
	v_or_b32_e32 v77, 0x10000, v78
	v_cmp_eq_u32_sdwa s[0:1], v78, v19 src0_sel:WORD_0 src1_sel:DWORD
	s_nop 1
	v_cndmask_b32_e64 v77, v77, v78, s[0:1]
; %bb.605:                              ;   in Loop: Header=BB370_235 Depth=1
	s_or_b64 exec, exec, s[8:9]
	v_bfe_u32 v78, v2, 16, 8
	v_cvt_f32_fp8_sdwa v78, v78 src0_sel:BYTE_0
	s_nop 0
	v_mul_f32_e32 v78, s10, v78
	v_and_b32_e32 v79, 0x7f800000, v78
	v_cmp_ne_u32_e64 s[0:1], s13, v79
                                        ; implicit-def: $vgpr79
	s_and_saveexec_b64 s[8:9], s[0:1]
	s_xor_b64 s[0:1], exec, s[8:9]
; %bb.606:                              ;   in Loop: Header=BB370_235 Depth=1
	v_bfe_u32 v79, v78, 16, 1
	v_add3_u32 v79, v78, v79, s14
                                        ; implicit-def: $vgpr78
; %bb.607:                              ;   in Loop: Header=BB370_235 Depth=1
	s_andn2_saveexec_b64 s[8:9], s[0:1]
; %bb.608:                              ;   in Loop: Header=BB370_235 Depth=1
	v_or_b32_e32 v79, 0x10000, v78
	v_cmp_eq_u32_sdwa s[0:1], v78, v19 src0_sel:WORD_0 src1_sel:DWORD
	s_nop 1
	v_cndmask_b32_e64 v79, v79, v78, s[0:1]
; %bb.609:                              ;   in Loop: Header=BB370_235 Depth=1
	s_or_b64 exec, exec, s[8:9]
	v_lshrrev_b32_e32 v2, 24, v2
	v_cvt_f32_fp8_sdwa v2, v2 src0_sel:BYTE_0
	s_nop 0
	v_mul_f32_e32 v78, s10, v2
	v_and_b32_e32 v2, 0x7f800000, v78
	v_cmp_ne_u32_e64 s[0:1], s13, v2
                                        ; implicit-def: $vgpr2
	s_and_saveexec_b64 s[8:9], s[0:1]
	s_xor_b64 s[0:1], exec, s[8:9]
; %bb.610:                              ;   in Loop: Header=BB370_235 Depth=1
	v_bfe_u32 v2, v78, 16, 1
	v_add3_u32 v2, v78, v2, s14
                                        ; implicit-def: $vgpr78
; %bb.611:                              ;   in Loop: Header=BB370_235 Depth=1
	s_andn2_saveexec_b64 s[8:9], s[0:1]
; %bb.612:                              ;   in Loop: Header=BB370_235 Depth=1
	v_or_b32_e32 v2, 0x10000, v78
	v_cmp_eq_u32_sdwa s[0:1], v78, v19 src0_sel:WORD_0 src1_sel:DWORD
	s_nop 1
	v_cndmask_b32_e64 v2, v2, v78, s[0:1]
; %bb.613:                              ;   in Loop: Header=BB370_235 Depth=1
	s_or_b64 exec, exec, s[8:9]
	v_and_b32_e32 v78, 0xff, v3
	v_cvt_f32_fp8_sdwa v78, v78 src0_sel:BYTE_0
	s_nop 0
	v_mul_f32_e32 v78, s10, v78
	v_and_b32_e32 v80, 0x7f800000, v78
	v_cmp_ne_u32_e64 s[0:1], s13, v80
                                        ; implicit-def: $vgpr80
	s_and_saveexec_b64 s[8:9], s[0:1]
	s_xor_b64 s[0:1], exec, s[8:9]
; %bb.614:                              ;   in Loop: Header=BB370_235 Depth=1
	v_bfe_u32 v80, v78, 16, 1
	v_add3_u32 v80, v78, v80, s14
                                        ; implicit-def: $vgpr78
; %bb.615:                              ;   in Loop: Header=BB370_235 Depth=1
	s_andn2_saveexec_b64 s[8:9], s[0:1]
; %bb.616:                              ;   in Loop: Header=BB370_235 Depth=1
	v_or_b32_e32 v80, 0x10000, v78
	v_cmp_eq_u32_sdwa s[0:1], v78, v19 src0_sel:WORD_0 src1_sel:DWORD
	s_nop 1
	v_cndmask_b32_e64 v80, v80, v78, s[0:1]
; %bb.617:                              ;   in Loop: Header=BB370_235 Depth=1
	s_or_b64 exec, exec, s[8:9]
	v_bfe_u32 v78, v3, 8, 8
	v_cvt_f32_fp8_sdwa v78, v78 src0_sel:BYTE_0
	s_nop 0
	v_mul_f32_e32 v81, s10, v78
	v_and_b32_e32 v78, 0x7f800000, v81
	v_cmp_ne_u32_e64 s[0:1], s13, v78
                                        ; implicit-def: $vgpr78
	s_and_saveexec_b64 s[8:9], s[0:1]
	s_xor_b64 s[0:1], exec, s[8:9]
; %bb.618:                              ;   in Loop: Header=BB370_235 Depth=1
	v_bfe_u32 v78, v81, 16, 1
	v_add3_u32 v78, v81, v78, s14
                                        ; implicit-def: $vgpr81
; %bb.619:                              ;   in Loop: Header=BB370_235 Depth=1
	s_andn2_saveexec_b64 s[8:9], s[0:1]
; %bb.620:                              ;   in Loop: Header=BB370_235 Depth=1
	v_or_b32_e32 v78, 0x10000, v81
	v_cmp_eq_u32_sdwa s[0:1], v81, v19 src0_sel:WORD_0 src1_sel:DWORD
	s_nop 1
	v_cndmask_b32_e64 v78, v78, v81, s[0:1]
; %bb.621:                              ;   in Loop: Header=BB370_235 Depth=1
	s_or_b64 exec, exec, s[8:9]
	v_bfe_u32 v81, v3, 16, 8
	v_cvt_f32_fp8_sdwa v81, v81 src0_sel:BYTE_0
	s_nop 0
	v_mul_f32_e32 v81, s10, v81
	v_and_b32_e32 v82, 0x7f800000, v81
	v_cmp_ne_u32_e64 s[0:1], s13, v82
                                        ; implicit-def: $vgpr82
	s_and_saveexec_b64 s[8:9], s[0:1]
	s_xor_b64 s[0:1], exec, s[8:9]
; %bb.622:                              ;   in Loop: Header=BB370_235 Depth=1
	v_bfe_u32 v82, v81, 16, 1
	v_add3_u32 v82, v81, v82, s14
                                        ; implicit-def: $vgpr81
; %bb.623:                              ;   in Loop: Header=BB370_235 Depth=1
	s_andn2_saveexec_b64 s[8:9], s[0:1]
; %bb.624:                              ;   in Loop: Header=BB370_235 Depth=1
	v_or_b32_e32 v82, 0x10000, v81
	v_cmp_eq_u32_sdwa s[0:1], v81, v19 src0_sel:WORD_0 src1_sel:DWORD
	s_nop 1
	v_cndmask_b32_e64 v82, v82, v81, s[0:1]
; %bb.625:                              ;   in Loop: Header=BB370_235 Depth=1
	s_or_b64 exec, exec, s[8:9]
	v_lshrrev_b32_e32 v3, 24, v3
	v_cvt_f32_fp8_sdwa v3, v3 src0_sel:BYTE_0
                                        ; implicit-def: $vgpr83
	s_nop 0
	v_mul_f32_e32 v3, s10, v3
	v_and_b32_e32 v81, 0x7f800000, v3
	v_cmp_ne_u32_e64 s[0:1], s13, v81
	s_and_saveexec_b64 s[8:9], s[0:1]
	s_xor_b64 s[0:1], exec, s[8:9]
; %bb.626:                              ;   in Loop: Header=BB370_235 Depth=1
	v_bfe_u32 v81, v3, 16, 1
	v_add3_u32 v83, v3, v81, s14
                                        ; implicit-def: $vgpr3
; %bb.627:                              ;   in Loop: Header=BB370_235 Depth=1
	s_andn2_saveexec_b64 s[8:9], s[0:1]
; %bb.628:                              ;   in Loop: Header=BB370_235 Depth=1
	v_or_b32_e32 v81, 0x10000, v3
	v_cmp_eq_u32_sdwa s[0:1], v3, v19 src0_sel:WORD_0 src1_sel:DWORD
	s_nop 1
	v_cndmask_b32_e64 v83, v81, v3, s[0:1]
; %bb.629:                              ;   in Loop: Header=BB370_235 Depth=1
	s_or_b64 exec, exec, s[8:9]
	v_lshrrev_b32_e32 v78, 16, v78
	v_lshrrev_b32_e32 v80, 16, v80
	;; [unrolled: 1-line block ×8, first 2 shown]
	s_and_saveexec_b64 s[0:1], vcc
	s_cbranch_execz .LBB370_631
; %bb.630:                              ;   in Loop: Header=BB370_235 Depth=1
	v_cmp_gt_i32_e32 vcc, s33, v30
	s_nop 1
	v_cndmask_b32_e32 v2, 0, v2, vcc
	v_cmp_gt_i32_e32 vcc, s33, v36
	s_nop 1
	v_cndmask_b32_e32 v3, 0, v3, vcc
	;; [unrolled: 3-line block ×8, first 2 shown]
.LBB370_631:                            ;   in Loop: Header=BB370_235 Depth=1
	s_or_b64 exec, exec, s[0:1]
	v_lshlrev_b32_e32 v2, 16, v2
	v_mul_f32_e32 v30, v38, v2
	v_and_b32_e32 v2, 0x7f800000, v30
	v_cmp_ne_u32_e32 vcc, s13, v2
                                        ; implicit-def: $vgpr2
	s_and_saveexec_b64 s[0:1], vcc
	s_xor_b64 s[0:1], exec, s[0:1]
; %bb.632:                              ;   in Loop: Header=BB370_235 Depth=1
	v_bfe_u32 v2, v30, 16, 1
	v_add3_u32 v2, v30, v2, s14
                                        ; implicit-def: $vgpr30
; %bb.633:                              ;   in Loop: Header=BB370_235 Depth=1
	s_andn2_saveexec_b64 s[0:1], s[0:1]
; %bb.634:                              ;   in Loop: Header=BB370_235 Depth=1
	v_or_b32_e32 v2, 0x10000, v30
	v_cmp_eq_u32_sdwa vcc, v30, v19 src0_sel:WORD_0 src1_sel:DWORD
	s_nop 1
	v_cndmask_b32_e32 v2, v2, v30, vcc
; %bb.635:                              ;   in Loop: Header=BB370_235 Depth=1
	s_or_b64 exec, exec, s[0:1]
	v_lshlrev_b32_e32 v3, 16, v3
	v_mul_f32_e32 v30, v39, v3
	v_and_b32_e32 v3, 0x7f800000, v30
	v_cmp_ne_u32_e32 vcc, s13, v3
                                        ; implicit-def: $vgpr3
	s_and_saveexec_b64 s[0:1], vcc
	s_xor_b64 s[0:1], exec, s[0:1]
; %bb.636:                              ;   in Loop: Header=BB370_235 Depth=1
	v_bfe_u32 v3, v30, 16, 1
	v_add3_u32 v3, v30, v3, s14
                                        ; implicit-def: $vgpr30
; %bb.637:                              ;   in Loop: Header=BB370_235 Depth=1
	s_andn2_saveexec_b64 s[0:1], s[0:1]
; %bb.638:                              ;   in Loop: Header=BB370_235 Depth=1
	v_or_b32_e32 v3, 0x10000, v30
	v_cmp_eq_u32_sdwa vcc, v30, v19 src0_sel:WORD_0 src1_sel:DWORD
	s_nop 1
	v_cndmask_b32_e32 v3, v3, v30, vcc
; %bb.639:                              ;   in Loop: Header=BB370_235 Depth=1
	s_or_b64 exec, exec, s[0:1]
	v_lshlrev_b32_e32 v30, 16, v79
	v_mul_f32_e32 v31, v40, v30
	v_and_b32_e32 v30, 0x7f800000, v31
	v_cmp_ne_u32_e32 vcc, s13, v30
                                        ; implicit-def: $vgpr30
	s_and_saveexec_b64 s[0:1], vcc
	s_xor_b64 s[0:1], exec, s[0:1]
; %bb.640:                              ;   in Loop: Header=BB370_235 Depth=1
	v_bfe_u32 v30, v31, 16, 1
	v_add3_u32 v30, v31, v30, s14
                                        ; implicit-def: $vgpr31
; %bb.641:                              ;   in Loop: Header=BB370_235 Depth=1
	s_andn2_saveexec_b64 s[0:1], s[0:1]
; %bb.642:                              ;   in Loop: Header=BB370_235 Depth=1
	v_or_b32_e32 v30, 0x10000, v31
	v_cmp_eq_u32_sdwa vcc, v31, v19 src0_sel:WORD_0 src1_sel:DWORD
	s_nop 1
	v_cndmask_b32_e32 v30, v30, v31, vcc
; %bb.643:                              ;   in Loop: Header=BB370_235 Depth=1
	s_or_b64 exec, exec, s[0:1]
	v_lshlrev_b32_e32 v31, 16, v81
	v_mul_f32_e32 v32, v41, v31
	v_and_b32_e32 v31, 0x7f800000, v32
	v_cmp_ne_u32_e32 vcc, s13, v31
                                        ; implicit-def: $vgpr31
	s_and_saveexec_b64 s[0:1], vcc
	s_xor_b64 s[0:1], exec, s[0:1]
; %bb.644:                              ;   in Loop: Header=BB370_235 Depth=1
	v_bfe_u32 v31, v32, 16, 1
	v_add3_u32 v31, v32, v31, s14
                                        ; implicit-def: $vgpr32
; %bb.645:                              ;   in Loop: Header=BB370_235 Depth=1
	s_andn2_saveexec_b64 s[0:1], s[0:1]
; %bb.646:                              ;   in Loop: Header=BB370_235 Depth=1
	v_or_b32_e32 v31, 0x10000, v32
	v_cmp_eq_u32_sdwa vcc, v32, v19 src0_sel:WORD_0 src1_sel:DWORD
	s_nop 1
	v_cndmask_b32_e32 v31, v31, v32, vcc
; %bb.647:                              ;   in Loop: Header=BB370_235 Depth=1
	s_or_b64 exec, exec, s[0:1]
	v_lshlrev_b32_e32 v32, 16, v80
	v_mul_f32_e32 v33, v42, v32
	v_and_b32_e32 v32, 0x7f800000, v33
	v_cmp_ne_u32_e32 vcc, s13, v32
                                        ; implicit-def: $vgpr32
	s_and_saveexec_b64 s[0:1], vcc
	s_xor_b64 s[0:1], exec, s[0:1]
; %bb.648:                              ;   in Loop: Header=BB370_235 Depth=1
	v_bfe_u32 v32, v33, 16, 1
	v_add3_u32 v32, v33, v32, s14
                                        ; implicit-def: $vgpr33
; %bb.649:                              ;   in Loop: Header=BB370_235 Depth=1
	s_andn2_saveexec_b64 s[0:1], s[0:1]
; %bb.650:                              ;   in Loop: Header=BB370_235 Depth=1
	v_or_b32_e32 v32, 0x10000, v33
	v_cmp_eq_u32_sdwa vcc, v33, v19 src0_sel:WORD_0 src1_sel:DWORD
	s_nop 1
	v_cndmask_b32_e32 v32, v32, v33, vcc
; %bb.651:                              ;   in Loop: Header=BB370_235 Depth=1
	s_or_b64 exec, exec, s[0:1]
	v_lshlrev_b32_e32 v33, 16, v78
	v_mul_f32_e32 v34, v43, v33
	v_and_b32_e32 v33, 0x7f800000, v34
	v_cmp_ne_u32_e32 vcc, s13, v33
                                        ; implicit-def: $vgpr33
	s_and_saveexec_b64 s[0:1], vcc
	s_xor_b64 s[0:1], exec, s[0:1]
; %bb.652:                              ;   in Loop: Header=BB370_235 Depth=1
	v_bfe_u32 v33, v34, 16, 1
	v_add3_u32 v33, v34, v33, s14
                                        ; implicit-def: $vgpr34
; %bb.653:                              ;   in Loop: Header=BB370_235 Depth=1
	s_andn2_saveexec_b64 s[0:1], s[0:1]
; %bb.654:                              ;   in Loop: Header=BB370_235 Depth=1
	v_or_b32_e32 v33, 0x10000, v34
	v_cmp_eq_u32_sdwa vcc, v34, v19 src0_sel:WORD_0 src1_sel:DWORD
	s_nop 1
	v_cndmask_b32_e32 v33, v33, v34, vcc
; %bb.655:                              ;   in Loop: Header=BB370_235 Depth=1
	s_or_b64 exec, exec, s[0:1]
	v_lshlrev_b32_e32 v34, 16, v77
	v_mul_f32_e32 v35, v44, v34
	v_and_b32_e32 v34, 0x7f800000, v35
	v_cmp_ne_u32_e32 vcc, s13, v34
                                        ; implicit-def: $vgpr34
	s_and_saveexec_b64 s[0:1], vcc
	s_xor_b64 s[0:1], exec, s[0:1]
; %bb.656:                              ;   in Loop: Header=BB370_235 Depth=1
	v_bfe_u32 v34, v35, 16, 1
	v_add3_u32 v34, v35, v34, s14
                                        ; implicit-def: $vgpr35
; %bb.657:                              ;   in Loop: Header=BB370_235 Depth=1
	s_andn2_saveexec_b64 s[0:1], s[0:1]
; %bb.658:                              ;   in Loop: Header=BB370_235 Depth=1
	v_or_b32_e32 v34, 0x10000, v35
	v_cmp_eq_u32_sdwa vcc, v35, v19 src0_sel:WORD_0 src1_sel:DWORD
	s_nop 1
	v_cndmask_b32_e32 v34, v34, v35, vcc
; %bb.659:                              ;   in Loop: Header=BB370_235 Depth=1
	s_or_b64 exec, exec, s[0:1]
	v_lshlrev_b32_e32 v35, 16, v76
	v_mul_f32_e32 v36, v45, v35
	v_and_b32_e32 v35, 0x7f800000, v36
	v_cmp_ne_u32_e32 vcc, s13, v35
                                        ; implicit-def: $vgpr35
	s_and_saveexec_b64 s[0:1], vcc
	s_xor_b64 s[0:1], exec, s[0:1]
; %bb.660:                              ;   in Loop: Header=BB370_235 Depth=1
	v_bfe_u32 v35, v36, 16, 1
	v_add3_u32 v35, v36, v35, s14
                                        ; implicit-def: $vgpr36
; %bb.661:                              ;   in Loop: Header=BB370_235 Depth=1
	s_andn2_saveexec_b64 s[0:1], s[0:1]
	s_cbranch_execz .LBB370_234
; %bb.662:                              ;   in Loop: Header=BB370_235 Depth=1
	v_or_b32_e32 v35, 0x10000, v36
	v_cmp_eq_u32_sdwa vcc, v36, v19 src0_sel:WORD_0 src1_sel:DWORD
	s_nop 1
	v_cndmask_b32_e32 v35, v35, v36, vcc
	s_branch .LBB370_234
.LBB370_663:
	s_or_b64 exec, exec, s[6:7]
.LBB370_664:
	s_or_b64 exec, exec, s[2:3]
	ds_bpermute_b32 v2, v24, v16
	ds_bpermute_b32 v3, v24, v17
	;; [unrolled: 1-line block ×6, first 2 shown]
	s_waitcnt lgkmcnt(4)
	v_pk_add_f32 v[2:3], v[16:17], v[2:3]
	ds_bpermute_b32 v8, v25, v2
	ds_bpermute_b32 v9, v25, v3
	s_waitcnt lgkmcnt(4)
	v_pk_add_f32 v[4:5], v[14:15], v[4:5]
	s_waitcnt lgkmcnt(2)
	v_pk_add_f32 v[12:13], v[12:13], v[6:7]
	ds_bpermute_b32 v10, v25, v4
	ds_bpermute_b32 v11, v25, v5
	;; [unrolled: 1-line block ×4, first 2 shown]
	s_waitcnt lgkmcnt(4)
	v_pk_add_f32 v[6:7], v[2:3], v[8:9]
	v_and_b32_e32 v8, 0x3c3, v0
	s_waitcnt lgkmcnt(2)
	v_pk_add_f32 v[2:3], v[4:5], v[10:11]
	v_cmp_eq_u32_e32 vcc, 64, v8
	s_waitcnt lgkmcnt(0)
	v_pk_add_f32 v[4:5], v[12:13], v[14:15]
	s_barrier
	s_and_saveexec_b64 s[0:1], vcc
	s_cbranch_execz .LBB370_666
; %bb.665:
	v_add_u32_e32 v1, 0xd0, v1
	ds_write2_b32 v1, v6, v7 offset1:16
	ds_write2_b32 v1, v2, v3 offset0:32 offset1:48
	ds_write2_b32 v1, v4, v5 offset0:64 offset1:80
.LBB370_666:
	s_or_b64 exec, exec, s[0:1]
	v_cmp_gt_u32_e32 vcc, 64, v0
	s_waitcnt lgkmcnt(0)
	s_barrier
	s_and_saveexec_b64 s[2:3], vcc
	s_cbranch_execz .LBB370_675
; %bb.667:
	v_cmp_eq_u32_e64 s[0:1], 0, v26
	v_lshrrev_b32_e32 v1, 2, v0
	s_and_saveexec_b64 s[6:7], s[0:1]
	s_cbranch_execnz .LBB370_703
; %bb.668:
	s_or_b64 exec, exec, s[6:7]
	s_and_saveexec_b64 s[6:7], s[0:1]
	s_cbranch_execnz .LBB370_704
.LBB370_669:
	s_or_b64 exec, exec, s[6:7]
	s_and_saveexec_b64 s[6:7], s[0:1]
	s_cbranch_execnz .LBB370_705
.LBB370_670:
	s_or_b64 exec, exec, s[6:7]
	s_and_saveexec_b64 s[6:7], s[0:1]
	s_cbranch_execnz .LBB370_706
.LBB370_671:
	s_or_b64 exec, exec, s[6:7]
	s_and_saveexec_b64 s[6:7], s[0:1]
	s_cbranch_execnz .LBB370_707
.LBB370_672:
	s_or_b64 exec, exec, s[6:7]
	s_and_saveexec_b64 s[6:7], s[0:1]
	s_cbranch_execz .LBB370_674
.LBB370_673:
	v_mov_b32_e32 v8, 0xd0
	v_lshl_add_u32 v1, v1, 2, v8
	ds_read_b32 v1, v1 offset:320
	s_waitcnt lgkmcnt(0)
	v_add_f32_e32 v5, v5, v1
.LBB370_674:
	s_or_b64 exec, exec, s[6:7]
.LBB370_675:
	s_or_b64 exec, exec, s[2:3]
	s_barrier
	s_and_saveexec_b64 s[0:1], vcc
	s_cbranch_execz .LBB370_702
; %bb.676:
	v_cmp_eq_u32_e32 vcc, 0, v26
	s_and_b64 exec, exec, vcc
	s_cbranch_execz .LBB370_702
; %bb.677:
	s_mov_b32 s0, 0x7f800000
	v_and_b32_e32 v1, 0x7f800000, v6
	v_cmp_ne_u32_e32 vcc, s0, v1
                                        ; implicit-def: $vgpr8
	s_and_saveexec_b64 s[0:1], vcc
	s_xor_b64 s[0:1], exec, s[0:1]
; %bb.678:
	v_bfe_u32 v1, v6, 16, 1
	s_movk_i32 s2, 0x7fff
	v_add3_u32 v8, v6, v1, s2
; %bb.679:
	s_andn2_saveexec_b64 s[0:1], s[0:1]
; %bb.680:
	v_mov_b32_e32 v1, 0
	v_or_b32_e32 v8, 0x10000, v6
	v_cmp_eq_u32_sdwa vcc, v6, v1 src0_sel:WORD_0 src1_sel:DWORD
	s_nop 1
	v_cndmask_b32_e32 v8, v8, v6, vcc
; %bb.681:
	s_or_b64 exec, exec, s[0:1]
	s_mul_i32 s0, s12, s24
	s_mul_i32 s0, s0, s25
	s_mulk_i32 s0, 0x60
	s_ashr_i32 s1, s0, 31
	s_lshl_b64 s[0:1], s[0:1], 1
	s_add_u32 s2, s28, s0
	s_mul_i32 s0, s12, s26
	s_addc_u32 s3, s29, s1
	s_ashr_i32 s1, s0, 31
	s_lshl_b64 s[0:1], s[0:1], 1
	s_add_u32 s2, s2, s0
	s_mul_i32 s0, s4, 0x60
	s_addc_u32 s3, s3, s1
	s_ashr_i32 s1, s0, 31
	s_lshl_b64 s[0:1], s[0:1], 1
	s_add_u32 s0, s2, s0
	v_lshrrev_b32_e32 v0, 1, v0
	s_mov_b32 s2, 0x7f800000
	v_and_b32_e32 v6, 0x7f800000, v7
	s_addc_u32 s1, s3, s1
	v_and_b32_e32 v0, 0x1fe, v0
	v_mov_b32_e32 v1, 0
	v_cmp_ne_u32_e32 vcc, s2, v6
	global_store_short_d16_hi v0, v8, s[0:1]
                                        ; implicit-def: $vgpr6
	s_and_saveexec_b64 s[2:3], vcc
	s_xor_b64 s[2:3], exec, s[2:3]
; %bb.682:
	v_bfe_u32 v6, v7, 16, 1
	s_movk_i32 s4, 0x7fff
	v_add3_u32 v6, v7, v6, s4
; %bb.683:
	s_or_saveexec_b64 s[2:3], s[2:3]
	v_lshl_add_u64 v[8:9], s[0:1], 0, v[0:1]
	s_xor_b64 exec, exec, s[2:3]
; %bb.684:
	v_mov_b32_e32 v0, 0
	v_or_b32_e32 v1, 0x10000, v7
	v_cmp_eq_u32_sdwa vcc, v7, v0 src0_sel:WORD_0 src1_sel:DWORD
	s_nop 1
	v_cndmask_b32_e32 v6, v1, v7, vcc
; %bb.685:
	s_or_b64 exec, exec, s[2:3]
	s_mov_b32 s0, 0x7f800000
	v_and_b32_e32 v0, 0x7f800000, v2
	v_cmp_ne_u32_e32 vcc, s0, v0
	global_store_short_d16_hi v[8:9], v6, off offset:32
                                        ; implicit-def: $vgpr0
	s_and_saveexec_b64 s[0:1], vcc
	s_xor_b64 s[0:1], exec, s[0:1]
; %bb.686:
	v_bfe_u32 v0, v2, 16, 1
	s_movk_i32 s2, 0x7fff
	v_add3_u32 v0, v2, v0, s2
; %bb.687:
	s_andn2_saveexec_b64 s[0:1], s[0:1]
; %bb.688:
	v_mov_b32_e32 v0, 0
	v_or_b32_e32 v1, 0x10000, v2
	v_cmp_eq_u32_sdwa vcc, v2, v0 src0_sel:WORD_0 src1_sel:DWORD
	s_nop 1
	v_cndmask_b32_e32 v0, v1, v2, vcc
; %bb.689:
	s_or_b64 exec, exec, s[0:1]
	global_store_short_d16_hi v[8:9], v0, off offset:64
	s_mov_b32 s0, 0x7f800000
	v_and_b32_e32 v0, 0x7f800000, v3
	v_cmp_ne_u32_e32 vcc, s0, v0
                                        ; implicit-def: $vgpr0
	s_and_saveexec_b64 s[0:1], vcc
	s_xor_b64 s[0:1], exec, s[0:1]
; %bb.690:
	v_bfe_u32 v0, v3, 16, 1
	s_movk_i32 s2, 0x7fff
	v_add3_u32 v0, v3, v0, s2
; %bb.691:
	s_andn2_saveexec_b64 s[0:1], s[0:1]
; %bb.692:
	v_mov_b32_e32 v0, 0
	v_or_b32_e32 v1, 0x10000, v3
	v_cmp_eq_u32_sdwa vcc, v3, v0 src0_sel:WORD_0 src1_sel:DWORD
	s_nop 1
	v_cndmask_b32_e32 v0, v1, v3, vcc
; %bb.693:
	s_or_b64 exec, exec, s[0:1]
	global_store_short_d16_hi v[8:9], v0, off offset:96
	s_mov_b32 s0, 0x7f800000
	v_and_b32_e32 v0, 0x7f800000, v4
	v_cmp_ne_u32_e32 vcc, s0, v0
	;; [unrolled: 21-line block ×3, first 2 shown]
                                        ; implicit-def: $vgpr6
	s_and_saveexec_b64 s[0:1], vcc
	s_xor_b64 s[0:1], exec, s[0:1]
; %bb.698:
	v_bfe_u32 v0, v5, 16, 1
	s_movk_i32 s2, 0x7fff
	v_add3_u32 v6, v5, v0, s2
                                        ; implicit-def: $vgpr0_vgpr1_vgpr2_vgpr3_vgpr4_vgpr5
; %bb.699:
	s_andn2_saveexec_b64 s[0:1], s[0:1]
; %bb.700:
	v_mov_b32_e32 v0, 0
	v_or_b32_e32 v1, 0x10000, v5
	v_cmp_eq_u32_sdwa vcc, v5, v0 src0_sel:WORD_0 src1_sel:DWORD
	s_nop 1
	v_cndmask_b32_e32 v6, v1, v5, vcc
; %bb.701:
	s_or_b64 exec, exec, s[0:1]
	global_store_short_d16_hi v[8:9], v6, off offset:160
.LBB370_702:
	s_endpgm
.LBB370_703:
	v_mov_b32_e32 v8, 0xd0
	v_lshl_add_u32 v8, v1, 2, v8
	ds_read_b32 v8, v8
	s_waitcnt lgkmcnt(0)
	v_add_f32_e32 v6, v6, v8
	s_or_b64 exec, exec, s[6:7]
	s_and_saveexec_b64 s[6:7], s[0:1]
	s_cbranch_execz .LBB370_669
.LBB370_704:
	v_mov_b32_e32 v8, 0xd0
	v_lshl_add_u32 v8, v1, 2, v8
	ds_read_b32 v8, v8 offset:64
	s_waitcnt lgkmcnt(0)
	v_add_f32_e32 v7, v7, v8
	s_or_b64 exec, exec, s[6:7]
	s_and_saveexec_b64 s[6:7], s[0:1]
	s_cbranch_execz .LBB370_670
.LBB370_705:
	v_mov_b32_e32 v8, 0xd0
	v_lshl_add_u32 v8, v1, 2, v8
	ds_read_b32 v8, v8 offset:128
	s_waitcnt lgkmcnt(0)
	v_add_f32_e32 v2, v2, v8
	s_or_b64 exec, exec, s[6:7]
	s_and_saveexec_b64 s[6:7], s[0:1]
	s_cbranch_execz .LBB370_671
.LBB370_706:
	v_mov_b32_e32 v8, 0xd0
	v_lshl_add_u32 v8, v1, 2, v8
	ds_read_b32 v8, v8 offset:192
	s_waitcnt lgkmcnt(0)
	v_add_f32_e32 v3, v3, v8
	s_or_b64 exec, exec, s[6:7]
	s_and_saveexec_b64 s[6:7], s[0:1]
	s_cbranch_execz .LBB370_672
.LBB370_707:
	v_mov_b32_e32 v8, 0xd0
	v_lshl_add_u32 v8, v1, 2, v8
	ds_read_b32 v8, v8 offset:256
	s_waitcnt lgkmcnt(0)
	v_add_f32_e32 v4, v4, v8
	s_or_b64 exec, exec, s[6:7]
	s_and_saveexec_b64 s[6:7], s[0:1]
	s_cbranch_execnz .LBB370_673
	s_branch .LBB370_674
	.section	.rodata,"a",@progbits
	.p2align	6, 0x0
	.amdhsa_kernel _ZN4vllm25paged_attention_v2_kernelI14__hip_bfloat16hLi96ELi32ELi128ELNS_18Fp8KVCacheDataTypeE1ELb0ELi512EEEvPfS3_PT_PKS4_PKT0_SA_ifPKiSC_iPKfiiiSE_SE_iiiii
		.amdhsa_group_segment_fixed_size 208
		.amdhsa_private_segment_fixed_size 0
		.amdhsa_kernarg_size 400
		.amdhsa_user_sgpr_count 2
		.amdhsa_user_sgpr_dispatch_ptr 0
		.amdhsa_user_sgpr_queue_ptr 0
		.amdhsa_user_sgpr_kernarg_segment_ptr 1
		.amdhsa_user_sgpr_dispatch_id 0
		.amdhsa_user_sgpr_kernarg_preload_length 0
		.amdhsa_user_sgpr_kernarg_preload_offset 0
		.amdhsa_user_sgpr_private_segment_size 0
		.amdhsa_uses_dynamic_stack 0
		.amdhsa_enable_private_segment 0
		.amdhsa_system_sgpr_workgroup_id_x 1
		.amdhsa_system_sgpr_workgroup_id_y 1
		.amdhsa_system_sgpr_workgroup_id_z 1
		.amdhsa_system_sgpr_workgroup_info 0
		.amdhsa_system_vgpr_workitem_id 0
		.amdhsa_next_free_vgpr 115
		.amdhsa_next_free_sgpr 47
		.amdhsa_accum_offset 116
		.amdhsa_reserve_vcc 1
		.amdhsa_float_round_mode_32 0
		.amdhsa_float_round_mode_16_64 0
		.amdhsa_float_denorm_mode_32 3
		.amdhsa_float_denorm_mode_16_64 3
		.amdhsa_dx10_clamp 1
		.amdhsa_ieee_mode 1
		.amdhsa_fp16_overflow 0
		.amdhsa_tg_split 0
		.amdhsa_exception_fp_ieee_invalid_op 0
		.amdhsa_exception_fp_denorm_src 0
		.amdhsa_exception_fp_ieee_div_zero 0
		.amdhsa_exception_fp_ieee_overflow 0
		.amdhsa_exception_fp_ieee_underflow 0
		.amdhsa_exception_fp_ieee_inexact 0
		.amdhsa_exception_int_div_zero 0
	.end_amdhsa_kernel
	.section	.text._ZN4vllm25paged_attention_v2_kernelI14__hip_bfloat16hLi96ELi32ELi128ELNS_18Fp8KVCacheDataTypeE1ELb0ELi512EEEvPfS3_PT_PKS4_PKT0_SA_ifPKiSC_iPKfiiiSE_SE_iiiii,"axG",@progbits,_ZN4vllm25paged_attention_v2_kernelI14__hip_bfloat16hLi96ELi32ELi128ELNS_18Fp8KVCacheDataTypeE1ELb0ELi512EEEvPfS3_PT_PKS4_PKT0_SA_ifPKiSC_iPKfiiiSE_SE_iiiii,comdat
.Lfunc_end370:
	.size	_ZN4vllm25paged_attention_v2_kernelI14__hip_bfloat16hLi96ELi32ELi128ELNS_18Fp8KVCacheDataTypeE1ELb0ELi512EEEvPfS3_PT_PKS4_PKT0_SA_ifPKiSC_iPKfiiiSE_SE_iiiii, .Lfunc_end370-_ZN4vllm25paged_attention_v2_kernelI14__hip_bfloat16hLi96ELi32ELi128ELNS_18Fp8KVCacheDataTypeE1ELb0ELi512EEEvPfS3_PT_PKS4_PKT0_SA_ifPKiSC_iPKfiiiSE_SE_iiiii
                                        ; -- End function
	.section	.AMDGPU.csdata,"",@progbits
; Kernel info:
; codeLenInByte = 21028
; NumSgprs: 53
; NumVgprs: 115
; NumAgprs: 0
; TotalNumVgprs: 115
; ScratchSize: 0
; MemoryBound: 0
; FloatMode: 240
; IeeeMode: 1
; LDSByteSize: 208 bytes/workgroup (compile time only)
; SGPRBlocks: 6
; VGPRBlocks: 14
; NumSGPRsForWavesPerEU: 53
; NumVGPRsForWavesPerEU: 115
; AccumOffset: 116
; Occupancy: 4
; WaveLimiterHint : 1
; COMPUTE_PGM_RSRC2:SCRATCH_EN: 0
; COMPUTE_PGM_RSRC2:USER_SGPR: 2
; COMPUTE_PGM_RSRC2:TRAP_HANDLER: 0
; COMPUTE_PGM_RSRC2:TGID_X_EN: 1
; COMPUTE_PGM_RSRC2:TGID_Y_EN: 1
; COMPUTE_PGM_RSRC2:TGID_Z_EN: 1
; COMPUTE_PGM_RSRC2:TIDIG_COMP_CNT: 0
; COMPUTE_PGM_RSRC3_GFX90A:ACCUM_OFFSET: 28
; COMPUTE_PGM_RSRC3_GFX90A:TG_SPLIT: 0
	.text
	.p2align	2                               ; -- Begin function _ZN4vllm22paged_attention_kernelI14__hip_bfloat16hLi112ELi32ELi128ELNS_18Fp8KVCacheDataTypeE1ELb0ELi512EEEvPfS3_PT_PKS4_PKT0_SA_ifPKiSC_iPKfiiiSE_SE_iiiii
	.type	_ZN4vllm22paged_attention_kernelI14__hip_bfloat16hLi112ELi32ELi128ELNS_18Fp8KVCacheDataTypeE1ELb0ELi512EEEvPfS3_PT_PKS4_PKT0_SA_ifPKiSC_iPKfiiiSE_SE_iiiii,@function
_ZN4vllm22paged_attention_kernelI14__hip_bfloat16hLi112ELi32ELi128ELNS_18Fp8KVCacheDataTypeE1ELb0ELi512EEEvPfS3_PT_PKS4_PKT0_SA_ifPKiSC_iPKfiiiSE_SE_iiiii: ; @_ZN4vllm22paged_attention_kernelI14__hip_bfloat16hLi112ELi32ELi128ELNS_18Fp8KVCacheDataTypeE1ELb0ELi512EEEvPfS3_PT_PKS4_PKT0_SA_ifPKiSC_iPKfiiiSE_SE_iiiii
; %bb.0:
	s_waitcnt vmcnt(0) expcnt(0) lgkmcnt(0)
	scratch_store_dword off, v40, s32 offset:188 ; 4-byte Folded Spill
	scratch_store_dword off, v41, s32 offset:184 ; 4-byte Folded Spill
	;; [unrolled: 1-line block ×47, first 2 shown]
	scratch_store_dword off, a63, s32       ; 4-byte Folded Spill
	s_mov_b32 s16, s13
	s_ashr_i32 s17, s13, 31
	v_mov_b32_e32 v33, v1
	v_mov_b32_e32 v32, v0
	v_lshl_add_u64 v[0:1], s[16:17], 2, v[16:17]
	flat_load_dword v35, v[0:1]
	v_accvgpr_write_b32 a22, v24
	s_lshl_b32 s26, s14, 9
	v_accvgpr_write_b32 a23, v25
	v_accvgpr_write_b32 a4, v22
	v_mov_b32_e32 v29, v20
	v_mov_b32_e32 v28, v19
	v_accvgpr_write_b32 a24, v13
	v_mov_b32_e32 v37, v3
	v_mov_b32_e32 v36, v2
	scratch_store_dwordx2 off, v[4:5], s32 offset:220 ; 8-byte Folded Spill
	s_waitcnt vmcnt(0) lgkmcnt(0)
	v_cmp_lt_i32_e32 vcc, s26, v35
	s_and_saveexec_b64 s[10:11], vcc
	s_cbranch_execz .LBB371_805
; %bb.1:
	v_sub_u32_e32 v0, 0, v12
	v_max_i32_e32 v0, v12, v0
	v_cvt_f32_u32_e32 v1, v0
	s_load_dword s0, s[8:9], 0x10
	s_load_dword s2, s[8:9], 0x0
	v_sub_u32_e32 v3, 0, v0
	s_mov_b32 s18, s15
	v_rcp_iflag_f32_e32 v1, v1
	s_waitcnt lgkmcnt(0)
	s_lshr_b32 s0, s0, 16
	s_cmp_lg_u32 s0, 0
	s_cselect_b64 s[0:1], -1, 0
	v_mul_f32_e32 v1, 0x4f7ffffe, v1
	v_cvt_u32_f32_e32 v1, v1
	s_cmp_lg_u64 s[0:1], 0
	s_addc_u32 s17, s2, 0
	s_abs_i32 s0, s17
	v_mul_lo_u32 v3, v3, v1
	v_mul_hi_u32 v3, v1, v3
	v_add_u32_e32 v1, v1, v3
	v_mul_hi_u32 v1, s0, v1
	v_mul_lo_u32 v3, v1, v0
	v_sub_u32_e32 v3, s0, v3
	v_add_u32_e32 v4, 1, v1
	v_cmp_ge_u32_e32 vcc, v3, v0
	v_xor_b32_e32 v2, s17, v12
	v_ashrrev_i32_e32 v2, 31, v2
	v_cndmask_b32_e32 v1, v1, v4, vcc
	v_sub_u32_e32 v4, v3, v0
	v_cndmask_b32_e32 v3, v3, v4, vcc
	v_add_u32_e32 v4, 1, v1
	v_cmp_ge_u32_e32 vcc, v3, v0
	s_abs_i32 s2, s12
	s_nop 0
	v_cndmask_b32_e32 v0, v1, v4, vcc
	v_xor_b32_e32 v0, v0, v2
	v_sub_u32_e32 v0, v0, v2
	v_sub_u32_e32 v1, 0, v0
	v_max_i32_e32 v1, v0, v1
	v_cvt_f32_u32_e32 v2, v1
	v_sub_u32_e32 v3, 0, v1
	v_cmp_ne_u64_e32 vcc, 0, v[28:29]
	v_rcp_iflag_f32_e32 v2, v2
	s_nop 0
	v_mul_f32_e32 v2, 0x4f7ffffe, v2
	v_cvt_u32_f32_e32 v2, v2
	v_mul_lo_u32 v3, v3, v2
	v_mul_hi_u32 v3, v2, v3
	v_add_u32_e32 v2, v2, v3
	v_mad_u64_u32 v[16:17], s[0:1], s2, v2, 0
	v_mov_b32_e32 v2, 0
	scratch_store_dword off, v2, s32 offset:212 ; 4-byte Folded Spill
	s_and_saveexec_b64 s[0:1], vcc
	s_cbranch_execz .LBB371_3
; %bb.2:
	s_ashr_i32 s13, s12, 31
	v_lshl_add_u64 v[2:3], s[12:13], 2, v[28:29]
	flat_load_dword v2, v[2:3]
	s_waitcnt vmcnt(0) lgkmcnt(0)
	scratch_store_dword off, v2, s32 offset:212 ; 4-byte Folded Spill
.LBB371_3:
	s_or_b64 exec, exec, s[0:1]
	v_and_b32_e32 v20, 0x3ff, v31
	s_ashr_i32 s3, s12, 31
	v_ashrrev_i32_e32 v2, 31, v0
	v_and_b32_e32 v0, 1, v20
	s_movk_i32 s4, 0x70
	s_mul_i32 s20, s12, 0x70
	v_cmp_gt_u32_e32 vcc, 28, v20
	v_lshlrev_b32_e32 v38, 3, v20
	s_and_saveexec_b64 s[0:1], vcc
	s_cbranch_execz .LBB371_5
; %bb.4:
	v_mul_lo_u32 v4, s16, v21
	v_ashrrev_i32_e32 v5, 31, v4
	v_lshl_add_u64 v[4:5], v[4:5], 1, v[6:7]
	s_ashr_i32 s21, s20, 31
	v_lshl_add_u64 v[4:5], s[20:21], 1, v[4:5]
	v_mov_b32_e32 v39, 0
	v_lshl_add_u64 v[4:5], v[4:5], 0, v[38:39]
	flat_load_dwordx2 v[4:5], v[4:5]
	v_lshlrev_b32_e32 v3, 2, v20
	v_and_b32_e32 v3, 0xff8, v3
	v_mad_u32_u24 v3, v0, s4, v3
	s_waitcnt vmcnt(0) lgkmcnt(0)
	ds_write_b64 v3, v[4:5]
.LBB371_5:
	s_or_b64 exec, exec, s[0:1]
	v_add_u32_e32 v3, 31, v35
	v_ashrrev_i32_e32 v4, 31, v3
	v_lshrrev_b32_e32 v4, 27, v4
	v_add_u32_e32 v3, v3, v4
	v_ashrrev_i32_e32 v39, 5, v3
	v_mul_lo_u32 v3, v17, v1
	v_sub_u32_e32 v3, s2, v3
	v_add_u32_e32 v4, 1, v17
	v_cmp_ge_u32_e32 vcc, v3, v1
	v_sub_u32_e32 v5, v3, v1
	s_lshl_b32 s15, s14, 4
	v_cndmask_b32_e32 v4, v17, v4, vcc
	v_cndmask_b32_e32 v3, v3, v5, vcc
	v_add_u32_e32 v5, 1, v4
	v_cmp_ge_u32_e32 vcc, v3, v1
	s_add_i32 s0, s15, 16
	v_lshrrev_b32_e32 v34, 6, v20
	v_xor_b32_e32 v2, s3, v2
	v_cndmask_b32_e32 v1, v4, v5, vcc
	v_min_i32_e32 v6, s0, v39
	v_xor_b32_e32 v1, v1, v2
	v_mul_lo_u32 v48, s16, v18
	v_or_b32_e32 v16, s15, v34
	v_sub_u32_e32 v2, v1, v2
	v_ashrrev_i32_e32 v49, 31, v48
	v_cmp_lt_i32_e64 s[0:1], v16, v6
	v_cmp_ge_i32_e32 vcc, v16, v6
	v_mbcnt_lo_u32_b32 v1, -1, 0
	s_waitcnt lgkmcnt(0)
	s_barrier
	scratch_store_dword off, v6, s32 offset:192 ; 4-byte Folded Spill
                                        ; implicit-def: $sgpr4
                                        ; implicit-def: $vgpr12
                                        ; implicit-def: $vgpr13
	s_and_saveexec_b64 s[2:3], vcc
	s_xor_b64 s[2:3], exec, s[2:3]
; %bb.6:
	v_mbcnt_hi_u32_b32 v12, -1, v1
	v_and_b32_e32 v0, 64, v12
	v_add_u32_e32 v13, 64, v0
	s_mov_b32 s4, 0xff7fffff
                                        ; implicit-def: $vgpr0
                                        ; kill: killed $vgpr0
                                        ; implicit-def: $agpr24
                                        ; implicit-def: $agpr22
                                        ; implicit-def: $vgpr8
                                        ; implicit-def: $vgpr0
                                        ; implicit-def: $vgpr1
; %bb.7:
	s_or_saveexec_b64 s[6:7], s[2:3]
	s_load_dword s21, s[8:9], 0x14
	s_load_dword s13, s[8:9], 0x8
	v_mul_lo_u32 v50, v2, v23
	v_mov_b32_e32 v3, s4
	v_ashrrev_i32_e32 v17, 31, v16
	v_ashrrev_i32_e32 v51, 31, v50
	scratch_store_dword off, v20, s32 offset:216 ; 4-byte Folded Spill
	s_xor_b64 exec, exec, s[6:7]
	s_cbranch_execz .LBB371_237
; %bb.8:
	scratch_store_dword off, v39, s32 offset:228 ; 4-byte Folded Spill
	scratch_store_dwordx2 off, v[38:39], s32 offset:260 ; 8-byte Folded Spill
	scratch_store_dwordx2 off, v[36:37], s32 offset:268 ; 8-byte Folded Spill
	;; [unrolled: 1-line block ×5, first 2 shown]
	v_mul_u32_u24_e32 v6, 0x70, v0
	ds_read_b128 v[2:5], v6
	ds_read_b128 v[10:13], v6 offset:16
	v_mov_b32_e32 v7, v20
	ds_read_b128 v[18:21], v6 offset:32
	ds_read_b128 v[22:25], v6 offset:48
	v_mbcnt_hi_u32_b32 v1, -1, v1
	s_waitcnt lgkmcnt(0)
	v_lshlrev_b32_e32 v26, 16, v2
	v_and_b32_e32 v2, 0xffff0000, v2
	scratch_store_dword off, v2, s32 offset:204 ; 4-byte Folded Spill
	v_lshlrev_b32_e32 v2, 16, v3
	scratch_store_dword off, v2, s32 offset:208 ; 4-byte Folded Spill
	v_and_b32_e32 v2, 0xffff0000, v3
	v_accvgpr_write_b32 a30, v2
	v_lshlrev_b32_e32 v2, 16, v4
	v_accvgpr_write_b32 a31, v2
	v_and_b32_e32 v2, 0xffff0000, v4
	v_accvgpr_write_b32 a32, v2
	v_lshlrev_b32_e32 v2, 16, v5
	v_accvgpr_write_b32 a33, v2
	;; [unrolled: 4-line block ×13, first 2 shown]
	ds_read_b128 v[2:5], v6 offset:64
	v_and_b32_e32 v10, 0xffff0000, v24
	v_accvgpr_write_b32 a56, v10
	v_lshlrev_b32_e32 v10, 16, v25
	v_accvgpr_write_b32 a57, v10
	v_and_b32_e32 v10, 0xffff0000, v25
	v_accvgpr_write_b32 a58, v10
	ds_read_b128 v[10:13], v6 offset:80
	s_waitcnt lgkmcnt(1)
	v_lshlrev_b32_e32 v18, 16, v2
	v_and_b32_e32 v2, 0xffff0000, v2
	v_accvgpr_write_b32 a60, v2
	v_lshlrev_b32_e32 v2, 16, v3
	v_accvgpr_write_b32 a61, v2
	v_and_b32_e32 v2, 0xffff0000, v3
	v_accvgpr_write_b32 a62, v2
	v_lshlrev_b32_e32 v2, 16, v4
	v_accvgpr_write_b32 a63, v2
	;; [unrolled: 4-line block ×3, first 2 shown]
	v_and_b32_e32 v2, 0xffff0000, v5
	v_accvgpr_write_b32 a20, v2
	s_waitcnt lgkmcnt(0)
	v_lshlrev_b32_e32 v2, 16, v10
	v_accvgpr_write_b32 a21, v2
	v_and_b32_e32 v2, 0xffff0000, v10
	v_accvgpr_write_b32 a26, v2
	v_lshlrev_b32_e32 v2, 16, v11
	v_accvgpr_write_b32 a25, v2
	v_and_b32_e32 v2, 0xffff0000, v11
	v_accvgpr_write_b32 a18, v2
	;; [unrolled: 4-line block ×4, first 2 shown]
	ds_read_b128 v[2:5], v6 offset:96
	v_cmp_eq_u32_e32 vcc, 0, v0
	scratch_store_dword off, v1, s32 offset:244 ; 4-byte Folded Spill
	s_ashr_i32 s19, s18, 31
	s_lshl_b64 s[4:5], s[18:19], 2
	s_waitcnt lgkmcnt(0)
	v_lshlrev_b32_e32 v6, 16, v2
	v_and_b32_e32 v2, 0xffff0000, v2
	v_accvgpr_write_b32 a14, v2
	v_lshlrev_b32_e32 v2, 16, v3
	v_accvgpr_write_b32 a15, v2
	v_and_b32_e32 v2, 0xffff0000, v3
	v_accvgpr_write_b32 a12, v2
	v_lshlrev_b32_e32 v2, 16, v4
	v_accvgpr_write_b32 a13, v2
	;; [unrolled: 4-line block ×3, first 2 shown]
	v_and_b32_e32 v2, 0xffff0000, v5
	v_bfe_u32 v4, v7, 1, 5
	v_accvgpr_write_b32 a8, v2
	v_lshl_add_u64 v[2:3], v[8:9], 0, v[50:51]
	v_lshlrev_b32_e32 v8, 4, v4
	v_mov_b32_e32 v9, 0
	v_lshl_add_u64 v[2:3], v[2:3], 0, v[8:9]
	v_accvgpr_write_b32 a7, v3
	v_lshlrev_b32_e32 v8, 2, v0
	v_and_b32_e32 v0, 64, v1
	v_accvgpr_write_b32 a6, v2
	v_add_u32_e32 v2, 64, v0
	v_xor_b32_e32 v0, 1, v1
	v_cmp_lt_i32_e64 s[2:3], v0, v2
	s_getpc_b64 s[8:9]
	s_add_u32 s8, s8, llvm.amdgcn.dynlds.offset.table@rel32@lo+4
	s_addc_u32 s9, s9, llvm.amdgcn.dynlds.offset.table@rel32@hi+12
	v_cndmask_b32_e64 v0, v1, v0, s[2:3]
	v_lshlrev_b32_e32 v0, 2, v0
	v_accvgpr_write_b32 a9, v0
	scratch_load_dword v0, off, s32 offset:212 ; 4-byte Folded Reload
	s_add_u32 s8, s4, s8
	v_accvgpr_write_b32 a59, v18
	v_accvgpr_write_b32 a16, v6
	s_addc_u32 s9, s5, s9
	s_mov_b64 s[22:23], 0
	s_mov_b32 s19, 0x7f800000
	s_movk_i32 s27, 0x7fff
	v_mov_b32_e32 v41, v16
	scratch_store_dword off, v26, s32 offset:200 ; 4-byte Folded Spill
	scratch_store_dwordx2 off, v[50:51], s32 offset:232 ; 8-byte Folded Spill
	scratch_store_dword off, v2, s32 offset:240 ; 4-byte Folded Spill
	scratch_store_dwordx2 off, v[48:49], s32 offset:248 ; 8-byte Folded Spill
	scratch_store_dwordx2 off, v[14:15], s32 offset:300 ; 8-byte Folded Spill
	scratch_store_dword off, v34, s32 offset:256 ; 4-byte Folded Spill
	s_waitcnt vmcnt(6)
	v_cmp_neq_f32_e64 s[2:3], 0, v0
	v_lshlrev_b64 v[0:1], 2, v[16:17]
	v_lshl_add_u64 v[0:1], v[48:49], 2, v[0:1]
	v_lshl_add_u64 v[20:21], v[14:15], 0, v[0:1]
	v_lshlrev_b32_e32 v0, 5, v34
	v_add3_u32 v55, s26, v0, v4
	v_lshlrev_b32_e32 v0, 2, v4
	v_lshl_or_b32 v40, v34, 7, v0
	v_mov_b32_e32 v0, 0xff7fffff
	scratch_store_dword off, v0, s32 offset:196 ; 4-byte Folded Spill
	s_branch .LBB371_10
.LBB371_9:                              ;   in Loop: Header=BB371_10 Depth=1
	s_or_b64 exec, exec, s[24:25]
	scratch_load_dword v0, off, s32 offset:192 ; 4-byte Folded Reload
	v_add_u32_e32 v41, 2, v41
	v_lshl_add_u64 v[20:21], v[20:21], 0, 8
	v_add_u32_e32 v55, 64, v55
	v_add_u32_e32 v40, 0x100, v40
	s_waitcnt vmcnt(0)
	v_cmp_ge_i32_e64 s[4:5], v41, v0
	s_or_b64 s[22:23], s[4:5], s[22:23]
	s_andn2_b64 exec, exec, s[22:23]
	s_cbranch_execz .LBB371_236
.LBB371_10:                             ; =>This Inner Loop Header: Depth=1
	flat_load_dword v0, v[20:21]
	v_accvgpr_read_b32 v4, a6
	v_accvgpr_read_b32 v2, a4
	;; [unrolled: 1-line block ×3, first 2 shown]
                                        ; implicit-def: $agpr3
	s_waitcnt vmcnt(0) lgkmcnt(0)
	v_mad_i64_i32 v[0:1], s[4:5], v0, v2, v[4:5]
	v_lshl_add_u64 v[32:33], v[0:1], 0, v[8:9]
	flat_load_dword v0, v[32:33]
	v_accvgpr_read_b32 v2, a22
	v_accvgpr_read_b32 v3, a23
	flat_load_dword v44, v[2:3]
	s_waitcnt vmcnt(0) lgkmcnt(0)
	v_and_b32_e32 v1, 0xff, v0
	v_cvt_f32_fp8_sdwa v1, v1 src0_sel:BYTE_0
	s_nop 0
	v_mul_f32_e32 v1, v44, v1
	v_and_b32_e32 v2, 0x7f800000, v1
	v_cmp_ne_u32_e64 s[4:5], s19, v2
	s_and_saveexec_b64 s[24:25], s[4:5]
	s_xor_b64 s[4:5], exec, s[24:25]
; %bb.11:                               ;   in Loop: Header=BB371_10 Depth=1
	v_bfe_u32 v2, v1, 16, 1
	v_add3_u32 v1, v1, v2, s27
	v_accvgpr_write_b32 a3, v1
                                        ; implicit-def: $vgpr1
; %bb.12:                               ;   in Loop: Header=BB371_10 Depth=1
	s_andn2_saveexec_b64 s[24:25], s[4:5]
; %bb.13:                               ;   in Loop: Header=BB371_10 Depth=1
	v_or_b32_e32 v2, 0x10000, v1
	v_cmp_eq_u32_sdwa s[4:5], v1, v9 src0_sel:WORD_0 src1_sel:DWORD
	s_nop 1
	v_cndmask_b32_e64 v1, v2, v1, s[4:5]
	v_accvgpr_write_b32 a3, v1
; %bb.14:                               ;   in Loop: Header=BB371_10 Depth=1
	s_or_b64 exec, exec, s[24:25]
	v_bfe_u32 v1, v0, 8, 8
	v_cvt_f32_fp8_sdwa v1, v1 src0_sel:BYTE_0
                                        ; implicit-def: $agpr27
	s_nop 0
	v_mul_f32_e32 v1, v44, v1
	v_and_b32_e32 v2, 0x7f800000, v1
	v_cmp_ne_u32_e64 s[4:5], s19, v2
	s_and_saveexec_b64 s[24:25], s[4:5]
	s_xor_b64 s[4:5], exec, s[24:25]
; %bb.15:                               ;   in Loop: Header=BB371_10 Depth=1
	v_bfe_u32 v2, v1, 16, 1
	v_add3_u32 v1, v1, v2, s27
	v_accvgpr_write_b32 a27, v1
                                        ; implicit-def: $vgpr1
; %bb.16:                               ;   in Loop: Header=BB371_10 Depth=1
	s_andn2_saveexec_b64 s[24:25], s[4:5]
; %bb.17:                               ;   in Loop: Header=BB371_10 Depth=1
	v_or_b32_e32 v2, 0x10000, v1
	v_cmp_eq_u32_sdwa s[4:5], v1, v9 src0_sel:WORD_0 src1_sel:DWORD
	s_nop 1
	v_cndmask_b32_e64 v1, v2, v1, s[4:5]
	v_accvgpr_write_b32 a27, v1
; %bb.18:                               ;   in Loop: Header=BB371_10 Depth=1
	s_or_b64 exec, exec, s[24:25]
	v_bfe_u32 v1, v0, 16, 8
	v_cvt_f32_fp8_sdwa v1, v1 src0_sel:BYTE_0
                                        ; implicit-def: $agpr28
	s_nop 0
	v_mul_f32_e32 v1, v44, v1
	v_and_b32_e32 v2, 0x7f800000, v1
	v_cmp_ne_u32_e64 s[4:5], s19, v2
	s_and_saveexec_b64 s[24:25], s[4:5]
	s_xor_b64 s[4:5], exec, s[24:25]
; %bb.19:                               ;   in Loop: Header=BB371_10 Depth=1
	v_bfe_u32 v2, v1, 16, 1
	v_add3_u32 v1, v1, v2, s27
	v_accvgpr_write_b32 a28, v1
                                        ; implicit-def: $vgpr1
; %bb.20:                               ;   in Loop: Header=BB371_10 Depth=1
	s_andn2_saveexec_b64 s[24:25], s[4:5]
; %bb.21:                               ;   in Loop: Header=BB371_10 Depth=1
	v_or_b32_e32 v2, 0x10000, v1
	v_cmp_eq_u32_sdwa s[4:5], v1, v9 src0_sel:WORD_0 src1_sel:DWORD
	s_nop 1
	v_cndmask_b32_e64 v1, v2, v1, s[4:5]
	v_accvgpr_write_b32 a28, v1
; %bb.22:                               ;   in Loop: Header=BB371_10 Depth=1
	s_or_b64 exec, exec, s[24:25]
	v_lshrrev_b32_e32 v0, 24, v0
	v_cvt_f32_fp8_sdwa v0, v0 src0_sel:BYTE_0
                                        ; implicit-def: $agpr29
	s_nop 0
	v_mul_f32_e32 v0, v44, v0
	v_and_b32_e32 v1, 0x7f800000, v0
	v_cmp_ne_u32_e64 s[4:5], s19, v1
	s_and_saveexec_b64 s[24:25], s[4:5]
	s_xor_b64 s[4:5], exec, s[24:25]
; %bb.23:                               ;   in Loop: Header=BB371_10 Depth=1
	v_bfe_u32 v1, v0, 16, 1
	v_add3_u32 v0, v0, v1, s27
	v_accvgpr_write_b32 a29, v0
                                        ; implicit-def: $vgpr0
; %bb.24:                               ;   in Loop: Header=BB371_10 Depth=1
	s_andn2_saveexec_b64 s[24:25], s[4:5]
; %bb.25:                               ;   in Loop: Header=BB371_10 Depth=1
	v_or_b32_e32 v1, 0x10000, v0
	v_cmp_eq_u32_sdwa s[4:5], v0, v9 src0_sel:WORD_0 src1_sel:DWORD
	s_nop 1
	v_cndmask_b32_e64 v0, v1, v0, s[4:5]
	v_accvgpr_write_b32 a29, v0
; %bb.26:                               ;   in Loop: Header=BB371_10 Depth=1
	s_or_b64 exec, exec, s[24:25]
	flat_load_dword v0, v[32:33] offset:8
                                        ; implicit-def: $vgpr46
	s_waitcnt vmcnt(0) lgkmcnt(0)
	v_and_b32_e32 v1, 0xff, v0
	v_cvt_f32_fp8_sdwa v1, v1 src0_sel:BYTE_0
	s_nop 0
	v_mul_f32_e32 v1, v44, v1
	v_and_b32_e32 v2, 0x7f800000, v1
	v_cmp_ne_u32_e64 s[4:5], s19, v2
	s_and_saveexec_b64 s[24:25], s[4:5]
	s_xor_b64 s[4:5], exec, s[24:25]
; %bb.27:                               ;   in Loop: Header=BB371_10 Depth=1
	v_bfe_u32 v2, v1, 16, 1
	v_add3_u32 v46, v1, v2, s27
                                        ; implicit-def: $vgpr1
; %bb.28:                               ;   in Loop: Header=BB371_10 Depth=1
	s_andn2_saveexec_b64 s[24:25], s[4:5]
; %bb.29:                               ;   in Loop: Header=BB371_10 Depth=1
	v_or_b32_e32 v2, 0x10000, v1
	v_cmp_eq_u32_sdwa s[4:5], v1, v9 src0_sel:WORD_0 src1_sel:DWORD
	s_nop 1
	v_cndmask_b32_e64 v46, v2, v1, s[4:5]
; %bb.30:                               ;   in Loop: Header=BB371_10 Depth=1
	s_or_b64 exec, exec, s[24:25]
	v_bfe_u32 v1, v0, 8, 8
	v_cvt_f32_fp8_sdwa v1, v1 src0_sel:BYTE_0
                                        ; implicit-def: $vgpr47
	s_nop 0
	v_mul_f32_e32 v1, v44, v1
	v_and_b32_e32 v2, 0x7f800000, v1
	v_cmp_ne_u32_e64 s[4:5], s19, v2
	s_and_saveexec_b64 s[24:25], s[4:5]
	s_xor_b64 s[4:5], exec, s[24:25]
; %bb.31:                               ;   in Loop: Header=BB371_10 Depth=1
	v_bfe_u32 v2, v1, 16, 1
	v_add3_u32 v47, v1, v2, s27
                                        ; implicit-def: $vgpr1
; %bb.32:                               ;   in Loop: Header=BB371_10 Depth=1
	s_andn2_saveexec_b64 s[24:25], s[4:5]
; %bb.33:                               ;   in Loop: Header=BB371_10 Depth=1
	v_or_b32_e32 v2, 0x10000, v1
	v_cmp_eq_u32_sdwa s[4:5], v1, v9 src0_sel:WORD_0 src1_sel:DWORD
	s_nop 1
	v_cndmask_b32_e64 v47, v2, v1, s[4:5]
; %bb.34:                               ;   in Loop: Header=BB371_10 Depth=1
	s_or_b64 exec, exec, s[24:25]
	v_bfe_u32 v1, v0, 16, 8
	v_cvt_f32_fp8_sdwa v1, v1 src0_sel:BYTE_0
                                        ; implicit-def: $vgpr56
	s_nop 0
	v_mul_f32_e32 v1, v44, v1
	v_and_b32_e32 v2, 0x7f800000, v1
	v_cmp_ne_u32_e64 s[4:5], s19, v2
	s_and_saveexec_b64 s[24:25], s[4:5]
	s_xor_b64 s[4:5], exec, s[24:25]
; %bb.35:                               ;   in Loop: Header=BB371_10 Depth=1
	v_bfe_u32 v2, v1, 16, 1
	v_add3_u32 v56, v1, v2, s27
                                        ; implicit-def: $vgpr1
; %bb.36:                               ;   in Loop: Header=BB371_10 Depth=1
	s_andn2_saveexec_b64 s[24:25], s[4:5]
; %bb.37:                               ;   in Loop: Header=BB371_10 Depth=1
	v_or_b32_e32 v2, 0x10000, v1
	v_cmp_eq_u32_sdwa s[4:5], v1, v9 src0_sel:WORD_0 src1_sel:DWORD
	s_nop 1
	v_cndmask_b32_e64 v56, v2, v1, s[4:5]
; %bb.38:                               ;   in Loop: Header=BB371_10 Depth=1
	s_or_b64 exec, exec, s[24:25]
	v_lshrrev_b32_e32 v0, 24, v0
	v_cvt_f32_fp8_sdwa v0, v0 src0_sel:BYTE_0
                                        ; implicit-def: $vgpr57
	s_nop 0
	v_mul_f32_e32 v0, v44, v0
	v_and_b32_e32 v1, 0x7f800000, v0
	v_cmp_ne_u32_e64 s[4:5], s19, v1
	s_and_saveexec_b64 s[24:25], s[4:5]
	s_xor_b64 s[4:5], exec, s[24:25]
; %bb.39:                               ;   in Loop: Header=BB371_10 Depth=1
	v_bfe_u32 v1, v0, 16, 1
	v_add3_u32 v57, v0, v1, s27
                                        ; implicit-def: $vgpr0
; %bb.40:                               ;   in Loop: Header=BB371_10 Depth=1
	s_andn2_saveexec_b64 s[24:25], s[4:5]
; %bb.41:                               ;   in Loop: Header=BB371_10 Depth=1
	v_or_b32_e32 v1, 0x10000, v0
	v_cmp_eq_u32_sdwa s[4:5], v0, v9 src0_sel:WORD_0 src1_sel:DWORD
	s_nop 1
	v_cndmask_b32_e64 v57, v1, v0, s[4:5]
; %bb.42:                               ;   in Loop: Header=BB371_10 Depth=1
	s_or_b64 exec, exec, s[24:25]
	flat_load_dword v0, v[32:33] offset:512
                                        ; implicit-def: $vgpr58
	s_waitcnt vmcnt(0) lgkmcnt(0)
	v_and_b32_e32 v1, 0xff, v0
	v_cvt_f32_fp8_sdwa v1, v1 src0_sel:BYTE_0
	s_nop 0
	v_mul_f32_e32 v1, v44, v1
	v_and_b32_e32 v2, 0x7f800000, v1
	v_cmp_ne_u32_e64 s[4:5], s19, v2
	s_and_saveexec_b64 s[24:25], s[4:5]
	s_xor_b64 s[4:5], exec, s[24:25]
; %bb.43:                               ;   in Loop: Header=BB371_10 Depth=1
	v_bfe_u32 v2, v1, 16, 1
	v_add3_u32 v58, v1, v2, s27
                                        ; implicit-def: $vgpr1
; %bb.44:                               ;   in Loop: Header=BB371_10 Depth=1
	s_andn2_saveexec_b64 s[24:25], s[4:5]
; %bb.45:                               ;   in Loop: Header=BB371_10 Depth=1
	v_or_b32_e32 v2, 0x10000, v1
	v_cmp_eq_u32_sdwa s[4:5], v1, v9 src0_sel:WORD_0 src1_sel:DWORD
	s_nop 1
	v_cndmask_b32_e64 v58, v2, v1, s[4:5]
; %bb.46:                               ;   in Loop: Header=BB371_10 Depth=1
	s_or_b64 exec, exec, s[24:25]
	v_bfe_u32 v1, v0, 8, 8
	v_cvt_f32_fp8_sdwa v1, v1 src0_sel:BYTE_0
                                        ; implicit-def: $vgpr59
	s_nop 0
	v_mul_f32_e32 v1, v44, v1
	v_and_b32_e32 v2, 0x7f800000, v1
	v_cmp_ne_u32_e64 s[4:5], s19, v2
	s_and_saveexec_b64 s[24:25], s[4:5]
	s_xor_b64 s[4:5], exec, s[24:25]
; %bb.47:                               ;   in Loop: Header=BB371_10 Depth=1
	v_bfe_u32 v2, v1, 16, 1
	v_add3_u32 v59, v1, v2, s27
                                        ; implicit-def: $vgpr1
; %bb.48:                               ;   in Loop: Header=BB371_10 Depth=1
	s_andn2_saveexec_b64 s[24:25], s[4:5]
; %bb.49:                               ;   in Loop: Header=BB371_10 Depth=1
	v_or_b32_e32 v2, 0x10000, v1
	v_cmp_eq_u32_sdwa s[4:5], v1, v9 src0_sel:WORD_0 src1_sel:DWORD
	s_nop 1
	v_cndmask_b32_e64 v59, v2, v1, s[4:5]
; %bb.50:                               ;   in Loop: Header=BB371_10 Depth=1
	s_or_b64 exec, exec, s[24:25]
	v_bfe_u32 v1, v0, 16, 8
	v_cvt_f32_fp8_sdwa v1, v1 src0_sel:BYTE_0
                                        ; implicit-def: $vgpr60
	s_nop 0
	v_mul_f32_e32 v1, v44, v1
	v_and_b32_e32 v2, 0x7f800000, v1
	v_cmp_ne_u32_e64 s[4:5], s19, v2
	s_and_saveexec_b64 s[24:25], s[4:5]
	s_xor_b64 s[4:5], exec, s[24:25]
; %bb.51:                               ;   in Loop: Header=BB371_10 Depth=1
	v_bfe_u32 v2, v1, 16, 1
	v_add3_u32 v60, v1, v2, s27
                                        ; implicit-def: $vgpr1
; %bb.52:                               ;   in Loop: Header=BB371_10 Depth=1
	s_andn2_saveexec_b64 s[24:25], s[4:5]
; %bb.53:                               ;   in Loop: Header=BB371_10 Depth=1
	v_or_b32_e32 v2, 0x10000, v1
	v_cmp_eq_u32_sdwa s[4:5], v1, v9 src0_sel:WORD_0 src1_sel:DWORD
	s_nop 1
	v_cndmask_b32_e64 v60, v2, v1, s[4:5]
; %bb.54:                               ;   in Loop: Header=BB371_10 Depth=1
	s_or_b64 exec, exec, s[24:25]
	v_lshrrev_b32_e32 v0, 24, v0
	v_cvt_f32_fp8_sdwa v0, v0 src0_sel:BYTE_0
                                        ; implicit-def: $vgpr61
	s_nop 0
	v_mul_f32_e32 v0, v44, v0
	v_and_b32_e32 v1, 0x7f800000, v0
	v_cmp_ne_u32_e64 s[4:5], s19, v1
	s_and_saveexec_b64 s[24:25], s[4:5]
	s_xor_b64 s[4:5], exec, s[24:25]
; %bb.55:                               ;   in Loop: Header=BB371_10 Depth=1
	v_bfe_u32 v1, v0, 16, 1
	v_add3_u32 v61, v0, v1, s27
                                        ; implicit-def: $vgpr0
; %bb.56:                               ;   in Loop: Header=BB371_10 Depth=1
	s_andn2_saveexec_b64 s[24:25], s[4:5]
; %bb.57:                               ;   in Loop: Header=BB371_10 Depth=1
	v_or_b32_e32 v1, 0x10000, v0
	v_cmp_eq_u32_sdwa s[4:5], v0, v9 src0_sel:WORD_0 src1_sel:DWORD
	s_nop 1
	v_cndmask_b32_e64 v61, v1, v0, s[4:5]
; %bb.58:                               ;   in Loop: Header=BB371_10 Depth=1
	s_or_b64 exec, exec, s[24:25]
	flat_load_dword v0, v[32:33] offset:520
                                        ; implicit-def: $vgpr62
	s_waitcnt vmcnt(0) lgkmcnt(0)
	v_and_b32_e32 v1, 0xff, v0
	v_cvt_f32_fp8_sdwa v1, v1 src0_sel:BYTE_0
	s_nop 0
	v_mul_f32_e32 v1, v44, v1
	v_and_b32_e32 v2, 0x7f800000, v1
	v_cmp_ne_u32_e64 s[4:5], s19, v2
	s_and_saveexec_b64 s[24:25], s[4:5]
	s_xor_b64 s[4:5], exec, s[24:25]
; %bb.59:                               ;   in Loop: Header=BB371_10 Depth=1
	v_bfe_u32 v2, v1, 16, 1
	v_add3_u32 v62, v1, v2, s27
                                        ; implicit-def: $vgpr1
; %bb.60:                               ;   in Loop: Header=BB371_10 Depth=1
	s_andn2_saveexec_b64 s[24:25], s[4:5]
; %bb.61:                               ;   in Loop: Header=BB371_10 Depth=1
	v_or_b32_e32 v2, 0x10000, v1
	v_cmp_eq_u32_sdwa s[4:5], v1, v9 src0_sel:WORD_0 src1_sel:DWORD
	s_nop 1
	v_cndmask_b32_e64 v62, v2, v1, s[4:5]
; %bb.62:                               ;   in Loop: Header=BB371_10 Depth=1
	s_or_b64 exec, exec, s[24:25]
	v_bfe_u32 v1, v0, 8, 8
	v_cvt_f32_fp8_sdwa v1, v1 src0_sel:BYTE_0
                                        ; implicit-def: $vgpr63
	s_nop 0
	v_mul_f32_e32 v1, v44, v1
	v_and_b32_e32 v2, 0x7f800000, v1
	v_cmp_ne_u32_e64 s[4:5], s19, v2
	s_and_saveexec_b64 s[24:25], s[4:5]
	s_xor_b64 s[4:5], exec, s[24:25]
; %bb.63:                               ;   in Loop: Header=BB371_10 Depth=1
	v_bfe_u32 v2, v1, 16, 1
	v_add3_u32 v63, v1, v2, s27
                                        ; implicit-def: $vgpr1
; %bb.64:                               ;   in Loop: Header=BB371_10 Depth=1
	s_andn2_saveexec_b64 s[24:25], s[4:5]
; %bb.65:                               ;   in Loop: Header=BB371_10 Depth=1
	v_or_b32_e32 v2, 0x10000, v1
	v_cmp_eq_u32_sdwa s[4:5], v1, v9 src0_sel:WORD_0 src1_sel:DWORD
	s_nop 1
	v_cndmask_b32_e64 v63, v2, v1, s[4:5]
; %bb.66:                               ;   in Loop: Header=BB371_10 Depth=1
	s_or_b64 exec, exec, s[24:25]
	v_bfe_u32 v1, v0, 16, 8
	v_cvt_f32_fp8_sdwa v1, v1 src0_sel:BYTE_0
                                        ; implicit-def: $vgpr39
	s_nop 0
	v_mul_f32_e32 v1, v44, v1
	v_and_b32_e32 v2, 0x7f800000, v1
	v_cmp_ne_u32_e64 s[4:5], s19, v2
	s_and_saveexec_b64 s[24:25], s[4:5]
	s_xor_b64 s[4:5], exec, s[24:25]
; %bb.67:                               ;   in Loop: Header=BB371_10 Depth=1
	v_bfe_u32 v2, v1, 16, 1
	v_add3_u32 v39, v1, v2, s27
                                        ; implicit-def: $vgpr1
; %bb.68:                               ;   in Loop: Header=BB371_10 Depth=1
	s_andn2_saveexec_b64 s[24:25], s[4:5]
; %bb.69:                               ;   in Loop: Header=BB371_10 Depth=1
	v_or_b32_e32 v2, 0x10000, v1
	v_cmp_eq_u32_sdwa s[4:5], v1, v9 src0_sel:WORD_0 src1_sel:DWORD
	s_nop 1
	v_cndmask_b32_e64 v39, v2, v1, s[4:5]
; %bb.70:                               ;   in Loop: Header=BB371_10 Depth=1
	s_or_b64 exec, exec, s[24:25]
	v_lshrrev_b32_e32 v0, 24, v0
	v_cvt_f32_fp8_sdwa v0, v0 src0_sel:BYTE_0
                                        ; implicit-def: $vgpr6
	s_nop 0
	v_mul_f32_e32 v0, v44, v0
	v_and_b32_e32 v1, 0x7f800000, v0
	v_cmp_ne_u32_e64 s[4:5], s19, v1
	s_and_saveexec_b64 s[24:25], s[4:5]
	s_xor_b64 s[4:5], exec, s[24:25]
; %bb.71:                               ;   in Loop: Header=BB371_10 Depth=1
	v_bfe_u32 v1, v0, 16, 1
	v_add3_u32 v6, v0, v1, s27
                                        ; implicit-def: $vgpr0
; %bb.72:                               ;   in Loop: Header=BB371_10 Depth=1
	s_andn2_saveexec_b64 s[24:25], s[4:5]
; %bb.73:                               ;   in Loop: Header=BB371_10 Depth=1
	v_or_b32_e32 v1, 0x10000, v0
	v_cmp_eq_u32_sdwa s[4:5], v0, v9 src0_sel:WORD_0 src1_sel:DWORD
	s_nop 1
	v_cndmask_b32_e64 v6, v1, v0, s[4:5]
; %bb.74:                               ;   in Loop: Header=BB371_10 Depth=1
	s_or_b64 exec, exec, s[24:25]
	flat_load_dword v0, v[32:33] offset:1024
                                        ; implicit-def: $vgpr7
	s_waitcnt vmcnt(0) lgkmcnt(0)
	v_and_b32_e32 v1, 0xff, v0
	v_cvt_f32_fp8_sdwa v1, v1 src0_sel:BYTE_0
	s_nop 0
	v_mul_f32_e32 v1, v44, v1
	v_and_b32_e32 v2, 0x7f800000, v1
	v_cmp_ne_u32_e64 s[4:5], s19, v2
	s_and_saveexec_b64 s[24:25], s[4:5]
	s_xor_b64 s[4:5], exec, s[24:25]
; %bb.75:                               ;   in Loop: Header=BB371_10 Depth=1
	v_bfe_u32 v2, v1, 16, 1
	v_add3_u32 v7, v1, v2, s27
                                        ; implicit-def: $vgpr1
; %bb.76:                               ;   in Loop: Header=BB371_10 Depth=1
	s_andn2_saveexec_b64 s[24:25], s[4:5]
; %bb.77:                               ;   in Loop: Header=BB371_10 Depth=1
	v_or_b32_e32 v2, 0x10000, v1
	v_cmp_eq_u32_sdwa s[4:5], v1, v9 src0_sel:WORD_0 src1_sel:DWORD
	s_nop 1
	v_cndmask_b32_e64 v7, v2, v1, s[4:5]
; %bb.78:                               ;   in Loop: Header=BB371_10 Depth=1
	s_or_b64 exec, exec, s[24:25]
	v_bfe_u32 v1, v0, 8, 8
	v_cvt_f32_fp8_sdwa v1, v1 src0_sel:BYTE_0
                                        ; implicit-def: $vgpr38
	s_nop 0
	v_mul_f32_e32 v1, v44, v1
	v_and_b32_e32 v2, 0x7f800000, v1
	v_cmp_ne_u32_e64 s[4:5], s19, v2
	s_and_saveexec_b64 s[24:25], s[4:5]
	s_xor_b64 s[4:5], exec, s[24:25]
; %bb.79:                               ;   in Loop: Header=BB371_10 Depth=1
	v_bfe_u32 v2, v1, 16, 1
	v_add3_u32 v38, v1, v2, s27
                                        ; implicit-def: $vgpr1
; %bb.80:                               ;   in Loop: Header=BB371_10 Depth=1
	s_andn2_saveexec_b64 s[24:25], s[4:5]
; %bb.81:                               ;   in Loop: Header=BB371_10 Depth=1
	v_or_b32_e32 v2, 0x10000, v1
	v_cmp_eq_u32_sdwa s[4:5], v1, v9 src0_sel:WORD_0 src1_sel:DWORD
	s_nop 1
	v_cndmask_b32_e64 v38, v2, v1, s[4:5]
; %bb.82:                               ;   in Loop: Header=BB371_10 Depth=1
	s_or_b64 exec, exec, s[24:25]
	v_bfe_u32 v1, v0, 16, 8
	v_cvt_f32_fp8_sdwa v1, v1 src0_sel:BYTE_0
                                        ; implicit-def: $vgpr28
	s_nop 0
	v_mul_f32_e32 v1, v44, v1
	v_and_b32_e32 v2, 0x7f800000, v1
	v_cmp_ne_u32_e64 s[4:5], s19, v2
	s_and_saveexec_b64 s[24:25], s[4:5]
	s_xor_b64 s[4:5], exec, s[24:25]
; %bb.83:                               ;   in Loop: Header=BB371_10 Depth=1
	v_bfe_u32 v2, v1, 16, 1
	v_add3_u32 v28, v1, v2, s27
                                        ; implicit-def: $vgpr1
; %bb.84:                               ;   in Loop: Header=BB371_10 Depth=1
	s_andn2_saveexec_b64 s[24:25], s[4:5]
; %bb.85:                               ;   in Loop: Header=BB371_10 Depth=1
	v_or_b32_e32 v2, 0x10000, v1
	v_cmp_eq_u32_sdwa s[4:5], v1, v9 src0_sel:WORD_0 src1_sel:DWORD
	s_nop 1
	v_cndmask_b32_e64 v28, v2, v1, s[4:5]
; %bb.86:                               ;   in Loop: Header=BB371_10 Depth=1
	s_or_b64 exec, exec, s[24:25]
	v_lshrrev_b32_e32 v0, 24, v0
	v_cvt_f32_fp8_sdwa v0, v0 src0_sel:BYTE_0
                                        ; implicit-def: $vgpr30
	s_nop 0
	v_mul_f32_e32 v0, v44, v0
	v_and_b32_e32 v1, 0x7f800000, v0
	v_cmp_ne_u32_e64 s[4:5], s19, v1
	s_and_saveexec_b64 s[24:25], s[4:5]
	s_xor_b64 s[4:5], exec, s[24:25]
; %bb.87:                               ;   in Loop: Header=BB371_10 Depth=1
	v_bfe_u32 v1, v0, 16, 1
	v_add3_u32 v30, v0, v1, s27
                                        ; implicit-def: $vgpr0
; %bb.88:                               ;   in Loop: Header=BB371_10 Depth=1
	s_andn2_saveexec_b64 s[24:25], s[4:5]
; %bb.89:                               ;   in Loop: Header=BB371_10 Depth=1
	v_or_b32_e32 v1, 0x10000, v0
	v_cmp_eq_u32_sdwa s[4:5], v0, v9 src0_sel:WORD_0 src1_sel:DWORD
	s_nop 1
	v_cndmask_b32_e64 v30, v1, v0, s[4:5]
; %bb.90:                               ;   in Loop: Header=BB371_10 Depth=1
	s_or_b64 exec, exec, s[24:25]
	flat_load_dword v0, v[32:33] offset:1032
                                        ; implicit-def: $vgpr31
	s_waitcnt vmcnt(0) lgkmcnt(0)
	v_and_b32_e32 v1, 0xff, v0
	v_cvt_f32_fp8_sdwa v1, v1 src0_sel:BYTE_0
	s_nop 0
	v_mul_f32_e32 v1, v44, v1
	v_and_b32_e32 v2, 0x7f800000, v1
	v_cmp_ne_u32_e64 s[4:5], s19, v2
	s_and_saveexec_b64 s[24:25], s[4:5]
	s_xor_b64 s[4:5], exec, s[24:25]
; %bb.91:                               ;   in Loop: Header=BB371_10 Depth=1
	v_bfe_u32 v2, v1, 16, 1
	v_add3_u32 v31, v1, v2, s27
                                        ; implicit-def: $vgpr1
; %bb.92:                               ;   in Loop: Header=BB371_10 Depth=1
	s_andn2_saveexec_b64 s[24:25], s[4:5]
; %bb.93:                               ;   in Loop: Header=BB371_10 Depth=1
	v_or_b32_e32 v2, 0x10000, v1
	v_cmp_eq_u32_sdwa s[4:5], v1, v9 src0_sel:WORD_0 src1_sel:DWORD
	s_nop 1
	v_cndmask_b32_e64 v31, v2, v1, s[4:5]
; %bb.94:                               ;   in Loop: Header=BB371_10 Depth=1
	s_or_b64 exec, exec, s[24:25]
	v_bfe_u32 v1, v0, 8, 8
	v_cvt_f32_fp8_sdwa v1, v1 src0_sel:BYTE_0
                                        ; implicit-def: $vgpr29
	s_nop 0
	v_mul_f32_e32 v1, v44, v1
	v_and_b32_e32 v2, 0x7f800000, v1
	v_cmp_ne_u32_e64 s[4:5], s19, v2
	s_and_saveexec_b64 s[24:25], s[4:5]
	s_xor_b64 s[4:5], exec, s[24:25]
; %bb.95:                               ;   in Loop: Header=BB371_10 Depth=1
	v_bfe_u32 v2, v1, 16, 1
	v_add3_u32 v29, v1, v2, s27
                                        ; implicit-def: $vgpr1
; %bb.96:                               ;   in Loop: Header=BB371_10 Depth=1
	s_andn2_saveexec_b64 s[24:25], s[4:5]
; %bb.97:                               ;   in Loop: Header=BB371_10 Depth=1
	v_or_b32_e32 v2, 0x10000, v1
	v_cmp_eq_u32_sdwa s[4:5], v1, v9 src0_sel:WORD_0 src1_sel:DWORD
	s_nop 1
	v_cndmask_b32_e64 v29, v2, v1, s[4:5]
; %bb.98:                               ;   in Loop: Header=BB371_10 Depth=1
	s_or_b64 exec, exec, s[24:25]
	v_bfe_u32 v1, v0, 16, 8
	v_cvt_f32_fp8_sdwa v1, v1 src0_sel:BYTE_0
                                        ; implicit-def: $vgpr26
	s_nop 0
	v_mul_f32_e32 v1, v44, v1
	v_and_b32_e32 v2, 0x7f800000, v1
	v_cmp_ne_u32_e64 s[4:5], s19, v2
	s_and_saveexec_b64 s[24:25], s[4:5]
	s_xor_b64 s[4:5], exec, s[24:25]
; %bb.99:                               ;   in Loop: Header=BB371_10 Depth=1
	v_bfe_u32 v2, v1, 16, 1
	v_add3_u32 v26, v1, v2, s27
                                        ; implicit-def: $vgpr1
; %bb.100:                              ;   in Loop: Header=BB371_10 Depth=1
	s_andn2_saveexec_b64 s[24:25], s[4:5]
; %bb.101:                              ;   in Loop: Header=BB371_10 Depth=1
	v_or_b32_e32 v2, 0x10000, v1
	v_cmp_eq_u32_sdwa s[4:5], v1, v9 src0_sel:WORD_0 src1_sel:DWORD
	s_nop 1
	v_cndmask_b32_e64 v26, v2, v1, s[4:5]
; %bb.102:                              ;   in Loop: Header=BB371_10 Depth=1
	s_or_b64 exec, exec, s[24:25]
	v_lshrrev_b32_e32 v0, 24, v0
	v_cvt_f32_fp8_sdwa v0, v0 src0_sel:BYTE_0
                                        ; implicit-def: $vgpr27
	s_nop 0
	v_mul_f32_e32 v0, v44, v0
	v_and_b32_e32 v1, 0x7f800000, v0
	v_cmp_ne_u32_e64 s[4:5], s19, v1
	s_and_saveexec_b64 s[24:25], s[4:5]
	s_xor_b64 s[4:5], exec, s[24:25]
; %bb.103:                              ;   in Loop: Header=BB371_10 Depth=1
	v_bfe_u32 v1, v0, 16, 1
	v_add3_u32 v27, v0, v1, s27
                                        ; implicit-def: $vgpr0
; %bb.104:                              ;   in Loop: Header=BB371_10 Depth=1
	s_andn2_saveexec_b64 s[24:25], s[4:5]
; %bb.105:                              ;   in Loop: Header=BB371_10 Depth=1
	v_or_b32_e32 v1, 0x10000, v0
	v_cmp_eq_u32_sdwa s[4:5], v0, v9 src0_sel:WORD_0 src1_sel:DWORD
	s_nop 1
	v_cndmask_b32_e64 v27, v1, v0, s[4:5]
; %bb.106:                              ;   in Loop: Header=BB371_10 Depth=1
	s_or_b64 exec, exec, s[24:25]
	flat_load_dword v0, v[32:33] offset:1536
                                        ; implicit-def: $vgpr12
	s_waitcnt vmcnt(0) lgkmcnt(0)
	v_and_b32_e32 v1, 0xff, v0
	v_cvt_f32_fp8_sdwa v1, v1 src0_sel:BYTE_0
	s_nop 0
	v_mul_f32_e32 v1, v44, v1
	v_and_b32_e32 v2, 0x7f800000, v1
	v_cmp_ne_u32_e64 s[4:5], s19, v2
	s_and_saveexec_b64 s[24:25], s[4:5]
	s_xor_b64 s[4:5], exec, s[24:25]
; %bb.107:                              ;   in Loop: Header=BB371_10 Depth=1
	v_bfe_u32 v2, v1, 16, 1
	v_add3_u32 v12, v1, v2, s27
                                        ; implicit-def: $vgpr1
; %bb.108:                              ;   in Loop: Header=BB371_10 Depth=1
	s_andn2_saveexec_b64 s[24:25], s[4:5]
; %bb.109:                              ;   in Loop: Header=BB371_10 Depth=1
	v_or_b32_e32 v2, 0x10000, v1
	v_cmp_eq_u32_sdwa s[4:5], v1, v9 src0_sel:WORD_0 src1_sel:DWORD
	s_nop 1
	v_cndmask_b32_e64 v12, v2, v1, s[4:5]
; %bb.110:                              ;   in Loop: Header=BB371_10 Depth=1
	s_or_b64 exec, exec, s[24:25]
	v_bfe_u32 v1, v0, 8, 8
	v_cvt_f32_fp8_sdwa v1, v1 src0_sel:BYTE_0
                                        ; implicit-def: $vgpr11
	s_nop 0
	v_mul_f32_e32 v1, v44, v1
	v_and_b32_e32 v2, 0x7f800000, v1
	v_cmp_ne_u32_e64 s[4:5], s19, v2
	s_and_saveexec_b64 s[24:25], s[4:5]
	s_xor_b64 s[4:5], exec, s[24:25]
; %bb.111:                              ;   in Loop: Header=BB371_10 Depth=1
	v_bfe_u32 v2, v1, 16, 1
	v_add3_u32 v11, v1, v2, s27
                                        ; implicit-def: $vgpr1
; %bb.112:                              ;   in Loop: Header=BB371_10 Depth=1
	s_andn2_saveexec_b64 s[24:25], s[4:5]
; %bb.113:                              ;   in Loop: Header=BB371_10 Depth=1
	v_or_b32_e32 v2, 0x10000, v1
	v_cmp_eq_u32_sdwa s[4:5], v1, v9 src0_sel:WORD_0 src1_sel:DWORD
	s_nop 1
	v_cndmask_b32_e64 v11, v2, v1, s[4:5]
; %bb.114:                              ;   in Loop: Header=BB371_10 Depth=1
	s_or_b64 exec, exec, s[24:25]
	v_bfe_u32 v1, v0, 16, 8
	v_cvt_f32_fp8_sdwa v1, v1 src0_sel:BYTE_0
                                        ; implicit-def: $vgpr10
	s_nop 0
	v_mul_f32_e32 v1, v44, v1
	v_and_b32_e32 v2, 0x7f800000, v1
	v_cmp_ne_u32_e64 s[4:5], s19, v2
	s_and_saveexec_b64 s[24:25], s[4:5]
	s_xor_b64 s[4:5], exec, s[24:25]
; %bb.115:                              ;   in Loop: Header=BB371_10 Depth=1
	v_bfe_u32 v2, v1, 16, 1
	v_add3_u32 v10, v1, v2, s27
                                        ; implicit-def: $vgpr1
; %bb.116:                              ;   in Loop: Header=BB371_10 Depth=1
	s_andn2_saveexec_b64 s[24:25], s[4:5]
; %bb.117:                              ;   in Loop: Header=BB371_10 Depth=1
	v_or_b32_e32 v2, 0x10000, v1
	v_cmp_eq_u32_sdwa s[4:5], v1, v9 src0_sel:WORD_0 src1_sel:DWORD
	s_nop 1
	v_cndmask_b32_e64 v10, v2, v1, s[4:5]
; %bb.118:                              ;   in Loop: Header=BB371_10 Depth=1
	s_or_b64 exec, exec, s[24:25]
	v_lshrrev_b32_e32 v0, 24, v0
	v_cvt_f32_fp8_sdwa v0, v0 src0_sel:BYTE_0
	s_nop 0
	v_mul_f32_e32 v0, v44, v0
	v_and_b32_e32 v1, 0x7f800000, v0
	v_cmp_ne_u32_e64 s[4:5], s19, v1
                                        ; implicit-def: $vgpr1
	s_and_saveexec_b64 s[24:25], s[4:5]
	s_xor_b64 s[4:5], exec, s[24:25]
; %bb.119:                              ;   in Loop: Header=BB371_10 Depth=1
	v_bfe_u32 v1, v0, 16, 1
	v_add3_u32 v1, v0, v1, s27
                                        ; implicit-def: $vgpr0
; %bb.120:                              ;   in Loop: Header=BB371_10 Depth=1
	s_andn2_saveexec_b64 s[24:25], s[4:5]
; %bb.121:                              ;   in Loop: Header=BB371_10 Depth=1
	v_or_b32_e32 v1, 0x10000, v0
	v_cmp_eq_u32_sdwa s[4:5], v0, v9 src0_sel:WORD_0 src1_sel:DWORD
	s_nop 1
	v_cndmask_b32_e64 v1, v1, v0, s[4:5]
; %bb.122:                              ;   in Loop: Header=BB371_10 Depth=1
	s_or_b64 exec, exec, s[24:25]
	flat_load_dword v4, v[32:33] offset:1544
	s_waitcnt vmcnt(0) lgkmcnt(0)
	v_and_b32_e32 v0, 0xff, v4
	v_cvt_f32_fp8_sdwa v0, v0 src0_sel:BYTE_0
	s_nop 0
	v_mul_f32_e32 v2, v44, v0
	v_and_b32_e32 v0, 0x7f800000, v2
	v_cmp_ne_u32_e64 s[4:5], s19, v0
                                        ; implicit-def: $vgpr0
	s_and_saveexec_b64 s[24:25], s[4:5]
	s_xor_b64 s[4:5], exec, s[24:25]
; %bb.123:                              ;   in Loop: Header=BB371_10 Depth=1
	v_bfe_u32 v0, v2, 16, 1
	v_add3_u32 v0, v2, v0, s27
                                        ; implicit-def: $vgpr2
; %bb.124:                              ;   in Loop: Header=BB371_10 Depth=1
	s_andn2_saveexec_b64 s[24:25], s[4:5]
; %bb.125:                              ;   in Loop: Header=BB371_10 Depth=1
	v_or_b32_e32 v0, 0x10000, v2
	v_cmp_eq_u32_sdwa s[4:5], v2, v9 src0_sel:WORD_0 src1_sel:DWORD
	s_nop 1
	v_cndmask_b32_e64 v0, v0, v2, s[4:5]
; %bb.126:                              ;   in Loop: Header=BB371_10 Depth=1
	s_or_b64 exec, exec, s[24:25]
	v_bfe_u32 v2, v4, 8, 8
	v_cvt_f32_fp8_sdwa v2, v2 src0_sel:BYTE_0
	s_nop 0
	v_mul_f32_e32 v2, v44, v2
	v_and_b32_e32 v3, 0x7f800000, v2
	v_cmp_ne_u32_e64 s[4:5], s19, v3
                                        ; implicit-def: $vgpr3
	s_and_saveexec_b64 s[24:25], s[4:5]
	s_xor_b64 s[4:5], exec, s[24:25]
; %bb.127:                              ;   in Loop: Header=BB371_10 Depth=1
	v_bfe_u32 v3, v2, 16, 1
	v_add3_u32 v3, v2, v3, s27
                                        ; implicit-def: $vgpr2
; %bb.128:                              ;   in Loop: Header=BB371_10 Depth=1
	s_andn2_saveexec_b64 s[24:25], s[4:5]
; %bb.129:                              ;   in Loop: Header=BB371_10 Depth=1
	v_or_b32_e32 v3, 0x10000, v2
	v_cmp_eq_u32_sdwa s[4:5], v2, v9 src0_sel:WORD_0 src1_sel:DWORD
	s_nop 1
	v_cndmask_b32_e64 v3, v3, v2, s[4:5]
; %bb.130:                              ;   in Loop: Header=BB371_10 Depth=1
	s_or_b64 exec, exec, s[24:25]
	v_bfe_u32 v2, v4, 16, 8
	v_cvt_f32_fp8_sdwa v2, v2 src0_sel:BYTE_0
	s_nop 0
	v_mul_f32_e32 v5, v44, v2
	v_and_b32_e32 v2, 0x7f800000, v5
	v_cmp_ne_u32_e64 s[4:5], s19, v2
                                        ; implicit-def: $vgpr2
	s_and_saveexec_b64 s[24:25], s[4:5]
	s_xor_b64 s[4:5], exec, s[24:25]
; %bb.131:                              ;   in Loop: Header=BB371_10 Depth=1
	v_bfe_u32 v2, v5, 16, 1
	v_add3_u32 v2, v5, v2, s27
                                        ; implicit-def: $vgpr5
; %bb.132:                              ;   in Loop: Header=BB371_10 Depth=1
	s_andn2_saveexec_b64 s[24:25], s[4:5]
; %bb.133:                              ;   in Loop: Header=BB371_10 Depth=1
	v_or_b32_e32 v2, 0x10000, v5
	v_cmp_eq_u32_sdwa s[4:5], v5, v9 src0_sel:WORD_0 src1_sel:DWORD
	s_nop 1
	v_cndmask_b32_e64 v2, v2, v5, s[4:5]
; %bb.134:                              ;   in Loop: Header=BB371_10 Depth=1
	s_or_b64 exec, exec, s[24:25]
	v_lshrrev_b32_e32 v4, 24, v4
	v_cvt_f32_fp8_sdwa v4, v4 src0_sel:BYTE_0
                                        ; implicit-def: $vgpr15
	s_nop 0
	v_mul_f32_e32 v4, v44, v4
	v_and_b32_e32 v5, 0x7f800000, v4
	v_cmp_ne_u32_e64 s[4:5], s19, v5
	s_and_saveexec_b64 s[24:25], s[4:5]
	s_xor_b64 s[4:5], exec, s[24:25]
; %bb.135:                              ;   in Loop: Header=BB371_10 Depth=1
	v_bfe_u32 v5, v4, 16, 1
	v_add3_u32 v15, v4, v5, s27
                                        ; implicit-def: $vgpr4
; %bb.136:                              ;   in Loop: Header=BB371_10 Depth=1
	s_andn2_saveexec_b64 s[24:25], s[4:5]
; %bb.137:                              ;   in Loop: Header=BB371_10 Depth=1
	v_or_b32_e32 v5, 0x10000, v4
	v_cmp_eq_u32_sdwa s[4:5], v4, v9 src0_sel:WORD_0 src1_sel:DWORD
	s_nop 1
	v_cndmask_b32_e64 v15, v5, v4, s[4:5]
; %bb.138:                              ;   in Loop: Header=BB371_10 Depth=1
	s_or_b64 exec, exec, s[24:25]
	flat_load_dword v4, v[32:33] offset:2048
                                        ; implicit-def: $vgpr14
	s_waitcnt vmcnt(0) lgkmcnt(0)
	v_and_b32_e32 v5, 0xff, v4
	v_cvt_f32_fp8_sdwa v5, v5 src0_sel:BYTE_0
	s_nop 0
	v_mul_f32_e32 v5, v44, v5
	v_and_b32_e32 v13, 0x7f800000, v5
	v_cmp_ne_u32_e64 s[4:5], s19, v13
	s_and_saveexec_b64 s[24:25], s[4:5]
	s_xor_b64 s[4:5], exec, s[24:25]
; %bb.139:                              ;   in Loop: Header=BB371_10 Depth=1
	v_bfe_u32 v13, v5, 16, 1
	v_add3_u32 v14, v5, v13, s27
                                        ; implicit-def: $vgpr5
; %bb.140:                              ;   in Loop: Header=BB371_10 Depth=1
	s_andn2_saveexec_b64 s[24:25], s[4:5]
; %bb.141:                              ;   in Loop: Header=BB371_10 Depth=1
	v_or_b32_e32 v13, 0x10000, v5
	v_cmp_eq_u32_sdwa s[4:5], v5, v9 src0_sel:WORD_0 src1_sel:DWORD
	s_nop 1
	v_cndmask_b32_e64 v14, v13, v5, s[4:5]
; %bb.142:                              ;   in Loop: Header=BB371_10 Depth=1
	s_or_b64 exec, exec, s[24:25]
	v_bfe_u32 v5, v4, 8, 8
	v_cvt_f32_fp8_sdwa v5, v5 src0_sel:BYTE_0
                                        ; implicit-def: $vgpr23
	s_nop 0
	v_mul_f32_e32 v5, v44, v5
	v_and_b32_e32 v13, 0x7f800000, v5
	v_cmp_ne_u32_e64 s[4:5], s19, v13
	s_and_saveexec_b64 s[24:25], s[4:5]
	s_xor_b64 s[4:5], exec, s[24:25]
; %bb.143:                              ;   in Loop: Header=BB371_10 Depth=1
	v_bfe_u32 v13, v5, 16, 1
	v_add3_u32 v23, v5, v13, s27
                                        ; implicit-def: $vgpr5
; %bb.144:                              ;   in Loop: Header=BB371_10 Depth=1
	s_andn2_saveexec_b64 s[24:25], s[4:5]
; %bb.145:                              ;   in Loop: Header=BB371_10 Depth=1
	v_or_b32_e32 v13, 0x10000, v5
	v_cmp_eq_u32_sdwa s[4:5], v5, v9 src0_sel:WORD_0 src1_sel:DWORD
	s_nop 1
	v_cndmask_b32_e64 v23, v13, v5, s[4:5]
; %bb.146:                              ;   in Loop: Header=BB371_10 Depth=1
	s_or_b64 exec, exec, s[24:25]
	v_bfe_u32 v5, v4, 16, 8
	v_cvt_f32_fp8_sdwa v5, v5 src0_sel:BYTE_0
                                        ; implicit-def: $vgpr34
	s_nop 0
	v_mul_f32_e32 v5, v44, v5
	v_and_b32_e32 v13, 0x7f800000, v5
	v_cmp_ne_u32_e64 s[4:5], s19, v13
	s_and_saveexec_b64 s[24:25], s[4:5]
	s_xor_b64 s[4:5], exec, s[24:25]
; %bb.147:                              ;   in Loop: Header=BB371_10 Depth=1
	v_bfe_u32 v13, v5, 16, 1
	v_add3_u32 v34, v5, v13, s27
                                        ; implicit-def: $vgpr5
; %bb.148:                              ;   in Loop: Header=BB371_10 Depth=1
	s_andn2_saveexec_b64 s[24:25], s[4:5]
; %bb.149:                              ;   in Loop: Header=BB371_10 Depth=1
	v_or_b32_e32 v13, 0x10000, v5
	v_cmp_eq_u32_sdwa s[4:5], v5, v9 src0_sel:WORD_0 src1_sel:DWORD
	s_nop 1
	v_cndmask_b32_e64 v34, v13, v5, s[4:5]
; %bb.150:                              ;   in Loop: Header=BB371_10 Depth=1
	s_or_b64 exec, exec, s[24:25]
	v_lshrrev_b32_e32 v4, 24, v4
	v_cvt_f32_fp8_sdwa v4, v4 src0_sel:BYTE_0
                                        ; implicit-def: $vgpr36
	s_nop 0
	v_mul_f32_e32 v4, v44, v4
	v_and_b32_e32 v5, 0x7f800000, v4
	v_cmp_ne_u32_e64 s[4:5], s19, v5
	s_and_saveexec_b64 s[24:25], s[4:5]
	s_xor_b64 s[4:5], exec, s[24:25]
; %bb.151:                              ;   in Loop: Header=BB371_10 Depth=1
	v_bfe_u32 v5, v4, 16, 1
	v_add3_u32 v36, v4, v5, s27
                                        ; implicit-def: $vgpr4
; %bb.152:                              ;   in Loop: Header=BB371_10 Depth=1
	s_andn2_saveexec_b64 s[24:25], s[4:5]
; %bb.153:                              ;   in Loop: Header=BB371_10 Depth=1
	v_or_b32_e32 v5, 0x10000, v4
	v_cmp_eq_u32_sdwa s[4:5], v4, v9 src0_sel:WORD_0 src1_sel:DWORD
	s_nop 1
	v_cndmask_b32_e64 v36, v5, v4, s[4:5]
; %bb.154:                              ;   in Loop: Header=BB371_10 Depth=1
	s_or_b64 exec, exec, s[24:25]
	flat_load_dword v4, v[32:33] offset:2056
                                        ; implicit-def: $vgpr37
	s_waitcnt vmcnt(0) lgkmcnt(0)
	v_and_b32_e32 v5, 0xff, v4
	v_cvt_f32_fp8_sdwa v5, v5 src0_sel:BYTE_0
	s_nop 0
	v_mul_f32_e32 v5, v44, v5
	v_and_b32_e32 v13, 0x7f800000, v5
	v_cmp_ne_u32_e64 s[4:5], s19, v13
	s_and_saveexec_b64 s[24:25], s[4:5]
	s_xor_b64 s[4:5], exec, s[24:25]
; %bb.155:                              ;   in Loop: Header=BB371_10 Depth=1
	v_bfe_u32 v13, v5, 16, 1
	v_add3_u32 v37, v5, v13, s27
                                        ; implicit-def: $vgpr5
; %bb.156:                              ;   in Loop: Header=BB371_10 Depth=1
	s_andn2_saveexec_b64 s[24:25], s[4:5]
; %bb.157:                              ;   in Loop: Header=BB371_10 Depth=1
	v_or_b32_e32 v13, 0x10000, v5
	v_cmp_eq_u32_sdwa s[4:5], v5, v9 src0_sel:WORD_0 src1_sel:DWORD
	s_nop 1
	v_cndmask_b32_e64 v37, v13, v5, s[4:5]
; %bb.158:                              ;   in Loop: Header=BB371_10 Depth=1
	s_or_b64 exec, exec, s[24:25]
	v_bfe_u32 v5, v4, 8, 8
	v_cvt_f32_fp8_sdwa v5, v5 src0_sel:BYTE_0
                                        ; implicit-def: $vgpr48
	s_nop 0
	v_mul_f32_e32 v5, v44, v5
	v_and_b32_e32 v13, 0x7f800000, v5
	v_cmp_ne_u32_e64 s[4:5], s19, v13
	s_and_saveexec_b64 s[24:25], s[4:5]
	s_xor_b64 s[4:5], exec, s[24:25]
; %bb.159:                              ;   in Loop: Header=BB371_10 Depth=1
	v_bfe_u32 v13, v5, 16, 1
	v_add3_u32 v48, v5, v13, s27
                                        ; implicit-def: $vgpr5
; %bb.160:                              ;   in Loop: Header=BB371_10 Depth=1
	s_andn2_saveexec_b64 s[24:25], s[4:5]
; %bb.161:                              ;   in Loop: Header=BB371_10 Depth=1
	v_or_b32_e32 v13, 0x10000, v5
	v_cmp_eq_u32_sdwa s[4:5], v5, v9 src0_sel:WORD_0 src1_sel:DWORD
	s_nop 1
	v_cndmask_b32_e64 v48, v13, v5, s[4:5]
; %bb.162:                              ;   in Loop: Header=BB371_10 Depth=1
	s_or_b64 exec, exec, s[24:25]
	v_bfe_u32 v5, v4, 16, 8
	v_cvt_f32_fp8_sdwa v5, v5 src0_sel:BYTE_0
                                        ; implicit-def: $vgpr49
	s_nop 0
	v_mul_f32_e32 v5, v44, v5
	v_and_b32_e32 v13, 0x7f800000, v5
	v_cmp_ne_u32_e64 s[4:5], s19, v13
	s_and_saveexec_b64 s[24:25], s[4:5]
	s_xor_b64 s[4:5], exec, s[24:25]
; %bb.163:                              ;   in Loop: Header=BB371_10 Depth=1
	v_bfe_u32 v13, v5, 16, 1
	v_add3_u32 v49, v5, v13, s27
                                        ; implicit-def: $vgpr5
; %bb.164:                              ;   in Loop: Header=BB371_10 Depth=1
	s_andn2_saveexec_b64 s[24:25], s[4:5]
; %bb.165:                              ;   in Loop: Header=BB371_10 Depth=1
	v_or_b32_e32 v13, 0x10000, v5
	v_cmp_eq_u32_sdwa s[4:5], v5, v9 src0_sel:WORD_0 src1_sel:DWORD
	s_nop 1
	v_cndmask_b32_e64 v49, v13, v5, s[4:5]
; %bb.166:                              ;   in Loop: Header=BB371_10 Depth=1
	s_or_b64 exec, exec, s[24:25]
	v_lshrrev_b32_e32 v4, 24, v4
	v_cvt_f32_fp8_sdwa v4, v4 src0_sel:BYTE_0
                                        ; implicit-def: $vgpr51
	s_nop 0
	v_mul_f32_e32 v4, v44, v4
	v_and_b32_e32 v5, 0x7f800000, v4
	v_cmp_ne_u32_e64 s[4:5], s19, v5
	s_and_saveexec_b64 s[24:25], s[4:5]
	s_xor_b64 s[4:5], exec, s[24:25]
; %bb.167:                              ;   in Loop: Header=BB371_10 Depth=1
	v_bfe_u32 v5, v4, 16, 1
	v_add3_u32 v51, v4, v5, s27
                                        ; implicit-def: $vgpr4
; %bb.168:                              ;   in Loop: Header=BB371_10 Depth=1
	s_andn2_saveexec_b64 s[24:25], s[4:5]
; %bb.169:                              ;   in Loop: Header=BB371_10 Depth=1
	v_or_b32_e32 v5, 0x10000, v4
	v_cmp_eq_u32_sdwa s[4:5], v4, v9 src0_sel:WORD_0 src1_sel:DWORD
	s_nop 1
	v_cndmask_b32_e64 v51, v5, v4, s[4:5]
; %bb.170:                              ;   in Loop: Header=BB371_10 Depth=1
	s_or_b64 exec, exec, s[24:25]
	flat_load_dword v4, v[32:33] offset:2560
                                        ; implicit-def: $vgpr52
	s_waitcnt vmcnt(0) lgkmcnt(0)
	v_and_b32_e32 v5, 0xff, v4
	v_cvt_f32_fp8_sdwa v5, v5 src0_sel:BYTE_0
	s_nop 0
	v_mul_f32_e32 v5, v44, v5
	v_and_b32_e32 v13, 0x7f800000, v5
	v_cmp_ne_u32_e64 s[4:5], s19, v13
	s_and_saveexec_b64 s[24:25], s[4:5]
	s_xor_b64 s[4:5], exec, s[24:25]
; %bb.171:                              ;   in Loop: Header=BB371_10 Depth=1
	v_bfe_u32 v13, v5, 16, 1
	v_add3_u32 v52, v5, v13, s27
                                        ; implicit-def: $vgpr5
; %bb.172:                              ;   in Loop: Header=BB371_10 Depth=1
	s_andn2_saveexec_b64 s[24:25], s[4:5]
; %bb.173:                              ;   in Loop: Header=BB371_10 Depth=1
	v_or_b32_e32 v13, 0x10000, v5
	v_cmp_eq_u32_sdwa s[4:5], v5, v9 src0_sel:WORD_0 src1_sel:DWORD
	s_nop 1
	v_cndmask_b32_e64 v52, v13, v5, s[4:5]
; %bb.174:                              ;   in Loop: Header=BB371_10 Depth=1
	s_or_b64 exec, exec, s[24:25]
	v_bfe_u32 v5, v4, 8, 8
	v_cvt_f32_fp8_sdwa v5, v5 src0_sel:BYTE_0
                                        ; implicit-def: $vgpr53
	s_nop 0
	v_mul_f32_e32 v5, v44, v5
	v_and_b32_e32 v13, 0x7f800000, v5
	v_cmp_ne_u32_e64 s[4:5], s19, v13
	s_and_saveexec_b64 s[24:25], s[4:5]
	s_xor_b64 s[4:5], exec, s[24:25]
; %bb.175:                              ;   in Loop: Header=BB371_10 Depth=1
	v_bfe_u32 v13, v5, 16, 1
	v_add3_u32 v53, v5, v13, s27
                                        ; implicit-def: $vgpr5
; %bb.176:                              ;   in Loop: Header=BB371_10 Depth=1
	s_andn2_saveexec_b64 s[24:25], s[4:5]
; %bb.177:                              ;   in Loop: Header=BB371_10 Depth=1
	v_or_b32_e32 v13, 0x10000, v5
	v_cmp_eq_u32_sdwa s[4:5], v5, v9 src0_sel:WORD_0 src1_sel:DWORD
	s_nop 1
	v_cndmask_b32_e64 v53, v13, v5, s[4:5]
; %bb.178:                              ;   in Loop: Header=BB371_10 Depth=1
	s_or_b64 exec, exec, s[24:25]
	v_bfe_u32 v5, v4, 16, 8
	v_cvt_f32_fp8_sdwa v5, v5 src0_sel:BYTE_0
                                        ; implicit-def: $vgpr54
	s_nop 0
	v_mul_f32_e32 v5, v44, v5
	v_and_b32_e32 v13, 0x7f800000, v5
	v_cmp_ne_u32_e64 s[4:5], s19, v13
	s_and_saveexec_b64 s[24:25], s[4:5]
	s_xor_b64 s[4:5], exec, s[24:25]
; %bb.179:                              ;   in Loop: Header=BB371_10 Depth=1
	v_bfe_u32 v13, v5, 16, 1
	v_add3_u32 v54, v5, v13, s27
                                        ; implicit-def: $vgpr5
; %bb.180:                              ;   in Loop: Header=BB371_10 Depth=1
	s_andn2_saveexec_b64 s[24:25], s[4:5]
; %bb.181:                              ;   in Loop: Header=BB371_10 Depth=1
	v_or_b32_e32 v13, 0x10000, v5
	v_cmp_eq_u32_sdwa s[4:5], v5, v9 src0_sel:WORD_0 src1_sel:DWORD
	s_nop 1
	v_cndmask_b32_e64 v54, v13, v5, s[4:5]
; %bb.182:                              ;   in Loop: Header=BB371_10 Depth=1
	s_or_b64 exec, exec, s[24:25]
	v_lshrrev_b32_e32 v4, 24, v4
	v_cvt_f32_fp8_sdwa v4, v4 src0_sel:BYTE_0
	s_nop 0
	v_mul_f32_e32 v5, v44, v4
	v_and_b32_e32 v4, 0x7f800000, v5
	v_cmp_ne_u32_e64 s[4:5], s19, v4
                                        ; implicit-def: $vgpr4
	s_and_saveexec_b64 s[24:25], s[4:5]
	s_xor_b64 s[4:5], exec, s[24:25]
; %bb.183:                              ;   in Loop: Header=BB371_10 Depth=1
	v_bfe_u32 v4, v5, 16, 1
	v_add3_u32 v4, v5, v4, s27
                                        ; implicit-def: $vgpr5
; %bb.184:                              ;   in Loop: Header=BB371_10 Depth=1
	s_andn2_saveexec_b64 s[24:25], s[4:5]
; %bb.185:                              ;   in Loop: Header=BB371_10 Depth=1
	v_or_b32_e32 v4, 0x10000, v5
	v_cmp_eq_u32_sdwa s[4:5], v5, v9 src0_sel:WORD_0 src1_sel:DWORD
	s_nop 1
	v_cndmask_b32_e64 v4, v4, v5, s[4:5]
; %bb.186:                              ;   in Loop: Header=BB371_10 Depth=1
	s_or_b64 exec, exec, s[24:25]
	flat_load_dword v19, v[32:33] offset:2568
	s_waitcnt vmcnt(0) lgkmcnt(0)
	v_and_b32_e32 v5, 0xff, v19
	v_cvt_f32_fp8_sdwa v5, v5 src0_sel:BYTE_0
	s_nop 0
	v_mul_f32_e32 v5, v44, v5
	v_and_b32_e32 v13, 0x7f800000, v5
	v_cmp_ne_u32_e64 s[4:5], s19, v13
                                        ; implicit-def: $vgpr13
	s_and_saveexec_b64 s[24:25], s[4:5]
	s_xor_b64 s[4:5], exec, s[24:25]
; %bb.187:                              ;   in Loop: Header=BB371_10 Depth=1
	v_bfe_u32 v13, v5, 16, 1
	v_add3_u32 v13, v5, v13, s27
                                        ; implicit-def: $vgpr5
; %bb.188:                              ;   in Loop: Header=BB371_10 Depth=1
	s_andn2_saveexec_b64 s[24:25], s[4:5]
; %bb.189:                              ;   in Loop: Header=BB371_10 Depth=1
	v_or_b32_e32 v13, 0x10000, v5
	v_cmp_eq_u32_sdwa s[4:5], v5, v9 src0_sel:WORD_0 src1_sel:DWORD
	s_nop 1
	v_cndmask_b32_e64 v13, v13, v5, s[4:5]
; %bb.190:                              ;   in Loop: Header=BB371_10 Depth=1
	s_or_b64 exec, exec, s[24:25]
	v_bfe_u32 v5, v19, 8, 8
	v_cvt_f32_fp8_sdwa v5, v5 src0_sel:BYTE_0
	s_nop 0
	v_mul_f32_e32 v18, v44, v5
	v_and_b32_e32 v5, 0x7f800000, v18
	v_cmp_ne_u32_e64 s[4:5], s19, v5
                                        ; implicit-def: $vgpr5
	s_and_saveexec_b64 s[24:25], s[4:5]
	s_xor_b64 s[4:5], exec, s[24:25]
; %bb.191:                              ;   in Loop: Header=BB371_10 Depth=1
	v_bfe_u32 v5, v18, 16, 1
	v_add3_u32 v5, v18, v5, s27
                                        ; implicit-def: $vgpr18
; %bb.192:                              ;   in Loop: Header=BB371_10 Depth=1
	s_andn2_saveexec_b64 s[24:25], s[4:5]
; %bb.193:                              ;   in Loop: Header=BB371_10 Depth=1
	v_or_b32_e32 v5, 0x10000, v18
	v_cmp_eq_u32_sdwa s[4:5], v18, v9 src0_sel:WORD_0 src1_sel:DWORD
	s_nop 1
	v_cndmask_b32_e64 v5, v5, v18, s[4:5]
; %bb.194:                              ;   in Loop: Header=BB371_10 Depth=1
	s_or_b64 exec, exec, s[24:25]
	v_bfe_u32 v18, v19, 16, 8
	v_cvt_f32_fp8_sdwa v18, v18 src0_sel:BYTE_0
	s_nop 0
	v_mul_f32_e32 v22, v44, v18
	v_and_b32_e32 v18, 0x7f800000, v22
	v_cmp_ne_u32_e64 s[4:5], s19, v18
                                        ; implicit-def: $vgpr18
	s_and_saveexec_b64 s[24:25], s[4:5]
	s_xor_b64 s[4:5], exec, s[24:25]
; %bb.195:                              ;   in Loop: Header=BB371_10 Depth=1
	v_bfe_u32 v18, v22, 16, 1
	v_add3_u32 v18, v22, v18, s27
                                        ; implicit-def: $vgpr22
; %bb.196:                              ;   in Loop: Header=BB371_10 Depth=1
	s_andn2_saveexec_b64 s[24:25], s[4:5]
; %bb.197:                              ;   in Loop: Header=BB371_10 Depth=1
	v_or_b32_e32 v18, 0x10000, v22
	v_cmp_eq_u32_sdwa s[4:5], v22, v9 src0_sel:WORD_0 src1_sel:DWORD
	s_nop 1
	v_cndmask_b32_e64 v18, v18, v22, s[4:5]
; %bb.198:                              ;   in Loop: Header=BB371_10 Depth=1
	s_or_b64 exec, exec, s[24:25]
	v_lshrrev_b32_e32 v19, 24, v19
	v_cvt_f32_fp8_sdwa v19, v19 src0_sel:BYTE_0
	s_nop 0
	v_mul_f32_e32 v22, v44, v19
	v_and_b32_e32 v19, 0x7f800000, v22
	v_cmp_ne_u32_e64 s[4:5], s19, v19
                                        ; implicit-def: $vgpr19
	s_and_saveexec_b64 s[24:25], s[4:5]
	s_xor_b64 s[4:5], exec, s[24:25]
; %bb.199:                              ;   in Loop: Header=BB371_10 Depth=1
	v_bfe_u32 v19, v22, 16, 1
	v_add3_u32 v19, v22, v19, s27
                                        ; implicit-def: $vgpr22
; %bb.200:                              ;   in Loop: Header=BB371_10 Depth=1
	s_andn2_saveexec_b64 s[24:25], s[4:5]
; %bb.201:                              ;   in Loop: Header=BB371_10 Depth=1
	v_or_b32_e32 v19, 0x10000, v22
	v_cmp_eq_u32_sdwa s[4:5], v22, v9 src0_sel:WORD_0 src1_sel:DWORD
	s_nop 1
	v_cndmask_b32_e64 v19, v19, v22, s[4:5]
; %bb.202:                              ;   in Loop: Header=BB371_10 Depth=1
	s_or_b64 exec, exec, s[24:25]
	flat_load_dword v22, v[32:33] offset:3072
                                        ; implicit-def: $vgpr50
	s_waitcnt vmcnt(0) lgkmcnt(0)
	v_and_b32_e32 v24, 0xff, v22
	v_cvt_f32_fp8_sdwa v24, v24 src0_sel:BYTE_0
	s_nop 0
	v_mul_f32_e32 v24, v44, v24
	v_and_b32_e32 v25, 0x7f800000, v24
	v_cmp_ne_u32_e64 s[4:5], s19, v25
	s_and_saveexec_b64 s[24:25], s[4:5]
	s_xor_b64 s[4:5], exec, s[24:25]
; %bb.203:                              ;   in Loop: Header=BB371_10 Depth=1
	v_bfe_u32 v25, v24, 16, 1
	v_add3_u32 v50, v24, v25, s27
                                        ; implicit-def: $vgpr24
; %bb.204:                              ;   in Loop: Header=BB371_10 Depth=1
	s_andn2_saveexec_b64 s[24:25], s[4:5]
; %bb.205:                              ;   in Loop: Header=BB371_10 Depth=1
	v_or_b32_e32 v25, 0x10000, v24
	v_cmp_eq_u32_sdwa s[4:5], v24, v9 src0_sel:WORD_0 src1_sel:DWORD
	s_nop 1
	v_cndmask_b32_e64 v50, v25, v24, s[4:5]
; %bb.206:                              ;   in Loop: Header=BB371_10 Depth=1
	s_or_b64 exec, exec, s[24:25]
	v_bfe_u32 v24, v22, 8, 8
	v_cvt_f32_fp8_sdwa v24, v24 src0_sel:BYTE_0
	s_nop 0
	v_mul_f32_e32 v24, v44, v24
	v_and_b32_e32 v25, 0x7f800000, v24
	v_cmp_ne_u32_e64 s[4:5], s19, v25
                                        ; implicit-def: $vgpr25
	s_and_saveexec_b64 s[24:25], s[4:5]
	s_xor_b64 s[4:5], exec, s[24:25]
; %bb.207:                              ;   in Loop: Header=BB371_10 Depth=1
	v_bfe_u32 v25, v24, 16, 1
	v_add3_u32 v25, v24, v25, s27
                                        ; implicit-def: $vgpr24
; %bb.208:                              ;   in Loop: Header=BB371_10 Depth=1
	s_andn2_saveexec_b64 s[24:25], s[4:5]
; %bb.209:                              ;   in Loop: Header=BB371_10 Depth=1
	v_or_b32_e32 v25, 0x10000, v24
	v_cmp_eq_u32_sdwa s[4:5], v24, v9 src0_sel:WORD_0 src1_sel:DWORD
	s_nop 1
	v_cndmask_b32_e64 v25, v25, v24, s[4:5]
; %bb.210:                              ;   in Loop: Header=BB371_10 Depth=1
	s_or_b64 exec, exec, s[24:25]
	v_bfe_u32 v24, v22, 16, 8
	v_cvt_f32_fp8_sdwa v24, v24 src0_sel:BYTE_0
	s_nop 0
	v_mul_f32_e32 v42, v44, v24
	v_and_b32_e32 v24, 0x7f800000, v42
	v_cmp_ne_u32_e64 s[4:5], s19, v24
                                        ; implicit-def: $vgpr24
	s_and_saveexec_b64 s[24:25], s[4:5]
	s_xor_b64 s[4:5], exec, s[24:25]
; %bb.211:                              ;   in Loop: Header=BB371_10 Depth=1
	v_bfe_u32 v24, v42, 16, 1
	v_add3_u32 v24, v42, v24, s27
                                        ; implicit-def: $vgpr42
; %bb.212:                              ;   in Loop: Header=BB371_10 Depth=1
	s_andn2_saveexec_b64 s[24:25], s[4:5]
; %bb.213:                              ;   in Loop: Header=BB371_10 Depth=1
	v_or_b32_e32 v24, 0x10000, v42
	v_cmp_eq_u32_sdwa s[4:5], v42, v9 src0_sel:WORD_0 src1_sel:DWORD
	s_nop 1
	v_cndmask_b32_e64 v24, v24, v42, s[4:5]
; %bb.214:                              ;   in Loop: Header=BB371_10 Depth=1
	s_or_b64 exec, exec, s[24:25]
	v_lshrrev_b32_e32 v22, 24, v22
	v_cvt_f32_fp8_sdwa v22, v22 src0_sel:BYTE_0
	s_nop 0
	v_mul_f32_e32 v22, v44, v22
	v_and_b32_e32 v42, 0x7f800000, v22
	v_cmp_ne_u32_e64 s[4:5], s19, v42
                                        ; implicit-def: $vgpr42
	s_and_saveexec_b64 s[24:25], s[4:5]
	s_xor_b64 s[4:5], exec, s[24:25]
; %bb.215:                              ;   in Loop: Header=BB371_10 Depth=1
	v_bfe_u32 v42, v22, 16, 1
	v_add3_u32 v42, v22, v42, s27
                                        ; implicit-def: $vgpr22
; %bb.216:                              ;   in Loop: Header=BB371_10 Depth=1
	s_andn2_saveexec_b64 s[24:25], s[4:5]
; %bb.217:                              ;   in Loop: Header=BB371_10 Depth=1
	v_or_b32_e32 v42, 0x10000, v22
	v_cmp_eq_u32_sdwa s[4:5], v22, v9 src0_sel:WORD_0 src1_sel:DWORD
	s_nop 1
	v_cndmask_b32_e64 v42, v42, v22, s[4:5]
; %bb.218:                              ;   in Loop: Header=BB371_10 Depth=1
	s_or_b64 exec, exec, s[24:25]
	flat_load_dword v43, v[32:33] offset:3080
	s_waitcnt vmcnt(0) lgkmcnt(0)
	v_and_b32_e32 v22, 0xff, v43
	v_cvt_f32_fp8_sdwa v22, v22 src0_sel:BYTE_0
	s_nop 0
	v_mul_f32_e32 v22, v44, v22
	v_and_b32_e32 v32, 0x7f800000, v22
	v_cmp_ne_u32_e64 s[4:5], s19, v32
                                        ; implicit-def: $vgpr32
	s_and_saveexec_b64 s[24:25], s[4:5]
	s_xor_b64 s[4:5], exec, s[24:25]
; %bb.219:                              ;   in Loop: Header=BB371_10 Depth=1
	v_bfe_u32 v32, v22, 16, 1
	v_add3_u32 v32, v22, v32, s27
                                        ; implicit-def: $vgpr22
; %bb.220:                              ;   in Loop: Header=BB371_10 Depth=1
	s_andn2_saveexec_b64 s[24:25], s[4:5]
; %bb.221:                              ;   in Loop: Header=BB371_10 Depth=1
	v_or_b32_e32 v32, 0x10000, v22
	v_cmp_eq_u32_sdwa s[4:5], v22, v9 src0_sel:WORD_0 src1_sel:DWORD
	s_nop 1
	v_cndmask_b32_e64 v32, v32, v22, s[4:5]
; %bb.222:                              ;   in Loop: Header=BB371_10 Depth=1
	s_or_b64 exec, exec, s[24:25]
	v_bfe_u32 v22, v43, 8, 8
	v_cvt_f32_fp8_sdwa v22, v22 src0_sel:BYTE_0
	s_nop 0
	v_mul_f32_e32 v22, v44, v22
	v_and_b32_e32 v33, 0x7f800000, v22
	v_cmp_ne_u32_e64 s[4:5], s19, v33
                                        ; implicit-def: $vgpr33
	s_and_saveexec_b64 s[24:25], s[4:5]
	s_xor_b64 s[4:5], exec, s[24:25]
; %bb.223:                              ;   in Loop: Header=BB371_10 Depth=1
	v_bfe_u32 v33, v22, 16, 1
	v_add3_u32 v33, v22, v33, s27
                                        ; implicit-def: $vgpr22
; %bb.224:                              ;   in Loop: Header=BB371_10 Depth=1
	s_andn2_saveexec_b64 s[24:25], s[4:5]
; %bb.225:                              ;   in Loop: Header=BB371_10 Depth=1
	v_or_b32_e32 v33, 0x10000, v22
	v_cmp_eq_u32_sdwa s[4:5], v22, v9 src0_sel:WORD_0 src1_sel:DWORD
	s_nop 1
	v_cndmask_b32_e64 v33, v33, v22, s[4:5]
; %bb.226:                              ;   in Loop: Header=BB371_10 Depth=1
	s_or_b64 exec, exec, s[24:25]
	v_bfe_u32 v22, v43, 16, 8
	v_cvt_f32_fp8_sdwa v22, v22 src0_sel:BYTE_0
	s_nop 0
	v_mul_f32_e32 v45, v44, v22
	v_and_b32_e32 v22, 0x7f800000, v45
	v_cmp_ne_u32_e64 s[4:5], s19, v22
                                        ; implicit-def: $vgpr22
	s_and_saveexec_b64 s[24:25], s[4:5]
	s_xor_b64 s[4:5], exec, s[24:25]
; %bb.227:                              ;   in Loop: Header=BB371_10 Depth=1
	v_bfe_u32 v22, v45, 16, 1
	v_add3_u32 v22, v45, v22, s27
                                        ; implicit-def: $vgpr45
; %bb.228:                              ;   in Loop: Header=BB371_10 Depth=1
	s_andn2_saveexec_b64 s[24:25], s[4:5]
; %bb.229:                              ;   in Loop: Header=BB371_10 Depth=1
	v_or_b32_e32 v22, 0x10000, v45
	v_cmp_eq_u32_sdwa s[4:5], v45, v9 src0_sel:WORD_0 src1_sel:DWORD
	s_nop 1
	v_cndmask_b32_e64 v22, v22, v45, s[4:5]
; %bb.230:                              ;   in Loop: Header=BB371_10 Depth=1
	s_or_b64 exec, exec, s[24:25]
	v_lshrrev_b32_e32 v43, 24, v43
	v_cvt_f32_fp8_sdwa v43, v43 src0_sel:BYTE_0
	s_nop 0
	v_mul_f32_e32 v43, v44, v43
	v_and_b32_e32 v44, 0x7f800000, v43
	v_cmp_ne_u32_e64 s[4:5], s19, v44
                                        ; implicit-def: $vgpr44
	s_and_saveexec_b64 s[24:25], s[4:5]
	s_xor_b64 s[4:5], exec, s[24:25]
; %bb.231:                              ;   in Loop: Header=BB371_10 Depth=1
	v_bfe_u32 v44, v43, 16, 1
	v_add3_u32 v44, v43, v44, s27
                                        ; implicit-def: $vgpr43
; %bb.232:                              ;   in Loop: Header=BB371_10 Depth=1
	s_andn2_saveexec_b64 s[24:25], s[4:5]
; %bb.233:                              ;   in Loop: Header=BB371_10 Depth=1
	v_or_b32_e32 v44, 0x10000, v43
	v_cmp_eq_u32_sdwa s[4:5], v43, v9 src0_sel:WORD_0 src1_sel:DWORD
	s_nop 1
	v_cndmask_b32_e64 v44, v44, v43, s[4:5]
; %bb.234:                              ;   in Loop: Header=BB371_10 Depth=1
	s_or_b64 exec, exec, s[24:25]
	v_and_b32_e32 v43, 0xffff0000, v46
	v_accvgpr_read_b32 v46, a31
	v_mul_f32_e32 v46, v46, v43
	scratch_load_dword v43, off, s32 offset:200 ; 4-byte Folded Reload
	v_accvgpr_read_b32 v45, a3
	v_and_b32_e32 v45, 0xffff0000, v45
	v_and_b32_e32 v39, 0xffff0000, v39
	;; [unrolled: 1-line block ×5, first 2 shown]
	s_waitcnt vmcnt(0)
	v_fmac_f32_e32 v46, v43, v45
	v_and_b32_e32 v43, 0xffff0000, v47
	v_accvgpr_read_b32 v47, a32
	v_mul_f32_e32 v47, v47, v43
	scratch_load_dword v43, off, s32 offset:204 ; 4-byte Folded Reload
	v_accvgpr_read_b32 v45, a27
	v_and_b32_e32 v45, 0xffff0000, v45
	s_waitcnt vmcnt(0)
	v_fmac_f32_e32 v47, v43, v45
	v_and_b32_e32 v43, 0xffff0000, v56
	v_accvgpr_read_b32 v56, a33
	v_mul_f32_e32 v43, v56, v43
	scratch_load_dword v56, off, s32 offset:208 ; 4-byte Folded Reload
	v_accvgpr_read_b32 v45, a28
	v_and_b32_e32 v45, 0xffff0000, v45
	s_waitcnt vmcnt(0)
	v_fmac_f32_e32 v43, v56, v45
	v_and_b32_e32 v45, 0xffff0000, v57
	v_accvgpr_read_b32 v56, a29
	v_accvgpr_read_b32 v57, a34
	v_and_b32_e32 v56, 0xffff0000, v56
	v_mul_f32_e32 v45, v57, v45
	v_accvgpr_read_b32 v57, a30
	v_fmac_f32_e32 v45, v57, v56
	v_and_b32_e32 v56, 0xffff0000, v58
	v_accvgpr_read_b32 v57, a35
	v_fmac_f32_e32 v46, v57, v56
	v_and_b32_e32 v56, 0xffff0000, v59
	;; [unrolled: 3-line block ×6, first 2 shown]
	v_accvgpr_read_b32 v57, a40
	v_fmac_f32_e32 v47, v57, v56
	v_accvgpr_read_b32 v56, a41
	v_fmac_f32_e32 v43, v56, v39
	v_accvgpr_read_b32 v39, a42
	v_fmac_f32_e32 v45, v39, v6
	v_and_b32_e32 v6, 0xffff0000, v7
	v_accvgpr_read_b32 v7, a43
	v_fmac_f32_e32 v46, v7, v6
	v_and_b32_e32 v6, 0xffff0000, v38
	v_accvgpr_read_b32 v7, a44
	v_fmac_f32_e32 v47, v7, v6
	;; [unrolled: 3-line block ×11, first 2 shown]
	v_accvgpr_read_b32 v6, a54
	v_fmac_f32_e32 v45, v6, v1
	v_accvgpr_read_b32 v1, a55
	v_fmac_f32_e32 v46, v1, v0
	v_and_b32_e32 v0, 0xffff0000, v3
	v_accvgpr_read_b32 v1, a56
	v_fmac_f32_e32 v47, v1, v0
	v_and_b32_e32 v0, 0xffff0000, v2
	;; [unrolled: 3-line block ×27, first 2 shown]
	v_accvgpr_read_b32 v1, a8
	v_fmac_f32_e32 v45, v1, v0
	v_add_f32_e32 v0, v46, v47
	v_add_f32_e32 v0, v0, v43
	;; [unrolled: 1-line block ×3, first 2 shown]
	v_accvgpr_read_b32 v1, a9
	ds_bpermute_b32 v1, v1, v0
	s_and_saveexec_b64 s[24:25], vcc
	s_cbranch_execz .LBB371_9
; %bb.235:                              ;   in Loop: Header=BB371_10 Depth=1
	s_waitcnt lgkmcnt(0)
	v_add_f32_e32 v0, v0, v1
	scratch_load_dword v1, off, s32 offset:212 ; 4-byte Folded Reload
	v_sub_u32_e32 v2, 1, v35
	v_add_u32_e32 v2, v2, v55
	v_cvt_f32_i32_e32 v2, v2
	s_load_dword s4, s[8:9], 0x0
	v_accvgpr_read_b32 v3, a24
	s_waitcnt vmcnt(0)
	v_mul_f32_e32 v1, v1, v2
	v_cndmask_b32_e64 v1, 0, v1, s[2:3]
	s_waitcnt lgkmcnt(0)
	v_add_u32_e32 v2, s4, v40
	v_fmac_f32_e32 v1, v0, v3
	v_cmp_lt_i32_e64 s[4:5], v55, v35
	s_nop 1
	v_cndmask_b32_e64 v0, 0, v1, s[4:5]
	ds_write_b32 v2, v0
	scratch_load_dword v2, off, s32 offset:196 ; 4-byte Folded Reload
	s_waitcnt vmcnt(0)
	v_max_f32_e32 v0, v2, v2
	v_max_f32_e32 v0, v0, v1
	v_cndmask_b32_e64 v2, v2, v0, s[4:5]
	scratch_store_dword off, v2, s32 offset:196 ; 4-byte Folded Spill
	s_branch .LBB371_9
.LBB371_236:
	s_or_b64 exec, exec, s[22:23]
	scratch_load_dword v20, off, s32 offset:216 ; 4-byte Folded Reload
	scratch_load_dwordx2 v[14:15], off, s32 offset:300 ; 8-byte Folded Reload
	scratch_load_dwordx2 v[26:27], off, s32 offset:292 ; 8-byte Folded Reload
	;; [unrolled: 1-line block ×6, first 2 shown]
	scratch_load_dword v34, off, s32 offset:256 ; 4-byte Folded Reload
	scratch_load_dword v39, off, s32 offset:228 ; 4-byte Folded Reload
	scratch_load_dwordx2 v[48:49], off, s32 offset:248 ; 8-byte Folded Reload
	scratch_load_dwordx2 v[50:51], off, s32 offset:232 ; 8-byte Folded Reload
	scratch_load_dword v12, off, s32 offset:244 ; 4-byte Folded Reload
	scratch_load_dword v13, off, s32 offset:240 ; 4-byte Folded Reload
	;; [unrolled: 1-line block ×3, first 2 shown]
.LBB371_237:
	s_or_b64 exec, exec, s[6:7]
	s_waitcnt vmcnt(2)
	v_xor_b32_e32 v0, 32, v12
	s_waitcnt vmcnt(1)
	v_cmp_lt_i32_e32 vcc, v0, v13
	s_waitcnt vmcnt(0) lgkmcnt(0)
	v_max_f32_e32 v1, v3, v3
	v_xor_b32_e32 v4, 8, v12
	v_cndmask_b32_e32 v0, v12, v0, vcc
	v_lshlrev_b32_e32 v2, 2, v0
	ds_bpermute_b32 v0, v2, v3
	v_xor_b32_e32 v3, 16, v12
	v_cmp_lt_i32_e32 vcc, v3, v13
	v_xor_b32_e32 v5, 4, v12
	v_xor_b32_e32 v6, 2, v12
	s_waitcnt lgkmcnt(0)
	v_max_f32_e32 v0, v0, v0
	v_max_f32_e32 v0, v1, v0
	v_cndmask_b32_e32 v1, v12, v3, vcc
	v_lshlrev_b32_e32 v3, 2, v1
	ds_bpermute_b32 v1, v3, v0
	v_cmp_lt_i32_e32 vcc, v4, v13
	v_and_b32_e32 v22, 63, v20
	s_lshr_b32 s21, s21, 16
	s_waitcnt lgkmcnt(0)
	v_max_f32_e32 v1, v1, v1
	v_max_f32_e32 v0, v0, v1
	v_cndmask_b32_e32 v1, v12, v4, vcc
	v_lshlrev_b32_e32 v4, 2, v1
	ds_bpermute_b32 v1, v4, v0
	v_cmp_lt_i32_e32 vcc, v5, v13
	s_waitcnt lgkmcnt(0)
	v_max_f32_e32 v1, v1, v1
	v_max_f32_e32 v0, v0, v1
	v_cndmask_b32_e32 v1, v12, v5, vcc
	v_lshlrev_b32_e32 v5, 2, v1
	ds_bpermute_b32 v1, v5, v0
	v_cmp_lt_i32_e32 vcc, v6, v13
	s_waitcnt lgkmcnt(0)
	v_max_f32_e32 v1, v1, v1
	v_max_f32_e32 v0, v0, v1
	v_cndmask_b32_e32 v1, v12, v6, vcc
	v_lshlrev_b32_e32 v23, 2, v1
	ds_bpermute_b32 v1, v23, v0
	v_cmp_eq_u32_e32 vcc, 0, v22
	v_lshlrev_b32_e32 v6, 2, v34
	s_and_saveexec_b64 s[2:3], vcc
	s_cbranch_execz .LBB371_239
; %bb.238:
	s_waitcnt lgkmcnt(0)
	v_max_f32_e32 v1, v1, v1
	v_max_f32_e32 v0, v0, v0
	;; [unrolled: 1-line block ×3, first 2 shown]
	ds_write_b32 v6, v0 offset:224
.LBB371_239:
	s_or_b64 exec, exec, s[2:3]
	v_cmp_gt_u32_e64 s[2:3], 2, v22
	v_mov_b32_e32 v0, 0xff7fffff
	v_lshlrev_b32_e32 v7, 2, v22
	s_waitcnt lgkmcnt(0)
	s_barrier
	s_and_saveexec_b64 s[4:5], s[2:3]
	s_cbranch_execz .LBB371_241
; %bb.240:
	ds_read_b32 v0, v7 offset:224
.LBB371_241:
	s_or_b64 exec, exec, s[4:5]
	scratch_load_dword v8, off, s32 offset:192 ; 4-byte Folded Reload
	v_xor_b32_e32 v1, 1, v12
	v_cmp_lt_i32_e64 s[4:5], v1, v13
	v_mov_b32_e32 v18, 0
	s_waitcnt vmcnt(0)
	v_subrev_u32_e32 v8, s15, v8
	v_cndmask_b32_e64 v1, v12, v1, s[4:5]
	v_lshlrev_b32_e32 v24, 2, v1
	s_waitcnt lgkmcnt(0)
	ds_bpermute_b32 v1, v24, v0
	v_max_f32_e32 v0, v0, v0
	v_lshl_add_u32 v9, v8, 5, s26
	v_min_i32_e32 v9, v9, v35
	s_waitcnt lgkmcnt(0)
	v_max_f32_e32 v1, v1, v1
	v_max_f32_e32 v0, v0, v1
	v_lshlrev_b32_e32 v1, 2, v12
	v_and_b32_e32 v8, 0xffffff00, v1
	ds_bpermute_b32 v0, v8, v0
	v_subrev_u32_e32 v1, s26, v9
	v_cmp_lt_i32_e64 s[4:5], v20, v1
	s_and_saveexec_b64 s[8:9], s[4:5]
	s_cbranch_execz .LBB371_245
; %bb.242:
	s_ashr_i32 s19, s18, 31
	s_lshl_b64 s[6:7], s[18:19], 2
	s_getpc_b64 s[22:23]
	s_add_u32 s22, s22, llvm.amdgcn.dynlds.offset.table@rel32@lo+4
	s_addc_u32 s23, s23, llvm.amdgcn.dynlds.offset.table@rel32@hi+12
	s_add_u32 s6, s6, s22
	s_addc_u32 s7, s7, s23
	s_load_dword s6, s[6:7], 0x0
	s_mov_b64 s[22:23], 0
	v_mov_b32_e32 v18, 0
	v_mov_b32_e32 v12, v20
	s_waitcnt lgkmcnt(0)
	v_lshl_add_u32 v19, v20, 2, s6
.LBB371_243:                            ; =>This Inner Loop Header: Depth=1
	ds_read_b32 v13, v19
	v_add_u32_e32 v12, 0x80, v12
	v_cmp_ge_i32_e64 s[6:7], v12, v1
	s_or_b64 s[22:23], s[6:7], s[22:23]
	s_waitcnt lgkmcnt(0)
	v_sub_f32_e32 v13, v13, v0
	v_mul_f32_e32 v13, 0x3fb8aa3b, v13
	v_exp_f32_e32 v13, v13
	ds_write_b32 v19, v13
	v_add_f32_e32 v18, v18, v13
	v_add_u32_e32 v19, 0x200, v19
	s_andn2_b64 exec, exec, s[22:23]
	s_cbranch_execnz .LBB371_243
; %bb.244:
	s_or_b64 exec, exec, s[22:23]
.LBB371_245:
	s_or_b64 exec, exec, s[8:9]
	ds_bpermute_b32 v2, v2, v18
	s_waitcnt lgkmcnt(0)
	v_add_f32_e32 v2, v18, v2
	ds_bpermute_b32 v3, v3, v2
	s_waitcnt lgkmcnt(0)
	v_add_f32_e32 v2, v2, v3
	;; [unrolled: 3-line block ×6, first 2 shown]
	s_and_saveexec_b64 s[6:7], vcc
	s_cbranch_execz .LBB371_247
; %bb.246:
	ds_write_b32 v6, v2 offset:232
.LBB371_247:
	s_or_b64 exec, exec, s[6:7]
	s_waitcnt lgkmcnt(0)
	s_barrier
	s_and_saveexec_b64 s[6:7], s[2:3]
	s_cbranch_execz .LBB371_249
; %bb.248:
	ds_read_b32 v2, v7 offset:232
.LBB371_249:
	s_or_b64 exec, exec, s[6:7]
	s_waitcnt lgkmcnt(0)
	ds_bpermute_b32 v3, v24, v2
	s_waitcnt lgkmcnt(0)
	v_add_f32_e32 v2, v2, v3
	ds_bpermute_b32 v2, v8, v2
	s_and_saveexec_b64 s[2:3], s[4:5]
	s_cbranch_execz .LBB371_262
; %bb.250:
	s_waitcnt lgkmcnt(0)
	v_add_f32_e32 v3, 0x358637bd, v2
	v_div_scale_f32 v4, s[4:5], v3, v3, 1.0
	v_rcp_f32_e32 v5, v4
	v_div_scale_f32 v6, vcc, 1.0, v3, 1.0
	s_movk_i32 s4, 0x7f
	v_fma_f32 v7, -v4, v5, 1.0
	v_fmac_f32_e32 v5, v7, v5
	v_mul_f32_e32 v7, v6, v5
	v_fma_f32 v8, -v4, v7, v6
	v_fmac_f32_e32 v7, v8, v5
	v_fma_f32 v4, -v4, v7, v6
	v_div_fmas_f32 v4, v4, v5, v7
	v_div_fixup_f32 v8, v4, v3, 1.0
	v_xad_u32 v3, v20, -1, v9
	v_subrev_u32_e32 v4, s26, v3
	v_cmp_lt_u32_e32 vcc, s4, v4
	s_mov_b64 s[6:7], -1
	v_mov_b32_e32 v3, v20
	s_and_saveexec_b64 s[4:5], vcc
	s_cbranch_execz .LBB371_259
; %bb.251:
	v_lshrrev_b32_e32 v3, 7, v4
	v_add_u32_e32 v5, -1, v3
	v_lshrrev_b32_e32 v4, 1, v5
	v_mov_b32_e32 v9, v8
	v_add_u32_e32 v4, 1, v4
	v_cmp_lt_u32_e32 vcc, 13, v5
	v_mov_b32_e32 v7, 0
	s_and_saveexec_b64 s[6:7], vcc
	s_cbranch_execz .LBB371_255
; %bb.252:
	s_ashr_i32 s19, s18, 31
	s_lshl_b64 s[8:9], s[18:19], 2
	s_getpc_b64 s[22:23]
	s_add_u32 s22, s22, llvm.amdgcn.dynlds.offset.table@rel32@lo+4
	s_addc_u32 s23, s23, llvm.amdgcn.dynlds.offset.table@rel32@hi+12
	s_add_u32 s8, s8, s22
	s_addc_u32 s9, s9, s23
	s_load_dword s8, s[8:9], 0x0
	v_and_b32_e32 v5, -8, v4
	s_mov_b32 s15, 0
	s_waitcnt lgkmcnt(0)
	v_lshl_add_u32 v6, v20, 2, s8
	s_mov_b64 s[8:9], 0
.LBB371_253:                            ; =>This Inner Loop Header: Depth=1
	ds_read2st64_b32 v[30:31], v6 offset1:2
	ds_read2st64_b32 v[12:13], v6 offset0:4 offset1:6
	ds_read2st64_b32 v[28:29], v6 offset0:8 offset1:10
	;; [unrolled: 1-line block ×3, first 2 shown]
	v_add_u32_e32 v5, -8, v5
	s_waitcnt lgkmcnt(3)
	v_pk_mul_f32 v[30:31], v[8:9], v[30:31]
	s_waitcnt lgkmcnt(2)
	v_pk_mul_f32 v[12:13], v[8:9], v[12:13]
	ds_write2st64_b32 v6, v30, v31 offset1:2
	ds_write2st64_b32 v6, v12, v13 offset0:4 offset1:6
	ds_read2st64_b32 v[12:13], v6 offset0:16 offset1:18
	s_waitcnt lgkmcnt(4)
	v_pk_mul_f32 v[28:29], v[8:9], v[28:29]
	s_waitcnt lgkmcnt(3)
	v_pk_mul_f32 v[18:19], v[8:9], v[18:19]
	ds_write2st64_b32 v6, v28, v29 offset0:8 offset1:10
	ds_write2st64_b32 v6, v18, v19 offset0:12 offset1:14
	s_waitcnt lgkmcnt(2)
	v_pk_mul_f32 v[12:13], v[8:9], v[12:13]
	ds_read2st64_b32 v[28:29], v6 offset0:20 offset1:22
	ds_read2st64_b32 v[18:19], v6 offset0:24 offset1:26
	ds_write2st64_b32 v6, v12, v13 offset0:16 offset1:18
	ds_read2st64_b32 v[12:13], v6 offset0:28 offset1:30
	s_add_i32 s15, s15, 16
	s_waitcnt lgkmcnt(3)
	v_pk_mul_f32 v[28:29], v[8:9], v[28:29]
	s_waitcnt lgkmcnt(2)
	v_pk_mul_f32 v[18:19], v[8:9], v[18:19]
	v_cmp_eq_u32_e32 vcc, 0, v5
	s_waitcnt lgkmcnt(0)
	v_pk_mul_f32 v[12:13], v[8:9], v[12:13]
	ds_write2st64_b32 v6, v28, v29 offset0:20 offset1:22
	ds_write2st64_b32 v6, v18, v19 offset0:24 offset1:26
	;; [unrolled: 1-line block ×3, first 2 shown]
	v_add_u32_e32 v6, 0x2000, v6
	s_or_b64 s[8:9], vcc, s[8:9]
	v_mov_b32_e32 v7, s15
	s_andn2_b64 exec, exec, s[8:9]
	s_cbranch_execnz .LBB371_253
; %bb.254:
	s_or_b64 exec, exec, s[8:9]
.LBB371_255:
	s_or_b64 exec, exec, s[6:7]
	v_and_b32_e32 v4, 7, v4
	v_cmp_ne_u32_e32 vcc, 0, v4
	s_and_saveexec_b64 s[6:7], vcc
	s_cbranch_execz .LBB371_258
; %bb.256:
	s_ashr_i32 s19, s18, 31
	s_lshl_b64 s[8:9], s[18:19], 2
	s_getpc_b64 s[22:23]
	s_add_u32 s22, s22, llvm.amdgcn.dynlds.offset.table@rel32@lo+4
	s_addc_u32 s23, s23, llvm.amdgcn.dynlds.offset.table@rel32@hi+12
	s_add_u32 s8, s8, s22
	s_addc_u32 s9, s9, s23
	s_load_dword s8, s[8:9], 0x0
	v_lshlrev_b32_e32 v5, 9, v7
	v_lshlrev_b32_e32 v6, 2, v20
	s_waitcnt lgkmcnt(0)
	v_add3_u32 v5, v5, v6, s8
	s_mov_b64 s[8:9], 0
.LBB371_257:                            ; =>This Inner Loop Header: Depth=1
	ds_read2st64_b32 v[6:7], v5 offset1:2
	v_add_u32_e32 v4, -1, v4
	v_cmp_eq_u32_e32 vcc, 0, v4
	s_or_b64 s[8:9], vcc, s[8:9]
	s_waitcnt lgkmcnt(0)
	v_pk_mul_f32 v[6:7], v[8:9], v[6:7]
	ds_write2st64_b32 v5, v6, v7 offset1:2
	v_add_u32_e32 v5, 0x400, v5
	s_andn2_b64 exec, exec, s[8:9]
	s_cbranch_execnz .LBB371_257
.LBB371_258:
	s_or_b64 exec, exec, s[6:7]
	v_add_u32_e32 v4, 1, v3
	v_and_b32_e32 v5, 0x3fffffe, v4
	v_cmp_ne_u32_e32 vcc, v4, v5
	v_lshl_add_u32 v3, v5, 7, v20
	s_orn2_b64 s[6:7], vcc, exec
.LBB371_259:
	s_or_b64 exec, exec, s[4:5]
	s_and_b64 exec, exec, s[6:7]
	s_cbranch_execz .LBB371_262
; %bb.260:
	s_ashr_i32 s19, s18, 31
	s_lshl_b64 s[4:5], s[18:19], 2
	s_getpc_b64 s[6:7]
	s_add_u32 s6, s6, llvm.amdgcn.dynlds.offset.table@rel32@lo+4
	s_addc_u32 s7, s7, llvm.amdgcn.dynlds.offset.table@rel32@hi+12
	s_add_u32 s4, s4, s6
	s_addc_u32 s5, s5, s7
	s_load_dword s4, s[4:5], 0x0
	s_waitcnt lgkmcnt(0)
	v_lshl_add_u32 v4, v3, 2, s4
	s_mov_b64 s[4:5], 0
.LBB371_261:                            ; =>This Inner Loop Header: Depth=1
	ds_read_b32 v5, v4
	v_add_u32_e32 v3, 0x80, v3
	v_cmp_ge_i32_e32 vcc, v3, v1
	s_or_b64 s[4:5], vcc, s[4:5]
	s_waitcnt lgkmcnt(0)
	v_mul_f32_e32 v5, v8, v5
	ds_write_b32 v4, v5
	v_add_u32_e32 v4, 0x200, v4
	s_andn2_b64 exec, exec, s[4:5]
	s_cbranch_execnz .LBB371_261
.LBB371_262:
	s_or_b64 exec, exec, s[2:3]
	v_cmp_ne_u16_e64 s[2:3], s21, 0
	s_cmp_lg_u64 s[2:3], 0
	s_addc_u32 s8, s13, 0
	v_cmp_eq_u32_e32 vcc, 0, v20
	s_waitcnt lgkmcnt(0)
	s_barrier
	s_and_saveexec_b64 s[2:3], vcc
	s_cbranch_execz .LBB371_264
; %bb.263:
	s_mul_i32 s4, s8, s16
	s_mul_i32 s4, s4, s17
	s_mul_i32 s6, s8, s12
	s_ashr_i32 s5, s4, 31
	s_ashr_i32 s7, s6, 31
	s_ashr_i32 s15, s14, 31
	s_lshl_b64 s[4:5], s[4:5], 2
	s_lshl_b64 s[6:7], s[6:7], 2
	;; [unrolled: 1-line block ×3, first 2 shown]
	s_add_u32 s6, s12, s6
	s_addc_u32 s7, s13, s7
	s_add_u32 s4, s6, s4
	s_addc_u32 s5, s7, s5
	v_lshl_add_u64 v[4:5], s[4:5], 0, v[36:37]
	flat_store_dword v[4:5], v0
	v_lshl_add_u64 v[0:1], s[4:5], 0, v[32:33]
	flat_store_dword v[0:1], v2
.LBB371_264:
	s_or_b64 exec, exec, s[2:3]
	v_mov_b32_e32 v37, 0
	v_and_b32_e32 v25, 3, v20
	v_mov_b32_e32 v13, 0
	v_mov_b32_e32 v12, 0
	;; [unrolled: 1-line block ×6, first 2 shown]
	s_and_saveexec_b64 s[2:3], s[0:1]
	s_cbranch_execz .LBB371_762
; %bb.265:
	flat_load_dword v26, v[26:27]
	s_ashr_i32 s19, s18, 31
	s_lshl_b64 s[0:1], s[18:19], 2
	s_getpc_b64 s[4:5]
	s_add_u32 s4, s4, llvm.amdgcn.dynlds.offset.table@rel32@lo+4
	s_addc_u32 s5, s5, llvm.amdgcn.dynlds.offset.table@rel32@hi+12
	v_lshl_add_u64 v[0:1], v[10:11], 0, v[50:51]
	v_and_b32_e32 v10, 0x1f8, v38
	v_mov_b32_e32 v11, 0
	s_add_u32 s0, s0, s4
	v_lshl_add_u64 v[0:1], v[0:1], 0, v[10:11]
	s_addc_u32 s1, s1, s5
	v_accvgpr_write_b32 a11, v1
	s_load_dword s0, s[0:1], 0x0
	v_accvgpr_write_b32 a10, v0
	v_lshlrev_b64 v[0:1], 2, v[16:17]
	v_lshl_add_u64 v[0:1], v[48:49], 2, v[0:1]
	v_and_b32_e32 v2, 24, v38
	v_lshl_add_u64 v[14:15], v[14:15], 0, v[0:1]
	v_lshl_add_u32 v0, v34, 5, s26
	v_add3_u32 v10, v0, v2, 7
	v_lshlrev_b32_e32 v0, 5, v25
	v_add_u32_e32 v3, -1, v39
	v_lshl_or_b32 v0, v34, 7, v0
	v_accvgpr_write_b32 a7, v24
	v_accvgpr_write_b32 a6, v23
	;; [unrolled: 1-line block ×5, first 2 shown]
	s_waitcnt lgkmcnt(0)
	v_add_u32_e32 v17, s0, v0
	s_mov_b64 s[4:5], 0
	s_mov_b32 s9, 0x7f800000
	s_movk_i32 s12, 0x7fff
	v_mov_b32_e32 v20, 0
	v_mov_b32_e32 v21, 0
	;; [unrolled: 1-line block ×7, first 2 shown]
	s_branch .LBB371_267
.LBB371_266:                            ;   in Loop: Header=BB371_267 Depth=1
	s_or_b64 exec, exec, s[0:1]
	v_accvgpr_read_b32 v43, a15
	v_and_b32_e32 v45, 0xffff0000, v43
	v_accvgpr_read_b32 v43, a13
	v_and_b32_e32 v44, 0xffff0000, v43
	;; [unrolled: 2-line block ×4, first 2 shown]
	v_accvgpr_read_b32 v43, a19
	v_pk_add_f32 v[44:45], v[56:57], v[44:45]
	v_and_b32_e32 v57, 0xffff0000, v43
	v_accvgpr_read_b32 v43, a17
	v_and_b32_e32 v56, 0xffff0000, v43
	v_accvgpr_read_b32 v43, a18
	;; [unrolled: 2-line block ×3, first 2 shown]
	v_and_b32_e32 v58, 0xffff0000, v43
	v_pk_add_f32 v[56:57], v[58:59], v[56:57]
	v_add_f32_e32 v43, v44, v45
	v_add_f32_e32 v43, v43, v56
	v_accvgpr_read_b32 v44, a30
	v_accvgpr_read_b32 v56, a29
	v_add_f32_e32 v43, v43, v57
	v_and_b32_e32 v45, 0xffff0000, v44
	v_accvgpr_read_b32 v44, a28
	v_and_b32_e32 v57, 0xffff0000, v56
	v_accvgpr_read_b32 v56, a27
	v_and_b32_e32 v44, 0xffff0000, v44
	v_and_b32_e32 v56, 0xffff0000, v56
	v_add_f32_e32 v20, v20, v43
	v_accvgpr_read_b32 v43, a34
	v_pk_add_f32 v[44:45], v[56:57], v[44:45]
	v_and_b32_e32 v57, 0xffff0000, v43
	v_accvgpr_read_b32 v43, a32
	v_and_b32_e32 v56, 0xffff0000, v43
	v_accvgpr_read_b32 v43, a33
	v_and_b32_e32 v59, 0xffff0000, v43
	v_accvgpr_read_b32 v43, a31
	v_and_b32_e32 v58, 0xffff0000, v43
	v_pk_add_f32 v[56:57], v[58:59], v[56:57]
	v_add_f32_e32 v43, v44, v45
	v_add_f32_e32 v43, v43, v56
	;; [unrolled: 1-line block ×3, first 2 shown]
	v_and_b32_e32 v57, 0xffff0000, v23
	v_accvgpr_read_b32 v23, a35
	v_and_b32_e32 v56, 0xffff0000, v63
	v_and_b32_e32 v59, 0xffff0000, v36
	;; [unrolled: 1-line block ×7, first 2 shown]
	v_pk_add_f32 v[56:57], v[58:59], v[56:57]
	v_pk_add_f32 v[4:5], v[4:5], v[44:45]
	v_add_f32_e32 v23, v56, v57
	v_add_f32_e32 v4, v23, v4
	v_add_f32_e32 v4, v4, v5
	v_add_f32_e32 v18, v18, v4
	v_and_b32_e32 v5, 0xffff0000, v7
	v_and_b32_e32 v4, 0xffff0000, v6
	;; [unrolled: 1-line block ×8, first 2 shown]
	v_pk_add_f32 v[22:23], v[24:25], v[22:23]
	v_pk_add_f32 v[4:5], v[6:7], v[4:5]
	v_add_f32_e32 v6, v22, v23
	v_add_f32_e32 v4, v6, v4
	v_add_f32_e32 v4, v4, v5
	v_and_b32_e32 v23, 0xffff0000, v30
	v_and_b32_e32 v22, 0xffff0000, v9
	v_and_b32_e32 v9, 0xffff0000, v28
	v_and_b32_e32 v8, 0xffff0000, v8
	v_add_f32_e32 v19, v19, v4
	v_and_b32_e32 v5, 0xffff0000, v47
	v_and_b32_e32 v4, 0xffff0000, v38
	v_and_b32_e32 v7, 0xffff0000, v46
	v_and_b32_e32 v6, 0xffff0000, v31
	v_pk_add_f32 v[8:9], v[8:9], v[22:23]
	v_pk_add_f32 v[4:5], v[6:7], v[4:5]
	v_add_f32_e32 v6, v8, v9
	v_add_f32_e32 v4, v6, v4
	v_add_f32_e32 v4, v4, v5
	v_and_b32_e32 v9, 0xffff0000, v48
	v_and_b32_e32 v8, 0xffff0000, v3
	v_and_b32_e32 v3, 0xffff0000, v39
	v_and_b32_e32 v2, 0xffff0000, v2
	v_add_f32_e32 v12, v12, v4
	v_and_b32_e32 v5, 0xffff0000, v52
	v_and_b32_e32 v4, 0xffff0000, v50
	v_and_b32_e32 v7, 0xffff0000, v51
	v_and_b32_e32 v6, 0xffff0000, v49
	v_pk_add_f32 v[2:3], v[2:3], v[8:9]
	v_pk_add_f32 v[4:5], v[6:7], v[4:5]
	v_add_f32_e32 v2, v2, v3
	v_add_f32_e32 v2, v2, v4
	v_add_f32_e32 v2, v2, v5
	v_and_b32_e32 v7, 0xffff0000, v54
	v_and_b32_e32 v6, 0xffff0000, v1
	v_and_b32_e32 v1, 0xffff0000, v53
	v_and_b32_e32 v0, 0xffff0000, v0
	v_add_f32_e32 v13, v13, v2
	v_and_b32_e32 v3, 0xffff0000, v42
	v_and_b32_e32 v2, 0xffff0000, v40
	v_and_b32_e32 v5, 0xffff0000, v41
	v_and_b32_e32 v4, 0xffff0000, v55
	v_pk_add_f32 v[0:1], v[0:1], v[6:7]
	v_pk_add_f32 v[2:3], v[4:5], v[2:3]
	v_add_f32_e32 v0, v0, v1
	v_add_f32_e32 v0, v0, v2
	v_add_f32_e32 v0, v0, v3
	v_add_f32_e32 v37, v37, v0
	scratch_load_dword v0, off, s32 offset:192 ; 4-byte Folded Reload
	v_add_u32_e32 v16, 2, v16
	v_add_f32_e32 v21, v21, v43
	v_lshl_add_u64 v[14:15], v[14:15], 0, 8
	v_add_u32_e32 v10, 64, v10
	v_add_u32_e32 v17, 0x100, v17
	s_waitcnt vmcnt(0)
	v_cmp_ge_i32_e32 vcc, v16, v0
	s_or_b64 s[4:5], vcc, s[4:5]
	s_andn2_b64 exec, exec, s[4:5]
	s_cbranch_execz .LBB371_761
.LBB371_267:                            ; =>This Inner Loop Header: Depth=1
	flat_load_dword v27, v[14:15]
	ds_read2_b64 v[6:9], v17 offset1:1
	ds_read2_b64 v[0:3], v17 offset0:2 offset1:3
                                        ; implicit-def: $vgpr25
	s_waitcnt lgkmcnt(0)
	v_and_b32_e32 v4, 0x7f800000, v6
	v_cmp_ne_u32_e32 vcc, s9, v4
	s_and_saveexec_b64 s[0:1], vcc
	s_xor_b64 s[0:1], exec, s[0:1]
; %bb.268:                              ;   in Loop: Header=BB371_267 Depth=1
	v_bfe_u32 v4, v6, 16, 1
	v_add3_u32 v25, v6, v4, s12
; %bb.269:                              ;   in Loop: Header=BB371_267 Depth=1
	s_andn2_saveexec_b64 s[0:1], s[0:1]
; %bb.270:                              ;   in Loop: Header=BB371_267 Depth=1
	v_or_b32_e32 v4, 0x10000, v6
	v_cmp_eq_u32_sdwa vcc, v6, v11 src0_sel:WORD_0 src1_sel:DWORD
	s_nop 1
	v_cndmask_b32_e32 v25, v4, v6, vcc
; %bb.271:                              ;   in Loop: Header=BB371_267 Depth=1
	s_or_b64 exec, exec, s[0:1]
	v_and_b32_e32 v4, 0x7f800000, v7
	v_cmp_ne_u32_e32 vcc, s9, v4
                                        ; implicit-def: $vgpr24
	s_and_saveexec_b64 s[0:1], vcc
	s_xor_b64 s[0:1], exec, s[0:1]
; %bb.272:                              ;   in Loop: Header=BB371_267 Depth=1
	v_bfe_u32 v4, v7, 16, 1
	v_add3_u32 v24, v7, v4, s12
; %bb.273:                              ;   in Loop: Header=BB371_267 Depth=1
	s_andn2_saveexec_b64 s[0:1], s[0:1]
; %bb.274:                              ;   in Loop: Header=BB371_267 Depth=1
	v_or_b32_e32 v4, 0x10000, v7
	v_cmp_eq_u32_sdwa vcc, v7, v11 src0_sel:WORD_0 src1_sel:DWORD
	s_nop 1
	v_cndmask_b32_e32 v24, v4, v7, vcc
; %bb.275:                              ;   in Loop: Header=BB371_267 Depth=1
	s_or_b64 exec, exec, s[0:1]
	v_and_b32_e32 v4, 0x7f800000, v8
	v_cmp_ne_u32_e32 vcc, s9, v4
                                        ; implicit-def: $vgpr23
	s_and_saveexec_b64 s[0:1], vcc
	s_xor_b64 s[0:1], exec, s[0:1]
; %bb.276:                              ;   in Loop: Header=BB371_267 Depth=1
	v_bfe_u32 v4, v8, 16, 1
	v_add3_u32 v23, v8, v4, s12
; %bb.277:                              ;   in Loop: Header=BB371_267 Depth=1
	s_andn2_saveexec_b64 s[0:1], s[0:1]
; %bb.278:                              ;   in Loop: Header=BB371_267 Depth=1
	v_or_b32_e32 v4, 0x10000, v8
	v_cmp_eq_u32_sdwa vcc, v8, v11 src0_sel:WORD_0 src1_sel:DWORD
	s_nop 1
	v_cndmask_b32_e32 v23, v4, v8, vcc
; %bb.279:                              ;   in Loop: Header=BB371_267 Depth=1
	s_or_b64 exec, exec, s[0:1]
	v_and_b32_e32 v4, 0x7f800000, v9
	v_cmp_ne_u32_e32 vcc, s9, v4
                                        ; implicit-def: $vgpr22
	s_and_saveexec_b64 s[0:1], vcc
	s_xor_b64 s[0:1], exec, s[0:1]
; %bb.280:                              ;   in Loop: Header=BB371_267 Depth=1
	v_bfe_u32 v4, v9, 16, 1
	v_add3_u32 v22, v9, v4, s12
                                        ; implicit-def: $vgpr6_vgpr7_vgpr8_vgpr9
; %bb.281:                              ;   in Loop: Header=BB371_267 Depth=1
	s_andn2_saveexec_b64 s[0:1], s[0:1]
; %bb.282:                              ;   in Loop: Header=BB371_267 Depth=1
	v_or_b32_e32 v4, 0x10000, v9
	v_cmp_eq_u32_sdwa vcc, v9, v11 src0_sel:WORD_0 src1_sel:DWORD
	s_nop 1
	v_cndmask_b32_e32 v22, v4, v9, vcc
; %bb.283:                              ;   in Loop: Header=BB371_267 Depth=1
	s_or_b64 exec, exec, s[0:1]
	v_and_b32_e32 v4, 0x7f800000, v0
	v_cmp_ne_u32_e32 vcc, s9, v4
                                        ; implicit-def: $vgpr7
	s_and_saveexec_b64 s[0:1], vcc
	s_xor_b64 s[0:1], exec, s[0:1]
; %bb.284:                              ;   in Loop: Header=BB371_267 Depth=1
	v_bfe_u32 v4, v0, 16, 1
	v_add3_u32 v7, v0, v4, s12
; %bb.285:                              ;   in Loop: Header=BB371_267 Depth=1
	s_andn2_saveexec_b64 s[0:1], s[0:1]
; %bb.286:                              ;   in Loop: Header=BB371_267 Depth=1
	v_or_b32_e32 v4, 0x10000, v0
	v_cmp_eq_u32_sdwa vcc, v0, v11 src0_sel:WORD_0 src1_sel:DWORD
	s_nop 1
	v_cndmask_b32_e32 v7, v4, v0, vcc
; %bb.287:                              ;   in Loop: Header=BB371_267 Depth=1
	s_or_b64 exec, exec, s[0:1]
	v_and_b32_e32 v0, 0x7f800000, v1
	v_cmp_ne_u32_e32 vcc, s9, v0
                                        ; implicit-def: $vgpr6
	s_and_saveexec_b64 s[0:1], vcc
	s_xor_b64 s[0:1], exec, s[0:1]
; %bb.288:                              ;   in Loop: Header=BB371_267 Depth=1
	v_bfe_u32 v0, v1, 16, 1
	v_add3_u32 v6, v1, v0, s12
; %bb.289:                              ;   in Loop: Header=BB371_267 Depth=1
	s_andn2_saveexec_b64 s[0:1], s[0:1]
; %bb.290:                              ;   in Loop: Header=BB371_267 Depth=1
	v_or_b32_e32 v0, 0x10000, v1
	v_cmp_eq_u32_sdwa vcc, v1, v11 src0_sel:WORD_0 src1_sel:DWORD
	s_nop 1
	v_cndmask_b32_e32 v6, v0, v1, vcc
; %bb.291:                              ;   in Loop: Header=BB371_267 Depth=1
	s_or_b64 exec, exec, s[0:1]
	v_and_b32_e32 v0, 0x7f800000, v2
	v_cmp_ne_u32_e32 vcc, s9, v0
                                        ; implicit-def: $vgpr5
	s_and_saveexec_b64 s[0:1], vcc
	s_xor_b64 s[0:1], exec, s[0:1]
; %bb.292:                              ;   in Loop: Header=BB371_267 Depth=1
	v_bfe_u32 v0, v2, 16, 1
	v_add3_u32 v5, v2, v0, s12
; %bb.293:                              ;   in Loop: Header=BB371_267 Depth=1
	s_andn2_saveexec_b64 s[0:1], s[0:1]
; %bb.294:                              ;   in Loop: Header=BB371_267 Depth=1
	v_or_b32_e32 v0, 0x10000, v2
	v_cmp_eq_u32_sdwa vcc, v2, v11 src0_sel:WORD_0 src1_sel:DWORD
	s_nop 1
	v_cndmask_b32_e32 v5, v0, v2, vcc
; %bb.295:                              ;   in Loop: Header=BB371_267 Depth=1
	s_or_b64 exec, exec, s[0:1]
	v_and_b32_e32 v0, 0x7f800000, v3
	v_cmp_ne_u32_e32 vcc, s9, v0
                                        ; implicit-def: $vgpr4
	s_and_saveexec_b64 s[0:1], vcc
	s_xor_b64 s[0:1], exec, s[0:1]
; %bb.296:                              ;   in Loop: Header=BB371_267 Depth=1
	v_bfe_u32 v0, v3, 16, 1
	v_add3_u32 v4, v3, v0, s12
                                        ; implicit-def: $vgpr0_vgpr1_vgpr2_vgpr3
; %bb.297:                              ;   in Loop: Header=BB371_267 Depth=1
	s_andn2_saveexec_b64 s[0:1], s[0:1]
; %bb.298:                              ;   in Loop: Header=BB371_267 Depth=1
	v_or_b32_e32 v0, 0x10000, v3
	v_cmp_eq_u32_sdwa vcc, v3, v11 src0_sel:WORD_0 src1_sel:DWORD
	s_nop 1
	v_cndmask_b32_e32 v4, v0, v3, vcc
; %bb.299:                              ;   in Loop: Header=BB371_267 Depth=1
	s_or_b64 exec, exec, s[0:1]
	v_accvgpr_read_b32 v2, a10
	v_accvgpr_read_b32 v0, a4
	;; [unrolled: 1-line block ×3, first 2 shown]
	s_waitcnt vmcnt(0)
	v_mad_i64_i32 v[0:1], s[0:1], v27, v0, v[2:3]
	flat_load_dwordx2 v[2:3], v[0:1]
	s_waitcnt vmcnt(0) lgkmcnt(0)
	v_and_b32_e32 v8, 0xff, v2
	v_cvt_f32_fp8_sdwa v8, v8 src0_sel:BYTE_0
	s_nop 0
	v_mul_f32_e32 v9, v26, v8
	v_and_b32_e32 v8, 0x7f800000, v9
	v_cmp_ne_u32_e32 vcc, s9, v8
                                        ; implicit-def: $vgpr8
	s_and_saveexec_b64 s[0:1], vcc
	s_xor_b64 s[0:1], exec, s[0:1]
; %bb.300:                              ;   in Loop: Header=BB371_267 Depth=1
	v_bfe_u32 v8, v9, 16, 1
	v_add3_u32 v8, v9, v8, s12
                                        ; implicit-def: $vgpr9
; %bb.301:                              ;   in Loop: Header=BB371_267 Depth=1
	s_andn2_saveexec_b64 s[0:1], s[0:1]
; %bb.302:                              ;   in Loop: Header=BB371_267 Depth=1
	v_or_b32_e32 v8, 0x10000, v9
	v_cmp_eq_u32_sdwa vcc, v9, v11 src0_sel:WORD_0 src1_sel:DWORD
	s_nop 1
	v_cndmask_b32_e32 v8, v8, v9, vcc
; %bb.303:                              ;   in Loop: Header=BB371_267 Depth=1
	s_or_b64 exec, exec, s[0:1]
	v_bfe_u32 v9, v2, 8, 8
	v_cvt_f32_fp8_sdwa v9, v9 src0_sel:BYTE_0
	s_nop 0
	v_mul_f32_e32 v27, v26, v9
	v_and_b32_e32 v9, 0x7f800000, v27
	v_cmp_ne_u32_e32 vcc, s9, v9
                                        ; implicit-def: $vgpr9
	s_and_saveexec_b64 s[0:1], vcc
	s_xor_b64 s[0:1], exec, s[0:1]
; %bb.304:                              ;   in Loop: Header=BB371_267 Depth=1
	v_bfe_u32 v9, v27, 16, 1
	v_add3_u32 v9, v27, v9, s12
                                        ; implicit-def: $vgpr27
; %bb.305:                              ;   in Loop: Header=BB371_267 Depth=1
	s_andn2_saveexec_b64 s[0:1], s[0:1]
; %bb.306:                              ;   in Loop: Header=BB371_267 Depth=1
	v_or_b32_e32 v9, 0x10000, v27
	v_cmp_eq_u32_sdwa vcc, v27, v11 src0_sel:WORD_0 src1_sel:DWORD
	s_nop 1
	v_cndmask_b32_e32 v9, v9, v27, vcc
; %bb.307:                              ;   in Loop: Header=BB371_267 Depth=1
	s_or_b64 exec, exec, s[0:1]
	v_bfe_u32 v27, v2, 16, 8
	v_cvt_f32_fp8_sdwa v27, v27 src0_sel:BYTE_0
	s_nop 0
	v_mul_f32_e32 v27, v26, v27
	v_and_b32_e32 v28, 0x7f800000, v27
	v_cmp_ne_u32_e32 vcc, s9, v28
                                        ; implicit-def: $vgpr28
	s_and_saveexec_b64 s[0:1], vcc
	s_xor_b64 s[0:1], exec, s[0:1]
; %bb.308:                              ;   in Loop: Header=BB371_267 Depth=1
	v_bfe_u32 v28, v27, 16, 1
	v_add3_u32 v28, v27, v28, s12
                                        ; implicit-def: $vgpr27
; %bb.309:                              ;   in Loop: Header=BB371_267 Depth=1
	s_andn2_saveexec_b64 s[0:1], s[0:1]
; %bb.310:                              ;   in Loop: Header=BB371_267 Depth=1
	v_or_b32_e32 v28, 0x10000, v27
	v_cmp_eq_u32_sdwa vcc, v27, v11 src0_sel:WORD_0 src1_sel:DWORD
	s_nop 1
	v_cndmask_b32_e32 v28, v28, v27, vcc
; %bb.311:                              ;   in Loop: Header=BB371_267 Depth=1
	s_or_b64 exec, exec, s[0:1]
	v_lshrrev_b32_e32 v2, 24, v2
	v_cvt_f32_fp8_sdwa v2, v2 src0_sel:BYTE_0
	s_nop 0
	v_mul_f32_e32 v27, v26, v2
	v_and_b32_e32 v2, 0x7f800000, v27
	v_cmp_ne_u32_e32 vcc, s9, v2
                                        ; implicit-def: $vgpr2
	s_and_saveexec_b64 s[0:1], vcc
	s_xor_b64 s[0:1], exec, s[0:1]
; %bb.312:                              ;   in Loop: Header=BB371_267 Depth=1
	v_bfe_u32 v2, v27, 16, 1
	v_add3_u32 v2, v27, v2, s12
                                        ; implicit-def: $vgpr27
; %bb.313:                              ;   in Loop: Header=BB371_267 Depth=1
	s_andn2_saveexec_b64 s[0:1], s[0:1]
; %bb.314:                              ;   in Loop: Header=BB371_267 Depth=1
	v_or_b32_e32 v2, 0x10000, v27
	v_cmp_eq_u32_sdwa vcc, v27, v11 src0_sel:WORD_0 src1_sel:DWORD
	s_nop 1
	v_cndmask_b32_e32 v2, v2, v27, vcc
; %bb.315:                              ;   in Loop: Header=BB371_267 Depth=1
	s_or_b64 exec, exec, s[0:1]
	v_and_b32_e32 v27, 0xff, v3
	v_cvt_f32_fp8_sdwa v27, v27 src0_sel:BYTE_0
	s_nop 0
	v_mul_f32_e32 v27, v26, v27
	v_and_b32_e32 v29, 0x7f800000, v27
	v_cmp_ne_u32_e32 vcc, s9, v29
                                        ; implicit-def: $vgpr29
	s_and_saveexec_b64 s[0:1], vcc
	s_xor_b64 s[0:1], exec, s[0:1]
; %bb.316:                              ;   in Loop: Header=BB371_267 Depth=1
	v_bfe_u32 v29, v27, 16, 1
	v_add3_u32 v29, v27, v29, s12
                                        ; implicit-def: $vgpr27
; %bb.317:                              ;   in Loop: Header=BB371_267 Depth=1
	s_andn2_saveexec_b64 s[0:1], s[0:1]
; %bb.318:                              ;   in Loop: Header=BB371_267 Depth=1
	v_or_b32_e32 v29, 0x10000, v27
	v_cmp_eq_u32_sdwa vcc, v27, v11 src0_sel:WORD_0 src1_sel:DWORD
	s_nop 1
	v_cndmask_b32_e32 v29, v29, v27, vcc
; %bb.319:                              ;   in Loop: Header=BB371_267 Depth=1
	s_or_b64 exec, exec, s[0:1]
	v_bfe_u32 v27, v3, 8, 8
	v_cvt_f32_fp8_sdwa v27, v27 src0_sel:BYTE_0
	s_nop 0
	v_mul_f32_e32 v30, v26, v27
	v_and_b32_e32 v27, 0x7f800000, v30
	v_cmp_ne_u32_e32 vcc, s9, v27
                                        ; implicit-def: $vgpr27
	s_and_saveexec_b64 s[0:1], vcc
	s_xor_b64 s[0:1], exec, s[0:1]
; %bb.320:                              ;   in Loop: Header=BB371_267 Depth=1
	v_bfe_u32 v27, v30, 16, 1
	v_add3_u32 v27, v30, v27, s12
                                        ; implicit-def: $vgpr30
; %bb.321:                              ;   in Loop: Header=BB371_267 Depth=1
	s_andn2_saveexec_b64 s[0:1], s[0:1]
; %bb.322:                              ;   in Loop: Header=BB371_267 Depth=1
	v_or_b32_e32 v27, 0x10000, v30
	v_cmp_eq_u32_sdwa vcc, v30, v11 src0_sel:WORD_0 src1_sel:DWORD
	s_nop 1
	v_cndmask_b32_e32 v27, v27, v30, vcc
; %bb.323:                              ;   in Loop: Header=BB371_267 Depth=1
	s_or_b64 exec, exec, s[0:1]
	v_bfe_u32 v30, v3, 16, 8
	v_cvt_f32_fp8_sdwa v30, v30 src0_sel:BYTE_0
	s_nop 0
	v_mul_f32_e32 v30, v26, v30
	v_and_b32_e32 v31, 0x7f800000, v30
	v_cmp_ne_u32_e32 vcc, s9, v31
                                        ; implicit-def: $vgpr31
	s_and_saveexec_b64 s[0:1], vcc
	s_xor_b64 s[0:1], exec, s[0:1]
; %bb.324:                              ;   in Loop: Header=BB371_267 Depth=1
	v_bfe_u32 v31, v30, 16, 1
	v_add3_u32 v31, v30, v31, s12
                                        ; implicit-def: $vgpr30
; %bb.325:                              ;   in Loop: Header=BB371_267 Depth=1
	s_andn2_saveexec_b64 s[0:1], s[0:1]
; %bb.326:                              ;   in Loop: Header=BB371_267 Depth=1
	v_or_b32_e32 v31, 0x10000, v30
	v_cmp_eq_u32_sdwa vcc, v30, v11 src0_sel:WORD_0 src1_sel:DWORD
	s_nop 1
	v_cndmask_b32_e32 v31, v31, v30, vcc
; %bb.327:                              ;   in Loop: Header=BB371_267 Depth=1
	s_or_b64 exec, exec, s[0:1]
	v_lshrrev_b32_e32 v3, 24, v3
	v_cvt_f32_fp8_sdwa v3, v3 src0_sel:BYTE_0
                                        ; implicit-def: $vgpr32
	s_nop 0
	v_mul_f32_e32 v3, v26, v3
	v_and_b32_e32 v30, 0x7f800000, v3
	v_cmp_ne_u32_e32 vcc, s9, v30
	s_and_saveexec_b64 s[0:1], vcc
	s_xor_b64 s[0:1], exec, s[0:1]
; %bb.328:                              ;   in Loop: Header=BB371_267 Depth=1
	v_bfe_u32 v30, v3, 16, 1
	v_add3_u32 v32, v3, v30, s12
                                        ; implicit-def: $vgpr3
; %bb.329:                              ;   in Loop: Header=BB371_267 Depth=1
	s_andn2_saveexec_b64 s[0:1], s[0:1]
; %bb.330:                              ;   in Loop: Header=BB371_267 Depth=1
	v_or_b32_e32 v30, 0x10000, v3
	v_cmp_eq_u32_sdwa vcc, v3, v11 src0_sel:WORD_0 src1_sel:DWORD
	s_nop 1
	v_cndmask_b32_e32 v32, v30, v3, vcc
; %bb.331:                              ;   in Loop: Header=BB371_267 Depth=1
	s_or_b64 exec, exec, s[0:1]
	v_accvgpr_read_b32 v3, a9
	v_cmp_eq_u32_e32 vcc, v3, v16
	v_add_u32_e32 v3, -7, v10
	v_accvgpr_write_b32 a20, v3
	v_lshrrev_b32_e32 v3, 16, v31
	v_add_u32_e32 v31, -6, v10
	v_accvgpr_write_b32 a26, v31
	v_add_u32_e32 v31, -5, v10
	v_accvgpr_write_b32 a25, v31
	v_add_u32_e32 v31, -4, v10
	v_accvgpr_write_b32 a24, v31
	v_add_u32_e32 v31, -3, v10
	v_accvgpr_write_b32 a23, v31
	v_add_u32_e32 v31, -2, v10
	v_accvgpr_write_b32 a22, v31
	v_add_u32_e32 v31, -1, v10
	v_lshrrev_b32_e32 v27, 16, v27
	v_lshrrev_b32_e32 v29, 16, v29
	;; [unrolled: 1-line block ×7, first 2 shown]
	v_accvgpr_write_b32 a21, v31
	s_and_saveexec_b64 s[6:7], vcc
	s_cbranch_execz .LBB371_333
; %bb.332:                              ;   in Loop: Header=BB371_267 Depth=1
	v_accvgpr_read_b32 v31, a20
	v_cmp_lt_i32_e64 s[0:1], v31, v35
	v_accvgpr_read_b32 v31, a26
	s_nop 0
	v_cndmask_b32_e64 v8, 0, v8, s[0:1]
	v_cmp_lt_i32_e64 s[0:1], v31, v35
	v_accvgpr_read_b32 v31, a25
	s_nop 0
	v_cndmask_b32_e64 v9, 0, v9, s[0:1]
	v_cmp_lt_i32_e64 s[0:1], v31, v35
	v_accvgpr_read_b32 v31, a24
	s_nop 0
	v_cndmask_b32_e64 v28, 0, v28, s[0:1]
	v_cmp_lt_i32_e64 s[0:1], v31, v35
	v_accvgpr_read_b32 v31, a23
	s_nop 0
	v_cndmask_b32_e64 v30, 0, v30, s[0:1]
	v_cmp_lt_i32_e64 s[0:1], v31, v35
	v_accvgpr_read_b32 v31, a22
	s_nop 0
	v_cndmask_b32_e64 v29, 0, v29, s[0:1]
	v_cmp_lt_i32_e64 s[0:1], v31, v35
	v_accvgpr_read_b32 v31, a21
	s_nop 0
	v_cndmask_b32_e64 v27, 0, v27, s[0:1]
	v_cmp_lt_i32_e64 s[0:1], v31, v35
	s_nop 1
	v_cndmask_b32_e64 v3, 0, v3, s[0:1]
	v_cmp_lt_i32_e64 s[0:1], v10, v35
	s_nop 1
	v_cndmask_b32_e64 v2, 0, v2, s[0:1]
.LBB371_333:                            ;   in Loop: Header=BB371_267 Depth=1
	s_or_b64 exec, exec, s[6:7]
	v_and_b32_e32 v54, 0xffff0000, v25
	v_lshlrev_b32_e32 v8, 16, v8
	v_mul_f32_e32 v8, v54, v8
	v_and_b32_e32 v25, 0x7f800000, v8
	v_cmp_ne_u32_e64 s[0:1], s9, v25
                                        ; implicit-def: $agpr12
	s_and_saveexec_b64 s[6:7], s[0:1]
	s_xor_b64 s[0:1], exec, s[6:7]
; %bb.334:                              ;   in Loop: Header=BB371_267 Depth=1
	v_bfe_u32 v25, v8, 16, 1
	v_add3_u32 v8, v8, v25, s12
	v_accvgpr_write_b32 a12, v8
                                        ; implicit-def: $vgpr8
; %bb.335:                              ;   in Loop: Header=BB371_267 Depth=1
	s_andn2_saveexec_b64 s[6:7], s[0:1]
; %bb.336:                              ;   in Loop: Header=BB371_267 Depth=1
	v_or_b32_e32 v25, 0x10000, v8
	v_cmp_eq_u32_sdwa s[0:1], v8, v11 src0_sel:WORD_0 src1_sel:DWORD
	s_nop 1
	v_cndmask_b32_e64 v8, v25, v8, s[0:1]
	v_accvgpr_write_b32 a12, v8
; %bb.337:                              ;   in Loop: Header=BB371_267 Depth=1
	s_or_b64 exec, exec, s[6:7]
	v_and_b32_e32 v55, 0xffff0000, v24
	v_lshlrev_b32_e32 v8, 16, v9
	v_mul_f32_e32 v8, v55, v8
	v_and_b32_e32 v9, 0x7f800000, v8
	v_cmp_ne_u32_e64 s[0:1], s9, v9
                                        ; implicit-def: $agpr13
	s_and_saveexec_b64 s[6:7], s[0:1]
	s_xor_b64 s[0:1], exec, s[6:7]
; %bb.338:                              ;   in Loop: Header=BB371_267 Depth=1
	v_bfe_u32 v9, v8, 16, 1
	v_add3_u32 v8, v8, v9, s12
	v_accvgpr_write_b32 a13, v8
                                        ; implicit-def: $vgpr8
; %bb.339:                              ;   in Loop: Header=BB371_267 Depth=1
	s_andn2_saveexec_b64 s[6:7], s[0:1]
; %bb.340:                              ;   in Loop: Header=BB371_267 Depth=1
	v_or_b32_e32 v9, 0x10000, v8
	v_cmp_eq_u32_sdwa s[0:1], v8, v11 src0_sel:WORD_0 src1_sel:DWORD
	s_nop 1
	v_cndmask_b32_e64 v8, v9, v8, s[0:1]
	v_accvgpr_write_b32 a13, v8
; %bb.341:                              ;   in Loop: Header=BB371_267 Depth=1
	s_or_b64 exec, exec, s[6:7]
	v_and_b32_e32 v40, 0xffff0000, v23
	v_lshlrev_b32_e32 v8, 16, v28
	v_mul_f32_e32 v8, v40, v8
	v_and_b32_e32 v9, 0x7f800000, v8
	v_cmp_ne_u32_e64 s[0:1], s9, v9
                                        ; implicit-def: $agpr14
	s_and_saveexec_b64 s[6:7], s[0:1]
	s_xor_b64 s[0:1], exec, s[6:7]
; %bb.342:                              ;   in Loop: Header=BB371_267 Depth=1
	v_bfe_u32 v9, v8, 16, 1
	v_add3_u32 v8, v8, v9, s12
	v_accvgpr_write_b32 a14, v8
                                        ; implicit-def: $vgpr8
; %bb.343:                              ;   in Loop: Header=BB371_267 Depth=1
	s_andn2_saveexec_b64 s[6:7], s[0:1]
; %bb.344:                              ;   in Loop: Header=BB371_267 Depth=1
	v_or_b32_e32 v9, 0x10000, v8
	v_cmp_eq_u32_sdwa s[0:1], v8, v11 src0_sel:WORD_0 src1_sel:DWORD
	s_nop 1
	v_cndmask_b32_e64 v8, v9, v8, s[0:1]
	v_accvgpr_write_b32 a14, v8
; %bb.345:                              ;   in Loop: Header=BB371_267 Depth=1
	s_or_b64 exec, exec, s[6:7]
	v_and_b32_e32 v41, 0xffff0000, v22
	v_lshlrev_b32_e32 v8, 16, v30
	v_mul_f32_e32 v8, v41, v8
	v_and_b32_e32 v9, 0x7f800000, v8
	v_cmp_ne_u32_e64 s[0:1], s9, v9
                                        ; implicit-def: $agpr15
	s_and_saveexec_b64 s[6:7], s[0:1]
	s_xor_b64 s[0:1], exec, s[6:7]
; %bb.346:                              ;   in Loop: Header=BB371_267 Depth=1
	v_bfe_u32 v9, v8, 16, 1
	v_add3_u32 v8, v8, v9, s12
	v_accvgpr_write_b32 a15, v8
                                        ; implicit-def: $vgpr8
; %bb.347:                              ;   in Loop: Header=BB371_267 Depth=1
	s_andn2_saveexec_b64 s[6:7], s[0:1]
; %bb.348:                              ;   in Loop: Header=BB371_267 Depth=1
	v_or_b32_e32 v9, 0x10000, v8
	v_cmp_eq_u32_sdwa s[0:1], v8, v11 src0_sel:WORD_0 src1_sel:DWORD
	s_nop 1
	v_cndmask_b32_e64 v8, v9, v8, s[0:1]
	v_accvgpr_write_b32 a15, v8
; %bb.349:                              ;   in Loop: Header=BB371_267 Depth=1
	s_or_b64 exec, exec, s[6:7]
	v_and_b32_e32 v42, 0xffff0000, v7
	v_lshlrev_b32_e32 v7, 16, v29
	v_mul_f32_e32 v7, v42, v7
	v_and_b32_e32 v8, 0x7f800000, v7
	v_cmp_ne_u32_e64 s[0:1], s9, v8
                                        ; implicit-def: $agpr16
	s_and_saveexec_b64 s[6:7], s[0:1]
	s_xor_b64 s[0:1], exec, s[6:7]
; %bb.350:                              ;   in Loop: Header=BB371_267 Depth=1
	v_bfe_u32 v8, v7, 16, 1
	v_add3_u32 v7, v7, v8, s12
	v_accvgpr_write_b32 a16, v7
                                        ; implicit-def: $vgpr7
; %bb.351:                              ;   in Loop: Header=BB371_267 Depth=1
	s_andn2_saveexec_b64 s[6:7], s[0:1]
; %bb.352:                              ;   in Loop: Header=BB371_267 Depth=1
	v_or_b32_e32 v8, 0x10000, v7
	v_cmp_eq_u32_sdwa s[0:1], v7, v11 src0_sel:WORD_0 src1_sel:DWORD
	s_nop 1
	v_cndmask_b32_e64 v7, v8, v7, s[0:1]
	v_accvgpr_write_b32 a16, v7
; %bb.353:                              ;   in Loop: Header=BB371_267 Depth=1
	s_or_b64 exec, exec, s[6:7]
	v_and_b32_e32 v43, 0xffff0000, v6
	v_lshlrev_b32_e32 v6, 16, v27
	v_mul_f32_e32 v6, v43, v6
	v_and_b32_e32 v7, 0x7f800000, v6
	v_cmp_ne_u32_e64 s[0:1], s9, v7
                                        ; implicit-def: $agpr17
	s_and_saveexec_b64 s[6:7], s[0:1]
	s_xor_b64 s[0:1], exec, s[6:7]
; %bb.354:                              ;   in Loop: Header=BB371_267 Depth=1
	v_bfe_u32 v7, v6, 16, 1
	v_add3_u32 v6, v6, v7, s12
	v_accvgpr_write_b32 a17, v6
                                        ; implicit-def: $vgpr6
; %bb.355:                              ;   in Loop: Header=BB371_267 Depth=1
	s_andn2_saveexec_b64 s[6:7], s[0:1]
; %bb.356:                              ;   in Loop: Header=BB371_267 Depth=1
	v_or_b32_e32 v7, 0x10000, v6
	v_cmp_eq_u32_sdwa s[0:1], v6, v11 src0_sel:WORD_0 src1_sel:DWORD
	s_nop 1
	v_cndmask_b32_e64 v6, v7, v6, s[0:1]
	v_accvgpr_write_b32 a17, v6
; %bb.357:                              ;   in Loop: Header=BB371_267 Depth=1
	s_or_b64 exec, exec, s[6:7]
	v_and_b32_e32 v44, 0xffff0000, v5
	v_lshlrev_b32_e32 v3, 16, v3
	v_mul_f32_e32 v3, v44, v3
	v_and_b32_e32 v5, 0x7f800000, v3
	v_cmp_ne_u32_e64 s[0:1], s9, v5
                                        ; implicit-def: $agpr18
	s_and_saveexec_b64 s[6:7], s[0:1]
	s_xor_b64 s[0:1], exec, s[6:7]
; %bb.358:                              ;   in Loop: Header=BB371_267 Depth=1
	v_bfe_u32 v5, v3, 16, 1
	v_add3_u32 v3, v3, v5, s12
	v_accvgpr_write_b32 a18, v3
                                        ; implicit-def: $vgpr3
; %bb.359:                              ;   in Loop: Header=BB371_267 Depth=1
	s_andn2_saveexec_b64 s[6:7], s[0:1]
; %bb.360:                              ;   in Loop: Header=BB371_267 Depth=1
	v_or_b32_e32 v5, 0x10000, v3
	v_cmp_eq_u32_sdwa s[0:1], v3, v11 src0_sel:WORD_0 src1_sel:DWORD
	s_nop 1
	v_cndmask_b32_e64 v3, v5, v3, s[0:1]
	v_accvgpr_write_b32 a18, v3
; %bb.361:                              ;   in Loop: Header=BB371_267 Depth=1
	s_or_b64 exec, exec, s[6:7]
	v_and_b32_e32 v45, 0xffff0000, v4
	v_lshlrev_b32_e32 v2, 16, v2
	v_mul_f32_e32 v2, v45, v2
	v_and_b32_e32 v3, 0x7f800000, v2
	v_cmp_ne_u32_e64 s[0:1], s9, v3
                                        ; implicit-def: $agpr19
	s_and_saveexec_b64 s[6:7], s[0:1]
	s_xor_b64 s[0:1], exec, s[6:7]
; %bb.362:                              ;   in Loop: Header=BB371_267 Depth=1
	v_bfe_u32 v3, v2, 16, 1
	v_add3_u32 v2, v2, v3, s12
	v_accvgpr_write_b32 a19, v2
                                        ; implicit-def: $vgpr2
; %bb.363:                              ;   in Loop: Header=BB371_267 Depth=1
	s_andn2_saveexec_b64 s[6:7], s[0:1]
; %bb.364:                              ;   in Loop: Header=BB371_267 Depth=1
	v_or_b32_e32 v3, 0x10000, v2
	v_cmp_eq_u32_sdwa s[0:1], v2, v11 src0_sel:WORD_0 src1_sel:DWORD
	s_nop 1
	v_cndmask_b32_e64 v2, v3, v2, s[0:1]
	v_accvgpr_write_b32 a19, v2
; %bb.365:                              ;   in Loop: Header=BB371_267 Depth=1
	s_or_b64 exec, exec, s[6:7]
	flat_load_dwordx2 v[2:3], v[0:1] offset:512
	s_waitcnt vmcnt(0) lgkmcnt(0)
	v_and_b32_e32 v4, 0xff, v2
	v_cvt_f32_fp8_sdwa v4, v4 src0_sel:BYTE_0
	s_nop 0
	v_mul_f32_e32 v5, v26, v4
	v_and_b32_e32 v4, 0x7f800000, v5
	v_cmp_ne_u32_e64 s[0:1], s9, v4
                                        ; implicit-def: $vgpr4
	s_and_saveexec_b64 s[6:7], s[0:1]
	s_xor_b64 s[0:1], exec, s[6:7]
; %bb.366:                              ;   in Loop: Header=BB371_267 Depth=1
	v_bfe_u32 v4, v5, 16, 1
	v_add3_u32 v4, v5, v4, s12
                                        ; implicit-def: $vgpr5
; %bb.367:                              ;   in Loop: Header=BB371_267 Depth=1
	s_andn2_saveexec_b64 s[6:7], s[0:1]
; %bb.368:                              ;   in Loop: Header=BB371_267 Depth=1
	v_or_b32_e32 v4, 0x10000, v5
	v_cmp_eq_u32_sdwa s[0:1], v5, v11 src0_sel:WORD_0 src1_sel:DWORD
	s_nop 1
	v_cndmask_b32_e64 v4, v4, v5, s[0:1]
; %bb.369:                              ;   in Loop: Header=BB371_267 Depth=1
	s_or_b64 exec, exec, s[6:7]
	v_bfe_u32 v5, v2, 8, 8
	v_cvt_f32_fp8_sdwa v5, v5 src0_sel:BYTE_0
	s_nop 0
	v_mul_f32_e32 v6, v26, v5
	v_and_b32_e32 v5, 0x7f800000, v6
	v_cmp_ne_u32_e64 s[0:1], s9, v5
                                        ; implicit-def: $vgpr5
	s_and_saveexec_b64 s[6:7], s[0:1]
	s_xor_b64 s[0:1], exec, s[6:7]
; %bb.370:                              ;   in Loop: Header=BB371_267 Depth=1
	v_bfe_u32 v5, v6, 16, 1
	v_add3_u32 v5, v6, v5, s12
                                        ; implicit-def: $vgpr6
; %bb.371:                              ;   in Loop: Header=BB371_267 Depth=1
	s_andn2_saveexec_b64 s[6:7], s[0:1]
; %bb.372:                              ;   in Loop: Header=BB371_267 Depth=1
	v_or_b32_e32 v5, 0x10000, v6
	v_cmp_eq_u32_sdwa s[0:1], v6, v11 src0_sel:WORD_0 src1_sel:DWORD
	s_nop 1
	v_cndmask_b32_e64 v5, v5, v6, s[0:1]
; %bb.373:                              ;   in Loop: Header=BB371_267 Depth=1
	s_or_b64 exec, exec, s[6:7]
	v_bfe_u32 v6, v2, 16, 8
	v_cvt_f32_fp8_sdwa v6, v6 src0_sel:BYTE_0
	s_nop 0
	v_mul_f32_e32 v6, v26, v6
	v_and_b32_e32 v7, 0x7f800000, v6
	v_cmp_ne_u32_e64 s[0:1], s9, v7
                                        ; implicit-def: $vgpr7
	s_and_saveexec_b64 s[6:7], s[0:1]
	s_xor_b64 s[0:1], exec, s[6:7]
; %bb.374:                              ;   in Loop: Header=BB371_267 Depth=1
	v_bfe_u32 v7, v6, 16, 1
	v_add3_u32 v7, v6, v7, s12
                                        ; implicit-def: $vgpr6
; %bb.375:                              ;   in Loop: Header=BB371_267 Depth=1
	s_andn2_saveexec_b64 s[6:7], s[0:1]
; %bb.376:                              ;   in Loop: Header=BB371_267 Depth=1
	v_or_b32_e32 v7, 0x10000, v6
	v_cmp_eq_u32_sdwa s[0:1], v6, v11 src0_sel:WORD_0 src1_sel:DWORD
	s_nop 1
	v_cndmask_b32_e64 v7, v7, v6, s[0:1]
; %bb.377:                              ;   in Loop: Header=BB371_267 Depth=1
	s_or_b64 exec, exec, s[6:7]
	v_lshrrev_b32_e32 v2, 24, v2
	v_cvt_f32_fp8_sdwa v2, v2 src0_sel:BYTE_0
	s_nop 0
	v_mul_f32_e32 v6, v26, v2
	v_and_b32_e32 v2, 0x7f800000, v6
	v_cmp_ne_u32_e64 s[0:1], s9, v2
                                        ; implicit-def: $vgpr2
	s_and_saveexec_b64 s[6:7], s[0:1]
	s_xor_b64 s[0:1], exec, s[6:7]
; %bb.378:                              ;   in Loop: Header=BB371_267 Depth=1
	v_bfe_u32 v2, v6, 16, 1
	v_add3_u32 v2, v6, v2, s12
                                        ; implicit-def: $vgpr6
; %bb.379:                              ;   in Loop: Header=BB371_267 Depth=1
	s_andn2_saveexec_b64 s[6:7], s[0:1]
; %bb.380:                              ;   in Loop: Header=BB371_267 Depth=1
	v_or_b32_e32 v2, 0x10000, v6
	v_cmp_eq_u32_sdwa s[0:1], v6, v11 src0_sel:WORD_0 src1_sel:DWORD
	s_nop 1
	v_cndmask_b32_e64 v2, v2, v6, s[0:1]
; %bb.381:                              ;   in Loop: Header=BB371_267 Depth=1
	s_or_b64 exec, exec, s[6:7]
	v_and_b32_e32 v6, 0xff, v3
	v_cvt_f32_fp8_sdwa v6, v6 src0_sel:BYTE_0
	s_nop 0
	v_mul_f32_e32 v6, v26, v6
	v_and_b32_e32 v8, 0x7f800000, v6
	v_cmp_ne_u32_e64 s[0:1], s9, v8
                                        ; implicit-def: $vgpr8
	s_and_saveexec_b64 s[6:7], s[0:1]
	s_xor_b64 s[0:1], exec, s[6:7]
; %bb.382:                              ;   in Loop: Header=BB371_267 Depth=1
	v_bfe_u32 v8, v6, 16, 1
	v_add3_u32 v8, v6, v8, s12
                                        ; implicit-def: $vgpr6
; %bb.383:                              ;   in Loop: Header=BB371_267 Depth=1
	s_andn2_saveexec_b64 s[6:7], s[0:1]
; %bb.384:                              ;   in Loop: Header=BB371_267 Depth=1
	v_or_b32_e32 v8, 0x10000, v6
	v_cmp_eq_u32_sdwa s[0:1], v6, v11 src0_sel:WORD_0 src1_sel:DWORD
	s_nop 1
	v_cndmask_b32_e64 v8, v8, v6, s[0:1]
; %bb.385:                              ;   in Loop: Header=BB371_267 Depth=1
	s_or_b64 exec, exec, s[6:7]
	v_bfe_u32 v6, v3, 8, 8
	v_cvt_f32_fp8_sdwa v6, v6 src0_sel:BYTE_0
	s_nop 0
	v_mul_f32_e32 v9, v26, v6
	v_and_b32_e32 v6, 0x7f800000, v9
	v_cmp_ne_u32_e64 s[0:1], s9, v6
                                        ; implicit-def: $vgpr6
	s_and_saveexec_b64 s[6:7], s[0:1]
	s_xor_b64 s[0:1], exec, s[6:7]
; %bb.386:                              ;   in Loop: Header=BB371_267 Depth=1
	v_bfe_u32 v6, v9, 16, 1
	v_add3_u32 v6, v9, v6, s12
                                        ; implicit-def: $vgpr9
; %bb.387:                              ;   in Loop: Header=BB371_267 Depth=1
	s_andn2_saveexec_b64 s[6:7], s[0:1]
; %bb.388:                              ;   in Loop: Header=BB371_267 Depth=1
	v_or_b32_e32 v6, 0x10000, v9
	v_cmp_eq_u32_sdwa s[0:1], v9, v11 src0_sel:WORD_0 src1_sel:DWORD
	s_nop 1
	v_cndmask_b32_e64 v6, v6, v9, s[0:1]
; %bb.389:                              ;   in Loop: Header=BB371_267 Depth=1
	s_or_b64 exec, exec, s[6:7]
	v_bfe_u32 v9, v3, 16, 8
	v_cvt_f32_fp8_sdwa v9, v9 src0_sel:BYTE_0
	s_nop 0
	v_mul_f32_e32 v9, v26, v9
	v_and_b32_e32 v22, 0x7f800000, v9
	v_cmp_ne_u32_e64 s[0:1], s9, v22
                                        ; implicit-def: $vgpr22
	s_and_saveexec_b64 s[6:7], s[0:1]
	s_xor_b64 s[0:1], exec, s[6:7]
; %bb.390:                              ;   in Loop: Header=BB371_267 Depth=1
	v_bfe_u32 v22, v9, 16, 1
	v_add3_u32 v22, v9, v22, s12
                                        ; implicit-def: $vgpr9
; %bb.391:                              ;   in Loop: Header=BB371_267 Depth=1
	s_andn2_saveexec_b64 s[6:7], s[0:1]
; %bb.392:                              ;   in Loop: Header=BB371_267 Depth=1
	v_or_b32_e32 v22, 0x10000, v9
	v_cmp_eq_u32_sdwa s[0:1], v9, v11 src0_sel:WORD_0 src1_sel:DWORD
	s_nop 1
	v_cndmask_b32_e64 v22, v22, v9, s[0:1]
; %bb.393:                              ;   in Loop: Header=BB371_267 Depth=1
	s_or_b64 exec, exec, s[6:7]
	v_lshrrev_b32_e32 v3, 24, v3
	v_cvt_f32_fp8_sdwa v3, v3 src0_sel:BYTE_0
                                        ; implicit-def: $vgpr23
	s_nop 0
	v_mul_f32_e32 v3, v26, v3
	v_and_b32_e32 v9, 0x7f800000, v3
	v_cmp_ne_u32_e64 s[0:1], s9, v9
	s_and_saveexec_b64 s[6:7], s[0:1]
	s_xor_b64 s[0:1], exec, s[6:7]
; %bb.394:                              ;   in Loop: Header=BB371_267 Depth=1
	v_bfe_u32 v9, v3, 16, 1
	v_add3_u32 v23, v3, v9, s12
                                        ; implicit-def: $vgpr3
; %bb.395:                              ;   in Loop: Header=BB371_267 Depth=1
	s_andn2_saveexec_b64 s[6:7], s[0:1]
; %bb.396:                              ;   in Loop: Header=BB371_267 Depth=1
	v_or_b32_e32 v9, 0x10000, v3
	v_cmp_eq_u32_sdwa s[0:1], v3, v11 src0_sel:WORD_0 src1_sel:DWORD
	s_nop 1
	v_cndmask_b32_e64 v23, v9, v3, s[0:1]
; %bb.397:                              ;   in Loop: Header=BB371_267 Depth=1
	s_or_b64 exec, exec, s[6:7]
	v_lshrrev_b32_e32 v6, 16, v6
	v_lshrrev_b32_e32 v8, 16, v8
	;; [unrolled: 1-line block ×8, first 2 shown]
	s_and_saveexec_b64 s[6:7], vcc
	s_cbranch_execz .LBB371_399
; %bb.398:                              ;   in Loop: Header=BB371_267 Depth=1
	v_accvgpr_read_b32 v22, a20
	v_cmp_lt_i32_e64 s[0:1], v22, v35
	v_accvgpr_read_b32 v22, a26
	s_nop 0
	v_cndmask_b32_e64 v4, 0, v4, s[0:1]
	v_cmp_lt_i32_e64 s[0:1], v22, v35
	v_accvgpr_read_b32 v22, a25
	s_nop 0
	v_cndmask_b32_e64 v5, 0, v5, s[0:1]
	;; [unrolled: 4-line block ×6, first 2 shown]
	v_cmp_lt_i32_e64 s[0:1], v22, v35
	s_nop 1
	v_cndmask_b32_e64 v3, 0, v3, s[0:1]
	v_cmp_lt_i32_e64 s[0:1], v10, v35
	s_nop 1
	v_cndmask_b32_e64 v2, 0, v2, s[0:1]
.LBB371_399:                            ;   in Loop: Header=BB371_267 Depth=1
	s_or_b64 exec, exec, s[6:7]
	v_lshlrev_b32_e32 v4, 16, v4
	v_mul_f32_e32 v4, v54, v4
	v_and_b32_e32 v22, 0x7f800000, v4
	v_cmp_ne_u32_e64 s[0:1], s9, v22
                                        ; implicit-def: $agpr27
	s_and_saveexec_b64 s[6:7], s[0:1]
	s_xor_b64 s[0:1], exec, s[6:7]
; %bb.400:                              ;   in Loop: Header=BB371_267 Depth=1
	v_bfe_u32 v22, v4, 16, 1
	v_add3_u32 v4, v4, v22, s12
	v_accvgpr_write_b32 a27, v4
                                        ; implicit-def: $vgpr4
; %bb.401:                              ;   in Loop: Header=BB371_267 Depth=1
	s_andn2_saveexec_b64 s[6:7], s[0:1]
; %bb.402:                              ;   in Loop: Header=BB371_267 Depth=1
	v_or_b32_e32 v22, 0x10000, v4
	v_cmp_eq_u32_sdwa s[0:1], v4, v11 src0_sel:WORD_0 src1_sel:DWORD
	s_nop 1
	v_cndmask_b32_e64 v4, v22, v4, s[0:1]
	v_accvgpr_write_b32 a27, v4
; %bb.403:                              ;   in Loop: Header=BB371_267 Depth=1
	s_or_b64 exec, exec, s[6:7]
	v_lshlrev_b32_e32 v4, 16, v5
	v_mul_f32_e32 v4, v55, v4
	v_and_b32_e32 v5, 0x7f800000, v4
	v_cmp_ne_u32_e64 s[0:1], s9, v5
                                        ; implicit-def: $agpr28
	s_and_saveexec_b64 s[6:7], s[0:1]
	s_xor_b64 s[0:1], exec, s[6:7]
; %bb.404:                              ;   in Loop: Header=BB371_267 Depth=1
	v_bfe_u32 v5, v4, 16, 1
	v_add3_u32 v4, v4, v5, s12
	v_accvgpr_write_b32 a28, v4
                                        ; implicit-def: $vgpr4
; %bb.405:                              ;   in Loop: Header=BB371_267 Depth=1
	s_andn2_saveexec_b64 s[6:7], s[0:1]
; %bb.406:                              ;   in Loop: Header=BB371_267 Depth=1
	v_or_b32_e32 v5, 0x10000, v4
	v_cmp_eq_u32_sdwa s[0:1], v4, v11 src0_sel:WORD_0 src1_sel:DWORD
	s_nop 1
	v_cndmask_b32_e64 v4, v5, v4, s[0:1]
	v_accvgpr_write_b32 a28, v4
; %bb.407:                              ;   in Loop: Header=BB371_267 Depth=1
	s_or_b64 exec, exec, s[6:7]
	v_lshlrev_b32_e32 v4, 16, v7
	v_mul_f32_e32 v4, v40, v4
	v_and_b32_e32 v5, 0x7f800000, v4
	v_cmp_ne_u32_e64 s[0:1], s9, v5
                                        ; implicit-def: $agpr29
	s_and_saveexec_b64 s[6:7], s[0:1]
	s_xor_b64 s[0:1], exec, s[6:7]
; %bb.408:                              ;   in Loop: Header=BB371_267 Depth=1
	v_bfe_u32 v5, v4, 16, 1
	v_add3_u32 v4, v4, v5, s12
	v_accvgpr_write_b32 a29, v4
                                        ; implicit-def: $vgpr4
; %bb.409:                              ;   in Loop: Header=BB371_267 Depth=1
	s_andn2_saveexec_b64 s[6:7], s[0:1]
; %bb.410:                              ;   in Loop: Header=BB371_267 Depth=1
	v_or_b32_e32 v5, 0x10000, v4
	v_cmp_eq_u32_sdwa s[0:1], v4, v11 src0_sel:WORD_0 src1_sel:DWORD
	s_nop 1
	v_cndmask_b32_e64 v4, v5, v4, s[0:1]
	v_accvgpr_write_b32 a29, v4
; %bb.411:                              ;   in Loop: Header=BB371_267 Depth=1
	s_or_b64 exec, exec, s[6:7]
	v_lshlrev_b32_e32 v4, 16, v9
	v_mul_f32_e32 v4, v41, v4
	v_and_b32_e32 v5, 0x7f800000, v4
	v_cmp_ne_u32_e64 s[0:1], s9, v5
                                        ; implicit-def: $agpr30
	s_and_saveexec_b64 s[6:7], s[0:1]
	s_xor_b64 s[0:1], exec, s[6:7]
; %bb.412:                              ;   in Loop: Header=BB371_267 Depth=1
	v_bfe_u32 v5, v4, 16, 1
	v_add3_u32 v4, v4, v5, s12
	v_accvgpr_write_b32 a30, v4
                                        ; implicit-def: $vgpr4
; %bb.413:                              ;   in Loop: Header=BB371_267 Depth=1
	s_andn2_saveexec_b64 s[6:7], s[0:1]
; %bb.414:                              ;   in Loop: Header=BB371_267 Depth=1
	v_or_b32_e32 v5, 0x10000, v4
	v_cmp_eq_u32_sdwa s[0:1], v4, v11 src0_sel:WORD_0 src1_sel:DWORD
	s_nop 1
	v_cndmask_b32_e64 v4, v5, v4, s[0:1]
	v_accvgpr_write_b32 a30, v4
; %bb.415:                              ;   in Loop: Header=BB371_267 Depth=1
	s_or_b64 exec, exec, s[6:7]
	v_lshlrev_b32_e32 v4, 16, v8
	v_mul_f32_e32 v4, v42, v4
	v_and_b32_e32 v5, 0x7f800000, v4
	v_cmp_ne_u32_e64 s[0:1], s9, v5
                                        ; implicit-def: $agpr31
	s_and_saveexec_b64 s[6:7], s[0:1]
	s_xor_b64 s[0:1], exec, s[6:7]
; %bb.416:                              ;   in Loop: Header=BB371_267 Depth=1
	v_bfe_u32 v5, v4, 16, 1
	v_add3_u32 v4, v4, v5, s12
	v_accvgpr_write_b32 a31, v4
                                        ; implicit-def: $vgpr4
; %bb.417:                              ;   in Loop: Header=BB371_267 Depth=1
	s_andn2_saveexec_b64 s[6:7], s[0:1]
; %bb.418:                              ;   in Loop: Header=BB371_267 Depth=1
	v_or_b32_e32 v5, 0x10000, v4
	v_cmp_eq_u32_sdwa s[0:1], v4, v11 src0_sel:WORD_0 src1_sel:DWORD
	s_nop 1
	v_cndmask_b32_e64 v4, v5, v4, s[0:1]
	v_accvgpr_write_b32 a31, v4
; %bb.419:                              ;   in Loop: Header=BB371_267 Depth=1
	s_or_b64 exec, exec, s[6:7]
	v_lshlrev_b32_e32 v4, 16, v6
	v_mul_f32_e32 v4, v43, v4
	v_and_b32_e32 v5, 0x7f800000, v4
	v_cmp_ne_u32_e64 s[0:1], s9, v5
                                        ; implicit-def: $agpr32
	s_and_saveexec_b64 s[6:7], s[0:1]
	s_xor_b64 s[0:1], exec, s[6:7]
; %bb.420:                              ;   in Loop: Header=BB371_267 Depth=1
	v_bfe_u32 v5, v4, 16, 1
	v_add3_u32 v4, v4, v5, s12
	v_accvgpr_write_b32 a32, v4
                                        ; implicit-def: $vgpr4
; %bb.421:                              ;   in Loop: Header=BB371_267 Depth=1
	s_andn2_saveexec_b64 s[6:7], s[0:1]
; %bb.422:                              ;   in Loop: Header=BB371_267 Depth=1
	v_or_b32_e32 v5, 0x10000, v4
	v_cmp_eq_u32_sdwa s[0:1], v4, v11 src0_sel:WORD_0 src1_sel:DWORD
	s_nop 1
	v_cndmask_b32_e64 v4, v5, v4, s[0:1]
	v_accvgpr_write_b32 a32, v4
; %bb.423:                              ;   in Loop: Header=BB371_267 Depth=1
	s_or_b64 exec, exec, s[6:7]
	v_lshlrev_b32_e32 v3, 16, v3
	v_mul_f32_e32 v3, v44, v3
	v_and_b32_e32 v4, 0x7f800000, v3
	v_cmp_ne_u32_e64 s[0:1], s9, v4
                                        ; implicit-def: $agpr33
	s_and_saveexec_b64 s[6:7], s[0:1]
	s_xor_b64 s[0:1], exec, s[6:7]
; %bb.424:                              ;   in Loop: Header=BB371_267 Depth=1
	v_bfe_u32 v4, v3, 16, 1
	v_add3_u32 v3, v3, v4, s12
	v_accvgpr_write_b32 a33, v3
                                        ; implicit-def: $vgpr3
; %bb.425:                              ;   in Loop: Header=BB371_267 Depth=1
	s_andn2_saveexec_b64 s[6:7], s[0:1]
; %bb.426:                              ;   in Loop: Header=BB371_267 Depth=1
	v_or_b32_e32 v4, 0x10000, v3
	v_cmp_eq_u32_sdwa s[0:1], v3, v11 src0_sel:WORD_0 src1_sel:DWORD
	s_nop 1
	v_cndmask_b32_e64 v3, v4, v3, s[0:1]
	v_accvgpr_write_b32 a33, v3
; %bb.427:                              ;   in Loop: Header=BB371_267 Depth=1
	s_or_b64 exec, exec, s[6:7]
	v_lshlrev_b32_e32 v2, 16, v2
	v_mul_f32_e32 v2, v45, v2
	v_and_b32_e32 v3, 0x7f800000, v2
	v_cmp_ne_u32_e64 s[0:1], s9, v3
                                        ; implicit-def: $agpr34
	s_and_saveexec_b64 s[6:7], s[0:1]
	s_xor_b64 s[0:1], exec, s[6:7]
; %bb.428:                              ;   in Loop: Header=BB371_267 Depth=1
	v_bfe_u32 v3, v2, 16, 1
	v_add3_u32 v2, v2, v3, s12
	v_accvgpr_write_b32 a34, v2
                                        ; implicit-def: $vgpr2
; %bb.429:                              ;   in Loop: Header=BB371_267 Depth=1
	s_andn2_saveexec_b64 s[6:7], s[0:1]
; %bb.430:                              ;   in Loop: Header=BB371_267 Depth=1
	v_or_b32_e32 v3, 0x10000, v2
	v_cmp_eq_u32_sdwa s[0:1], v2, v11 src0_sel:WORD_0 src1_sel:DWORD
	s_nop 1
	v_cndmask_b32_e64 v2, v3, v2, s[0:1]
	v_accvgpr_write_b32 a34, v2
; %bb.431:                              ;   in Loop: Header=BB371_267 Depth=1
	s_or_b64 exec, exec, s[6:7]
	flat_load_dwordx2 v[2:3], v[0:1] offset:1024
	s_waitcnt vmcnt(0) lgkmcnt(0)
	v_and_b32_e32 v4, 0xff, v2
	v_cvt_f32_fp8_sdwa v4, v4 src0_sel:BYTE_0
	s_nop 0
	v_mul_f32_e32 v5, v26, v4
	v_and_b32_e32 v4, 0x7f800000, v5
	v_cmp_ne_u32_e64 s[0:1], s9, v4
                                        ; implicit-def: $vgpr4
	s_and_saveexec_b64 s[6:7], s[0:1]
	s_xor_b64 s[0:1], exec, s[6:7]
; %bb.432:                              ;   in Loop: Header=BB371_267 Depth=1
	v_bfe_u32 v4, v5, 16, 1
	v_add3_u32 v4, v5, v4, s12
                                        ; implicit-def: $vgpr5
; %bb.433:                              ;   in Loop: Header=BB371_267 Depth=1
	s_andn2_saveexec_b64 s[6:7], s[0:1]
; %bb.434:                              ;   in Loop: Header=BB371_267 Depth=1
	v_or_b32_e32 v4, 0x10000, v5
	v_cmp_eq_u32_sdwa s[0:1], v5, v11 src0_sel:WORD_0 src1_sel:DWORD
	s_nop 1
	v_cndmask_b32_e64 v4, v4, v5, s[0:1]
; %bb.435:                              ;   in Loop: Header=BB371_267 Depth=1
	s_or_b64 exec, exec, s[6:7]
	v_bfe_u32 v5, v2, 8, 8
	v_cvt_f32_fp8_sdwa v5, v5 src0_sel:BYTE_0
	s_nop 0
	v_mul_f32_e32 v6, v26, v5
	v_and_b32_e32 v5, 0x7f800000, v6
	v_cmp_ne_u32_e64 s[0:1], s9, v5
                                        ; implicit-def: $vgpr5
	s_and_saveexec_b64 s[6:7], s[0:1]
	s_xor_b64 s[0:1], exec, s[6:7]
; %bb.436:                              ;   in Loop: Header=BB371_267 Depth=1
	v_bfe_u32 v5, v6, 16, 1
	v_add3_u32 v5, v6, v5, s12
                                        ; implicit-def: $vgpr6
; %bb.437:                              ;   in Loop: Header=BB371_267 Depth=1
	s_andn2_saveexec_b64 s[6:7], s[0:1]
; %bb.438:                              ;   in Loop: Header=BB371_267 Depth=1
	v_or_b32_e32 v5, 0x10000, v6
	v_cmp_eq_u32_sdwa s[0:1], v6, v11 src0_sel:WORD_0 src1_sel:DWORD
	s_nop 1
	v_cndmask_b32_e64 v5, v5, v6, s[0:1]
; %bb.439:                              ;   in Loop: Header=BB371_267 Depth=1
	s_or_b64 exec, exec, s[6:7]
	v_bfe_u32 v6, v2, 16, 8
	v_cvt_f32_fp8_sdwa v6, v6 src0_sel:BYTE_0
	s_nop 0
	v_mul_f32_e32 v6, v26, v6
	v_and_b32_e32 v7, 0x7f800000, v6
	v_cmp_ne_u32_e64 s[0:1], s9, v7
                                        ; implicit-def: $vgpr7
	s_and_saveexec_b64 s[6:7], s[0:1]
	s_xor_b64 s[0:1], exec, s[6:7]
; %bb.440:                              ;   in Loop: Header=BB371_267 Depth=1
	v_bfe_u32 v7, v6, 16, 1
	v_add3_u32 v7, v6, v7, s12
                                        ; implicit-def: $vgpr6
; %bb.441:                              ;   in Loop: Header=BB371_267 Depth=1
	s_andn2_saveexec_b64 s[6:7], s[0:1]
; %bb.442:                              ;   in Loop: Header=BB371_267 Depth=1
	v_or_b32_e32 v7, 0x10000, v6
	v_cmp_eq_u32_sdwa s[0:1], v6, v11 src0_sel:WORD_0 src1_sel:DWORD
	s_nop 1
	v_cndmask_b32_e64 v7, v7, v6, s[0:1]
; %bb.443:                              ;   in Loop: Header=BB371_267 Depth=1
	s_or_b64 exec, exec, s[6:7]
	v_lshrrev_b32_e32 v2, 24, v2
	v_cvt_f32_fp8_sdwa v2, v2 src0_sel:BYTE_0
	s_nop 0
	v_mul_f32_e32 v6, v26, v2
	v_and_b32_e32 v2, 0x7f800000, v6
	v_cmp_ne_u32_e64 s[0:1], s9, v2
                                        ; implicit-def: $vgpr2
	s_and_saveexec_b64 s[6:7], s[0:1]
	s_xor_b64 s[0:1], exec, s[6:7]
; %bb.444:                              ;   in Loop: Header=BB371_267 Depth=1
	v_bfe_u32 v2, v6, 16, 1
	v_add3_u32 v2, v6, v2, s12
                                        ; implicit-def: $vgpr6
; %bb.445:                              ;   in Loop: Header=BB371_267 Depth=1
	s_andn2_saveexec_b64 s[6:7], s[0:1]
; %bb.446:                              ;   in Loop: Header=BB371_267 Depth=1
	v_or_b32_e32 v2, 0x10000, v6
	v_cmp_eq_u32_sdwa s[0:1], v6, v11 src0_sel:WORD_0 src1_sel:DWORD
	s_nop 1
	v_cndmask_b32_e64 v2, v2, v6, s[0:1]
; %bb.447:                              ;   in Loop: Header=BB371_267 Depth=1
	s_or_b64 exec, exec, s[6:7]
	v_and_b32_e32 v6, 0xff, v3
	v_cvt_f32_fp8_sdwa v6, v6 src0_sel:BYTE_0
	s_nop 0
	v_mul_f32_e32 v6, v26, v6
	v_and_b32_e32 v8, 0x7f800000, v6
	v_cmp_ne_u32_e64 s[0:1], s9, v8
                                        ; implicit-def: $vgpr8
	s_and_saveexec_b64 s[6:7], s[0:1]
	s_xor_b64 s[0:1], exec, s[6:7]
; %bb.448:                              ;   in Loop: Header=BB371_267 Depth=1
	v_bfe_u32 v8, v6, 16, 1
	v_add3_u32 v8, v6, v8, s12
                                        ; implicit-def: $vgpr6
; %bb.449:                              ;   in Loop: Header=BB371_267 Depth=1
	s_andn2_saveexec_b64 s[6:7], s[0:1]
; %bb.450:                              ;   in Loop: Header=BB371_267 Depth=1
	v_or_b32_e32 v8, 0x10000, v6
	v_cmp_eq_u32_sdwa s[0:1], v6, v11 src0_sel:WORD_0 src1_sel:DWORD
	s_nop 1
	v_cndmask_b32_e64 v8, v8, v6, s[0:1]
; %bb.451:                              ;   in Loop: Header=BB371_267 Depth=1
	s_or_b64 exec, exec, s[6:7]
	v_bfe_u32 v6, v3, 8, 8
	v_cvt_f32_fp8_sdwa v6, v6 src0_sel:BYTE_0
	s_nop 0
	v_mul_f32_e32 v9, v26, v6
	v_and_b32_e32 v6, 0x7f800000, v9
	v_cmp_ne_u32_e64 s[0:1], s9, v6
                                        ; implicit-def: $vgpr6
	s_and_saveexec_b64 s[6:7], s[0:1]
	s_xor_b64 s[0:1], exec, s[6:7]
; %bb.452:                              ;   in Loop: Header=BB371_267 Depth=1
	v_bfe_u32 v6, v9, 16, 1
	v_add3_u32 v6, v9, v6, s12
                                        ; implicit-def: $vgpr9
; %bb.453:                              ;   in Loop: Header=BB371_267 Depth=1
	s_andn2_saveexec_b64 s[6:7], s[0:1]
; %bb.454:                              ;   in Loop: Header=BB371_267 Depth=1
	v_or_b32_e32 v6, 0x10000, v9
	v_cmp_eq_u32_sdwa s[0:1], v9, v11 src0_sel:WORD_0 src1_sel:DWORD
	s_nop 1
	v_cndmask_b32_e64 v6, v6, v9, s[0:1]
; %bb.455:                              ;   in Loop: Header=BB371_267 Depth=1
	s_or_b64 exec, exec, s[6:7]
	v_bfe_u32 v9, v3, 16, 8
	v_cvt_f32_fp8_sdwa v9, v9 src0_sel:BYTE_0
	s_nop 0
	v_mul_f32_e32 v9, v26, v9
	v_and_b32_e32 v22, 0x7f800000, v9
	v_cmp_ne_u32_e64 s[0:1], s9, v22
                                        ; implicit-def: $vgpr22
	s_and_saveexec_b64 s[6:7], s[0:1]
	s_xor_b64 s[0:1], exec, s[6:7]
; %bb.456:                              ;   in Loop: Header=BB371_267 Depth=1
	v_bfe_u32 v22, v9, 16, 1
	v_add3_u32 v22, v9, v22, s12
                                        ; implicit-def: $vgpr9
; %bb.457:                              ;   in Loop: Header=BB371_267 Depth=1
	s_andn2_saveexec_b64 s[6:7], s[0:1]
; %bb.458:                              ;   in Loop: Header=BB371_267 Depth=1
	v_or_b32_e32 v22, 0x10000, v9
	v_cmp_eq_u32_sdwa s[0:1], v9, v11 src0_sel:WORD_0 src1_sel:DWORD
	s_nop 1
	v_cndmask_b32_e64 v22, v22, v9, s[0:1]
; %bb.459:                              ;   in Loop: Header=BB371_267 Depth=1
	s_or_b64 exec, exec, s[6:7]
	v_lshrrev_b32_e32 v3, 24, v3
	v_cvt_f32_fp8_sdwa v3, v3 src0_sel:BYTE_0
                                        ; implicit-def: $vgpr23
	s_nop 0
	v_mul_f32_e32 v3, v26, v3
	v_and_b32_e32 v9, 0x7f800000, v3
	v_cmp_ne_u32_e64 s[0:1], s9, v9
	s_and_saveexec_b64 s[6:7], s[0:1]
	s_xor_b64 s[0:1], exec, s[6:7]
; %bb.460:                              ;   in Loop: Header=BB371_267 Depth=1
	v_bfe_u32 v9, v3, 16, 1
	v_add3_u32 v23, v3, v9, s12
                                        ; implicit-def: $vgpr3
; %bb.461:                              ;   in Loop: Header=BB371_267 Depth=1
	s_andn2_saveexec_b64 s[6:7], s[0:1]
; %bb.462:                              ;   in Loop: Header=BB371_267 Depth=1
	v_or_b32_e32 v9, 0x10000, v3
	v_cmp_eq_u32_sdwa s[0:1], v3, v11 src0_sel:WORD_0 src1_sel:DWORD
	s_nop 1
	v_cndmask_b32_e64 v23, v9, v3, s[0:1]
; %bb.463:                              ;   in Loop: Header=BB371_267 Depth=1
	s_or_b64 exec, exec, s[6:7]
	v_lshrrev_b32_e32 v6, 16, v6
	v_lshrrev_b32_e32 v8, 16, v8
	;; [unrolled: 1-line block ×8, first 2 shown]
	s_and_saveexec_b64 s[6:7], vcc
	s_cbranch_execz .LBB371_465
; %bb.464:                              ;   in Loop: Header=BB371_267 Depth=1
	v_accvgpr_read_b32 v22, a20
	v_cmp_lt_i32_e64 s[0:1], v22, v35
	v_accvgpr_read_b32 v22, a26
	s_nop 0
	v_cndmask_b32_e64 v4, 0, v4, s[0:1]
	v_cmp_lt_i32_e64 s[0:1], v22, v35
	v_accvgpr_read_b32 v22, a25
	s_nop 0
	v_cndmask_b32_e64 v5, 0, v5, s[0:1]
	;; [unrolled: 4-line block ×6, first 2 shown]
	v_cmp_lt_i32_e64 s[0:1], v22, v35
	s_nop 1
	v_cndmask_b32_e64 v3, 0, v3, s[0:1]
	v_cmp_lt_i32_e64 s[0:1], v10, v35
	s_nop 1
	v_cndmask_b32_e64 v2, 0, v2, s[0:1]
.LBB371_465:                            ;   in Loop: Header=BB371_267 Depth=1
	s_or_b64 exec, exec, s[6:7]
	v_lshlrev_b32_e32 v4, 16, v4
	v_mul_f32_e32 v4, v54, v4
	v_and_b32_e32 v22, 0x7f800000, v4
	v_cmp_ne_u32_e64 s[0:1], s9, v22
                                        ; implicit-def: $agpr35
	s_and_saveexec_b64 s[6:7], s[0:1]
	s_xor_b64 s[0:1], exec, s[6:7]
; %bb.466:                              ;   in Loop: Header=BB371_267 Depth=1
	v_bfe_u32 v22, v4, 16, 1
	v_add3_u32 v4, v4, v22, s12
	v_accvgpr_write_b32 a35, v4
                                        ; implicit-def: $vgpr4
; %bb.467:                              ;   in Loop: Header=BB371_267 Depth=1
	s_andn2_saveexec_b64 s[6:7], s[0:1]
; %bb.468:                              ;   in Loop: Header=BB371_267 Depth=1
	v_or_b32_e32 v22, 0x10000, v4
	v_cmp_eq_u32_sdwa s[0:1], v4, v11 src0_sel:WORD_0 src1_sel:DWORD
	s_nop 1
	v_cndmask_b32_e64 v4, v22, v4, s[0:1]
	v_accvgpr_write_b32 a35, v4
; %bb.469:                              ;   in Loop: Header=BB371_267 Depth=1
	s_or_b64 exec, exec, s[6:7]
	v_lshlrev_b32_e32 v4, 16, v5
	v_mul_f32_e32 v4, v55, v4
	v_and_b32_e32 v5, 0x7f800000, v4
	v_cmp_ne_u32_e64 s[0:1], s9, v5
                                        ; implicit-def: $vgpr63
	s_and_saveexec_b64 s[6:7], s[0:1]
	s_xor_b64 s[0:1], exec, s[6:7]
; %bb.470:                              ;   in Loop: Header=BB371_267 Depth=1
	v_bfe_u32 v5, v4, 16, 1
	v_add3_u32 v63, v4, v5, s12
                                        ; implicit-def: $vgpr4
; %bb.471:                              ;   in Loop: Header=BB371_267 Depth=1
	s_andn2_saveexec_b64 s[6:7], s[0:1]
; %bb.472:                              ;   in Loop: Header=BB371_267 Depth=1
	v_or_b32_e32 v5, 0x10000, v4
	v_cmp_eq_u32_sdwa s[0:1], v4, v11 src0_sel:WORD_0 src1_sel:DWORD
	s_nop 1
	v_cndmask_b32_e64 v63, v5, v4, s[0:1]
; %bb.473:                              ;   in Loop: Header=BB371_267 Depth=1
	s_or_b64 exec, exec, s[6:7]
	v_lshlrev_b32_e32 v4, 16, v7
	v_mul_f32_e32 v4, v40, v4
	v_and_b32_e32 v5, 0x7f800000, v4
	v_cmp_ne_u32_e64 s[0:1], s9, v5
                                        ; implicit-def: $vgpr36
	s_and_saveexec_b64 s[6:7], s[0:1]
	s_xor_b64 s[0:1], exec, s[6:7]
; %bb.474:                              ;   in Loop: Header=BB371_267 Depth=1
	v_bfe_u32 v5, v4, 16, 1
	v_add3_u32 v36, v4, v5, s12
                                        ; implicit-def: $vgpr4
; %bb.475:                              ;   in Loop: Header=BB371_267 Depth=1
	s_andn2_saveexec_b64 s[6:7], s[0:1]
; %bb.476:                              ;   in Loop: Header=BB371_267 Depth=1
	v_or_b32_e32 v5, 0x10000, v4
	v_cmp_eq_u32_sdwa s[0:1], v4, v11 src0_sel:WORD_0 src1_sel:DWORD
	s_nop 1
	v_cndmask_b32_e64 v36, v5, v4, s[0:1]
; %bb.477:                              ;   in Loop: Header=BB371_267 Depth=1
	s_or_b64 exec, exec, s[6:7]
	v_lshlrev_b32_e32 v4, 16, v9
	v_mul_f32_e32 v4, v41, v4
	v_and_b32_e32 v5, 0x7f800000, v4
	v_cmp_ne_u32_e64 s[0:1], s9, v5
                                        ; implicit-def: $vgpr23
	s_and_saveexec_b64 s[6:7], s[0:1]
	s_xor_b64 s[0:1], exec, s[6:7]
; %bb.478:                              ;   in Loop: Header=BB371_267 Depth=1
	v_bfe_u32 v5, v4, 16, 1
	v_add3_u32 v23, v4, v5, s12
                                        ; implicit-def: $vgpr4
; %bb.479:                              ;   in Loop: Header=BB371_267 Depth=1
	s_andn2_saveexec_b64 s[6:7], s[0:1]
; %bb.480:                              ;   in Loop: Header=BB371_267 Depth=1
	v_or_b32_e32 v5, 0x10000, v4
	v_cmp_eq_u32_sdwa s[0:1], v4, v11 src0_sel:WORD_0 src1_sel:DWORD
	s_nop 1
	v_cndmask_b32_e64 v23, v5, v4, s[0:1]
; %bb.481:                              ;   in Loop: Header=BB371_267 Depth=1
	s_or_b64 exec, exec, s[6:7]
	v_lshlrev_b32_e32 v4, 16, v8
	v_mul_f32_e32 v4, v42, v4
	v_and_b32_e32 v5, 0x7f800000, v4
	v_cmp_ne_u32_e64 s[0:1], s9, v5
                                        ; implicit-def: $vgpr34
	s_and_saveexec_b64 s[6:7], s[0:1]
	s_xor_b64 s[0:1], exec, s[6:7]
; %bb.482:                              ;   in Loop: Header=BB371_267 Depth=1
	v_bfe_u32 v5, v4, 16, 1
	v_add3_u32 v34, v4, v5, s12
                                        ; implicit-def: $vgpr4
; %bb.483:                              ;   in Loop: Header=BB371_267 Depth=1
	s_andn2_saveexec_b64 s[6:7], s[0:1]
; %bb.484:                              ;   in Loop: Header=BB371_267 Depth=1
	v_or_b32_e32 v5, 0x10000, v4
	v_cmp_eq_u32_sdwa s[0:1], v4, v11 src0_sel:WORD_0 src1_sel:DWORD
	s_nop 1
	v_cndmask_b32_e64 v34, v5, v4, s[0:1]
; %bb.485:                              ;   in Loop: Header=BB371_267 Depth=1
	s_or_b64 exec, exec, s[6:7]
	v_lshlrev_b32_e32 v4, 16, v6
	v_mul_f32_e32 v4, v43, v4
	v_and_b32_e32 v5, 0x7f800000, v4
	v_cmp_ne_u32_e64 s[0:1], s9, v5
                                        ; implicit-def: $vgpr5
	s_and_saveexec_b64 s[6:7], s[0:1]
	s_xor_b64 s[0:1], exec, s[6:7]
; %bb.486:                              ;   in Loop: Header=BB371_267 Depth=1
	v_bfe_u32 v5, v4, 16, 1
	v_add3_u32 v5, v4, v5, s12
                                        ; implicit-def: $vgpr4
; %bb.487:                              ;   in Loop: Header=BB371_267 Depth=1
	s_andn2_saveexec_b64 s[6:7], s[0:1]
; %bb.488:                              ;   in Loop: Header=BB371_267 Depth=1
	v_or_b32_e32 v5, 0x10000, v4
	v_cmp_eq_u32_sdwa s[0:1], v4, v11 src0_sel:WORD_0 src1_sel:DWORD
	s_nop 1
	v_cndmask_b32_e64 v5, v5, v4, s[0:1]
; %bb.489:                              ;   in Loop: Header=BB371_267 Depth=1
	s_or_b64 exec, exec, s[6:7]
	v_lshlrev_b32_e32 v3, 16, v3
	v_mul_f32_e32 v3, v44, v3
	v_and_b32_e32 v4, 0x7f800000, v3
	v_cmp_ne_u32_e64 s[0:1], s9, v4
                                        ; implicit-def: $vgpr4
	s_and_saveexec_b64 s[6:7], s[0:1]
	s_xor_b64 s[0:1], exec, s[6:7]
; %bb.490:                              ;   in Loop: Header=BB371_267 Depth=1
	v_bfe_u32 v4, v3, 16, 1
	v_add3_u32 v4, v3, v4, s12
                                        ; implicit-def: $vgpr3
; %bb.491:                              ;   in Loop: Header=BB371_267 Depth=1
	s_andn2_saveexec_b64 s[6:7], s[0:1]
; %bb.492:                              ;   in Loop: Header=BB371_267 Depth=1
	v_or_b32_e32 v4, 0x10000, v3
	v_cmp_eq_u32_sdwa s[0:1], v3, v11 src0_sel:WORD_0 src1_sel:DWORD
	s_nop 1
	v_cndmask_b32_e64 v4, v4, v3, s[0:1]
; %bb.493:                              ;   in Loop: Header=BB371_267 Depth=1
	s_or_b64 exec, exec, s[6:7]
	v_lshlrev_b32_e32 v2, 16, v2
	v_mul_f32_e32 v2, v45, v2
	v_and_b32_e32 v3, 0x7f800000, v2
	v_cmp_ne_u32_e64 s[0:1], s9, v3
                                        ; implicit-def: $vgpr32
	s_and_saveexec_b64 s[6:7], s[0:1]
	s_xor_b64 s[0:1], exec, s[6:7]
; %bb.494:                              ;   in Loop: Header=BB371_267 Depth=1
	v_bfe_u32 v3, v2, 16, 1
	v_add3_u32 v32, v2, v3, s12
                                        ; implicit-def: $vgpr2
; %bb.495:                              ;   in Loop: Header=BB371_267 Depth=1
	s_andn2_saveexec_b64 s[6:7], s[0:1]
; %bb.496:                              ;   in Loop: Header=BB371_267 Depth=1
	v_or_b32_e32 v3, 0x10000, v2
	v_cmp_eq_u32_sdwa s[0:1], v2, v11 src0_sel:WORD_0 src1_sel:DWORD
	s_nop 1
	v_cndmask_b32_e64 v32, v3, v2, s[0:1]
; %bb.497:                              ;   in Loop: Header=BB371_267 Depth=1
	s_or_b64 exec, exec, s[6:7]
	flat_load_dwordx2 v[2:3], v[0:1] offset:1536
	s_waitcnt vmcnt(0) lgkmcnt(0)
	v_and_b32_e32 v6, 0xff, v2
	v_cvt_f32_fp8_sdwa v6, v6 src0_sel:BYTE_0
	s_nop 0
	v_mul_f32_e32 v7, v26, v6
	v_and_b32_e32 v6, 0x7f800000, v7
	v_cmp_ne_u32_e64 s[0:1], s9, v6
                                        ; implicit-def: $vgpr6
	s_and_saveexec_b64 s[6:7], s[0:1]
	s_xor_b64 s[0:1], exec, s[6:7]
; %bb.498:                              ;   in Loop: Header=BB371_267 Depth=1
	v_bfe_u32 v6, v7, 16, 1
	v_add3_u32 v6, v7, v6, s12
                                        ; implicit-def: $vgpr7
; %bb.499:                              ;   in Loop: Header=BB371_267 Depth=1
	s_andn2_saveexec_b64 s[6:7], s[0:1]
; %bb.500:                              ;   in Loop: Header=BB371_267 Depth=1
	v_or_b32_e32 v6, 0x10000, v7
	v_cmp_eq_u32_sdwa s[0:1], v7, v11 src0_sel:WORD_0 src1_sel:DWORD
	s_nop 1
	v_cndmask_b32_e64 v6, v6, v7, s[0:1]
; %bb.501:                              ;   in Loop: Header=BB371_267 Depth=1
	s_or_b64 exec, exec, s[6:7]
	v_bfe_u32 v7, v2, 8, 8
	v_cvt_f32_fp8_sdwa v7, v7 src0_sel:BYTE_0
	s_nop 0
	v_mul_f32_e32 v8, v26, v7
	v_and_b32_e32 v7, 0x7f800000, v8
	v_cmp_ne_u32_e64 s[0:1], s9, v7
                                        ; implicit-def: $vgpr7
	s_and_saveexec_b64 s[6:7], s[0:1]
	s_xor_b64 s[0:1], exec, s[6:7]
; %bb.502:                              ;   in Loop: Header=BB371_267 Depth=1
	v_bfe_u32 v7, v8, 16, 1
	v_add3_u32 v7, v8, v7, s12
                                        ; implicit-def: $vgpr8
; %bb.503:                              ;   in Loop: Header=BB371_267 Depth=1
	s_andn2_saveexec_b64 s[6:7], s[0:1]
; %bb.504:                              ;   in Loop: Header=BB371_267 Depth=1
	v_or_b32_e32 v7, 0x10000, v8
	v_cmp_eq_u32_sdwa s[0:1], v8, v11 src0_sel:WORD_0 src1_sel:DWORD
	s_nop 1
	v_cndmask_b32_e64 v7, v7, v8, s[0:1]
; %bb.505:                              ;   in Loop: Header=BB371_267 Depth=1
	s_or_b64 exec, exec, s[6:7]
	v_bfe_u32 v8, v2, 16, 8
	v_cvt_f32_fp8_sdwa v8, v8 src0_sel:BYTE_0
	s_nop 0
	v_mul_f32_e32 v8, v26, v8
	v_and_b32_e32 v9, 0x7f800000, v8
	v_cmp_ne_u32_e64 s[0:1], s9, v9
                                        ; implicit-def: $vgpr9
	s_and_saveexec_b64 s[6:7], s[0:1]
	s_xor_b64 s[0:1], exec, s[6:7]
; %bb.506:                              ;   in Loop: Header=BB371_267 Depth=1
	v_bfe_u32 v9, v8, 16, 1
	v_add3_u32 v9, v8, v9, s12
                                        ; implicit-def: $vgpr8
; %bb.507:                              ;   in Loop: Header=BB371_267 Depth=1
	s_andn2_saveexec_b64 s[6:7], s[0:1]
; %bb.508:                              ;   in Loop: Header=BB371_267 Depth=1
	v_or_b32_e32 v9, 0x10000, v8
	v_cmp_eq_u32_sdwa s[0:1], v8, v11 src0_sel:WORD_0 src1_sel:DWORD
	s_nop 1
	v_cndmask_b32_e64 v9, v9, v8, s[0:1]
; %bb.509:                              ;   in Loop: Header=BB371_267 Depth=1
	s_or_b64 exec, exec, s[6:7]
	v_lshrrev_b32_e32 v2, 24, v2
	v_cvt_f32_fp8_sdwa v2, v2 src0_sel:BYTE_0
	s_nop 0
	v_mul_f32_e32 v8, v26, v2
	v_and_b32_e32 v2, 0x7f800000, v8
	v_cmp_ne_u32_e64 s[0:1], s9, v2
                                        ; implicit-def: $vgpr2
	s_and_saveexec_b64 s[6:7], s[0:1]
	s_xor_b64 s[0:1], exec, s[6:7]
; %bb.510:                              ;   in Loop: Header=BB371_267 Depth=1
	v_bfe_u32 v2, v8, 16, 1
	v_add3_u32 v2, v8, v2, s12
                                        ; implicit-def: $vgpr8
; %bb.511:                              ;   in Loop: Header=BB371_267 Depth=1
	s_andn2_saveexec_b64 s[6:7], s[0:1]
; %bb.512:                              ;   in Loop: Header=BB371_267 Depth=1
	v_or_b32_e32 v2, 0x10000, v8
	v_cmp_eq_u32_sdwa s[0:1], v8, v11 src0_sel:WORD_0 src1_sel:DWORD
	s_nop 1
	v_cndmask_b32_e64 v2, v2, v8, s[0:1]
; %bb.513:                              ;   in Loop: Header=BB371_267 Depth=1
	s_or_b64 exec, exec, s[6:7]
	v_and_b32_e32 v8, 0xff, v3
	v_cvt_f32_fp8_sdwa v8, v8 src0_sel:BYTE_0
	s_nop 0
	v_mul_f32_e32 v8, v26, v8
	v_and_b32_e32 v22, 0x7f800000, v8
	v_cmp_ne_u32_e64 s[0:1], s9, v22
                                        ; implicit-def: $vgpr22
	s_and_saveexec_b64 s[6:7], s[0:1]
	s_xor_b64 s[0:1], exec, s[6:7]
; %bb.514:                              ;   in Loop: Header=BB371_267 Depth=1
	v_bfe_u32 v22, v8, 16, 1
	v_add3_u32 v22, v8, v22, s12
                                        ; implicit-def: $vgpr8
; %bb.515:                              ;   in Loop: Header=BB371_267 Depth=1
	s_andn2_saveexec_b64 s[6:7], s[0:1]
; %bb.516:                              ;   in Loop: Header=BB371_267 Depth=1
	v_or_b32_e32 v22, 0x10000, v8
	v_cmp_eq_u32_sdwa s[0:1], v8, v11 src0_sel:WORD_0 src1_sel:DWORD
	s_nop 1
	v_cndmask_b32_e64 v22, v22, v8, s[0:1]
; %bb.517:                              ;   in Loop: Header=BB371_267 Depth=1
	s_or_b64 exec, exec, s[6:7]
	v_bfe_u32 v8, v3, 8, 8
	v_cvt_f32_fp8_sdwa v8, v8 src0_sel:BYTE_0
	s_nop 0
	v_mul_f32_e32 v24, v26, v8
	v_and_b32_e32 v8, 0x7f800000, v24
	v_cmp_ne_u32_e64 s[0:1], s9, v8
                                        ; implicit-def: $vgpr8
	s_and_saveexec_b64 s[6:7], s[0:1]
	s_xor_b64 s[0:1], exec, s[6:7]
; %bb.518:                              ;   in Loop: Header=BB371_267 Depth=1
	v_bfe_u32 v8, v24, 16, 1
	v_add3_u32 v8, v24, v8, s12
                                        ; implicit-def: $vgpr24
; %bb.519:                              ;   in Loop: Header=BB371_267 Depth=1
	s_andn2_saveexec_b64 s[6:7], s[0:1]
; %bb.520:                              ;   in Loop: Header=BB371_267 Depth=1
	v_or_b32_e32 v8, 0x10000, v24
	v_cmp_eq_u32_sdwa s[0:1], v24, v11 src0_sel:WORD_0 src1_sel:DWORD
	s_nop 1
	v_cndmask_b32_e64 v8, v8, v24, s[0:1]
; %bb.521:                              ;   in Loop: Header=BB371_267 Depth=1
	s_or_b64 exec, exec, s[6:7]
	v_bfe_u32 v24, v3, 16, 8
	v_cvt_f32_fp8_sdwa v24, v24 src0_sel:BYTE_0
	s_nop 0
	v_mul_f32_e32 v24, v26, v24
	v_and_b32_e32 v25, 0x7f800000, v24
	v_cmp_ne_u32_e64 s[0:1], s9, v25
                                        ; implicit-def: $vgpr25
	s_and_saveexec_b64 s[6:7], s[0:1]
	s_xor_b64 s[0:1], exec, s[6:7]
; %bb.522:                              ;   in Loop: Header=BB371_267 Depth=1
	v_bfe_u32 v25, v24, 16, 1
	v_add3_u32 v25, v24, v25, s12
                                        ; implicit-def: $vgpr24
; %bb.523:                              ;   in Loop: Header=BB371_267 Depth=1
	s_andn2_saveexec_b64 s[6:7], s[0:1]
; %bb.524:                              ;   in Loop: Header=BB371_267 Depth=1
	v_or_b32_e32 v25, 0x10000, v24
	v_cmp_eq_u32_sdwa s[0:1], v24, v11 src0_sel:WORD_0 src1_sel:DWORD
	s_nop 1
	v_cndmask_b32_e64 v25, v25, v24, s[0:1]
; %bb.525:                              ;   in Loop: Header=BB371_267 Depth=1
	s_or_b64 exec, exec, s[6:7]
	v_lshrrev_b32_e32 v3, 24, v3
	v_cvt_f32_fp8_sdwa v3, v3 src0_sel:BYTE_0
                                        ; implicit-def: $vgpr27
	s_nop 0
	v_mul_f32_e32 v3, v26, v3
	v_and_b32_e32 v24, 0x7f800000, v3
	v_cmp_ne_u32_e64 s[0:1], s9, v24
	s_and_saveexec_b64 s[6:7], s[0:1]
	s_xor_b64 s[0:1], exec, s[6:7]
; %bb.526:                              ;   in Loop: Header=BB371_267 Depth=1
	v_bfe_u32 v24, v3, 16, 1
	v_add3_u32 v27, v3, v24, s12
                                        ; implicit-def: $vgpr3
; %bb.527:                              ;   in Loop: Header=BB371_267 Depth=1
	s_andn2_saveexec_b64 s[6:7], s[0:1]
; %bb.528:                              ;   in Loop: Header=BB371_267 Depth=1
	v_or_b32_e32 v24, 0x10000, v3
	v_cmp_eq_u32_sdwa s[0:1], v3, v11 src0_sel:WORD_0 src1_sel:DWORD
	s_nop 1
	v_cndmask_b32_e64 v27, v24, v3, s[0:1]
; %bb.529:                              ;   in Loop: Header=BB371_267 Depth=1
	s_or_b64 exec, exec, s[6:7]
	v_lshrrev_b32_e32 v8, 16, v8
	v_lshrrev_b32_e32 v22, 16, v22
	;; [unrolled: 1-line block ×8, first 2 shown]
	s_and_saveexec_b64 s[6:7], vcc
	s_cbranch_execz .LBB371_531
; %bb.530:                              ;   in Loop: Header=BB371_267 Depth=1
	v_accvgpr_read_b32 v25, a20
	v_cmp_lt_i32_e64 s[0:1], v25, v35
	v_accvgpr_read_b32 v25, a26
	s_nop 0
	v_cndmask_b32_e64 v6, 0, v6, s[0:1]
	v_cmp_lt_i32_e64 s[0:1], v25, v35
	v_accvgpr_read_b32 v25, a25
	s_nop 0
	v_cndmask_b32_e64 v7, 0, v7, s[0:1]
	;; [unrolled: 4-line block ×6, first 2 shown]
	v_cmp_lt_i32_e64 s[0:1], v25, v35
	s_nop 1
	v_cndmask_b32_e64 v3, 0, v3, s[0:1]
	v_cmp_lt_i32_e64 s[0:1], v10, v35
	s_nop 1
	v_cndmask_b32_e64 v2, 0, v2, s[0:1]
.LBB371_531:                            ;   in Loop: Header=BB371_267 Depth=1
	s_or_b64 exec, exec, s[6:7]
	v_lshlrev_b32_e32 v6, 16, v6
	v_mul_f32_e32 v6, v54, v6
	v_and_b32_e32 v25, 0x7f800000, v6
	v_cmp_ne_u32_e64 s[0:1], s9, v25
                                        ; implicit-def: $vgpr27
	s_and_saveexec_b64 s[6:7], s[0:1]
	s_xor_b64 s[0:1], exec, s[6:7]
; %bb.532:                              ;   in Loop: Header=BB371_267 Depth=1
	v_bfe_u32 v25, v6, 16, 1
	v_add3_u32 v27, v6, v25, s12
                                        ; implicit-def: $vgpr6
; %bb.533:                              ;   in Loop: Header=BB371_267 Depth=1
	s_andn2_saveexec_b64 s[6:7], s[0:1]
; %bb.534:                              ;   in Loop: Header=BB371_267 Depth=1
	v_or_b32_e32 v25, 0x10000, v6
	v_cmp_eq_u32_sdwa s[0:1], v6, v11 src0_sel:WORD_0 src1_sel:DWORD
	s_nop 1
	v_cndmask_b32_e64 v27, v25, v6, s[0:1]
; %bb.535:                              ;   in Loop: Header=BB371_267 Depth=1
	s_or_b64 exec, exec, s[6:7]
	v_lshlrev_b32_e32 v6, 16, v7
	v_mul_f32_e32 v6, v55, v6
	v_and_b32_e32 v7, 0x7f800000, v6
	v_cmp_ne_u32_e64 s[0:1], s9, v7
                                        ; implicit-def: $vgpr33
	s_and_saveexec_b64 s[6:7], s[0:1]
	s_xor_b64 s[0:1], exec, s[6:7]
; %bb.536:                              ;   in Loop: Header=BB371_267 Depth=1
	v_bfe_u32 v7, v6, 16, 1
	v_add3_u32 v33, v6, v7, s12
                                        ; implicit-def: $vgpr6
; %bb.537:                              ;   in Loop: Header=BB371_267 Depth=1
	s_andn2_saveexec_b64 s[6:7], s[0:1]
; %bb.538:                              ;   in Loop: Header=BB371_267 Depth=1
	v_or_b32_e32 v7, 0x10000, v6
	v_cmp_eq_u32_sdwa s[0:1], v6, v11 src0_sel:WORD_0 src1_sel:DWORD
	s_nop 1
	v_cndmask_b32_e64 v33, v7, v6, s[0:1]
; %bb.539:                              ;   in Loop: Header=BB371_267 Depth=1
	s_or_b64 exec, exec, s[6:7]
	v_lshlrev_b32_e32 v6, 16, v9
	v_mul_f32_e32 v6, v40, v6
	v_and_b32_e32 v7, 0x7f800000, v6
	v_cmp_ne_u32_e64 s[0:1], s9, v7
                                        ; implicit-def: $vgpr29
	s_and_saveexec_b64 s[6:7], s[0:1]
	s_xor_b64 s[0:1], exec, s[6:7]
; %bb.540:                              ;   in Loop: Header=BB371_267 Depth=1
	v_bfe_u32 v7, v6, 16, 1
	v_add3_u32 v29, v6, v7, s12
                                        ; implicit-def: $vgpr6
; %bb.541:                              ;   in Loop: Header=BB371_267 Depth=1
	s_andn2_saveexec_b64 s[6:7], s[0:1]
; %bb.542:                              ;   in Loop: Header=BB371_267 Depth=1
	v_or_b32_e32 v7, 0x10000, v6
	v_cmp_eq_u32_sdwa s[0:1], v6, v11 src0_sel:WORD_0 src1_sel:DWORD
	s_nop 1
	v_cndmask_b32_e64 v29, v7, v6, s[0:1]
; %bb.543:                              ;   in Loop: Header=BB371_267 Depth=1
	s_or_b64 exec, exec, s[6:7]
	v_lshlrev_b32_e32 v6, 16, v24
	v_mul_f32_e32 v6, v41, v6
	v_and_b32_e32 v7, 0x7f800000, v6
	v_cmp_ne_u32_e64 s[0:1], s9, v7
                                        ; implicit-def: $vgpr24
	s_and_saveexec_b64 s[6:7], s[0:1]
	s_xor_b64 s[0:1], exec, s[6:7]
; %bb.544:                              ;   in Loop: Header=BB371_267 Depth=1
	v_bfe_u32 v7, v6, 16, 1
	v_add3_u32 v24, v6, v7, s12
                                        ; implicit-def: $vgpr6
; %bb.545:                              ;   in Loop: Header=BB371_267 Depth=1
	s_andn2_saveexec_b64 s[6:7], s[0:1]
; %bb.546:                              ;   in Loop: Header=BB371_267 Depth=1
	v_or_b32_e32 v7, 0x10000, v6
	v_cmp_eq_u32_sdwa s[0:1], v6, v11 src0_sel:WORD_0 src1_sel:DWORD
	s_nop 1
	v_cndmask_b32_e64 v24, v7, v6, s[0:1]
; %bb.547:                              ;   in Loop: Header=BB371_267 Depth=1
	s_or_b64 exec, exec, s[6:7]
	v_lshlrev_b32_e32 v6, 16, v22
	v_mul_f32_e32 v6, v42, v6
	v_and_b32_e32 v7, 0x7f800000, v6
	v_cmp_ne_u32_e64 s[0:1], s9, v7
                                        ; implicit-def: $vgpr25
	s_and_saveexec_b64 s[6:7], s[0:1]
	s_xor_b64 s[0:1], exec, s[6:7]
; %bb.548:                              ;   in Loop: Header=BB371_267 Depth=1
	v_bfe_u32 v7, v6, 16, 1
	v_add3_u32 v25, v6, v7, s12
                                        ; implicit-def: $vgpr6
; %bb.549:                              ;   in Loop: Header=BB371_267 Depth=1
	s_andn2_saveexec_b64 s[6:7], s[0:1]
; %bb.550:                              ;   in Loop: Header=BB371_267 Depth=1
	v_or_b32_e32 v7, 0x10000, v6
	v_cmp_eq_u32_sdwa s[0:1], v6, v11 src0_sel:WORD_0 src1_sel:DWORD
	s_nop 1
	v_cndmask_b32_e64 v25, v7, v6, s[0:1]
; %bb.551:                              ;   in Loop: Header=BB371_267 Depth=1
	s_or_b64 exec, exec, s[6:7]
	v_lshlrev_b32_e32 v6, 16, v8
	v_mul_f32_e32 v7, v43, v6
	v_and_b32_e32 v6, 0x7f800000, v7
	v_cmp_ne_u32_e64 s[0:1], s9, v6
                                        ; implicit-def: $vgpr6
	s_and_saveexec_b64 s[6:7], s[0:1]
	s_xor_b64 s[0:1], exec, s[6:7]
; %bb.552:                              ;   in Loop: Header=BB371_267 Depth=1
	v_bfe_u32 v6, v7, 16, 1
	v_add3_u32 v6, v7, v6, s12
                                        ; implicit-def: $vgpr7
; %bb.553:                              ;   in Loop: Header=BB371_267 Depth=1
	s_andn2_saveexec_b64 s[6:7], s[0:1]
; %bb.554:                              ;   in Loop: Header=BB371_267 Depth=1
	v_or_b32_e32 v6, 0x10000, v7
	v_cmp_eq_u32_sdwa s[0:1], v7, v11 src0_sel:WORD_0 src1_sel:DWORD
	s_nop 1
	v_cndmask_b32_e64 v6, v6, v7, s[0:1]
; %bb.555:                              ;   in Loop: Header=BB371_267 Depth=1
	s_or_b64 exec, exec, s[6:7]
	v_lshlrev_b32_e32 v3, 16, v3
	v_mul_f32_e32 v3, v44, v3
	v_and_b32_e32 v7, 0x7f800000, v3
	v_cmp_ne_u32_e64 s[0:1], s9, v7
                                        ; implicit-def: $vgpr22
	s_and_saveexec_b64 s[6:7], s[0:1]
	s_xor_b64 s[0:1], exec, s[6:7]
; %bb.556:                              ;   in Loop: Header=BB371_267 Depth=1
	v_bfe_u32 v7, v3, 16, 1
	v_add3_u32 v22, v3, v7, s12
                                        ; implicit-def: $vgpr3
; %bb.557:                              ;   in Loop: Header=BB371_267 Depth=1
	s_andn2_saveexec_b64 s[6:7], s[0:1]
; %bb.558:                              ;   in Loop: Header=BB371_267 Depth=1
	v_or_b32_e32 v7, 0x10000, v3
	v_cmp_eq_u32_sdwa s[0:1], v3, v11 src0_sel:WORD_0 src1_sel:DWORD
	s_nop 1
	v_cndmask_b32_e64 v22, v7, v3, s[0:1]
; %bb.559:                              ;   in Loop: Header=BB371_267 Depth=1
	s_or_b64 exec, exec, s[6:7]
	v_lshlrev_b32_e32 v2, 16, v2
	v_mul_f32_e32 v2, v45, v2
	v_and_b32_e32 v3, 0x7f800000, v2
	v_cmp_ne_u32_e64 s[0:1], s9, v3
                                        ; implicit-def: $vgpr7
	s_and_saveexec_b64 s[6:7], s[0:1]
	s_xor_b64 s[0:1], exec, s[6:7]
; %bb.560:                              ;   in Loop: Header=BB371_267 Depth=1
	v_bfe_u32 v3, v2, 16, 1
	v_add3_u32 v7, v2, v3, s12
                                        ; implicit-def: $vgpr2
; %bb.561:                              ;   in Loop: Header=BB371_267 Depth=1
	s_andn2_saveexec_b64 s[6:7], s[0:1]
; %bb.562:                              ;   in Loop: Header=BB371_267 Depth=1
	v_or_b32_e32 v3, 0x10000, v2
	v_cmp_eq_u32_sdwa s[0:1], v2, v11 src0_sel:WORD_0 src1_sel:DWORD
	s_nop 1
	v_cndmask_b32_e64 v7, v3, v2, s[0:1]
; %bb.563:                              ;   in Loop: Header=BB371_267 Depth=1
	s_or_b64 exec, exec, s[6:7]
	flat_load_dwordx2 v[2:3], v[0:1] offset:2048
	s_waitcnt vmcnt(0) lgkmcnt(0)
	v_and_b32_e32 v8, 0xff, v2
	v_cvt_f32_fp8_sdwa v8, v8 src0_sel:BYTE_0
	s_nop 0
	v_mul_f32_e32 v9, v26, v8
	v_and_b32_e32 v8, 0x7f800000, v9
	v_cmp_ne_u32_e64 s[0:1], s9, v8
                                        ; implicit-def: $vgpr8
	s_and_saveexec_b64 s[6:7], s[0:1]
	s_xor_b64 s[0:1], exec, s[6:7]
; %bb.564:                              ;   in Loop: Header=BB371_267 Depth=1
	v_bfe_u32 v8, v9, 16, 1
	v_add3_u32 v8, v9, v8, s12
                                        ; implicit-def: $vgpr9
; %bb.565:                              ;   in Loop: Header=BB371_267 Depth=1
	s_andn2_saveexec_b64 s[6:7], s[0:1]
; %bb.566:                              ;   in Loop: Header=BB371_267 Depth=1
	v_or_b32_e32 v8, 0x10000, v9
	v_cmp_eq_u32_sdwa s[0:1], v9, v11 src0_sel:WORD_0 src1_sel:DWORD
	s_nop 1
	v_cndmask_b32_e64 v8, v8, v9, s[0:1]
; %bb.567:                              ;   in Loop: Header=BB371_267 Depth=1
	s_or_b64 exec, exec, s[6:7]
	v_bfe_u32 v9, v2, 8, 8
	v_cvt_f32_fp8_sdwa v9, v9 src0_sel:BYTE_0
	s_nop 0
	v_mul_f32_e32 v28, v26, v9
	v_and_b32_e32 v9, 0x7f800000, v28
	v_cmp_ne_u32_e64 s[0:1], s9, v9
                                        ; implicit-def: $vgpr9
	s_and_saveexec_b64 s[6:7], s[0:1]
	s_xor_b64 s[0:1], exec, s[6:7]
; %bb.568:                              ;   in Loop: Header=BB371_267 Depth=1
	v_bfe_u32 v9, v28, 16, 1
	v_add3_u32 v9, v28, v9, s12
                                        ; implicit-def: $vgpr28
; %bb.569:                              ;   in Loop: Header=BB371_267 Depth=1
	s_andn2_saveexec_b64 s[6:7], s[0:1]
; %bb.570:                              ;   in Loop: Header=BB371_267 Depth=1
	v_or_b32_e32 v9, 0x10000, v28
	v_cmp_eq_u32_sdwa s[0:1], v28, v11 src0_sel:WORD_0 src1_sel:DWORD
	s_nop 1
	v_cndmask_b32_e64 v9, v9, v28, s[0:1]
; %bb.571:                              ;   in Loop: Header=BB371_267 Depth=1
	s_or_b64 exec, exec, s[6:7]
	v_bfe_u32 v28, v2, 16, 8
	v_cvt_f32_fp8_sdwa v28, v28 src0_sel:BYTE_0
	s_nop 0
	v_mul_f32_e32 v30, v26, v28
	v_and_b32_e32 v28, 0x7f800000, v30
	v_cmp_ne_u32_e64 s[0:1], s9, v28
                                        ; implicit-def: $vgpr28
	s_and_saveexec_b64 s[6:7], s[0:1]
	s_xor_b64 s[0:1], exec, s[6:7]
; %bb.572:                              ;   in Loop: Header=BB371_267 Depth=1
	v_bfe_u32 v28, v30, 16, 1
	v_add3_u32 v28, v30, v28, s12
                                        ; implicit-def: $vgpr30
; %bb.573:                              ;   in Loop: Header=BB371_267 Depth=1
	s_andn2_saveexec_b64 s[6:7], s[0:1]
; %bb.574:                              ;   in Loop: Header=BB371_267 Depth=1
	v_or_b32_e32 v28, 0x10000, v30
	v_cmp_eq_u32_sdwa s[0:1], v30, v11 src0_sel:WORD_0 src1_sel:DWORD
	s_nop 1
	v_cndmask_b32_e64 v28, v28, v30, s[0:1]
; %bb.575:                              ;   in Loop: Header=BB371_267 Depth=1
	s_or_b64 exec, exec, s[6:7]
	v_lshrrev_b32_e32 v2, 24, v2
	v_cvt_f32_fp8_sdwa v2, v2 src0_sel:BYTE_0
	s_nop 0
	v_mul_f32_e32 v30, v26, v2
	v_and_b32_e32 v2, 0x7f800000, v30
	v_cmp_ne_u32_e64 s[0:1], s9, v2
                                        ; implicit-def: $vgpr2
	s_and_saveexec_b64 s[6:7], s[0:1]
	s_xor_b64 s[0:1], exec, s[6:7]
; %bb.576:                              ;   in Loop: Header=BB371_267 Depth=1
	v_bfe_u32 v2, v30, 16, 1
	v_add3_u32 v2, v30, v2, s12
                                        ; implicit-def: $vgpr30
; %bb.577:                              ;   in Loop: Header=BB371_267 Depth=1
	s_andn2_saveexec_b64 s[6:7], s[0:1]
; %bb.578:                              ;   in Loop: Header=BB371_267 Depth=1
	v_or_b32_e32 v2, 0x10000, v30
	v_cmp_eq_u32_sdwa s[0:1], v30, v11 src0_sel:WORD_0 src1_sel:DWORD
	s_nop 1
	v_cndmask_b32_e64 v2, v2, v30, s[0:1]
; %bb.579:                              ;   in Loop: Header=BB371_267 Depth=1
	s_or_b64 exec, exec, s[6:7]
	v_and_b32_e32 v30, 0xff, v3
	v_cvt_f32_fp8_sdwa v30, v30 src0_sel:BYTE_0
	s_nop 0
	v_mul_f32_e32 v31, v26, v30
	v_and_b32_e32 v30, 0x7f800000, v31
	v_cmp_ne_u32_e64 s[0:1], s9, v30
                                        ; implicit-def: $vgpr30
	s_and_saveexec_b64 s[6:7], s[0:1]
	s_xor_b64 s[0:1], exec, s[6:7]
; %bb.580:                              ;   in Loop: Header=BB371_267 Depth=1
	v_bfe_u32 v30, v31, 16, 1
	v_add3_u32 v30, v31, v30, s12
                                        ; implicit-def: $vgpr31
; %bb.581:                              ;   in Loop: Header=BB371_267 Depth=1
	s_andn2_saveexec_b64 s[6:7], s[0:1]
; %bb.582:                              ;   in Loop: Header=BB371_267 Depth=1
	v_or_b32_e32 v30, 0x10000, v31
	v_cmp_eq_u32_sdwa s[0:1], v31, v11 src0_sel:WORD_0 src1_sel:DWORD
	s_nop 1
	v_cndmask_b32_e64 v30, v30, v31, s[0:1]
; %bb.583:                              ;   in Loop: Header=BB371_267 Depth=1
	s_or_b64 exec, exec, s[6:7]
	v_bfe_u32 v31, v3, 8, 8
	v_cvt_f32_fp8_sdwa v31, v31 src0_sel:BYTE_0
	s_nop 0
	v_mul_f32_e32 v38, v26, v31
	v_and_b32_e32 v31, 0x7f800000, v38
	v_cmp_ne_u32_e64 s[0:1], s9, v31
                                        ; implicit-def: $vgpr31
	s_and_saveexec_b64 s[6:7], s[0:1]
	s_xor_b64 s[0:1], exec, s[6:7]
; %bb.584:                              ;   in Loop: Header=BB371_267 Depth=1
	v_bfe_u32 v31, v38, 16, 1
	v_add3_u32 v31, v38, v31, s12
                                        ; implicit-def: $vgpr38
; %bb.585:                              ;   in Loop: Header=BB371_267 Depth=1
	s_andn2_saveexec_b64 s[6:7], s[0:1]
; %bb.586:                              ;   in Loop: Header=BB371_267 Depth=1
	v_or_b32_e32 v31, 0x10000, v38
	v_cmp_eq_u32_sdwa s[0:1], v38, v11 src0_sel:WORD_0 src1_sel:DWORD
	s_nop 1
	v_cndmask_b32_e64 v31, v31, v38, s[0:1]
; %bb.587:                              ;   in Loop: Header=BB371_267 Depth=1
	s_or_b64 exec, exec, s[6:7]
	v_bfe_u32 v38, v3, 16, 8
	v_cvt_f32_fp8_sdwa v38, v38 src0_sel:BYTE_0
	s_nop 0
	v_mul_f32_e32 v38, v26, v38
	v_and_b32_e32 v39, 0x7f800000, v38
	v_cmp_ne_u32_e64 s[0:1], s9, v39
                                        ; implicit-def: $vgpr39
	s_and_saveexec_b64 s[6:7], s[0:1]
	s_xor_b64 s[0:1], exec, s[6:7]
; %bb.588:                              ;   in Loop: Header=BB371_267 Depth=1
	v_bfe_u32 v39, v38, 16, 1
	v_add3_u32 v39, v38, v39, s12
                                        ; implicit-def: $vgpr38
; %bb.589:                              ;   in Loop: Header=BB371_267 Depth=1
	s_andn2_saveexec_b64 s[6:7], s[0:1]
; %bb.590:                              ;   in Loop: Header=BB371_267 Depth=1
	v_or_b32_e32 v39, 0x10000, v38
	v_cmp_eq_u32_sdwa s[0:1], v38, v11 src0_sel:WORD_0 src1_sel:DWORD
	s_nop 1
	v_cndmask_b32_e64 v39, v39, v38, s[0:1]
; %bb.591:                              ;   in Loop: Header=BB371_267 Depth=1
	s_or_b64 exec, exec, s[6:7]
	v_lshrrev_b32_e32 v3, 24, v3
	v_cvt_f32_fp8_sdwa v3, v3 src0_sel:BYTE_0
                                        ; implicit-def: $vgpr48
	s_nop 0
	v_mul_f32_e32 v3, v26, v3
	v_and_b32_e32 v38, 0x7f800000, v3
	v_cmp_ne_u32_e64 s[0:1], s9, v38
	s_and_saveexec_b64 s[6:7], s[0:1]
	s_xor_b64 s[0:1], exec, s[6:7]
; %bb.592:                              ;   in Loop: Header=BB371_267 Depth=1
	v_bfe_u32 v38, v3, 16, 1
	v_add3_u32 v48, v3, v38, s12
                                        ; implicit-def: $vgpr3
; %bb.593:                              ;   in Loop: Header=BB371_267 Depth=1
	s_andn2_saveexec_b64 s[6:7], s[0:1]
; %bb.594:                              ;   in Loop: Header=BB371_267 Depth=1
	v_or_b32_e32 v38, 0x10000, v3
	v_cmp_eq_u32_sdwa s[0:1], v3, v11 src0_sel:WORD_0 src1_sel:DWORD
	s_nop 1
	v_cndmask_b32_e64 v48, v38, v3, s[0:1]
; %bb.595:                              ;   in Loop: Header=BB371_267 Depth=1
	s_or_b64 exec, exec, s[6:7]
	v_lshrrev_b32_e32 v38, 16, v31
	v_lshrrev_b32_e32 v31, 16, v30
	;; [unrolled: 1-line block ×8, first 2 shown]
	s_and_saveexec_b64 s[6:7], vcc
	s_cbranch_execz .LBB371_597
; %bb.596:                              ;   in Loop: Header=BB371_267 Depth=1
	v_accvgpr_read_b32 v39, a20
	v_cmp_lt_i32_e64 s[0:1], v39, v35
	v_accvgpr_read_b32 v39, a26
	s_nop 0
	v_cndmask_b32_e64 v8, 0, v8, s[0:1]
	v_cmp_lt_i32_e64 s[0:1], v39, v35
	v_accvgpr_read_b32 v39, a25
	s_nop 0
	v_cndmask_b32_e64 v9, 0, v9, s[0:1]
	;; [unrolled: 4-line block ×6, first 2 shown]
	v_cmp_lt_i32_e64 s[0:1], v39, v35
	s_nop 1
	v_cndmask_b32_e64 v3, 0, v3, s[0:1]
	v_cmp_lt_i32_e64 s[0:1], v10, v35
	s_nop 1
	v_cndmask_b32_e64 v2, 0, v2, s[0:1]
.LBB371_597:                            ;   in Loop: Header=BB371_267 Depth=1
	s_or_b64 exec, exec, s[6:7]
	v_lshlrev_b32_e32 v8, 16, v8
	v_mul_f32_e32 v39, v54, v8
	v_and_b32_e32 v8, 0x7f800000, v39
	v_cmp_ne_u32_e64 s[0:1], s9, v8
                                        ; implicit-def: $vgpr8
	s_and_saveexec_b64 s[6:7], s[0:1]
	s_xor_b64 s[0:1], exec, s[6:7]
; %bb.598:                              ;   in Loop: Header=BB371_267 Depth=1
	v_bfe_u32 v8, v39, 16, 1
	v_add3_u32 v8, v39, v8, s12
                                        ; implicit-def: $vgpr39
; %bb.599:                              ;   in Loop: Header=BB371_267 Depth=1
	s_andn2_saveexec_b64 s[6:7], s[0:1]
; %bb.600:                              ;   in Loop: Header=BB371_267 Depth=1
	v_or_b32_e32 v8, 0x10000, v39
	v_cmp_eq_u32_sdwa s[0:1], v39, v11 src0_sel:WORD_0 src1_sel:DWORD
	s_nop 1
	v_cndmask_b32_e64 v8, v8, v39, s[0:1]
; %bb.601:                              ;   in Loop: Header=BB371_267 Depth=1
	s_or_b64 exec, exec, s[6:7]
	v_lshlrev_b32_e32 v9, 16, v9
	v_mul_f32_e32 v39, v55, v9
	v_and_b32_e32 v9, 0x7f800000, v39
	v_cmp_ne_u32_e64 s[0:1], s9, v9
                                        ; implicit-def: $vgpr9
	s_and_saveexec_b64 s[6:7], s[0:1]
	s_xor_b64 s[0:1], exec, s[6:7]
; %bb.602:                              ;   in Loop: Header=BB371_267 Depth=1
	v_bfe_u32 v9, v39, 16, 1
	v_add3_u32 v9, v39, v9, s12
                                        ; implicit-def: $vgpr39
; %bb.603:                              ;   in Loop: Header=BB371_267 Depth=1
	s_andn2_saveexec_b64 s[6:7], s[0:1]
; %bb.604:                              ;   in Loop: Header=BB371_267 Depth=1
	v_or_b32_e32 v9, 0x10000, v39
	v_cmp_eq_u32_sdwa s[0:1], v39, v11 src0_sel:WORD_0 src1_sel:DWORD
	s_nop 1
	v_cndmask_b32_e64 v9, v9, v39, s[0:1]
; %bb.605:                              ;   in Loop: Header=BB371_267 Depth=1
	s_or_b64 exec, exec, s[6:7]
	v_lshlrev_b32_e32 v28, 16, v28
	v_mul_f32_e32 v39, v40, v28
	v_and_b32_e32 v28, 0x7f800000, v39
	v_cmp_ne_u32_e64 s[0:1], s9, v28
                                        ; implicit-def: $vgpr28
	s_and_saveexec_b64 s[6:7], s[0:1]
	s_xor_b64 s[0:1], exec, s[6:7]
; %bb.606:                              ;   in Loop: Header=BB371_267 Depth=1
	v_bfe_u32 v28, v39, 16, 1
	v_add3_u32 v28, v39, v28, s12
                                        ; implicit-def: $vgpr39
; %bb.607:                              ;   in Loop: Header=BB371_267 Depth=1
	s_andn2_saveexec_b64 s[6:7], s[0:1]
; %bb.608:                              ;   in Loop: Header=BB371_267 Depth=1
	v_or_b32_e32 v28, 0x10000, v39
	v_cmp_eq_u32_sdwa s[0:1], v39, v11 src0_sel:WORD_0 src1_sel:DWORD
	s_nop 1
	v_cndmask_b32_e64 v28, v28, v39, s[0:1]
; %bb.609:                              ;   in Loop: Header=BB371_267 Depth=1
	s_or_b64 exec, exec, s[6:7]
	v_lshlrev_b32_e32 v30, 16, v30
	v_mul_f32_e32 v39, v41, v30
	v_and_b32_e32 v30, 0x7f800000, v39
	v_cmp_ne_u32_e64 s[0:1], s9, v30
                                        ; implicit-def: $vgpr30
	s_and_saveexec_b64 s[6:7], s[0:1]
	s_xor_b64 s[0:1], exec, s[6:7]
; %bb.610:                              ;   in Loop: Header=BB371_267 Depth=1
	v_bfe_u32 v30, v39, 16, 1
	v_add3_u32 v30, v39, v30, s12
                                        ; implicit-def: $vgpr39
; %bb.611:                              ;   in Loop: Header=BB371_267 Depth=1
	s_andn2_saveexec_b64 s[6:7], s[0:1]
; %bb.612:                              ;   in Loop: Header=BB371_267 Depth=1
	v_or_b32_e32 v30, 0x10000, v39
	v_cmp_eq_u32_sdwa s[0:1], v39, v11 src0_sel:WORD_0 src1_sel:DWORD
	s_nop 1
	v_cndmask_b32_e64 v30, v30, v39, s[0:1]
; %bb.613:                              ;   in Loop: Header=BB371_267 Depth=1
	s_or_b64 exec, exec, s[6:7]
	v_lshlrev_b32_e32 v31, 16, v31
	v_mul_f32_e32 v39, v42, v31
	v_and_b32_e32 v31, 0x7f800000, v39
	v_cmp_ne_u32_e64 s[0:1], s9, v31
                                        ; implicit-def: $vgpr31
	s_and_saveexec_b64 s[6:7], s[0:1]
	s_xor_b64 s[0:1], exec, s[6:7]
; %bb.614:                              ;   in Loop: Header=BB371_267 Depth=1
	v_bfe_u32 v31, v39, 16, 1
	v_add3_u32 v31, v39, v31, s12
                                        ; implicit-def: $vgpr39
; %bb.615:                              ;   in Loop: Header=BB371_267 Depth=1
	s_andn2_saveexec_b64 s[6:7], s[0:1]
; %bb.616:                              ;   in Loop: Header=BB371_267 Depth=1
	v_or_b32_e32 v31, 0x10000, v39
	v_cmp_eq_u32_sdwa s[0:1], v39, v11 src0_sel:WORD_0 src1_sel:DWORD
	s_nop 1
	v_cndmask_b32_e64 v31, v31, v39, s[0:1]
; %bb.617:                              ;   in Loop: Header=BB371_267 Depth=1
	s_or_b64 exec, exec, s[6:7]
	v_lshlrev_b32_e32 v38, 16, v38
	v_mul_f32_e32 v39, v43, v38
	v_and_b32_e32 v38, 0x7f800000, v39
	v_cmp_ne_u32_e64 s[0:1], s9, v38
                                        ; implicit-def: $vgpr38
	s_and_saveexec_b64 s[6:7], s[0:1]
	s_xor_b64 s[0:1], exec, s[6:7]
; %bb.618:                              ;   in Loop: Header=BB371_267 Depth=1
	v_bfe_u32 v38, v39, 16, 1
	v_add3_u32 v38, v39, v38, s12
                                        ; implicit-def: $vgpr39
; %bb.619:                              ;   in Loop: Header=BB371_267 Depth=1
	s_andn2_saveexec_b64 s[6:7], s[0:1]
; %bb.620:                              ;   in Loop: Header=BB371_267 Depth=1
	v_or_b32_e32 v38, 0x10000, v39
	v_cmp_eq_u32_sdwa s[0:1], v39, v11 src0_sel:WORD_0 src1_sel:DWORD
	s_nop 1
	v_cndmask_b32_e64 v38, v38, v39, s[0:1]
; %bb.621:                              ;   in Loop: Header=BB371_267 Depth=1
	s_or_b64 exec, exec, s[6:7]
	v_lshlrev_b32_e32 v3, 16, v3
	v_mul_f32_e32 v3, v44, v3
	v_and_b32_e32 v39, 0x7f800000, v3
	v_cmp_ne_u32_e64 s[0:1], s9, v39
                                        ; implicit-def: $vgpr46
	s_and_saveexec_b64 s[6:7], s[0:1]
	s_xor_b64 s[0:1], exec, s[6:7]
; %bb.622:                              ;   in Loop: Header=BB371_267 Depth=1
	v_bfe_u32 v39, v3, 16, 1
	v_add3_u32 v46, v3, v39, s12
                                        ; implicit-def: $vgpr3
; %bb.623:                              ;   in Loop: Header=BB371_267 Depth=1
	s_andn2_saveexec_b64 s[6:7], s[0:1]
; %bb.624:                              ;   in Loop: Header=BB371_267 Depth=1
	v_or_b32_e32 v39, 0x10000, v3
	v_cmp_eq_u32_sdwa s[0:1], v3, v11 src0_sel:WORD_0 src1_sel:DWORD
	s_nop 1
	v_cndmask_b32_e64 v46, v39, v3, s[0:1]
; %bb.625:                              ;   in Loop: Header=BB371_267 Depth=1
	s_or_b64 exec, exec, s[6:7]
	v_lshlrev_b32_e32 v2, 16, v2
	v_mul_f32_e32 v2, v45, v2
	v_and_b32_e32 v3, 0x7f800000, v2
	v_cmp_ne_u32_e64 s[0:1], s9, v3
                                        ; implicit-def: $vgpr47
	s_and_saveexec_b64 s[6:7], s[0:1]
	s_xor_b64 s[0:1], exec, s[6:7]
; %bb.626:                              ;   in Loop: Header=BB371_267 Depth=1
	v_bfe_u32 v3, v2, 16, 1
	v_add3_u32 v47, v2, v3, s12
                                        ; implicit-def: $vgpr2
; %bb.627:                              ;   in Loop: Header=BB371_267 Depth=1
	s_andn2_saveexec_b64 s[6:7], s[0:1]
; %bb.628:                              ;   in Loop: Header=BB371_267 Depth=1
	v_or_b32_e32 v3, 0x10000, v2
	v_cmp_eq_u32_sdwa s[0:1], v2, v11 src0_sel:WORD_0 src1_sel:DWORD
	s_nop 1
	v_cndmask_b32_e64 v47, v3, v2, s[0:1]
; %bb.629:                              ;   in Loop: Header=BB371_267 Depth=1
	s_or_b64 exec, exec, s[6:7]
	flat_load_dwordx2 v[2:3], v[0:1] offset:2560
	s_waitcnt vmcnt(0) lgkmcnt(0)
	v_and_b32_e32 v39, 0xff, v2
	v_cvt_f32_fp8_sdwa v39, v39 src0_sel:BYTE_0
	s_nop 0
	v_mul_f32_e32 v48, v26, v39
	v_and_b32_e32 v39, 0x7f800000, v48
	v_cmp_ne_u32_e64 s[0:1], s9, v39
                                        ; implicit-def: $vgpr39
	s_and_saveexec_b64 s[6:7], s[0:1]
	s_xor_b64 s[0:1], exec, s[6:7]
; %bb.630:                              ;   in Loop: Header=BB371_267 Depth=1
	v_bfe_u32 v39, v48, 16, 1
	v_add3_u32 v39, v48, v39, s12
                                        ; implicit-def: $vgpr48
; %bb.631:                              ;   in Loop: Header=BB371_267 Depth=1
	s_andn2_saveexec_b64 s[6:7], s[0:1]
; %bb.632:                              ;   in Loop: Header=BB371_267 Depth=1
	v_or_b32_e32 v39, 0x10000, v48
	v_cmp_eq_u32_sdwa s[0:1], v48, v11 src0_sel:WORD_0 src1_sel:DWORD
	s_nop 1
	v_cndmask_b32_e64 v39, v39, v48, s[0:1]
; %bb.633:                              ;   in Loop: Header=BB371_267 Depth=1
	s_or_b64 exec, exec, s[6:7]
	v_bfe_u32 v48, v2, 8, 8
	v_cvt_f32_fp8_sdwa v48, v48 src0_sel:BYTE_0
	s_nop 0
	v_mul_f32_e32 v49, v26, v48
	v_and_b32_e32 v48, 0x7f800000, v49
	v_cmp_ne_u32_e64 s[0:1], s9, v48
                                        ; implicit-def: $vgpr48
	s_and_saveexec_b64 s[6:7], s[0:1]
	s_xor_b64 s[0:1], exec, s[6:7]
; %bb.634:                              ;   in Loop: Header=BB371_267 Depth=1
	v_bfe_u32 v48, v49, 16, 1
	v_add3_u32 v48, v49, v48, s12
                                        ; implicit-def: $vgpr49
; %bb.635:                              ;   in Loop: Header=BB371_267 Depth=1
	s_andn2_saveexec_b64 s[6:7], s[0:1]
; %bb.636:                              ;   in Loop: Header=BB371_267 Depth=1
	v_or_b32_e32 v48, 0x10000, v49
	v_cmp_eq_u32_sdwa s[0:1], v49, v11 src0_sel:WORD_0 src1_sel:DWORD
	s_nop 1
	v_cndmask_b32_e64 v48, v48, v49, s[0:1]
; %bb.637:                              ;   in Loop: Header=BB371_267 Depth=1
	s_or_b64 exec, exec, s[6:7]
	v_bfe_u32 v49, v2, 16, 8
	v_cvt_f32_fp8_sdwa v49, v49 src0_sel:BYTE_0
	s_nop 0
	v_mul_f32_e32 v50, v26, v49
	v_and_b32_e32 v49, 0x7f800000, v50
	v_cmp_ne_u32_e64 s[0:1], s9, v49
                                        ; implicit-def: $vgpr49
	s_and_saveexec_b64 s[6:7], s[0:1]
	s_xor_b64 s[0:1], exec, s[6:7]
; %bb.638:                              ;   in Loop: Header=BB371_267 Depth=1
	v_bfe_u32 v49, v50, 16, 1
	v_add3_u32 v49, v50, v49, s12
                                        ; implicit-def: $vgpr50
; %bb.639:                              ;   in Loop: Header=BB371_267 Depth=1
	s_andn2_saveexec_b64 s[6:7], s[0:1]
; %bb.640:                              ;   in Loop: Header=BB371_267 Depth=1
	v_or_b32_e32 v49, 0x10000, v50
	v_cmp_eq_u32_sdwa s[0:1], v50, v11 src0_sel:WORD_0 src1_sel:DWORD
	s_nop 1
	v_cndmask_b32_e64 v49, v49, v50, s[0:1]
; %bb.641:                              ;   in Loop: Header=BB371_267 Depth=1
	s_or_b64 exec, exec, s[6:7]
	v_lshrrev_b32_e32 v2, 24, v2
	v_cvt_f32_fp8_sdwa v2, v2 src0_sel:BYTE_0
	s_nop 0
	v_mul_f32_e32 v50, v26, v2
	v_and_b32_e32 v2, 0x7f800000, v50
	v_cmp_ne_u32_e64 s[0:1], s9, v2
                                        ; implicit-def: $vgpr2
	s_and_saveexec_b64 s[6:7], s[0:1]
	s_xor_b64 s[0:1], exec, s[6:7]
; %bb.642:                              ;   in Loop: Header=BB371_267 Depth=1
	v_bfe_u32 v2, v50, 16, 1
	v_add3_u32 v2, v50, v2, s12
                                        ; implicit-def: $vgpr50
; %bb.643:                              ;   in Loop: Header=BB371_267 Depth=1
	s_andn2_saveexec_b64 s[6:7], s[0:1]
; %bb.644:                              ;   in Loop: Header=BB371_267 Depth=1
	v_or_b32_e32 v2, 0x10000, v50
	v_cmp_eq_u32_sdwa s[0:1], v50, v11 src0_sel:WORD_0 src1_sel:DWORD
	s_nop 1
	v_cndmask_b32_e64 v2, v2, v50, s[0:1]
; %bb.645:                              ;   in Loop: Header=BB371_267 Depth=1
	s_or_b64 exec, exec, s[6:7]
	v_and_b32_e32 v50, 0xff, v3
	v_cvt_f32_fp8_sdwa v50, v50 src0_sel:BYTE_0
	s_nop 0
	v_mul_f32_e32 v50, v26, v50
	v_and_b32_e32 v51, 0x7f800000, v50
	v_cmp_ne_u32_e64 s[0:1], s9, v51
                                        ; implicit-def: $vgpr51
	s_and_saveexec_b64 s[6:7], s[0:1]
	s_xor_b64 s[0:1], exec, s[6:7]
; %bb.646:                              ;   in Loop: Header=BB371_267 Depth=1
	v_bfe_u32 v51, v50, 16, 1
	v_add3_u32 v51, v50, v51, s12
                                        ; implicit-def: $vgpr50
; %bb.647:                              ;   in Loop: Header=BB371_267 Depth=1
	s_andn2_saveexec_b64 s[6:7], s[0:1]
; %bb.648:                              ;   in Loop: Header=BB371_267 Depth=1
	v_or_b32_e32 v51, 0x10000, v50
	v_cmp_eq_u32_sdwa s[0:1], v50, v11 src0_sel:WORD_0 src1_sel:DWORD
	s_nop 1
	v_cndmask_b32_e64 v51, v51, v50, s[0:1]
; %bb.649:                              ;   in Loop: Header=BB371_267 Depth=1
	s_or_b64 exec, exec, s[6:7]
	v_bfe_u32 v50, v3, 8, 8
	v_cvt_f32_fp8_sdwa v50, v50 src0_sel:BYTE_0
	s_nop 0
	v_mul_f32_e32 v52, v26, v50
	v_and_b32_e32 v50, 0x7f800000, v52
	v_cmp_ne_u32_e64 s[0:1], s9, v50
                                        ; implicit-def: $vgpr50
	s_and_saveexec_b64 s[6:7], s[0:1]
	s_xor_b64 s[0:1], exec, s[6:7]
; %bb.650:                              ;   in Loop: Header=BB371_267 Depth=1
	v_bfe_u32 v50, v52, 16, 1
	v_add3_u32 v50, v52, v50, s12
                                        ; implicit-def: $vgpr52
; %bb.651:                              ;   in Loop: Header=BB371_267 Depth=1
	s_andn2_saveexec_b64 s[6:7], s[0:1]
; %bb.652:                              ;   in Loop: Header=BB371_267 Depth=1
	v_or_b32_e32 v50, 0x10000, v52
	v_cmp_eq_u32_sdwa s[0:1], v52, v11 src0_sel:WORD_0 src1_sel:DWORD
	s_nop 1
	v_cndmask_b32_e64 v50, v50, v52, s[0:1]
; %bb.653:                              ;   in Loop: Header=BB371_267 Depth=1
	s_or_b64 exec, exec, s[6:7]
	v_bfe_u32 v52, v3, 16, 8
	v_cvt_f32_fp8_sdwa v52, v52 src0_sel:BYTE_0
	s_nop 0
	v_mul_f32_e32 v53, v26, v52
	v_and_b32_e32 v52, 0x7f800000, v53
	v_cmp_ne_u32_e64 s[0:1], s9, v52
                                        ; implicit-def: $vgpr52
	s_and_saveexec_b64 s[6:7], s[0:1]
	s_xor_b64 s[0:1], exec, s[6:7]
; %bb.654:                              ;   in Loop: Header=BB371_267 Depth=1
	v_bfe_u32 v52, v53, 16, 1
	v_add3_u32 v52, v53, v52, s12
                                        ; implicit-def: $vgpr53
; %bb.655:                              ;   in Loop: Header=BB371_267 Depth=1
	s_andn2_saveexec_b64 s[6:7], s[0:1]
; %bb.656:                              ;   in Loop: Header=BB371_267 Depth=1
	v_or_b32_e32 v52, 0x10000, v53
	v_cmp_eq_u32_sdwa s[0:1], v53, v11 src0_sel:WORD_0 src1_sel:DWORD
	s_nop 1
	v_cndmask_b32_e64 v52, v52, v53, s[0:1]
; %bb.657:                              ;   in Loop: Header=BB371_267 Depth=1
	s_or_b64 exec, exec, s[6:7]
	v_lshrrev_b32_e32 v3, 24, v3
	v_cvt_f32_fp8_sdwa v3, v3 src0_sel:BYTE_0
                                        ; implicit-def: $vgpr57
	s_nop 0
	v_mul_f32_e32 v3, v26, v3
	v_and_b32_e32 v53, 0x7f800000, v3
	v_cmp_ne_u32_e64 s[0:1], s9, v53
	s_and_saveexec_b64 s[6:7], s[0:1]
	s_xor_b64 s[0:1], exec, s[6:7]
; %bb.658:                              ;   in Loop: Header=BB371_267 Depth=1
	v_bfe_u32 v53, v3, 16, 1
	v_add3_u32 v57, v3, v53, s12
                                        ; implicit-def: $vgpr3
; %bb.659:                              ;   in Loop: Header=BB371_267 Depth=1
	s_andn2_saveexec_b64 s[6:7], s[0:1]
; %bb.660:                              ;   in Loop: Header=BB371_267 Depth=1
	v_or_b32_e32 v53, 0x10000, v3
	v_cmp_eq_u32_sdwa s[0:1], v3, v11 src0_sel:WORD_0 src1_sel:DWORD
	s_nop 1
	v_cndmask_b32_e64 v57, v53, v3, s[0:1]
; %bb.661:                              ;   in Loop: Header=BB371_267 Depth=1
	s_or_b64 exec, exec, s[6:7]
	v_lshrrev_b32_e32 v50, 16, v50
	v_lshrrev_b32_e32 v53, 16, v51
	;; [unrolled: 1-line block ×8, first 2 shown]
	s_and_saveexec_b64 s[6:7], vcc
	s_cbranch_execz .LBB371_663
; %bb.662:                              ;   in Loop: Header=BB371_267 Depth=1
	v_accvgpr_read_b32 v39, a20
	v_cmp_lt_i32_e64 s[0:1], v39, v35
	v_accvgpr_read_b32 v39, a26
	s_nop 0
	v_cndmask_b32_e64 v2, 0, v2, s[0:1]
	v_cmp_lt_i32_e64 s[0:1], v39, v35
	v_accvgpr_read_b32 v39, a25
	s_nop 0
	v_cndmask_b32_e64 v3, 0, v3, s[0:1]
	;; [unrolled: 4-line block ×6, first 2 shown]
	v_cmp_lt_i32_e64 s[0:1], v39, v35
	s_nop 1
	v_cndmask_b32_e64 v51, 0, v51, s[0:1]
	v_cmp_lt_i32_e64 s[0:1], v10, v35
	s_nop 1
	v_cndmask_b32_e64 v52, 0, v52, s[0:1]
.LBB371_663:                            ;   in Loop: Header=BB371_267 Depth=1
	s_or_b64 exec, exec, s[6:7]
	v_lshlrev_b32_e32 v2, 16, v2
	v_mul_f32_e32 v39, v54, v2
	v_and_b32_e32 v2, 0x7f800000, v39
	v_cmp_ne_u32_e64 s[0:1], s9, v2
                                        ; implicit-def: $vgpr2
	s_and_saveexec_b64 s[6:7], s[0:1]
	s_xor_b64 s[0:1], exec, s[6:7]
; %bb.664:                              ;   in Loop: Header=BB371_267 Depth=1
	v_bfe_u32 v2, v39, 16, 1
	v_add3_u32 v2, v39, v2, s12
                                        ; implicit-def: $vgpr39
; %bb.665:                              ;   in Loop: Header=BB371_267 Depth=1
	s_andn2_saveexec_b64 s[6:7], s[0:1]
; %bb.666:                              ;   in Loop: Header=BB371_267 Depth=1
	v_or_b32_e32 v2, 0x10000, v39
	v_cmp_eq_u32_sdwa s[0:1], v39, v11 src0_sel:WORD_0 src1_sel:DWORD
	s_nop 1
	v_cndmask_b32_e64 v2, v2, v39, s[0:1]
; %bb.667:                              ;   in Loop: Header=BB371_267 Depth=1
	s_or_b64 exec, exec, s[6:7]
	v_lshlrev_b32_e32 v3, 16, v3
	v_mul_f32_e32 v39, v55, v3
	v_and_b32_e32 v3, 0x7f800000, v39
	v_cmp_ne_u32_e64 s[0:1], s9, v3
                                        ; implicit-def: $vgpr3
	s_and_saveexec_b64 s[6:7], s[0:1]
	s_xor_b64 s[0:1], exec, s[6:7]
; %bb.668:                              ;   in Loop: Header=BB371_267 Depth=1
	v_bfe_u32 v3, v39, 16, 1
	v_add3_u32 v3, v39, v3, s12
                                        ; implicit-def: $vgpr39
; %bb.669:                              ;   in Loop: Header=BB371_267 Depth=1
	s_andn2_saveexec_b64 s[6:7], s[0:1]
; %bb.670:                              ;   in Loop: Header=BB371_267 Depth=1
	v_or_b32_e32 v3, 0x10000, v39
	v_cmp_eq_u32_sdwa s[0:1], v39, v11 src0_sel:WORD_0 src1_sel:DWORD
	s_nop 1
	v_cndmask_b32_e64 v3, v3, v39, s[0:1]
; %bb.671:                              ;   in Loop: Header=BB371_267 Depth=1
	s_or_b64 exec, exec, s[6:7]
	v_lshlrev_b32_e32 v39, 16, v49
	v_mul_f32_e32 v48, v40, v39
	v_and_b32_e32 v39, 0x7f800000, v48
	v_cmp_ne_u32_e64 s[0:1], s9, v39
                                        ; implicit-def: $vgpr39
	s_and_saveexec_b64 s[6:7], s[0:1]
	s_xor_b64 s[0:1], exec, s[6:7]
; %bb.672:                              ;   in Loop: Header=BB371_267 Depth=1
	v_bfe_u32 v39, v48, 16, 1
	v_add3_u32 v39, v48, v39, s12
                                        ; implicit-def: $vgpr48
; %bb.673:                              ;   in Loop: Header=BB371_267 Depth=1
	s_andn2_saveexec_b64 s[6:7], s[0:1]
; %bb.674:                              ;   in Loop: Header=BB371_267 Depth=1
	v_or_b32_e32 v39, 0x10000, v48
	v_cmp_eq_u32_sdwa s[0:1], v48, v11 src0_sel:WORD_0 src1_sel:DWORD
	s_nop 1
	v_cndmask_b32_e64 v39, v39, v48, s[0:1]
; %bb.675:                              ;   in Loop: Header=BB371_267 Depth=1
	s_or_b64 exec, exec, s[6:7]
	v_lshlrev_b32_e32 v48, 16, v56
	v_mul_f32_e32 v49, v41, v48
	v_and_b32_e32 v48, 0x7f800000, v49
	v_cmp_ne_u32_e64 s[0:1], s9, v48
                                        ; implicit-def: $vgpr48
	s_and_saveexec_b64 s[6:7], s[0:1]
	s_xor_b64 s[0:1], exec, s[6:7]
; %bb.676:                              ;   in Loop: Header=BB371_267 Depth=1
	v_bfe_u32 v48, v49, 16, 1
	v_add3_u32 v48, v49, v48, s12
                                        ; implicit-def: $vgpr49
; %bb.677:                              ;   in Loop: Header=BB371_267 Depth=1
	s_andn2_saveexec_b64 s[6:7], s[0:1]
; %bb.678:                              ;   in Loop: Header=BB371_267 Depth=1
	v_or_b32_e32 v48, 0x10000, v49
	v_cmp_eq_u32_sdwa s[0:1], v49, v11 src0_sel:WORD_0 src1_sel:DWORD
	s_nop 1
	v_cndmask_b32_e64 v48, v48, v49, s[0:1]
; %bb.679:                              ;   in Loop: Header=BB371_267 Depth=1
	s_or_b64 exec, exec, s[6:7]
	v_lshlrev_b32_e32 v49, 16, v53
	v_mul_f32_e32 v53, v42, v49
	v_and_b32_e32 v49, 0x7f800000, v53
	v_cmp_ne_u32_e64 s[0:1], s9, v49
                                        ; implicit-def: $vgpr49
	s_and_saveexec_b64 s[6:7], s[0:1]
	s_xor_b64 s[0:1], exec, s[6:7]
; %bb.680:                              ;   in Loop: Header=BB371_267 Depth=1
	v_bfe_u32 v49, v53, 16, 1
	v_add3_u32 v49, v53, v49, s12
                                        ; implicit-def: $vgpr53
; %bb.681:                              ;   in Loop: Header=BB371_267 Depth=1
	s_andn2_saveexec_b64 s[6:7], s[0:1]
; %bb.682:                              ;   in Loop: Header=BB371_267 Depth=1
	v_or_b32_e32 v49, 0x10000, v53
	v_cmp_eq_u32_sdwa s[0:1], v53, v11 src0_sel:WORD_0 src1_sel:DWORD
	s_nop 1
	v_cndmask_b32_e64 v49, v49, v53, s[0:1]
; %bb.683:                              ;   in Loop: Header=BB371_267 Depth=1
	s_or_b64 exec, exec, s[6:7]
	v_lshlrev_b32_e32 v50, 16, v50
	v_mul_f32_e32 v53, v43, v50
	v_and_b32_e32 v50, 0x7f800000, v53
	v_cmp_ne_u32_e64 s[0:1], s9, v50
                                        ; implicit-def: $vgpr50
	s_and_saveexec_b64 s[6:7], s[0:1]
	s_xor_b64 s[0:1], exec, s[6:7]
; %bb.684:                              ;   in Loop: Header=BB371_267 Depth=1
	v_bfe_u32 v50, v53, 16, 1
	v_add3_u32 v50, v53, v50, s12
                                        ; implicit-def: $vgpr53
; %bb.685:                              ;   in Loop: Header=BB371_267 Depth=1
	s_andn2_saveexec_b64 s[6:7], s[0:1]
; %bb.686:                              ;   in Loop: Header=BB371_267 Depth=1
	v_or_b32_e32 v50, 0x10000, v53
	v_cmp_eq_u32_sdwa s[0:1], v53, v11 src0_sel:WORD_0 src1_sel:DWORD
	s_nop 1
	v_cndmask_b32_e64 v50, v50, v53, s[0:1]
; %bb.687:                              ;   in Loop: Header=BB371_267 Depth=1
	s_or_b64 exec, exec, s[6:7]
	v_lshlrev_b32_e32 v51, 16, v51
	v_mul_f32_e32 v53, v44, v51
	v_and_b32_e32 v51, 0x7f800000, v53
	v_cmp_ne_u32_e64 s[0:1], s9, v51
                                        ; implicit-def: $vgpr51
	s_and_saveexec_b64 s[6:7], s[0:1]
	s_xor_b64 s[0:1], exec, s[6:7]
; %bb.688:                              ;   in Loop: Header=BB371_267 Depth=1
	v_bfe_u32 v51, v53, 16, 1
	v_add3_u32 v51, v53, v51, s12
                                        ; implicit-def: $vgpr53
; %bb.689:                              ;   in Loop: Header=BB371_267 Depth=1
	s_andn2_saveexec_b64 s[6:7], s[0:1]
; %bb.690:                              ;   in Loop: Header=BB371_267 Depth=1
	v_or_b32_e32 v51, 0x10000, v53
	v_cmp_eq_u32_sdwa s[0:1], v53, v11 src0_sel:WORD_0 src1_sel:DWORD
	s_nop 1
	v_cndmask_b32_e64 v51, v51, v53, s[0:1]
; %bb.691:                              ;   in Loop: Header=BB371_267 Depth=1
	s_or_b64 exec, exec, s[6:7]
	v_lshlrev_b32_e32 v52, 16, v52
	v_mul_f32_e32 v53, v45, v52
	v_and_b32_e32 v52, 0x7f800000, v53
	v_cmp_ne_u32_e64 s[0:1], s9, v52
                                        ; implicit-def: $vgpr52
	s_and_saveexec_b64 s[6:7], s[0:1]
	s_xor_b64 s[0:1], exec, s[6:7]
; %bb.692:                              ;   in Loop: Header=BB371_267 Depth=1
	v_bfe_u32 v52, v53, 16, 1
	v_add3_u32 v52, v53, v52, s12
                                        ; implicit-def: $vgpr53
; %bb.693:                              ;   in Loop: Header=BB371_267 Depth=1
	s_andn2_saveexec_b64 s[6:7], s[0:1]
; %bb.694:                              ;   in Loop: Header=BB371_267 Depth=1
	v_or_b32_e32 v52, 0x10000, v53
	v_cmp_eq_u32_sdwa s[0:1], v53, v11 src0_sel:WORD_0 src1_sel:DWORD
	s_nop 1
	v_cndmask_b32_e64 v52, v52, v53, s[0:1]
; %bb.695:                              ;   in Loop: Header=BB371_267 Depth=1
	s_or_b64 exec, exec, s[6:7]
	flat_load_dwordx2 v[0:1], v[0:1] offset:3072
	s_waitcnt vmcnt(0) lgkmcnt(0)
	v_and_b32_e32 v53, 0xff, v0
	v_cvt_f32_fp8_sdwa v53, v53 src0_sel:BYTE_0
	s_nop 0
	v_mul_f32_e32 v53, v26, v53
	v_and_b32_e32 v56, 0x7f800000, v53
	v_cmp_ne_u32_e64 s[0:1], s9, v56
                                        ; implicit-def: $vgpr56
	s_and_saveexec_b64 s[6:7], s[0:1]
	s_xor_b64 s[0:1], exec, s[6:7]
; %bb.696:                              ;   in Loop: Header=BB371_267 Depth=1
	v_bfe_u32 v56, v53, 16, 1
	v_add3_u32 v56, v53, v56, s12
                                        ; implicit-def: $vgpr53
; %bb.697:                              ;   in Loop: Header=BB371_267 Depth=1
	s_andn2_saveexec_b64 s[6:7], s[0:1]
; %bb.698:                              ;   in Loop: Header=BB371_267 Depth=1
	v_or_b32_e32 v56, 0x10000, v53
	v_cmp_eq_u32_sdwa s[0:1], v53, v11 src0_sel:WORD_0 src1_sel:DWORD
	s_nop 1
	v_cndmask_b32_e64 v56, v56, v53, s[0:1]
; %bb.699:                              ;   in Loop: Header=BB371_267 Depth=1
	s_or_b64 exec, exec, s[6:7]
	v_bfe_u32 v53, v0, 8, 8
	v_cvt_f32_fp8_sdwa v53, v53 src0_sel:BYTE_0
	s_nop 0
	v_mul_f32_e32 v53, v26, v53
	v_and_b32_e32 v57, 0x7f800000, v53
	v_cmp_ne_u32_e64 s[0:1], s9, v57
                                        ; implicit-def: $vgpr57
	s_and_saveexec_b64 s[6:7], s[0:1]
	s_xor_b64 s[0:1], exec, s[6:7]
; %bb.700:                              ;   in Loop: Header=BB371_267 Depth=1
	v_bfe_u32 v57, v53, 16, 1
	v_add3_u32 v57, v53, v57, s12
                                        ; implicit-def: $vgpr53
; %bb.701:                              ;   in Loop: Header=BB371_267 Depth=1
	s_andn2_saveexec_b64 s[6:7], s[0:1]
; %bb.702:                              ;   in Loop: Header=BB371_267 Depth=1
	v_or_b32_e32 v57, 0x10000, v53
	v_cmp_eq_u32_sdwa s[0:1], v53, v11 src0_sel:WORD_0 src1_sel:DWORD
	s_nop 1
	v_cndmask_b32_e64 v57, v57, v53, s[0:1]
; %bb.703:                              ;   in Loop: Header=BB371_267 Depth=1
	s_or_b64 exec, exec, s[6:7]
	v_bfe_u32 v53, v0, 16, 8
	v_cvt_f32_fp8_sdwa v53, v53 src0_sel:BYTE_0
	s_nop 0
	v_mul_f32_e32 v58, v26, v53
	v_and_b32_e32 v53, 0x7f800000, v58
	v_cmp_ne_u32_e64 s[0:1], s9, v53
                                        ; implicit-def: $vgpr53
	s_and_saveexec_b64 s[6:7], s[0:1]
	s_xor_b64 s[0:1], exec, s[6:7]
; %bb.704:                              ;   in Loop: Header=BB371_267 Depth=1
	v_bfe_u32 v53, v58, 16, 1
	v_add3_u32 v53, v58, v53, s12
                                        ; implicit-def: $vgpr58
; %bb.705:                              ;   in Loop: Header=BB371_267 Depth=1
	s_andn2_saveexec_b64 s[6:7], s[0:1]
; %bb.706:                              ;   in Loop: Header=BB371_267 Depth=1
	v_or_b32_e32 v53, 0x10000, v58
	v_cmp_eq_u32_sdwa s[0:1], v58, v11 src0_sel:WORD_0 src1_sel:DWORD
	s_nop 1
	v_cndmask_b32_e64 v53, v53, v58, s[0:1]
; %bb.707:                              ;   in Loop: Header=BB371_267 Depth=1
	s_or_b64 exec, exec, s[6:7]
	v_lshrrev_b32_e32 v0, 24, v0
	v_cvt_f32_fp8_sdwa v0, v0 src0_sel:BYTE_0
	s_nop 0
	v_mul_f32_e32 v58, v26, v0
	v_and_b32_e32 v0, 0x7f800000, v58
	v_cmp_ne_u32_e64 s[0:1], s9, v0
                                        ; implicit-def: $vgpr0
	s_and_saveexec_b64 s[6:7], s[0:1]
	s_xor_b64 s[0:1], exec, s[6:7]
; %bb.708:                              ;   in Loop: Header=BB371_267 Depth=1
	v_bfe_u32 v0, v58, 16, 1
	v_add3_u32 v0, v58, v0, s12
                                        ; implicit-def: $vgpr58
; %bb.709:                              ;   in Loop: Header=BB371_267 Depth=1
	s_andn2_saveexec_b64 s[6:7], s[0:1]
; %bb.710:                              ;   in Loop: Header=BB371_267 Depth=1
	v_or_b32_e32 v0, 0x10000, v58
	v_cmp_eq_u32_sdwa s[0:1], v58, v11 src0_sel:WORD_0 src1_sel:DWORD
	s_nop 1
	v_cndmask_b32_e64 v0, v0, v58, s[0:1]
; %bb.711:                              ;   in Loop: Header=BB371_267 Depth=1
	s_or_b64 exec, exec, s[6:7]
	v_and_b32_e32 v58, 0xff, v1
	v_cvt_f32_fp8_sdwa v58, v58 src0_sel:BYTE_0
	s_nop 0
	v_mul_f32_e32 v58, v26, v58
	v_and_b32_e32 v59, 0x7f800000, v58
	v_cmp_ne_u32_e64 s[0:1], s9, v59
                                        ; implicit-def: $vgpr59
	s_and_saveexec_b64 s[6:7], s[0:1]
	s_xor_b64 s[0:1], exec, s[6:7]
; %bb.712:                              ;   in Loop: Header=BB371_267 Depth=1
	v_bfe_u32 v59, v58, 16, 1
	v_add3_u32 v59, v58, v59, s12
                                        ; implicit-def: $vgpr58
; %bb.713:                              ;   in Loop: Header=BB371_267 Depth=1
	s_andn2_saveexec_b64 s[6:7], s[0:1]
; %bb.714:                              ;   in Loop: Header=BB371_267 Depth=1
	v_or_b32_e32 v59, 0x10000, v58
	v_cmp_eq_u32_sdwa s[0:1], v58, v11 src0_sel:WORD_0 src1_sel:DWORD
	s_nop 1
	v_cndmask_b32_e64 v59, v59, v58, s[0:1]
; %bb.715:                              ;   in Loop: Header=BB371_267 Depth=1
	s_or_b64 exec, exec, s[6:7]
	v_bfe_u32 v58, v1, 8, 8
	v_cvt_f32_fp8_sdwa v58, v58 src0_sel:BYTE_0
	s_nop 0
	v_mul_f32_e32 v60, v26, v58
	v_and_b32_e32 v58, 0x7f800000, v60
	v_cmp_ne_u32_e64 s[0:1], s9, v58
                                        ; implicit-def: $vgpr58
	s_and_saveexec_b64 s[6:7], s[0:1]
	s_xor_b64 s[0:1], exec, s[6:7]
; %bb.716:                              ;   in Loop: Header=BB371_267 Depth=1
	v_bfe_u32 v58, v60, 16, 1
	v_add3_u32 v58, v60, v58, s12
                                        ; implicit-def: $vgpr60
; %bb.717:                              ;   in Loop: Header=BB371_267 Depth=1
	s_andn2_saveexec_b64 s[6:7], s[0:1]
; %bb.718:                              ;   in Loop: Header=BB371_267 Depth=1
	v_or_b32_e32 v58, 0x10000, v60
	v_cmp_eq_u32_sdwa s[0:1], v60, v11 src0_sel:WORD_0 src1_sel:DWORD
	s_nop 1
	v_cndmask_b32_e64 v58, v58, v60, s[0:1]
; %bb.719:                              ;   in Loop: Header=BB371_267 Depth=1
	s_or_b64 exec, exec, s[6:7]
	v_bfe_u32 v60, v1, 16, 8
	v_cvt_f32_fp8_sdwa v60, v60 src0_sel:BYTE_0
	s_nop 0
	v_mul_f32_e32 v60, v26, v60
	v_and_b32_e32 v61, 0x7f800000, v60
	v_cmp_ne_u32_e64 s[0:1], s9, v61
                                        ; implicit-def: $vgpr61
	s_and_saveexec_b64 s[6:7], s[0:1]
	s_xor_b64 s[0:1], exec, s[6:7]
; %bb.720:                              ;   in Loop: Header=BB371_267 Depth=1
	v_bfe_u32 v61, v60, 16, 1
	v_add3_u32 v61, v60, v61, s12
                                        ; implicit-def: $vgpr60
; %bb.721:                              ;   in Loop: Header=BB371_267 Depth=1
	s_andn2_saveexec_b64 s[6:7], s[0:1]
; %bb.722:                              ;   in Loop: Header=BB371_267 Depth=1
	v_or_b32_e32 v61, 0x10000, v60
	v_cmp_eq_u32_sdwa s[0:1], v60, v11 src0_sel:WORD_0 src1_sel:DWORD
	s_nop 1
	v_cndmask_b32_e64 v61, v61, v60, s[0:1]
; %bb.723:                              ;   in Loop: Header=BB371_267 Depth=1
	s_or_b64 exec, exec, s[6:7]
	v_lshrrev_b32_e32 v1, 24, v1
	v_cvt_f32_fp8_sdwa v1, v1 src0_sel:BYTE_0
                                        ; implicit-def: $vgpr62
	s_nop 0
	v_mul_f32_e32 v1, v26, v1
	v_and_b32_e32 v60, 0x7f800000, v1
	v_cmp_ne_u32_e64 s[0:1], s9, v60
	s_and_saveexec_b64 s[6:7], s[0:1]
	s_xor_b64 s[0:1], exec, s[6:7]
; %bb.724:                              ;   in Loop: Header=BB371_267 Depth=1
	v_bfe_u32 v60, v1, 16, 1
	v_add3_u32 v62, v1, v60, s12
                                        ; implicit-def: $vgpr1
; %bb.725:                              ;   in Loop: Header=BB371_267 Depth=1
	s_andn2_saveexec_b64 s[6:7], s[0:1]
; %bb.726:                              ;   in Loop: Header=BB371_267 Depth=1
	v_or_b32_e32 v60, 0x10000, v1
	v_cmp_eq_u32_sdwa s[0:1], v1, v11 src0_sel:WORD_0 src1_sel:DWORD
	s_nop 1
	v_cndmask_b32_e64 v62, v60, v1, s[0:1]
; %bb.727:                              ;   in Loop: Header=BB371_267 Depth=1
	s_or_b64 exec, exec, s[6:7]
	v_lshrrev_b32_e32 v58, 16, v58
	v_lshrrev_b32_e32 v59, 16, v59
	v_lshrrev_b32_e32 v60, 16, v0
	v_lshrrev_b32_e32 v53, 16, v53
	v_lshrrev_b32_e32 v1, 16, v57
	v_lshrrev_b32_e32 v0, 16, v56
	v_lshrrev_b32_e32 v57, 16, v61
	v_lshrrev_b32_e32 v56, 16, v62
	s_and_saveexec_b64 s[0:1], vcc
	s_cbranch_execz .LBB371_729
; %bb.728:                              ;   in Loop: Header=BB371_267 Depth=1
	v_accvgpr_read_b32 v61, a20
	v_cmp_lt_i32_e32 vcc, v61, v35
	v_accvgpr_read_b32 v61, a26
	s_nop 0
	v_cndmask_b32_e32 v0, 0, v0, vcc
	v_cmp_lt_i32_e32 vcc, v61, v35
	v_accvgpr_read_b32 v61, a25
	s_nop 0
	v_cndmask_b32_e32 v1, 0, v1, vcc
	;; [unrolled: 4-line block ×6, first 2 shown]
	v_cmp_lt_i32_e32 vcc, v61, v35
	s_nop 1
	v_cndmask_b32_e32 v57, 0, v57, vcc
	v_cmp_lt_i32_e32 vcc, v10, v35
	s_nop 1
	v_cndmask_b32_e32 v56, 0, v56, vcc
.LBB371_729:                            ;   in Loop: Header=BB371_267 Depth=1
	s_or_b64 exec, exec, s[0:1]
	v_lshlrev_b32_e32 v0, 16, v0
	v_mul_f32_e32 v54, v54, v0
	v_and_b32_e32 v0, 0x7f800000, v54
	v_cmp_ne_u32_e32 vcc, s9, v0
                                        ; implicit-def: $vgpr0
	s_and_saveexec_b64 s[0:1], vcc
	s_xor_b64 s[0:1], exec, s[0:1]
; %bb.730:                              ;   in Loop: Header=BB371_267 Depth=1
	v_bfe_u32 v0, v54, 16, 1
	v_add3_u32 v0, v54, v0, s12
                                        ; implicit-def: $vgpr54
; %bb.731:                              ;   in Loop: Header=BB371_267 Depth=1
	s_andn2_saveexec_b64 s[0:1], s[0:1]
; %bb.732:                              ;   in Loop: Header=BB371_267 Depth=1
	v_or_b32_e32 v0, 0x10000, v54
	v_cmp_eq_u32_sdwa vcc, v54, v11 src0_sel:WORD_0 src1_sel:DWORD
	s_nop 1
	v_cndmask_b32_e32 v0, v0, v54, vcc
; %bb.733:                              ;   in Loop: Header=BB371_267 Depth=1
	s_or_b64 exec, exec, s[0:1]
	v_lshlrev_b32_e32 v1, 16, v1
	v_mul_f32_e32 v54, v55, v1
	v_and_b32_e32 v1, 0x7f800000, v54
	v_cmp_ne_u32_e32 vcc, s9, v1
                                        ; implicit-def: $vgpr1
	s_and_saveexec_b64 s[0:1], vcc
	s_xor_b64 s[0:1], exec, s[0:1]
; %bb.734:                              ;   in Loop: Header=BB371_267 Depth=1
	v_bfe_u32 v1, v54, 16, 1
	v_add3_u32 v1, v54, v1, s12
                                        ; implicit-def: $vgpr54
; %bb.735:                              ;   in Loop: Header=BB371_267 Depth=1
	s_andn2_saveexec_b64 s[0:1], s[0:1]
; %bb.736:                              ;   in Loop: Header=BB371_267 Depth=1
	v_or_b32_e32 v1, 0x10000, v54
	v_cmp_eq_u32_sdwa vcc, v54, v11 src0_sel:WORD_0 src1_sel:DWORD
	s_nop 1
	v_cndmask_b32_e32 v1, v1, v54, vcc
; %bb.737:                              ;   in Loop: Header=BB371_267 Depth=1
	s_or_b64 exec, exec, s[0:1]
	v_lshlrev_b32_e32 v53, 16, v53
	v_mul_f32_e32 v54, v40, v53
	v_and_b32_e32 v53, 0x7f800000, v54
	v_cmp_ne_u32_e32 vcc, s9, v53
                                        ; implicit-def: $vgpr53
	s_and_saveexec_b64 s[0:1], vcc
	s_xor_b64 s[0:1], exec, s[0:1]
; %bb.738:                              ;   in Loop: Header=BB371_267 Depth=1
	v_bfe_u32 v53, v54, 16, 1
	v_add3_u32 v53, v54, v53, s12
                                        ; implicit-def: $vgpr54
; %bb.739:                              ;   in Loop: Header=BB371_267 Depth=1
	s_andn2_saveexec_b64 s[0:1], s[0:1]
; %bb.740:                              ;   in Loop: Header=BB371_267 Depth=1
	v_or_b32_e32 v53, 0x10000, v54
	v_cmp_eq_u32_sdwa vcc, v54, v11 src0_sel:WORD_0 src1_sel:DWORD
	s_nop 1
	v_cndmask_b32_e32 v53, v53, v54, vcc
; %bb.741:                              ;   in Loop: Header=BB371_267 Depth=1
	s_or_b64 exec, exec, s[0:1]
	v_lshlrev_b32_e32 v54, 16, v60
	v_mul_f32_e32 v55, v41, v54
	v_and_b32_e32 v54, 0x7f800000, v55
	v_cmp_ne_u32_e32 vcc, s9, v54
                                        ; implicit-def: $vgpr54
	s_and_saveexec_b64 s[0:1], vcc
	s_xor_b64 s[0:1], exec, s[0:1]
; %bb.742:                              ;   in Loop: Header=BB371_267 Depth=1
	v_bfe_u32 v54, v55, 16, 1
	v_add3_u32 v54, v55, v54, s12
                                        ; implicit-def: $vgpr55
; %bb.743:                              ;   in Loop: Header=BB371_267 Depth=1
	s_andn2_saveexec_b64 s[0:1], s[0:1]
; %bb.744:                              ;   in Loop: Header=BB371_267 Depth=1
	v_or_b32_e32 v54, 0x10000, v55
	v_cmp_eq_u32_sdwa vcc, v55, v11 src0_sel:WORD_0 src1_sel:DWORD
	s_nop 1
	v_cndmask_b32_e32 v54, v54, v55, vcc
; %bb.745:                              ;   in Loop: Header=BB371_267 Depth=1
	s_or_b64 exec, exec, s[0:1]
	v_lshlrev_b32_e32 v55, 16, v59
	v_mul_f32_e32 v40, v42, v55
	v_and_b32_e32 v55, 0x7f800000, v40
	v_cmp_ne_u32_e32 vcc, s9, v55
                                        ; implicit-def: $vgpr55
	s_and_saveexec_b64 s[0:1], vcc
	s_xor_b64 s[0:1], exec, s[0:1]
; %bb.746:                              ;   in Loop: Header=BB371_267 Depth=1
	v_bfe_u32 v55, v40, 16, 1
	v_add3_u32 v55, v40, v55, s12
                                        ; implicit-def: $vgpr40
; %bb.747:                              ;   in Loop: Header=BB371_267 Depth=1
	s_andn2_saveexec_b64 s[0:1], s[0:1]
; %bb.748:                              ;   in Loop: Header=BB371_267 Depth=1
	v_or_b32_e32 v55, 0x10000, v40
	v_cmp_eq_u32_sdwa vcc, v40, v11 src0_sel:WORD_0 src1_sel:DWORD
	s_nop 1
	v_cndmask_b32_e32 v55, v55, v40, vcc
; %bb.749:                              ;   in Loop: Header=BB371_267 Depth=1
	s_or_b64 exec, exec, s[0:1]
	v_lshlrev_b32_e32 v40, 16, v58
	v_mul_f32_e32 v41, v43, v40
	v_and_b32_e32 v40, 0x7f800000, v41
	v_cmp_ne_u32_e32 vcc, s9, v40
                                        ; implicit-def: $vgpr40
	s_and_saveexec_b64 s[0:1], vcc
	s_xor_b64 s[0:1], exec, s[0:1]
; %bb.750:                              ;   in Loop: Header=BB371_267 Depth=1
	v_bfe_u32 v40, v41, 16, 1
	v_add3_u32 v40, v41, v40, s12
                                        ; implicit-def: $vgpr41
; %bb.751:                              ;   in Loop: Header=BB371_267 Depth=1
	s_andn2_saveexec_b64 s[0:1], s[0:1]
; %bb.752:                              ;   in Loop: Header=BB371_267 Depth=1
	v_or_b32_e32 v40, 0x10000, v41
	v_cmp_eq_u32_sdwa vcc, v41, v11 src0_sel:WORD_0 src1_sel:DWORD
	s_nop 1
	v_cndmask_b32_e32 v40, v40, v41, vcc
; %bb.753:                              ;   in Loop: Header=BB371_267 Depth=1
	s_or_b64 exec, exec, s[0:1]
	v_lshlrev_b32_e32 v41, 16, v57
	v_mul_f32_e32 v42, v44, v41
	v_and_b32_e32 v41, 0x7f800000, v42
	v_cmp_ne_u32_e32 vcc, s9, v41
                                        ; implicit-def: $vgpr41
	s_and_saveexec_b64 s[0:1], vcc
	s_xor_b64 s[0:1], exec, s[0:1]
; %bb.754:                              ;   in Loop: Header=BB371_267 Depth=1
	v_bfe_u32 v41, v42, 16, 1
	v_add3_u32 v41, v42, v41, s12
                                        ; implicit-def: $vgpr42
; %bb.755:                              ;   in Loop: Header=BB371_267 Depth=1
	s_andn2_saveexec_b64 s[0:1], s[0:1]
; %bb.756:                              ;   in Loop: Header=BB371_267 Depth=1
	v_or_b32_e32 v41, 0x10000, v42
	v_cmp_eq_u32_sdwa vcc, v42, v11 src0_sel:WORD_0 src1_sel:DWORD
	s_nop 1
	v_cndmask_b32_e32 v41, v41, v42, vcc
; %bb.757:                              ;   in Loop: Header=BB371_267 Depth=1
	s_or_b64 exec, exec, s[0:1]
	v_lshlrev_b32_e32 v42, 16, v56
	v_mul_f32_e32 v43, v45, v42
	v_and_b32_e32 v42, 0x7f800000, v43
	v_cmp_ne_u32_e32 vcc, s9, v42
                                        ; implicit-def: $vgpr42
	s_and_saveexec_b64 s[0:1], vcc
	s_xor_b64 s[0:1], exec, s[0:1]
; %bb.758:                              ;   in Loop: Header=BB371_267 Depth=1
	v_bfe_u32 v42, v43, 16, 1
	v_add3_u32 v42, v43, v42, s12
                                        ; implicit-def: $vgpr43
; %bb.759:                              ;   in Loop: Header=BB371_267 Depth=1
	s_andn2_saveexec_b64 s[0:1], s[0:1]
	s_cbranch_execz .LBB371_266
; %bb.760:                              ;   in Loop: Header=BB371_267 Depth=1
	v_or_b32_e32 v42, 0x10000, v43
	v_cmp_eq_u32_sdwa vcc, v43, v11 src0_sel:WORD_0 src1_sel:DWORD
	s_nop 1
	v_cndmask_b32_e32 v42, v42, v43, vcc
	s_branch .LBB371_266
.LBB371_761:
	s_or_b64 exec, exec, s[4:5]
	v_accvgpr_read_b32 v22, a5
	v_accvgpr_read_b32 v23, a6
	;; [unrolled: 1-line block ×4, first 2 shown]
.LBB371_762:
	s_or_b64 exec, exec, s[2:3]
	ds_bpermute_b32 v0, v23, v20
	ds_bpermute_b32 v1, v23, v21
	;; [unrolled: 1-line block ×5, first 2 shown]
	s_waitcnt lgkmcnt(0)
	v_pk_add_f32 v[0:1], v[20:21], v[0:1]
	ds_bpermute_b32 v4, v24, v0
	v_pk_add_f32 v[6:7], v[12:13], v[6:7]
	ds_bpermute_b32 v5, v24, v1
	ds_bpermute_b32 v12, v24, v6
	;; [unrolled: 1-line block ×3, first 2 shown]
	v_add_f32_e32 v14, v37, v8
	s_barrier
	s_waitcnt lgkmcnt(0)
	v_pk_add_f32 v[8:9], v[0:1], v[4:5]
	v_pk_add_f32 v[0:1], v[6:7], v[12:13]
	scratch_load_dword v7, off, s32 offset:216 ; 4-byte Folded Reload
	ds_bpermute_b32 v2, v23, v18
	ds_bpermute_b32 v3, v23, v19
	;; [unrolled: 1-line block ×3, first 2 shown]
	s_waitcnt lgkmcnt(0)
	v_pk_add_f32 v[2:3], v[18:19], v[2:3]
	ds_bpermute_b32 v10, v24, v2
	ds_bpermute_b32 v11, v24, v3
	v_add_f32_e32 v6, v14, v15
	s_waitcnt lgkmcnt(0)
	v_pk_add_f32 v[2:3], v[2:3], v[10:11]
	s_waitcnt vmcnt(0)
	v_and_b32_e32 v4, 0x3c3, v7
	v_cmp_eq_u32_e32 vcc, 64, v4
	s_and_saveexec_b64 s[0:1], vcc
	s_cbranch_execz .LBB371_764
; %bb.763:
	s_ashr_i32 s19, s18, 31
	s_lshl_b64 s[2:3], s[18:19], 2
	s_getpc_b64 s[4:5]
	s_add_u32 s4, s4, llvm.amdgcn.dynlds.offset.table@rel32@lo+4
	s_addc_u32 s5, s5, llvm.amdgcn.dynlds.offset.table@rel32@hi+12
	s_add_u32 s2, s2, s4
	s_addc_u32 s3, s3, s5
	s_load_dword s2, s[2:3], 0x0
	s_waitcnt lgkmcnt(0)
	v_add_u32_e32 v4, s2, v22
	ds_write2_b32 v4, v8, v9 offset1:16
	ds_write2_b32 v4, v2, v3 offset0:32 offset1:48
	ds_write2_b32 v4, v0, v1 offset0:64 offset1:80
	ds_write_b32 v4, v6 offset:384
.LBB371_764:
	s_or_b64 exec, exec, s[0:1]
	v_cmp_gt_u32_e32 vcc, 64, v7
	s_waitcnt lgkmcnt(0)
	s_barrier
	s_and_saveexec_b64 s[2:3], vcc
	s_cbranch_execz .LBB371_774
; %bb.765:
	v_cmp_eq_u32_e64 s[0:1], 0, v25
	v_lshrrev_b32_e32 v4, 2, v7
	s_and_saveexec_b64 s[4:5], s[0:1]
	s_cbranch_execnz .LBB371_806
; %bb.766:
	s_or_b64 exec, exec, s[4:5]
	s_and_saveexec_b64 s[4:5], s[0:1]
	s_cbranch_execnz .LBB371_807
.LBB371_767:
	s_or_b64 exec, exec, s[4:5]
	s_and_saveexec_b64 s[4:5], s[0:1]
	s_cbranch_execnz .LBB371_808
.LBB371_768:
	s_or_b64 exec, exec, s[4:5]
	s_and_saveexec_b64 s[4:5], s[0:1]
	s_cbranch_execnz .LBB371_809
.LBB371_769:
	s_or_b64 exec, exec, s[4:5]
	s_and_saveexec_b64 s[4:5], s[0:1]
	s_cbranch_execnz .LBB371_810
.LBB371_770:
	s_or_b64 exec, exec, s[4:5]
	s_and_saveexec_b64 s[4:5], s[0:1]
	s_cbranch_execnz .LBB371_811
.LBB371_771:
	s_or_b64 exec, exec, s[4:5]
	s_and_saveexec_b64 s[4:5], s[0:1]
	s_cbranch_execz .LBB371_773
.LBB371_772:
	s_ashr_i32 s19, s18, 31
	s_lshl_b64 s[0:1], s[18:19], 2
	s_getpc_b64 s[6:7]
	s_add_u32 s6, s6, llvm.amdgcn.dynlds.offset.table@rel32@lo+4
	s_addc_u32 s7, s7, llvm.amdgcn.dynlds.offset.table@rel32@hi+12
	s_add_u32 s0, s0, s6
	s_addc_u32 s1, s1, s7
	s_load_dword s0, s[0:1], 0x0
	s_waitcnt lgkmcnt(0)
	v_lshl_add_u32 v4, v4, 2, s0
	ds_read_b32 v4, v4 offset:384
	s_waitcnt lgkmcnt(0)
	v_add_f32_e32 v6, v6, v4
.LBB371_773:
	s_or_b64 exec, exec, s[4:5]
.LBB371_774:
	s_or_b64 exec, exec, s[2:3]
	s_barrier
	s_and_b64 exec, exec, vcc
	s_cbranch_execz .LBB371_805
; %bb.775:
	v_cmp_eq_u32_e32 vcc, 0, v25
	s_and_b64 exec, exec, vcc
	s_cbranch_execz .LBB371_805
; %bb.776:
	s_mov_b32 s0, 0x7f800000
	v_and_b32_e32 v4, 0x7f800000, v8
	v_cmp_ne_u32_e32 vcc, s0, v4
                                        ; implicit-def: $vgpr4
	s_and_saveexec_b64 s[0:1], vcc
	s_xor_b64 s[0:1], exec, s[0:1]
; %bb.777:
	v_bfe_u32 v4, v8, 16, 1
	s_movk_i32 s2, 0x7fff
	v_add3_u32 v4, v8, v4, s2
; %bb.778:
	s_andn2_saveexec_b64 s[0:1], s[0:1]
; %bb.779:
	v_mov_b32_e32 v4, 0
	v_or_b32_e32 v5, 0x10000, v8
	v_cmp_eq_u32_sdwa vcc, v8, v4 src0_sel:WORD_0 src1_sel:DWORD
	s_nop 1
	v_cndmask_b32_e32 v4, v5, v8, vcc
; %bb.780:
	s_or_b64 exec, exec, s[0:1]
	scratch_load_dwordx2 v[10:11], off, s32 offset:220 ; 8-byte Folded Reload
	s_mul_i32 s0, s8, s16
	s_mul_i32 s0, s0, s17
	s_mulk_i32 s0, 0x70
	s_mul_i32 s2, s20, s8
	s_mul_i32 s4, s14, 0x70
	s_ashr_i32 s1, s0, 31
	s_ashr_i32 s3, s2, 31
	;; [unrolled: 1-line block ×3, first 2 shown]
	s_lshl_b64 s[0:1], s[0:1], 1
	s_lshl_b64 s[2:3], s[2:3], 1
	;; [unrolled: 1-line block ×3, first 2 shown]
	s_add_u32 s2, s4, s2
	s_addc_u32 s3, s5, s3
	s_add_u32 s0, s2, s0
	s_addc_u32 s1, s3, s1
	v_lshrrev_b32_e32 v5, 1, v7
	v_and_b32_e32 v12, 0x1fe, v5
	v_mov_b32_e32 v13, 0
	s_waitcnt vmcnt(0)
	v_lshl_add_u64 v[10:11], s[0:1], 0, v[10:11]
	v_lshl_add_u64 v[10:11], v[10:11], 0, v[12:13]
	flat_store_short_d16_hi v[10:11], v4
	s_mov_b32 s0, 0x7f800000
	v_and_b32_e32 v4, 0x7f800000, v9
	v_cmp_ne_u32_e32 vcc, s0, v4
                                        ; implicit-def: $vgpr4
	s_and_saveexec_b64 s[0:1], vcc
	s_xor_b64 s[0:1], exec, s[0:1]
; %bb.781:
	v_bfe_u32 v4, v9, 16, 1
	s_movk_i32 s2, 0x7fff
	v_add3_u32 v4, v9, v4, s2
; %bb.782:
	s_andn2_saveexec_b64 s[0:1], s[0:1]
; %bb.783:
	v_mov_b32_e32 v4, 0
	v_or_b32_e32 v5, 0x10000, v9
	v_cmp_eq_u32_sdwa vcc, v9, v4 src0_sel:WORD_0 src1_sel:DWORD
	s_nop 1
	v_cndmask_b32_e32 v4, v5, v9, vcc
; %bb.784:
	s_or_b64 exec, exec, s[0:1]
	flat_store_short_d16_hi v[10:11], v4 offset:32
	s_mov_b32 s0, 0x7f800000
	v_and_b32_e32 v4, 0x7f800000, v2
	v_cmp_ne_u32_e32 vcc, s0, v4
                                        ; implicit-def: $vgpr4
	s_and_saveexec_b64 s[0:1], vcc
	s_xor_b64 s[0:1], exec, s[0:1]
; %bb.785:
	v_bfe_u32 v4, v2, 16, 1
	s_movk_i32 s2, 0x7fff
	v_add3_u32 v4, v2, v4, s2
; %bb.786:
	s_andn2_saveexec_b64 s[0:1], s[0:1]
; %bb.787:
	v_mov_b32_e32 v4, 0
	v_or_b32_e32 v5, 0x10000, v2
	v_cmp_eq_u32_sdwa vcc, v2, v4 src0_sel:WORD_0 src1_sel:DWORD
	s_nop 1
	v_cndmask_b32_e32 v4, v5, v2, vcc
; %bb.788:
	s_or_b64 exec, exec, s[0:1]
	s_mov_b32 s0, 0x7f800000
	v_and_b32_e32 v2, 0x7f800000, v3
	v_cmp_ne_u32_e32 vcc, s0, v2
	flat_store_short_d16_hi v[10:11], v4 offset:64
                                        ; implicit-def: $vgpr2
	s_and_saveexec_b64 s[0:1], vcc
	s_xor_b64 s[0:1], exec, s[0:1]
; %bb.789:
	v_bfe_u32 v2, v3, 16, 1
	s_movk_i32 s2, 0x7fff
	v_add3_u32 v2, v3, v2, s2
; %bb.790:
	s_andn2_saveexec_b64 s[0:1], s[0:1]
; %bb.791:
	v_mov_b32_e32 v2, 0
	v_or_b32_e32 v4, 0x10000, v3
	v_cmp_eq_u32_sdwa vcc, v3, v2 src0_sel:WORD_0 src1_sel:DWORD
	s_nop 1
	v_cndmask_b32_e32 v2, v4, v3, vcc
; %bb.792:
	s_or_b64 exec, exec, s[0:1]
	flat_store_short_d16_hi v[10:11], v2 offset:96
	s_mov_b32 s0, 0x7f800000
	v_and_b32_e32 v2, 0x7f800000, v0
	v_cmp_ne_u32_e32 vcc, s0, v2
                                        ; implicit-def: $vgpr2
	s_and_saveexec_b64 s[0:1], vcc
	s_xor_b64 s[0:1], exec, s[0:1]
; %bb.793:
	v_bfe_u32 v2, v0, 16, 1
	s_movk_i32 s2, 0x7fff
	v_add3_u32 v2, v0, v2, s2
; %bb.794:
	s_andn2_saveexec_b64 s[0:1], s[0:1]
; %bb.795:
	v_mov_b32_e32 v2, 0
	v_or_b32_e32 v3, 0x10000, v0
	v_cmp_eq_u32_sdwa vcc, v0, v2 src0_sel:WORD_0 src1_sel:DWORD
	s_nop 1
	v_cndmask_b32_e32 v2, v3, v0, vcc
; %bb.796:
	s_or_b64 exec, exec, s[0:1]
	s_mov_b32 s0, 0x7f800000
	v_and_b32_e32 v0, 0x7f800000, v1
	v_cmp_ne_u32_e32 vcc, s0, v0
	flat_store_short_d16_hi v[10:11], v2 offset:128
                                        ; implicit-def: $vgpr0
	s_and_saveexec_b64 s[0:1], vcc
	s_xor_b64 s[0:1], exec, s[0:1]
; %bb.797:
	v_bfe_u32 v0, v1, 16, 1
	s_movk_i32 s2, 0x7fff
	v_add3_u32 v0, v1, v0, s2
; %bb.798:
	s_andn2_saveexec_b64 s[0:1], s[0:1]
; %bb.799:
	v_mov_b32_e32 v0, 0
	v_or_b32_e32 v2, 0x10000, v1
	v_cmp_eq_u32_sdwa vcc, v1, v0 src0_sel:WORD_0 src1_sel:DWORD
	s_nop 1
	v_cndmask_b32_e32 v0, v2, v1, vcc
; %bb.800:
	s_or_b64 exec, exec, s[0:1]
	flat_store_short_d16_hi v[10:11], v0 offset:160
	s_mov_b32 s0, 0x7f800000
	v_and_b32_e32 v0, 0x7f800000, v6
	v_cmp_ne_u32_e32 vcc, s0, v0
                                        ; implicit-def: $vgpr7
	s_and_saveexec_b64 s[0:1], vcc
	s_xor_b64 s[0:1], exec, s[0:1]
; %bb.801:
	v_bfe_u32 v0, v6, 16, 1
	s_movk_i32 s2, 0x7fff
	v_add3_u32 v7, v6, v0, s2
                                        ; implicit-def: $vgpr0_vgpr1_vgpr2_vgpr3_vgpr4_vgpr5_vgpr6
; %bb.802:
	s_andn2_saveexec_b64 s[0:1], s[0:1]
; %bb.803:
	v_mov_b32_e32 v0, 0
	v_or_b32_e32 v1, 0x10000, v6
	v_cmp_eq_u32_sdwa vcc, v6, v0 src0_sel:WORD_0 src1_sel:DWORD
	s_nop 1
	v_cndmask_b32_e32 v7, v1, v6, vcc
; %bb.804:
	s_or_b64 exec, exec, s[0:1]
	flat_store_short_d16_hi v[10:11], v7 offset:192
.LBB371_805:
	s_or_b64 exec, exec, s[10:11]
	scratch_load_dword a63, off, s32        ; 4-byte Folded Reload
	scratch_load_dword a62, off, s32 offset:4 ; 4-byte Folded Reload
	scratch_load_dword a61, off, s32 offset:8 ; 4-byte Folded Reload
	;; [unrolled: 1-line block ×47, first 2 shown]
	s_waitcnt vmcnt(0) lgkmcnt(0)
	s_setpc_b64 s[30:31]
.LBB371_806:
	s_ashr_i32 s19, s18, 31
	s_lshl_b64 s[6:7], s[18:19], 2
	s_getpc_b64 s[12:13]
	s_add_u32 s12, s12, llvm.amdgcn.dynlds.offset.table@rel32@lo+4
	s_addc_u32 s13, s13, llvm.amdgcn.dynlds.offset.table@rel32@hi+12
	s_add_u32 s6, s6, s12
	s_addc_u32 s7, s7, s13
	s_load_dword s6, s[6:7], 0x0
	s_waitcnt lgkmcnt(0)
	v_lshl_add_u32 v5, v4, 2, s6
	ds_read_b32 v5, v5
	s_waitcnt lgkmcnt(0)
	v_add_f32_e32 v8, v8, v5
	s_or_b64 exec, exec, s[4:5]
	s_and_saveexec_b64 s[4:5], s[0:1]
	s_cbranch_execz .LBB371_767
.LBB371_807:
	s_ashr_i32 s19, s18, 31
	s_lshl_b64 s[6:7], s[18:19], 2
	s_getpc_b64 s[12:13]
	s_add_u32 s12, s12, llvm.amdgcn.dynlds.offset.table@rel32@lo+4
	s_addc_u32 s13, s13, llvm.amdgcn.dynlds.offset.table@rel32@hi+12
	s_add_u32 s6, s6, s12
	s_addc_u32 s7, s7, s13
	s_load_dword s6, s[6:7], 0x0
	s_waitcnt lgkmcnt(0)
	v_lshl_add_u32 v5, v4, 2, s6
	ds_read_b32 v5, v5 offset:64
	s_waitcnt lgkmcnt(0)
	v_add_f32_e32 v9, v9, v5
	s_or_b64 exec, exec, s[4:5]
	s_and_saveexec_b64 s[4:5], s[0:1]
	s_cbranch_execz .LBB371_768
.LBB371_808:
	s_ashr_i32 s19, s18, 31
	s_lshl_b64 s[6:7], s[18:19], 2
	s_getpc_b64 s[12:13]
	s_add_u32 s12, s12, llvm.amdgcn.dynlds.offset.table@rel32@lo+4
	s_addc_u32 s13, s13, llvm.amdgcn.dynlds.offset.table@rel32@hi+12
	s_add_u32 s6, s6, s12
	s_addc_u32 s7, s7, s13
	s_load_dword s6, s[6:7], 0x0
	s_waitcnt lgkmcnt(0)
	v_lshl_add_u32 v5, v4, 2, s6
	ds_read_b32 v5, v5 offset:128
	s_waitcnt lgkmcnt(0)
	v_add_f32_e32 v2, v2, v5
	s_or_b64 exec, exec, s[4:5]
	s_and_saveexec_b64 s[4:5], s[0:1]
	s_cbranch_execz .LBB371_769
.LBB371_809:
	s_ashr_i32 s19, s18, 31
	s_lshl_b64 s[6:7], s[18:19], 2
	s_getpc_b64 s[12:13]
	s_add_u32 s12, s12, llvm.amdgcn.dynlds.offset.table@rel32@lo+4
	s_addc_u32 s13, s13, llvm.amdgcn.dynlds.offset.table@rel32@hi+12
	s_add_u32 s6, s6, s12
	s_addc_u32 s7, s7, s13
	s_load_dword s6, s[6:7], 0x0
	s_waitcnt lgkmcnt(0)
	v_lshl_add_u32 v5, v4, 2, s6
	ds_read_b32 v5, v5 offset:192
	s_waitcnt lgkmcnt(0)
	v_add_f32_e32 v3, v3, v5
	s_or_b64 exec, exec, s[4:5]
	s_and_saveexec_b64 s[4:5], s[0:1]
	s_cbranch_execz .LBB371_770
.LBB371_810:
	s_ashr_i32 s19, s18, 31
	s_lshl_b64 s[6:7], s[18:19], 2
	s_getpc_b64 s[12:13]
	s_add_u32 s12, s12, llvm.amdgcn.dynlds.offset.table@rel32@lo+4
	s_addc_u32 s13, s13, llvm.amdgcn.dynlds.offset.table@rel32@hi+12
	s_add_u32 s6, s6, s12
	s_addc_u32 s7, s7, s13
	s_load_dword s6, s[6:7], 0x0
	s_waitcnt lgkmcnt(0)
	v_lshl_add_u32 v5, v4, 2, s6
	ds_read_b32 v5, v5 offset:256
	s_waitcnt lgkmcnt(0)
	v_add_f32_e32 v0, v0, v5
	s_or_b64 exec, exec, s[4:5]
	s_and_saveexec_b64 s[4:5], s[0:1]
	s_cbranch_execz .LBB371_771
.LBB371_811:
	s_ashr_i32 s19, s18, 31
	s_lshl_b64 s[6:7], s[18:19], 2
	s_getpc_b64 s[12:13]
	s_add_u32 s12, s12, llvm.amdgcn.dynlds.offset.table@rel32@lo+4
	s_addc_u32 s13, s13, llvm.amdgcn.dynlds.offset.table@rel32@hi+12
	s_add_u32 s6, s6, s12
	s_addc_u32 s7, s7, s13
	s_load_dword s6, s[6:7], 0x0
	s_waitcnt lgkmcnt(0)
	v_lshl_add_u32 v5, v4, 2, s6
	ds_read_b32 v5, v5 offset:320
	s_waitcnt lgkmcnt(0)
	v_add_f32_e32 v1, v1, v5
	s_or_b64 exec, exec, s[4:5]
	s_and_saveexec_b64 s[4:5], s[0:1]
	s_cbranch_execnz .LBB371_772
	s_branch .LBB371_773
.Lfunc_end371:
	.size	_ZN4vllm22paged_attention_kernelI14__hip_bfloat16hLi112ELi32ELi128ELNS_18Fp8KVCacheDataTypeE1ELb0ELi512EEEvPfS3_PT_PKS4_PKT0_SA_ifPKiSC_iPKfiiiSE_SE_iiiii, .Lfunc_end371-_ZN4vllm22paged_attention_kernelI14__hip_bfloat16hLi112ELi32ELi128ELNS_18Fp8KVCacheDataTypeE1ELb0ELi512EEEvPfS3_PT_PKS4_PKT0_SA_ifPKiSC_iPKfiiiSE_SE_iiiii
                                        ; -- End function
	.section	.AMDGPU.csdata,"",@progbits
; Function info:
; codeLenInByte = 27788
; NumSgprs: 39
; NumVgprs: 64
; NumAgprs: 64
; TotalNumVgprs: 128
; ScratchSize: 312
; MemoryBound: 0
	.section	.text._ZN4vllm25paged_attention_v2_kernelI14__hip_bfloat16hLi112ELi32ELi128ELNS_18Fp8KVCacheDataTypeE1ELb0ELi512EEEvPfS3_PT_PKS4_PKT0_SA_ifPKiSC_iPKfiiiSE_SE_iiiii,"axG",@progbits,_ZN4vllm25paged_attention_v2_kernelI14__hip_bfloat16hLi112ELi32ELi128ELNS_18Fp8KVCacheDataTypeE1ELb0ELi512EEEvPfS3_PT_PKS4_PKT0_SA_ifPKiSC_iPKfiiiSE_SE_iiiii,comdat
	.protected	_ZN4vllm25paged_attention_v2_kernelI14__hip_bfloat16hLi112ELi32ELi128ELNS_18Fp8KVCacheDataTypeE1ELb0ELi512EEEvPfS3_PT_PKS4_PKT0_SA_ifPKiSC_iPKfiiiSE_SE_iiiii ; -- Begin function _ZN4vllm25paged_attention_v2_kernelI14__hip_bfloat16hLi112ELi32ELi128ELNS_18Fp8KVCacheDataTypeE1ELb0ELi512EEEvPfS3_PT_PKS4_PKT0_SA_ifPKiSC_iPKfiiiSE_SE_iiiii
	.globl	_ZN4vllm25paged_attention_v2_kernelI14__hip_bfloat16hLi112ELi32ELi128ELNS_18Fp8KVCacheDataTypeE1ELb0ELi512EEEvPfS3_PT_PKS4_PKT0_SA_ifPKiSC_iPKfiiiSE_SE_iiiii
	.p2align	8
	.type	_ZN4vllm25paged_attention_v2_kernelI14__hip_bfloat16hLi112ELi32ELi128ELNS_18Fp8KVCacheDataTypeE1ELb0ELi512EEEvPfS3_PT_PKS4_PKT0_SA_ifPKiSC_iPKfiiiSE_SE_iiiii,@function
_ZN4vllm25paged_attention_v2_kernelI14__hip_bfloat16hLi112ELi32ELi128ELNS_18Fp8KVCacheDataTypeE1ELb0ELi512EEEvPfS3_PT_PKS4_PKT0_SA_ifPKiSC_iPKfiiiSE_SE_iiiii: ; @_ZN4vllm25paged_attention_v2_kernelI14__hip_bfloat16hLi112ELi32ELi128ELNS_18Fp8KVCacheDataTypeE1ELb0ELi512EEEvPfS3_PT_PKS4_PKT0_SA_ifPKiSC_iPKfiiiSE_SE_iiiii
; %bb.0:
	s_load_dwordx8 s[24:31], s[0:1], 0x0
	s_load_dwordx8 s[16:23], s[0:1], 0x20
	s_load_dwordx2 s[6:7], s[0:1], 0x40
	s_load_dwordx2 s[10:11], s[0:1], 0x50
	s_load_dword s5, s[0:1], 0x48
	s_load_dwordx8 s[36:43], s[0:1], 0x58
	s_add_u32 s8, s0, 0x90
	s_addc_u32 s9, s1, 0
	s_mov_b32 s12, s2
	s_mov_b32 s13, s3
	;; [unrolled: 1-line block ×4, first 2 shown]
	v_mov_b32_e32 v31, v0
	s_waitcnt lgkmcnt(0)
	v_mov_b32_e32 v0, s24
	v_mov_b32_e32 v1, s25
	;; [unrolled: 1-line block ×28, first 2 shown]
	s_mov_b32 s32, 0
	s_getpc_b64 s[0:1]
	s_add_u32 s0, s0, _ZN4vllm22paged_attention_kernelI14__hip_bfloat16hLi112ELi32ELi128ELNS_18Fp8KVCacheDataTypeE1ELb0ELi512EEEvPfS3_PT_PKS4_PKT0_SA_ifPKiSC_iPKfiiiSE_SE_iiiii@rel32@lo+4
	s_addc_u32 s1, s1, _ZN4vllm22paged_attention_kernelI14__hip_bfloat16hLi112ELi32ELi128ELNS_18Fp8KVCacheDataTypeE1ELb0ELi512EEEvPfS3_PT_PKS4_PKT0_SA_ifPKiSC_iPKfiiiSE_SE_iiiii@rel32@hi+12
	s_swappc_b64 s[30:31], s[0:1]
	s_endpgm
	.section	.rodata,"a",@progbits
	.p2align	6, 0x0
	.amdhsa_kernel _ZN4vllm25paged_attention_v2_kernelI14__hip_bfloat16hLi112ELi32ELi128ELNS_18Fp8KVCacheDataTypeE1ELb0ELi512EEEvPfS3_PT_PKS4_PKT0_SA_ifPKiSC_iPKfiiiSE_SE_iiiii
		.amdhsa_group_segment_fixed_size 240
		.amdhsa_private_segment_fixed_size 312
		.amdhsa_kernarg_size 400
		.amdhsa_user_sgpr_count 2
		.amdhsa_user_sgpr_dispatch_ptr 0
		.amdhsa_user_sgpr_queue_ptr 0
		.amdhsa_user_sgpr_kernarg_segment_ptr 1
		.amdhsa_user_sgpr_dispatch_id 0
		.amdhsa_user_sgpr_kernarg_preload_length 0
		.amdhsa_user_sgpr_kernarg_preload_offset 0
		.amdhsa_user_sgpr_private_segment_size 0
		.amdhsa_uses_dynamic_stack 0
		.amdhsa_enable_private_segment 1
		.amdhsa_system_sgpr_workgroup_id_x 1
		.amdhsa_system_sgpr_workgroup_id_y 1
		.amdhsa_system_sgpr_workgroup_id_z 1
		.amdhsa_system_sgpr_workgroup_info 0
		.amdhsa_system_vgpr_workitem_id 0
		.amdhsa_next_free_vgpr 128
		.amdhsa_next_free_sgpr 44
		.amdhsa_accum_offset 64
		.amdhsa_reserve_vcc 1
		.amdhsa_float_round_mode_32 0
		.amdhsa_float_round_mode_16_64 0
		.amdhsa_float_denorm_mode_32 3
		.amdhsa_float_denorm_mode_16_64 3
		.amdhsa_dx10_clamp 1
		.amdhsa_ieee_mode 1
		.amdhsa_fp16_overflow 0
		.amdhsa_tg_split 0
		.amdhsa_exception_fp_ieee_invalid_op 0
		.amdhsa_exception_fp_denorm_src 0
		.amdhsa_exception_fp_ieee_div_zero 0
		.amdhsa_exception_fp_ieee_overflow 0
		.amdhsa_exception_fp_ieee_underflow 0
		.amdhsa_exception_fp_ieee_inexact 0
		.amdhsa_exception_int_div_zero 0
	.end_amdhsa_kernel
	.section	.text._ZN4vllm25paged_attention_v2_kernelI14__hip_bfloat16hLi112ELi32ELi128ELNS_18Fp8KVCacheDataTypeE1ELb0ELi512EEEvPfS3_PT_PKS4_PKT0_SA_ifPKiSC_iPKfiiiSE_SE_iiiii,"axG",@progbits,_ZN4vllm25paged_attention_v2_kernelI14__hip_bfloat16hLi112ELi32ELi128ELNS_18Fp8KVCacheDataTypeE1ELb0ELi512EEEvPfS3_PT_PKS4_PKT0_SA_ifPKiSC_iPKfiiiSE_SE_iiiii,comdat
.Lfunc_end372:
	.size	_ZN4vllm25paged_attention_v2_kernelI14__hip_bfloat16hLi112ELi32ELi128ELNS_18Fp8KVCacheDataTypeE1ELb0ELi512EEEvPfS3_PT_PKS4_PKT0_SA_ifPKiSC_iPKfiiiSE_SE_iiiii, .Lfunc_end372-_ZN4vllm25paged_attention_v2_kernelI14__hip_bfloat16hLi112ELi32ELi128ELNS_18Fp8KVCacheDataTypeE1ELb0ELi512EEEvPfS3_PT_PKS4_PKT0_SA_ifPKiSC_iPKfiiiSE_SE_iiiii
                                        ; -- End function
	.section	.AMDGPU.csdata,"",@progbits
; Kernel info:
; codeLenInByte = 228
; NumSgprs: 50
; NumVgprs: 64
; NumAgprs: 64
; TotalNumVgprs: 128
; ScratchSize: 312
; MemoryBound: 0
; FloatMode: 240
; IeeeMode: 1
; LDSByteSize: 240 bytes/workgroup (compile time only)
; SGPRBlocks: 6
; VGPRBlocks: 15
; NumSGPRsForWavesPerEU: 50
; NumVGPRsForWavesPerEU: 128
; AccumOffset: 64
; Occupancy: 4
; WaveLimiterHint : 1
; COMPUTE_PGM_RSRC2:SCRATCH_EN: 1
; COMPUTE_PGM_RSRC2:USER_SGPR: 2
; COMPUTE_PGM_RSRC2:TRAP_HANDLER: 0
; COMPUTE_PGM_RSRC2:TGID_X_EN: 1
; COMPUTE_PGM_RSRC2:TGID_Y_EN: 1
; COMPUTE_PGM_RSRC2:TGID_Z_EN: 1
; COMPUTE_PGM_RSRC2:TIDIG_COMP_CNT: 0
; COMPUTE_PGM_RSRC3_GFX90A:ACCUM_OFFSET: 15
; COMPUTE_PGM_RSRC3_GFX90A:TG_SPLIT: 0
	.text
	.p2align	2                               ; -- Begin function _ZN4vllm22paged_attention_kernelI14__hip_bfloat16hLi120ELi32ELi128ELNS_18Fp8KVCacheDataTypeE1ELb0ELi512EEEvPfS3_PT_PKS4_PKT0_SA_ifPKiSC_iPKfiiiSE_SE_iiiii
	.type	_ZN4vllm22paged_attention_kernelI14__hip_bfloat16hLi120ELi32ELi128ELNS_18Fp8KVCacheDataTypeE1ELb0ELi512EEEvPfS3_PT_PKS4_PKT0_SA_ifPKiSC_iPKfiiiSE_SE_iiiii,@function
_ZN4vllm22paged_attention_kernelI14__hip_bfloat16hLi120ELi32ELi128ELNS_18Fp8KVCacheDataTypeE1ELb0ELi512EEEvPfS3_PT_PKS4_PKT0_SA_ifPKiSC_iPKfiiiSE_SE_iiiii: ; @_ZN4vllm22paged_attention_kernelI14__hip_bfloat16hLi120ELi32ELi128ELNS_18Fp8KVCacheDataTypeE1ELb0ELi512EEEvPfS3_PT_PKS4_PKT0_SA_ifPKiSC_iPKfiiiSE_SE_iiiii
; %bb.0:
	s_waitcnt vmcnt(0) expcnt(0) lgkmcnt(0)
	scratch_store_dword off, v40, s32 offset:188 ; 4-byte Folded Spill
	scratch_store_dword off, v41, s32 offset:184 ; 4-byte Folded Spill
	;; [unrolled: 1-line block ×47, first 2 shown]
	scratch_store_dword off, a63, s32       ; 4-byte Folded Spill
	s_mov_b32 s20, s13
	v_accvgpr_write_b32 a24, v24
	s_ashr_i32 s21, s13, 31
	v_accvgpr_write_b32 a25, v25
	v_mov_b32_e32 v25, v1
	v_mov_b32_e32 v24, v0
	v_lshl_add_u64 v[0:1], s[20:21], 2, v[16:17]
	flat_load_dword v35, v[0:1]
	s_lshl_b32 s21, s14, 9
	scratch_store_dwordx2 off, v[26:27], s32 offset:244 ; 8-byte Folded Spill
	v_accvgpr_write_b32 a6, v22
	v_mov_b32_e32 v29, v20
	v_mov_b32_e32 v28, v19
	v_accvgpr_write_b32 a26, v13
	v_mov_b32_e32 v33, v11
	v_mov_b32_e32 v32, v10
	;; [unrolled: 1-line block ×4, first 2 shown]
	scratch_store_dwordx2 off, v[4:5], s32 offset:260 ; 8-byte Folded Spill
	s_waitcnt vmcnt(0) lgkmcnt(0)
	v_cmp_lt_i32_e32 vcc, s21, v35
	s_and_saveexec_b64 s[10:11], vcc
	s_cbranch_execz .LBB373_900
; %bb.1:
	v_sub_u32_e32 v0, 0, v12
	v_max_i32_e32 v0, v12, v0
	v_cvt_f32_u32_e32 v1, v0
	s_load_dword s0, s[8:9], 0x10
	s_load_dword s2, s[8:9], 0x0
	v_sub_u32_e32 v3, 0, v0
	s_mov_b32 s16, s15
	v_rcp_iflag_f32_e32 v1, v1
	s_waitcnt lgkmcnt(0)
	s_lshr_b32 s0, s0, 16
	s_cmp_lg_u32 s0, 0
	s_cselect_b64 s[0:1], -1, 0
	v_mul_f32_e32 v1, 0x4f7ffffe, v1
	v_cvt_u32_f32_e32 v1, v1
	s_cmp_lg_u64 s[0:1], 0
	s_addc_u32 s15, s2, 0
	s_abs_i32 s0, s15
	v_mul_lo_u32 v3, v3, v1
	v_mul_hi_u32 v3, v1, v3
	v_add_u32_e32 v1, v1, v3
	v_mul_hi_u32 v1, s0, v1
	v_mul_lo_u32 v3, v1, v0
	v_sub_u32_e32 v3, s0, v3
	v_add_u32_e32 v4, 1, v1
	v_cmp_ge_u32_e32 vcc, v3, v0
	v_xor_b32_e32 v2, s15, v12
	v_ashrrev_i32_e32 v2, 31, v2
	v_cndmask_b32_e32 v1, v1, v4, vcc
	v_sub_u32_e32 v4, v3, v0
	v_cndmask_b32_e32 v3, v3, v4, vcc
	v_add_u32_e32 v4, 1, v1
	v_cmp_ge_u32_e32 vcc, v3, v0
	s_abs_i32 s2, s12
	s_nop 0
	v_cndmask_b32_e32 v0, v1, v4, vcc
	v_xor_b32_e32 v0, v0, v2
	v_sub_u32_e32 v0, v0, v2
	v_sub_u32_e32 v1, 0, v0
	v_max_i32_e32 v1, v0, v1
	v_cvt_f32_u32_e32 v2, v1
	v_sub_u32_e32 v3, 0, v1
	v_cmp_ne_u64_e32 vcc, 0, v[28:29]
	v_rcp_iflag_f32_e32 v2, v2
	s_nop 0
	v_mul_f32_e32 v2, 0x4f7ffffe, v2
	v_cvt_u32_f32_e32 v2, v2
	v_mul_lo_u32 v3, v3, v2
	v_mul_hi_u32 v3, v2, v3
	v_add_u32_e32 v2, v2, v3
	v_mad_u64_u32 v[16:17], s[0:1], s2, v2, 0
	v_mov_b32_e32 v2, 0
	scratch_store_dword off, v2, s32 offset:252 ; 4-byte Folded Spill
	s_and_saveexec_b64 s[0:1], vcc
	s_cbranch_execz .LBB373_3
; %bb.2:
	s_ashr_i32 s13, s12, 31
	v_lshl_add_u64 v[2:3], s[12:13], 2, v[28:29]
	flat_load_dword v2, v[2:3]
	s_waitcnt vmcnt(0) lgkmcnt(0)
	scratch_store_dword off, v2, s32 offset:252 ; 4-byte Folded Spill
.LBB373_3:
	s_or_b64 exec, exec, s[0:1]
	v_and_b32_e32 v19, 0x3ff, v31
	s_ashr_i32 s3, s12, 31
	v_ashrrev_i32_e32 v2, 31, v0
	v_and_b32_e32 v0, 1, v19
	s_movk_i32 s4, 0x78
	s_mul_i32 s18, s12, 0x78
	v_cmp_gt_u32_e32 vcc, 30, v19
	v_lshlrev_b32_e32 v28, 3, v19
	s_and_saveexec_b64 s[0:1], vcc
	s_cbranch_execz .LBB373_5
; %bb.4:
	v_mul_lo_u32 v4, s20, v21
	v_ashrrev_i32_e32 v5, 31, v4
	v_lshl_add_u64 v[4:5], v[4:5], 1, v[6:7]
	s_ashr_i32 s19, s18, 31
	v_lshl_add_u64 v[4:5], s[18:19], 1, v[4:5]
	v_mov_b32_e32 v29, 0
	v_lshl_add_u64 v[4:5], v[4:5], 0, v[28:29]
	flat_load_dwordx2 v[4:5], v[4:5]
	v_lshlrev_b32_e32 v3, 2, v19
	v_and_b32_e32 v3, 0xff8, v3
	v_mad_u32_u24 v3, v0, s4, v3
	s_waitcnt vmcnt(0) lgkmcnt(0)
	ds_write_b64 v3, v[4:5]
.LBB373_5:
	s_or_b64 exec, exec, s[0:1]
	v_add_u32_e32 v3, 31, v35
	v_ashrrev_i32_e32 v4, 31, v3
	v_lshrrev_b32_e32 v4, 27, v4
	v_add_u32_e32 v3, v3, v4
	v_ashrrev_i32_e32 v29, 5, v3
	v_mul_lo_u32 v3, v17, v1
	v_sub_u32_e32 v3, s2, v3
	v_add_u32_e32 v4, 1, v17
	v_cmp_ge_u32_e32 vcc, v3, v1
	v_sub_u32_e32 v5, v3, v1
	s_lshl_b32 s19, s14, 4
	v_cndmask_b32_e32 v4, v17, v4, vcc
	v_cndmask_b32_e32 v3, v3, v5, vcc
	v_add_u32_e32 v5, 1, v4
	v_cmp_ge_u32_e32 vcc, v3, v1
	s_add_i32 s0, s19, 16
	v_lshrrev_b32_e32 v30, 6, v19
	v_xor_b32_e32 v2, s3, v2
	v_cndmask_b32_e32 v1, v4, v5, vcc
	v_min_i32_e32 v6, s0, v29
	v_xor_b32_e32 v1, v1, v2
	v_mul_lo_u32 v36, s20, v18
	v_or_b32_e32 v10, s19, v30
	v_sub_u32_e32 v2, v1, v2
	v_ashrrev_i32_e32 v37, 31, v36
	v_cmp_lt_i32_e64 s[0:1], v10, v6
	v_mov_b32_e32 v4, v10
	v_cmp_ge_i32_e32 vcc, v10, v6
	v_mbcnt_lo_u32_b32 v1, -1, 0
	s_waitcnt lgkmcnt(0)
	s_barrier
	scratch_store_dword off, v6, s32 offset:192 ; 4-byte Folded Spill
                                        ; implicit-def: $sgpr4
                                        ; implicit-def: $vgpr10
                                        ; implicit-def: $vgpr11
	s_and_saveexec_b64 s[2:3], vcc
	s_xor_b64 s[2:3], exec, s[2:3]
; %bb.6:
	v_mbcnt_hi_u32_b32 v10, -1, v1
	v_and_b32_e32 v0, 64, v10
	v_add_u32_e32 v11, 64, v0
	s_mov_b32 s4, 0xff7fffff
                                        ; implicit-def: $vgpr0
                                        ; kill: killed $vgpr0
                                        ; implicit-def: $agpr26
                                        ; implicit-def: $agpr24
                                        ; implicit-def: $vgpr8
                                        ; implicit-def: $vgpr0
                                        ; implicit-def: $vgpr1
; %bb.7:
	s_or_saveexec_b64 s[6:7], s[2:3]
	s_load_dword s26, s[8:9], 0x14
	s_load_dword s13, s[8:9], 0x8
	v_ashrrev_i32_e32 v5, 31, v4
	v_mul_lo_u32 v48, v2, v23
	v_accvgpr_write_b32 a9, v5
	v_mov_b32_e32 v6, s4
	v_accvgpr_write_b32 a8, v4
	v_ashrrev_i32_e32 v49, 31, v48
	scratch_store_dword off, v19, s32 offset:256 ; 4-byte Folded Spill
	s_xor_b64 exec, exec, s[6:7]
	s_cbranch_execz .LBB373_253
; %bb.8:
	scratch_store_dword off, v29, s32 offset:268 ; 4-byte Folded Spill
	scratch_store_dwordx2 off, v[28:29], s32 offset:300 ; 8-byte Folded Spill
	scratch_store_dwordx2 off, v[26:27], s32 offset:308 ; 8-byte Folded Spill
	;; [unrolled: 1-line block ×4, first 2 shown]
	v_mul_u32_u24_e32 v6, 0x78, v0
	ds_read2_b64 v[2:5], v6 offset1:1
	ds_read2_b64 v[10:13], v6 offset0:2 offset1:3
	v_cmp_eq_u32_e32 vcc, 0, v0
	v_mbcnt_hi_u32_b32 v1, -1, v1
	scratch_store_dword off, v1, s32 offset:284 ; 4-byte Folded Spill
	s_waitcnt lgkmcnt(0)
	v_lshlrev_b32_e32 v7, 16, v2
	v_and_b32_e32 v2, 0xffff0000, v2
	scratch_store_dword off, v2, s32 offset:204 ; 4-byte Folded Spill
	v_lshlrev_b32_e32 v2, 16, v3
	scratch_store_dword off, v2, s32 offset:208 ; 4-byte Folded Spill
	v_and_b32_e32 v2, 0xffff0000, v3
	scratch_store_dword off, v2, s32 offset:212 ; 4-byte Folded Spill
	v_lshlrev_b32_e32 v2, 16, v4
	scratch_store_dword off, v2, s32 offset:216 ; 4-byte Folded Spill
	;; [unrolled: 4-line block ×5, first 2 shown]
	v_and_b32_e32 v2, 0xffff0000, v11
	v_accvgpr_write_b32 a40, v2
	v_lshlrev_b32_e32 v2, 16, v12
	v_accvgpr_write_b32 a41, v2
	ds_read2_b64 v[2:5], v6 offset0:4 offset1:5
	scratch_store_dword off, v7, s32 offset:200 ; 4-byte Folded Spill
	v_and_b32_e32 v7, 0xffff0000, v12
	v_accvgpr_write_b32 a42, v7
	v_lshlrev_b32_e32 v7, 16, v13
	v_accvgpr_write_b32 a43, v7
	v_and_b32_e32 v7, 0xffff0000, v13
	ds_read2_b64 v[10:13], v6 offset0:6 offset1:7
	v_accvgpr_write_b32 a44, v7
	s_waitcnt lgkmcnt(1)
	v_lshlrev_b32_e32 v7, 16, v2
	v_and_b32_e32 v2, 0xffff0000, v2
	v_accvgpr_write_b32 a46, v2
	v_lshlrev_b32_e32 v2, 16, v3
	v_accvgpr_write_b32 a47, v2
	v_and_b32_e32 v2, 0xffff0000, v3
	v_accvgpr_write_b32 a48, v2
	v_lshlrev_b32_e32 v2, 16, v4
	v_accvgpr_write_b32 a49, v2
	v_and_b32_e32 v2, 0xffff0000, v4
	v_accvgpr_write_b32 a50, v2
	v_lshlrev_b32_e32 v2, 16, v5
	v_accvgpr_write_b32 a51, v2
	v_and_b32_e32 v2, 0xffff0000, v5
	v_accvgpr_write_b32 a52, v2
	s_waitcnt lgkmcnt(0)
	v_lshlrev_b32_e32 v2, 16, v10
	v_accvgpr_write_b32 a53, v2
	v_and_b32_e32 v2, 0xffff0000, v10
	v_accvgpr_write_b32 a54, v2
	v_lshlrev_b32_e32 v2, 16, v11
	v_accvgpr_write_b32 a55, v2
	v_and_b32_e32 v2, 0xffff0000, v11
	v_accvgpr_write_b32 a56, v2
	v_lshlrev_b32_e32 v2, 16, v12
	v_accvgpr_write_b32 a57, v2
	ds_read2_b64 v[2:5], v6 offset0:8 offset1:9
	v_accvgpr_write_b32 a45, v7
	v_and_b32_e32 v7, 0xffff0000, v12
	v_accvgpr_write_b32 a58, v7
	v_lshlrev_b32_e32 v7, 16, v13
	v_accvgpr_write_b32 a59, v7
	v_and_b32_e32 v7, 0xffff0000, v13
	ds_read2_b64 v[10:13], v6 offset0:10 offset1:11
	v_accvgpr_write_b32 a60, v7
	s_waitcnt lgkmcnt(1)
	v_lshlrev_b32_e32 v7, 16, v2
	v_and_b32_e32 v2, 0xffff0000, v2
	v_accvgpr_write_b32 a62, v2
	v_lshlrev_b32_e32 v2, 16, v3
	v_accvgpr_write_b32 a63, v2
	v_and_b32_e32 v2, 0xffff0000, v3
	v_accvgpr_write_b32 a2, v2
	v_lshlrev_b32_e32 v2, 16, v4
	v_accvgpr_write_b32 a19, v2
	;; [unrolled: 4-line block ×3, first 2 shown]
	v_and_b32_e32 v2, 0xffff0000, v5
	v_accvgpr_write_b32 a28, v2
	s_waitcnt lgkmcnt(0)
	v_lshlrev_b32_e32 v2, 16, v10
	v_accvgpr_write_b32 a27, v2
	v_and_b32_e32 v2, 0xffff0000, v10
	v_accvgpr_write_b32 a20, v2
	v_lshlrev_b32_e32 v2, 16, v11
	v_accvgpr_write_b32 a21, v2
	v_and_b32_e32 v2, 0xffff0000, v11
	v_accvgpr_write_b32 a7, v2
	;; [unrolled: 4-line block ×4, first 2 shown]
	ds_read2_b64 v[2:5], v6 offset0:12 offset1:13
	v_accvgpr_write_b32 a61, v7
	s_ashr_i32 s17, s16, 31
	s_lshl_b64 s[4:5], s[16:17], 2
	s_getpc_b64 s[8:9]
	s_add_u32 s8, s8, llvm.amdgcn.dynlds.offset.table@rel32@lo+4
	s_addc_u32 s9, s9, llvm.amdgcn.dynlds.offset.table@rel32@hi+12
	s_waitcnt lgkmcnt(0)
	v_lshlrev_b32_e32 v7, 16, v2
	v_and_b32_e32 v2, 0xffff0000, v2
	v_accvgpr_write_b32 a14, v2
	v_lshlrev_b32_e32 v2, 16, v3
	v_accvgpr_write_b32 a15, v2
	v_and_b32_e32 v2, 0xffff0000, v3
	v_accvgpr_write_b32 a12, v2
	v_lshlrev_b32_e32 v2, 16, v4
	v_accvgpr_write_b32 a13, v2
	;; [unrolled: 4-line block ×3, first 2 shown]
	v_and_b32_e32 v2, 0xffff0000, v5
	v_bfe_u32 v4, v19, 1, 5
	v_accvgpr_write_b32 a4, v2
	v_lshl_add_u64 v[2:3], v[8:9], 0, v[48:49]
	v_lshlrev_b32_e32 v8, 4, v4
	v_mov_b32_e32 v9, 0
	v_lshl_add_u64 v[2:3], v[2:3], 0, v[8:9]
	v_accvgpr_write_b32 a31, v3
	v_accvgpr_write_b32 a30, v2
	ds_read_b64 v[2:3], v6 offset:112
	v_lshlrev_b32_e32 v8, 2, v0
	s_add_u32 s8, s4, s8
	v_accvgpr_write_b32 a17, v7
	s_addc_u32 s9, s5, s9
	s_waitcnt lgkmcnt(0)
	v_lshlrev_b32_e32 v0, 16, v2
	v_accvgpr_write_b32 a29, v0
	v_and_b32_e32 v0, 0xffff0000, v2
	v_accvgpr_write_b32 a5, v0
	v_lshlrev_b32_e32 v0, 16, v3
	v_accvgpr_write_b32 a3, v0
	v_and_b32_e32 v0, 0xffff0000, v3
	v_accvgpr_write_b32 a32, v0
	v_and_b32_e32 v0, 64, v1
	v_add_u32_e32 v2, 64, v0
	v_xor_b32_e32 v0, 1, v1
	v_cmp_lt_i32_e64 s[2:3], v0, v2
	scratch_store_dword off, v2, s32 offset:280 ; 4-byte Folded Spill
	v_accvgpr_read_b32 v2, a8
	v_cndmask_b32_e64 v0, v1, v0, s[2:3]
	v_lshlrev_b32_e32 v0, 2, v0
	v_accvgpr_write_b32 a33, v0
	scratch_load_dword v0, off, s32 offset:252 ; 4-byte Folded Reload
	v_accvgpr_read_b32 v3, a9
	s_mov_b64 s[22:23], 0
	s_mov_b32 s17, 0x7f800000
	s_movk_i32 s27, 0x7fff
	v_mov_b32_e32 v40, v2
	scratch_store_dwordx2 off, v[48:49], s32 offset:272 ; 8-byte Folded Spill
	scratch_store_dwordx2 off, v[36:37], s32 offset:288 ; 8-byte Folded Spill
	;; [unrolled: 1-line block ×3, first 2 shown]
	scratch_store_dword off, v30, s32 offset:296 ; 4-byte Folded Spill
	s_waitcnt vmcnt(4)
	v_cmp_neq_f32_e64 s[2:3], 0, v0
	v_lshlrev_b64 v[0:1], 2, v[2:3]
	v_lshl_add_u64 v[0:1], v[36:37], 2, v[0:1]
	v_lshl_add_u64 v[20:21], v[14:15], 0, v[0:1]
	v_lshlrev_b32_e32 v0, 5, v30
	v_add3_u32 v54, s21, v0, v4
	v_lshlrev_b32_e32 v0, 2, v4
	v_lshl_or_b32 v55, v30, 7, v0
	v_mov_b32_e32 v0, 0xff7fffff
	scratch_store_dword off, v0, s32 offset:196 ; 4-byte Folded Spill
	s_branch .LBB373_10
.LBB373_9:                              ;   in Loop: Header=BB373_10 Depth=1
	s_or_b64 exec, exec, s[24:25]
	scratch_load_dword v0, off, s32 offset:192 ; 4-byte Folded Reload
	v_add_u32_e32 v40, 2, v40
	v_lshl_add_u64 v[20:21], v[20:21], 0, 8
	v_add_u32_e32 v54, 64, v54
	v_add_u32_e32 v55, 0x100, v55
	s_waitcnt vmcnt(0)
	v_cmp_ge_i32_e64 s[4:5], v40, v0
	s_or_b64 s[22:23], s[4:5], s[22:23]
	s_andn2_b64 exec, exec, s[22:23]
	s_cbranch_execz .LBB373_252
.LBB373_10:                             ; =>This Inner Loop Header: Depth=1
	flat_load_dword v0, v[20:21]
	v_accvgpr_read_b32 v4, a30
	v_accvgpr_read_b32 v2, a6
	;; [unrolled: 1-line block ×3, first 2 shown]
                                        ; implicit-def: $vgpr56
	s_waitcnt vmcnt(0) lgkmcnt(0)
	v_mad_i64_i32 v[0:1], s[4:5], v0, v2, v[4:5]
	v_lshl_add_u64 v[32:33], v[0:1], 0, v[8:9]
	flat_load_dword v0, v[32:33]
	v_accvgpr_read_b32 v2, a24
	v_accvgpr_read_b32 v3, a25
	flat_load_dword v44, v[2:3]
	s_waitcnt vmcnt(0) lgkmcnt(0)
	v_and_b32_e32 v1, 0xff, v0
	v_cvt_f32_fp8_sdwa v1, v1 src0_sel:BYTE_0
	s_nop 0
	v_mul_f32_e32 v1, v44, v1
	v_and_b32_e32 v2, 0x7f800000, v1
	v_cmp_ne_u32_e64 s[4:5], s17, v2
	s_and_saveexec_b64 s[24:25], s[4:5]
	s_xor_b64 s[4:5], exec, s[24:25]
; %bb.11:                               ;   in Loop: Header=BB373_10 Depth=1
	v_bfe_u32 v2, v1, 16, 1
	v_add3_u32 v56, v1, v2, s27
                                        ; implicit-def: $vgpr1
; %bb.12:                               ;   in Loop: Header=BB373_10 Depth=1
	s_andn2_saveexec_b64 s[24:25], s[4:5]
; %bb.13:                               ;   in Loop: Header=BB373_10 Depth=1
	v_or_b32_e32 v2, 0x10000, v1
	v_cmp_eq_u32_sdwa s[4:5], v1, v9 src0_sel:WORD_0 src1_sel:DWORD
	s_nop 1
	v_cndmask_b32_e64 v56, v2, v1, s[4:5]
; %bb.14:                               ;   in Loop: Header=BB373_10 Depth=1
	s_or_b64 exec, exec, s[24:25]
	v_bfe_u32 v1, v0, 8, 8
	v_cvt_f32_fp8_sdwa v1, v1 src0_sel:BYTE_0
                                        ; implicit-def: $vgpr57
	s_nop 0
	v_mul_f32_e32 v1, v44, v1
	v_and_b32_e32 v2, 0x7f800000, v1
	v_cmp_ne_u32_e64 s[4:5], s17, v2
	s_and_saveexec_b64 s[24:25], s[4:5]
	s_xor_b64 s[4:5], exec, s[24:25]
; %bb.15:                               ;   in Loop: Header=BB373_10 Depth=1
	v_bfe_u32 v2, v1, 16, 1
	v_add3_u32 v57, v1, v2, s27
                                        ; implicit-def: $vgpr1
; %bb.16:                               ;   in Loop: Header=BB373_10 Depth=1
	s_andn2_saveexec_b64 s[24:25], s[4:5]
; %bb.17:                               ;   in Loop: Header=BB373_10 Depth=1
	v_or_b32_e32 v2, 0x10000, v1
	v_cmp_eq_u32_sdwa s[4:5], v1, v9 src0_sel:WORD_0 src1_sel:DWORD
	s_nop 1
	v_cndmask_b32_e64 v57, v2, v1, s[4:5]
; %bb.18:                               ;   in Loop: Header=BB373_10 Depth=1
	s_or_b64 exec, exec, s[24:25]
	v_bfe_u32 v1, v0, 16, 8
	v_cvt_f32_fp8_sdwa v1, v1 src0_sel:BYTE_0
                                        ; implicit-def: $vgpr58
	s_nop 0
	v_mul_f32_e32 v1, v44, v1
	v_and_b32_e32 v2, 0x7f800000, v1
	v_cmp_ne_u32_e64 s[4:5], s17, v2
	s_and_saveexec_b64 s[24:25], s[4:5]
	s_xor_b64 s[4:5], exec, s[24:25]
; %bb.19:                               ;   in Loop: Header=BB373_10 Depth=1
	v_bfe_u32 v2, v1, 16, 1
	v_add3_u32 v58, v1, v2, s27
                                        ; implicit-def: $vgpr1
; %bb.20:                               ;   in Loop: Header=BB373_10 Depth=1
	s_andn2_saveexec_b64 s[24:25], s[4:5]
; %bb.21:                               ;   in Loop: Header=BB373_10 Depth=1
	v_or_b32_e32 v2, 0x10000, v1
	v_cmp_eq_u32_sdwa s[4:5], v1, v9 src0_sel:WORD_0 src1_sel:DWORD
	s_nop 1
	v_cndmask_b32_e64 v58, v2, v1, s[4:5]
; %bb.22:                               ;   in Loop: Header=BB373_10 Depth=1
	s_or_b64 exec, exec, s[24:25]
	v_lshrrev_b32_e32 v0, 24, v0
	v_cvt_f32_fp8_sdwa v0, v0 src0_sel:BYTE_0
                                        ; implicit-def: $vgpr59
	s_nop 0
	v_mul_f32_e32 v0, v44, v0
	v_and_b32_e32 v1, 0x7f800000, v0
	v_cmp_ne_u32_e64 s[4:5], s17, v1
	s_and_saveexec_b64 s[24:25], s[4:5]
	s_xor_b64 s[4:5], exec, s[24:25]
; %bb.23:                               ;   in Loop: Header=BB373_10 Depth=1
	v_bfe_u32 v1, v0, 16, 1
	v_add3_u32 v59, v0, v1, s27
                                        ; implicit-def: $vgpr0
; %bb.24:                               ;   in Loop: Header=BB373_10 Depth=1
	s_andn2_saveexec_b64 s[24:25], s[4:5]
; %bb.25:                               ;   in Loop: Header=BB373_10 Depth=1
	v_or_b32_e32 v1, 0x10000, v0
	v_cmp_eq_u32_sdwa s[4:5], v0, v9 src0_sel:WORD_0 src1_sel:DWORD
	s_nop 1
	v_cndmask_b32_e64 v59, v1, v0, s[4:5]
; %bb.26:                               ;   in Loop: Header=BB373_10 Depth=1
	s_or_b64 exec, exec, s[24:25]
	flat_load_dword v0, v[32:33] offset:8
                                        ; implicit-def: $agpr34
	s_waitcnt vmcnt(0) lgkmcnt(0)
	v_and_b32_e32 v1, 0xff, v0
	v_cvt_f32_fp8_sdwa v1, v1 src0_sel:BYTE_0
	s_nop 0
	v_mul_f32_e32 v1, v44, v1
	v_and_b32_e32 v2, 0x7f800000, v1
	v_cmp_ne_u32_e64 s[4:5], s17, v2
	s_and_saveexec_b64 s[24:25], s[4:5]
	s_xor_b64 s[4:5], exec, s[24:25]
; %bb.27:                               ;   in Loop: Header=BB373_10 Depth=1
	v_bfe_u32 v2, v1, 16, 1
	v_add3_u32 v1, v1, v2, s27
	v_accvgpr_write_b32 a34, v1
                                        ; implicit-def: $vgpr1
; %bb.28:                               ;   in Loop: Header=BB373_10 Depth=1
	s_andn2_saveexec_b64 s[24:25], s[4:5]
; %bb.29:                               ;   in Loop: Header=BB373_10 Depth=1
	v_or_b32_e32 v2, 0x10000, v1
	v_cmp_eq_u32_sdwa s[4:5], v1, v9 src0_sel:WORD_0 src1_sel:DWORD
	s_nop 1
	v_cndmask_b32_e64 v1, v2, v1, s[4:5]
	v_accvgpr_write_b32 a34, v1
; %bb.30:                               ;   in Loop: Header=BB373_10 Depth=1
	s_or_b64 exec, exec, s[24:25]
	v_bfe_u32 v1, v0, 8, 8
	v_cvt_f32_fp8_sdwa v1, v1 src0_sel:BYTE_0
                                        ; implicit-def: $agpr35
	s_nop 0
	v_mul_f32_e32 v1, v44, v1
	v_and_b32_e32 v2, 0x7f800000, v1
	v_cmp_ne_u32_e64 s[4:5], s17, v2
	s_and_saveexec_b64 s[24:25], s[4:5]
	s_xor_b64 s[4:5], exec, s[24:25]
; %bb.31:                               ;   in Loop: Header=BB373_10 Depth=1
	v_bfe_u32 v2, v1, 16, 1
	v_add3_u32 v1, v1, v2, s27
	v_accvgpr_write_b32 a35, v1
                                        ; implicit-def: $vgpr1
; %bb.32:                               ;   in Loop: Header=BB373_10 Depth=1
	s_andn2_saveexec_b64 s[24:25], s[4:5]
; %bb.33:                               ;   in Loop: Header=BB373_10 Depth=1
	v_or_b32_e32 v2, 0x10000, v1
	v_cmp_eq_u32_sdwa s[4:5], v1, v9 src0_sel:WORD_0 src1_sel:DWORD
	s_nop 1
	v_cndmask_b32_e64 v1, v2, v1, s[4:5]
	v_accvgpr_write_b32 a35, v1
; %bb.34:                               ;   in Loop: Header=BB373_10 Depth=1
	s_or_b64 exec, exec, s[24:25]
	v_bfe_u32 v1, v0, 16, 8
	v_cvt_f32_fp8_sdwa v1, v1 src0_sel:BYTE_0
                                        ; implicit-def: $agpr36
	s_nop 0
	v_mul_f32_e32 v1, v44, v1
	v_and_b32_e32 v2, 0x7f800000, v1
	v_cmp_ne_u32_e64 s[4:5], s17, v2
	s_and_saveexec_b64 s[24:25], s[4:5]
	s_xor_b64 s[4:5], exec, s[24:25]
; %bb.35:                               ;   in Loop: Header=BB373_10 Depth=1
	v_bfe_u32 v2, v1, 16, 1
	v_add3_u32 v1, v1, v2, s27
	v_accvgpr_write_b32 a36, v1
                                        ; implicit-def: $vgpr1
; %bb.36:                               ;   in Loop: Header=BB373_10 Depth=1
	s_andn2_saveexec_b64 s[24:25], s[4:5]
; %bb.37:                               ;   in Loop: Header=BB373_10 Depth=1
	v_or_b32_e32 v2, 0x10000, v1
	v_cmp_eq_u32_sdwa s[4:5], v1, v9 src0_sel:WORD_0 src1_sel:DWORD
	s_nop 1
	v_cndmask_b32_e64 v1, v2, v1, s[4:5]
	v_accvgpr_write_b32 a36, v1
; %bb.38:                               ;   in Loop: Header=BB373_10 Depth=1
	s_or_b64 exec, exec, s[24:25]
	v_lshrrev_b32_e32 v0, 24, v0
	v_cvt_f32_fp8_sdwa v0, v0 src0_sel:BYTE_0
                                        ; implicit-def: $agpr37
	s_nop 0
	v_mul_f32_e32 v0, v44, v0
	v_and_b32_e32 v1, 0x7f800000, v0
	v_cmp_ne_u32_e64 s[4:5], s17, v1
	s_and_saveexec_b64 s[24:25], s[4:5]
	s_xor_b64 s[4:5], exec, s[24:25]
; %bb.39:                               ;   in Loop: Header=BB373_10 Depth=1
	v_bfe_u32 v1, v0, 16, 1
	v_add3_u32 v0, v0, v1, s27
	v_accvgpr_write_b32 a37, v0
                                        ; implicit-def: $vgpr0
; %bb.40:                               ;   in Loop: Header=BB373_10 Depth=1
	s_andn2_saveexec_b64 s[24:25], s[4:5]
; %bb.41:                               ;   in Loop: Header=BB373_10 Depth=1
	v_or_b32_e32 v1, 0x10000, v0
	v_cmp_eq_u32_sdwa s[4:5], v0, v9 src0_sel:WORD_0 src1_sel:DWORD
	s_nop 1
	v_cndmask_b32_e64 v0, v1, v0, s[4:5]
	v_accvgpr_write_b32 a37, v0
; %bb.42:                               ;   in Loop: Header=BB373_10 Depth=1
	s_or_b64 exec, exec, s[24:25]
	flat_load_dword v0, v[32:33] offset:512
                                        ; implicit-def: $agpr38
	s_waitcnt vmcnt(0) lgkmcnt(0)
	v_and_b32_e32 v1, 0xff, v0
	v_cvt_f32_fp8_sdwa v1, v1 src0_sel:BYTE_0
	s_nop 0
	v_mul_f32_e32 v1, v44, v1
	v_and_b32_e32 v2, 0x7f800000, v1
	v_cmp_ne_u32_e64 s[4:5], s17, v2
	s_and_saveexec_b64 s[24:25], s[4:5]
	s_xor_b64 s[4:5], exec, s[24:25]
; %bb.43:                               ;   in Loop: Header=BB373_10 Depth=1
	v_bfe_u32 v2, v1, 16, 1
	v_add3_u32 v1, v1, v2, s27
	v_accvgpr_write_b32 a38, v1
                                        ; implicit-def: $vgpr1
; %bb.44:                               ;   in Loop: Header=BB373_10 Depth=1
	s_andn2_saveexec_b64 s[24:25], s[4:5]
; %bb.45:                               ;   in Loop: Header=BB373_10 Depth=1
	v_or_b32_e32 v2, 0x10000, v1
	v_cmp_eq_u32_sdwa s[4:5], v1, v9 src0_sel:WORD_0 src1_sel:DWORD
	s_nop 1
	v_cndmask_b32_e64 v1, v2, v1, s[4:5]
	v_accvgpr_write_b32 a38, v1
; %bb.46:                               ;   in Loop: Header=BB373_10 Depth=1
	s_or_b64 exec, exec, s[24:25]
	v_bfe_u32 v1, v0, 8, 8
	v_cvt_f32_fp8_sdwa v1, v1 src0_sel:BYTE_0
                                        ; implicit-def: $agpr39
	s_nop 0
	v_mul_f32_e32 v1, v44, v1
	v_and_b32_e32 v2, 0x7f800000, v1
	v_cmp_ne_u32_e64 s[4:5], s17, v2
	s_and_saveexec_b64 s[24:25], s[4:5]
	s_xor_b64 s[4:5], exec, s[24:25]
; %bb.47:                               ;   in Loop: Header=BB373_10 Depth=1
	v_bfe_u32 v2, v1, 16, 1
	v_add3_u32 v1, v1, v2, s27
	v_accvgpr_write_b32 a39, v1
                                        ; implicit-def: $vgpr1
; %bb.48:                               ;   in Loop: Header=BB373_10 Depth=1
	s_andn2_saveexec_b64 s[24:25], s[4:5]
; %bb.49:                               ;   in Loop: Header=BB373_10 Depth=1
	v_or_b32_e32 v2, 0x10000, v1
	v_cmp_eq_u32_sdwa s[4:5], v1, v9 src0_sel:WORD_0 src1_sel:DWORD
	s_nop 1
	v_cndmask_b32_e64 v1, v2, v1, s[4:5]
	v_accvgpr_write_b32 a39, v1
; %bb.50:                               ;   in Loop: Header=BB373_10 Depth=1
	s_or_b64 exec, exec, s[24:25]
	v_bfe_u32 v1, v0, 16, 8
	v_cvt_f32_fp8_sdwa v1, v1 src0_sel:BYTE_0
                                        ; implicit-def: $vgpr60
	s_nop 0
	v_mul_f32_e32 v1, v44, v1
	v_and_b32_e32 v2, 0x7f800000, v1
	v_cmp_ne_u32_e64 s[4:5], s17, v2
	s_and_saveexec_b64 s[24:25], s[4:5]
	s_xor_b64 s[4:5], exec, s[24:25]
; %bb.51:                               ;   in Loop: Header=BB373_10 Depth=1
	v_bfe_u32 v2, v1, 16, 1
	v_add3_u32 v60, v1, v2, s27
                                        ; implicit-def: $vgpr1
; %bb.52:                               ;   in Loop: Header=BB373_10 Depth=1
	s_andn2_saveexec_b64 s[24:25], s[4:5]
; %bb.53:                               ;   in Loop: Header=BB373_10 Depth=1
	v_or_b32_e32 v2, 0x10000, v1
	v_cmp_eq_u32_sdwa s[4:5], v1, v9 src0_sel:WORD_0 src1_sel:DWORD
	s_nop 1
	v_cndmask_b32_e64 v60, v2, v1, s[4:5]
; %bb.54:                               ;   in Loop: Header=BB373_10 Depth=1
	s_or_b64 exec, exec, s[24:25]
	v_lshrrev_b32_e32 v0, 24, v0
	v_cvt_f32_fp8_sdwa v0, v0 src0_sel:BYTE_0
                                        ; implicit-def: $vgpr61
	s_nop 0
	v_mul_f32_e32 v0, v44, v0
	v_and_b32_e32 v1, 0x7f800000, v0
	v_cmp_ne_u32_e64 s[4:5], s17, v1
	s_and_saveexec_b64 s[24:25], s[4:5]
	s_xor_b64 s[4:5], exec, s[24:25]
; %bb.55:                               ;   in Loop: Header=BB373_10 Depth=1
	v_bfe_u32 v1, v0, 16, 1
	v_add3_u32 v61, v0, v1, s27
                                        ; implicit-def: $vgpr0
; %bb.56:                               ;   in Loop: Header=BB373_10 Depth=1
	s_andn2_saveexec_b64 s[24:25], s[4:5]
; %bb.57:                               ;   in Loop: Header=BB373_10 Depth=1
	v_or_b32_e32 v1, 0x10000, v0
	v_cmp_eq_u32_sdwa s[4:5], v0, v9 src0_sel:WORD_0 src1_sel:DWORD
	s_nop 1
	v_cndmask_b32_e64 v61, v1, v0, s[4:5]
; %bb.58:                               ;   in Loop: Header=BB373_10 Depth=1
	s_or_b64 exec, exec, s[24:25]
	flat_load_dword v0, v[32:33] offset:520
                                        ; implicit-def: $vgpr62
	s_waitcnt vmcnt(0) lgkmcnt(0)
	v_and_b32_e32 v1, 0xff, v0
	v_cvt_f32_fp8_sdwa v1, v1 src0_sel:BYTE_0
	s_nop 0
	v_mul_f32_e32 v1, v44, v1
	v_and_b32_e32 v2, 0x7f800000, v1
	v_cmp_ne_u32_e64 s[4:5], s17, v2
	s_and_saveexec_b64 s[24:25], s[4:5]
	s_xor_b64 s[4:5], exec, s[24:25]
; %bb.59:                               ;   in Loop: Header=BB373_10 Depth=1
	v_bfe_u32 v2, v1, 16, 1
	v_add3_u32 v62, v1, v2, s27
                                        ; implicit-def: $vgpr1
; %bb.60:                               ;   in Loop: Header=BB373_10 Depth=1
	s_andn2_saveexec_b64 s[24:25], s[4:5]
; %bb.61:                               ;   in Loop: Header=BB373_10 Depth=1
	v_or_b32_e32 v2, 0x10000, v1
	v_cmp_eq_u32_sdwa s[4:5], v1, v9 src0_sel:WORD_0 src1_sel:DWORD
	s_nop 1
	v_cndmask_b32_e64 v62, v2, v1, s[4:5]
; %bb.62:                               ;   in Loop: Header=BB373_10 Depth=1
	s_or_b64 exec, exec, s[24:25]
	v_bfe_u32 v1, v0, 8, 8
	v_cvt_f32_fp8_sdwa v1, v1 src0_sel:BYTE_0
                                        ; implicit-def: $vgpr63
	s_nop 0
	v_mul_f32_e32 v1, v44, v1
	v_and_b32_e32 v2, 0x7f800000, v1
	v_cmp_ne_u32_e64 s[4:5], s17, v2
	s_and_saveexec_b64 s[24:25], s[4:5]
	s_xor_b64 s[4:5], exec, s[24:25]
; %bb.63:                               ;   in Loop: Header=BB373_10 Depth=1
	v_bfe_u32 v2, v1, 16, 1
	v_add3_u32 v63, v1, v2, s27
                                        ; implicit-def: $vgpr1
; %bb.64:                               ;   in Loop: Header=BB373_10 Depth=1
	s_andn2_saveexec_b64 s[24:25], s[4:5]
; %bb.65:                               ;   in Loop: Header=BB373_10 Depth=1
	v_or_b32_e32 v2, 0x10000, v1
	v_cmp_eq_u32_sdwa s[4:5], v1, v9 src0_sel:WORD_0 src1_sel:DWORD
	s_nop 1
	v_cndmask_b32_e64 v63, v2, v1, s[4:5]
; %bb.66:                               ;   in Loop: Header=BB373_10 Depth=1
	s_or_b64 exec, exec, s[24:25]
	v_bfe_u32 v1, v0, 16, 8
	v_cvt_f32_fp8_sdwa v1, v1 src0_sel:BYTE_0
                                        ; implicit-def: $vgpr5
	s_nop 0
	v_mul_f32_e32 v1, v44, v1
	v_and_b32_e32 v2, 0x7f800000, v1
	v_cmp_ne_u32_e64 s[4:5], s17, v2
	s_and_saveexec_b64 s[24:25], s[4:5]
	s_xor_b64 s[4:5], exec, s[24:25]
; %bb.67:                               ;   in Loop: Header=BB373_10 Depth=1
	v_bfe_u32 v2, v1, 16, 1
	v_add3_u32 v5, v1, v2, s27
                                        ; implicit-def: $vgpr1
; %bb.68:                               ;   in Loop: Header=BB373_10 Depth=1
	s_andn2_saveexec_b64 s[24:25], s[4:5]
; %bb.69:                               ;   in Loop: Header=BB373_10 Depth=1
	v_or_b32_e32 v2, 0x10000, v1
	v_cmp_eq_u32_sdwa s[4:5], v1, v9 src0_sel:WORD_0 src1_sel:DWORD
	s_nop 1
	v_cndmask_b32_e64 v5, v2, v1, s[4:5]
; %bb.70:                               ;   in Loop: Header=BB373_10 Depth=1
	s_or_b64 exec, exec, s[24:25]
	v_lshrrev_b32_e32 v0, 24, v0
	v_cvt_f32_fp8_sdwa v0, v0 src0_sel:BYTE_0
                                        ; implicit-def: $vgpr6
	s_nop 0
	v_mul_f32_e32 v0, v44, v0
	v_and_b32_e32 v1, 0x7f800000, v0
	v_cmp_ne_u32_e64 s[4:5], s17, v1
	s_and_saveexec_b64 s[24:25], s[4:5]
	s_xor_b64 s[4:5], exec, s[24:25]
; %bb.71:                               ;   in Loop: Header=BB373_10 Depth=1
	v_bfe_u32 v1, v0, 16, 1
	v_add3_u32 v6, v0, v1, s27
                                        ; implicit-def: $vgpr0
; %bb.72:                               ;   in Loop: Header=BB373_10 Depth=1
	s_andn2_saveexec_b64 s[24:25], s[4:5]
; %bb.73:                               ;   in Loop: Header=BB373_10 Depth=1
	v_or_b32_e32 v1, 0x10000, v0
	v_cmp_eq_u32_sdwa s[4:5], v0, v9 src0_sel:WORD_0 src1_sel:DWORD
	s_nop 1
	v_cndmask_b32_e64 v6, v1, v0, s[4:5]
; %bb.74:                               ;   in Loop: Header=BB373_10 Depth=1
	s_or_b64 exec, exec, s[24:25]
	flat_load_dword v0, v[32:33] offset:1024
                                        ; implicit-def: $vgpr7
	s_waitcnt vmcnt(0) lgkmcnt(0)
	v_and_b32_e32 v1, 0xff, v0
	v_cvt_f32_fp8_sdwa v1, v1 src0_sel:BYTE_0
	s_nop 0
	v_mul_f32_e32 v1, v44, v1
	v_and_b32_e32 v2, 0x7f800000, v1
	v_cmp_ne_u32_e64 s[4:5], s17, v2
	s_and_saveexec_b64 s[24:25], s[4:5]
	s_xor_b64 s[4:5], exec, s[24:25]
; %bb.75:                               ;   in Loop: Header=BB373_10 Depth=1
	v_bfe_u32 v2, v1, 16, 1
	v_add3_u32 v7, v1, v2, s27
                                        ; implicit-def: $vgpr1
; %bb.76:                               ;   in Loop: Header=BB373_10 Depth=1
	s_andn2_saveexec_b64 s[24:25], s[4:5]
; %bb.77:                               ;   in Loop: Header=BB373_10 Depth=1
	v_or_b32_e32 v2, 0x10000, v1
	v_cmp_eq_u32_sdwa s[4:5], v1, v9 src0_sel:WORD_0 src1_sel:DWORD
	s_nop 1
	v_cndmask_b32_e64 v7, v2, v1, s[4:5]
; %bb.78:                               ;   in Loop: Header=BB373_10 Depth=1
	s_or_b64 exec, exec, s[24:25]
	v_bfe_u32 v1, v0, 8, 8
	v_cvt_f32_fp8_sdwa v1, v1 src0_sel:BYTE_0
                                        ; implicit-def: $vgpr4
	s_nop 0
	v_mul_f32_e32 v1, v44, v1
	v_and_b32_e32 v2, 0x7f800000, v1
	v_cmp_ne_u32_e64 s[4:5], s17, v2
	s_and_saveexec_b64 s[24:25], s[4:5]
	s_xor_b64 s[4:5], exec, s[24:25]
; %bb.79:                               ;   in Loop: Header=BB373_10 Depth=1
	v_bfe_u32 v2, v1, 16, 1
	v_add3_u32 v4, v1, v2, s27
                                        ; implicit-def: $vgpr1
; %bb.80:                               ;   in Loop: Header=BB373_10 Depth=1
	s_andn2_saveexec_b64 s[24:25], s[4:5]
; %bb.81:                               ;   in Loop: Header=BB373_10 Depth=1
	v_or_b32_e32 v2, 0x10000, v1
	v_cmp_eq_u32_sdwa s[4:5], v1, v9 src0_sel:WORD_0 src1_sel:DWORD
	s_nop 1
	v_cndmask_b32_e64 v4, v2, v1, s[4:5]
; %bb.82:                               ;   in Loop: Header=BB373_10 Depth=1
	s_or_b64 exec, exec, s[24:25]
	v_bfe_u32 v1, v0, 16, 8
	v_cvt_f32_fp8_sdwa v1, v1 src0_sel:BYTE_0
                                        ; implicit-def: $vgpr28
	s_nop 0
	v_mul_f32_e32 v1, v44, v1
	v_and_b32_e32 v2, 0x7f800000, v1
	v_cmp_ne_u32_e64 s[4:5], s17, v2
	s_and_saveexec_b64 s[24:25], s[4:5]
	s_xor_b64 s[4:5], exec, s[24:25]
; %bb.83:                               ;   in Loop: Header=BB373_10 Depth=1
	v_bfe_u32 v2, v1, 16, 1
	v_add3_u32 v28, v1, v2, s27
                                        ; implicit-def: $vgpr1
; %bb.84:                               ;   in Loop: Header=BB373_10 Depth=1
	s_andn2_saveexec_b64 s[24:25], s[4:5]
; %bb.85:                               ;   in Loop: Header=BB373_10 Depth=1
	v_or_b32_e32 v2, 0x10000, v1
	v_cmp_eq_u32_sdwa s[4:5], v1, v9 src0_sel:WORD_0 src1_sel:DWORD
	s_nop 1
	v_cndmask_b32_e64 v28, v2, v1, s[4:5]
; %bb.86:                               ;   in Loop: Header=BB373_10 Depth=1
	s_or_b64 exec, exec, s[24:25]
	v_lshrrev_b32_e32 v0, 24, v0
	v_cvt_f32_fp8_sdwa v0, v0 src0_sel:BYTE_0
                                        ; implicit-def: $vgpr30
	s_nop 0
	v_mul_f32_e32 v0, v44, v0
	v_and_b32_e32 v1, 0x7f800000, v0
	v_cmp_ne_u32_e64 s[4:5], s17, v1
	s_and_saveexec_b64 s[24:25], s[4:5]
	s_xor_b64 s[4:5], exec, s[24:25]
; %bb.87:                               ;   in Loop: Header=BB373_10 Depth=1
	v_bfe_u32 v1, v0, 16, 1
	v_add3_u32 v30, v0, v1, s27
                                        ; implicit-def: $vgpr0
; %bb.88:                               ;   in Loop: Header=BB373_10 Depth=1
	s_andn2_saveexec_b64 s[24:25], s[4:5]
; %bb.89:                               ;   in Loop: Header=BB373_10 Depth=1
	v_or_b32_e32 v1, 0x10000, v0
	v_cmp_eq_u32_sdwa s[4:5], v0, v9 src0_sel:WORD_0 src1_sel:DWORD
	s_nop 1
	v_cndmask_b32_e64 v30, v1, v0, s[4:5]
; %bb.90:                               ;   in Loop: Header=BB373_10 Depth=1
	s_or_b64 exec, exec, s[24:25]
	flat_load_dword v0, v[32:33] offset:1032
                                        ; implicit-def: $vgpr31
	s_waitcnt vmcnt(0) lgkmcnt(0)
	v_and_b32_e32 v1, 0xff, v0
	v_cvt_f32_fp8_sdwa v1, v1 src0_sel:BYTE_0
	s_nop 0
	v_mul_f32_e32 v1, v44, v1
	v_and_b32_e32 v2, 0x7f800000, v1
	v_cmp_ne_u32_e64 s[4:5], s17, v2
	s_and_saveexec_b64 s[24:25], s[4:5]
	s_xor_b64 s[4:5], exec, s[24:25]
; %bb.91:                               ;   in Loop: Header=BB373_10 Depth=1
	v_bfe_u32 v2, v1, 16, 1
	v_add3_u32 v31, v1, v2, s27
                                        ; implicit-def: $vgpr1
; %bb.92:                               ;   in Loop: Header=BB373_10 Depth=1
	s_andn2_saveexec_b64 s[24:25], s[4:5]
; %bb.93:                               ;   in Loop: Header=BB373_10 Depth=1
	v_or_b32_e32 v2, 0x10000, v1
	v_cmp_eq_u32_sdwa s[4:5], v1, v9 src0_sel:WORD_0 src1_sel:DWORD
	s_nop 1
	v_cndmask_b32_e64 v31, v2, v1, s[4:5]
; %bb.94:                               ;   in Loop: Header=BB373_10 Depth=1
	s_or_b64 exec, exec, s[24:25]
	v_bfe_u32 v1, v0, 8, 8
	v_cvt_f32_fp8_sdwa v1, v1 src0_sel:BYTE_0
                                        ; implicit-def: $vgpr27
	s_nop 0
	v_mul_f32_e32 v1, v44, v1
	v_and_b32_e32 v2, 0x7f800000, v1
	v_cmp_ne_u32_e64 s[4:5], s17, v2
	s_and_saveexec_b64 s[24:25], s[4:5]
	s_xor_b64 s[4:5], exec, s[24:25]
; %bb.95:                               ;   in Loop: Header=BB373_10 Depth=1
	v_bfe_u32 v2, v1, 16, 1
	v_add3_u32 v27, v1, v2, s27
                                        ; implicit-def: $vgpr1
; %bb.96:                               ;   in Loop: Header=BB373_10 Depth=1
	s_andn2_saveexec_b64 s[24:25], s[4:5]
; %bb.97:                               ;   in Loop: Header=BB373_10 Depth=1
	v_or_b32_e32 v2, 0x10000, v1
	v_cmp_eq_u32_sdwa s[4:5], v1, v9 src0_sel:WORD_0 src1_sel:DWORD
	s_nop 1
	v_cndmask_b32_e64 v27, v2, v1, s[4:5]
; %bb.98:                               ;   in Loop: Header=BB373_10 Depth=1
	s_or_b64 exec, exec, s[24:25]
	v_bfe_u32 v1, v0, 16, 8
	v_cvt_f32_fp8_sdwa v1, v1 src0_sel:BYTE_0
                                        ; implicit-def: $vgpr11
	s_nop 0
	v_mul_f32_e32 v1, v44, v1
	v_and_b32_e32 v2, 0x7f800000, v1
	v_cmp_ne_u32_e64 s[4:5], s17, v2
	s_and_saveexec_b64 s[24:25], s[4:5]
	s_xor_b64 s[4:5], exec, s[24:25]
; %bb.99:                               ;   in Loop: Header=BB373_10 Depth=1
	v_bfe_u32 v2, v1, 16, 1
	v_add3_u32 v11, v1, v2, s27
                                        ; implicit-def: $vgpr1
; %bb.100:                              ;   in Loop: Header=BB373_10 Depth=1
	s_andn2_saveexec_b64 s[24:25], s[4:5]
; %bb.101:                              ;   in Loop: Header=BB373_10 Depth=1
	v_or_b32_e32 v2, 0x10000, v1
	v_cmp_eq_u32_sdwa s[4:5], v1, v9 src0_sel:WORD_0 src1_sel:DWORD
	s_nop 1
	v_cndmask_b32_e64 v11, v2, v1, s[4:5]
; %bb.102:                              ;   in Loop: Header=BB373_10 Depth=1
	s_or_b64 exec, exec, s[24:25]
	v_lshrrev_b32_e32 v0, 24, v0
	v_cvt_f32_fp8_sdwa v0, v0 src0_sel:BYTE_0
                                        ; implicit-def: $vgpr10
	s_nop 0
	v_mul_f32_e32 v0, v44, v0
	v_and_b32_e32 v1, 0x7f800000, v0
	v_cmp_ne_u32_e64 s[4:5], s17, v1
	s_and_saveexec_b64 s[24:25], s[4:5]
	s_xor_b64 s[4:5], exec, s[24:25]
; %bb.103:                              ;   in Loop: Header=BB373_10 Depth=1
	v_bfe_u32 v1, v0, 16, 1
	v_add3_u32 v10, v0, v1, s27
                                        ; implicit-def: $vgpr0
; %bb.104:                              ;   in Loop: Header=BB373_10 Depth=1
	s_andn2_saveexec_b64 s[24:25], s[4:5]
; %bb.105:                              ;   in Loop: Header=BB373_10 Depth=1
	v_or_b32_e32 v1, 0x10000, v0
	v_cmp_eq_u32_sdwa s[4:5], v0, v9 src0_sel:WORD_0 src1_sel:DWORD
	s_nop 1
	v_cndmask_b32_e64 v10, v1, v0, s[4:5]
; %bb.106:                              ;   in Loop: Header=BB373_10 Depth=1
	s_or_b64 exec, exec, s[24:25]
	flat_load_dword v2, v[32:33] offset:1536
	s_waitcnt vmcnt(0) lgkmcnt(0)
	v_and_b32_e32 v0, 0xff, v2
	v_cvt_f32_fp8_sdwa v0, v0 src0_sel:BYTE_0
	s_nop 0
	v_mul_f32_e32 v0, v44, v0
	v_and_b32_e32 v1, 0x7f800000, v0
	v_cmp_ne_u32_e64 s[4:5], s17, v1
                                        ; implicit-def: $vgpr1
	s_and_saveexec_b64 s[24:25], s[4:5]
	s_xor_b64 s[4:5], exec, s[24:25]
; %bb.107:                              ;   in Loop: Header=BB373_10 Depth=1
	v_bfe_u32 v1, v0, 16, 1
	v_add3_u32 v1, v0, v1, s27
                                        ; implicit-def: $vgpr0
; %bb.108:                              ;   in Loop: Header=BB373_10 Depth=1
	s_andn2_saveexec_b64 s[24:25], s[4:5]
; %bb.109:                              ;   in Loop: Header=BB373_10 Depth=1
	v_or_b32_e32 v1, 0x10000, v0
	v_cmp_eq_u32_sdwa s[4:5], v0, v9 src0_sel:WORD_0 src1_sel:DWORD
	s_nop 1
	v_cndmask_b32_e64 v1, v1, v0, s[4:5]
; %bb.110:                              ;   in Loop: Header=BB373_10 Depth=1
	s_or_b64 exec, exec, s[24:25]
	v_bfe_u32 v0, v2, 8, 8
	v_cvt_f32_fp8_sdwa v0, v0 src0_sel:BYTE_0
	s_nop 0
	v_mul_f32_e32 v3, v44, v0
	v_and_b32_e32 v0, 0x7f800000, v3
	v_cmp_ne_u32_e64 s[4:5], s17, v0
                                        ; implicit-def: $vgpr0
	s_and_saveexec_b64 s[24:25], s[4:5]
	s_xor_b64 s[4:5], exec, s[24:25]
; %bb.111:                              ;   in Loop: Header=BB373_10 Depth=1
	v_bfe_u32 v0, v3, 16, 1
	v_add3_u32 v0, v3, v0, s27
                                        ; implicit-def: $vgpr3
; %bb.112:                              ;   in Loop: Header=BB373_10 Depth=1
	s_andn2_saveexec_b64 s[24:25], s[4:5]
; %bb.113:                              ;   in Loop: Header=BB373_10 Depth=1
	v_or_b32_e32 v0, 0x10000, v3
	v_cmp_eq_u32_sdwa s[4:5], v3, v9 src0_sel:WORD_0 src1_sel:DWORD
	s_nop 1
	v_cndmask_b32_e64 v0, v0, v3, s[4:5]
; %bb.114:                              ;   in Loop: Header=BB373_10 Depth=1
	s_or_b64 exec, exec, s[24:25]
	v_bfe_u32 v3, v2, 16, 8
	v_cvt_f32_fp8_sdwa v3, v3 src0_sel:BYTE_0
	s_nop 0
	v_mul_f32_e32 v12, v44, v3
	v_and_b32_e32 v3, 0x7f800000, v12
	v_cmp_ne_u32_e64 s[4:5], s17, v3
                                        ; implicit-def: $vgpr3
	s_and_saveexec_b64 s[24:25], s[4:5]
	s_xor_b64 s[4:5], exec, s[24:25]
; %bb.115:                              ;   in Loop: Header=BB373_10 Depth=1
	v_bfe_u32 v3, v12, 16, 1
	v_add3_u32 v3, v12, v3, s27
                                        ; implicit-def: $vgpr12
; %bb.116:                              ;   in Loop: Header=BB373_10 Depth=1
	s_andn2_saveexec_b64 s[24:25], s[4:5]
; %bb.117:                              ;   in Loop: Header=BB373_10 Depth=1
	v_or_b32_e32 v3, 0x10000, v12
	v_cmp_eq_u32_sdwa s[4:5], v12, v9 src0_sel:WORD_0 src1_sel:DWORD
	s_nop 1
	v_cndmask_b32_e64 v3, v3, v12, s[4:5]
; %bb.118:                              ;   in Loop: Header=BB373_10 Depth=1
	s_or_b64 exec, exec, s[24:25]
	v_lshrrev_b32_e32 v2, 24, v2
	v_cvt_f32_fp8_sdwa v2, v2 src0_sel:BYTE_0
	s_nop 0
	v_mul_f32_e32 v12, v44, v2
	v_and_b32_e32 v2, 0x7f800000, v12
	v_cmp_ne_u32_e64 s[4:5], s17, v2
                                        ; implicit-def: $vgpr2
	s_and_saveexec_b64 s[24:25], s[4:5]
	s_xor_b64 s[4:5], exec, s[24:25]
; %bb.119:                              ;   in Loop: Header=BB373_10 Depth=1
	v_bfe_u32 v2, v12, 16, 1
	v_add3_u32 v2, v12, v2, s27
                                        ; implicit-def: $vgpr12
; %bb.120:                              ;   in Loop: Header=BB373_10 Depth=1
	s_andn2_saveexec_b64 s[24:25], s[4:5]
; %bb.121:                              ;   in Loop: Header=BB373_10 Depth=1
	v_or_b32_e32 v2, 0x10000, v12
	v_cmp_eq_u32_sdwa s[4:5], v12, v9 src0_sel:WORD_0 src1_sel:DWORD
	s_nop 1
	v_cndmask_b32_e64 v2, v2, v12, s[4:5]
; %bb.122:                              ;   in Loop: Header=BB373_10 Depth=1
	s_or_b64 exec, exec, s[24:25]
	flat_load_dword v12, v[32:33] offset:1544
                                        ; implicit-def: $vgpr15
	s_waitcnt vmcnt(0) lgkmcnt(0)
	v_and_b32_e32 v13, 0xff, v12
	v_cvt_f32_fp8_sdwa v13, v13 src0_sel:BYTE_0
	s_nop 0
	v_mul_f32_e32 v13, v44, v13
	v_and_b32_e32 v14, 0x7f800000, v13
	v_cmp_ne_u32_e64 s[4:5], s17, v14
	s_and_saveexec_b64 s[24:25], s[4:5]
	s_xor_b64 s[4:5], exec, s[24:25]
; %bb.123:                              ;   in Loop: Header=BB373_10 Depth=1
	v_bfe_u32 v14, v13, 16, 1
	v_add3_u32 v15, v13, v14, s27
                                        ; implicit-def: $vgpr13
; %bb.124:                              ;   in Loop: Header=BB373_10 Depth=1
	s_andn2_saveexec_b64 s[24:25], s[4:5]
; %bb.125:                              ;   in Loop: Header=BB373_10 Depth=1
	v_or_b32_e32 v14, 0x10000, v13
	v_cmp_eq_u32_sdwa s[4:5], v13, v9 src0_sel:WORD_0 src1_sel:DWORD
	s_nop 1
	v_cndmask_b32_e64 v15, v14, v13, s[4:5]
; %bb.126:                              ;   in Loop: Header=BB373_10 Depth=1
	s_or_b64 exec, exec, s[24:25]
	v_bfe_u32 v13, v12, 8, 8
	v_cvt_f32_fp8_sdwa v13, v13 src0_sel:BYTE_0
	s_nop 0
	v_mul_f32_e32 v13, v44, v13
	v_and_b32_e32 v14, 0x7f800000, v13
	v_cmp_ne_u32_e64 s[4:5], s17, v14
                                        ; implicit-def: $vgpr14
	s_and_saveexec_b64 s[24:25], s[4:5]
	s_xor_b64 s[4:5], exec, s[24:25]
; %bb.127:                              ;   in Loop: Header=BB373_10 Depth=1
	v_bfe_u32 v14, v13, 16, 1
	v_add3_u32 v14, v13, v14, s27
                                        ; implicit-def: $vgpr13
; %bb.128:                              ;   in Loop: Header=BB373_10 Depth=1
	s_andn2_saveexec_b64 s[24:25], s[4:5]
; %bb.129:                              ;   in Loop: Header=BB373_10 Depth=1
	v_or_b32_e32 v14, 0x10000, v13
	v_cmp_eq_u32_sdwa s[4:5], v13, v9 src0_sel:WORD_0 src1_sel:DWORD
	s_nop 1
	v_cndmask_b32_e64 v14, v14, v13, s[4:5]
; %bb.130:                              ;   in Loop: Header=BB373_10 Depth=1
	s_or_b64 exec, exec, s[24:25]
	v_bfe_u32 v13, v12, 16, 8
	v_cvt_f32_fp8_sdwa v13, v13 src0_sel:BYTE_0
                                        ; implicit-def: $vgpr22
	s_nop 0
	v_mul_f32_e32 v13, v44, v13
	v_and_b32_e32 v16, 0x7f800000, v13
	v_cmp_ne_u32_e64 s[4:5], s17, v16
	s_and_saveexec_b64 s[24:25], s[4:5]
	s_xor_b64 s[4:5], exec, s[24:25]
; %bb.131:                              ;   in Loop: Header=BB373_10 Depth=1
	v_bfe_u32 v16, v13, 16, 1
	v_add3_u32 v22, v13, v16, s27
                                        ; implicit-def: $vgpr13
; %bb.132:                              ;   in Loop: Header=BB373_10 Depth=1
	s_andn2_saveexec_b64 s[24:25], s[4:5]
; %bb.133:                              ;   in Loop: Header=BB373_10 Depth=1
	v_or_b32_e32 v16, 0x10000, v13
	v_cmp_eq_u32_sdwa s[4:5], v13, v9 src0_sel:WORD_0 src1_sel:DWORD
	s_nop 1
	v_cndmask_b32_e64 v22, v16, v13, s[4:5]
; %bb.134:                              ;   in Loop: Header=BB373_10 Depth=1
	s_or_b64 exec, exec, s[24:25]
	v_lshrrev_b32_e32 v12, 24, v12
	v_cvt_f32_fp8_sdwa v12, v12 src0_sel:BYTE_0
                                        ; implicit-def: $vgpr23
	s_nop 0
	v_mul_f32_e32 v12, v44, v12
	v_and_b32_e32 v13, 0x7f800000, v12
	v_cmp_ne_u32_e64 s[4:5], s17, v13
	s_and_saveexec_b64 s[24:25], s[4:5]
	s_xor_b64 s[4:5], exec, s[24:25]
; %bb.135:                              ;   in Loop: Header=BB373_10 Depth=1
	v_bfe_u32 v13, v12, 16, 1
	v_add3_u32 v23, v12, v13, s27
                                        ; implicit-def: $vgpr12
; %bb.136:                              ;   in Loop: Header=BB373_10 Depth=1
	s_andn2_saveexec_b64 s[24:25], s[4:5]
; %bb.137:                              ;   in Loop: Header=BB373_10 Depth=1
	v_or_b32_e32 v13, 0x10000, v12
	v_cmp_eq_u32_sdwa s[4:5], v12, v9 src0_sel:WORD_0 src1_sel:DWORD
	s_nop 1
	v_cndmask_b32_e64 v23, v13, v12, s[4:5]
; %bb.138:                              ;   in Loop: Header=BB373_10 Depth=1
	s_or_b64 exec, exec, s[24:25]
	flat_load_dword v12, v[32:33] offset:2048
                                        ; implicit-def: $vgpr29
	s_waitcnt vmcnt(0) lgkmcnt(0)
	v_and_b32_e32 v13, 0xff, v12
	v_cvt_f32_fp8_sdwa v13, v13 src0_sel:BYTE_0
	s_nop 0
	v_mul_f32_e32 v13, v44, v13
	v_and_b32_e32 v16, 0x7f800000, v13
	v_cmp_ne_u32_e64 s[4:5], s17, v16
	s_and_saveexec_b64 s[24:25], s[4:5]
	s_xor_b64 s[4:5], exec, s[24:25]
; %bb.139:                              ;   in Loop: Header=BB373_10 Depth=1
	v_bfe_u32 v16, v13, 16, 1
	v_add3_u32 v29, v13, v16, s27
                                        ; implicit-def: $vgpr13
; %bb.140:                              ;   in Loop: Header=BB373_10 Depth=1
	s_andn2_saveexec_b64 s[24:25], s[4:5]
; %bb.141:                              ;   in Loop: Header=BB373_10 Depth=1
	v_or_b32_e32 v16, 0x10000, v13
	v_cmp_eq_u32_sdwa s[4:5], v13, v9 src0_sel:WORD_0 src1_sel:DWORD
	s_nop 1
	v_cndmask_b32_e64 v29, v16, v13, s[4:5]
; %bb.142:                              ;   in Loop: Header=BB373_10 Depth=1
	s_or_b64 exec, exec, s[24:25]
	v_bfe_u32 v13, v12, 8, 8
	v_cvt_f32_fp8_sdwa v13, v13 src0_sel:BYTE_0
                                        ; implicit-def: $vgpr34
	s_nop 0
	v_mul_f32_e32 v13, v44, v13
	v_and_b32_e32 v16, 0x7f800000, v13
	v_cmp_ne_u32_e64 s[4:5], s17, v16
	s_and_saveexec_b64 s[24:25], s[4:5]
	s_xor_b64 s[4:5], exec, s[24:25]
; %bb.143:                              ;   in Loop: Header=BB373_10 Depth=1
	v_bfe_u32 v16, v13, 16, 1
	v_add3_u32 v34, v13, v16, s27
                                        ; implicit-def: $vgpr13
; %bb.144:                              ;   in Loop: Header=BB373_10 Depth=1
	s_andn2_saveexec_b64 s[24:25], s[4:5]
; %bb.145:                              ;   in Loop: Header=BB373_10 Depth=1
	v_or_b32_e32 v16, 0x10000, v13
	v_cmp_eq_u32_sdwa s[4:5], v13, v9 src0_sel:WORD_0 src1_sel:DWORD
	s_nop 1
	v_cndmask_b32_e64 v34, v16, v13, s[4:5]
; %bb.146:                              ;   in Loop: Header=BB373_10 Depth=1
	s_or_b64 exec, exec, s[24:25]
	v_bfe_u32 v13, v12, 16, 8
	v_cvt_f32_fp8_sdwa v13, v13 src0_sel:BYTE_0
                                        ; implicit-def: $vgpr36
	s_nop 0
	v_mul_f32_e32 v13, v44, v13
	v_and_b32_e32 v16, 0x7f800000, v13
	v_cmp_ne_u32_e64 s[4:5], s17, v16
	s_and_saveexec_b64 s[24:25], s[4:5]
	s_xor_b64 s[4:5], exec, s[24:25]
; %bb.147:                              ;   in Loop: Header=BB373_10 Depth=1
	v_bfe_u32 v16, v13, 16, 1
	v_add3_u32 v36, v13, v16, s27
                                        ; implicit-def: $vgpr13
; %bb.148:                              ;   in Loop: Header=BB373_10 Depth=1
	s_andn2_saveexec_b64 s[24:25], s[4:5]
; %bb.149:                              ;   in Loop: Header=BB373_10 Depth=1
	v_or_b32_e32 v16, 0x10000, v13
	v_cmp_eq_u32_sdwa s[4:5], v13, v9 src0_sel:WORD_0 src1_sel:DWORD
	s_nop 1
	v_cndmask_b32_e64 v36, v16, v13, s[4:5]
; %bb.150:                              ;   in Loop: Header=BB373_10 Depth=1
	s_or_b64 exec, exec, s[24:25]
	v_lshrrev_b32_e32 v12, 24, v12
	v_cvt_f32_fp8_sdwa v12, v12 src0_sel:BYTE_0
                                        ; implicit-def: $vgpr37
	s_nop 0
	v_mul_f32_e32 v12, v44, v12
	v_and_b32_e32 v13, 0x7f800000, v12
	v_cmp_ne_u32_e64 s[4:5], s17, v13
	s_and_saveexec_b64 s[24:25], s[4:5]
	s_xor_b64 s[4:5], exec, s[24:25]
; %bb.151:                              ;   in Loop: Header=BB373_10 Depth=1
	v_bfe_u32 v13, v12, 16, 1
	v_add3_u32 v37, v12, v13, s27
                                        ; implicit-def: $vgpr12
; %bb.152:                              ;   in Loop: Header=BB373_10 Depth=1
	s_andn2_saveexec_b64 s[24:25], s[4:5]
; %bb.153:                              ;   in Loop: Header=BB373_10 Depth=1
	v_or_b32_e32 v13, 0x10000, v12
	v_cmp_eq_u32_sdwa s[4:5], v12, v9 src0_sel:WORD_0 src1_sel:DWORD
	s_nop 1
	v_cndmask_b32_e64 v37, v13, v12, s[4:5]
; %bb.154:                              ;   in Loop: Header=BB373_10 Depth=1
	s_or_b64 exec, exec, s[24:25]
	flat_load_dword v12, v[32:33] offset:2056
                                        ; implicit-def: $vgpr38
	s_waitcnt vmcnt(0) lgkmcnt(0)
	v_and_b32_e32 v13, 0xff, v12
	v_cvt_f32_fp8_sdwa v13, v13 src0_sel:BYTE_0
	s_nop 0
	v_mul_f32_e32 v13, v44, v13
	v_and_b32_e32 v16, 0x7f800000, v13
	v_cmp_ne_u32_e64 s[4:5], s17, v16
	s_and_saveexec_b64 s[24:25], s[4:5]
	s_xor_b64 s[4:5], exec, s[24:25]
; %bb.155:                              ;   in Loop: Header=BB373_10 Depth=1
	v_bfe_u32 v16, v13, 16, 1
	v_add3_u32 v38, v13, v16, s27
                                        ; implicit-def: $vgpr13
; %bb.156:                              ;   in Loop: Header=BB373_10 Depth=1
	s_andn2_saveexec_b64 s[24:25], s[4:5]
; %bb.157:                              ;   in Loop: Header=BB373_10 Depth=1
	v_or_b32_e32 v16, 0x10000, v13
	v_cmp_eq_u32_sdwa s[4:5], v13, v9 src0_sel:WORD_0 src1_sel:DWORD
	s_nop 1
	v_cndmask_b32_e64 v38, v16, v13, s[4:5]
; %bb.158:                              ;   in Loop: Header=BB373_10 Depth=1
	s_or_b64 exec, exec, s[24:25]
	v_bfe_u32 v13, v12, 8, 8
	v_cvt_f32_fp8_sdwa v13, v13 src0_sel:BYTE_0
                                        ; implicit-def: $vgpr39
	s_nop 0
	v_mul_f32_e32 v13, v44, v13
	v_and_b32_e32 v16, 0x7f800000, v13
	v_cmp_ne_u32_e64 s[4:5], s17, v16
	s_and_saveexec_b64 s[24:25], s[4:5]
	s_xor_b64 s[4:5], exec, s[24:25]
; %bb.159:                              ;   in Loop: Header=BB373_10 Depth=1
	v_bfe_u32 v16, v13, 16, 1
	v_add3_u32 v39, v13, v16, s27
                                        ; implicit-def: $vgpr13
; %bb.160:                              ;   in Loop: Header=BB373_10 Depth=1
	s_andn2_saveexec_b64 s[24:25], s[4:5]
; %bb.161:                              ;   in Loop: Header=BB373_10 Depth=1
	v_or_b32_e32 v16, 0x10000, v13
	v_cmp_eq_u32_sdwa s[4:5], v13, v9 src0_sel:WORD_0 src1_sel:DWORD
	s_nop 1
	v_cndmask_b32_e64 v39, v16, v13, s[4:5]
; %bb.162:                              ;   in Loop: Header=BB373_10 Depth=1
	s_or_b64 exec, exec, s[24:25]
	v_bfe_u32 v13, v12, 16, 8
	v_cvt_f32_fp8_sdwa v13, v13 src0_sel:BYTE_0
                                        ; implicit-def: $vgpr49
	s_nop 0
	v_mul_f32_e32 v13, v44, v13
	v_and_b32_e32 v16, 0x7f800000, v13
	v_cmp_ne_u32_e64 s[4:5], s17, v16
	s_and_saveexec_b64 s[24:25], s[4:5]
	s_xor_b64 s[4:5], exec, s[24:25]
; %bb.163:                              ;   in Loop: Header=BB373_10 Depth=1
	v_bfe_u32 v16, v13, 16, 1
	v_add3_u32 v49, v13, v16, s27
                                        ; implicit-def: $vgpr13
; %bb.164:                              ;   in Loop: Header=BB373_10 Depth=1
	s_andn2_saveexec_b64 s[24:25], s[4:5]
; %bb.165:                              ;   in Loop: Header=BB373_10 Depth=1
	v_or_b32_e32 v16, 0x10000, v13
	v_cmp_eq_u32_sdwa s[4:5], v13, v9 src0_sel:WORD_0 src1_sel:DWORD
	s_nop 1
	v_cndmask_b32_e64 v49, v16, v13, s[4:5]
; %bb.166:                              ;   in Loop: Header=BB373_10 Depth=1
	s_or_b64 exec, exec, s[24:25]
	v_lshrrev_b32_e32 v12, 24, v12
	v_cvt_f32_fp8_sdwa v12, v12 src0_sel:BYTE_0
                                        ; implicit-def: $vgpr50
	s_nop 0
	v_mul_f32_e32 v12, v44, v12
	v_and_b32_e32 v13, 0x7f800000, v12
	v_cmp_ne_u32_e64 s[4:5], s17, v13
	s_and_saveexec_b64 s[24:25], s[4:5]
	s_xor_b64 s[4:5], exec, s[24:25]
; %bb.167:                              ;   in Loop: Header=BB373_10 Depth=1
	v_bfe_u32 v13, v12, 16, 1
	v_add3_u32 v50, v12, v13, s27
                                        ; implicit-def: $vgpr12
; %bb.168:                              ;   in Loop: Header=BB373_10 Depth=1
	s_andn2_saveexec_b64 s[24:25], s[4:5]
; %bb.169:                              ;   in Loop: Header=BB373_10 Depth=1
	v_or_b32_e32 v13, 0x10000, v12
	v_cmp_eq_u32_sdwa s[4:5], v12, v9 src0_sel:WORD_0 src1_sel:DWORD
	s_nop 1
	v_cndmask_b32_e64 v50, v13, v12, s[4:5]
; %bb.170:                              ;   in Loop: Header=BB373_10 Depth=1
	s_or_b64 exec, exec, s[24:25]
	flat_load_dword v12, v[32:33] offset:2560
                                        ; implicit-def: $vgpr51
	s_waitcnt vmcnt(0) lgkmcnt(0)
	v_and_b32_e32 v13, 0xff, v12
	v_cvt_f32_fp8_sdwa v13, v13 src0_sel:BYTE_0
	s_nop 0
	v_mul_f32_e32 v13, v44, v13
	v_and_b32_e32 v16, 0x7f800000, v13
	v_cmp_ne_u32_e64 s[4:5], s17, v16
	s_and_saveexec_b64 s[24:25], s[4:5]
	s_xor_b64 s[4:5], exec, s[24:25]
; %bb.171:                              ;   in Loop: Header=BB373_10 Depth=1
	v_bfe_u32 v16, v13, 16, 1
	v_add3_u32 v51, v13, v16, s27
                                        ; implicit-def: $vgpr13
; %bb.172:                              ;   in Loop: Header=BB373_10 Depth=1
	s_andn2_saveexec_b64 s[24:25], s[4:5]
; %bb.173:                              ;   in Loop: Header=BB373_10 Depth=1
	v_or_b32_e32 v16, 0x10000, v13
	v_cmp_eq_u32_sdwa s[4:5], v13, v9 src0_sel:WORD_0 src1_sel:DWORD
	s_nop 1
	v_cndmask_b32_e64 v51, v16, v13, s[4:5]
; %bb.174:                              ;   in Loop: Header=BB373_10 Depth=1
	s_or_b64 exec, exec, s[24:25]
	v_bfe_u32 v13, v12, 8, 8
	v_cvt_f32_fp8_sdwa v13, v13 src0_sel:BYTE_0
                                        ; implicit-def: $vgpr52
	s_nop 0
	v_mul_f32_e32 v13, v44, v13
	v_and_b32_e32 v16, 0x7f800000, v13
	v_cmp_ne_u32_e64 s[4:5], s17, v16
	s_and_saveexec_b64 s[24:25], s[4:5]
	s_xor_b64 s[4:5], exec, s[24:25]
; %bb.175:                              ;   in Loop: Header=BB373_10 Depth=1
	v_bfe_u32 v16, v13, 16, 1
	v_add3_u32 v52, v13, v16, s27
                                        ; implicit-def: $vgpr13
; %bb.176:                              ;   in Loop: Header=BB373_10 Depth=1
	s_andn2_saveexec_b64 s[24:25], s[4:5]
; %bb.177:                              ;   in Loop: Header=BB373_10 Depth=1
	v_or_b32_e32 v16, 0x10000, v13
	v_cmp_eq_u32_sdwa s[4:5], v13, v9 src0_sel:WORD_0 src1_sel:DWORD
	s_nop 1
	v_cndmask_b32_e64 v52, v16, v13, s[4:5]
; %bb.178:                              ;   in Loop: Header=BB373_10 Depth=1
	s_or_b64 exec, exec, s[24:25]
	v_bfe_u32 v13, v12, 16, 8
	v_cvt_f32_fp8_sdwa v13, v13 src0_sel:BYTE_0
                                        ; implicit-def: $vgpr53
	s_nop 0
	v_mul_f32_e32 v13, v44, v13
	v_and_b32_e32 v16, 0x7f800000, v13
	v_cmp_ne_u32_e64 s[4:5], s17, v16
	s_and_saveexec_b64 s[24:25], s[4:5]
	s_xor_b64 s[4:5], exec, s[24:25]
; %bb.179:                              ;   in Loop: Header=BB373_10 Depth=1
	v_bfe_u32 v16, v13, 16, 1
	v_add3_u32 v53, v13, v16, s27
                                        ; implicit-def: $vgpr13
; %bb.180:                              ;   in Loop: Header=BB373_10 Depth=1
	s_andn2_saveexec_b64 s[24:25], s[4:5]
; %bb.181:                              ;   in Loop: Header=BB373_10 Depth=1
	v_or_b32_e32 v16, 0x10000, v13
	v_cmp_eq_u32_sdwa s[4:5], v13, v9 src0_sel:WORD_0 src1_sel:DWORD
	s_nop 1
	v_cndmask_b32_e64 v53, v16, v13, s[4:5]
; %bb.182:                              ;   in Loop: Header=BB373_10 Depth=1
	s_or_b64 exec, exec, s[24:25]
	v_lshrrev_b32_e32 v12, 24, v12
	v_cvt_f32_fp8_sdwa v12, v12 src0_sel:BYTE_0
	s_nop 0
	v_mul_f32_e32 v13, v44, v12
	v_and_b32_e32 v12, 0x7f800000, v13
	v_cmp_ne_u32_e64 s[4:5], s17, v12
                                        ; implicit-def: $vgpr12
	s_and_saveexec_b64 s[24:25], s[4:5]
	s_xor_b64 s[4:5], exec, s[24:25]
; %bb.183:                              ;   in Loop: Header=BB373_10 Depth=1
	v_bfe_u32 v12, v13, 16, 1
	v_add3_u32 v12, v13, v12, s27
                                        ; implicit-def: $vgpr13
; %bb.184:                              ;   in Loop: Header=BB373_10 Depth=1
	s_andn2_saveexec_b64 s[24:25], s[4:5]
; %bb.185:                              ;   in Loop: Header=BB373_10 Depth=1
	v_or_b32_e32 v12, 0x10000, v13
	v_cmp_eq_u32_sdwa s[4:5], v13, v9 src0_sel:WORD_0 src1_sel:DWORD
	s_nop 1
	v_cndmask_b32_e64 v12, v12, v13, s[4:5]
; %bb.186:                              ;   in Loop: Header=BB373_10 Depth=1
	s_or_b64 exec, exec, s[24:25]
	flat_load_dword v16, v[32:33] offset:2568
	s_waitcnt vmcnt(0) lgkmcnt(0)
	v_and_b32_e32 v13, 0xff, v16
	v_cvt_f32_fp8_sdwa v13, v13 src0_sel:BYTE_0
	s_nop 0
	v_mul_f32_e32 v17, v44, v13
	v_and_b32_e32 v13, 0x7f800000, v17
	v_cmp_ne_u32_e64 s[4:5], s17, v13
                                        ; implicit-def: $vgpr13
	s_and_saveexec_b64 s[24:25], s[4:5]
	s_xor_b64 s[4:5], exec, s[24:25]
; %bb.187:                              ;   in Loop: Header=BB373_10 Depth=1
	v_bfe_u32 v13, v17, 16, 1
	v_add3_u32 v13, v17, v13, s27
                                        ; implicit-def: $vgpr17
; %bb.188:                              ;   in Loop: Header=BB373_10 Depth=1
	s_andn2_saveexec_b64 s[24:25], s[4:5]
; %bb.189:                              ;   in Loop: Header=BB373_10 Depth=1
	v_or_b32_e32 v13, 0x10000, v17
	v_cmp_eq_u32_sdwa s[4:5], v17, v9 src0_sel:WORD_0 src1_sel:DWORD
	s_nop 1
	v_cndmask_b32_e64 v13, v13, v17, s[4:5]
; %bb.190:                              ;   in Loop: Header=BB373_10 Depth=1
	s_or_b64 exec, exec, s[24:25]
	v_bfe_u32 v17, v16, 8, 8
	v_cvt_f32_fp8_sdwa v17, v17 src0_sel:BYTE_0
                                        ; implicit-def: $vgpr26
	s_nop 0
	v_mul_f32_e32 v17, v44, v17
	v_and_b32_e32 v18, 0x7f800000, v17
	v_cmp_ne_u32_e64 s[4:5], s17, v18
	s_and_saveexec_b64 s[24:25], s[4:5]
	s_xor_b64 s[4:5], exec, s[24:25]
; %bb.191:                              ;   in Loop: Header=BB373_10 Depth=1
	v_bfe_u32 v18, v17, 16, 1
	v_add3_u32 v26, v17, v18, s27
                                        ; implicit-def: $vgpr17
; %bb.192:                              ;   in Loop: Header=BB373_10 Depth=1
	s_andn2_saveexec_b64 s[24:25], s[4:5]
; %bb.193:                              ;   in Loop: Header=BB373_10 Depth=1
	v_or_b32_e32 v18, 0x10000, v17
	v_cmp_eq_u32_sdwa s[4:5], v17, v9 src0_sel:WORD_0 src1_sel:DWORD
	s_nop 1
	v_cndmask_b32_e64 v26, v18, v17, s[4:5]
; %bb.194:                              ;   in Loop: Header=BB373_10 Depth=1
	s_or_b64 exec, exec, s[24:25]
	v_bfe_u32 v17, v16, 16, 8
	v_cvt_f32_fp8_sdwa v17, v17 src0_sel:BYTE_0
	s_nop 0
	v_mul_f32_e32 v17, v44, v17
	v_and_b32_e32 v18, 0x7f800000, v17
	v_cmp_ne_u32_e64 s[4:5], s17, v18
                                        ; implicit-def: $vgpr18
	s_and_saveexec_b64 s[24:25], s[4:5]
	s_xor_b64 s[4:5], exec, s[24:25]
; %bb.195:                              ;   in Loop: Header=BB373_10 Depth=1
	v_bfe_u32 v18, v17, 16, 1
	v_add3_u32 v18, v17, v18, s27
                                        ; implicit-def: $vgpr17
; %bb.196:                              ;   in Loop: Header=BB373_10 Depth=1
	s_andn2_saveexec_b64 s[24:25], s[4:5]
; %bb.197:                              ;   in Loop: Header=BB373_10 Depth=1
	v_or_b32_e32 v18, 0x10000, v17
	v_cmp_eq_u32_sdwa s[4:5], v17, v9 src0_sel:WORD_0 src1_sel:DWORD
	s_nop 1
	v_cndmask_b32_e64 v18, v18, v17, s[4:5]
; %bb.198:                              ;   in Loop: Header=BB373_10 Depth=1
	s_or_b64 exec, exec, s[24:25]
	v_lshrrev_b32_e32 v16, 24, v16
	v_cvt_f32_fp8_sdwa v16, v16 src0_sel:BYTE_0
                                        ; implicit-def: $vgpr19
	s_nop 0
	v_mul_f32_e32 v16, v44, v16
	v_and_b32_e32 v17, 0x7f800000, v16
	v_cmp_ne_u32_e64 s[4:5], s17, v17
	s_and_saveexec_b64 s[24:25], s[4:5]
	s_xor_b64 s[4:5], exec, s[24:25]
; %bb.199:                              ;   in Loop: Header=BB373_10 Depth=1
	v_bfe_u32 v17, v16, 16, 1
	v_add3_u32 v19, v16, v17, s27
                                        ; implicit-def: $vgpr16
; %bb.200:                              ;   in Loop: Header=BB373_10 Depth=1
	s_andn2_saveexec_b64 s[24:25], s[4:5]
; %bb.201:                              ;   in Loop: Header=BB373_10 Depth=1
	v_or_b32_e32 v17, 0x10000, v16
	v_cmp_eq_u32_sdwa s[4:5], v16, v9 src0_sel:WORD_0 src1_sel:DWORD
	s_nop 1
	v_cndmask_b32_e64 v19, v17, v16, s[4:5]
; %bb.202:                              ;   in Loop: Header=BB373_10 Depth=1
	s_or_b64 exec, exec, s[24:25]
	flat_load_dword v16, v[32:33] offset:3072
                                        ; implicit-def: $vgpr48
	s_waitcnt vmcnt(0) lgkmcnt(0)
	v_and_b32_e32 v17, 0xff, v16
	v_cvt_f32_fp8_sdwa v17, v17 src0_sel:BYTE_0
	s_nop 0
	v_mul_f32_e32 v17, v44, v17
	v_and_b32_e32 v24, 0x7f800000, v17
	v_cmp_ne_u32_e64 s[4:5], s17, v24
	s_and_saveexec_b64 s[24:25], s[4:5]
	s_xor_b64 s[4:5], exec, s[24:25]
; %bb.203:                              ;   in Loop: Header=BB373_10 Depth=1
	v_bfe_u32 v24, v17, 16, 1
	v_add3_u32 v48, v17, v24, s27
                                        ; implicit-def: $vgpr17
; %bb.204:                              ;   in Loop: Header=BB373_10 Depth=1
	s_andn2_saveexec_b64 s[24:25], s[4:5]
; %bb.205:                              ;   in Loop: Header=BB373_10 Depth=1
	v_or_b32_e32 v24, 0x10000, v17
	v_cmp_eq_u32_sdwa s[4:5], v17, v9 src0_sel:WORD_0 src1_sel:DWORD
	s_nop 1
	v_cndmask_b32_e64 v48, v24, v17, s[4:5]
; %bb.206:                              ;   in Loop: Header=BB373_10 Depth=1
	s_or_b64 exec, exec, s[24:25]
	v_bfe_u32 v17, v16, 8, 8
	v_cvt_f32_fp8_sdwa v17, v17 src0_sel:BYTE_0
                                        ; implicit-def: $vgpr25
	s_nop 0
	v_mul_f32_e32 v17, v44, v17
	v_and_b32_e32 v24, 0x7f800000, v17
	v_cmp_ne_u32_e64 s[4:5], s17, v24
	s_and_saveexec_b64 s[24:25], s[4:5]
	s_xor_b64 s[4:5], exec, s[24:25]
; %bb.207:                              ;   in Loop: Header=BB373_10 Depth=1
	v_bfe_u32 v24, v17, 16, 1
	v_add3_u32 v25, v17, v24, s27
                                        ; implicit-def: $vgpr17
; %bb.208:                              ;   in Loop: Header=BB373_10 Depth=1
	s_andn2_saveexec_b64 s[24:25], s[4:5]
; %bb.209:                              ;   in Loop: Header=BB373_10 Depth=1
	v_or_b32_e32 v24, 0x10000, v17
	v_cmp_eq_u32_sdwa s[4:5], v17, v9 src0_sel:WORD_0 src1_sel:DWORD
	s_nop 1
	v_cndmask_b32_e64 v25, v24, v17, s[4:5]
; %bb.210:                              ;   in Loop: Header=BB373_10 Depth=1
	s_or_b64 exec, exec, s[24:25]
	v_bfe_u32 v17, v16, 16, 8
	v_cvt_f32_fp8_sdwa v17, v17 src0_sel:BYTE_0
	s_nop 0
	v_mul_f32_e32 v17, v44, v17
	v_and_b32_e32 v24, 0x7f800000, v17
	v_cmp_ne_u32_e64 s[4:5], s17, v24
                                        ; implicit-def: $vgpr24
	s_and_saveexec_b64 s[24:25], s[4:5]
	s_xor_b64 s[4:5], exec, s[24:25]
; %bb.211:                              ;   in Loop: Header=BB373_10 Depth=1
	v_bfe_u32 v24, v17, 16, 1
	v_add3_u32 v24, v17, v24, s27
                                        ; implicit-def: $vgpr17
; %bb.212:                              ;   in Loop: Header=BB373_10 Depth=1
	s_andn2_saveexec_b64 s[24:25], s[4:5]
; %bb.213:                              ;   in Loop: Header=BB373_10 Depth=1
	v_or_b32_e32 v24, 0x10000, v17
	v_cmp_eq_u32_sdwa s[4:5], v17, v9 src0_sel:WORD_0 src1_sel:DWORD
	s_nop 1
	v_cndmask_b32_e64 v24, v24, v17, s[4:5]
; %bb.214:                              ;   in Loop: Header=BB373_10 Depth=1
	s_or_b64 exec, exec, s[24:25]
	v_lshrrev_b32_e32 v16, 24, v16
	v_cvt_f32_fp8_sdwa v16, v16 src0_sel:BYTE_0
                                        ; implicit-def: $vgpr41
	s_nop 0
	v_mul_f32_e32 v16, v44, v16
	v_and_b32_e32 v17, 0x7f800000, v16
	v_cmp_ne_u32_e64 s[4:5], s17, v17
	s_and_saveexec_b64 s[24:25], s[4:5]
	s_xor_b64 s[4:5], exec, s[24:25]
; %bb.215:                              ;   in Loop: Header=BB373_10 Depth=1
	v_bfe_u32 v17, v16, 16, 1
	v_add3_u32 v41, v16, v17, s27
                                        ; implicit-def: $vgpr16
; %bb.216:                              ;   in Loop: Header=BB373_10 Depth=1
	s_andn2_saveexec_b64 s[24:25], s[4:5]
; %bb.217:                              ;   in Loop: Header=BB373_10 Depth=1
	v_or_b32_e32 v17, 0x10000, v16
	v_cmp_eq_u32_sdwa s[4:5], v16, v9 src0_sel:WORD_0 src1_sel:DWORD
	s_nop 1
	v_cndmask_b32_e64 v41, v17, v16, s[4:5]
; %bb.218:                              ;   in Loop: Header=BB373_10 Depth=1
	s_or_b64 exec, exec, s[24:25]
	flat_load_dword v16, v[32:33] offset:3080
	s_waitcnt vmcnt(0) lgkmcnt(0)
	v_and_b32_e32 v17, 0xff, v16
	v_cvt_f32_fp8_sdwa v17, v17 src0_sel:BYTE_0
	s_nop 0
	v_mul_f32_e32 v17, v44, v17
	v_and_b32_e32 v42, 0x7f800000, v17
	v_cmp_ne_u32_e64 s[4:5], s17, v42
                                        ; implicit-def: $vgpr42
	s_and_saveexec_b64 s[24:25], s[4:5]
	s_xor_b64 s[4:5], exec, s[24:25]
; %bb.219:                              ;   in Loop: Header=BB373_10 Depth=1
	v_bfe_u32 v42, v17, 16, 1
	v_add3_u32 v42, v17, v42, s27
                                        ; implicit-def: $vgpr17
; %bb.220:                              ;   in Loop: Header=BB373_10 Depth=1
	s_andn2_saveexec_b64 s[24:25], s[4:5]
; %bb.221:                              ;   in Loop: Header=BB373_10 Depth=1
	v_or_b32_e32 v42, 0x10000, v17
	v_cmp_eq_u32_sdwa s[4:5], v17, v9 src0_sel:WORD_0 src1_sel:DWORD
	s_nop 1
	v_cndmask_b32_e64 v42, v42, v17, s[4:5]
; %bb.222:                              ;   in Loop: Header=BB373_10 Depth=1
	s_or_b64 exec, exec, s[24:25]
	v_bfe_u32 v17, v16, 8, 8
	v_cvt_f32_fp8_sdwa v17, v17 src0_sel:BYTE_0
	s_nop 0
	v_mul_f32_e32 v17, v44, v17
	v_and_b32_e32 v43, 0x7f800000, v17
	v_cmp_ne_u32_e64 s[4:5], s17, v43
                                        ; implicit-def: $vgpr43
	s_and_saveexec_b64 s[24:25], s[4:5]
	s_xor_b64 s[4:5], exec, s[24:25]
; %bb.223:                              ;   in Loop: Header=BB373_10 Depth=1
	v_bfe_u32 v43, v17, 16, 1
	v_add3_u32 v43, v17, v43, s27
                                        ; implicit-def: $vgpr17
; %bb.224:                              ;   in Loop: Header=BB373_10 Depth=1
	s_andn2_saveexec_b64 s[24:25], s[4:5]
; %bb.225:                              ;   in Loop: Header=BB373_10 Depth=1
	v_or_b32_e32 v43, 0x10000, v17
	v_cmp_eq_u32_sdwa s[4:5], v17, v9 src0_sel:WORD_0 src1_sel:DWORD
	s_nop 1
	v_cndmask_b32_e64 v43, v43, v17, s[4:5]
; %bb.226:                              ;   in Loop: Header=BB373_10 Depth=1
	s_or_b64 exec, exec, s[24:25]
	v_bfe_u32 v17, v16, 16, 8
	v_cvt_f32_fp8_sdwa v17, v17 src0_sel:BYTE_0
	s_nop 0
	v_mul_f32_e32 v17, v44, v17
	v_and_b32_e32 v45, 0x7f800000, v17
	v_cmp_ne_u32_e64 s[4:5], s17, v45
                                        ; implicit-def: $vgpr45
	s_and_saveexec_b64 s[24:25], s[4:5]
	s_xor_b64 s[4:5], exec, s[24:25]
; %bb.227:                              ;   in Loop: Header=BB373_10 Depth=1
	v_bfe_u32 v45, v17, 16, 1
	v_add3_u32 v45, v17, v45, s27
                                        ; implicit-def: $vgpr17
; %bb.228:                              ;   in Loop: Header=BB373_10 Depth=1
	s_andn2_saveexec_b64 s[24:25], s[4:5]
; %bb.229:                              ;   in Loop: Header=BB373_10 Depth=1
	v_or_b32_e32 v45, 0x10000, v17
	v_cmp_eq_u32_sdwa s[4:5], v17, v9 src0_sel:WORD_0 src1_sel:DWORD
	s_nop 1
	v_cndmask_b32_e64 v45, v45, v17, s[4:5]
; %bb.230:                              ;   in Loop: Header=BB373_10 Depth=1
	s_or_b64 exec, exec, s[24:25]
	v_lshrrev_b32_e32 v16, 24, v16
	v_cvt_f32_fp8_sdwa v16, v16 src0_sel:BYTE_0
	s_nop 0
	v_mul_f32_e32 v17, v44, v16
	v_and_b32_e32 v16, 0x7f800000, v17
	v_cmp_ne_u32_e64 s[4:5], s17, v16
                                        ; implicit-def: $vgpr16
	s_and_saveexec_b64 s[24:25], s[4:5]
	s_xor_b64 s[4:5], exec, s[24:25]
; %bb.231:                              ;   in Loop: Header=BB373_10 Depth=1
	v_bfe_u32 v16, v17, 16, 1
	v_add3_u32 v16, v17, v16, s27
                                        ; implicit-def: $vgpr17
; %bb.232:                              ;   in Loop: Header=BB373_10 Depth=1
	s_andn2_saveexec_b64 s[24:25], s[4:5]
; %bb.233:                              ;   in Loop: Header=BB373_10 Depth=1
	v_or_b32_e32 v16, 0x10000, v17
	v_cmp_eq_u32_sdwa s[4:5], v17, v9 src0_sel:WORD_0 src1_sel:DWORD
	s_nop 1
	v_cndmask_b32_e64 v16, v16, v17, s[4:5]
; %bb.234:                              ;   in Loop: Header=BB373_10 Depth=1
	s_or_b64 exec, exec, s[24:25]
	flat_load_dword v46, v[32:33] offset:3584
	s_waitcnt vmcnt(0) lgkmcnt(0)
	v_and_b32_e32 v17, 0xff, v46
	v_cvt_f32_fp8_sdwa v17, v17 src0_sel:BYTE_0
	s_nop 0
	v_mul_f32_e32 v32, v44, v17
	v_and_b32_e32 v17, 0x7f800000, v32
	v_cmp_ne_u32_e64 s[4:5], s17, v17
                                        ; implicit-def: $vgpr17
	s_and_saveexec_b64 s[24:25], s[4:5]
	s_xor_b64 s[4:5], exec, s[24:25]
; %bb.235:                              ;   in Loop: Header=BB373_10 Depth=1
	v_bfe_u32 v17, v32, 16, 1
	v_add3_u32 v17, v32, v17, s27
                                        ; implicit-def: $vgpr32
; %bb.236:                              ;   in Loop: Header=BB373_10 Depth=1
	s_andn2_saveexec_b64 s[24:25], s[4:5]
; %bb.237:                              ;   in Loop: Header=BB373_10 Depth=1
	v_or_b32_e32 v17, 0x10000, v32
	v_cmp_eq_u32_sdwa s[4:5], v32, v9 src0_sel:WORD_0 src1_sel:DWORD
	s_nop 1
	v_cndmask_b32_e64 v17, v17, v32, s[4:5]
; %bb.238:                              ;   in Loop: Header=BB373_10 Depth=1
	s_or_b64 exec, exec, s[24:25]
	v_bfe_u32 v32, v46, 8, 8
	v_cvt_f32_fp8_sdwa v32, v32 src0_sel:BYTE_0
	s_nop 0
	v_mul_f32_e32 v33, v44, v32
	v_and_b32_e32 v32, 0x7f800000, v33
	v_cmp_ne_u32_e64 s[4:5], s17, v32
                                        ; implicit-def: $vgpr32
	s_and_saveexec_b64 s[24:25], s[4:5]
	s_xor_b64 s[4:5], exec, s[24:25]
; %bb.239:                              ;   in Loop: Header=BB373_10 Depth=1
	v_bfe_u32 v32, v33, 16, 1
	v_add3_u32 v32, v33, v32, s27
                                        ; implicit-def: $vgpr33
; %bb.240:                              ;   in Loop: Header=BB373_10 Depth=1
	s_andn2_saveexec_b64 s[24:25], s[4:5]
; %bb.241:                              ;   in Loop: Header=BB373_10 Depth=1
	v_or_b32_e32 v32, 0x10000, v33
	v_cmp_eq_u32_sdwa s[4:5], v33, v9 src0_sel:WORD_0 src1_sel:DWORD
	s_nop 1
	v_cndmask_b32_e64 v32, v32, v33, s[4:5]
; %bb.242:                              ;   in Loop: Header=BB373_10 Depth=1
	s_or_b64 exec, exec, s[24:25]
	v_bfe_u32 v33, v46, 16, 8
	v_cvt_f32_fp8_sdwa v33, v33 src0_sel:BYTE_0
	s_nop 0
	v_mul_f32_e32 v47, v44, v33
	v_and_b32_e32 v33, 0x7f800000, v47
	v_cmp_ne_u32_e64 s[4:5], s17, v33
                                        ; implicit-def: $vgpr33
	s_and_saveexec_b64 s[24:25], s[4:5]
	s_xor_b64 s[4:5], exec, s[24:25]
; %bb.243:                              ;   in Loop: Header=BB373_10 Depth=1
	v_bfe_u32 v33, v47, 16, 1
	v_add3_u32 v33, v47, v33, s27
                                        ; implicit-def: $vgpr47
; %bb.244:                              ;   in Loop: Header=BB373_10 Depth=1
	s_andn2_saveexec_b64 s[24:25], s[4:5]
; %bb.245:                              ;   in Loop: Header=BB373_10 Depth=1
	v_or_b32_e32 v33, 0x10000, v47
	v_cmp_eq_u32_sdwa s[4:5], v47, v9 src0_sel:WORD_0 src1_sel:DWORD
	s_nop 1
	v_cndmask_b32_e64 v33, v33, v47, s[4:5]
; %bb.246:                              ;   in Loop: Header=BB373_10 Depth=1
	s_or_b64 exec, exec, s[24:25]
	v_lshrrev_b32_e32 v46, 24, v46
	v_cvt_f32_fp8_sdwa v46, v46 src0_sel:BYTE_0
	s_nop 0
	v_mul_f32_e32 v46, v44, v46
	v_and_b32_e32 v44, 0x7f800000, v46
	v_cmp_ne_u32_e64 s[4:5], s17, v44
                                        ; implicit-def: $vgpr44
	s_and_saveexec_b64 s[24:25], s[4:5]
	s_xor_b64 s[4:5], exec, s[24:25]
; %bb.247:                              ;   in Loop: Header=BB373_10 Depth=1
	v_bfe_u32 v44, v46, 16, 1
	v_add3_u32 v44, v46, v44, s27
                                        ; implicit-def: $vgpr46
; %bb.248:                              ;   in Loop: Header=BB373_10 Depth=1
	s_andn2_saveexec_b64 s[24:25], s[4:5]
; %bb.249:                              ;   in Loop: Header=BB373_10 Depth=1
	v_or_b32_e32 v44, 0x10000, v46
	v_cmp_eq_u32_sdwa s[4:5], v46, v9 src0_sel:WORD_0 src1_sel:DWORD
	s_nop 1
	v_cndmask_b32_e64 v44, v44, v46, s[4:5]
; %bb.250:                              ;   in Loop: Header=BB373_10 Depth=1
	s_or_b64 exec, exec, s[24:25]
	v_and_b32_e32 v47, 0xffff0000, v56
	scratch_load_dword v56, off, s32 offset:216 ; 4-byte Folded Reload
	v_accvgpr_read_b32 v46, a34
	v_and_b32_e32 v46, 0xffff0000, v46
	v_and_b32_e32 v5, 0xffff0000, v5
	v_and_b32_e32 v4, 0xffff0000, v4
	v_and_b32_e32 v1, 0xffff0000, v1
	v_and_b32_e32 v0, 0xffff0000, v0
	s_waitcnt vmcnt(0)
	v_mul_f32_e32 v46, v56, v46
	scratch_load_dword v56, off, s32 offset:200 ; 4-byte Folded Reload
	s_waitcnt vmcnt(0)
	v_fmac_f32_e32 v46, v56, v47
	v_and_b32_e32 v56, 0xffff0000, v57
	scratch_load_dword v57, off, s32 offset:220 ; 4-byte Folded Reload
	v_accvgpr_read_b32 v47, a35
	v_and_b32_e32 v47, 0xffff0000, v47
	s_waitcnt vmcnt(0)
	v_mul_f32_e32 v47, v57, v47
	scratch_load_dword v57, off, s32 offset:204 ; 4-byte Folded Reload
	s_waitcnt vmcnt(0)
	v_fmac_f32_e32 v47, v57, v56
	v_and_b32_e32 v57, 0xffff0000, v58
	scratch_load_dword v58, off, s32 offset:224 ; 4-byte Folded Reload
	v_accvgpr_read_b32 v56, a36
	v_and_b32_e32 v56, 0xffff0000, v56
	;; [unrolled: 9-line block ×3, first 2 shown]
	s_waitcnt vmcnt(0)
	v_mul_f32_e32 v57, v59, v57
	scratch_load_dword v59, off, s32 offset:212 ; 4-byte Folded Reload
	s_waitcnt vmcnt(0)
	v_fmac_f32_e32 v57, v59, v58
	scratch_load_dword v59, off, s32 offset:232 ; 4-byte Folded Reload
	v_accvgpr_read_b32 v58, a38
	v_and_b32_e32 v58, 0xffff0000, v58
	s_waitcnt vmcnt(0)
	v_fmac_f32_e32 v46, v59, v58
	scratch_load_dword v59, off, s32 offset:236 ; 4-byte Folded Reload
	v_accvgpr_read_b32 v58, a39
	v_and_b32_e32 v58, 0xffff0000, v58
	s_waitcnt vmcnt(0)
	v_fmac_f32_e32 v47, v59, v58
	scratch_load_dword v59, off, s32 offset:240 ; 4-byte Folded Reload
	v_and_b32_e32 v58, 0xffff0000, v60
	s_waitcnt vmcnt(0)
	v_fmac_f32_e32 v56, v59, v58
	v_and_b32_e32 v58, 0xffff0000, v61
	v_accvgpr_read_b32 v59, a40
	v_fmac_f32_e32 v57, v59, v58
	v_and_b32_e32 v58, 0xffff0000, v62
	v_accvgpr_read_b32 v59, a41
	;; [unrolled: 3-line block ×3, first 2 shown]
	v_fmac_f32_e32 v47, v59, v58
	v_accvgpr_read_b32 v58, a43
	v_fmac_f32_e32 v56, v58, v5
	v_and_b32_e32 v5, 0xffff0000, v6
	v_accvgpr_read_b32 v6, a44
	v_fmac_f32_e32 v57, v6, v5
	v_and_b32_e32 v5, 0xffff0000, v7
	v_accvgpr_read_b32 v6, a45
	v_fmac_f32_e32 v46, v6, v5
	v_accvgpr_read_b32 v5, a46
	v_fmac_f32_e32 v47, v5, v4
	v_and_b32_e32 v4, 0xffff0000, v28
	v_accvgpr_read_b32 v5, a47
	v_fmac_f32_e32 v56, v5, v4
	v_and_b32_e32 v4, 0xffff0000, v30
	;; [unrolled: 3-line block ×6, first 2 shown]
	v_accvgpr_read_b32 v5, a52
	v_fmac_f32_e32 v57, v5, v4
	v_accvgpr_read_b32 v4, a53
	v_fmac_f32_e32 v46, v4, v1
	;; [unrolled: 2-line block ×3, first 2 shown]
	v_and_b32_e32 v0, 0xffff0000, v3
	v_accvgpr_read_b32 v1, a55
	v_fmac_f32_e32 v56, v1, v0
	v_and_b32_e32 v0, 0xffff0000, v2
	v_accvgpr_read_b32 v1, a56
	v_fmac_f32_e32 v57, v1, v0
	;; [unrolled: 3-line block ×34, first 2 shown]
	v_add_f32_e32 v0, v46, v47
	v_add_f32_e32 v0, v0, v56
	;; [unrolled: 1-line block ×3, first 2 shown]
	v_accvgpr_read_b32 v1, a33
	ds_bpermute_b32 v1, v1, v0
	s_and_saveexec_b64 s[24:25], vcc
	s_cbranch_execz .LBB373_9
; %bb.251:                              ;   in Loop: Header=BB373_10 Depth=1
	s_waitcnt lgkmcnt(0)
	v_add_f32_e32 v0, v0, v1
	scratch_load_dword v1, off, s32 offset:252 ; 4-byte Folded Reload
	v_sub_u32_e32 v2, 1, v35
	v_add_u32_e32 v2, v2, v54
	v_cvt_f32_i32_e32 v2, v2
	s_load_dword s4, s[8:9], 0x0
	v_accvgpr_read_b32 v3, a26
	s_waitcnt vmcnt(0)
	v_mul_f32_e32 v1, v1, v2
	v_cndmask_b32_e64 v1, 0, v1, s[2:3]
	s_waitcnt lgkmcnt(0)
	v_add_u32_e32 v2, s4, v55
	v_fmac_f32_e32 v1, v0, v3
	v_cmp_lt_i32_e64 s[4:5], v54, v35
	s_nop 1
	v_cndmask_b32_e64 v0, 0, v1, s[4:5]
	ds_write_b32 v2, v0
	scratch_load_dword v2, off, s32 offset:196 ; 4-byte Folded Reload
	s_waitcnt vmcnt(0)
	v_max_f32_e32 v0, v2, v2
	v_max_f32_e32 v0, v0, v1
	v_cndmask_b32_e64 v2, v2, v0, s[4:5]
	scratch_store_dword off, v2, s32 offset:196 ; 4-byte Folded Spill
	s_branch .LBB373_9
.LBB373_252:
	s_or_b64 exec, exec, s[22:23]
	scratch_load_dword v19, off, s32 offset:256 ; 4-byte Folded Reload
	scratch_load_dwordx2 v[14:15], off, s32 offset:332 ; 8-byte Folded Reload
	scratch_load_dwordx2 v[32:33], off, s32 offset:324 ; 8-byte Folded Reload
	;; [unrolled: 1-line block ×5, first 2 shown]
	scratch_load_dword v30, off, s32 offset:296 ; 4-byte Folded Reload
	scratch_load_dword v29, off, s32 offset:268 ; 4-byte Folded Reload
	scratch_load_dwordx2 v[36:37], off, s32 offset:288 ; 8-byte Folded Reload
	scratch_load_dwordx2 v[48:49], off, s32 offset:272 ; 8-byte Folded Reload
	scratch_load_dword v10, off, s32 offset:284 ; 4-byte Folded Reload
	scratch_load_dword v11, off, s32 offset:280 ; 4-byte Folded Reload
	;; [unrolled: 1-line block ×3, first 2 shown]
.LBB373_253:
	s_or_b64 exec, exec, s[6:7]
	s_waitcnt vmcnt(2)
	v_xor_b32_e32 v0, 32, v10
	s_waitcnt vmcnt(1)
	v_cmp_lt_i32_e32 vcc, v0, v11
	v_xor_b32_e32 v2, 16, v10
	s_waitcnt vmcnt(0) lgkmcnt(0)
	v_max_f32_e32 v1, v6, v6
	v_cndmask_b32_e32 v0, v10, v0, vcc
	v_lshlrev_b32_e32 v3, 2, v0
	ds_bpermute_b32 v0, v3, v6
	v_cmp_lt_i32_e32 vcc, v2, v11
	s_lshr_b32 s24, s26, 16
	v_lshlrev_b32_e32 v7, 2, v30
	s_waitcnt lgkmcnt(0)
	v_max_f32_e32 v0, v0, v0
	v_max_f32_e32 v0, v1, v0
	v_cndmask_b32_e32 v1, v10, v2, vcc
	v_lshlrev_b32_e32 v4, 2, v1
	ds_bpermute_b32 v1, v4, v0
	v_xor_b32_e32 v2, 8, v10
	v_cmp_lt_i32_e32 vcc, v2, v11
	s_waitcnt lgkmcnt(0)
	v_max_f32_e32 v1, v1, v1
	v_max_f32_e32 v0, v0, v1
	v_cndmask_b32_e32 v1, v10, v2, vcc
	v_lshlrev_b32_e32 v5, 2, v1
	ds_bpermute_b32 v1, v5, v0
	v_xor_b32_e32 v2, 4, v10
	v_cmp_lt_i32_e32 vcc, v2, v11
	s_waitcnt lgkmcnt(0)
	v_max_f32_e32 v1, v1, v1
	v_max_f32_e32 v0, v0, v1
	v_cndmask_b32_e32 v1, v10, v2, vcc
	v_lshlrev_b32_e32 v6, 2, v1
	ds_bpermute_b32 v1, v6, v0
	v_xor_b32_e32 v2, 2, v10
	v_cmp_lt_i32_e32 vcc, v2, v11
	s_waitcnt lgkmcnt(0)
	v_max_f32_e32 v1, v1, v1
	v_max_f32_e32 v1, v0, v1
	v_cndmask_b32_e32 v0, v10, v2, vcc
	v_lshlrev_b32_e32 v22, 2, v0
	ds_bpermute_b32 v2, v22, v1
	v_and_b32_e32 v0, 63, v19
	v_cmp_eq_u32_e32 vcc, 0, v0
	s_and_saveexec_b64 s[2:3], vcc
	s_cbranch_execz .LBB373_255
; %bb.254:
	s_waitcnt lgkmcnt(0)
	v_max_f32_e32 v2, v2, v2
	v_max_f32_e32 v1, v1, v1
	v_max_f32_e32 v1, v1, v2
	ds_write_b32 v7, v1 offset:240
.LBB373_255:
	s_or_b64 exec, exec, s[2:3]
	v_cmp_gt_u32_e64 s[2:3], 2, v0
	v_mov_b32_e32 v1, 0xff7fffff
	v_lshlrev_b32_e32 v8, 2, v0
	s_waitcnt lgkmcnt(0)
	s_barrier
	s_and_saveexec_b64 s[4:5], s[2:3]
	s_cbranch_execz .LBB373_257
; %bb.256:
	ds_read_b32 v1, v8 offset:240
.LBB373_257:
	s_or_b64 exec, exec, s[4:5]
	scratch_load_dword v9, off, s32 offset:192 ; 4-byte Folded Reload
	v_xor_b32_e32 v2, 1, v10
	v_cmp_lt_i32_e64 s[4:5], v2, v11
	v_mov_b32_e32 v11, 0
	s_waitcnt vmcnt(0)
	v_subrev_u32_e32 v9, s19, v9
	v_cndmask_b32_e64 v2, v10, v2, s[4:5]
	v_lshlrev_b32_e32 v23, 2, v2
	s_waitcnt lgkmcnt(0)
	ds_bpermute_b32 v2, v23, v1
	v_max_f32_e32 v1, v1, v1
	v_lshl_add_u32 v9, v9, 5, s21
	v_min_i32_e32 v9, v9, v35
	s_waitcnt lgkmcnt(0)
	v_max_f32_e32 v2, v2, v2
	v_max_f32_e32 v1, v1, v2
	v_lshlrev_b32_e32 v2, 2, v10
	v_and_b32_e32 v10, 0xffffff00, v2
	ds_bpermute_b32 v1, v10, v1
	v_subrev_u32_e32 v2, s21, v9
	v_cmp_lt_i32_e64 s[4:5], v19, v2
	s_and_saveexec_b64 s[8:9], s[4:5]
	s_cbranch_execz .LBB373_261
; %bb.258:
	s_ashr_i32 s17, s16, 31
	s_lshl_b64 s[6:7], s[16:17], 2
	s_getpc_b64 s[22:23]
	s_add_u32 s22, s22, llvm.amdgcn.dynlds.offset.table@rel32@lo+4
	s_addc_u32 s23, s23, llvm.amdgcn.dynlds.offset.table@rel32@hi+12
	s_add_u32 s6, s6, s22
	s_addc_u32 s7, s7, s23
	s_load_dword s6, s[6:7], 0x0
	s_mov_b64 s[22:23], 0
	v_mov_b32_e32 v11, 0
	v_mov_b32_e32 v13, v19
	s_waitcnt lgkmcnt(0)
	v_lshl_add_u32 v12, v19, 2, s6
.LBB373_259:                            ; =>This Inner Loop Header: Depth=1
	ds_read_b32 v16, v12
	v_add_u32_e32 v13, 0x80, v13
	v_cmp_ge_i32_e64 s[6:7], v13, v2
	s_or_b64 s[22:23], s[6:7], s[22:23]
	s_waitcnt lgkmcnt(0)
	v_sub_f32_e32 v16, v16, v1
	v_mul_f32_e32 v16, 0x3fb8aa3b, v16
	v_exp_f32_e32 v16, v16
	ds_write_b32 v12, v16
	v_add_f32_e32 v11, v11, v16
	v_add_u32_e32 v12, 0x200, v12
	s_andn2_b64 exec, exec, s[22:23]
	s_cbranch_execnz .LBB373_259
; %bb.260:
	s_or_b64 exec, exec, s[22:23]
.LBB373_261:
	s_or_b64 exec, exec, s[8:9]
	ds_bpermute_b32 v3, v3, v11
	s_waitcnt lgkmcnt(0)
	v_add_f32_e32 v3, v11, v3
	ds_bpermute_b32 v4, v4, v3
	s_waitcnt lgkmcnt(0)
	v_add_f32_e32 v3, v3, v4
	;; [unrolled: 3-line block ×6, first 2 shown]
	s_and_saveexec_b64 s[6:7], vcc
	s_cbranch_execz .LBB373_263
; %bb.262:
	ds_write_b32 v7, v3 offset:248
.LBB373_263:
	s_or_b64 exec, exec, s[6:7]
	s_waitcnt lgkmcnt(0)
	s_barrier
	s_and_saveexec_b64 s[6:7], s[2:3]
	s_cbranch_execz .LBB373_265
; %bb.264:
	ds_read_b32 v3, v8 offset:248
.LBB373_265:
	s_or_b64 exec, exec, s[6:7]
	s_waitcnt lgkmcnt(0)
	ds_bpermute_b32 v4, v23, v3
	s_waitcnt lgkmcnt(0)
	v_add_f32_e32 v3, v3, v4
	ds_bpermute_b32 v3, v10, v3
	s_and_saveexec_b64 s[2:3], s[4:5]
	s_cbranch_execz .LBB373_278
; %bb.266:
	s_waitcnt lgkmcnt(0)
	v_add_f32_e32 v4, 0x358637bd, v3
	v_div_scale_f32 v5, s[4:5], v4, v4, 1.0
	v_rcp_f32_e32 v6, v5
	v_div_scale_f32 v7, vcc, 1.0, v4, 1.0
	s_movk_i32 s4, 0x7f
	v_fma_f32 v8, -v5, v6, 1.0
	v_fmac_f32_e32 v6, v8, v6
	v_mul_f32_e32 v8, v7, v6
	v_fma_f32 v10, -v5, v8, v7
	v_fmac_f32_e32 v8, v10, v6
	v_fma_f32 v5, -v5, v8, v7
	v_div_fmas_f32 v5, v5, v6, v8
	v_div_fixup_f32 v8, v5, v4, 1.0
	v_xad_u32 v4, v19, -1, v9
	v_subrev_u32_e32 v5, s21, v4
	v_cmp_lt_u32_e32 vcc, s4, v5
	s_mov_b64 s[6:7], -1
	v_mov_b32_e32 v4, v19
	s_and_saveexec_b64 s[4:5], vcc
	s_cbranch_execz .LBB373_275
; %bb.267:
	v_lshrrev_b32_e32 v4, 7, v5
	v_add_u32_e32 v6, -1, v4
	v_lshrrev_b32_e32 v5, 1, v6
	v_mov_b32_e32 v9, v8
	v_add_u32_e32 v5, 1, v5
	v_cmp_lt_u32_e32 vcc, 13, v6
	v_mov_b32_e32 v10, 0
	s_and_saveexec_b64 s[6:7], vcc
	s_cbranch_execz .LBB373_271
; %bb.268:
	s_ashr_i32 s17, s16, 31
	s_lshl_b64 s[8:9], s[16:17], 2
	s_getpc_b64 s[22:23]
	s_add_u32 s22, s22, llvm.amdgcn.dynlds.offset.table@rel32@lo+4
	s_addc_u32 s23, s23, llvm.amdgcn.dynlds.offset.table@rel32@hi+12
	s_add_u32 s8, s8, s22
	s_addc_u32 s9, s9, s23
	s_load_dword s8, s[8:9], 0x0
	v_and_b32_e32 v6, -8, v5
	s_mov_b32 s17, 0
	s_waitcnt lgkmcnt(0)
	v_lshl_add_u32 v7, v19, 2, s8
	s_mov_b64 s[8:9], 0
.LBB373_269:                            ; =>This Inner Loop Header: Depth=1
	ds_read2st64_b32 v[10:11], v7 offset1:2
	ds_read2st64_b32 v[12:13], v7 offset0:4 offset1:6
	ds_read2st64_b32 v[20:21], v7 offset0:8 offset1:10
	;; [unrolled: 1-line block ×3, first 2 shown]
	v_add_u32_e32 v6, -8, v6
	s_waitcnt lgkmcnt(3)
	v_pk_mul_f32 v[10:11], v[8:9], v[10:11]
	s_waitcnt lgkmcnt(2)
	v_pk_mul_f32 v[12:13], v[8:9], v[12:13]
	ds_write2st64_b32 v7, v10, v11 offset1:2
	ds_write2st64_b32 v7, v12, v13 offset0:4 offset1:6
	ds_read2st64_b32 v[12:13], v7 offset0:16 offset1:18
	s_waitcnt lgkmcnt(4)
	v_pk_mul_f32 v[10:11], v[8:9], v[20:21]
	ds_write2st64_b32 v7, v10, v11 offset0:8 offset1:10
	s_waitcnt lgkmcnt(4)
	v_pk_mul_f32 v[10:11], v[8:9], v[16:17]
	ds_write2st64_b32 v7, v10, v11 offset0:12 offset1:14
	ds_read2st64_b32 v[10:11], v7 offset0:20 offset1:22
	s_waitcnt lgkmcnt(3)
	v_pk_mul_f32 v[12:13], v[8:9], v[12:13]
	ds_read2st64_b32 v[16:17], v7 offset0:24 offset1:26
	ds_write2st64_b32 v7, v12, v13 offset0:16 offset1:18
	ds_read2st64_b32 v[12:13], v7 offset0:28 offset1:30
	s_waitcnt lgkmcnt(3)
	v_pk_mul_f32 v[10:11], v[8:9], v[10:11]
	ds_write2st64_b32 v7, v10, v11 offset0:20 offset1:22
	s_waitcnt lgkmcnt(3)
	v_pk_mul_f32 v[10:11], v[8:9], v[16:17]
	ds_write2st64_b32 v7, v10, v11 offset0:24 offset1:26
	s_waitcnt lgkmcnt(2)
	v_pk_mul_f32 v[10:11], v[8:9], v[12:13]
	s_add_i32 s17, s17, 16
	v_cmp_eq_u32_e32 vcc, 0, v6
	ds_write2st64_b32 v7, v10, v11 offset0:28 offset1:30
	v_add_u32_e32 v7, 0x2000, v7
	s_or_b64 s[8:9], vcc, s[8:9]
	v_mov_b32_e32 v10, s17
	s_andn2_b64 exec, exec, s[8:9]
	s_cbranch_execnz .LBB373_269
; %bb.270:
	s_or_b64 exec, exec, s[8:9]
.LBB373_271:
	s_or_b64 exec, exec, s[6:7]
	v_and_b32_e32 v5, 7, v5
	v_cmp_ne_u32_e32 vcc, 0, v5
	s_and_saveexec_b64 s[6:7], vcc
	s_cbranch_execz .LBB373_274
; %bb.272:
	s_ashr_i32 s17, s16, 31
	s_lshl_b64 s[8:9], s[16:17], 2
	s_getpc_b64 s[22:23]
	s_add_u32 s22, s22, llvm.amdgcn.dynlds.offset.table@rel32@lo+4
	s_addc_u32 s23, s23, llvm.amdgcn.dynlds.offset.table@rel32@hi+12
	s_add_u32 s8, s8, s22
	s_addc_u32 s9, s9, s23
	s_load_dword s8, s[8:9], 0x0
	v_lshlrev_b32_e32 v6, 9, v10
	v_lshlrev_b32_e32 v7, 2, v19
	s_waitcnt lgkmcnt(0)
	v_add3_u32 v6, v6, v7, s8
	s_mov_b64 s[8:9], 0
.LBB373_273:                            ; =>This Inner Loop Header: Depth=1
	ds_read2st64_b32 v[10:11], v6 offset1:2
	v_add_u32_e32 v5, -1, v5
	v_cmp_eq_u32_e32 vcc, 0, v5
	s_or_b64 s[8:9], vcc, s[8:9]
	s_waitcnt lgkmcnt(0)
	v_pk_mul_f32 v[10:11], v[8:9], v[10:11]
	ds_write2st64_b32 v6, v10, v11 offset1:2
	v_add_u32_e32 v6, 0x400, v6
	s_andn2_b64 exec, exec, s[8:9]
	s_cbranch_execnz .LBB373_273
.LBB373_274:
	s_or_b64 exec, exec, s[6:7]
	v_add_u32_e32 v5, 1, v4
	v_and_b32_e32 v6, 0x3fffffe, v5
	v_cmp_ne_u32_e32 vcc, v5, v6
	v_lshl_add_u32 v4, v6, 7, v19
	s_orn2_b64 s[6:7], vcc, exec
.LBB373_275:
	s_or_b64 exec, exec, s[4:5]
	s_and_b64 exec, exec, s[6:7]
	s_cbranch_execz .LBB373_278
; %bb.276:
	s_ashr_i32 s17, s16, 31
	s_lshl_b64 s[4:5], s[16:17], 2
	s_getpc_b64 s[6:7]
	s_add_u32 s6, s6, llvm.amdgcn.dynlds.offset.table@rel32@lo+4
	s_addc_u32 s7, s7, llvm.amdgcn.dynlds.offset.table@rel32@hi+12
	s_add_u32 s4, s4, s6
	s_addc_u32 s5, s5, s7
	s_load_dword s4, s[4:5], 0x0
	s_waitcnt lgkmcnt(0)
	v_lshl_add_u32 v5, v4, 2, s4
	s_mov_b64 s[4:5], 0
.LBB373_277:                            ; =>This Inner Loop Header: Depth=1
	ds_read_b32 v6, v5
	v_add_u32_e32 v4, 0x80, v4
	v_cmp_ge_i32_e32 vcc, v4, v2
	s_or_b64 s[4:5], vcc, s[4:5]
	s_waitcnt lgkmcnt(0)
	v_mul_f32_e32 v6, v8, v6
	ds_write_b32 v5, v6
	v_add_u32_e32 v5, 0x200, v5
	s_andn2_b64 exec, exec, s[4:5]
	s_cbranch_execnz .LBB373_277
.LBB373_278:
	s_or_b64 exec, exec, s[2:3]
	v_cmp_ne_u16_e64 s[2:3], s24, 0
	s_cmp_lg_u64 s[2:3], 0
	s_addc_u32 s19, s13, 0
	s_mul_i32 s2, s19, s20
	v_cmp_eq_u32_e32 vcc, 0, v19
	s_mul_i32 s4, s2, s15
	s_waitcnt lgkmcnt(0)
	s_barrier
	s_and_saveexec_b64 s[2:3], vcc
	s_cbranch_execz .LBB373_280
; %bb.279:
	s_mul_i32 s8, s19, s12
	s_ashr_i32 s5, s4, 31
	s_ashr_i32 s9, s8, 31
	;; [unrolled: 1-line block ×3, first 2 shown]
	s_lshl_b64 s[6:7], s[4:5], 2
	s_lshl_b64 s[8:9], s[8:9], 2
	;; [unrolled: 1-line block ×3, first 2 shown]
	s_add_u32 s5, s12, s8
	s_addc_u32 s8, s13, s9
	s_add_u32 s6, s5, s6
	s_addc_u32 s7, s8, s7
	v_lshl_add_u64 v[4:5], s[6:7], 0, v[26:27]
	flat_store_dword v[4:5], v1
	v_lshl_add_u64 v[4:5], s[6:7], 0, v[24:25]
	flat_store_dword v[4:5], v3
.LBB373_280:
	s_or_b64 exec, exec, s[2:3]
	v_mov_b32_e32 v17, 0
	v_lshrrev_b32_e32 v27, 2, v0
	v_and_b32_e32 v26, 3, v19
	v_mov_b32_e32 v16, 0
	v_mov_b32_e32 v19, 0
	;; [unrolled: 1-line block ×7, first 2 shown]
	s_and_saveexec_b64 s[6:7], s[0:1]
	s_cbranch_execz .LBB373_846
; %bb.281:
	scratch_load_dwordx2 v[0:1], off, s32 offset:244 ; 8-byte Folded Reload
	s_ashr_i32 s17, s16, 31
	s_lshl_b64 s[0:1], s[16:17], 2
	s_getpc_b64 s[2:3]
	s_add_u32 s2, s2, llvm.amdgcn.dynlds.offset.table@rel32@lo+4
	s_addc_u32 s3, s3, llvm.amdgcn.dynlds.offset.table@rel32@hi+12
	s_add_u32 s0, s0, s2
	s_addc_u32 s1, s1, s3
	v_and_b32_e32 v2, 24, v28
	s_load_dword s0, s[0:1], 0x0
	s_movk_i32 s1, 0x78
	v_accvgpr_write_b32 a10, v23
	v_accvgpr_write_b32 a7, v22
	v_lshl_or_b32 v28, v27, 5, v2
	v_accvgpr_write_b32 a11, v27
	s_mov_b64 s[8:9], 0
	s_mov_b32 s5, 0x7f800000
	s_movk_i32 s15, 0x7fff
	s_waitcnt vmcnt(0)
	flat_load_dword v38, v[0:1]
	v_lshl_add_u64 v[0:1], v[32:33], 0, v[48:49]
	v_accvgpr_write_b32 a15, v1
	v_accvgpr_write_b32 a14, v0
	v_add_u32_e32 v0, -1, v29
	v_mov_b32_e32 v29, 0
	v_accvgpr_write_b32 a16, v0
	v_or_b32_e32 v0, 0x70, v27
	v_mov_b32_e32 v1, v29
	v_cmp_gt_u32_e32 vcc, s1, v0
	v_lshl_or_b32 v0, v0, 5, v2
	v_accvgpr_write_b32 a19, v1
	v_accvgpr_write_b32 a18, v0
	v_accvgpr_read_b32 v0, a8
	v_accvgpr_read_b32 v1, a9
	v_lshlrev_b64 v[0:1], 2, v[0:1]
	v_lshl_add_u64 v[0:1], v[36:37], 2, v[0:1]
	v_lshl_add_u64 v[14:15], v[14:15], 0, v[0:1]
	v_lshl_add_u32 v0, v30, 5, s21
	v_add3_u32 v17, v0, v2, 7
	v_lshlrev_b32_e32 v0, 5, v26
	v_lshl_or_b32 v0, v30, 7, v0
	v_mov_b32_e32 v1, v29
	s_waitcnt lgkmcnt(0)
	v_add_u32_e32 v48, s0, v0
	v_mov_b32_e32 v0, v29
	v_accvgpr_write_b32 a13, v1
	v_accvgpr_write_b32 a9, v26
	v_mov_b32_e32 v24, v29
	v_mov_b32_e32 v25, v29
	;; [unrolled: 1-line block ×6, first 2 shown]
	v_accvgpr_write_b32 a12, v0
	s_branch .LBB373_284
.LBB373_282:                            ;   in Loop: Header=BB373_284 Depth=1
	s_or_b64 exec, exec, s[2:3]
	v_and_b32_e32 v42, 0xffff0000, v5
	v_and_b32_e32 v5, 0xffff0000, v40
	;; [unrolled: 1-line block ×8, first 2 shown]
	v_pk_add_f32 v[0:1], v[40:41], v[4:5]
	v_pk_add_f32 v[4:5], v[12:13], v[42:43]
	v_add_f32_e32 v0, v0, v1
	v_add_f32_e32 v0, v0, v4
	;; [unrolled: 1-line block ×3, first 2 shown]
	v_accvgpr_read_b32 v4, a12
	v_accvgpr_read_b32 v5, a13
	v_add_f32_e32 v5, v5, v0
	v_accvgpr_write_b32 a13, v5
	v_accvgpr_write_b32 a12, v4
.LBB373_283:                            ;   in Loop: Header=BB373_284 Depth=1
	s_or_b64 exec, exec, s[12:13]
	v_accvgpr_read_b32 v0, a22
	v_accvgpr_read_b32 v4, a21
	v_and_b32_e32 v1, 0xffff0000, v0
	v_accvgpr_read_b32 v0, a20
	v_and_b32_e32 v5, 0xffff0000, v4
	v_accvgpr_read_b32 v4, a17
	v_and_b32_e32 v0, 0xffff0000, v0
	v_and_b32_e32 v4, 0xffff0000, v4
	v_pk_add_f32 v[0:1], v[4:5], v[0:1]
	v_accvgpr_read_b32 v4, a26
	v_accvgpr_read_b32 v12, a25
	v_and_b32_e32 v5, 0xffff0000, v4
	v_accvgpr_read_b32 v4, a24
	v_and_b32_e32 v13, 0xffff0000, v12
	;; [unrolled: 2-line block ×3, first 2 shown]
	v_and_b32_e32 v12, 0xffff0000, v12
	v_pk_add_f32 v[4:5], v[12:13], v[4:5]
	v_add_f32_e32 v0, v0, v1
	v_add_f32_e32 v0, v0, v4
	;; [unrolled: 1-line block ×3, first 2 shown]
	v_accvgpr_read_b32 v12, a31
	v_accvgpr_read_b32 v16, a30
	v_add_f32_e32 v24, v24, v0
	v_accvgpr_read_b32 v0, a35
	v_accvgpr_read_b32 v4, a34
	v_and_b32_e32 v13, 0xffff0000, v12
	v_accvgpr_read_b32 v12, a29
	v_and_b32_e32 v41, 0xffff0000, v16
	;; [unrolled: 2-line block ×5, first 2 shown]
	v_and_b32_e32 v40, 0xffff0000, v16
	v_and_b32_e32 v0, 0xffff0000, v0
	v_and_b32_e32 v4, 0xffff0000, v4
	v_pk_add_f32 v[12:13], v[40:41], v[12:13]
	v_pk_add_f32 v[0:1], v[4:5], v[0:1]
	v_add_f32_e32 v4, v12, v13
	v_add_f32_e32 v0, v4, v0
	;; [unrolled: 1-line block ×3, first 2 shown]
	v_accvgpr_read_b32 v12, a39
	v_accvgpr_read_b32 v16, a38
	v_add_f32_e32 v25, v25, v0
	v_accvgpr_read_b32 v0, a43
	v_accvgpr_read_b32 v4, a42
	v_and_b32_e32 v13, 0xffff0000, v12
	v_accvgpr_read_b32 v12, a37
	v_and_b32_e32 v41, 0xffff0000, v16
	;; [unrolled: 2-line block ×5, first 2 shown]
	v_and_b32_e32 v40, 0xffff0000, v16
	v_and_b32_e32 v0, 0xffff0000, v0
	;; [unrolled: 1-line block ×3, first 2 shown]
	v_pk_add_f32 v[12:13], v[40:41], v[12:13]
	v_pk_add_f32 v[0:1], v[4:5], v[0:1]
	v_add_f32_e32 v4, v12, v13
	v_add_f32_e32 v0, v4, v0
	;; [unrolled: 1-line block ×4, first 2 shown]
	v_and_b32_e32 v0, 0xffff0000, v10
	v_and_b32_e32 v5, 0xffff0000, v11
	;; [unrolled: 1-line block ×8, first 2 shown]
	v_pk_add_f32 v[10:11], v[12:13], v[10:11]
	v_pk_add_f32 v[0:1], v[4:5], v[0:1]
	v_add_f32_e32 v4, v10, v11
	v_add_f32_e32 v0, v4, v0
	v_add_f32_e32 v0, v0, v1
	v_and_b32_e32 v11, 0xffff0000, v50
	v_and_b32_e32 v10, 0xffff0000, v9
	v_and_b32_e32 v9, 0xffff0000, v49
	v_and_b32_e32 v8, 0xffff0000, v22
	v_add_f32_e32 v21, v21, v0
	v_and_b32_e32 v1, 0xffff0000, v54
	v_and_b32_e32 v0, 0xffff0000, v52
	v_and_b32_e32 v5, 0xffff0000, v53
	v_and_b32_e32 v4, 0xffff0000, v51
	v_pk_add_f32 v[8:9], v[8:9], v[10:11]
	v_pk_add_f32 v[0:1], v[4:5], v[0:1]
	v_add_f32_e32 v4, v8, v9
	v_add_f32_e32 v0, v4, v0
	v_add_f32_e32 v0, v0, v1
	v_and_b32_e32 v9, 0xffff0000, v57
	v_and_b32_e32 v8, 0xffff0000, v7
	v_and_b32_e32 v7, 0xffff0000, v56
	v_and_b32_e32 v6, 0xffff0000, v6
	v_add_f32_e32 v18, v18, v0
	v_and_b32_e32 v1, 0xffff0000, v61
	v_and_b32_e32 v0, 0xffff0000, v59
	v_and_b32_e32 v5, 0xffff0000, v60
	v_and_b32_e32 v4, 0xffff0000, v58
	;; [unrolled: 14-line block ×3, first 2 shown]
	v_pk_add_f32 v[2:3], v[2:3], v[6:7]
	v_pk_add_f32 v[0:1], v[4:5], v[0:1]
	v_add_f32_e32 v2, v2, v3
	v_add_f32_e32 v0, v2, v0
	;; [unrolled: 1-line block ×3, first 2 shown]
	v_accvgpr_read_b32 v2, a12
	v_add_f32_e32 v2, v2, v0
	scratch_load_dword v0, off, s32 offset:192 ; 4-byte Folded Reload
	v_accvgpr_read_b32 v3, a13
	v_accvgpr_write_b32 a13, v3
	v_accvgpr_write_b32 a12, v2
	v_accvgpr_read_b32 v2, a8
	v_add_u32_e32 v2, 2, v2
	v_lshl_add_u64 v[14:15], v[14:15], 0, 8
	v_add_u32_e32 v17, 64, v17
	v_accvgpr_write_b32 a8, v2
	v_add_u32_e32 v48, 0x100, v48
	s_waitcnt vmcnt(0)
	v_cmp_ge_i32_e64 s[0:1], v2, v0
	s_or_b64 s[8:9], s[0:1], s[8:9]
	s_andn2_b64 exec, exec, s[8:9]
	s_cbranch_execz .LBB373_845
.LBB373_284:                            ; =>This Inner Loop Header: Depth=1
	flat_load_dword v16, v[14:15]
	ds_read2_b64 v[6:9], v48 offset1:1
	ds_read2_b64 v[0:3], v48 offset0:2 offset1:3
                                        ; implicit-def: $vgpr23
	s_waitcnt lgkmcnt(0)
	v_and_b32_e32 v4, 0x7f800000, v6
	v_cmp_ne_u32_e64 s[0:1], s5, v4
	s_and_saveexec_b64 s[2:3], s[0:1]
	s_xor_b64 s[0:1], exec, s[2:3]
; %bb.285:                              ;   in Loop: Header=BB373_284 Depth=1
	v_bfe_u32 v4, v6, 16, 1
	v_add3_u32 v23, v6, v4, s15
; %bb.286:                              ;   in Loop: Header=BB373_284 Depth=1
	s_andn2_saveexec_b64 s[2:3], s[0:1]
; %bb.287:                              ;   in Loop: Header=BB373_284 Depth=1
	v_or_b32_e32 v4, 0x10000, v6
	v_cmp_eq_u32_sdwa s[0:1], v6, v29 src0_sel:WORD_0 src1_sel:DWORD
	s_nop 1
	v_cndmask_b32_e64 v23, v4, v6, s[0:1]
; %bb.288:                              ;   in Loop: Header=BB373_284 Depth=1
	s_or_b64 exec, exec, s[2:3]
	v_and_b32_e32 v4, 0x7f800000, v7
	v_cmp_ne_u32_e64 s[0:1], s5, v4
                                        ; implicit-def: $vgpr22
	s_and_saveexec_b64 s[2:3], s[0:1]
	s_xor_b64 s[0:1], exec, s[2:3]
; %bb.289:                              ;   in Loop: Header=BB373_284 Depth=1
	v_bfe_u32 v4, v7, 16, 1
	v_add3_u32 v22, v7, v4, s15
; %bb.290:                              ;   in Loop: Header=BB373_284 Depth=1
	s_andn2_saveexec_b64 s[2:3], s[0:1]
; %bb.291:                              ;   in Loop: Header=BB373_284 Depth=1
	v_or_b32_e32 v4, 0x10000, v7
	v_cmp_eq_u32_sdwa s[0:1], v7, v29 src0_sel:WORD_0 src1_sel:DWORD
	s_nop 1
	v_cndmask_b32_e64 v22, v4, v7, s[0:1]
; %bb.292:                              ;   in Loop: Header=BB373_284 Depth=1
	s_or_b64 exec, exec, s[2:3]
	v_and_b32_e32 v4, 0x7f800000, v8
	v_cmp_ne_u32_e64 s[0:1], s5, v4
                                        ; implicit-def: $vgpr11
	s_and_saveexec_b64 s[2:3], s[0:1]
	s_xor_b64 s[0:1], exec, s[2:3]
; %bb.293:                              ;   in Loop: Header=BB373_284 Depth=1
	v_bfe_u32 v4, v8, 16, 1
	v_add3_u32 v11, v8, v4, s15
; %bb.294:                              ;   in Loop: Header=BB373_284 Depth=1
	s_andn2_saveexec_b64 s[2:3], s[0:1]
; %bb.295:                              ;   in Loop: Header=BB373_284 Depth=1
	v_or_b32_e32 v4, 0x10000, v8
	v_cmp_eq_u32_sdwa s[0:1], v8, v29 src0_sel:WORD_0 src1_sel:DWORD
	s_nop 1
	v_cndmask_b32_e64 v11, v4, v8, s[0:1]
; %bb.296:                              ;   in Loop: Header=BB373_284 Depth=1
	s_or_b64 exec, exec, s[2:3]
	v_and_b32_e32 v4, 0x7f800000, v9
	v_cmp_ne_u32_e64 s[0:1], s5, v4
                                        ; implicit-def: $vgpr10
	s_and_saveexec_b64 s[2:3], s[0:1]
	s_xor_b64 s[0:1], exec, s[2:3]
; %bb.297:                              ;   in Loop: Header=BB373_284 Depth=1
	v_bfe_u32 v4, v9, 16, 1
	v_add3_u32 v10, v9, v4, s15
                                        ; implicit-def: $vgpr6_vgpr7_vgpr8_vgpr9
; %bb.298:                              ;   in Loop: Header=BB373_284 Depth=1
	s_andn2_saveexec_b64 s[2:3], s[0:1]
; %bb.299:                              ;   in Loop: Header=BB373_284 Depth=1
	v_or_b32_e32 v4, 0x10000, v9
	v_cmp_eq_u32_sdwa s[0:1], v9, v29 src0_sel:WORD_0 src1_sel:DWORD
	s_nop 1
	v_cndmask_b32_e64 v10, v4, v9, s[0:1]
; %bb.300:                              ;   in Loop: Header=BB373_284 Depth=1
	s_or_b64 exec, exec, s[2:3]
	v_and_b32_e32 v4, 0x7f800000, v0
	v_cmp_ne_u32_e64 s[0:1], s5, v4
                                        ; implicit-def: $vgpr9
	s_and_saveexec_b64 s[2:3], s[0:1]
	s_xor_b64 s[0:1], exec, s[2:3]
; %bb.301:                              ;   in Loop: Header=BB373_284 Depth=1
	v_bfe_u32 v4, v0, 16, 1
	v_add3_u32 v9, v0, v4, s15
; %bb.302:                              ;   in Loop: Header=BB373_284 Depth=1
	s_andn2_saveexec_b64 s[2:3], s[0:1]
; %bb.303:                              ;   in Loop: Header=BB373_284 Depth=1
	v_or_b32_e32 v4, 0x10000, v0
	v_cmp_eq_u32_sdwa s[0:1], v0, v29 src0_sel:WORD_0 src1_sel:DWORD
	s_nop 1
	v_cndmask_b32_e64 v9, v4, v0, s[0:1]
; %bb.304:                              ;   in Loop: Header=BB373_284 Depth=1
	s_or_b64 exec, exec, s[2:3]
	v_and_b32_e32 v0, 0x7f800000, v1
	v_cmp_ne_u32_e64 s[0:1], s5, v0
                                        ; implicit-def: $vgpr8
	s_and_saveexec_b64 s[2:3], s[0:1]
	s_xor_b64 s[0:1], exec, s[2:3]
; %bb.305:                              ;   in Loop: Header=BB373_284 Depth=1
	v_bfe_u32 v0, v1, 16, 1
	v_add3_u32 v8, v1, v0, s15
; %bb.306:                              ;   in Loop: Header=BB373_284 Depth=1
	s_andn2_saveexec_b64 s[2:3], s[0:1]
; %bb.307:                              ;   in Loop: Header=BB373_284 Depth=1
	v_or_b32_e32 v0, 0x10000, v1
	v_cmp_eq_u32_sdwa s[0:1], v1, v29 src0_sel:WORD_0 src1_sel:DWORD
	s_nop 1
	v_cndmask_b32_e64 v8, v0, v1, s[0:1]
; %bb.308:                              ;   in Loop: Header=BB373_284 Depth=1
	s_or_b64 exec, exec, s[2:3]
	v_and_b32_e32 v0, 0x7f800000, v2
	v_cmp_ne_u32_e64 s[0:1], s5, v0
                                        ; implicit-def: $vgpr5
	s_and_saveexec_b64 s[2:3], s[0:1]
	s_xor_b64 s[0:1], exec, s[2:3]
; %bb.309:                              ;   in Loop: Header=BB373_284 Depth=1
	v_bfe_u32 v0, v2, 16, 1
	v_add3_u32 v5, v2, v0, s15
; %bb.310:                              ;   in Loop: Header=BB373_284 Depth=1
	s_andn2_saveexec_b64 s[2:3], s[0:1]
; %bb.311:                              ;   in Loop: Header=BB373_284 Depth=1
	v_or_b32_e32 v0, 0x10000, v2
	v_cmp_eq_u32_sdwa s[0:1], v2, v29 src0_sel:WORD_0 src1_sel:DWORD
	s_nop 1
	v_cndmask_b32_e64 v5, v0, v2, s[0:1]
; %bb.312:                              ;   in Loop: Header=BB373_284 Depth=1
	s_or_b64 exec, exec, s[2:3]
	v_and_b32_e32 v0, 0x7f800000, v3
	v_cmp_ne_u32_e64 s[0:1], s5, v0
                                        ; implicit-def: $vgpr4
	s_and_saveexec_b64 s[2:3], s[0:1]
	s_xor_b64 s[0:1], exec, s[2:3]
; %bb.313:                              ;   in Loop: Header=BB373_284 Depth=1
	v_bfe_u32 v0, v3, 16, 1
	v_add3_u32 v4, v3, v0, s15
                                        ; implicit-def: $vgpr0_vgpr1_vgpr2_vgpr3
; %bb.314:                              ;   in Loop: Header=BB373_284 Depth=1
	s_andn2_saveexec_b64 s[2:3], s[0:1]
; %bb.315:                              ;   in Loop: Header=BB373_284 Depth=1
	v_or_b32_e32 v0, 0x10000, v3
	v_cmp_eq_u32_sdwa s[0:1], v3, v29 src0_sel:WORD_0 src1_sel:DWORD
	s_nop 1
	v_cndmask_b32_e64 v4, v0, v3, s[0:1]
; %bb.316:                              ;   in Loop: Header=BB373_284 Depth=1
	s_or_b64 exec, exec, s[2:3]
	v_accvgpr_read_b32 v2, a14
	v_accvgpr_read_b32 v0, a6
	;; [unrolled: 1-line block ×3, first 2 shown]
	s_waitcnt vmcnt(0)
	v_mad_i64_i32 v[0:1], s[0:1], v16, v0, v[2:3]
	v_lshl_add_u64 v[2:3], v[0:1], 0, v[28:29]
	flat_load_dwordx2 v[6:7], v[2:3]
                                        ; implicit-def: $vgpr16
	s_waitcnt vmcnt(0) lgkmcnt(0)
	v_and_b32_e32 v12, 0xff, v6
	v_cvt_f32_fp8_sdwa v12, v12 src0_sel:BYTE_0
	s_nop 0
	v_mul_f32_e32 v12, v38, v12
	v_and_b32_e32 v13, 0x7f800000, v12
	v_cmp_ne_u32_e64 s[0:1], s5, v13
	s_and_saveexec_b64 s[2:3], s[0:1]
	s_xor_b64 s[0:1], exec, s[2:3]
; %bb.317:                              ;   in Loop: Header=BB373_284 Depth=1
	v_bfe_u32 v13, v12, 16, 1
	v_add3_u32 v16, v12, v13, s15
                                        ; implicit-def: $vgpr12
; %bb.318:                              ;   in Loop: Header=BB373_284 Depth=1
	s_andn2_saveexec_b64 s[2:3], s[0:1]
; %bb.319:                              ;   in Loop: Header=BB373_284 Depth=1
	v_or_b32_e32 v13, 0x10000, v12
	v_cmp_eq_u32_sdwa s[0:1], v12, v29 src0_sel:WORD_0 src1_sel:DWORD
	s_nop 1
	v_cndmask_b32_e64 v16, v13, v12, s[0:1]
; %bb.320:                              ;   in Loop: Header=BB373_284 Depth=1
	s_or_b64 exec, exec, s[2:3]
	v_bfe_u32 v12, v6, 8, 8
	v_cvt_f32_fp8_sdwa v12, v12 src0_sel:BYTE_0
                                        ; implicit-def: $vgpr26
	s_nop 0
	v_mul_f32_e32 v12, v38, v12
	v_and_b32_e32 v13, 0x7f800000, v12
	v_cmp_ne_u32_e64 s[0:1], s5, v13
	s_and_saveexec_b64 s[2:3], s[0:1]
	s_xor_b64 s[0:1], exec, s[2:3]
; %bb.321:                              ;   in Loop: Header=BB373_284 Depth=1
	v_bfe_u32 v13, v12, 16, 1
	v_add3_u32 v26, v12, v13, s15
                                        ; implicit-def: $vgpr12
; %bb.322:                              ;   in Loop: Header=BB373_284 Depth=1
	s_andn2_saveexec_b64 s[2:3], s[0:1]
; %bb.323:                              ;   in Loop: Header=BB373_284 Depth=1
	v_or_b32_e32 v13, 0x10000, v12
	v_cmp_eq_u32_sdwa s[0:1], v12, v29 src0_sel:WORD_0 src1_sel:DWORD
	s_nop 1
	v_cndmask_b32_e64 v26, v13, v12, s[0:1]
; %bb.324:                              ;   in Loop: Header=BB373_284 Depth=1
	s_or_b64 exec, exec, s[2:3]
	v_bfe_u32 v12, v6, 16, 8
	v_cvt_f32_fp8_sdwa v12, v12 src0_sel:BYTE_0
                                        ; implicit-def: $vgpr30
	s_nop 0
	v_mul_f32_e32 v12, v38, v12
	v_and_b32_e32 v13, 0x7f800000, v12
	v_cmp_ne_u32_e64 s[0:1], s5, v13
	s_and_saveexec_b64 s[2:3], s[0:1]
	s_xor_b64 s[0:1], exec, s[2:3]
; %bb.325:                              ;   in Loop: Header=BB373_284 Depth=1
	v_bfe_u32 v13, v12, 16, 1
	v_add3_u32 v30, v12, v13, s15
                                        ; implicit-def: $vgpr12
; %bb.326:                              ;   in Loop: Header=BB373_284 Depth=1
	s_andn2_saveexec_b64 s[2:3], s[0:1]
; %bb.327:                              ;   in Loop: Header=BB373_284 Depth=1
	v_or_b32_e32 v13, 0x10000, v12
	v_cmp_eq_u32_sdwa s[0:1], v12, v29 src0_sel:WORD_0 src1_sel:DWORD
	s_nop 1
	v_cndmask_b32_e64 v30, v13, v12, s[0:1]
; %bb.328:                              ;   in Loop: Header=BB373_284 Depth=1
	s_or_b64 exec, exec, s[2:3]
	v_lshrrev_b32_e32 v6, 24, v6
	v_cvt_f32_fp8_sdwa v6, v6 src0_sel:BYTE_0
	s_nop 0
	v_mul_f32_e32 v12, v38, v6
	v_and_b32_e32 v6, 0x7f800000, v12
	v_cmp_ne_u32_e64 s[0:1], s5, v6
                                        ; implicit-def: $vgpr6
	s_and_saveexec_b64 s[2:3], s[0:1]
	s_xor_b64 s[0:1], exec, s[2:3]
; %bb.329:                              ;   in Loop: Header=BB373_284 Depth=1
	v_bfe_u32 v6, v12, 16, 1
	v_add3_u32 v6, v12, v6, s15
                                        ; implicit-def: $vgpr12
; %bb.330:                              ;   in Loop: Header=BB373_284 Depth=1
	s_andn2_saveexec_b64 s[2:3], s[0:1]
; %bb.331:                              ;   in Loop: Header=BB373_284 Depth=1
	v_or_b32_e32 v6, 0x10000, v12
	v_cmp_eq_u32_sdwa s[0:1], v12, v29 src0_sel:WORD_0 src1_sel:DWORD
	s_nop 1
	v_cndmask_b32_e64 v6, v6, v12, s[0:1]
; %bb.332:                              ;   in Loop: Header=BB373_284 Depth=1
	s_or_b64 exec, exec, s[2:3]
	v_and_b32_e32 v12, 0xff, v7
	v_cvt_f32_fp8_sdwa v12, v12 src0_sel:BYTE_0
                                        ; implicit-def: $vgpr31
	s_nop 0
	v_mul_f32_e32 v12, v38, v12
	v_and_b32_e32 v13, 0x7f800000, v12
	v_cmp_ne_u32_e64 s[0:1], s5, v13
	s_and_saveexec_b64 s[2:3], s[0:1]
	s_xor_b64 s[0:1], exec, s[2:3]
; %bb.333:                              ;   in Loop: Header=BB373_284 Depth=1
	v_bfe_u32 v13, v12, 16, 1
	v_add3_u32 v31, v12, v13, s15
                                        ; implicit-def: $vgpr12
; %bb.334:                              ;   in Loop: Header=BB373_284 Depth=1
	s_andn2_saveexec_b64 s[2:3], s[0:1]
; %bb.335:                              ;   in Loop: Header=BB373_284 Depth=1
	v_or_b32_e32 v13, 0x10000, v12
	v_cmp_eq_u32_sdwa s[0:1], v12, v29 src0_sel:WORD_0 src1_sel:DWORD
	s_nop 1
	v_cndmask_b32_e64 v31, v13, v12, s[0:1]
; %bb.336:                              ;   in Loop: Header=BB373_284 Depth=1
	s_or_b64 exec, exec, s[2:3]
	v_bfe_u32 v12, v7, 8, 8
	v_cvt_f32_fp8_sdwa v12, v12 src0_sel:BYTE_0
                                        ; implicit-def: $vgpr27
	s_nop 0
	v_mul_f32_e32 v12, v38, v12
	v_and_b32_e32 v13, 0x7f800000, v12
	v_cmp_ne_u32_e64 s[0:1], s5, v13
	s_and_saveexec_b64 s[2:3], s[0:1]
	s_xor_b64 s[0:1], exec, s[2:3]
; %bb.337:                              ;   in Loop: Header=BB373_284 Depth=1
	v_bfe_u32 v13, v12, 16, 1
	v_add3_u32 v27, v12, v13, s15
                                        ; implicit-def: $vgpr12
; %bb.338:                              ;   in Loop: Header=BB373_284 Depth=1
	s_andn2_saveexec_b64 s[2:3], s[0:1]
; %bb.339:                              ;   in Loop: Header=BB373_284 Depth=1
	v_or_b32_e32 v13, 0x10000, v12
	v_cmp_eq_u32_sdwa s[0:1], v12, v29 src0_sel:WORD_0 src1_sel:DWORD
	s_nop 1
	v_cndmask_b32_e64 v27, v13, v12, s[0:1]
; %bb.340:                              ;   in Loop: Header=BB373_284 Depth=1
	s_or_b64 exec, exec, s[2:3]
	v_bfe_u32 v12, v7, 16, 8
	v_cvt_f32_fp8_sdwa v12, v12 src0_sel:BYTE_0
                                        ; implicit-def: $vgpr33
	s_nop 0
	v_mul_f32_e32 v12, v38, v12
	v_and_b32_e32 v13, 0x7f800000, v12
	v_cmp_ne_u32_e64 s[0:1], s5, v13
	s_and_saveexec_b64 s[2:3], s[0:1]
	s_xor_b64 s[0:1], exec, s[2:3]
; %bb.341:                              ;   in Loop: Header=BB373_284 Depth=1
	v_bfe_u32 v13, v12, 16, 1
	v_add3_u32 v33, v12, v13, s15
                                        ; implicit-def: $vgpr12
; %bb.342:                              ;   in Loop: Header=BB373_284 Depth=1
	s_andn2_saveexec_b64 s[2:3], s[0:1]
; %bb.343:                              ;   in Loop: Header=BB373_284 Depth=1
	v_or_b32_e32 v13, 0x10000, v12
	v_cmp_eq_u32_sdwa s[0:1], v12, v29 src0_sel:WORD_0 src1_sel:DWORD
	s_nop 1
	v_cndmask_b32_e64 v33, v13, v12, s[0:1]
; %bb.344:                              ;   in Loop: Header=BB373_284 Depth=1
	s_or_b64 exec, exec, s[2:3]
	v_lshrrev_b32_e32 v7, 24, v7
	v_cvt_f32_fp8_sdwa v7, v7 src0_sel:BYTE_0
                                        ; implicit-def: $vgpr13
	s_nop 0
	v_mul_f32_e32 v7, v38, v7
	v_and_b32_e32 v12, 0x7f800000, v7
	v_cmp_ne_u32_e64 s[0:1], s5, v12
	s_and_saveexec_b64 s[2:3], s[0:1]
	s_xor_b64 s[0:1], exec, s[2:3]
; %bb.345:                              ;   in Loop: Header=BB373_284 Depth=1
	v_bfe_u32 v12, v7, 16, 1
	v_add3_u32 v13, v7, v12, s15
                                        ; implicit-def: $vgpr7
; %bb.346:                              ;   in Loop: Header=BB373_284 Depth=1
	s_andn2_saveexec_b64 s[2:3], s[0:1]
; %bb.347:                              ;   in Loop: Header=BB373_284 Depth=1
	v_or_b32_e32 v12, 0x10000, v7
	v_cmp_eq_u32_sdwa s[0:1], v7, v29 src0_sel:WORD_0 src1_sel:DWORD
	s_nop 1
	v_cndmask_b32_e64 v13, v12, v7, s[0:1]
; %bb.348:                              ;   in Loop: Header=BB373_284 Depth=1
	s_or_b64 exec, exec, s[2:3]
	v_accvgpr_read_b32 v12, a8
	v_accvgpr_read_b32 v7, a16
	v_cmp_eq_u32_e64 s[0:1], v7, v12
	v_add_u32_e32 v7, -7, v17
	v_accvgpr_write_b32 a27, v7
	v_lshrrev_b32_e32 v27, 16, v27
	v_lshrrev_b32_e32 v31, 16, v31
	;; [unrolled: 1-line block ×8, first 2 shown]
	s_and_saveexec_b64 s[12:13], s[0:1]
	s_cbranch_execz .LBB373_350
; %bb.349:                              ;   in Loop: Header=BB373_284 Depth=1
	v_accvgpr_read_b32 v13, a27
	v_cmp_lt_i32_e64 s[2:3], v13, v35
	v_add_u32_e32 v13, -6, v17
	s_nop 0
	v_cndmask_b32_e64 v12, 0, v12, s[2:3]
	v_cmp_lt_i32_e64 s[2:3], v13, v35
	v_add_u32_e32 v13, -5, v17
	s_nop 0
	v_cndmask_b32_e64 v26, 0, v26, s[2:3]
	;; [unrolled: 4-line block ×6, first 2 shown]
	v_cmp_lt_i32_e64 s[2:3], v13, v35
	s_nop 1
	v_cndmask_b32_e64 v7, 0, v7, s[2:3]
	v_cmp_lt_i32_e64 s[2:3], v17, v35
	s_nop 1
	v_cndmask_b32_e64 v6, 0, v6, s[2:3]
.LBB373_350:                            ;   in Loop: Header=BB373_284 Depth=1
	s_or_b64 exec, exec, s[12:13]
	v_and_b32_e32 v40, 0xffff0000, v23
	v_lshlrev_b32_e32 v12, 16, v12
	v_mul_f32_e32 v12, v40, v12
	v_and_b32_e32 v13, 0x7f800000, v12
	v_cmp_ne_u32_e64 s[2:3], s5, v13
                                        ; implicit-def: $agpr17
	s_and_saveexec_b64 s[12:13], s[2:3]
	s_xor_b64 s[2:3], exec, s[12:13]
; %bb.351:                              ;   in Loop: Header=BB373_284 Depth=1
	v_bfe_u32 v13, v12, 16, 1
	v_add3_u32 v12, v12, v13, s15
	v_accvgpr_write_b32 a17, v12
                                        ; implicit-def: $vgpr12
; %bb.352:                              ;   in Loop: Header=BB373_284 Depth=1
	s_andn2_saveexec_b64 s[12:13], s[2:3]
; %bb.353:                              ;   in Loop: Header=BB373_284 Depth=1
	v_or_b32_e32 v13, 0x10000, v12
	v_cmp_eq_u32_sdwa s[2:3], v12, v29 src0_sel:WORD_0 src1_sel:DWORD
	s_nop 1
	v_cndmask_b32_e64 v12, v13, v12, s[2:3]
	v_accvgpr_write_b32 a17, v12
; %bb.354:                              ;   in Loop: Header=BB373_284 Depth=1
	s_or_b64 exec, exec, s[12:13]
	v_and_b32_e32 v41, 0xffff0000, v22
	v_lshlrev_b32_e32 v12, 16, v26
	v_mul_f32_e32 v12, v41, v12
	v_and_b32_e32 v13, 0x7f800000, v12
	v_cmp_ne_u32_e64 s[2:3], s5, v13
                                        ; implicit-def: $agpr20
	s_and_saveexec_b64 s[12:13], s[2:3]
	s_xor_b64 s[2:3], exec, s[12:13]
; %bb.355:                              ;   in Loop: Header=BB373_284 Depth=1
	v_bfe_u32 v13, v12, 16, 1
	v_add3_u32 v12, v12, v13, s15
	v_accvgpr_write_b32 a20, v12
                                        ; implicit-def: $vgpr12
; %bb.356:                              ;   in Loop: Header=BB373_284 Depth=1
	s_andn2_saveexec_b64 s[12:13], s[2:3]
; %bb.357:                              ;   in Loop: Header=BB373_284 Depth=1
	v_or_b32_e32 v13, 0x10000, v12
	v_cmp_eq_u32_sdwa s[2:3], v12, v29 src0_sel:WORD_0 src1_sel:DWORD
	s_nop 1
	v_cndmask_b32_e64 v12, v13, v12, s[2:3]
	v_accvgpr_write_b32 a20, v12
; %bb.358:                              ;   in Loop: Header=BB373_284 Depth=1
	s_or_b64 exec, exec, s[12:13]
	v_and_b32_e32 v42, 0xffff0000, v11
	v_lshlrev_b32_e32 v11, 16, v30
	v_mul_f32_e32 v11, v42, v11
	v_and_b32_e32 v12, 0x7f800000, v11
	v_cmp_ne_u32_e64 s[2:3], s5, v12
                                        ; implicit-def: $agpr21
	s_and_saveexec_b64 s[12:13], s[2:3]
	s_xor_b64 s[2:3], exec, s[12:13]
; %bb.359:                              ;   in Loop: Header=BB373_284 Depth=1
	v_bfe_u32 v12, v11, 16, 1
	v_add3_u32 v11, v11, v12, s15
	v_accvgpr_write_b32 a21, v11
                                        ; implicit-def: $vgpr11
; %bb.360:                              ;   in Loop: Header=BB373_284 Depth=1
	s_andn2_saveexec_b64 s[12:13], s[2:3]
; %bb.361:                              ;   in Loop: Header=BB373_284 Depth=1
	v_or_b32_e32 v12, 0x10000, v11
	v_cmp_eq_u32_sdwa s[2:3], v11, v29 src0_sel:WORD_0 src1_sel:DWORD
	s_nop 1
	v_cndmask_b32_e64 v11, v12, v11, s[2:3]
	v_accvgpr_write_b32 a21, v11
; %bb.362:                              ;   in Loop: Header=BB373_284 Depth=1
	s_or_b64 exec, exec, s[12:13]
	v_and_b32_e32 v43, 0xffff0000, v10
	v_lshlrev_b32_e32 v10, 16, v32
	v_mul_f32_e32 v10, v43, v10
	v_and_b32_e32 v11, 0x7f800000, v10
	v_cmp_ne_u32_e64 s[2:3], s5, v11
                                        ; implicit-def: $agpr22
	s_and_saveexec_b64 s[12:13], s[2:3]
	s_xor_b64 s[2:3], exec, s[12:13]
; %bb.363:                              ;   in Loop: Header=BB373_284 Depth=1
	v_bfe_u32 v11, v10, 16, 1
	v_add3_u32 v10, v10, v11, s15
	v_accvgpr_write_b32 a22, v10
                                        ; implicit-def: $vgpr10
; %bb.364:                              ;   in Loop: Header=BB373_284 Depth=1
	s_andn2_saveexec_b64 s[12:13], s[2:3]
; %bb.365:                              ;   in Loop: Header=BB373_284 Depth=1
	v_or_b32_e32 v11, 0x10000, v10
	v_cmp_eq_u32_sdwa s[2:3], v10, v29 src0_sel:WORD_0 src1_sel:DWORD
	s_nop 1
	v_cndmask_b32_e64 v10, v11, v10, s[2:3]
	v_accvgpr_write_b32 a22, v10
; %bb.366:                              ;   in Loop: Header=BB373_284 Depth=1
	s_or_b64 exec, exec, s[12:13]
	v_and_b32_e32 v44, 0xffff0000, v9
	v_lshlrev_b32_e32 v9, 16, v31
	v_mul_f32_e32 v9, v44, v9
	v_and_b32_e32 v10, 0x7f800000, v9
	v_cmp_ne_u32_e64 s[2:3], s5, v10
                                        ; implicit-def: $agpr23
	s_and_saveexec_b64 s[12:13], s[2:3]
	s_xor_b64 s[2:3], exec, s[12:13]
; %bb.367:                              ;   in Loop: Header=BB373_284 Depth=1
	v_bfe_u32 v10, v9, 16, 1
	v_add3_u32 v9, v9, v10, s15
	v_accvgpr_write_b32 a23, v9
                                        ; implicit-def: $vgpr9
; %bb.368:                              ;   in Loop: Header=BB373_284 Depth=1
	s_andn2_saveexec_b64 s[12:13], s[2:3]
; %bb.369:                              ;   in Loop: Header=BB373_284 Depth=1
	v_or_b32_e32 v10, 0x10000, v9
	v_cmp_eq_u32_sdwa s[2:3], v9, v29 src0_sel:WORD_0 src1_sel:DWORD
	s_nop 1
	v_cndmask_b32_e64 v9, v10, v9, s[2:3]
	v_accvgpr_write_b32 a23, v9
; %bb.370:                              ;   in Loop: Header=BB373_284 Depth=1
	s_or_b64 exec, exec, s[12:13]
	v_and_b32_e32 v45, 0xffff0000, v8
	v_lshlrev_b32_e32 v8, 16, v27
	v_mul_f32_e32 v8, v45, v8
	v_and_b32_e32 v9, 0x7f800000, v8
	v_cmp_ne_u32_e64 s[2:3], s5, v9
                                        ; implicit-def: $agpr24
	s_and_saveexec_b64 s[12:13], s[2:3]
	s_xor_b64 s[2:3], exec, s[12:13]
; %bb.371:                              ;   in Loop: Header=BB373_284 Depth=1
	v_bfe_u32 v9, v8, 16, 1
	v_add3_u32 v8, v8, v9, s15
	v_accvgpr_write_b32 a24, v8
                                        ; implicit-def: $vgpr8
; %bb.372:                              ;   in Loop: Header=BB373_284 Depth=1
	s_andn2_saveexec_b64 s[12:13], s[2:3]
; %bb.373:                              ;   in Loop: Header=BB373_284 Depth=1
	v_or_b32_e32 v9, 0x10000, v8
	v_cmp_eq_u32_sdwa s[2:3], v8, v29 src0_sel:WORD_0 src1_sel:DWORD
	s_nop 1
	v_cndmask_b32_e64 v8, v9, v8, s[2:3]
	v_accvgpr_write_b32 a24, v8
; %bb.374:                              ;   in Loop: Header=BB373_284 Depth=1
	s_or_b64 exec, exec, s[12:13]
	v_and_b32_e32 v46, 0xffff0000, v5
	v_lshlrev_b32_e32 v5, 16, v7
	v_mul_f32_e32 v5, v46, v5
	v_and_b32_e32 v7, 0x7f800000, v5
	v_cmp_ne_u32_e64 s[2:3], s5, v7
                                        ; implicit-def: $agpr25
	s_and_saveexec_b64 s[12:13], s[2:3]
	s_xor_b64 s[2:3], exec, s[12:13]
; %bb.375:                              ;   in Loop: Header=BB373_284 Depth=1
	v_bfe_u32 v7, v5, 16, 1
	v_add3_u32 v5, v5, v7, s15
	v_accvgpr_write_b32 a25, v5
                                        ; implicit-def: $vgpr5
; %bb.376:                              ;   in Loop: Header=BB373_284 Depth=1
	s_andn2_saveexec_b64 s[12:13], s[2:3]
; %bb.377:                              ;   in Loop: Header=BB373_284 Depth=1
	v_or_b32_e32 v7, 0x10000, v5
	v_cmp_eq_u32_sdwa s[2:3], v5, v29 src0_sel:WORD_0 src1_sel:DWORD
	s_nop 1
	v_cndmask_b32_e64 v5, v7, v5, s[2:3]
	v_accvgpr_write_b32 a25, v5
; %bb.378:                              ;   in Loop: Header=BB373_284 Depth=1
	s_or_b64 exec, exec, s[12:13]
	v_and_b32_e32 v47, 0xffff0000, v4
	v_lshlrev_b32_e32 v4, 16, v6
	v_mul_f32_e32 v4, v47, v4
	v_and_b32_e32 v5, 0x7f800000, v4
	v_cmp_ne_u32_e64 s[2:3], s5, v5
                                        ; implicit-def: $agpr26
	s_and_saveexec_b64 s[12:13], s[2:3]
	s_xor_b64 s[2:3], exec, s[12:13]
; %bb.379:                              ;   in Loop: Header=BB373_284 Depth=1
	v_bfe_u32 v5, v4, 16, 1
	v_add3_u32 v4, v4, v5, s15
	v_accvgpr_write_b32 a26, v4
                                        ; implicit-def: $vgpr4
; %bb.380:                              ;   in Loop: Header=BB373_284 Depth=1
	s_andn2_saveexec_b64 s[12:13], s[2:3]
; %bb.381:                              ;   in Loop: Header=BB373_284 Depth=1
	v_or_b32_e32 v5, 0x10000, v4
	v_cmp_eq_u32_sdwa s[2:3], v4, v29 src0_sel:WORD_0 src1_sel:DWORD
	s_nop 1
	v_cndmask_b32_e64 v4, v5, v4, s[2:3]
	v_accvgpr_write_b32 a26, v4
; %bb.382:                              ;   in Loop: Header=BB373_284 Depth=1
	s_or_b64 exec, exec, s[12:13]
	flat_load_dwordx2 v[6:7], v[2:3] offset:512
	s_waitcnt vmcnt(0) lgkmcnt(0)
	v_and_b32_e32 v4, 0xff, v6
	v_cvt_f32_fp8_sdwa v4, v4 src0_sel:BYTE_0
	s_nop 0
	v_mul_f32_e32 v5, v38, v4
	v_and_b32_e32 v4, 0x7f800000, v5
	v_cmp_ne_u32_e64 s[2:3], s5, v4
                                        ; implicit-def: $vgpr4
	s_and_saveexec_b64 s[12:13], s[2:3]
	s_xor_b64 s[2:3], exec, s[12:13]
; %bb.383:                              ;   in Loop: Header=BB373_284 Depth=1
	v_bfe_u32 v4, v5, 16, 1
	v_add3_u32 v4, v5, v4, s15
                                        ; implicit-def: $vgpr5
; %bb.384:                              ;   in Loop: Header=BB373_284 Depth=1
	s_andn2_saveexec_b64 s[12:13], s[2:3]
; %bb.385:                              ;   in Loop: Header=BB373_284 Depth=1
	v_or_b32_e32 v4, 0x10000, v5
	v_cmp_eq_u32_sdwa s[2:3], v5, v29 src0_sel:WORD_0 src1_sel:DWORD
	s_nop 1
	v_cndmask_b32_e64 v4, v4, v5, s[2:3]
; %bb.386:                              ;   in Loop: Header=BB373_284 Depth=1
	s_or_b64 exec, exec, s[12:13]
	v_bfe_u32 v5, v6, 8, 8
	v_cvt_f32_fp8_sdwa v5, v5 src0_sel:BYTE_0
	s_nop 0
	v_mul_f32_e32 v8, v38, v5
	v_and_b32_e32 v5, 0x7f800000, v8
	v_cmp_ne_u32_e64 s[2:3], s5, v5
                                        ; implicit-def: $vgpr5
	s_and_saveexec_b64 s[12:13], s[2:3]
	s_xor_b64 s[2:3], exec, s[12:13]
; %bb.387:                              ;   in Loop: Header=BB373_284 Depth=1
	v_bfe_u32 v5, v8, 16, 1
	v_add3_u32 v5, v8, v5, s15
                                        ; implicit-def: $vgpr8
; %bb.388:                              ;   in Loop: Header=BB373_284 Depth=1
	s_andn2_saveexec_b64 s[12:13], s[2:3]
; %bb.389:                              ;   in Loop: Header=BB373_284 Depth=1
	v_or_b32_e32 v5, 0x10000, v8
	v_cmp_eq_u32_sdwa s[2:3], v8, v29 src0_sel:WORD_0 src1_sel:DWORD
	s_nop 1
	v_cndmask_b32_e64 v5, v5, v8, s[2:3]
; %bb.390:                              ;   in Loop: Header=BB373_284 Depth=1
	s_or_b64 exec, exec, s[12:13]
	v_bfe_u32 v8, v6, 16, 8
	v_cvt_f32_fp8_sdwa v8, v8 src0_sel:BYTE_0
	s_nop 0
	v_mul_f32_e32 v9, v38, v8
	v_and_b32_e32 v8, 0x7f800000, v9
	v_cmp_ne_u32_e64 s[2:3], s5, v8
                                        ; implicit-def: $vgpr8
	s_and_saveexec_b64 s[12:13], s[2:3]
	s_xor_b64 s[2:3], exec, s[12:13]
; %bb.391:                              ;   in Loop: Header=BB373_284 Depth=1
	v_bfe_u32 v8, v9, 16, 1
	v_add3_u32 v8, v9, v8, s15
                                        ; implicit-def: $vgpr9
; %bb.392:                              ;   in Loop: Header=BB373_284 Depth=1
	s_andn2_saveexec_b64 s[12:13], s[2:3]
; %bb.393:                              ;   in Loop: Header=BB373_284 Depth=1
	v_or_b32_e32 v8, 0x10000, v9
	v_cmp_eq_u32_sdwa s[2:3], v9, v29 src0_sel:WORD_0 src1_sel:DWORD
	s_nop 1
	v_cndmask_b32_e64 v8, v8, v9, s[2:3]
; %bb.394:                              ;   in Loop: Header=BB373_284 Depth=1
	s_or_b64 exec, exec, s[12:13]
	v_lshrrev_b32_e32 v6, 24, v6
	v_cvt_f32_fp8_sdwa v6, v6 src0_sel:BYTE_0
	s_nop 0
	v_mul_f32_e32 v6, v38, v6
	v_and_b32_e32 v9, 0x7f800000, v6
	v_cmp_ne_u32_e64 s[2:3], s5, v9
                                        ; implicit-def: $vgpr9
	s_and_saveexec_b64 s[12:13], s[2:3]
	s_xor_b64 s[2:3], exec, s[12:13]
; %bb.395:                              ;   in Loop: Header=BB373_284 Depth=1
	v_bfe_u32 v9, v6, 16, 1
	v_add3_u32 v9, v6, v9, s15
                                        ; implicit-def: $vgpr6
; %bb.396:                              ;   in Loop: Header=BB373_284 Depth=1
	s_andn2_saveexec_b64 s[12:13], s[2:3]
; %bb.397:                              ;   in Loop: Header=BB373_284 Depth=1
	v_or_b32_e32 v9, 0x10000, v6
	v_cmp_eq_u32_sdwa s[2:3], v6, v29 src0_sel:WORD_0 src1_sel:DWORD
	s_nop 1
	v_cndmask_b32_e64 v9, v9, v6, s[2:3]
; %bb.398:                              ;   in Loop: Header=BB373_284 Depth=1
	s_or_b64 exec, exec, s[12:13]
	v_and_b32_e32 v6, 0xff, v7
	v_cvt_f32_fp8_sdwa v6, v6 src0_sel:BYTE_0
	s_nop 0
	v_mul_f32_e32 v6, v38, v6
	v_and_b32_e32 v10, 0x7f800000, v6
	v_cmp_ne_u32_e64 s[2:3], s5, v10
                                        ; implicit-def: $vgpr10
	s_and_saveexec_b64 s[12:13], s[2:3]
	s_xor_b64 s[2:3], exec, s[12:13]
; %bb.399:                              ;   in Loop: Header=BB373_284 Depth=1
	v_bfe_u32 v10, v6, 16, 1
	v_add3_u32 v10, v6, v10, s15
                                        ; implicit-def: $vgpr6
; %bb.400:                              ;   in Loop: Header=BB373_284 Depth=1
	s_andn2_saveexec_b64 s[12:13], s[2:3]
; %bb.401:                              ;   in Loop: Header=BB373_284 Depth=1
	v_or_b32_e32 v10, 0x10000, v6
	v_cmp_eq_u32_sdwa s[2:3], v6, v29 src0_sel:WORD_0 src1_sel:DWORD
	s_nop 1
	v_cndmask_b32_e64 v10, v10, v6, s[2:3]
; %bb.402:                              ;   in Loop: Header=BB373_284 Depth=1
	s_or_b64 exec, exec, s[12:13]
	v_bfe_u32 v6, v7, 8, 8
	v_cvt_f32_fp8_sdwa v6, v6 src0_sel:BYTE_0
	s_nop 0
	v_mul_f32_e32 v11, v38, v6
	v_and_b32_e32 v6, 0x7f800000, v11
	v_cmp_ne_u32_e64 s[2:3], s5, v6
                                        ; implicit-def: $vgpr6
	s_and_saveexec_b64 s[12:13], s[2:3]
	s_xor_b64 s[2:3], exec, s[12:13]
; %bb.403:                              ;   in Loop: Header=BB373_284 Depth=1
	v_bfe_u32 v6, v11, 16, 1
	v_add3_u32 v6, v11, v6, s15
                                        ; implicit-def: $vgpr11
; %bb.404:                              ;   in Loop: Header=BB373_284 Depth=1
	s_andn2_saveexec_b64 s[12:13], s[2:3]
; %bb.405:                              ;   in Loop: Header=BB373_284 Depth=1
	v_or_b32_e32 v6, 0x10000, v11
	v_cmp_eq_u32_sdwa s[2:3], v11, v29 src0_sel:WORD_0 src1_sel:DWORD
	s_nop 1
	v_cndmask_b32_e64 v6, v6, v11, s[2:3]
; %bb.406:                              ;   in Loop: Header=BB373_284 Depth=1
	s_or_b64 exec, exec, s[12:13]
	v_bfe_u32 v11, v7, 16, 8
	v_cvt_f32_fp8_sdwa v11, v11 src0_sel:BYTE_0
	s_nop 0
	v_mul_f32_e32 v12, v38, v11
	v_and_b32_e32 v11, 0x7f800000, v12
	v_cmp_ne_u32_e64 s[2:3], s5, v11
                                        ; implicit-def: $vgpr11
	s_and_saveexec_b64 s[12:13], s[2:3]
	s_xor_b64 s[2:3], exec, s[12:13]
; %bb.407:                              ;   in Loop: Header=BB373_284 Depth=1
	v_bfe_u32 v11, v12, 16, 1
	v_add3_u32 v11, v12, v11, s15
                                        ; implicit-def: $vgpr12
; %bb.408:                              ;   in Loop: Header=BB373_284 Depth=1
	s_andn2_saveexec_b64 s[12:13], s[2:3]
; %bb.409:                              ;   in Loop: Header=BB373_284 Depth=1
	v_or_b32_e32 v11, 0x10000, v12
	v_cmp_eq_u32_sdwa s[2:3], v12, v29 src0_sel:WORD_0 src1_sel:DWORD
	s_nop 1
	v_cndmask_b32_e64 v11, v11, v12, s[2:3]
; %bb.410:                              ;   in Loop: Header=BB373_284 Depth=1
	s_or_b64 exec, exec, s[12:13]
	v_lshrrev_b32_e32 v7, 24, v7
	v_cvt_f32_fp8_sdwa v7, v7 src0_sel:BYTE_0
                                        ; implicit-def: $vgpr13
	s_nop 0
	v_mul_f32_e32 v7, v38, v7
	v_and_b32_e32 v12, 0x7f800000, v7
	v_cmp_ne_u32_e64 s[2:3], s5, v12
	s_and_saveexec_b64 s[12:13], s[2:3]
	s_xor_b64 s[2:3], exec, s[12:13]
; %bb.411:                              ;   in Loop: Header=BB373_284 Depth=1
	v_bfe_u32 v12, v7, 16, 1
	v_add3_u32 v13, v7, v12, s15
                                        ; implicit-def: $vgpr7
; %bb.412:                              ;   in Loop: Header=BB373_284 Depth=1
	s_andn2_saveexec_b64 s[12:13], s[2:3]
; %bb.413:                              ;   in Loop: Header=BB373_284 Depth=1
	v_or_b32_e32 v12, 0x10000, v7
	v_cmp_eq_u32_sdwa s[2:3], v7, v29 src0_sel:WORD_0 src1_sel:DWORD
	s_nop 1
	v_cndmask_b32_e64 v13, v12, v7, s[2:3]
; %bb.414:                              ;   in Loop: Header=BB373_284 Depth=1
	s_or_b64 exec, exec, s[12:13]
	v_lshrrev_b32_e32 v6, 16, v6
	v_lshrrev_b32_e32 v7, 16, v10
	;; [unrolled: 1-line block ×8, first 2 shown]
	s_and_saveexec_b64 s[12:13], s[0:1]
	s_cbranch_execz .LBB373_416
; %bb.415:                              ;   in Loop: Header=BB373_284 Depth=1
	v_accvgpr_read_b32 v11, a27
	v_cmp_lt_i32_e64 s[2:3], v11, v35
	v_add_u32_e32 v11, -6, v17
	s_nop 0
	v_cndmask_b32_e64 v12, 0, v12, s[2:3]
	v_cmp_lt_i32_e64 s[2:3], v11, v35
	v_add_u32_e32 v11, -5, v17
	s_nop 0
	v_cndmask_b32_e64 v10, 0, v10, s[2:3]
	;; [unrolled: 4-line block ×6, first 2 shown]
	v_cmp_lt_i32_e64 s[2:3], v11, v35
	s_nop 1
	v_cndmask_b32_e64 v5, 0, v5, s[2:3]
	v_cmp_lt_i32_e64 s[2:3], v17, v35
	s_nop 1
	v_cndmask_b32_e64 v4, 0, v4, s[2:3]
.LBB373_416:                            ;   in Loop: Header=BB373_284 Depth=1
	s_or_b64 exec, exec, s[12:13]
	v_lshlrev_b32_e32 v11, 16, v12
	v_mul_f32_e32 v11, v40, v11
	v_and_b32_e32 v12, 0x7f800000, v11
	v_cmp_ne_u32_e64 s[2:3], s5, v12
                                        ; implicit-def: $agpr28
	s_and_saveexec_b64 s[12:13], s[2:3]
	s_xor_b64 s[2:3], exec, s[12:13]
; %bb.417:                              ;   in Loop: Header=BB373_284 Depth=1
	v_bfe_u32 v12, v11, 16, 1
	v_add3_u32 v11, v11, v12, s15
	v_accvgpr_write_b32 a28, v11
                                        ; implicit-def: $vgpr11
; %bb.418:                              ;   in Loop: Header=BB373_284 Depth=1
	s_andn2_saveexec_b64 s[12:13], s[2:3]
; %bb.419:                              ;   in Loop: Header=BB373_284 Depth=1
	v_or_b32_e32 v12, 0x10000, v11
	v_cmp_eq_u32_sdwa s[2:3], v11, v29 src0_sel:WORD_0 src1_sel:DWORD
	s_nop 1
	v_cndmask_b32_e64 v11, v12, v11, s[2:3]
	v_accvgpr_write_b32 a28, v11
; %bb.420:                              ;   in Loop: Header=BB373_284 Depth=1
	s_or_b64 exec, exec, s[12:13]
	v_lshlrev_b32_e32 v10, 16, v10
	v_mul_f32_e32 v10, v41, v10
	v_and_b32_e32 v11, 0x7f800000, v10
	v_cmp_ne_u32_e64 s[2:3], s5, v11
                                        ; implicit-def: $agpr29
	s_and_saveexec_b64 s[12:13], s[2:3]
	s_xor_b64 s[2:3], exec, s[12:13]
; %bb.421:                              ;   in Loop: Header=BB373_284 Depth=1
	v_bfe_u32 v11, v10, 16, 1
	v_add3_u32 v10, v10, v11, s15
	v_accvgpr_write_b32 a29, v10
                                        ; implicit-def: $vgpr10
; %bb.422:                              ;   in Loop: Header=BB373_284 Depth=1
	s_andn2_saveexec_b64 s[12:13], s[2:3]
; %bb.423:                              ;   in Loop: Header=BB373_284 Depth=1
	v_or_b32_e32 v11, 0x10000, v10
	v_cmp_eq_u32_sdwa s[2:3], v10, v29 src0_sel:WORD_0 src1_sel:DWORD
	s_nop 1
	v_cndmask_b32_e64 v10, v11, v10, s[2:3]
	v_accvgpr_write_b32 a29, v10
; %bb.424:                              ;   in Loop: Header=BB373_284 Depth=1
	s_or_b64 exec, exec, s[12:13]
	v_lshlrev_b32_e32 v8, 16, v8
	v_mul_f32_e32 v8, v42, v8
	v_and_b32_e32 v10, 0x7f800000, v8
	v_cmp_ne_u32_e64 s[2:3], s5, v10
                                        ; implicit-def: $agpr30
	s_and_saveexec_b64 s[12:13], s[2:3]
	s_xor_b64 s[2:3], exec, s[12:13]
; %bb.425:                              ;   in Loop: Header=BB373_284 Depth=1
	v_bfe_u32 v10, v8, 16, 1
	v_add3_u32 v8, v8, v10, s15
	v_accvgpr_write_b32 a30, v8
                                        ; implicit-def: $vgpr8
; %bb.426:                              ;   in Loop: Header=BB373_284 Depth=1
	s_andn2_saveexec_b64 s[12:13], s[2:3]
; %bb.427:                              ;   in Loop: Header=BB373_284 Depth=1
	v_or_b32_e32 v10, 0x10000, v8
	v_cmp_eq_u32_sdwa s[2:3], v8, v29 src0_sel:WORD_0 src1_sel:DWORD
	s_nop 1
	v_cndmask_b32_e64 v8, v10, v8, s[2:3]
	v_accvgpr_write_b32 a30, v8
; %bb.428:                              ;   in Loop: Header=BB373_284 Depth=1
	s_or_b64 exec, exec, s[12:13]
	v_lshlrev_b32_e32 v8, 16, v9
	v_mul_f32_e32 v8, v43, v8
	v_and_b32_e32 v9, 0x7f800000, v8
	v_cmp_ne_u32_e64 s[2:3], s5, v9
                                        ; implicit-def: $agpr31
	s_and_saveexec_b64 s[12:13], s[2:3]
	s_xor_b64 s[2:3], exec, s[12:13]
; %bb.429:                              ;   in Loop: Header=BB373_284 Depth=1
	v_bfe_u32 v9, v8, 16, 1
	v_add3_u32 v8, v8, v9, s15
	v_accvgpr_write_b32 a31, v8
                                        ; implicit-def: $vgpr8
; %bb.430:                              ;   in Loop: Header=BB373_284 Depth=1
	s_andn2_saveexec_b64 s[12:13], s[2:3]
; %bb.431:                              ;   in Loop: Header=BB373_284 Depth=1
	v_or_b32_e32 v9, 0x10000, v8
	v_cmp_eq_u32_sdwa s[2:3], v8, v29 src0_sel:WORD_0 src1_sel:DWORD
	s_nop 1
	v_cndmask_b32_e64 v8, v9, v8, s[2:3]
	v_accvgpr_write_b32 a31, v8
; %bb.432:                              ;   in Loop: Header=BB373_284 Depth=1
	s_or_b64 exec, exec, s[12:13]
	v_lshlrev_b32_e32 v7, 16, v7
	v_mul_f32_e32 v7, v44, v7
	v_and_b32_e32 v8, 0x7f800000, v7
	v_cmp_ne_u32_e64 s[2:3], s5, v8
                                        ; implicit-def: $agpr32
	s_and_saveexec_b64 s[12:13], s[2:3]
	s_xor_b64 s[2:3], exec, s[12:13]
; %bb.433:                              ;   in Loop: Header=BB373_284 Depth=1
	v_bfe_u32 v8, v7, 16, 1
	v_add3_u32 v7, v7, v8, s15
	v_accvgpr_write_b32 a32, v7
                                        ; implicit-def: $vgpr7
; %bb.434:                              ;   in Loop: Header=BB373_284 Depth=1
	s_andn2_saveexec_b64 s[12:13], s[2:3]
; %bb.435:                              ;   in Loop: Header=BB373_284 Depth=1
	v_or_b32_e32 v8, 0x10000, v7
	v_cmp_eq_u32_sdwa s[2:3], v7, v29 src0_sel:WORD_0 src1_sel:DWORD
	s_nop 1
	v_cndmask_b32_e64 v7, v8, v7, s[2:3]
	v_accvgpr_write_b32 a32, v7
; %bb.436:                              ;   in Loop: Header=BB373_284 Depth=1
	s_or_b64 exec, exec, s[12:13]
	v_lshlrev_b32_e32 v6, 16, v6
	v_mul_f32_e32 v6, v45, v6
	v_and_b32_e32 v7, 0x7f800000, v6
	v_cmp_ne_u32_e64 s[2:3], s5, v7
                                        ; implicit-def: $agpr33
	s_and_saveexec_b64 s[12:13], s[2:3]
	s_xor_b64 s[2:3], exec, s[12:13]
; %bb.437:                              ;   in Loop: Header=BB373_284 Depth=1
	v_bfe_u32 v7, v6, 16, 1
	v_add3_u32 v6, v6, v7, s15
	v_accvgpr_write_b32 a33, v6
                                        ; implicit-def: $vgpr6
; %bb.438:                              ;   in Loop: Header=BB373_284 Depth=1
	s_andn2_saveexec_b64 s[12:13], s[2:3]
; %bb.439:                              ;   in Loop: Header=BB373_284 Depth=1
	v_or_b32_e32 v7, 0x10000, v6
	v_cmp_eq_u32_sdwa s[2:3], v6, v29 src0_sel:WORD_0 src1_sel:DWORD
	s_nop 1
	v_cndmask_b32_e64 v6, v7, v6, s[2:3]
	v_accvgpr_write_b32 a33, v6
; %bb.440:                              ;   in Loop: Header=BB373_284 Depth=1
	s_or_b64 exec, exec, s[12:13]
	v_lshlrev_b32_e32 v5, 16, v5
	v_mul_f32_e32 v5, v46, v5
	v_and_b32_e32 v6, 0x7f800000, v5
	v_cmp_ne_u32_e64 s[2:3], s5, v6
                                        ; implicit-def: $agpr34
	s_and_saveexec_b64 s[12:13], s[2:3]
	s_xor_b64 s[2:3], exec, s[12:13]
; %bb.441:                              ;   in Loop: Header=BB373_284 Depth=1
	v_bfe_u32 v6, v5, 16, 1
	v_add3_u32 v5, v5, v6, s15
	v_accvgpr_write_b32 a34, v5
                                        ; implicit-def: $vgpr5
; %bb.442:                              ;   in Loop: Header=BB373_284 Depth=1
	s_andn2_saveexec_b64 s[12:13], s[2:3]
; %bb.443:                              ;   in Loop: Header=BB373_284 Depth=1
	v_or_b32_e32 v6, 0x10000, v5
	v_cmp_eq_u32_sdwa s[2:3], v5, v29 src0_sel:WORD_0 src1_sel:DWORD
	s_nop 1
	v_cndmask_b32_e64 v5, v6, v5, s[2:3]
	v_accvgpr_write_b32 a34, v5
; %bb.444:                              ;   in Loop: Header=BB373_284 Depth=1
	s_or_b64 exec, exec, s[12:13]
	v_lshlrev_b32_e32 v4, 16, v4
	v_mul_f32_e32 v4, v47, v4
	v_and_b32_e32 v5, 0x7f800000, v4
	v_cmp_ne_u32_e64 s[2:3], s5, v5
                                        ; implicit-def: $agpr35
	s_and_saveexec_b64 s[12:13], s[2:3]
	s_xor_b64 s[2:3], exec, s[12:13]
; %bb.445:                              ;   in Loop: Header=BB373_284 Depth=1
	v_bfe_u32 v5, v4, 16, 1
	v_add3_u32 v4, v4, v5, s15
	v_accvgpr_write_b32 a35, v4
                                        ; implicit-def: $vgpr4
; %bb.446:                              ;   in Loop: Header=BB373_284 Depth=1
	s_andn2_saveexec_b64 s[12:13], s[2:3]
; %bb.447:                              ;   in Loop: Header=BB373_284 Depth=1
	v_or_b32_e32 v5, 0x10000, v4
	v_cmp_eq_u32_sdwa s[2:3], v4, v29 src0_sel:WORD_0 src1_sel:DWORD
	s_nop 1
	v_cndmask_b32_e64 v4, v5, v4, s[2:3]
	v_accvgpr_write_b32 a35, v4
; %bb.448:                              ;   in Loop: Header=BB373_284 Depth=1
	s_or_b64 exec, exec, s[12:13]
	flat_load_dwordx2 v[6:7], v[2:3] offset:1024
	s_waitcnt vmcnt(0) lgkmcnt(0)
	v_and_b32_e32 v4, 0xff, v6
	v_cvt_f32_fp8_sdwa v4, v4 src0_sel:BYTE_0
	s_nop 0
	v_mul_f32_e32 v5, v38, v4
	v_and_b32_e32 v4, 0x7f800000, v5
	v_cmp_ne_u32_e64 s[2:3], s5, v4
                                        ; implicit-def: $vgpr4
	s_and_saveexec_b64 s[12:13], s[2:3]
	s_xor_b64 s[2:3], exec, s[12:13]
; %bb.449:                              ;   in Loop: Header=BB373_284 Depth=1
	v_bfe_u32 v4, v5, 16, 1
	v_add3_u32 v4, v5, v4, s15
                                        ; implicit-def: $vgpr5
; %bb.450:                              ;   in Loop: Header=BB373_284 Depth=1
	s_andn2_saveexec_b64 s[12:13], s[2:3]
; %bb.451:                              ;   in Loop: Header=BB373_284 Depth=1
	v_or_b32_e32 v4, 0x10000, v5
	v_cmp_eq_u32_sdwa s[2:3], v5, v29 src0_sel:WORD_0 src1_sel:DWORD
	s_nop 1
	v_cndmask_b32_e64 v4, v4, v5, s[2:3]
; %bb.452:                              ;   in Loop: Header=BB373_284 Depth=1
	s_or_b64 exec, exec, s[12:13]
	v_bfe_u32 v5, v6, 8, 8
	v_cvt_f32_fp8_sdwa v5, v5 src0_sel:BYTE_0
	s_nop 0
	v_mul_f32_e32 v8, v38, v5
	v_and_b32_e32 v5, 0x7f800000, v8
	v_cmp_ne_u32_e64 s[2:3], s5, v5
                                        ; implicit-def: $vgpr5
	s_and_saveexec_b64 s[12:13], s[2:3]
	s_xor_b64 s[2:3], exec, s[12:13]
; %bb.453:                              ;   in Loop: Header=BB373_284 Depth=1
	v_bfe_u32 v5, v8, 16, 1
	v_add3_u32 v5, v8, v5, s15
                                        ; implicit-def: $vgpr8
; %bb.454:                              ;   in Loop: Header=BB373_284 Depth=1
	s_andn2_saveexec_b64 s[12:13], s[2:3]
; %bb.455:                              ;   in Loop: Header=BB373_284 Depth=1
	v_or_b32_e32 v5, 0x10000, v8
	v_cmp_eq_u32_sdwa s[2:3], v8, v29 src0_sel:WORD_0 src1_sel:DWORD
	s_nop 1
	v_cndmask_b32_e64 v5, v5, v8, s[2:3]
; %bb.456:                              ;   in Loop: Header=BB373_284 Depth=1
	s_or_b64 exec, exec, s[12:13]
	v_bfe_u32 v8, v6, 16, 8
	v_cvt_f32_fp8_sdwa v8, v8 src0_sel:BYTE_0
	s_nop 0
	v_mul_f32_e32 v8, v38, v8
	v_and_b32_e32 v9, 0x7f800000, v8
	v_cmp_ne_u32_e64 s[2:3], s5, v9
                                        ; implicit-def: $vgpr9
	s_and_saveexec_b64 s[12:13], s[2:3]
	s_xor_b64 s[2:3], exec, s[12:13]
; %bb.457:                              ;   in Loop: Header=BB373_284 Depth=1
	v_bfe_u32 v9, v8, 16, 1
	v_add3_u32 v9, v8, v9, s15
                                        ; implicit-def: $vgpr8
; %bb.458:                              ;   in Loop: Header=BB373_284 Depth=1
	s_andn2_saveexec_b64 s[12:13], s[2:3]
; %bb.459:                              ;   in Loop: Header=BB373_284 Depth=1
	v_or_b32_e32 v9, 0x10000, v8
	v_cmp_eq_u32_sdwa s[2:3], v8, v29 src0_sel:WORD_0 src1_sel:DWORD
	s_nop 1
	v_cndmask_b32_e64 v9, v9, v8, s[2:3]
; %bb.460:                              ;   in Loop: Header=BB373_284 Depth=1
	s_or_b64 exec, exec, s[12:13]
	v_lshrrev_b32_e32 v6, 24, v6
	v_cvt_f32_fp8_sdwa v6, v6 src0_sel:BYTE_0
	s_nop 0
	v_mul_f32_e32 v8, v38, v6
	v_and_b32_e32 v6, 0x7f800000, v8
	v_cmp_ne_u32_e64 s[2:3], s5, v6
                                        ; implicit-def: $vgpr6
	s_and_saveexec_b64 s[12:13], s[2:3]
	s_xor_b64 s[2:3], exec, s[12:13]
; %bb.461:                              ;   in Loop: Header=BB373_284 Depth=1
	v_bfe_u32 v6, v8, 16, 1
	v_add3_u32 v6, v8, v6, s15
                                        ; implicit-def: $vgpr8
; %bb.462:                              ;   in Loop: Header=BB373_284 Depth=1
	s_andn2_saveexec_b64 s[12:13], s[2:3]
; %bb.463:                              ;   in Loop: Header=BB373_284 Depth=1
	v_or_b32_e32 v6, 0x10000, v8
	v_cmp_eq_u32_sdwa s[2:3], v8, v29 src0_sel:WORD_0 src1_sel:DWORD
	s_nop 1
	v_cndmask_b32_e64 v6, v6, v8, s[2:3]
; %bb.464:                              ;   in Loop: Header=BB373_284 Depth=1
	s_or_b64 exec, exec, s[12:13]
	v_and_b32_e32 v8, 0xff, v7
	v_cvt_f32_fp8_sdwa v8, v8 src0_sel:BYTE_0
	s_nop 0
	v_mul_f32_e32 v8, v38, v8
	v_and_b32_e32 v10, 0x7f800000, v8
	v_cmp_ne_u32_e64 s[2:3], s5, v10
                                        ; implicit-def: $vgpr10
	s_and_saveexec_b64 s[12:13], s[2:3]
	s_xor_b64 s[2:3], exec, s[12:13]
; %bb.465:                              ;   in Loop: Header=BB373_284 Depth=1
	v_bfe_u32 v10, v8, 16, 1
	v_add3_u32 v10, v8, v10, s15
                                        ; implicit-def: $vgpr8
; %bb.466:                              ;   in Loop: Header=BB373_284 Depth=1
	s_andn2_saveexec_b64 s[12:13], s[2:3]
; %bb.467:                              ;   in Loop: Header=BB373_284 Depth=1
	v_or_b32_e32 v10, 0x10000, v8
	v_cmp_eq_u32_sdwa s[2:3], v8, v29 src0_sel:WORD_0 src1_sel:DWORD
	s_nop 1
	v_cndmask_b32_e64 v10, v10, v8, s[2:3]
; %bb.468:                              ;   in Loop: Header=BB373_284 Depth=1
	s_or_b64 exec, exec, s[12:13]
	v_bfe_u32 v8, v7, 8, 8
	v_cvt_f32_fp8_sdwa v8, v8 src0_sel:BYTE_0
	s_nop 0
	v_mul_f32_e32 v11, v38, v8
	v_and_b32_e32 v8, 0x7f800000, v11
	v_cmp_ne_u32_e64 s[2:3], s5, v8
                                        ; implicit-def: $vgpr8
	s_and_saveexec_b64 s[12:13], s[2:3]
	s_xor_b64 s[2:3], exec, s[12:13]
; %bb.469:                              ;   in Loop: Header=BB373_284 Depth=1
	v_bfe_u32 v8, v11, 16, 1
	v_add3_u32 v8, v11, v8, s15
                                        ; implicit-def: $vgpr11
; %bb.470:                              ;   in Loop: Header=BB373_284 Depth=1
	s_andn2_saveexec_b64 s[12:13], s[2:3]
; %bb.471:                              ;   in Loop: Header=BB373_284 Depth=1
	v_or_b32_e32 v8, 0x10000, v11
	v_cmp_eq_u32_sdwa s[2:3], v11, v29 src0_sel:WORD_0 src1_sel:DWORD
	s_nop 1
	v_cndmask_b32_e64 v8, v8, v11, s[2:3]
; %bb.472:                              ;   in Loop: Header=BB373_284 Depth=1
	s_or_b64 exec, exec, s[12:13]
	v_bfe_u32 v11, v7, 16, 8
	v_cvt_f32_fp8_sdwa v11, v11 src0_sel:BYTE_0
                                        ; implicit-def: $vgpr16
	s_nop 0
	v_mul_f32_e32 v11, v38, v11
	v_and_b32_e32 v12, 0x7f800000, v11
	v_cmp_ne_u32_e64 s[2:3], s5, v12
	s_and_saveexec_b64 s[12:13], s[2:3]
	s_xor_b64 s[2:3], exec, s[12:13]
; %bb.473:                              ;   in Loop: Header=BB373_284 Depth=1
	v_bfe_u32 v12, v11, 16, 1
	v_add3_u32 v16, v11, v12, s15
                                        ; implicit-def: $vgpr11
; %bb.474:                              ;   in Loop: Header=BB373_284 Depth=1
	s_andn2_saveexec_b64 s[12:13], s[2:3]
; %bb.475:                              ;   in Loop: Header=BB373_284 Depth=1
	v_or_b32_e32 v12, 0x10000, v11
	v_cmp_eq_u32_sdwa s[2:3], v11, v29 src0_sel:WORD_0 src1_sel:DWORD
	s_nop 1
	v_cndmask_b32_e64 v16, v12, v11, s[2:3]
; %bb.476:                              ;   in Loop: Header=BB373_284 Depth=1
	s_or_b64 exec, exec, s[12:13]
	v_lshrrev_b32_e32 v7, 24, v7
	v_cvt_f32_fp8_sdwa v7, v7 src0_sel:BYTE_0
                                        ; implicit-def: $vgpr12
	s_nop 0
	v_mul_f32_e32 v7, v38, v7
	v_and_b32_e32 v11, 0x7f800000, v7
	v_cmp_ne_u32_e64 s[2:3], s5, v11
	s_and_saveexec_b64 s[12:13], s[2:3]
	s_xor_b64 s[2:3], exec, s[12:13]
; %bb.477:                              ;   in Loop: Header=BB373_284 Depth=1
	v_bfe_u32 v11, v7, 16, 1
	v_add3_u32 v12, v7, v11, s15
                                        ; implicit-def: $vgpr7
; %bb.478:                              ;   in Loop: Header=BB373_284 Depth=1
	s_andn2_saveexec_b64 s[12:13], s[2:3]
; %bb.479:                              ;   in Loop: Header=BB373_284 Depth=1
	v_or_b32_e32 v11, 0x10000, v7
	v_cmp_eq_u32_sdwa s[2:3], v7, v29 src0_sel:WORD_0 src1_sel:DWORD
	s_nop 1
	v_cndmask_b32_e64 v12, v11, v7, s[2:3]
; %bb.480:                              ;   in Loop: Header=BB373_284 Depth=1
	s_or_b64 exec, exec, s[12:13]
	v_lshrrev_b32_e32 v8, 16, v8
	v_lshrrev_b32_e32 v10, 16, v10
	;; [unrolled: 1-line block ×8, first 2 shown]
	s_and_saveexec_b64 s[12:13], s[0:1]
	s_cbranch_execz .LBB373_482
; %bb.481:                              ;   in Loop: Header=BB373_284 Depth=1
	v_accvgpr_read_b32 v12, a27
	v_cmp_lt_i32_e64 s[2:3], v12, v35
	v_add_u32_e32 v12, -6, v17
	s_nop 0
	v_cndmask_b32_e64 v4, 0, v4, s[2:3]
	v_cmp_lt_i32_e64 s[2:3], v12, v35
	v_add_u32_e32 v12, -5, v17
	s_nop 0
	v_cndmask_b32_e64 v5, 0, v5, s[2:3]
	;; [unrolled: 4-line block ×6, first 2 shown]
	v_cmp_lt_i32_e64 s[2:3], v12, v35
	s_nop 1
	v_cndmask_b32_e64 v7, 0, v7, s[2:3]
	v_cmp_lt_i32_e64 s[2:3], v17, v35
	s_nop 1
	v_cndmask_b32_e64 v6, 0, v6, s[2:3]
.LBB373_482:                            ;   in Loop: Header=BB373_284 Depth=1
	s_or_b64 exec, exec, s[12:13]
	v_lshlrev_b32_e32 v4, 16, v4
	v_mul_f32_e32 v4, v40, v4
	v_and_b32_e32 v12, 0x7f800000, v4
	v_cmp_ne_u32_e64 s[2:3], s5, v12
                                        ; implicit-def: $agpr36
	s_and_saveexec_b64 s[12:13], s[2:3]
	s_xor_b64 s[2:3], exec, s[12:13]
; %bb.483:                              ;   in Loop: Header=BB373_284 Depth=1
	v_bfe_u32 v12, v4, 16, 1
	v_add3_u32 v4, v4, v12, s15
	v_accvgpr_write_b32 a36, v4
                                        ; implicit-def: $vgpr4
; %bb.484:                              ;   in Loop: Header=BB373_284 Depth=1
	s_andn2_saveexec_b64 s[12:13], s[2:3]
; %bb.485:                              ;   in Loop: Header=BB373_284 Depth=1
	v_or_b32_e32 v12, 0x10000, v4
	v_cmp_eq_u32_sdwa s[2:3], v4, v29 src0_sel:WORD_0 src1_sel:DWORD
	s_nop 1
	v_cndmask_b32_e64 v4, v12, v4, s[2:3]
	v_accvgpr_write_b32 a36, v4
; %bb.486:                              ;   in Loop: Header=BB373_284 Depth=1
	s_or_b64 exec, exec, s[12:13]
	v_lshlrev_b32_e32 v4, 16, v5
	v_mul_f32_e32 v4, v41, v4
	v_and_b32_e32 v5, 0x7f800000, v4
	v_cmp_ne_u32_e64 s[2:3], s5, v5
                                        ; implicit-def: $agpr37
	s_and_saveexec_b64 s[12:13], s[2:3]
	s_xor_b64 s[2:3], exec, s[12:13]
; %bb.487:                              ;   in Loop: Header=BB373_284 Depth=1
	v_bfe_u32 v5, v4, 16, 1
	v_add3_u32 v4, v4, v5, s15
	v_accvgpr_write_b32 a37, v4
                                        ; implicit-def: $vgpr4
; %bb.488:                              ;   in Loop: Header=BB373_284 Depth=1
	s_andn2_saveexec_b64 s[12:13], s[2:3]
; %bb.489:                              ;   in Loop: Header=BB373_284 Depth=1
	v_or_b32_e32 v5, 0x10000, v4
	v_cmp_eq_u32_sdwa s[2:3], v4, v29 src0_sel:WORD_0 src1_sel:DWORD
	s_nop 1
	v_cndmask_b32_e64 v4, v5, v4, s[2:3]
	v_accvgpr_write_b32 a37, v4
; %bb.490:                              ;   in Loop: Header=BB373_284 Depth=1
	s_or_b64 exec, exec, s[12:13]
	v_lshlrev_b32_e32 v4, 16, v9
	v_mul_f32_e32 v4, v42, v4
	v_and_b32_e32 v5, 0x7f800000, v4
	v_cmp_ne_u32_e64 s[2:3], s5, v5
                                        ; implicit-def: $agpr38
	s_and_saveexec_b64 s[12:13], s[2:3]
	s_xor_b64 s[2:3], exec, s[12:13]
; %bb.491:                              ;   in Loop: Header=BB373_284 Depth=1
	v_bfe_u32 v5, v4, 16, 1
	v_add3_u32 v4, v4, v5, s15
	v_accvgpr_write_b32 a38, v4
                                        ; implicit-def: $vgpr4
; %bb.492:                              ;   in Loop: Header=BB373_284 Depth=1
	s_andn2_saveexec_b64 s[12:13], s[2:3]
; %bb.493:                              ;   in Loop: Header=BB373_284 Depth=1
	v_or_b32_e32 v5, 0x10000, v4
	v_cmp_eq_u32_sdwa s[2:3], v4, v29 src0_sel:WORD_0 src1_sel:DWORD
	s_nop 1
	v_cndmask_b32_e64 v4, v5, v4, s[2:3]
	v_accvgpr_write_b32 a38, v4
; %bb.494:                              ;   in Loop: Header=BB373_284 Depth=1
	s_or_b64 exec, exec, s[12:13]
	v_lshlrev_b32_e32 v4, 16, v11
	v_mul_f32_e32 v4, v43, v4
	v_and_b32_e32 v5, 0x7f800000, v4
	v_cmp_ne_u32_e64 s[2:3], s5, v5
                                        ; implicit-def: $agpr39
	s_and_saveexec_b64 s[12:13], s[2:3]
	s_xor_b64 s[2:3], exec, s[12:13]
; %bb.495:                              ;   in Loop: Header=BB373_284 Depth=1
	v_bfe_u32 v5, v4, 16, 1
	v_add3_u32 v4, v4, v5, s15
	v_accvgpr_write_b32 a39, v4
                                        ; implicit-def: $vgpr4
; %bb.496:                              ;   in Loop: Header=BB373_284 Depth=1
	s_andn2_saveexec_b64 s[12:13], s[2:3]
; %bb.497:                              ;   in Loop: Header=BB373_284 Depth=1
	v_or_b32_e32 v5, 0x10000, v4
	v_cmp_eq_u32_sdwa s[2:3], v4, v29 src0_sel:WORD_0 src1_sel:DWORD
	s_nop 1
	v_cndmask_b32_e64 v4, v5, v4, s[2:3]
	v_accvgpr_write_b32 a39, v4
; %bb.498:                              ;   in Loop: Header=BB373_284 Depth=1
	s_or_b64 exec, exec, s[12:13]
	v_lshlrev_b32_e32 v4, 16, v10
	v_mul_f32_e32 v4, v44, v4
	v_and_b32_e32 v5, 0x7f800000, v4
	v_cmp_ne_u32_e64 s[2:3], s5, v5
                                        ; implicit-def: $agpr40
	s_and_saveexec_b64 s[12:13], s[2:3]
	s_xor_b64 s[2:3], exec, s[12:13]
; %bb.499:                              ;   in Loop: Header=BB373_284 Depth=1
	v_bfe_u32 v5, v4, 16, 1
	v_add3_u32 v4, v4, v5, s15
	v_accvgpr_write_b32 a40, v4
                                        ; implicit-def: $vgpr4
; %bb.500:                              ;   in Loop: Header=BB373_284 Depth=1
	s_andn2_saveexec_b64 s[12:13], s[2:3]
; %bb.501:                              ;   in Loop: Header=BB373_284 Depth=1
	v_or_b32_e32 v5, 0x10000, v4
	v_cmp_eq_u32_sdwa s[2:3], v4, v29 src0_sel:WORD_0 src1_sel:DWORD
	s_nop 1
	v_cndmask_b32_e64 v4, v5, v4, s[2:3]
	v_accvgpr_write_b32 a40, v4
; %bb.502:                              ;   in Loop: Header=BB373_284 Depth=1
	s_or_b64 exec, exec, s[12:13]
	v_lshlrev_b32_e32 v4, 16, v8
	v_mul_f32_e32 v4, v45, v4
	v_and_b32_e32 v5, 0x7f800000, v4
	v_cmp_ne_u32_e64 s[2:3], s5, v5
                                        ; implicit-def: $agpr41
	s_and_saveexec_b64 s[12:13], s[2:3]
	s_xor_b64 s[2:3], exec, s[12:13]
; %bb.503:                              ;   in Loop: Header=BB373_284 Depth=1
	v_bfe_u32 v5, v4, 16, 1
	v_add3_u32 v4, v4, v5, s15
	v_accvgpr_write_b32 a41, v4
                                        ; implicit-def: $vgpr4
; %bb.504:                              ;   in Loop: Header=BB373_284 Depth=1
	s_andn2_saveexec_b64 s[12:13], s[2:3]
; %bb.505:                              ;   in Loop: Header=BB373_284 Depth=1
	v_or_b32_e32 v5, 0x10000, v4
	v_cmp_eq_u32_sdwa s[2:3], v4, v29 src0_sel:WORD_0 src1_sel:DWORD
	s_nop 1
	v_cndmask_b32_e64 v4, v5, v4, s[2:3]
	v_accvgpr_write_b32 a41, v4
; %bb.506:                              ;   in Loop: Header=BB373_284 Depth=1
	s_or_b64 exec, exec, s[12:13]
	v_lshlrev_b32_e32 v4, 16, v7
	v_mul_f32_e32 v4, v46, v4
	v_and_b32_e32 v5, 0x7f800000, v4
	v_cmp_ne_u32_e64 s[2:3], s5, v5
                                        ; implicit-def: $agpr42
	s_and_saveexec_b64 s[12:13], s[2:3]
	s_xor_b64 s[2:3], exec, s[12:13]
; %bb.507:                              ;   in Loop: Header=BB373_284 Depth=1
	v_bfe_u32 v5, v4, 16, 1
	v_add3_u32 v4, v4, v5, s15
	v_accvgpr_write_b32 a42, v4
                                        ; implicit-def: $vgpr4
; %bb.508:                              ;   in Loop: Header=BB373_284 Depth=1
	s_andn2_saveexec_b64 s[12:13], s[2:3]
; %bb.509:                              ;   in Loop: Header=BB373_284 Depth=1
	v_or_b32_e32 v5, 0x10000, v4
	v_cmp_eq_u32_sdwa s[2:3], v4, v29 src0_sel:WORD_0 src1_sel:DWORD
	s_nop 1
	v_cndmask_b32_e64 v4, v5, v4, s[2:3]
	v_accvgpr_write_b32 a42, v4
; %bb.510:                              ;   in Loop: Header=BB373_284 Depth=1
	s_or_b64 exec, exec, s[12:13]
	v_lshlrev_b32_e32 v4, 16, v6
	v_mul_f32_e32 v4, v47, v4
	v_and_b32_e32 v5, 0x7f800000, v4
	v_cmp_ne_u32_e64 s[2:3], s5, v5
                                        ; implicit-def: $agpr43
	s_and_saveexec_b64 s[12:13], s[2:3]
	s_xor_b64 s[2:3], exec, s[12:13]
; %bb.511:                              ;   in Loop: Header=BB373_284 Depth=1
	v_bfe_u32 v5, v4, 16, 1
	v_add3_u32 v4, v4, v5, s15
	v_accvgpr_write_b32 a43, v4
                                        ; implicit-def: $vgpr4
; %bb.512:                              ;   in Loop: Header=BB373_284 Depth=1
	s_andn2_saveexec_b64 s[12:13], s[2:3]
; %bb.513:                              ;   in Loop: Header=BB373_284 Depth=1
	v_or_b32_e32 v5, 0x10000, v4
	v_cmp_eq_u32_sdwa s[2:3], v4, v29 src0_sel:WORD_0 src1_sel:DWORD
	s_nop 1
	v_cndmask_b32_e64 v4, v5, v4, s[2:3]
	v_accvgpr_write_b32 a43, v4
; %bb.514:                              ;   in Loop: Header=BB373_284 Depth=1
	s_or_b64 exec, exec, s[12:13]
	flat_load_dwordx2 v[6:7], v[2:3] offset:1536
                                        ; implicit-def: $vgpr8
	s_waitcnt vmcnt(0) lgkmcnt(0)
	v_and_b32_e32 v4, 0xff, v6
	v_cvt_f32_fp8_sdwa v4, v4 src0_sel:BYTE_0
	s_nop 0
	v_mul_f32_e32 v4, v38, v4
	v_and_b32_e32 v5, 0x7f800000, v4
	v_cmp_ne_u32_e64 s[2:3], s5, v5
	s_and_saveexec_b64 s[12:13], s[2:3]
	s_xor_b64 s[2:3], exec, s[12:13]
; %bb.515:                              ;   in Loop: Header=BB373_284 Depth=1
	v_bfe_u32 v5, v4, 16, 1
	v_add3_u32 v8, v4, v5, s15
                                        ; implicit-def: $vgpr4
; %bb.516:                              ;   in Loop: Header=BB373_284 Depth=1
	s_andn2_saveexec_b64 s[12:13], s[2:3]
; %bb.517:                              ;   in Loop: Header=BB373_284 Depth=1
	v_or_b32_e32 v5, 0x10000, v4
	v_cmp_eq_u32_sdwa s[2:3], v4, v29 src0_sel:WORD_0 src1_sel:DWORD
	s_nop 1
	v_cndmask_b32_e64 v8, v5, v4, s[2:3]
; %bb.518:                              ;   in Loop: Header=BB373_284 Depth=1
	s_or_b64 exec, exec, s[12:13]
	v_bfe_u32 v4, v6, 8, 8
	v_cvt_f32_fp8_sdwa v4, v4 src0_sel:BYTE_0
	s_nop 0
	v_mul_f32_e32 v4, v38, v4
	v_and_b32_e32 v5, 0x7f800000, v4
	v_cmp_ne_u32_e64 s[2:3], s5, v5
                                        ; implicit-def: $vgpr5
	s_and_saveexec_b64 s[12:13], s[2:3]
	s_xor_b64 s[2:3], exec, s[12:13]
; %bb.519:                              ;   in Loop: Header=BB373_284 Depth=1
	v_bfe_u32 v5, v4, 16, 1
	v_add3_u32 v5, v4, v5, s15
                                        ; implicit-def: $vgpr4
; %bb.520:                              ;   in Loop: Header=BB373_284 Depth=1
	s_andn2_saveexec_b64 s[12:13], s[2:3]
; %bb.521:                              ;   in Loop: Header=BB373_284 Depth=1
	v_or_b32_e32 v5, 0x10000, v4
	v_cmp_eq_u32_sdwa s[2:3], v4, v29 src0_sel:WORD_0 src1_sel:DWORD
	s_nop 1
	v_cndmask_b32_e64 v5, v5, v4, s[2:3]
; %bb.522:                              ;   in Loop: Header=BB373_284 Depth=1
	s_or_b64 exec, exec, s[12:13]
	v_bfe_u32 v4, v6, 16, 8
	v_cvt_f32_fp8_sdwa v4, v4 src0_sel:BYTE_0
	s_nop 0
	v_mul_f32_e32 v4, v38, v4
	v_and_b32_e32 v9, 0x7f800000, v4
	v_cmp_ne_u32_e64 s[2:3], s5, v9
                                        ; implicit-def: $vgpr9
	s_and_saveexec_b64 s[12:13], s[2:3]
	s_xor_b64 s[2:3], exec, s[12:13]
; %bb.523:                              ;   in Loop: Header=BB373_284 Depth=1
	v_bfe_u32 v9, v4, 16, 1
	v_add3_u32 v9, v4, v9, s15
                                        ; implicit-def: $vgpr4
; %bb.524:                              ;   in Loop: Header=BB373_284 Depth=1
	s_andn2_saveexec_b64 s[12:13], s[2:3]
; %bb.525:                              ;   in Loop: Header=BB373_284 Depth=1
	v_or_b32_e32 v9, 0x10000, v4
	v_cmp_eq_u32_sdwa s[2:3], v4, v29 src0_sel:WORD_0 src1_sel:DWORD
	s_nop 1
	v_cndmask_b32_e64 v9, v9, v4, s[2:3]
; %bb.526:                              ;   in Loop: Header=BB373_284 Depth=1
	s_or_b64 exec, exec, s[12:13]
	v_lshrrev_b32_e32 v4, 24, v6
	v_cvt_f32_fp8_sdwa v4, v4 src0_sel:BYTE_0
	s_nop 0
	v_mul_f32_e32 v4, v38, v4
	v_and_b32_e32 v6, 0x7f800000, v4
	v_cmp_ne_u32_e64 s[2:3], s5, v6
                                        ; implicit-def: $vgpr6
	s_and_saveexec_b64 s[12:13], s[2:3]
	s_xor_b64 s[2:3], exec, s[12:13]
; %bb.527:                              ;   in Loop: Header=BB373_284 Depth=1
	v_bfe_u32 v6, v4, 16, 1
	v_add3_u32 v6, v4, v6, s15
                                        ; implicit-def: $vgpr4
; %bb.528:                              ;   in Loop: Header=BB373_284 Depth=1
	s_andn2_saveexec_b64 s[12:13], s[2:3]
; %bb.529:                              ;   in Loop: Header=BB373_284 Depth=1
	v_or_b32_e32 v6, 0x10000, v4
	v_cmp_eq_u32_sdwa s[2:3], v4, v29 src0_sel:WORD_0 src1_sel:DWORD
	s_nop 1
	v_cndmask_b32_e64 v6, v6, v4, s[2:3]
; %bb.530:                              ;   in Loop: Header=BB373_284 Depth=1
	s_or_b64 exec, exec, s[12:13]
	v_and_b32_e32 v4, 0xff, v7
	v_cvt_f32_fp8_sdwa v4, v4 src0_sel:BYTE_0
	s_nop 0
	v_mul_f32_e32 v4, v38, v4
	v_and_b32_e32 v10, 0x7f800000, v4
	v_cmp_ne_u32_e64 s[2:3], s5, v10
                                        ; implicit-def: $vgpr10
	s_and_saveexec_b64 s[12:13], s[2:3]
	s_xor_b64 s[2:3], exec, s[12:13]
; %bb.531:                              ;   in Loop: Header=BB373_284 Depth=1
	v_bfe_u32 v10, v4, 16, 1
	v_add3_u32 v10, v4, v10, s15
                                        ; implicit-def: $vgpr4
; %bb.532:                              ;   in Loop: Header=BB373_284 Depth=1
	s_andn2_saveexec_b64 s[12:13], s[2:3]
; %bb.533:                              ;   in Loop: Header=BB373_284 Depth=1
	v_or_b32_e32 v10, 0x10000, v4
	v_cmp_eq_u32_sdwa s[2:3], v4, v29 src0_sel:WORD_0 src1_sel:DWORD
	s_nop 1
	v_cndmask_b32_e64 v10, v10, v4, s[2:3]
; %bb.534:                              ;   in Loop: Header=BB373_284 Depth=1
	s_or_b64 exec, exec, s[12:13]
	v_bfe_u32 v4, v7, 8, 8
	v_cvt_f32_fp8_sdwa v4, v4 src0_sel:BYTE_0
	s_nop 0
	v_mul_f32_e32 v11, v38, v4
	v_and_b32_e32 v4, 0x7f800000, v11
	v_cmp_ne_u32_e64 s[2:3], s5, v4
                                        ; implicit-def: $vgpr4
	s_and_saveexec_b64 s[12:13], s[2:3]
	s_xor_b64 s[2:3], exec, s[12:13]
; %bb.535:                              ;   in Loop: Header=BB373_284 Depth=1
	v_bfe_u32 v4, v11, 16, 1
	v_add3_u32 v4, v11, v4, s15
                                        ; implicit-def: $vgpr11
; %bb.536:                              ;   in Loop: Header=BB373_284 Depth=1
	s_andn2_saveexec_b64 s[12:13], s[2:3]
; %bb.537:                              ;   in Loop: Header=BB373_284 Depth=1
	v_or_b32_e32 v4, 0x10000, v11
	v_cmp_eq_u32_sdwa s[2:3], v11, v29 src0_sel:WORD_0 src1_sel:DWORD
	s_nop 1
	v_cndmask_b32_e64 v4, v4, v11, s[2:3]
; %bb.538:                              ;   in Loop: Header=BB373_284 Depth=1
	s_or_b64 exec, exec, s[12:13]
	v_bfe_u32 v11, v7, 16, 8
	v_cvt_f32_fp8_sdwa v11, v11 src0_sel:BYTE_0
                                        ; implicit-def: $vgpr16
	s_nop 0
	v_mul_f32_e32 v11, v38, v11
	v_and_b32_e32 v12, 0x7f800000, v11
	v_cmp_ne_u32_e64 s[2:3], s5, v12
	s_and_saveexec_b64 s[12:13], s[2:3]
	s_xor_b64 s[2:3], exec, s[12:13]
; %bb.539:                              ;   in Loop: Header=BB373_284 Depth=1
	v_bfe_u32 v12, v11, 16, 1
	v_add3_u32 v16, v11, v12, s15
                                        ; implicit-def: $vgpr11
; %bb.540:                              ;   in Loop: Header=BB373_284 Depth=1
	s_andn2_saveexec_b64 s[12:13], s[2:3]
; %bb.541:                              ;   in Loop: Header=BB373_284 Depth=1
	v_or_b32_e32 v12, 0x10000, v11
	v_cmp_eq_u32_sdwa s[2:3], v11, v29 src0_sel:WORD_0 src1_sel:DWORD
	s_nop 1
	v_cndmask_b32_e64 v16, v12, v11, s[2:3]
; %bb.542:                              ;   in Loop: Header=BB373_284 Depth=1
	s_or_b64 exec, exec, s[12:13]
	v_lshrrev_b32_e32 v7, 24, v7
	v_cvt_f32_fp8_sdwa v7, v7 src0_sel:BYTE_0
                                        ; implicit-def: $vgpr12
	s_nop 0
	v_mul_f32_e32 v7, v38, v7
	v_and_b32_e32 v11, 0x7f800000, v7
	v_cmp_ne_u32_e64 s[2:3], s5, v11
	s_and_saveexec_b64 s[12:13], s[2:3]
	s_xor_b64 s[2:3], exec, s[12:13]
; %bb.543:                              ;   in Loop: Header=BB373_284 Depth=1
	v_bfe_u32 v11, v7, 16, 1
	v_add3_u32 v12, v7, v11, s15
                                        ; implicit-def: $vgpr7
; %bb.544:                              ;   in Loop: Header=BB373_284 Depth=1
	s_andn2_saveexec_b64 s[12:13], s[2:3]
; %bb.545:                              ;   in Loop: Header=BB373_284 Depth=1
	v_or_b32_e32 v11, 0x10000, v7
	v_cmp_eq_u32_sdwa s[2:3], v7, v29 src0_sel:WORD_0 src1_sel:DWORD
	s_nop 1
	v_cndmask_b32_e64 v12, v11, v7, s[2:3]
; %bb.546:                              ;   in Loop: Header=BB373_284 Depth=1
	s_or_b64 exec, exec, s[12:13]
	v_lshrrev_b32_e32 v4, 16, v4
	v_lshrrev_b32_e32 v10, 16, v10
	;; [unrolled: 1-line block ×8, first 2 shown]
	s_and_saveexec_b64 s[12:13], s[0:1]
	s_cbranch_execz .LBB373_548
; %bb.547:                              ;   in Loop: Header=BB373_284 Depth=1
	v_accvgpr_read_b32 v12, a27
	v_cmp_lt_i32_e64 s[2:3], v12, v35
	v_add_u32_e32 v12, -6, v17
	s_nop 0
	v_cndmask_b32_e64 v8, 0, v8, s[2:3]
	v_cmp_lt_i32_e64 s[2:3], v12, v35
	v_add_u32_e32 v12, -5, v17
	s_nop 0
	v_cndmask_b32_e64 v5, 0, v5, s[2:3]
	;; [unrolled: 4-line block ×6, first 2 shown]
	v_cmp_lt_i32_e64 s[2:3], v12, v35
	s_nop 1
	v_cndmask_b32_e64 v7, 0, v7, s[2:3]
	v_cmp_lt_i32_e64 s[2:3], v17, v35
	s_nop 1
	v_cndmask_b32_e64 v6, 0, v6, s[2:3]
.LBB373_548:                            ;   in Loop: Header=BB373_284 Depth=1
	s_or_b64 exec, exec, s[12:13]
	v_lshlrev_b32_e32 v8, 16, v8
	v_mul_f32_e32 v8, v40, v8
	v_and_b32_e32 v12, 0x7f800000, v8
	v_cmp_ne_u32_e64 s[2:3], s5, v12
                                        ; implicit-def: $vgpr30
	s_and_saveexec_b64 s[12:13], s[2:3]
	s_xor_b64 s[2:3], exec, s[12:13]
; %bb.549:                              ;   in Loop: Header=BB373_284 Depth=1
	v_bfe_u32 v12, v8, 16, 1
	v_add3_u32 v30, v8, v12, s15
                                        ; implicit-def: $vgpr8
; %bb.550:                              ;   in Loop: Header=BB373_284 Depth=1
	s_andn2_saveexec_b64 s[12:13], s[2:3]
; %bb.551:                              ;   in Loop: Header=BB373_284 Depth=1
	v_or_b32_e32 v12, 0x10000, v8
	v_cmp_eq_u32_sdwa s[2:3], v8, v29 src0_sel:WORD_0 src1_sel:DWORD
	s_nop 1
	v_cndmask_b32_e64 v30, v12, v8, s[2:3]
; %bb.552:                              ;   in Loop: Header=BB373_284 Depth=1
	s_or_b64 exec, exec, s[12:13]
	v_lshlrev_b32_e32 v5, 16, v5
	v_mul_f32_e32 v5, v41, v5
	v_and_b32_e32 v8, 0x7f800000, v5
	v_cmp_ne_u32_e64 s[2:3], s5, v8
                                        ; implicit-def: $vgpr31
	s_and_saveexec_b64 s[12:13], s[2:3]
	s_xor_b64 s[2:3], exec, s[12:13]
; %bb.553:                              ;   in Loop: Header=BB373_284 Depth=1
	v_bfe_u32 v8, v5, 16, 1
	v_add3_u32 v31, v5, v8, s15
                                        ; implicit-def: $vgpr5
; %bb.554:                              ;   in Loop: Header=BB373_284 Depth=1
	s_andn2_saveexec_b64 s[12:13], s[2:3]
; %bb.555:                              ;   in Loop: Header=BB373_284 Depth=1
	v_or_b32_e32 v8, 0x10000, v5
	v_cmp_eq_u32_sdwa s[2:3], v5, v29 src0_sel:WORD_0 src1_sel:DWORD
	s_nop 1
	v_cndmask_b32_e64 v31, v8, v5, s[2:3]
; %bb.556:                              ;   in Loop: Header=BB373_284 Depth=1
	s_or_b64 exec, exec, s[12:13]
	v_lshlrev_b32_e32 v5, 16, v9
	v_mul_f32_e32 v5, v42, v5
	v_and_b32_e32 v8, 0x7f800000, v5
	v_cmp_ne_u32_e64 s[2:3], s5, v8
                                        ; implicit-def: $vgpr26
	s_and_saveexec_b64 s[12:13], s[2:3]
	s_xor_b64 s[2:3], exec, s[12:13]
; %bb.557:                              ;   in Loop: Header=BB373_284 Depth=1
	v_bfe_u32 v8, v5, 16, 1
	v_add3_u32 v26, v5, v8, s15
                                        ; implicit-def: $vgpr5
; %bb.558:                              ;   in Loop: Header=BB373_284 Depth=1
	s_andn2_saveexec_b64 s[12:13], s[2:3]
; %bb.559:                              ;   in Loop: Header=BB373_284 Depth=1
	v_or_b32_e32 v8, 0x10000, v5
	v_cmp_eq_u32_sdwa s[2:3], v5, v29 src0_sel:WORD_0 src1_sel:DWORD
	s_nop 1
	v_cndmask_b32_e64 v26, v8, v5, s[2:3]
; %bb.560:                              ;   in Loop: Header=BB373_284 Depth=1
	s_or_b64 exec, exec, s[12:13]
	v_lshlrev_b32_e32 v5, 16, v11
	v_mul_f32_e32 v5, v43, v5
	v_and_b32_e32 v8, 0x7f800000, v5
	v_cmp_ne_u32_e64 s[2:3], s5, v8
                                        ; implicit-def: $vgpr27
	s_and_saveexec_b64 s[12:13], s[2:3]
	s_xor_b64 s[2:3], exec, s[12:13]
; %bb.561:                              ;   in Loop: Header=BB373_284 Depth=1
	v_bfe_u32 v8, v5, 16, 1
	v_add3_u32 v27, v5, v8, s15
                                        ; implicit-def: $vgpr5
; %bb.562:                              ;   in Loop: Header=BB373_284 Depth=1
	s_andn2_saveexec_b64 s[12:13], s[2:3]
; %bb.563:                              ;   in Loop: Header=BB373_284 Depth=1
	v_or_b32_e32 v8, 0x10000, v5
	v_cmp_eq_u32_sdwa s[2:3], v5, v29 src0_sel:WORD_0 src1_sel:DWORD
	s_nop 1
	v_cndmask_b32_e64 v27, v8, v5, s[2:3]
; %bb.564:                              ;   in Loop: Header=BB373_284 Depth=1
	s_or_b64 exec, exec, s[12:13]
	v_lshlrev_b32_e32 v5, 16, v10
	v_mul_f32_e32 v5, v44, v5
	v_and_b32_e32 v8, 0x7f800000, v5
	v_cmp_ne_u32_e64 s[2:3], s5, v8
                                        ; implicit-def: $vgpr36
	s_and_saveexec_b64 s[12:13], s[2:3]
	s_xor_b64 s[2:3], exec, s[12:13]
; %bb.565:                              ;   in Loop: Header=BB373_284 Depth=1
	v_bfe_u32 v8, v5, 16, 1
	v_add3_u32 v36, v5, v8, s15
                                        ; implicit-def: $vgpr5
; %bb.566:                              ;   in Loop: Header=BB373_284 Depth=1
	s_andn2_saveexec_b64 s[12:13], s[2:3]
; %bb.567:                              ;   in Loop: Header=BB373_284 Depth=1
	v_or_b32_e32 v8, 0x10000, v5
	v_cmp_eq_u32_sdwa s[2:3], v5, v29 src0_sel:WORD_0 src1_sel:DWORD
	s_nop 1
	v_cndmask_b32_e64 v36, v8, v5, s[2:3]
; %bb.568:                              ;   in Loop: Header=BB373_284 Depth=1
	s_or_b64 exec, exec, s[12:13]
	v_lshlrev_b32_e32 v4, 16, v4
	v_mul_f32_e32 v4, v45, v4
	v_and_b32_e32 v5, 0x7f800000, v4
	v_cmp_ne_u32_e64 s[2:3], s5, v5
                                        ; implicit-def: $vgpr10
	s_and_saveexec_b64 s[12:13], s[2:3]
	s_xor_b64 s[2:3], exec, s[12:13]
; %bb.569:                              ;   in Loop: Header=BB373_284 Depth=1
	v_bfe_u32 v5, v4, 16, 1
	v_add3_u32 v10, v4, v5, s15
                                        ; implicit-def: $vgpr4
; %bb.570:                              ;   in Loop: Header=BB373_284 Depth=1
	s_andn2_saveexec_b64 s[12:13], s[2:3]
; %bb.571:                              ;   in Loop: Header=BB373_284 Depth=1
	v_or_b32_e32 v5, 0x10000, v4
	v_cmp_eq_u32_sdwa s[2:3], v4, v29 src0_sel:WORD_0 src1_sel:DWORD
	s_nop 1
	v_cndmask_b32_e64 v10, v5, v4, s[2:3]
; %bb.572:                              ;   in Loop: Header=BB373_284 Depth=1
	s_or_b64 exec, exec, s[12:13]
	v_lshlrev_b32_e32 v4, 16, v7
	v_mul_f32_e32 v4, v46, v4
	v_and_b32_e32 v5, 0x7f800000, v4
	v_cmp_ne_u32_e64 s[2:3], s5, v5
                                        ; implicit-def: $vgpr11
	s_and_saveexec_b64 s[12:13], s[2:3]
	s_xor_b64 s[2:3], exec, s[12:13]
; %bb.573:                              ;   in Loop: Header=BB373_284 Depth=1
	v_bfe_u32 v5, v4, 16, 1
	v_add3_u32 v11, v4, v5, s15
                                        ; implicit-def: $vgpr4
; %bb.574:                              ;   in Loop: Header=BB373_284 Depth=1
	s_andn2_saveexec_b64 s[12:13], s[2:3]
; %bb.575:                              ;   in Loop: Header=BB373_284 Depth=1
	v_or_b32_e32 v5, 0x10000, v4
	v_cmp_eq_u32_sdwa s[2:3], v4, v29 src0_sel:WORD_0 src1_sel:DWORD
	s_nop 1
	v_cndmask_b32_e64 v11, v5, v4, s[2:3]
; %bb.576:                              ;   in Loop: Header=BB373_284 Depth=1
	s_or_b64 exec, exec, s[12:13]
	v_lshlrev_b32_e32 v4, 16, v6
	v_mul_f32_e32 v4, v47, v4
	v_and_b32_e32 v5, 0x7f800000, v4
	v_cmp_ne_u32_e64 s[2:3], s5, v5
                                        ; implicit-def: $vgpr8
	s_and_saveexec_b64 s[12:13], s[2:3]
	s_xor_b64 s[2:3], exec, s[12:13]
; %bb.577:                              ;   in Loop: Header=BB373_284 Depth=1
	v_bfe_u32 v5, v4, 16, 1
	v_add3_u32 v8, v4, v5, s15
                                        ; implicit-def: $vgpr4
; %bb.578:                              ;   in Loop: Header=BB373_284 Depth=1
	s_andn2_saveexec_b64 s[12:13], s[2:3]
; %bb.579:                              ;   in Loop: Header=BB373_284 Depth=1
	v_or_b32_e32 v5, 0x10000, v4
	v_cmp_eq_u32_sdwa s[2:3], v4, v29 src0_sel:WORD_0 src1_sel:DWORD
	s_nop 1
	v_cndmask_b32_e64 v8, v5, v4, s[2:3]
; %bb.580:                              ;   in Loop: Header=BB373_284 Depth=1
	s_or_b64 exec, exec, s[12:13]
	flat_load_dwordx2 v[6:7], v[2:3] offset:2048
                                        ; implicit-def: $vgpr9
	s_waitcnt vmcnt(0) lgkmcnt(0)
	v_and_b32_e32 v4, 0xff, v6
	v_cvt_f32_fp8_sdwa v4, v4 src0_sel:BYTE_0
	s_nop 0
	v_mul_f32_e32 v4, v38, v4
	v_and_b32_e32 v5, 0x7f800000, v4
	v_cmp_ne_u32_e64 s[2:3], s5, v5
	s_and_saveexec_b64 s[12:13], s[2:3]
	s_xor_b64 s[2:3], exec, s[12:13]
; %bb.581:                              ;   in Loop: Header=BB373_284 Depth=1
	v_bfe_u32 v5, v4, 16, 1
	v_add3_u32 v9, v4, v5, s15
                                        ; implicit-def: $vgpr4
; %bb.582:                              ;   in Loop: Header=BB373_284 Depth=1
	s_andn2_saveexec_b64 s[12:13], s[2:3]
; %bb.583:                              ;   in Loop: Header=BB373_284 Depth=1
	v_or_b32_e32 v5, 0x10000, v4
	v_cmp_eq_u32_sdwa s[2:3], v4, v29 src0_sel:WORD_0 src1_sel:DWORD
	s_nop 1
	v_cndmask_b32_e64 v9, v5, v4, s[2:3]
; %bb.584:                              ;   in Loop: Header=BB373_284 Depth=1
	s_or_b64 exec, exec, s[12:13]
	v_bfe_u32 v4, v6, 8, 8
	v_cvt_f32_fp8_sdwa v4, v4 src0_sel:BYTE_0
	s_nop 0
	v_mul_f32_e32 v4, v38, v4
	v_and_b32_e32 v5, 0x7f800000, v4
	v_cmp_ne_u32_e64 s[2:3], s5, v5
                                        ; implicit-def: $vgpr5
	s_and_saveexec_b64 s[12:13], s[2:3]
	s_xor_b64 s[2:3], exec, s[12:13]
; %bb.585:                              ;   in Loop: Header=BB373_284 Depth=1
	v_bfe_u32 v5, v4, 16, 1
	v_add3_u32 v5, v4, v5, s15
                                        ; implicit-def: $vgpr4
; %bb.586:                              ;   in Loop: Header=BB373_284 Depth=1
	s_andn2_saveexec_b64 s[12:13], s[2:3]
; %bb.587:                              ;   in Loop: Header=BB373_284 Depth=1
	v_or_b32_e32 v5, 0x10000, v4
	v_cmp_eq_u32_sdwa s[2:3], v4, v29 src0_sel:WORD_0 src1_sel:DWORD
	s_nop 1
	v_cndmask_b32_e64 v5, v5, v4, s[2:3]
; %bb.588:                              ;   in Loop: Header=BB373_284 Depth=1
	s_or_b64 exec, exec, s[12:13]
	v_bfe_u32 v4, v6, 16, 8
	v_cvt_f32_fp8_sdwa v4, v4 src0_sel:BYTE_0
                                        ; implicit-def: $vgpr16
	s_nop 0
	v_mul_f32_e32 v4, v38, v4
	v_and_b32_e32 v12, 0x7f800000, v4
	v_cmp_ne_u32_e64 s[2:3], s5, v12
	s_and_saveexec_b64 s[12:13], s[2:3]
	s_xor_b64 s[2:3], exec, s[12:13]
; %bb.589:                              ;   in Loop: Header=BB373_284 Depth=1
	v_bfe_u32 v12, v4, 16, 1
	v_add3_u32 v16, v4, v12, s15
                                        ; implicit-def: $vgpr4
; %bb.590:                              ;   in Loop: Header=BB373_284 Depth=1
	s_andn2_saveexec_b64 s[12:13], s[2:3]
; %bb.591:                              ;   in Loop: Header=BB373_284 Depth=1
	v_or_b32_e32 v12, 0x10000, v4
	v_cmp_eq_u32_sdwa s[2:3], v4, v29 src0_sel:WORD_0 src1_sel:DWORD
	s_nop 1
	v_cndmask_b32_e64 v16, v12, v4, s[2:3]
; %bb.592:                              ;   in Loop: Header=BB373_284 Depth=1
	s_or_b64 exec, exec, s[12:13]
	v_lshrrev_b32_e32 v4, 24, v6
	v_cvt_f32_fp8_sdwa v4, v4 src0_sel:BYTE_0
	s_nop 0
	v_mul_f32_e32 v4, v38, v4
	v_and_b32_e32 v6, 0x7f800000, v4
	v_cmp_ne_u32_e64 s[2:3], s5, v6
                                        ; implicit-def: $vgpr6
	s_and_saveexec_b64 s[12:13], s[2:3]
	s_xor_b64 s[2:3], exec, s[12:13]
; %bb.593:                              ;   in Loop: Header=BB373_284 Depth=1
	v_bfe_u32 v6, v4, 16, 1
	v_add3_u32 v6, v4, v6, s15
                                        ; implicit-def: $vgpr4
; %bb.594:                              ;   in Loop: Header=BB373_284 Depth=1
	s_andn2_saveexec_b64 s[12:13], s[2:3]
; %bb.595:                              ;   in Loop: Header=BB373_284 Depth=1
	v_or_b32_e32 v6, 0x10000, v4
	v_cmp_eq_u32_sdwa s[2:3], v4, v29 src0_sel:WORD_0 src1_sel:DWORD
	s_nop 1
	v_cndmask_b32_e64 v6, v6, v4, s[2:3]
; %bb.596:                              ;   in Loop: Header=BB373_284 Depth=1
	s_or_b64 exec, exec, s[12:13]
	v_and_b32_e32 v4, 0xff, v7
	v_cvt_f32_fp8_sdwa v4, v4 src0_sel:BYTE_0
                                        ; implicit-def: $vgpr22
	s_nop 0
	v_mul_f32_e32 v4, v38, v4
	v_and_b32_e32 v12, 0x7f800000, v4
	v_cmp_ne_u32_e64 s[2:3], s5, v12
	s_and_saveexec_b64 s[12:13], s[2:3]
	s_xor_b64 s[2:3], exec, s[12:13]
; %bb.597:                              ;   in Loop: Header=BB373_284 Depth=1
	v_bfe_u32 v12, v4, 16, 1
	v_add3_u32 v22, v4, v12, s15
                                        ; implicit-def: $vgpr4
; %bb.598:                              ;   in Loop: Header=BB373_284 Depth=1
	s_andn2_saveexec_b64 s[12:13], s[2:3]
; %bb.599:                              ;   in Loop: Header=BB373_284 Depth=1
	v_or_b32_e32 v12, 0x10000, v4
	v_cmp_eq_u32_sdwa s[2:3], v4, v29 src0_sel:WORD_0 src1_sel:DWORD
	s_nop 1
	v_cndmask_b32_e64 v22, v12, v4, s[2:3]
; %bb.600:                              ;   in Loop: Header=BB373_284 Depth=1
	s_or_b64 exec, exec, s[12:13]
	v_bfe_u32 v4, v7, 8, 8
	v_cvt_f32_fp8_sdwa v4, v4 src0_sel:BYTE_0
	s_nop 0
	v_mul_f32_e32 v12, v38, v4
	v_and_b32_e32 v4, 0x7f800000, v12
	v_cmp_ne_u32_e64 s[2:3], s5, v4
                                        ; implicit-def: $vgpr4
	s_and_saveexec_b64 s[12:13], s[2:3]
	s_xor_b64 s[2:3], exec, s[12:13]
; %bb.601:                              ;   in Loop: Header=BB373_284 Depth=1
	v_bfe_u32 v4, v12, 16, 1
	v_add3_u32 v4, v12, v4, s15
                                        ; implicit-def: $vgpr12
; %bb.602:                              ;   in Loop: Header=BB373_284 Depth=1
	s_andn2_saveexec_b64 s[12:13], s[2:3]
; %bb.603:                              ;   in Loop: Header=BB373_284 Depth=1
	v_or_b32_e32 v4, 0x10000, v12
	v_cmp_eq_u32_sdwa s[2:3], v12, v29 src0_sel:WORD_0 src1_sel:DWORD
	s_nop 1
	v_cndmask_b32_e64 v4, v4, v12, s[2:3]
; %bb.604:                              ;   in Loop: Header=BB373_284 Depth=1
	s_or_b64 exec, exec, s[12:13]
	v_bfe_u32 v12, v7, 16, 8
	v_cvt_f32_fp8_sdwa v12, v12 src0_sel:BYTE_0
                                        ; implicit-def: $vgpr33
	s_nop 0
	v_mul_f32_e32 v12, v38, v12
	v_and_b32_e32 v13, 0x7f800000, v12
	v_cmp_ne_u32_e64 s[2:3], s5, v13
	s_and_saveexec_b64 s[12:13], s[2:3]
	s_xor_b64 s[2:3], exec, s[12:13]
; %bb.605:                              ;   in Loop: Header=BB373_284 Depth=1
	v_bfe_u32 v13, v12, 16, 1
	v_add3_u32 v33, v12, v13, s15
                                        ; implicit-def: $vgpr12
; %bb.606:                              ;   in Loop: Header=BB373_284 Depth=1
	s_andn2_saveexec_b64 s[12:13], s[2:3]
; %bb.607:                              ;   in Loop: Header=BB373_284 Depth=1
	v_or_b32_e32 v13, 0x10000, v12
	v_cmp_eq_u32_sdwa s[2:3], v12, v29 src0_sel:WORD_0 src1_sel:DWORD
	s_nop 1
	v_cndmask_b32_e64 v33, v13, v12, s[2:3]
; %bb.608:                              ;   in Loop: Header=BB373_284 Depth=1
	s_or_b64 exec, exec, s[12:13]
	v_lshrrev_b32_e32 v7, 24, v7
	v_cvt_f32_fp8_sdwa v7, v7 src0_sel:BYTE_0
	s_nop 0
	v_mul_f32_e32 v7, v38, v7
	v_and_b32_e32 v12, 0x7f800000, v7
	v_cmp_ne_u32_e64 s[2:3], s5, v12
                                        ; implicit-def: $vgpr12
	s_and_saveexec_b64 s[12:13], s[2:3]
	s_xor_b64 s[2:3], exec, s[12:13]
; %bb.609:                              ;   in Loop: Header=BB373_284 Depth=1
	v_bfe_u32 v12, v7, 16, 1
	v_add3_u32 v12, v7, v12, s15
                                        ; implicit-def: $vgpr7
; %bb.610:                              ;   in Loop: Header=BB373_284 Depth=1
	s_andn2_saveexec_b64 s[12:13], s[2:3]
; %bb.611:                              ;   in Loop: Header=BB373_284 Depth=1
	v_or_b32_e32 v12, 0x10000, v7
	v_cmp_eq_u32_sdwa s[2:3], v7, v29 src0_sel:WORD_0 src1_sel:DWORD
	s_nop 1
	v_cndmask_b32_e64 v12, v12, v7, s[2:3]
; %bb.612:                              ;   in Loop: Header=BB373_284 Depth=1
	s_or_b64 exec, exec, s[12:13]
	v_lshrrev_b32_e32 v4, 16, v4
	v_lshrrev_b32_e32 v23, 16, v22
	;; [unrolled: 1-line block ×8, first 2 shown]
	s_and_saveexec_b64 s[12:13], s[0:1]
	s_cbranch_execz .LBB373_614
; %bb.613:                              ;   in Loop: Header=BB373_284 Depth=1
	v_accvgpr_read_b32 v12, a27
	v_cmp_lt_i32_e64 s[2:3], v12, v35
	v_add_u32_e32 v12, -6, v17
	s_nop 0
	v_cndmask_b32_e64 v9, 0, v9, s[2:3]
	v_cmp_lt_i32_e64 s[2:3], v12, v35
	v_add_u32_e32 v12, -5, v17
	s_nop 0
	v_cndmask_b32_e64 v5, 0, v5, s[2:3]
	;; [unrolled: 4-line block ×6, first 2 shown]
	v_cmp_lt_i32_e64 s[2:3], v12, v35
	s_nop 1
	v_cndmask_b32_e64 v7, 0, v7, s[2:3]
	v_cmp_lt_i32_e64 s[2:3], v17, v35
	s_nop 1
	v_cndmask_b32_e64 v6, 0, v6, s[2:3]
.LBB373_614:                            ;   in Loop: Header=BB373_284 Depth=1
	s_or_b64 exec, exec, s[12:13]
	v_lshlrev_b32_e32 v9, 16, v9
	v_mul_f32_e32 v9, v40, v9
	v_and_b32_e32 v12, 0x7f800000, v9
	v_cmp_ne_u32_e64 s[2:3], s5, v12
                                        ; implicit-def: $vgpr22
	s_and_saveexec_b64 s[12:13], s[2:3]
	s_xor_b64 s[2:3], exec, s[12:13]
; %bb.615:                              ;   in Loop: Header=BB373_284 Depth=1
	v_bfe_u32 v12, v9, 16, 1
	v_add3_u32 v22, v9, v12, s15
                                        ; implicit-def: $vgpr9
; %bb.616:                              ;   in Loop: Header=BB373_284 Depth=1
	s_andn2_saveexec_b64 s[12:13], s[2:3]
; %bb.617:                              ;   in Loop: Header=BB373_284 Depth=1
	v_or_b32_e32 v12, 0x10000, v9
	v_cmp_eq_u32_sdwa s[2:3], v9, v29 src0_sel:WORD_0 src1_sel:DWORD
	s_nop 1
	v_cndmask_b32_e64 v22, v12, v9, s[2:3]
; %bb.618:                              ;   in Loop: Header=BB373_284 Depth=1
	s_or_b64 exec, exec, s[12:13]
	v_lshlrev_b32_e32 v5, 16, v5
	v_mul_f32_e32 v5, v41, v5
	v_and_b32_e32 v9, 0x7f800000, v5
	v_cmp_ne_u32_e64 s[2:3], s5, v9
                                        ; implicit-def: $vgpr9
	s_and_saveexec_b64 s[12:13], s[2:3]
	s_xor_b64 s[2:3], exec, s[12:13]
; %bb.619:                              ;   in Loop: Header=BB373_284 Depth=1
	v_bfe_u32 v9, v5, 16, 1
	v_add3_u32 v9, v5, v9, s15
                                        ; implicit-def: $vgpr5
; %bb.620:                              ;   in Loop: Header=BB373_284 Depth=1
	s_andn2_saveexec_b64 s[12:13], s[2:3]
; %bb.621:                              ;   in Loop: Header=BB373_284 Depth=1
	v_or_b32_e32 v9, 0x10000, v5
	v_cmp_eq_u32_sdwa s[2:3], v5, v29 src0_sel:WORD_0 src1_sel:DWORD
	s_nop 1
	v_cndmask_b32_e64 v9, v9, v5, s[2:3]
; %bb.622:                              ;   in Loop: Header=BB373_284 Depth=1
	s_or_b64 exec, exec, s[12:13]
	v_lshlrev_b32_e32 v5, 16, v16
	v_mul_f32_e32 v5, v42, v5
	v_and_b32_e32 v12, 0x7f800000, v5
	v_cmp_ne_u32_e64 s[2:3], s5, v12
                                        ; implicit-def: $vgpr49
	s_and_saveexec_b64 s[12:13], s[2:3]
	s_xor_b64 s[2:3], exec, s[12:13]
; %bb.623:                              ;   in Loop: Header=BB373_284 Depth=1
	v_bfe_u32 v12, v5, 16, 1
	v_add3_u32 v49, v5, v12, s15
                                        ; implicit-def: $vgpr5
; %bb.624:                              ;   in Loop: Header=BB373_284 Depth=1
	s_andn2_saveexec_b64 s[12:13], s[2:3]
; %bb.625:                              ;   in Loop: Header=BB373_284 Depth=1
	v_or_b32_e32 v12, 0x10000, v5
	v_cmp_eq_u32_sdwa s[2:3], v5, v29 src0_sel:WORD_0 src1_sel:DWORD
	s_nop 1
	v_cndmask_b32_e64 v49, v12, v5, s[2:3]
; %bb.626:                              ;   in Loop: Header=BB373_284 Depth=1
	s_or_b64 exec, exec, s[12:13]
	v_lshlrev_b32_e32 v5, 16, v32
	v_mul_f32_e32 v5, v43, v5
	v_and_b32_e32 v12, 0x7f800000, v5
	v_cmp_ne_u32_e64 s[2:3], s5, v12
                                        ; implicit-def: $vgpr50
	s_and_saveexec_b64 s[12:13], s[2:3]
	s_xor_b64 s[2:3], exec, s[12:13]
; %bb.627:                              ;   in Loop: Header=BB373_284 Depth=1
	v_bfe_u32 v12, v5, 16, 1
	v_add3_u32 v50, v5, v12, s15
                                        ; implicit-def: $vgpr5
; %bb.628:                              ;   in Loop: Header=BB373_284 Depth=1
	s_andn2_saveexec_b64 s[12:13], s[2:3]
; %bb.629:                              ;   in Loop: Header=BB373_284 Depth=1
	v_or_b32_e32 v12, 0x10000, v5
	v_cmp_eq_u32_sdwa s[2:3], v5, v29 src0_sel:WORD_0 src1_sel:DWORD
	s_nop 1
	v_cndmask_b32_e64 v50, v12, v5, s[2:3]
; %bb.630:                              ;   in Loop: Header=BB373_284 Depth=1
	s_or_b64 exec, exec, s[12:13]
	v_lshlrev_b32_e32 v5, 16, v23
	v_mul_f32_e32 v5, v44, v5
	v_and_b32_e32 v12, 0x7f800000, v5
	v_cmp_ne_u32_e64 s[2:3], s5, v12
                                        ; implicit-def: $vgpr51
	s_and_saveexec_b64 s[12:13], s[2:3]
	s_xor_b64 s[2:3], exec, s[12:13]
; %bb.631:                              ;   in Loop: Header=BB373_284 Depth=1
	v_bfe_u32 v12, v5, 16, 1
	v_add3_u32 v51, v5, v12, s15
                                        ; implicit-def: $vgpr5
; %bb.632:                              ;   in Loop: Header=BB373_284 Depth=1
	s_andn2_saveexec_b64 s[12:13], s[2:3]
; %bb.633:                              ;   in Loop: Header=BB373_284 Depth=1
	v_or_b32_e32 v12, 0x10000, v5
	v_cmp_eq_u32_sdwa s[2:3], v5, v29 src0_sel:WORD_0 src1_sel:DWORD
	s_nop 1
	v_cndmask_b32_e64 v51, v12, v5, s[2:3]
; %bb.634:                              ;   in Loop: Header=BB373_284 Depth=1
	s_or_b64 exec, exec, s[12:13]
	v_lshlrev_b32_e32 v4, 16, v4
	v_mul_f32_e32 v4, v45, v4
	v_and_b32_e32 v5, 0x7f800000, v4
	v_cmp_ne_u32_e64 s[2:3], s5, v5
                                        ; implicit-def: $vgpr52
	s_and_saveexec_b64 s[12:13], s[2:3]
	s_xor_b64 s[2:3], exec, s[12:13]
; %bb.635:                              ;   in Loop: Header=BB373_284 Depth=1
	v_bfe_u32 v5, v4, 16, 1
	v_add3_u32 v52, v4, v5, s15
                                        ; implicit-def: $vgpr4
; %bb.636:                              ;   in Loop: Header=BB373_284 Depth=1
	s_andn2_saveexec_b64 s[12:13], s[2:3]
; %bb.637:                              ;   in Loop: Header=BB373_284 Depth=1
	v_or_b32_e32 v5, 0x10000, v4
	v_cmp_eq_u32_sdwa s[2:3], v4, v29 src0_sel:WORD_0 src1_sel:DWORD
	s_nop 1
	v_cndmask_b32_e64 v52, v5, v4, s[2:3]
; %bb.638:                              ;   in Loop: Header=BB373_284 Depth=1
	s_or_b64 exec, exec, s[12:13]
	v_lshlrev_b32_e32 v4, 16, v7
	v_mul_f32_e32 v4, v46, v4
	v_and_b32_e32 v5, 0x7f800000, v4
	v_cmp_ne_u32_e64 s[2:3], s5, v5
                                        ; implicit-def: $vgpr53
	s_and_saveexec_b64 s[12:13], s[2:3]
	s_xor_b64 s[2:3], exec, s[12:13]
; %bb.639:                              ;   in Loop: Header=BB373_284 Depth=1
	v_bfe_u32 v5, v4, 16, 1
	v_add3_u32 v53, v4, v5, s15
                                        ; implicit-def: $vgpr4
; %bb.640:                              ;   in Loop: Header=BB373_284 Depth=1
	s_andn2_saveexec_b64 s[12:13], s[2:3]
; %bb.641:                              ;   in Loop: Header=BB373_284 Depth=1
	v_or_b32_e32 v5, 0x10000, v4
	v_cmp_eq_u32_sdwa s[2:3], v4, v29 src0_sel:WORD_0 src1_sel:DWORD
	s_nop 1
	v_cndmask_b32_e64 v53, v5, v4, s[2:3]
; %bb.642:                              ;   in Loop: Header=BB373_284 Depth=1
	s_or_b64 exec, exec, s[12:13]
	v_lshlrev_b32_e32 v4, 16, v6
	v_mul_f32_e32 v4, v47, v4
	v_and_b32_e32 v5, 0x7f800000, v4
	v_cmp_ne_u32_e64 s[2:3], s5, v5
                                        ; implicit-def: $vgpr54
	s_and_saveexec_b64 s[12:13], s[2:3]
	s_xor_b64 s[2:3], exec, s[12:13]
; %bb.643:                              ;   in Loop: Header=BB373_284 Depth=1
	v_bfe_u32 v5, v4, 16, 1
	v_add3_u32 v54, v4, v5, s15
                                        ; implicit-def: $vgpr4
; %bb.644:                              ;   in Loop: Header=BB373_284 Depth=1
	s_andn2_saveexec_b64 s[12:13], s[2:3]
; %bb.645:                              ;   in Loop: Header=BB373_284 Depth=1
	v_or_b32_e32 v5, 0x10000, v4
	v_cmp_eq_u32_sdwa s[2:3], v4, v29 src0_sel:WORD_0 src1_sel:DWORD
	s_nop 1
	v_cndmask_b32_e64 v54, v5, v4, s[2:3]
; %bb.646:                              ;   in Loop: Header=BB373_284 Depth=1
	s_or_b64 exec, exec, s[12:13]
	flat_load_dwordx2 v[6:7], v[2:3] offset:2560
                                        ; implicit-def: $vgpr16
	s_waitcnt vmcnt(0) lgkmcnt(0)
	v_and_b32_e32 v4, 0xff, v6
	v_cvt_f32_fp8_sdwa v4, v4 src0_sel:BYTE_0
	s_nop 0
	v_mul_f32_e32 v4, v38, v4
	v_and_b32_e32 v5, 0x7f800000, v4
	v_cmp_ne_u32_e64 s[2:3], s5, v5
	s_and_saveexec_b64 s[12:13], s[2:3]
	s_xor_b64 s[2:3], exec, s[12:13]
; %bb.647:                              ;   in Loop: Header=BB373_284 Depth=1
	v_bfe_u32 v5, v4, 16, 1
	v_add3_u32 v16, v4, v5, s15
                                        ; implicit-def: $vgpr4
; %bb.648:                              ;   in Loop: Header=BB373_284 Depth=1
	s_andn2_saveexec_b64 s[12:13], s[2:3]
; %bb.649:                              ;   in Loop: Header=BB373_284 Depth=1
	v_or_b32_e32 v5, 0x10000, v4
	v_cmp_eq_u32_sdwa s[2:3], v4, v29 src0_sel:WORD_0 src1_sel:DWORD
	s_nop 1
	v_cndmask_b32_e64 v16, v5, v4, s[2:3]
; %bb.650:                              ;   in Loop: Header=BB373_284 Depth=1
	s_or_b64 exec, exec, s[12:13]
	v_bfe_u32 v4, v6, 8, 8
	v_cvt_f32_fp8_sdwa v4, v4 src0_sel:BYTE_0
	s_nop 0
	v_mul_f32_e32 v4, v38, v4
	v_and_b32_e32 v5, 0x7f800000, v4
	v_cmp_ne_u32_e64 s[2:3], s5, v5
                                        ; implicit-def: $vgpr5
	s_and_saveexec_b64 s[12:13], s[2:3]
	s_xor_b64 s[2:3], exec, s[12:13]
; %bb.651:                              ;   in Loop: Header=BB373_284 Depth=1
	v_bfe_u32 v5, v4, 16, 1
	v_add3_u32 v5, v4, v5, s15
                                        ; implicit-def: $vgpr4
; %bb.652:                              ;   in Loop: Header=BB373_284 Depth=1
	s_andn2_saveexec_b64 s[12:13], s[2:3]
; %bb.653:                              ;   in Loop: Header=BB373_284 Depth=1
	v_or_b32_e32 v5, 0x10000, v4
	v_cmp_eq_u32_sdwa s[2:3], v4, v29 src0_sel:WORD_0 src1_sel:DWORD
	s_nop 1
	v_cndmask_b32_e64 v5, v5, v4, s[2:3]
; %bb.654:                              ;   in Loop: Header=BB373_284 Depth=1
	s_or_b64 exec, exec, s[12:13]
	v_bfe_u32 v4, v6, 16, 8
	v_cvt_f32_fp8_sdwa v4, v4 src0_sel:BYTE_0
                                        ; implicit-def: $vgpr33
	s_nop 0
	v_mul_f32_e32 v4, v38, v4
	v_and_b32_e32 v12, 0x7f800000, v4
	v_cmp_ne_u32_e64 s[2:3], s5, v12
	s_and_saveexec_b64 s[12:13], s[2:3]
	s_xor_b64 s[2:3], exec, s[12:13]
; %bb.655:                              ;   in Loop: Header=BB373_284 Depth=1
	v_bfe_u32 v12, v4, 16, 1
	v_add3_u32 v33, v4, v12, s15
                                        ; implicit-def: $vgpr4
; %bb.656:                              ;   in Loop: Header=BB373_284 Depth=1
	s_andn2_saveexec_b64 s[12:13], s[2:3]
; %bb.657:                              ;   in Loop: Header=BB373_284 Depth=1
	v_or_b32_e32 v12, 0x10000, v4
	v_cmp_eq_u32_sdwa s[2:3], v4, v29 src0_sel:WORD_0 src1_sel:DWORD
	s_nop 1
	v_cndmask_b32_e64 v33, v12, v4, s[2:3]
; %bb.658:                              ;   in Loop: Header=BB373_284 Depth=1
	s_or_b64 exec, exec, s[12:13]
	v_lshrrev_b32_e32 v4, 24, v6
	v_cvt_f32_fp8_sdwa v4, v4 src0_sel:BYTE_0
	s_nop 0
	v_mul_f32_e32 v4, v38, v4
	v_and_b32_e32 v6, 0x7f800000, v4
	v_cmp_ne_u32_e64 s[2:3], s5, v6
                                        ; implicit-def: $vgpr6
	s_and_saveexec_b64 s[12:13], s[2:3]
	s_xor_b64 s[2:3], exec, s[12:13]
; %bb.659:                              ;   in Loop: Header=BB373_284 Depth=1
	v_bfe_u32 v6, v4, 16, 1
	v_add3_u32 v6, v4, v6, s15
                                        ; implicit-def: $vgpr4
; %bb.660:                              ;   in Loop: Header=BB373_284 Depth=1
	s_andn2_saveexec_b64 s[12:13], s[2:3]
; %bb.661:                              ;   in Loop: Header=BB373_284 Depth=1
	v_or_b32_e32 v6, 0x10000, v4
	v_cmp_eq_u32_sdwa s[2:3], v4, v29 src0_sel:WORD_0 src1_sel:DWORD
	s_nop 1
	v_cndmask_b32_e64 v6, v6, v4, s[2:3]
; %bb.662:                              ;   in Loop: Header=BB373_284 Depth=1
	s_or_b64 exec, exec, s[12:13]
	v_and_b32_e32 v4, 0xff, v7
	v_cvt_f32_fp8_sdwa v4, v4 src0_sel:BYTE_0
                                        ; implicit-def: $vgpr23
	s_nop 0
	v_mul_f32_e32 v4, v38, v4
	v_and_b32_e32 v12, 0x7f800000, v4
	v_cmp_ne_u32_e64 s[2:3], s5, v12
	s_and_saveexec_b64 s[12:13], s[2:3]
	s_xor_b64 s[2:3], exec, s[12:13]
; %bb.663:                              ;   in Loop: Header=BB373_284 Depth=1
	v_bfe_u32 v12, v4, 16, 1
	v_add3_u32 v23, v4, v12, s15
                                        ; implicit-def: $vgpr4
; %bb.664:                              ;   in Loop: Header=BB373_284 Depth=1
	s_andn2_saveexec_b64 s[12:13], s[2:3]
; %bb.665:                              ;   in Loop: Header=BB373_284 Depth=1
	v_or_b32_e32 v12, 0x10000, v4
	v_cmp_eq_u32_sdwa s[2:3], v4, v29 src0_sel:WORD_0 src1_sel:DWORD
	s_nop 1
	v_cndmask_b32_e64 v23, v12, v4, s[2:3]
; %bb.666:                              ;   in Loop: Header=BB373_284 Depth=1
	s_or_b64 exec, exec, s[12:13]
	v_bfe_u32 v4, v7, 8, 8
	v_cvt_f32_fp8_sdwa v4, v4 src0_sel:BYTE_0
	s_nop 0
	v_mul_f32_e32 v12, v38, v4
	v_and_b32_e32 v4, 0x7f800000, v12
	v_cmp_ne_u32_e64 s[2:3], s5, v4
                                        ; implicit-def: $vgpr4
	s_and_saveexec_b64 s[12:13], s[2:3]
	s_xor_b64 s[2:3], exec, s[12:13]
; %bb.667:                              ;   in Loop: Header=BB373_284 Depth=1
	v_bfe_u32 v4, v12, 16, 1
	v_add3_u32 v4, v12, v4, s15
                                        ; implicit-def: $vgpr12
; %bb.668:                              ;   in Loop: Header=BB373_284 Depth=1
	s_andn2_saveexec_b64 s[12:13], s[2:3]
; %bb.669:                              ;   in Loop: Header=BB373_284 Depth=1
	v_or_b32_e32 v4, 0x10000, v12
	v_cmp_eq_u32_sdwa s[2:3], v12, v29 src0_sel:WORD_0 src1_sel:DWORD
	s_nop 1
	v_cndmask_b32_e64 v4, v4, v12, s[2:3]
; %bb.670:                              ;   in Loop: Header=BB373_284 Depth=1
	s_or_b64 exec, exec, s[12:13]
	v_bfe_u32 v12, v7, 16, 8
	v_cvt_f32_fp8_sdwa v12, v12 src0_sel:BYTE_0
                                        ; implicit-def: $vgpr37
	s_nop 0
	v_mul_f32_e32 v12, v38, v12
	v_and_b32_e32 v13, 0x7f800000, v12
	v_cmp_ne_u32_e64 s[2:3], s5, v13
	s_and_saveexec_b64 s[12:13], s[2:3]
	s_xor_b64 s[2:3], exec, s[12:13]
; %bb.671:                              ;   in Loop: Header=BB373_284 Depth=1
	v_bfe_u32 v13, v12, 16, 1
	v_add3_u32 v37, v12, v13, s15
                                        ; implicit-def: $vgpr12
; %bb.672:                              ;   in Loop: Header=BB373_284 Depth=1
	s_andn2_saveexec_b64 s[12:13], s[2:3]
; %bb.673:                              ;   in Loop: Header=BB373_284 Depth=1
	v_or_b32_e32 v13, 0x10000, v12
	v_cmp_eq_u32_sdwa s[2:3], v12, v29 src0_sel:WORD_0 src1_sel:DWORD
	s_nop 1
	v_cndmask_b32_e64 v37, v13, v12, s[2:3]
; %bb.674:                              ;   in Loop: Header=BB373_284 Depth=1
	s_or_b64 exec, exec, s[12:13]
	v_lshrrev_b32_e32 v7, 24, v7
	v_cvt_f32_fp8_sdwa v7, v7 src0_sel:BYTE_0
	s_nop 0
	v_mul_f32_e32 v12, v38, v7
	v_and_b32_e32 v7, 0x7f800000, v12
	v_cmp_ne_u32_e64 s[2:3], s5, v7
                                        ; implicit-def: $vgpr7
	s_and_saveexec_b64 s[12:13], s[2:3]
	s_xor_b64 s[2:3], exec, s[12:13]
; %bb.675:                              ;   in Loop: Header=BB373_284 Depth=1
	v_bfe_u32 v7, v12, 16, 1
	v_add3_u32 v7, v12, v7, s15
                                        ; implicit-def: $vgpr12
; %bb.676:                              ;   in Loop: Header=BB373_284 Depth=1
	s_andn2_saveexec_b64 s[12:13], s[2:3]
; %bb.677:                              ;   in Loop: Header=BB373_284 Depth=1
	v_or_b32_e32 v7, 0x10000, v12
	v_cmp_eq_u32_sdwa s[2:3], v12, v29 src0_sel:WORD_0 src1_sel:DWORD
	s_nop 1
	v_cndmask_b32_e64 v7, v7, v12, s[2:3]
; %bb.678:                              ;   in Loop: Header=BB373_284 Depth=1
	s_or_b64 exec, exec, s[12:13]
	v_lshrrev_b32_e32 v4, 16, v4
	v_lshrrev_b32_e32 v23, 16, v23
	v_lshrrev_b32_e32 v32, 16, v6
	v_lshrrev_b32_e32 v34, 16, v33
	v_lshrrev_b32_e32 v5, 16, v5
	v_lshrrev_b32_e32 v6, 16, v16
	v_lshrrev_b32_e32 v33, 16, v37
	v_lshrrev_b32_e32 v16, 16, v7
	s_and_saveexec_b64 s[12:13], s[0:1]
	s_cbranch_execz .LBB373_680
; %bb.679:                              ;   in Loop: Header=BB373_284 Depth=1
	v_accvgpr_read_b32 v7, a27
	v_cmp_lt_i32_e64 s[2:3], v7, v35
	v_add_u32_e32 v7, -6, v17
	s_nop 0
	v_cndmask_b32_e64 v6, 0, v6, s[2:3]
	v_cmp_lt_i32_e64 s[2:3], v7, v35
	v_add_u32_e32 v7, -5, v17
	s_nop 0
	v_cndmask_b32_e64 v5, 0, v5, s[2:3]
	;; [unrolled: 4-line block ×6, first 2 shown]
	v_cmp_lt_i32_e64 s[2:3], v7, v35
	s_nop 1
	v_cndmask_b32_e64 v33, 0, v33, s[2:3]
	v_cmp_lt_i32_e64 s[2:3], v17, v35
	s_nop 1
	v_cndmask_b32_e64 v16, 0, v16, s[2:3]
.LBB373_680:                            ;   in Loop: Header=BB373_284 Depth=1
	s_or_b64 exec, exec, s[12:13]
	v_lshlrev_b32_e32 v6, 16, v6
	v_mul_f32_e32 v7, v40, v6
	v_and_b32_e32 v6, 0x7f800000, v7
	v_cmp_ne_u32_e64 s[2:3], s5, v6
                                        ; implicit-def: $vgpr6
	s_and_saveexec_b64 s[12:13], s[2:3]
	s_xor_b64 s[2:3], exec, s[12:13]
; %bb.681:                              ;   in Loop: Header=BB373_284 Depth=1
	v_bfe_u32 v6, v7, 16, 1
	v_add3_u32 v6, v7, v6, s15
                                        ; implicit-def: $vgpr7
; %bb.682:                              ;   in Loop: Header=BB373_284 Depth=1
	s_andn2_saveexec_b64 s[12:13], s[2:3]
; %bb.683:                              ;   in Loop: Header=BB373_284 Depth=1
	v_or_b32_e32 v6, 0x10000, v7
	v_cmp_eq_u32_sdwa s[2:3], v7, v29 src0_sel:WORD_0 src1_sel:DWORD
	s_nop 1
	v_cndmask_b32_e64 v6, v6, v7, s[2:3]
; %bb.684:                              ;   in Loop: Header=BB373_284 Depth=1
	s_or_b64 exec, exec, s[12:13]
	v_lshlrev_b32_e32 v5, 16, v5
	v_mul_f32_e32 v5, v41, v5
	v_and_b32_e32 v7, 0x7f800000, v5
	v_cmp_ne_u32_e64 s[2:3], s5, v7
                                        ; implicit-def: $vgpr7
	s_and_saveexec_b64 s[12:13], s[2:3]
	s_xor_b64 s[2:3], exec, s[12:13]
; %bb.685:                              ;   in Loop: Header=BB373_284 Depth=1
	v_bfe_u32 v7, v5, 16, 1
	v_add3_u32 v7, v5, v7, s15
                                        ; implicit-def: $vgpr5
; %bb.686:                              ;   in Loop: Header=BB373_284 Depth=1
	s_andn2_saveexec_b64 s[12:13], s[2:3]
; %bb.687:                              ;   in Loop: Header=BB373_284 Depth=1
	v_or_b32_e32 v7, 0x10000, v5
	v_cmp_eq_u32_sdwa s[2:3], v5, v29 src0_sel:WORD_0 src1_sel:DWORD
	s_nop 1
	v_cndmask_b32_e64 v7, v7, v5, s[2:3]
; %bb.688:                              ;   in Loop: Header=BB373_284 Depth=1
	s_or_b64 exec, exec, s[12:13]
	v_lshlrev_b32_e32 v5, 16, v34
	v_mul_f32_e32 v5, v42, v5
	v_and_b32_e32 v12, 0x7f800000, v5
	v_cmp_ne_u32_e64 s[2:3], s5, v12
                                        ; implicit-def: $vgpr56
	s_and_saveexec_b64 s[12:13], s[2:3]
	s_xor_b64 s[2:3], exec, s[12:13]
; %bb.689:                              ;   in Loop: Header=BB373_284 Depth=1
	v_bfe_u32 v12, v5, 16, 1
	v_add3_u32 v56, v5, v12, s15
                                        ; implicit-def: $vgpr5
; %bb.690:                              ;   in Loop: Header=BB373_284 Depth=1
	s_andn2_saveexec_b64 s[12:13], s[2:3]
; %bb.691:                              ;   in Loop: Header=BB373_284 Depth=1
	v_or_b32_e32 v12, 0x10000, v5
	v_cmp_eq_u32_sdwa s[2:3], v5, v29 src0_sel:WORD_0 src1_sel:DWORD
	s_nop 1
	v_cndmask_b32_e64 v56, v12, v5, s[2:3]
; %bb.692:                              ;   in Loop: Header=BB373_284 Depth=1
	s_or_b64 exec, exec, s[12:13]
	v_lshlrev_b32_e32 v5, 16, v32
	v_mul_f32_e32 v5, v43, v5
	v_and_b32_e32 v12, 0x7f800000, v5
	v_cmp_ne_u32_e64 s[2:3], s5, v12
                                        ; implicit-def: $vgpr57
	s_and_saveexec_b64 s[12:13], s[2:3]
	s_xor_b64 s[2:3], exec, s[12:13]
; %bb.693:                              ;   in Loop: Header=BB373_284 Depth=1
	v_bfe_u32 v12, v5, 16, 1
	v_add3_u32 v57, v5, v12, s15
                                        ; implicit-def: $vgpr5
; %bb.694:                              ;   in Loop: Header=BB373_284 Depth=1
	s_andn2_saveexec_b64 s[12:13], s[2:3]
; %bb.695:                              ;   in Loop: Header=BB373_284 Depth=1
	v_or_b32_e32 v12, 0x10000, v5
	v_cmp_eq_u32_sdwa s[2:3], v5, v29 src0_sel:WORD_0 src1_sel:DWORD
	s_nop 1
	v_cndmask_b32_e64 v57, v12, v5, s[2:3]
; %bb.696:                              ;   in Loop: Header=BB373_284 Depth=1
	s_or_b64 exec, exec, s[12:13]
	v_lshlrev_b32_e32 v5, 16, v23
	v_mul_f32_e32 v5, v44, v5
	v_and_b32_e32 v12, 0x7f800000, v5
	v_cmp_ne_u32_e64 s[2:3], s5, v12
                                        ; implicit-def: $vgpr58
	s_and_saveexec_b64 s[12:13], s[2:3]
	s_xor_b64 s[2:3], exec, s[12:13]
; %bb.697:                              ;   in Loop: Header=BB373_284 Depth=1
	v_bfe_u32 v12, v5, 16, 1
	v_add3_u32 v58, v5, v12, s15
                                        ; implicit-def: $vgpr5
; %bb.698:                              ;   in Loop: Header=BB373_284 Depth=1
	s_andn2_saveexec_b64 s[12:13], s[2:3]
; %bb.699:                              ;   in Loop: Header=BB373_284 Depth=1
	v_or_b32_e32 v12, 0x10000, v5
	v_cmp_eq_u32_sdwa s[2:3], v5, v29 src0_sel:WORD_0 src1_sel:DWORD
	s_nop 1
	v_cndmask_b32_e64 v58, v12, v5, s[2:3]
; %bb.700:                              ;   in Loop: Header=BB373_284 Depth=1
	s_or_b64 exec, exec, s[12:13]
	v_lshlrev_b32_e32 v4, 16, v4
	v_mul_f32_e32 v4, v45, v4
	v_and_b32_e32 v5, 0x7f800000, v4
	v_cmp_ne_u32_e64 s[2:3], s5, v5
                                        ; implicit-def: $vgpr59
	s_and_saveexec_b64 s[12:13], s[2:3]
	s_xor_b64 s[2:3], exec, s[12:13]
; %bb.701:                              ;   in Loop: Header=BB373_284 Depth=1
	v_bfe_u32 v5, v4, 16, 1
	v_add3_u32 v59, v4, v5, s15
                                        ; implicit-def: $vgpr4
; %bb.702:                              ;   in Loop: Header=BB373_284 Depth=1
	s_andn2_saveexec_b64 s[12:13], s[2:3]
; %bb.703:                              ;   in Loop: Header=BB373_284 Depth=1
	v_or_b32_e32 v5, 0x10000, v4
	v_cmp_eq_u32_sdwa s[2:3], v4, v29 src0_sel:WORD_0 src1_sel:DWORD
	s_nop 1
	v_cndmask_b32_e64 v59, v5, v4, s[2:3]
; %bb.704:                              ;   in Loop: Header=BB373_284 Depth=1
	s_or_b64 exec, exec, s[12:13]
	v_lshlrev_b32_e32 v4, 16, v33
	v_mul_f32_e32 v4, v46, v4
	v_and_b32_e32 v5, 0x7f800000, v4
	v_cmp_ne_u32_e64 s[2:3], s5, v5
                                        ; implicit-def: $vgpr60
	s_and_saveexec_b64 s[12:13], s[2:3]
	s_xor_b64 s[2:3], exec, s[12:13]
; %bb.705:                              ;   in Loop: Header=BB373_284 Depth=1
	v_bfe_u32 v5, v4, 16, 1
	v_add3_u32 v60, v4, v5, s15
                                        ; implicit-def: $vgpr4
; %bb.706:                              ;   in Loop: Header=BB373_284 Depth=1
	s_andn2_saveexec_b64 s[12:13], s[2:3]
; %bb.707:                              ;   in Loop: Header=BB373_284 Depth=1
	v_or_b32_e32 v5, 0x10000, v4
	v_cmp_eq_u32_sdwa s[2:3], v4, v29 src0_sel:WORD_0 src1_sel:DWORD
	s_nop 1
	v_cndmask_b32_e64 v60, v5, v4, s[2:3]
; %bb.708:                              ;   in Loop: Header=BB373_284 Depth=1
	s_or_b64 exec, exec, s[12:13]
	v_lshlrev_b32_e32 v4, 16, v16
	v_mul_f32_e32 v4, v47, v4
	v_and_b32_e32 v5, 0x7f800000, v4
	v_cmp_ne_u32_e64 s[2:3], s5, v5
                                        ; implicit-def: $vgpr61
	s_and_saveexec_b64 s[12:13], s[2:3]
	s_xor_b64 s[2:3], exec, s[12:13]
; %bb.709:                              ;   in Loop: Header=BB373_284 Depth=1
	v_bfe_u32 v5, v4, 16, 1
	v_add3_u32 v61, v4, v5, s15
                                        ; implicit-def: $vgpr4
; %bb.710:                              ;   in Loop: Header=BB373_284 Depth=1
	s_andn2_saveexec_b64 s[12:13], s[2:3]
; %bb.711:                              ;   in Loop: Header=BB373_284 Depth=1
	v_or_b32_e32 v5, 0x10000, v4
	v_cmp_eq_u32_sdwa s[2:3], v4, v29 src0_sel:WORD_0 src1_sel:DWORD
	s_nop 1
	v_cndmask_b32_e64 v61, v5, v4, s[2:3]
; %bb.712:                              ;   in Loop: Header=BB373_284 Depth=1
	s_or_b64 exec, exec, s[12:13]
	flat_load_dwordx2 v[2:3], v[2:3] offset:3072
                                        ; implicit-def: $vgpr16
	s_waitcnt vmcnt(0) lgkmcnt(0)
	v_and_b32_e32 v4, 0xff, v2
	v_cvt_f32_fp8_sdwa v4, v4 src0_sel:BYTE_0
	s_nop 0
	v_mul_f32_e32 v4, v38, v4
	v_and_b32_e32 v5, 0x7f800000, v4
	v_cmp_ne_u32_e64 s[2:3], s5, v5
	s_and_saveexec_b64 s[12:13], s[2:3]
	s_xor_b64 s[2:3], exec, s[12:13]
; %bb.713:                              ;   in Loop: Header=BB373_284 Depth=1
	v_bfe_u32 v5, v4, 16, 1
	v_add3_u32 v16, v4, v5, s15
                                        ; implicit-def: $vgpr4
; %bb.714:                              ;   in Loop: Header=BB373_284 Depth=1
	s_andn2_saveexec_b64 s[12:13], s[2:3]
; %bb.715:                              ;   in Loop: Header=BB373_284 Depth=1
	v_or_b32_e32 v5, 0x10000, v4
	v_cmp_eq_u32_sdwa s[2:3], v4, v29 src0_sel:WORD_0 src1_sel:DWORD
	s_nop 1
	v_cndmask_b32_e64 v16, v5, v4, s[2:3]
; %bb.716:                              ;   in Loop: Header=BB373_284 Depth=1
	s_or_b64 exec, exec, s[12:13]
	v_bfe_u32 v4, v2, 8, 8
	v_cvt_f32_fp8_sdwa v4, v4 src0_sel:BYTE_0
	s_nop 0
	v_mul_f32_e32 v4, v38, v4
	v_and_b32_e32 v5, 0x7f800000, v4
	v_cmp_ne_u32_e64 s[2:3], s5, v5
                                        ; implicit-def: $vgpr5
	s_and_saveexec_b64 s[12:13], s[2:3]
	s_xor_b64 s[2:3], exec, s[12:13]
; %bb.717:                              ;   in Loop: Header=BB373_284 Depth=1
	v_bfe_u32 v5, v4, 16, 1
	v_add3_u32 v5, v4, v5, s15
                                        ; implicit-def: $vgpr4
; %bb.718:                              ;   in Loop: Header=BB373_284 Depth=1
	s_andn2_saveexec_b64 s[12:13], s[2:3]
; %bb.719:                              ;   in Loop: Header=BB373_284 Depth=1
	v_or_b32_e32 v5, 0x10000, v4
	v_cmp_eq_u32_sdwa s[2:3], v4, v29 src0_sel:WORD_0 src1_sel:DWORD
	s_nop 1
	v_cndmask_b32_e64 v5, v5, v4, s[2:3]
; %bb.720:                              ;   in Loop: Header=BB373_284 Depth=1
	s_or_b64 exec, exec, s[12:13]
	v_bfe_u32 v4, v2, 16, 8
	v_cvt_f32_fp8_sdwa v4, v4 src0_sel:BYTE_0
                                        ; implicit-def: $vgpr33
	s_nop 0
	v_mul_f32_e32 v4, v38, v4
	v_and_b32_e32 v12, 0x7f800000, v4
	v_cmp_ne_u32_e64 s[2:3], s5, v12
	s_and_saveexec_b64 s[12:13], s[2:3]
	s_xor_b64 s[2:3], exec, s[12:13]
; %bb.721:                              ;   in Loop: Header=BB373_284 Depth=1
	v_bfe_u32 v12, v4, 16, 1
	v_add3_u32 v33, v4, v12, s15
                                        ; implicit-def: $vgpr4
; %bb.722:                              ;   in Loop: Header=BB373_284 Depth=1
	s_andn2_saveexec_b64 s[12:13], s[2:3]
; %bb.723:                              ;   in Loop: Header=BB373_284 Depth=1
	v_or_b32_e32 v12, 0x10000, v4
	v_cmp_eq_u32_sdwa s[2:3], v4, v29 src0_sel:WORD_0 src1_sel:DWORD
	s_nop 1
	v_cndmask_b32_e64 v33, v12, v4, s[2:3]
; %bb.724:                              ;   in Loop: Header=BB373_284 Depth=1
	s_or_b64 exec, exec, s[12:13]
	v_lshrrev_b32_e32 v2, 24, v2
	v_cvt_f32_fp8_sdwa v2, v2 src0_sel:BYTE_0
	s_nop 0
	v_mul_f32_e32 v4, v38, v2
	v_and_b32_e32 v2, 0x7f800000, v4
	v_cmp_ne_u32_e64 s[2:3], s5, v2
                                        ; implicit-def: $vgpr2
	s_and_saveexec_b64 s[12:13], s[2:3]
	s_xor_b64 s[2:3], exec, s[12:13]
; %bb.725:                              ;   in Loop: Header=BB373_284 Depth=1
	v_bfe_u32 v2, v4, 16, 1
	v_add3_u32 v2, v4, v2, s15
                                        ; implicit-def: $vgpr4
; %bb.726:                              ;   in Loop: Header=BB373_284 Depth=1
	s_andn2_saveexec_b64 s[12:13], s[2:3]
; %bb.727:                              ;   in Loop: Header=BB373_284 Depth=1
	v_or_b32_e32 v2, 0x10000, v4
	v_cmp_eq_u32_sdwa s[2:3], v4, v29 src0_sel:WORD_0 src1_sel:DWORD
	s_nop 1
	v_cndmask_b32_e64 v2, v2, v4, s[2:3]
; %bb.728:                              ;   in Loop: Header=BB373_284 Depth=1
	s_or_b64 exec, exec, s[12:13]
	v_and_b32_e32 v4, 0xff, v3
	v_cvt_f32_fp8_sdwa v4, v4 src0_sel:BYTE_0
                                        ; implicit-def: $vgpr23
	s_nop 0
	v_mul_f32_e32 v4, v38, v4
	v_and_b32_e32 v12, 0x7f800000, v4
	v_cmp_ne_u32_e64 s[2:3], s5, v12
	s_and_saveexec_b64 s[12:13], s[2:3]
	s_xor_b64 s[2:3], exec, s[12:13]
; %bb.729:                              ;   in Loop: Header=BB373_284 Depth=1
	v_bfe_u32 v12, v4, 16, 1
	v_add3_u32 v23, v4, v12, s15
                                        ; implicit-def: $vgpr4
; %bb.730:                              ;   in Loop: Header=BB373_284 Depth=1
	s_andn2_saveexec_b64 s[12:13], s[2:3]
; %bb.731:                              ;   in Loop: Header=BB373_284 Depth=1
	v_or_b32_e32 v12, 0x10000, v4
	v_cmp_eq_u32_sdwa s[2:3], v4, v29 src0_sel:WORD_0 src1_sel:DWORD
	s_nop 1
	v_cndmask_b32_e64 v23, v12, v4, s[2:3]
; %bb.732:                              ;   in Loop: Header=BB373_284 Depth=1
	s_or_b64 exec, exec, s[12:13]
	v_bfe_u32 v4, v3, 8, 8
	v_cvt_f32_fp8_sdwa v4, v4 src0_sel:BYTE_0
	s_nop 0
	v_mul_f32_e32 v12, v38, v4
	v_and_b32_e32 v4, 0x7f800000, v12
	v_cmp_ne_u32_e64 s[2:3], s5, v4
                                        ; implicit-def: $vgpr4
	s_and_saveexec_b64 s[12:13], s[2:3]
	s_xor_b64 s[2:3], exec, s[12:13]
; %bb.733:                              ;   in Loop: Header=BB373_284 Depth=1
	v_bfe_u32 v4, v12, 16, 1
	v_add3_u32 v4, v12, v4, s15
                                        ; implicit-def: $vgpr12
; %bb.734:                              ;   in Loop: Header=BB373_284 Depth=1
	s_andn2_saveexec_b64 s[12:13], s[2:3]
; %bb.735:                              ;   in Loop: Header=BB373_284 Depth=1
	v_or_b32_e32 v4, 0x10000, v12
	v_cmp_eq_u32_sdwa s[2:3], v12, v29 src0_sel:WORD_0 src1_sel:DWORD
	s_nop 1
	v_cndmask_b32_e64 v4, v4, v12, s[2:3]
; %bb.736:                              ;   in Loop: Header=BB373_284 Depth=1
	s_or_b64 exec, exec, s[12:13]
	v_bfe_u32 v12, v3, 16, 8
	v_cvt_f32_fp8_sdwa v12, v12 src0_sel:BYTE_0
                                        ; implicit-def: $vgpr34
	s_nop 0
	v_mul_f32_e32 v12, v38, v12
	v_and_b32_e32 v13, 0x7f800000, v12
	v_cmp_ne_u32_e64 s[2:3], s5, v13
	s_and_saveexec_b64 s[12:13], s[2:3]
	s_xor_b64 s[2:3], exec, s[12:13]
; %bb.737:                              ;   in Loop: Header=BB373_284 Depth=1
	v_bfe_u32 v13, v12, 16, 1
	v_add3_u32 v34, v12, v13, s15
                                        ; implicit-def: $vgpr12
; %bb.738:                              ;   in Loop: Header=BB373_284 Depth=1
	s_andn2_saveexec_b64 s[12:13], s[2:3]
; %bb.739:                              ;   in Loop: Header=BB373_284 Depth=1
	v_or_b32_e32 v13, 0x10000, v12
	v_cmp_eq_u32_sdwa s[2:3], v12, v29 src0_sel:WORD_0 src1_sel:DWORD
	s_nop 1
	v_cndmask_b32_e64 v34, v13, v12, s[2:3]
; %bb.740:                              ;   in Loop: Header=BB373_284 Depth=1
	s_or_b64 exec, exec, s[12:13]
	v_lshrrev_b32_e32 v3, 24, v3
	v_cvt_f32_fp8_sdwa v3, v3 src0_sel:BYTE_0
	s_nop 0
	v_mul_f32_e32 v3, v38, v3
	v_and_b32_e32 v12, 0x7f800000, v3
	v_cmp_ne_u32_e64 s[2:3], s5, v12
                                        ; implicit-def: $vgpr12
	s_and_saveexec_b64 s[12:13], s[2:3]
	s_xor_b64 s[2:3], exec, s[12:13]
; %bb.741:                              ;   in Loop: Header=BB373_284 Depth=1
	v_bfe_u32 v12, v3, 16, 1
	v_add3_u32 v12, v3, v12, s15
                                        ; implicit-def: $vgpr3
; %bb.742:                              ;   in Loop: Header=BB373_284 Depth=1
	s_andn2_saveexec_b64 s[12:13], s[2:3]
; %bb.743:                              ;   in Loop: Header=BB373_284 Depth=1
	v_or_b32_e32 v12, 0x10000, v3
	v_cmp_eq_u32_sdwa s[2:3], v3, v29 src0_sel:WORD_0 src1_sel:DWORD
	s_nop 1
	v_cndmask_b32_e64 v12, v12, v3, s[2:3]
; %bb.744:                              ;   in Loop: Header=BB373_284 Depth=1
	s_or_b64 exec, exec, s[12:13]
	v_lshrrev_b32_e32 v4, 16, v4
	v_lshrrev_b32_e32 v23, 16, v23
	;; [unrolled: 1-line block ×8, first 2 shown]
	s_and_saveexec_b64 s[12:13], s[0:1]
	s_cbranch_execz .LBB373_746
; %bb.745:                              ;   in Loop: Header=BB373_284 Depth=1
	v_accvgpr_read_b32 v5, a27
	v_cmp_lt_i32_e64 s[2:3], v5, v35
	v_add_u32_e32 v5, -6, v17
	s_nop 0
	v_cndmask_b32_e64 v2, 0, v2, s[2:3]
	v_cmp_lt_i32_e64 s[2:3], v5, v35
	v_add_u32_e32 v5, -5, v17
	s_nop 0
	v_cndmask_b32_e64 v3, 0, v3, s[2:3]
	;; [unrolled: 4-line block ×6, first 2 shown]
	v_cmp_lt_i32_e64 s[2:3], v5, v35
	s_nop 1
	v_cndmask_b32_e64 v34, 0, v34, s[2:3]
	v_cmp_lt_i32_e64 s[2:3], v17, v35
	s_nop 1
	v_cndmask_b32_e64 v16, 0, v16, s[2:3]
.LBB373_746:                            ;   in Loop: Header=BB373_284 Depth=1
	s_or_b64 exec, exec, s[12:13]
	v_lshlrev_b32_e32 v2, 16, v2
	v_mul_f32_e32 v5, v40, v2
	v_and_b32_e32 v2, 0x7f800000, v5
	v_cmp_ne_u32_e64 s[2:3], s5, v2
                                        ; implicit-def: $vgpr2
	s_and_saveexec_b64 s[12:13], s[2:3]
	s_xor_b64 s[2:3], exec, s[12:13]
; %bb.747:                              ;   in Loop: Header=BB373_284 Depth=1
	v_bfe_u32 v2, v5, 16, 1
	v_add3_u32 v2, v5, v2, s15
                                        ; implicit-def: $vgpr5
; %bb.748:                              ;   in Loop: Header=BB373_284 Depth=1
	s_andn2_saveexec_b64 s[12:13], s[2:3]
; %bb.749:                              ;   in Loop: Header=BB373_284 Depth=1
	v_or_b32_e32 v2, 0x10000, v5
	v_cmp_eq_u32_sdwa s[2:3], v5, v29 src0_sel:WORD_0 src1_sel:DWORD
	s_nop 1
	v_cndmask_b32_e64 v2, v2, v5, s[2:3]
; %bb.750:                              ;   in Loop: Header=BB373_284 Depth=1
	s_or_b64 exec, exec, s[12:13]
	v_lshlrev_b32_e32 v3, 16, v3
	v_mul_f32_e32 v5, v41, v3
	v_and_b32_e32 v3, 0x7f800000, v5
	v_cmp_ne_u32_e64 s[2:3], s5, v3
                                        ; implicit-def: $vgpr3
	s_and_saveexec_b64 s[12:13], s[2:3]
	s_xor_b64 s[2:3], exec, s[12:13]
; %bb.751:                              ;   in Loop: Header=BB373_284 Depth=1
	v_bfe_u32 v3, v5, 16, 1
	v_add3_u32 v3, v5, v3, s15
                                        ; implicit-def: $vgpr5
; %bb.752:                              ;   in Loop: Header=BB373_284 Depth=1
	s_andn2_saveexec_b64 s[12:13], s[2:3]
; %bb.753:                              ;   in Loop: Header=BB373_284 Depth=1
	v_or_b32_e32 v3, 0x10000, v5
	v_cmp_eq_u32_sdwa s[2:3], v5, v29 src0_sel:WORD_0 src1_sel:DWORD
	s_nop 1
	v_cndmask_b32_e64 v3, v3, v5, s[2:3]
; %bb.754:                              ;   in Loop: Header=BB373_284 Depth=1
	s_or_b64 exec, exec, s[12:13]
	v_lshlrev_b32_e32 v5, 16, v33
	v_mul_f32_e32 v5, v42, v5
	v_and_b32_e32 v12, 0x7f800000, v5
	v_cmp_ne_u32_e64 s[2:3], s5, v12
                                        ; implicit-def: $vgpr62
	s_and_saveexec_b64 s[12:13], s[2:3]
	s_xor_b64 s[2:3], exec, s[12:13]
; %bb.755:                              ;   in Loop: Header=BB373_284 Depth=1
	v_bfe_u32 v12, v5, 16, 1
	v_add3_u32 v62, v5, v12, s15
                                        ; implicit-def: $vgpr5
; %bb.756:                              ;   in Loop: Header=BB373_284 Depth=1
	s_andn2_saveexec_b64 s[12:13], s[2:3]
; %bb.757:                              ;   in Loop: Header=BB373_284 Depth=1
	v_or_b32_e32 v12, 0x10000, v5
	v_cmp_eq_u32_sdwa s[2:3], v5, v29 src0_sel:WORD_0 src1_sel:DWORD
	s_nop 1
	v_cndmask_b32_e64 v62, v12, v5, s[2:3]
; %bb.758:                              ;   in Loop: Header=BB373_284 Depth=1
	s_or_b64 exec, exec, s[12:13]
	v_lshlrev_b32_e32 v5, 16, v32
	v_mul_f32_e32 v5, v43, v5
	v_and_b32_e32 v12, 0x7f800000, v5
	v_cmp_ne_u32_e64 s[2:3], s5, v12
                                        ; implicit-def: $vgpr63
	s_and_saveexec_b64 s[12:13], s[2:3]
	s_xor_b64 s[2:3], exec, s[12:13]
; %bb.759:                              ;   in Loop: Header=BB373_284 Depth=1
	v_bfe_u32 v12, v5, 16, 1
	v_add3_u32 v63, v5, v12, s15
                                        ; implicit-def: $vgpr5
; %bb.760:                              ;   in Loop: Header=BB373_284 Depth=1
	s_andn2_saveexec_b64 s[12:13], s[2:3]
; %bb.761:                              ;   in Loop: Header=BB373_284 Depth=1
	v_or_b32_e32 v12, 0x10000, v5
	v_cmp_eq_u32_sdwa s[2:3], v5, v29 src0_sel:WORD_0 src1_sel:DWORD
	s_nop 1
	v_cndmask_b32_e64 v63, v12, v5, s[2:3]
; %bb.762:                              ;   in Loop: Header=BB373_284 Depth=1
	s_or_b64 exec, exec, s[12:13]
	v_lshlrev_b32_e32 v5, 16, v23
	v_mul_f32_e32 v5, v44, v5
	v_and_b32_e32 v12, 0x7f800000, v5
	v_cmp_ne_u32_e64 s[2:3], s5, v12
                                        ; implicit-def: $vgpr55
	s_and_saveexec_b64 s[12:13], s[2:3]
	s_xor_b64 s[2:3], exec, s[12:13]
; %bb.763:                              ;   in Loop: Header=BB373_284 Depth=1
	v_bfe_u32 v12, v5, 16, 1
	v_add3_u32 v55, v5, v12, s15
                                        ; implicit-def: $vgpr5
; %bb.764:                              ;   in Loop: Header=BB373_284 Depth=1
	s_andn2_saveexec_b64 s[12:13], s[2:3]
; %bb.765:                              ;   in Loop: Header=BB373_284 Depth=1
	v_or_b32_e32 v12, 0x10000, v5
	v_cmp_eq_u32_sdwa s[2:3], v5, v29 src0_sel:WORD_0 src1_sel:DWORD
	s_nop 1
	v_cndmask_b32_e64 v55, v12, v5, s[2:3]
; %bb.766:                              ;   in Loop: Header=BB373_284 Depth=1
	s_or_b64 exec, exec, s[12:13]
	v_lshlrev_b32_e32 v4, 16, v4
	v_mul_f32_e32 v4, v45, v4
	v_and_b32_e32 v5, 0x7f800000, v4
	v_cmp_ne_u32_e64 s[2:3], s5, v5
                                        ; implicit-def: $vgpr33
	s_and_saveexec_b64 s[12:13], s[2:3]
	s_xor_b64 s[2:3], exec, s[12:13]
; %bb.767:                              ;   in Loop: Header=BB373_284 Depth=1
	v_bfe_u32 v5, v4, 16, 1
	v_add3_u32 v33, v4, v5, s15
                                        ; implicit-def: $vgpr4
; %bb.768:                              ;   in Loop: Header=BB373_284 Depth=1
	s_andn2_saveexec_b64 s[12:13], s[2:3]
; %bb.769:                              ;   in Loop: Header=BB373_284 Depth=1
	v_or_b32_e32 v5, 0x10000, v4
	v_cmp_eq_u32_sdwa s[2:3], v4, v29 src0_sel:WORD_0 src1_sel:DWORD
	s_nop 1
	v_cndmask_b32_e64 v33, v5, v4, s[2:3]
; %bb.770:                              ;   in Loop: Header=BB373_284 Depth=1
	s_or_b64 exec, exec, s[12:13]
	v_lshlrev_b32_e32 v4, 16, v34
	v_mul_f32_e32 v4, v46, v4
	v_and_b32_e32 v5, 0x7f800000, v4
	v_cmp_ne_u32_e64 s[2:3], s5, v5
                                        ; implicit-def: $vgpr37
	s_and_saveexec_b64 s[12:13], s[2:3]
	s_xor_b64 s[2:3], exec, s[12:13]
; %bb.771:                              ;   in Loop: Header=BB373_284 Depth=1
	v_bfe_u32 v5, v4, 16, 1
	v_add3_u32 v37, v4, v5, s15
                                        ; implicit-def: $vgpr4
; %bb.772:                              ;   in Loop: Header=BB373_284 Depth=1
	s_andn2_saveexec_b64 s[12:13], s[2:3]
; %bb.773:                              ;   in Loop: Header=BB373_284 Depth=1
	v_or_b32_e32 v5, 0x10000, v4
	v_cmp_eq_u32_sdwa s[2:3], v4, v29 src0_sel:WORD_0 src1_sel:DWORD
	s_nop 1
	v_cndmask_b32_e64 v37, v5, v4, s[2:3]
; %bb.774:                              ;   in Loop: Header=BB373_284 Depth=1
	s_or_b64 exec, exec, s[12:13]
	v_lshlrev_b32_e32 v4, 16, v16
	v_mul_f32_e32 v4, v47, v4
	v_and_b32_e32 v5, 0x7f800000, v4
	v_cmp_ne_u32_e64 s[2:3], s5, v5
                                        ; implicit-def: $vgpr34
	s_and_saveexec_b64 s[12:13], s[2:3]
	s_xor_b64 s[2:3], exec, s[12:13]
	s_cbranch_execnz .LBB373_777
; %bb.775:                              ;   in Loop: Header=BB373_284 Depth=1
	s_andn2_saveexec_b64 s[12:13], s[2:3]
	s_cbranch_execnz .LBB373_778
.LBB373_776:                            ;   in Loop: Header=BB373_284 Depth=1
	s_or_b64 exec, exec, s[12:13]
	s_and_saveexec_b64 s[12:13], vcc
	s_cbranch_execz .LBB373_283
	s_branch .LBB373_779
.LBB373_777:                            ;   in Loop: Header=BB373_284 Depth=1
	v_bfe_u32 v5, v4, 16, 1
	v_add3_u32 v34, v4, v5, s15
                                        ; implicit-def: $vgpr4
	s_andn2_saveexec_b64 s[12:13], s[2:3]
	s_cbranch_execz .LBB373_776
.LBB373_778:                            ;   in Loop: Header=BB373_284 Depth=1
	v_or_b32_e32 v5, 0x10000, v4
	v_cmp_eq_u32_sdwa s[2:3], v4, v29 src0_sel:WORD_0 src1_sel:DWORD
	s_nop 1
	v_cndmask_b32_e64 v34, v5, v4, s[2:3]
	s_or_b64 exec, exec, s[12:13]
	s_and_saveexec_b64 s[12:13], vcc
	s_cbranch_execz .LBB373_283
.LBB373_779:                            ;   in Loop: Header=BB373_284 Depth=1
	v_accvgpr_read_b32 v4, a18
	v_accvgpr_read_b32 v5, a19
	v_lshl_add_u64 v[0:1], v[0:1], 0, v[4:5]
	flat_load_dwordx2 v[0:1], v[0:1]
	s_nop 0
	scratch_load_dwordx2 v[4:5], off, s32 offset:244 ; 8-byte Folded Reload
                                        ; implicit-def: $vgpr16
	s_waitcnt vmcnt(0)
	flat_load_dword v5, v[4:5]
	s_waitcnt lgkmcnt(0)
	v_and_b32_e32 v4, 0xff, v0
	v_cvt_f32_fp8_sdwa v4, v4 src0_sel:BYTE_0
	s_waitcnt vmcnt(0)
	v_mul_f32_e32 v4, v5, v4
	v_and_b32_e32 v12, 0x7f800000, v4
	v_cmp_ne_u32_e64 s[2:3], s5, v12
	s_and_saveexec_b64 s[20:21], s[2:3]
	s_xor_b64 s[2:3], exec, s[20:21]
; %bb.780:                              ;   in Loop: Header=BB373_284 Depth=1
	v_bfe_u32 v12, v4, 16, 1
	v_add3_u32 v16, v4, v12, s15
                                        ; implicit-def: $vgpr4
; %bb.781:                              ;   in Loop: Header=BB373_284 Depth=1
	s_andn2_saveexec_b64 s[20:21], s[2:3]
; %bb.782:                              ;   in Loop: Header=BB373_284 Depth=1
	v_or_b32_e32 v12, 0x10000, v4
	v_cmp_eq_u32_sdwa s[2:3], v4, v29 src0_sel:WORD_0 src1_sel:DWORD
	s_nop 1
	v_cndmask_b32_e64 v16, v12, v4, s[2:3]
; %bb.783:                              ;   in Loop: Header=BB373_284 Depth=1
	s_or_b64 exec, exec, s[20:21]
	v_bfe_u32 v4, v0, 8, 8
	v_cvt_f32_fp8_sdwa v4, v4 src0_sel:BYTE_0
	s_nop 0
	v_mul_f32_e32 v12, v5, v4
	v_and_b32_e32 v4, 0x7f800000, v12
	v_cmp_ne_u32_e64 s[2:3], s5, v4
                                        ; implicit-def: $vgpr4
	s_and_saveexec_b64 s[20:21], s[2:3]
	s_xor_b64 s[2:3], exec, s[20:21]
; %bb.784:                              ;   in Loop: Header=BB373_284 Depth=1
	v_bfe_u32 v4, v12, 16, 1
	v_add3_u32 v4, v12, v4, s15
                                        ; implicit-def: $vgpr12
; %bb.785:                              ;   in Loop: Header=BB373_284 Depth=1
	s_andn2_saveexec_b64 s[20:21], s[2:3]
; %bb.786:                              ;   in Loop: Header=BB373_284 Depth=1
	v_or_b32_e32 v4, 0x10000, v12
	v_cmp_eq_u32_sdwa s[2:3], v12, v29 src0_sel:WORD_0 src1_sel:DWORD
	s_nop 1
	v_cndmask_b32_e64 v4, v4, v12, s[2:3]
; %bb.787:                              ;   in Loop: Header=BB373_284 Depth=1
	s_or_b64 exec, exec, s[20:21]
	v_bfe_u32 v12, v0, 16, 8
	v_cvt_f32_fp8_sdwa v12, v12 src0_sel:BYTE_0
                                        ; implicit-def: $vgpr23
	s_nop 0
	v_mul_f32_e32 v12, v5, v12
	v_and_b32_e32 v13, 0x7f800000, v12
	v_cmp_ne_u32_e64 s[2:3], s5, v13
	s_and_saveexec_b64 s[20:21], s[2:3]
	s_xor_b64 s[2:3], exec, s[20:21]
; %bb.788:                              ;   in Loop: Header=BB373_284 Depth=1
	v_bfe_u32 v13, v12, 16, 1
	v_add3_u32 v23, v12, v13, s15
                                        ; implicit-def: $vgpr12
; %bb.789:                              ;   in Loop: Header=BB373_284 Depth=1
	s_andn2_saveexec_b64 s[20:21], s[2:3]
; %bb.790:                              ;   in Loop: Header=BB373_284 Depth=1
	v_or_b32_e32 v13, 0x10000, v12
	v_cmp_eq_u32_sdwa s[2:3], v12, v29 src0_sel:WORD_0 src1_sel:DWORD
	s_nop 1
	v_cndmask_b32_e64 v23, v13, v12, s[2:3]
; %bb.791:                              ;   in Loop: Header=BB373_284 Depth=1
	s_or_b64 exec, exec, s[20:21]
	v_lshrrev_b32_e32 v0, 24, v0
	v_cvt_f32_fp8_sdwa v0, v0 src0_sel:BYTE_0
	s_nop 0
	v_mul_f32_e32 v12, v5, v0
	v_and_b32_e32 v0, 0x7f800000, v12
	v_cmp_ne_u32_e64 s[2:3], s5, v0
                                        ; implicit-def: $vgpr0
	s_and_saveexec_b64 s[20:21], s[2:3]
	s_xor_b64 s[2:3], exec, s[20:21]
; %bb.792:                              ;   in Loop: Header=BB373_284 Depth=1
	v_bfe_u32 v0, v12, 16, 1
	v_add3_u32 v0, v12, v0, s15
                                        ; implicit-def: $vgpr12
; %bb.793:                              ;   in Loop: Header=BB373_284 Depth=1
	s_andn2_saveexec_b64 s[20:21], s[2:3]
; %bb.794:                              ;   in Loop: Header=BB373_284 Depth=1
	v_or_b32_e32 v0, 0x10000, v12
	v_cmp_eq_u32_sdwa s[2:3], v12, v29 src0_sel:WORD_0 src1_sel:DWORD
	s_nop 1
	v_cndmask_b32_e64 v0, v0, v12, s[2:3]
; %bb.795:                              ;   in Loop: Header=BB373_284 Depth=1
	s_or_b64 exec, exec, s[20:21]
	v_and_b32_e32 v12, 0xff, v1
	v_cvt_f32_fp8_sdwa v12, v12 src0_sel:BYTE_0
                                        ; implicit-def: $vgpr32
	s_nop 0
	v_mul_f32_e32 v12, v5, v12
	v_and_b32_e32 v13, 0x7f800000, v12
	v_cmp_ne_u32_e64 s[2:3], s5, v13
	s_and_saveexec_b64 s[20:21], s[2:3]
	s_xor_b64 s[2:3], exec, s[20:21]
; %bb.796:                              ;   in Loop: Header=BB373_284 Depth=1
	v_bfe_u32 v13, v12, 16, 1
	v_add3_u32 v32, v12, v13, s15
                                        ; implicit-def: $vgpr12
; %bb.797:                              ;   in Loop: Header=BB373_284 Depth=1
	s_andn2_saveexec_b64 s[20:21], s[2:3]
; %bb.798:                              ;   in Loop: Header=BB373_284 Depth=1
	v_or_b32_e32 v13, 0x10000, v12
	v_cmp_eq_u32_sdwa s[2:3], v12, v29 src0_sel:WORD_0 src1_sel:DWORD
	s_nop 1
	v_cndmask_b32_e64 v32, v13, v12, s[2:3]
; %bb.799:                              ;   in Loop: Header=BB373_284 Depth=1
	s_or_b64 exec, exec, s[20:21]
	v_bfe_u32 v12, v1, 8, 8
	v_cvt_f32_fp8_sdwa v12, v12 src0_sel:BYTE_0
                                        ; implicit-def: $vgpr39
	s_nop 0
	v_mul_f32_e32 v12, v5, v12
	v_and_b32_e32 v13, 0x7f800000, v12
	v_cmp_ne_u32_e64 s[2:3], s5, v13
	s_and_saveexec_b64 s[20:21], s[2:3]
	s_xor_b64 s[2:3], exec, s[20:21]
; %bb.800:                              ;   in Loop: Header=BB373_284 Depth=1
	v_bfe_u32 v13, v12, 16, 1
	v_add3_u32 v39, v12, v13, s15
                                        ; implicit-def: $vgpr12
; %bb.801:                              ;   in Loop: Header=BB373_284 Depth=1
	s_andn2_saveexec_b64 s[20:21], s[2:3]
; %bb.802:                              ;   in Loop: Header=BB373_284 Depth=1
	v_or_b32_e32 v13, 0x10000, v12
	v_cmp_eq_u32_sdwa s[2:3], v12, v29 src0_sel:WORD_0 src1_sel:DWORD
	s_nop 1
	v_cndmask_b32_e64 v39, v13, v12, s[2:3]
; %bb.803:                              ;   in Loop: Header=BB373_284 Depth=1
	s_or_b64 exec, exec, s[20:21]
	v_bfe_u32 v12, v1, 16, 8
	v_cvt_f32_fp8_sdwa v12, v12 src0_sel:BYTE_0
	s_nop 0
	v_mul_f32_e32 v13, v5, v12
	v_and_b32_e32 v12, 0x7f800000, v13
	v_cmp_ne_u32_e64 s[2:3], s5, v12
                                        ; implicit-def: $vgpr12
	s_and_saveexec_b64 s[20:21], s[2:3]
	s_xor_b64 s[2:3], exec, s[20:21]
; %bb.804:                              ;   in Loop: Header=BB373_284 Depth=1
	v_bfe_u32 v12, v13, 16, 1
	v_add3_u32 v12, v13, v12, s15
                                        ; implicit-def: $vgpr13
; %bb.805:                              ;   in Loop: Header=BB373_284 Depth=1
	s_andn2_saveexec_b64 s[20:21], s[2:3]
; %bb.806:                              ;   in Loop: Header=BB373_284 Depth=1
	v_or_b32_e32 v12, 0x10000, v13
	v_cmp_eq_u32_sdwa s[2:3], v13, v29 src0_sel:WORD_0 src1_sel:DWORD
	s_nop 1
	v_cndmask_b32_e64 v12, v12, v13, s[2:3]
; %bb.807:                              ;   in Loop: Header=BB373_284 Depth=1
	s_or_b64 exec, exec, s[20:21]
	v_lshrrev_b32_e32 v1, 24, v1
	v_cvt_f32_fp8_sdwa v1, v1 src0_sel:BYTE_0
                                        ; implicit-def: $vgpr13
	s_nop 0
	v_mul_f32_e32 v1, v5, v1
	v_and_b32_e32 v5, 0x7f800000, v1
	v_cmp_ne_u32_e64 s[2:3], s5, v5
	s_and_saveexec_b64 s[20:21], s[2:3]
	s_xor_b64 s[2:3], exec, s[20:21]
; %bb.808:                              ;   in Loop: Header=BB373_284 Depth=1
	v_bfe_u32 v5, v1, 16, 1
	v_add3_u32 v13, v1, v5, s15
                                        ; implicit-def: $vgpr1
; %bb.809:                              ;   in Loop: Header=BB373_284 Depth=1
	s_andn2_saveexec_b64 s[20:21], s[2:3]
; %bb.810:                              ;   in Loop: Header=BB373_284 Depth=1
	v_or_b32_e32 v5, 0x10000, v1
	v_cmp_eq_u32_sdwa s[2:3], v1, v29 src0_sel:WORD_0 src1_sel:DWORD
	s_nop 1
	v_cndmask_b32_e64 v13, v5, v1, s[2:3]
; %bb.811:                              ;   in Loop: Header=BB373_284 Depth=1
	s_or_b64 exec, exec, s[20:21]
	v_lshrrev_b32_e32 v5, 16, v39
	v_lshrrev_b32_e32 v32, 16, v32
	v_lshrrev_b32_e32 v39, 16, v0
	v_lshrrev_b32_e32 v23, 16, v23
	v_lshrrev_b32_e32 v4, 16, v4
	v_lshrrev_b32_e32 v1, 16, v16
	v_lshrrev_b32_e32 v16, 16, v12
	v_lshrrev_b32_e32 v0, 16, v13
	s_and_saveexec_b64 s[2:3], s[0:1]
	s_cbranch_execz .LBB373_813
; %bb.812:                              ;   in Loop: Header=BB373_284 Depth=1
	v_accvgpr_read_b32 v12, a27
	v_cmp_lt_i32_e64 s[0:1], v12, v35
	v_add_u32_e32 v12, -6, v17
	s_nop 0
	v_cndmask_b32_e64 v1, 0, v1, s[0:1]
	v_cmp_lt_i32_e64 s[0:1], v12, v35
	v_add_u32_e32 v12, -5, v17
	s_nop 0
	v_cndmask_b32_e64 v4, 0, v4, s[0:1]
	;; [unrolled: 4-line block ×6, first 2 shown]
	v_cmp_lt_i32_e64 s[0:1], v12, v35
	s_nop 1
	v_cndmask_b32_e64 v16, 0, v16, s[0:1]
	v_cmp_lt_i32_e64 s[0:1], v17, v35
	s_nop 1
	v_cndmask_b32_e64 v0, 0, v0, s[0:1]
.LBB373_813:                            ;   in Loop: Header=BB373_284 Depth=1
	s_or_b64 exec, exec, s[2:3]
	v_lshlrev_b32_e32 v1, 16, v1
	v_mul_f32_e32 v12, v40, v1
	v_and_b32_e32 v1, 0x7f800000, v12
	v_cmp_ne_u32_e64 s[0:1], s5, v1
                                        ; implicit-def: $vgpr1
	s_and_saveexec_b64 s[2:3], s[0:1]
	s_xor_b64 s[0:1], exec, s[2:3]
; %bb.814:                              ;   in Loop: Header=BB373_284 Depth=1
	v_bfe_u32 v1, v12, 16, 1
	v_add3_u32 v1, v12, v1, s15
                                        ; implicit-def: $vgpr12
; %bb.815:                              ;   in Loop: Header=BB373_284 Depth=1
	s_andn2_saveexec_b64 s[2:3], s[0:1]
; %bb.816:                              ;   in Loop: Header=BB373_284 Depth=1
	v_or_b32_e32 v1, 0x10000, v12
	v_cmp_eq_u32_sdwa s[0:1], v12, v29 src0_sel:WORD_0 src1_sel:DWORD
	s_nop 1
	v_cndmask_b32_e64 v1, v1, v12, s[0:1]
; %bb.817:                              ;   in Loop: Header=BB373_284 Depth=1
	s_or_b64 exec, exec, s[2:3]
	v_lshlrev_b32_e32 v4, 16, v4
	v_mul_f32_e32 v12, v41, v4
	v_and_b32_e32 v4, 0x7f800000, v12
	v_cmp_ne_u32_e64 s[0:1], s5, v4
                                        ; implicit-def: $vgpr4
	s_and_saveexec_b64 s[2:3], s[0:1]
	s_xor_b64 s[0:1], exec, s[2:3]
; %bb.818:                              ;   in Loop: Header=BB373_284 Depth=1
	v_bfe_u32 v4, v12, 16, 1
	v_add3_u32 v4, v12, v4, s15
                                        ; implicit-def: $vgpr12
; %bb.819:                              ;   in Loop: Header=BB373_284 Depth=1
	s_andn2_saveexec_b64 s[2:3], s[0:1]
; %bb.820:                              ;   in Loop: Header=BB373_284 Depth=1
	v_or_b32_e32 v4, 0x10000, v12
	v_cmp_eq_u32_sdwa s[0:1], v12, v29 src0_sel:WORD_0 src1_sel:DWORD
	s_nop 1
	v_cndmask_b32_e64 v4, v4, v12, s[0:1]
; %bb.821:                              ;   in Loop: Header=BB373_284 Depth=1
	s_or_b64 exec, exec, s[2:3]
	v_lshlrev_b32_e32 v12, 16, v23
	v_mul_f32_e32 v12, v42, v12
	v_and_b32_e32 v13, 0x7f800000, v12
	v_cmp_ne_u32_e64 s[0:1], s5, v13
                                        ; implicit-def: $vgpr23
	s_and_saveexec_b64 s[2:3], s[0:1]
	s_xor_b64 s[0:1], exec, s[2:3]
; %bb.822:                              ;   in Loop: Header=BB373_284 Depth=1
	v_bfe_u32 v13, v12, 16, 1
	v_add3_u32 v23, v12, v13, s15
                                        ; implicit-def: $vgpr12
; %bb.823:                              ;   in Loop: Header=BB373_284 Depth=1
	s_andn2_saveexec_b64 s[2:3], s[0:1]
; %bb.824:                              ;   in Loop: Header=BB373_284 Depth=1
	v_or_b32_e32 v13, 0x10000, v12
	v_cmp_eq_u32_sdwa s[0:1], v12, v29 src0_sel:WORD_0 src1_sel:DWORD
	s_nop 1
	v_cndmask_b32_e64 v23, v13, v12, s[0:1]
; %bb.825:                              ;   in Loop: Header=BB373_284 Depth=1
	s_or_b64 exec, exec, s[2:3]
	v_lshlrev_b32_e32 v12, 16, v39
	v_mul_f32_e32 v12, v43, v12
	v_and_b32_e32 v13, 0x7f800000, v12
	v_cmp_ne_u32_e64 s[0:1], s5, v13
                                        ; implicit-def: $vgpr40
	s_and_saveexec_b64 s[2:3], s[0:1]
	s_xor_b64 s[0:1], exec, s[2:3]
; %bb.826:                              ;   in Loop: Header=BB373_284 Depth=1
	v_bfe_u32 v13, v12, 16, 1
	v_add3_u32 v40, v12, v13, s15
                                        ; implicit-def: $vgpr12
; %bb.827:                              ;   in Loop: Header=BB373_284 Depth=1
	s_andn2_saveexec_b64 s[2:3], s[0:1]
; %bb.828:                              ;   in Loop: Header=BB373_284 Depth=1
	v_or_b32_e32 v13, 0x10000, v12
	v_cmp_eq_u32_sdwa s[0:1], v12, v29 src0_sel:WORD_0 src1_sel:DWORD
	s_nop 1
	v_cndmask_b32_e64 v40, v13, v12, s[0:1]
; %bb.829:                              ;   in Loop: Header=BB373_284 Depth=1
	s_or_b64 exec, exec, s[2:3]
	v_lshlrev_b32_e32 v12, 16, v32
	v_mul_f32_e32 v12, v44, v12
	v_and_b32_e32 v13, 0x7f800000, v12
	v_cmp_ne_u32_e64 s[0:1], s5, v13
                                        ; implicit-def: $vgpr32
	s_and_saveexec_b64 s[2:3], s[0:1]
	s_xor_b64 s[0:1], exec, s[2:3]
; %bb.830:                              ;   in Loop: Header=BB373_284 Depth=1
	v_bfe_u32 v13, v12, 16, 1
	v_add3_u32 v32, v12, v13, s15
                                        ; implicit-def: $vgpr12
; %bb.831:                              ;   in Loop: Header=BB373_284 Depth=1
	s_andn2_saveexec_b64 s[2:3], s[0:1]
; %bb.832:                              ;   in Loop: Header=BB373_284 Depth=1
	v_or_b32_e32 v13, 0x10000, v12
	v_cmp_eq_u32_sdwa s[0:1], v12, v29 src0_sel:WORD_0 src1_sel:DWORD
	s_nop 1
	v_cndmask_b32_e64 v32, v13, v12, s[0:1]
; %bb.833:                              ;   in Loop: Header=BB373_284 Depth=1
	s_or_b64 exec, exec, s[2:3]
	v_lshlrev_b32_e32 v5, 16, v5
	v_mul_f32_e32 v12, v45, v5
	v_and_b32_e32 v5, 0x7f800000, v12
	v_cmp_ne_u32_e64 s[0:1], s5, v5
                                        ; implicit-def: $vgpr5
	s_and_saveexec_b64 s[2:3], s[0:1]
	s_xor_b64 s[0:1], exec, s[2:3]
; %bb.834:                              ;   in Loop: Header=BB373_284 Depth=1
	v_bfe_u32 v5, v12, 16, 1
	v_add3_u32 v5, v12, v5, s15
                                        ; implicit-def: $vgpr12
; %bb.835:                              ;   in Loop: Header=BB373_284 Depth=1
	s_andn2_saveexec_b64 s[2:3], s[0:1]
; %bb.836:                              ;   in Loop: Header=BB373_284 Depth=1
	v_or_b32_e32 v5, 0x10000, v12
	v_cmp_eq_u32_sdwa s[0:1], v12, v29 src0_sel:WORD_0 src1_sel:DWORD
	s_nop 1
	v_cndmask_b32_e64 v5, v5, v12, s[0:1]
; %bb.837:                              ;   in Loop: Header=BB373_284 Depth=1
	s_or_b64 exec, exec, s[2:3]
	v_lshlrev_b32_e32 v12, 16, v16
	v_mul_f32_e32 v13, v46, v12
	v_and_b32_e32 v12, 0x7f800000, v13
	v_cmp_ne_u32_e64 s[0:1], s5, v12
                                        ; implicit-def: $vgpr12
	s_and_saveexec_b64 s[2:3], s[0:1]
	s_xor_b64 s[0:1], exec, s[2:3]
; %bb.838:                              ;   in Loop: Header=BB373_284 Depth=1
	v_bfe_u32 v12, v13, 16, 1
	v_add3_u32 v12, v13, v12, s15
                                        ; implicit-def: $vgpr13
; %bb.839:                              ;   in Loop: Header=BB373_284 Depth=1
	s_andn2_saveexec_b64 s[2:3], s[0:1]
; %bb.840:                              ;   in Loop: Header=BB373_284 Depth=1
	v_or_b32_e32 v12, 0x10000, v13
	v_cmp_eq_u32_sdwa s[0:1], v13, v29 src0_sel:WORD_0 src1_sel:DWORD
	s_nop 1
	v_cndmask_b32_e64 v12, v12, v13, s[0:1]
; %bb.841:                              ;   in Loop: Header=BB373_284 Depth=1
	s_or_b64 exec, exec, s[2:3]
	v_lshlrev_b32_e32 v0, 16, v0
	v_mul_f32_e32 v0, v47, v0
	v_and_b32_e32 v13, 0x7f800000, v0
	v_cmp_ne_u32_e64 s[0:1], s5, v13
                                        ; implicit-def: $vgpr13
	s_and_saveexec_b64 s[2:3], s[0:1]
	s_xor_b64 s[0:1], exec, s[2:3]
; %bb.842:                              ;   in Loop: Header=BB373_284 Depth=1
	v_bfe_u32 v13, v0, 16, 1
	v_add3_u32 v13, v0, v13, s15
                                        ; implicit-def: $vgpr0
; %bb.843:                              ;   in Loop: Header=BB373_284 Depth=1
	s_andn2_saveexec_b64 s[2:3], s[0:1]
	s_cbranch_execz .LBB373_282
; %bb.844:                              ;   in Loop: Header=BB373_284 Depth=1
	v_or_b32_e32 v13, 0x10000, v0
	v_cmp_eq_u32_sdwa s[0:1], v0, v29 src0_sel:WORD_0 src1_sel:DWORD
	s_nop 1
	v_cndmask_b32_e64 v13, v13, v0, s[0:1]
	s_branch .LBB373_282
.LBB373_845:
	s_or_b64 exec, exec, s[8:9]
	v_accvgpr_read_b32 v17, a13
	v_accvgpr_read_b32 v22, a7
	;; [unrolled: 1-line block ×6, first 2 shown]
.LBB373_846:
	s_or_b64 exec, exec, s[6:7]
	ds_bpermute_b32 v0, v22, v24
	ds_bpermute_b32 v1, v22, v25
	;; [unrolled: 1-line block ×4, first 2 shown]
	s_waitcnt lgkmcnt(0)
	s_barrier
	v_pk_add_f32 v[0:1], v[24:25], v[0:1]
	ds_bpermute_b32 v4, v23, v0
	ds_bpermute_b32 v5, v23, v1
	v_pk_add_f32 v[14:15], v[16:17], v[8:9]
	s_waitcnt lgkmcnt(0)
	ds_bpermute_b32 v2, v22, v20
	ds_bpermute_b32 v3, v22, v21
	v_pk_add_f32 v[8:9], v[0:1], v[4:5]
	scratch_load_dword v5, off, s32 offset:256 ; 4-byte Folded Reload
	ds_bpermute_b32 v6, v22, v18
	ds_bpermute_b32 v7, v22, v19
	s_waitcnt lgkmcnt(0)
	v_pk_add_f32 v[2:3], v[20:21], v[2:3]
	ds_bpermute_b32 v10, v23, v2
	ds_bpermute_b32 v11, v23, v3
	;; [unrolled: 1-line block ×3, first 2 shown]
	v_pk_add_f32 v[6:7], v[18:19], v[6:7]
	ds_bpermute_b32 v12, v23, v6
	ds_bpermute_b32 v13, v23, v7
	;; [unrolled: 1-line block ×3, first 2 shown]
	s_waitcnt lgkmcnt(0)
	v_pk_add_f32 v[2:3], v[2:3], v[10:11]
	v_pk_add_f32 v[0:1], v[6:7], v[12:13]
	;; [unrolled: 1-line block ×3, first 2 shown]
	s_waitcnt vmcnt(0)
	v_and_b32_e32 v4, 0x3c0, v5
	v_cmp_eq_u32_e32 vcc, 64, v4
	s_and_saveexec_b64 s[2:3], vcc
	s_cbranch_execz .LBB373_851
; %bb.847:
	v_cmp_eq_u32_e32 vcc, 0, v26
	s_and_saveexec_b64 s[0:1], vcc
	s_cbranch_execz .LBB373_849
; %bb.848:
	s_ashr_i32 s17, s16, 31
	s_lshl_b64 s[6:7], s[16:17], 2
	s_getpc_b64 s[8:9]
	s_add_u32 s8, s8, llvm.amdgcn.dynlds.offset.table@rel32@lo+4
	s_addc_u32 s9, s9, llvm.amdgcn.dynlds.offset.table@rel32@hi+12
	s_add_u32 s6, s6, s8
	s_addc_u32 s7, s7, s9
	s_load_dword s5, s[6:7], 0x0
	s_waitcnt lgkmcnt(0)
	v_lshl_add_u32 v4, v27, 2, s5
	ds_write2_b32 v4, v8, v9 offset1:16
	ds_write2_b32 v4, v2, v3 offset0:32 offset1:48
	ds_write2_b32 v4, v0, v1 offset0:64 offset1:80
	ds_write_b32 v4, v6 offset:384
.LBB373_849:
	s_or_b64 exec, exec, s[0:1]
	v_or_b32_e32 v4, 0x70, v27
	s_movk_i32 s0, 0x78
	v_cmp_gt_u32_e64 s[0:1], s0, v4
	s_and_b64 s[0:1], vcc, s[0:1]
	s_and_b64 exec, exec, s[0:1]
	s_cbranch_execz .LBB373_851
; %bb.850:
	s_ashr_i32 s17, s16, 31
	s_lshl_b64 s[0:1], s[16:17], 2
	s_getpc_b64 s[6:7]
	s_add_u32 s6, s6, llvm.amdgcn.dynlds.offset.table@rel32@lo+4
	s_addc_u32 s7, s7, llvm.amdgcn.dynlds.offset.table@rel32@hi+12
	s_add_u32 s0, s0, s6
	s_addc_u32 s1, s1, s7
	s_load_dword s0, s[0:1], 0x0
	s_waitcnt lgkmcnt(0)
	v_lshl_add_u32 v4, v27, 2, s0
	ds_write_b32 v4, v7 offset:448
.LBB373_851:
	s_or_b64 exec, exec, s[2:3]
	v_cmp_gt_u32_e32 vcc, 64, v5
	v_lshrrev_b32_e32 v12, 2, v5
	s_waitcnt lgkmcnt(0)
	s_barrier
	s_and_saveexec_b64 s[6:7], vcc
	s_cbranch_execz .LBB373_863
; %bb.852:
	v_cmp_eq_u32_e64 s[0:1], 0, v26
	s_and_saveexec_b64 s[2:3], s[0:1]
	s_cbranch_execnz .LBB373_901
; %bb.853:
	s_or_b64 exec, exec, s[2:3]
	s_and_saveexec_b64 s[2:3], s[0:1]
	s_cbranch_execnz .LBB373_902
.LBB373_854:
	s_or_b64 exec, exec, s[2:3]
	s_and_saveexec_b64 s[2:3], s[0:1]
	s_cbranch_execnz .LBB373_903
.LBB373_855:
	s_or_b64 exec, exec, s[2:3]
	s_and_saveexec_b64 s[2:3], s[0:1]
	s_cbranch_execnz .LBB373_904
.LBB373_856:
	s_or_b64 exec, exec, s[2:3]
	s_and_saveexec_b64 s[2:3], s[0:1]
	s_cbranch_execnz .LBB373_905
.LBB373_857:
	s_or_b64 exec, exec, s[2:3]
	s_and_saveexec_b64 s[2:3], s[0:1]
	s_cbranch_execnz .LBB373_906
.LBB373_858:
	s_or_b64 exec, exec, s[2:3]
	s_and_saveexec_b64 s[2:3], s[0:1]
	s_cbranch_execz .LBB373_860
.LBB373_859:
	s_ashr_i32 s17, s16, 31
	s_lshl_b64 s[8:9], s[16:17], 2
	s_getpc_b64 s[12:13]
	s_add_u32 s12, s12, llvm.amdgcn.dynlds.offset.table@rel32@lo+4
	s_addc_u32 s13, s13, llvm.amdgcn.dynlds.offset.table@rel32@hi+12
	s_add_u32 s8, s8, s12
	s_addc_u32 s9, s9, s13
	s_load_dword s5, s[8:9], 0x0
	s_waitcnt lgkmcnt(0)
	v_lshl_add_u32 v4, v12, 2, s5
	ds_read_b32 v4, v4 offset:384
	s_waitcnt lgkmcnt(0)
	v_add_f32_e32 v6, v6, v4
.LBB373_860:
	s_or_b64 exec, exec, s[2:3]
	v_or_b32_e32 v4, 0x70, v12
	s_movk_i32 s2, 0x78
	v_cmp_gt_u32_e64 s[2:3], s2, v4
	s_and_b64 s[2:3], s[0:1], s[2:3]
	s_and_saveexec_b64 s[0:1], s[2:3]
	s_cbranch_execz .LBB373_862
; %bb.861:
	s_ashr_i32 s17, s16, 31
	s_lshl_b64 s[2:3], s[16:17], 2
	s_getpc_b64 s[8:9]
	s_add_u32 s8, s8, llvm.amdgcn.dynlds.offset.table@rel32@lo+4
	s_addc_u32 s9, s9, llvm.amdgcn.dynlds.offset.table@rel32@hi+12
	s_add_u32 s2, s2, s8
	s_addc_u32 s3, s3, s9
	s_load_dword s2, s[2:3], 0x0
	s_waitcnt lgkmcnt(0)
	v_lshl_add_u32 v4, v12, 2, s2
	ds_read_b32 v4, v4 offset:448
	s_waitcnt lgkmcnt(0)
	v_add_f32_e32 v7, v7, v4
.LBB373_862:
	s_or_b64 exec, exec, s[0:1]
.LBB373_863:
	s_or_b64 exec, exec, s[6:7]
	s_barrier
	s_and_b64 exec, exec, vcc
	s_cbranch_execz .LBB373_900
; %bb.864:
	scratch_load_dwordx2 v[4:5], off, s32 offset:260 ; 8-byte Folded Reload
	s_mul_i32 s0, s4, 0x78
	s_mul_i32 s2, s18, s19
	;; [unrolled: 1-line block ×3, first 2 shown]
	s_ashr_i32 s1, s0, 31
	s_ashr_i32 s3, s2, 31
	;; [unrolled: 1-line block ×3, first 2 shown]
	s_lshl_b64 s[0:1], s[0:1], 1
	s_lshl_b64 s[2:3], s[2:3], 1
	;; [unrolled: 1-line block ×3, first 2 shown]
	s_add_u32 s2, s4, s2
	s_addc_u32 s3, s5, s3
	s_add_u32 s0, s2, s0
	s_addc_u32 s1, s3, s1
	v_cmp_eq_u32_e32 vcc, 0, v26
	s_waitcnt vmcnt(0)
	v_lshl_add_u64 v[10:11], s[0:1], 0, v[4:5]
	s_and_saveexec_b64 s[2:3], vcc
	s_cbranch_execz .LBB373_894
; %bb.865:
	s_mov_b32 s0, 0x7f800000
	v_and_b32_e32 v4, 0x7f800000, v8
	v_cmp_ne_u32_e64 s[0:1], s0, v4
                                        ; implicit-def: $vgpr13
	s_and_saveexec_b64 s[4:5], s[0:1]
	s_xor_b64 s[0:1], exec, s[4:5]
; %bb.866:
	v_bfe_u32 v4, v8, 16, 1
	s_movk_i32 s4, 0x7fff
	v_add3_u32 v13, v8, v4, s4
; %bb.867:
	s_andn2_saveexec_b64 s[4:5], s[0:1]
; %bb.868:
	v_mov_b32_e32 v4, 0
	v_or_b32_e32 v5, 0x10000, v8
	v_cmp_eq_u32_sdwa s[0:1], v8, v4 src0_sel:WORD_0 src1_sel:DWORD
	s_nop 1
	v_cndmask_b32_e64 v13, v5, v8, s[0:1]
; %bb.869:
	s_or_b64 exec, exec, s[4:5]
	v_lshlrev_b32_e32 v4, 1, v12
	v_mov_b32_e32 v5, 0
	s_mov_b32 s0, 0x7f800000
	v_and_b32_e32 v8, 0x7f800000, v9
	v_lshl_add_u64 v[4:5], v[10:11], 0, v[4:5]
	v_cmp_ne_u32_e64 s[0:1], s0, v8
	flat_store_short_d16_hi v[4:5], v13
                                        ; implicit-def: $vgpr8
	s_and_saveexec_b64 s[4:5], s[0:1]
	s_xor_b64 s[0:1], exec, s[4:5]
; %bb.870:
	v_bfe_u32 v8, v9, 16, 1
	s_movk_i32 s4, 0x7fff
	v_add3_u32 v8, v9, v8, s4
; %bb.871:
	s_andn2_saveexec_b64 s[4:5], s[0:1]
; %bb.872:
	v_mov_b32_e32 v8, 0
	v_or_b32_e32 v13, 0x10000, v9
	v_cmp_eq_u32_sdwa s[0:1], v9, v8 src0_sel:WORD_0 src1_sel:DWORD
	s_nop 1
	v_cndmask_b32_e64 v8, v13, v9, s[0:1]
; %bb.873:
	s_or_b64 exec, exec, s[4:5]
	flat_store_short_d16_hi v[4:5], v8 offset:32
	s_mov_b32 s0, 0x7f800000
	v_and_b32_e32 v8, 0x7f800000, v2
	v_cmp_ne_u32_e64 s[0:1], s0, v8
                                        ; implicit-def: $vgpr8
	s_and_saveexec_b64 s[4:5], s[0:1]
	s_xor_b64 s[0:1], exec, s[4:5]
; %bb.874:
	v_bfe_u32 v8, v2, 16, 1
	s_movk_i32 s4, 0x7fff
	v_add3_u32 v8, v2, v8, s4
; %bb.875:
	s_andn2_saveexec_b64 s[4:5], s[0:1]
; %bb.876:
	v_mov_b32_e32 v8, 0
	v_or_b32_e32 v9, 0x10000, v2
	v_cmp_eq_u32_sdwa s[0:1], v2, v8 src0_sel:WORD_0 src1_sel:DWORD
	s_nop 1
	v_cndmask_b32_e64 v8, v9, v2, s[0:1]
; %bb.877:
	s_or_b64 exec, exec, s[4:5]
	s_mov_b32 s0, 0x7f800000
	v_and_b32_e32 v2, 0x7f800000, v3
	v_cmp_ne_u32_e64 s[0:1], s0, v2
	flat_store_short_d16_hi v[4:5], v8 offset:64
                                        ; implicit-def: $vgpr2
	s_and_saveexec_b64 s[4:5], s[0:1]
	s_xor_b64 s[0:1], exec, s[4:5]
; %bb.878:
	v_bfe_u32 v2, v3, 16, 1
	s_movk_i32 s4, 0x7fff
	v_add3_u32 v2, v3, v2, s4
; %bb.879:
	s_andn2_saveexec_b64 s[4:5], s[0:1]
; %bb.880:
	v_mov_b32_e32 v2, 0
	v_or_b32_e32 v8, 0x10000, v3
	v_cmp_eq_u32_sdwa s[0:1], v3, v2 src0_sel:WORD_0 src1_sel:DWORD
	s_nop 1
	v_cndmask_b32_e64 v2, v8, v3, s[0:1]
; %bb.881:
	s_or_b64 exec, exec, s[4:5]
	flat_store_short_d16_hi v[4:5], v2 offset:96
	s_mov_b32 s0, 0x7f800000
	v_and_b32_e32 v2, 0x7f800000, v0
	v_cmp_ne_u32_e64 s[0:1], s0, v2
                                        ; implicit-def: $vgpr2
	s_and_saveexec_b64 s[4:5], s[0:1]
	s_xor_b64 s[0:1], exec, s[4:5]
; %bb.882:
	v_bfe_u32 v2, v0, 16, 1
	s_movk_i32 s4, 0x7fff
	v_add3_u32 v2, v0, v2, s4
; %bb.883:
	s_andn2_saveexec_b64 s[4:5], s[0:1]
; %bb.884:
	v_mov_b32_e32 v2, 0
	v_or_b32_e32 v3, 0x10000, v0
	v_cmp_eq_u32_sdwa s[0:1], v0, v2 src0_sel:WORD_0 src1_sel:DWORD
	s_nop 1
	v_cndmask_b32_e64 v2, v3, v0, s[0:1]
; %bb.885:
	s_or_b64 exec, exec, s[4:5]
	s_mov_b32 s0, 0x7f800000
	v_and_b32_e32 v0, 0x7f800000, v1
	v_cmp_ne_u32_e64 s[0:1], s0, v0
	flat_store_short_d16_hi v[4:5], v2 offset:128
                                        ; implicit-def: $vgpr0
	s_and_saveexec_b64 s[4:5], s[0:1]
	s_xor_b64 s[0:1], exec, s[4:5]
; %bb.886:
	v_bfe_u32 v0, v1, 16, 1
	s_movk_i32 s4, 0x7fff
	v_add3_u32 v0, v1, v0, s4
; %bb.887:
	s_andn2_saveexec_b64 s[4:5], s[0:1]
; %bb.888:
	v_mov_b32_e32 v0, 0
	v_or_b32_e32 v2, 0x10000, v1
	v_cmp_eq_u32_sdwa s[0:1], v1, v0 src0_sel:WORD_0 src1_sel:DWORD
	s_nop 1
	v_cndmask_b32_e64 v0, v2, v1, s[0:1]
; %bb.889:
	s_or_b64 exec, exec, s[4:5]
	flat_store_short_d16_hi v[4:5], v0 offset:160
	s_mov_b32 s0, 0x7f800000
	v_and_b32_e32 v0, 0x7f800000, v6
	v_cmp_ne_u32_e64 s[0:1], s0, v0
                                        ; implicit-def: $vgpr0
	s_and_saveexec_b64 s[4:5], s[0:1]
	s_xor_b64 s[0:1], exec, s[4:5]
; %bb.890:
	v_bfe_u32 v0, v6, 16, 1
	s_movk_i32 s4, 0x7fff
	v_add3_u32 v0, v6, v0, s4
; %bb.891:
	s_andn2_saveexec_b64 s[4:5], s[0:1]
; %bb.892:
	v_mov_b32_e32 v0, 0
	v_or_b32_e32 v1, 0x10000, v6
	v_cmp_eq_u32_sdwa s[0:1], v6, v0 src0_sel:WORD_0 src1_sel:DWORD
	s_nop 1
	v_cndmask_b32_e64 v0, v1, v6, s[0:1]
; %bb.893:
	s_or_b64 exec, exec, s[4:5]
	flat_store_short_d16_hi v[4:5], v0 offset:192
.LBB373_894:
	s_or_b64 exec, exec, s[2:3]
	v_or_b32_e32 v0, 0x70, v12
	s_movk_i32 s0, 0x78
	v_cmp_gt_u32_e64 s[0:1], s0, v0
	s_and_b64 s[0:1], vcc, s[0:1]
	s_and_b64 exec, exec, s[0:1]
	s_cbranch_execz .LBB373_900
; %bb.895:
	s_mov_b32 s0, 0x7f800000
	v_and_b32_e32 v0, 0x7f800000, v7
	v_cmp_ne_u32_e32 vcc, s0, v0
                                        ; implicit-def: $vgpr8
	s_and_saveexec_b64 s[0:1], vcc
	s_xor_b64 s[0:1], exec, s[0:1]
; %bb.896:
	v_bfe_u32 v0, v7, 16, 1
	s_movk_i32 s2, 0x7fff
	v_add3_u32 v8, v7, v0, s2
                                        ; implicit-def: $vgpr0_vgpr1_vgpr2_vgpr3_vgpr4_vgpr5_vgpr6_vgpr7
; %bb.897:
	s_andn2_saveexec_b64 s[0:1], s[0:1]
; %bb.898:
	v_mov_b32_e32 v0, 0
	v_or_b32_e32 v1, 0x10000, v7
	v_cmp_eq_u32_sdwa vcc, v7, v0 src0_sel:WORD_0 src1_sel:DWORD
	s_nop 1
	v_cndmask_b32_e32 v8, v1, v7, vcc
; %bb.899:
	s_or_b64 exec, exec, s[0:1]
	v_lshlrev_b32_e32 v0, 1, v12
	v_mov_b32_e32 v1, 0
	v_lshl_add_u64 v[0:1], v[10:11], 0, v[0:1]
	flat_store_short_d16_hi v[0:1], v8 offset:224
.LBB373_900:
	s_or_b64 exec, exec, s[10:11]
	scratch_load_dword a63, off, s32        ; 4-byte Folded Reload
	scratch_load_dword a62, off, s32 offset:4 ; 4-byte Folded Reload
	scratch_load_dword a61, off, s32 offset:8 ; 4-byte Folded Reload
	;; [unrolled: 1-line block ×47, first 2 shown]
	s_waitcnt vmcnt(0) lgkmcnt(0)
	s_setpc_b64 s[30:31]
.LBB373_901:
	s_ashr_i32 s17, s16, 31
	s_lshl_b64 s[8:9], s[16:17], 2
	s_getpc_b64 s[12:13]
	s_add_u32 s12, s12, llvm.amdgcn.dynlds.offset.table@rel32@lo+4
	s_addc_u32 s13, s13, llvm.amdgcn.dynlds.offset.table@rel32@hi+12
	s_add_u32 s8, s8, s12
	s_addc_u32 s9, s9, s13
	s_load_dword s5, s[8:9], 0x0
	s_waitcnt lgkmcnt(0)
	v_lshl_add_u32 v4, v12, 2, s5
	ds_read_b32 v4, v4
	s_waitcnt lgkmcnt(0)
	v_add_f32_e32 v8, v8, v4
	s_or_b64 exec, exec, s[2:3]
	s_and_saveexec_b64 s[2:3], s[0:1]
	s_cbranch_execz .LBB373_854
.LBB373_902:
	s_ashr_i32 s17, s16, 31
	s_lshl_b64 s[8:9], s[16:17], 2
	s_getpc_b64 s[12:13]
	s_add_u32 s12, s12, llvm.amdgcn.dynlds.offset.table@rel32@lo+4
	s_addc_u32 s13, s13, llvm.amdgcn.dynlds.offset.table@rel32@hi+12
	s_add_u32 s8, s8, s12
	s_addc_u32 s9, s9, s13
	s_load_dword s5, s[8:9], 0x0
	s_waitcnt lgkmcnt(0)
	v_lshl_add_u32 v4, v12, 2, s5
	ds_read_b32 v4, v4 offset:64
	s_waitcnt lgkmcnt(0)
	v_add_f32_e32 v9, v9, v4
	s_or_b64 exec, exec, s[2:3]
	s_and_saveexec_b64 s[2:3], s[0:1]
	s_cbranch_execz .LBB373_855
.LBB373_903:
	s_ashr_i32 s17, s16, 31
	s_lshl_b64 s[8:9], s[16:17], 2
	s_getpc_b64 s[12:13]
	s_add_u32 s12, s12, llvm.amdgcn.dynlds.offset.table@rel32@lo+4
	s_addc_u32 s13, s13, llvm.amdgcn.dynlds.offset.table@rel32@hi+12
	s_add_u32 s8, s8, s12
	s_addc_u32 s9, s9, s13
	s_load_dword s5, s[8:9], 0x0
	s_waitcnt lgkmcnt(0)
	v_lshl_add_u32 v4, v12, 2, s5
	ds_read_b32 v4, v4 offset:128
	s_waitcnt lgkmcnt(0)
	v_add_f32_e32 v2, v2, v4
	s_or_b64 exec, exec, s[2:3]
	s_and_saveexec_b64 s[2:3], s[0:1]
	s_cbranch_execz .LBB373_856
.LBB373_904:
	s_ashr_i32 s17, s16, 31
	s_lshl_b64 s[8:9], s[16:17], 2
	s_getpc_b64 s[12:13]
	s_add_u32 s12, s12, llvm.amdgcn.dynlds.offset.table@rel32@lo+4
	s_addc_u32 s13, s13, llvm.amdgcn.dynlds.offset.table@rel32@hi+12
	s_add_u32 s8, s8, s12
	s_addc_u32 s9, s9, s13
	s_load_dword s5, s[8:9], 0x0
	s_waitcnt lgkmcnt(0)
	v_lshl_add_u32 v4, v12, 2, s5
	ds_read_b32 v4, v4 offset:192
	s_waitcnt lgkmcnt(0)
	v_add_f32_e32 v3, v3, v4
	s_or_b64 exec, exec, s[2:3]
	s_and_saveexec_b64 s[2:3], s[0:1]
	s_cbranch_execz .LBB373_857
.LBB373_905:
	s_ashr_i32 s17, s16, 31
	s_lshl_b64 s[8:9], s[16:17], 2
	s_getpc_b64 s[12:13]
	s_add_u32 s12, s12, llvm.amdgcn.dynlds.offset.table@rel32@lo+4
	s_addc_u32 s13, s13, llvm.amdgcn.dynlds.offset.table@rel32@hi+12
	s_add_u32 s8, s8, s12
	s_addc_u32 s9, s9, s13
	s_load_dword s5, s[8:9], 0x0
	s_waitcnt lgkmcnt(0)
	v_lshl_add_u32 v4, v12, 2, s5
	ds_read_b32 v4, v4 offset:256
	s_waitcnt lgkmcnt(0)
	v_add_f32_e32 v0, v0, v4
	s_or_b64 exec, exec, s[2:3]
	s_and_saveexec_b64 s[2:3], s[0:1]
	s_cbranch_execz .LBB373_858
.LBB373_906:
	s_ashr_i32 s17, s16, 31
	s_lshl_b64 s[8:9], s[16:17], 2
	s_getpc_b64 s[12:13]
	s_add_u32 s12, s12, llvm.amdgcn.dynlds.offset.table@rel32@lo+4
	s_addc_u32 s13, s13, llvm.amdgcn.dynlds.offset.table@rel32@hi+12
	s_add_u32 s8, s8, s12
	s_addc_u32 s9, s9, s13
	s_load_dword s5, s[8:9], 0x0
	s_waitcnt lgkmcnt(0)
	v_lshl_add_u32 v4, v12, 2, s5
	ds_read_b32 v4, v4 offset:320
	s_waitcnt lgkmcnt(0)
	v_add_f32_e32 v1, v1, v4
	s_or_b64 exec, exec, s[2:3]
	s_and_saveexec_b64 s[2:3], s[0:1]
	s_cbranch_execnz .LBB373_859
	s_branch .LBB373_860
.Lfunc_end373:
	.size	_ZN4vllm22paged_attention_kernelI14__hip_bfloat16hLi120ELi32ELi128ELNS_18Fp8KVCacheDataTypeE1ELb0ELi512EEEvPfS3_PT_PKS4_PKT0_SA_ifPKiSC_iPKfiiiSE_SE_iiiii, .Lfunc_end373-_ZN4vllm22paged_attention_kernelI14__hip_bfloat16hLi120ELi32ELi128ELNS_18Fp8KVCacheDataTypeE1ELb0ELi512EEEvPfS3_PT_PKS4_PKT0_SA_ifPKiSC_iPKfiiiSE_SE_iiiii
                                        ; -- End function
	.section	.AMDGPU.csdata,"",@progbits
; Function info:
; codeLenInByte = 31196
; NumSgprs: 39
; NumVgprs: 64
; NumAgprs: 64
; TotalNumVgprs: 128
; ScratchSize: 344
; MemoryBound: 0
	.section	.text._ZN4vllm25paged_attention_v2_kernelI14__hip_bfloat16hLi120ELi32ELi128ELNS_18Fp8KVCacheDataTypeE1ELb0ELi512EEEvPfS3_PT_PKS4_PKT0_SA_ifPKiSC_iPKfiiiSE_SE_iiiii,"axG",@progbits,_ZN4vllm25paged_attention_v2_kernelI14__hip_bfloat16hLi120ELi32ELi128ELNS_18Fp8KVCacheDataTypeE1ELb0ELi512EEEvPfS3_PT_PKS4_PKT0_SA_ifPKiSC_iPKfiiiSE_SE_iiiii,comdat
	.protected	_ZN4vllm25paged_attention_v2_kernelI14__hip_bfloat16hLi120ELi32ELi128ELNS_18Fp8KVCacheDataTypeE1ELb0ELi512EEEvPfS3_PT_PKS4_PKT0_SA_ifPKiSC_iPKfiiiSE_SE_iiiii ; -- Begin function _ZN4vllm25paged_attention_v2_kernelI14__hip_bfloat16hLi120ELi32ELi128ELNS_18Fp8KVCacheDataTypeE1ELb0ELi512EEEvPfS3_PT_PKS4_PKT0_SA_ifPKiSC_iPKfiiiSE_SE_iiiii
	.globl	_ZN4vllm25paged_attention_v2_kernelI14__hip_bfloat16hLi120ELi32ELi128ELNS_18Fp8KVCacheDataTypeE1ELb0ELi512EEEvPfS3_PT_PKS4_PKT0_SA_ifPKiSC_iPKfiiiSE_SE_iiiii
	.p2align	8
	.type	_ZN4vllm25paged_attention_v2_kernelI14__hip_bfloat16hLi120ELi32ELi128ELNS_18Fp8KVCacheDataTypeE1ELb0ELi512EEEvPfS3_PT_PKS4_PKT0_SA_ifPKiSC_iPKfiiiSE_SE_iiiii,@function
_ZN4vllm25paged_attention_v2_kernelI14__hip_bfloat16hLi120ELi32ELi128ELNS_18Fp8KVCacheDataTypeE1ELb0ELi512EEEvPfS3_PT_PKS4_PKT0_SA_ifPKiSC_iPKfiiiSE_SE_iiiii: ; @_ZN4vllm25paged_attention_v2_kernelI14__hip_bfloat16hLi120ELi32ELi128ELNS_18Fp8KVCacheDataTypeE1ELb0ELi512EEEvPfS3_PT_PKS4_PKT0_SA_ifPKiSC_iPKfiiiSE_SE_iiiii
; %bb.0:
	s_load_dwordx8 s[24:31], s[0:1], 0x0
	s_load_dwordx8 s[16:23], s[0:1], 0x20
	s_load_dwordx2 s[6:7], s[0:1], 0x40
	s_load_dwordx2 s[10:11], s[0:1], 0x50
	s_load_dword s5, s[0:1], 0x48
	s_load_dwordx8 s[36:43], s[0:1], 0x58
	s_add_u32 s8, s0, 0x90
	s_addc_u32 s9, s1, 0
	s_mov_b32 s12, s2
	s_mov_b32 s13, s3
	;; [unrolled: 1-line block ×4, first 2 shown]
	v_mov_b32_e32 v31, v0
	s_waitcnt lgkmcnt(0)
	v_mov_b32_e32 v0, s24
	v_mov_b32_e32 v1, s25
	;; [unrolled: 1-line block ×28, first 2 shown]
	s_mov_b32 s32, 0
	s_getpc_b64 s[0:1]
	s_add_u32 s0, s0, _ZN4vllm22paged_attention_kernelI14__hip_bfloat16hLi120ELi32ELi128ELNS_18Fp8KVCacheDataTypeE1ELb0ELi512EEEvPfS3_PT_PKS4_PKT0_SA_ifPKiSC_iPKfiiiSE_SE_iiiii@rel32@lo+4
	s_addc_u32 s1, s1, _ZN4vllm22paged_attention_kernelI14__hip_bfloat16hLi120ELi32ELi128ELNS_18Fp8KVCacheDataTypeE1ELb0ELi512EEEvPfS3_PT_PKS4_PKT0_SA_ifPKiSC_iPKfiiiSE_SE_iiiii@rel32@hi+12
	s_swappc_b64 s[30:31], s[0:1]
	s_endpgm
	.section	.rodata,"a",@progbits
	.p2align	6, 0x0
	.amdhsa_kernel _ZN4vllm25paged_attention_v2_kernelI14__hip_bfloat16hLi120ELi32ELi128ELNS_18Fp8KVCacheDataTypeE1ELb0ELi512EEEvPfS3_PT_PKS4_PKT0_SA_ifPKiSC_iPKfiiiSE_SE_iiiii
		.amdhsa_group_segment_fixed_size 256
		.amdhsa_private_segment_fixed_size 344
		.amdhsa_kernarg_size 400
		.amdhsa_user_sgpr_count 2
		.amdhsa_user_sgpr_dispatch_ptr 0
		.amdhsa_user_sgpr_queue_ptr 0
		.amdhsa_user_sgpr_kernarg_segment_ptr 1
		.amdhsa_user_sgpr_dispatch_id 0
		.amdhsa_user_sgpr_kernarg_preload_length 0
		.amdhsa_user_sgpr_kernarg_preload_offset 0
		.amdhsa_user_sgpr_private_segment_size 0
		.amdhsa_uses_dynamic_stack 0
		.amdhsa_enable_private_segment 1
		.amdhsa_system_sgpr_workgroup_id_x 1
		.amdhsa_system_sgpr_workgroup_id_y 1
		.amdhsa_system_sgpr_workgroup_id_z 1
		.amdhsa_system_sgpr_workgroup_info 0
		.amdhsa_system_vgpr_workitem_id 0
		.amdhsa_next_free_vgpr 128
		.amdhsa_next_free_sgpr 44
		.amdhsa_accum_offset 64
		.amdhsa_reserve_vcc 1
		.amdhsa_float_round_mode_32 0
		.amdhsa_float_round_mode_16_64 0
		.amdhsa_float_denorm_mode_32 3
		.amdhsa_float_denorm_mode_16_64 3
		.amdhsa_dx10_clamp 1
		.amdhsa_ieee_mode 1
		.amdhsa_fp16_overflow 0
		.amdhsa_tg_split 0
		.amdhsa_exception_fp_ieee_invalid_op 0
		.amdhsa_exception_fp_denorm_src 0
		.amdhsa_exception_fp_ieee_div_zero 0
		.amdhsa_exception_fp_ieee_overflow 0
		.amdhsa_exception_fp_ieee_underflow 0
		.amdhsa_exception_fp_ieee_inexact 0
		.amdhsa_exception_int_div_zero 0
	.end_amdhsa_kernel
	.section	.text._ZN4vllm25paged_attention_v2_kernelI14__hip_bfloat16hLi120ELi32ELi128ELNS_18Fp8KVCacheDataTypeE1ELb0ELi512EEEvPfS3_PT_PKS4_PKT0_SA_ifPKiSC_iPKfiiiSE_SE_iiiii,"axG",@progbits,_ZN4vllm25paged_attention_v2_kernelI14__hip_bfloat16hLi120ELi32ELi128ELNS_18Fp8KVCacheDataTypeE1ELb0ELi512EEEvPfS3_PT_PKS4_PKT0_SA_ifPKiSC_iPKfiiiSE_SE_iiiii,comdat
.Lfunc_end374:
	.size	_ZN4vllm25paged_attention_v2_kernelI14__hip_bfloat16hLi120ELi32ELi128ELNS_18Fp8KVCacheDataTypeE1ELb0ELi512EEEvPfS3_PT_PKS4_PKT0_SA_ifPKiSC_iPKfiiiSE_SE_iiiii, .Lfunc_end374-_ZN4vllm25paged_attention_v2_kernelI14__hip_bfloat16hLi120ELi32ELi128ELNS_18Fp8KVCacheDataTypeE1ELb0ELi512EEEvPfS3_PT_PKS4_PKT0_SA_ifPKiSC_iPKfiiiSE_SE_iiiii
                                        ; -- End function
	.section	.AMDGPU.csdata,"",@progbits
; Kernel info:
; codeLenInByte = 228
; NumSgprs: 50
; NumVgprs: 64
; NumAgprs: 64
; TotalNumVgprs: 128
; ScratchSize: 344
; MemoryBound: 0
; FloatMode: 240
; IeeeMode: 1
; LDSByteSize: 256 bytes/workgroup (compile time only)
; SGPRBlocks: 6
; VGPRBlocks: 15
; NumSGPRsForWavesPerEU: 50
; NumVGPRsForWavesPerEU: 128
; AccumOffset: 64
; Occupancy: 4
; WaveLimiterHint : 1
; COMPUTE_PGM_RSRC2:SCRATCH_EN: 1
; COMPUTE_PGM_RSRC2:USER_SGPR: 2
; COMPUTE_PGM_RSRC2:TRAP_HANDLER: 0
; COMPUTE_PGM_RSRC2:TGID_X_EN: 1
; COMPUTE_PGM_RSRC2:TGID_Y_EN: 1
; COMPUTE_PGM_RSRC2:TGID_Z_EN: 1
; COMPUTE_PGM_RSRC2:TIDIG_COMP_CNT: 0
; COMPUTE_PGM_RSRC3_GFX90A:ACCUM_OFFSET: 15
; COMPUTE_PGM_RSRC3_GFX90A:TG_SPLIT: 0
	.text
	.p2align	2                               ; -- Begin function _ZN4vllm22paged_attention_kernelI14__hip_bfloat16hLi128ELi32ELi128ELNS_18Fp8KVCacheDataTypeE1ELb0ELi512EEEvPfS3_PT_PKS4_PKT0_SA_ifPKiSC_iPKfiiiSE_SE_iiiii
	.type	_ZN4vllm22paged_attention_kernelI14__hip_bfloat16hLi128ELi32ELi128ELNS_18Fp8KVCacheDataTypeE1ELb0ELi512EEEvPfS3_PT_PKS4_PKT0_SA_ifPKiSC_iPKfiiiSE_SE_iiiii,@function
_ZN4vllm22paged_attention_kernelI14__hip_bfloat16hLi128ELi32ELi128ELNS_18Fp8KVCacheDataTypeE1ELb0ELi512EEEvPfS3_PT_PKS4_PKT0_SA_ifPKiSC_iPKfiiiSE_SE_iiiii: ; @_ZN4vllm22paged_attention_kernelI14__hip_bfloat16hLi128ELi32ELi128ELNS_18Fp8KVCacheDataTypeE1ELb0ELi512EEEvPfS3_PT_PKS4_PKT0_SA_ifPKiSC_iPKfiiiSE_SE_iiiii
; %bb.0:
	s_waitcnt vmcnt(0) expcnt(0) lgkmcnt(0)
	scratch_store_dword off, v40, s32 offset:188 ; 4-byte Folded Spill
	scratch_store_dword off, v41, s32 offset:184 ; 4-byte Folded Spill
	;; [unrolled: 1-line block ×47, first 2 shown]
	scratch_store_dword off, a63, s32       ; 4-byte Folded Spill
	s_mov_b32 s16, s13
	v_accvgpr_write_b32 a24, v24
	s_ashr_i32 s17, s13, 31
	v_accvgpr_write_b32 a25, v25
	v_mov_b32_e32 v25, v1
	v_mov_b32_e32 v24, v0
	v_lshl_add_u64 v[0:1], s[16:17], 2, v[16:17]
	flat_load_dword v35, v[0:1]
	s_lshl_b32 s26, s14, 9
	v_accvgpr_write_b32 a4, v22
	v_mov_b32_e32 v29, v20
	v_mov_b32_e32 v28, v19
	v_accvgpr_write_b32 a26, v13
	v_mov_b32_e32 v33, v11
	v_mov_b32_e32 v32, v10
	;; [unrolled: 1-line block ×4, first 2 shown]
	scratch_store_dwordx2 off, v[4:5], s32 offset:288 ; 8-byte Folded Spill
	s_waitcnt vmcnt(0) lgkmcnt(0)
	v_cmp_lt_i32_e32 vcc, s26, v35
	s_and_saveexec_b64 s[10:11], vcc
	s_cbranch_execz .LBB375_908
; %bb.1:
	v_sub_u32_e32 v0, 0, v12
	v_max_i32_e32 v0, v12, v0
	v_cvt_f32_u32_e32 v1, v0
	s_load_dword s0, s[8:9], 0x10
	s_load_dword s2, s[8:9], 0x0
	v_sub_u32_e32 v3, 0, v0
	s_mov_b32 s18, s15
	v_rcp_iflag_f32_e32 v1, v1
	s_waitcnt lgkmcnt(0)
	s_lshr_b32 s0, s0, 16
	s_cmp_lg_u32 s0, 0
	s_cselect_b64 s[0:1], -1, 0
	v_mul_f32_e32 v1, 0x4f7ffffe, v1
	v_cvt_u32_f32_e32 v1, v1
	s_cmp_lg_u64 s[0:1], 0
	s_addc_u32 s17, s2, 0
	s_abs_i32 s0, s17
	v_mul_lo_u32 v3, v3, v1
	v_mul_hi_u32 v3, v1, v3
	v_add_u32_e32 v1, v1, v3
	v_mul_hi_u32 v1, s0, v1
	v_mul_lo_u32 v3, v1, v0
	v_sub_u32_e32 v3, s0, v3
	v_add_u32_e32 v4, 1, v1
	v_cmp_ge_u32_e32 vcc, v3, v0
	v_xor_b32_e32 v2, s17, v12
	v_ashrrev_i32_e32 v2, 31, v2
	v_cndmask_b32_e32 v1, v1, v4, vcc
	v_sub_u32_e32 v4, v3, v0
	v_cndmask_b32_e32 v3, v3, v4, vcc
	v_add_u32_e32 v4, 1, v1
	v_cmp_ge_u32_e32 vcc, v3, v0
	s_abs_i32 s2, s12
	s_nop 0
	v_cndmask_b32_e32 v0, v1, v4, vcc
	v_xor_b32_e32 v0, v0, v2
	v_sub_u32_e32 v0, v0, v2
	v_sub_u32_e32 v1, 0, v0
	v_max_i32_e32 v1, v0, v1
	v_cvt_f32_u32_e32 v2, v1
	v_sub_u32_e32 v3, 0, v1
	v_cmp_ne_u64_e32 vcc, 0, v[28:29]
	v_rcp_iflag_f32_e32 v2, v2
	s_nop 0
	v_mul_f32_e32 v2, 0x4f7ffffe, v2
	v_cvt_u32_f32_e32 v2, v2
	v_mul_lo_u32 v3, v3, v2
	v_mul_hi_u32 v3, v2, v3
	v_add_u32_e32 v2, v2, v3
	v_mad_u64_u32 v[16:17], s[0:1], s2, v2, 0
	v_mov_b32_e32 v2, 0
	scratch_store_dword off, v2, s32 offset:280 ; 4-byte Folded Spill
	s_and_saveexec_b64 s[0:1], vcc
	s_cbranch_execz .LBB375_3
; %bb.2:
	s_ashr_i32 s13, s12, 31
	v_lshl_add_u64 v[2:3], s[12:13], 2, v[28:29]
	flat_load_dword v2, v[2:3]
	s_waitcnt vmcnt(0) lgkmcnt(0)
	scratch_store_dword off, v2, s32 offset:280 ; 4-byte Folded Spill
.LBB375_3:
	s_or_b64 exec, exec, s[0:1]
	v_and_b32_e32 v19, 0x3ff, v31
	s_ashr_i32 s3, s12, 31
	v_ashrrev_i32_e32 v2, 31, v0
	v_and_b32_e32 v0, 1, v19
	s_lshl_b32 s20, s12, 7
	v_cmp_gt_u32_e32 vcc, 32, v19
	v_lshlrev_b32_e32 v30, 3, v19
	s_and_saveexec_b64 s[0:1], vcc
	s_cbranch_execz .LBB375_5
; %bb.4:
	v_mul_lo_u32 v4, s16, v21
	v_ashrrev_i32_e32 v5, 31, v4
	v_lshl_add_u64 v[4:5], v[4:5], 1, v[6:7]
	s_ashr_i32 s21, s20, 31
	v_lshl_add_u64 v[4:5], s[20:21], 1, v[4:5]
	v_mov_b32_e32 v31, 0
	v_lshl_add_u64 v[4:5], v[4:5], 0, v[30:31]
	flat_load_dwordx2 v[4:5], v[4:5]
	v_lshlrev_b32_e32 v3, 2, v19
	v_and_b32_e32 v3, 0xff8, v3
	v_lshl_add_u32 v3, v0, 7, v3
	s_waitcnt vmcnt(0) lgkmcnt(0)
	ds_write_b64 v3, v[4:5]
.LBB375_5:
	s_or_b64 exec, exec, s[0:1]
	v_add_u32_e32 v3, 31, v35
	v_ashrrev_i32_e32 v4, 31, v3
	v_lshrrev_b32_e32 v4, 27, v4
	v_add_u32_e32 v3, v3, v4
	v_ashrrev_i32_e32 v34, 5, v3
	v_mul_lo_u32 v3, v17, v1
	v_sub_u32_e32 v3, s2, v3
	v_add_u32_e32 v4, 1, v17
	v_cmp_ge_u32_e32 vcc, v3, v1
	v_sub_u32_e32 v5, v3, v1
	s_lshl_b32 s15, s14, 4
	v_cndmask_b32_e32 v4, v17, v4, vcc
	v_cndmask_b32_e32 v3, v3, v5, vcc
	v_add_u32_e32 v5, 1, v4
	v_cmp_ge_u32_e32 vcc, v3, v1
	s_add_i32 s0, s15, 16
	v_lshrrev_b32_e32 v31, 6, v19
	v_xor_b32_e32 v2, s3, v2
	v_cndmask_b32_e32 v1, v4, v5, vcc
	v_min_i32_e32 v6, s0, v34
	v_xor_b32_e32 v1, v1, v2
	v_mul_lo_u32 v38, s16, v18
	v_or_b32_e32 v10, s15, v31
	v_sub_u32_e32 v2, v1, v2
	v_ashrrev_i32_e32 v39, 31, v38
	v_cmp_lt_i32_e64 s[0:1], v10, v6
	v_mov_b32_e32 v4, v10
	v_cmp_ge_i32_e32 vcc, v10, v6
	v_mbcnt_lo_u32_b32 v1, -1, 0
	s_waitcnt lgkmcnt(0)
	s_barrier
	scratch_store_dword off, v6, s32 offset:192 ; 4-byte Folded Spill
                                        ; implicit-def: $sgpr4
                                        ; implicit-def: $vgpr10
                                        ; implicit-def: $vgpr11
	s_and_saveexec_b64 s[2:3], vcc
	s_xor_b64 s[2:3], exec, s[2:3]
; %bb.6:
	v_mbcnt_hi_u32_b32 v10, -1, v1
	v_and_b32_e32 v0, 64, v10
	v_add_u32_e32 v11, 64, v0
	s_mov_b32 s4, 0xff7fffff
                                        ; implicit-def: $vgpr0
                                        ; kill: killed $vgpr0
                                        ; implicit-def: $agpr26
                                        ; implicit-def: $agpr24
                                        ; implicit-def: $vgpr8
                                        ; implicit-def: $vgpr0
                                        ; implicit-def: $vgpr1
; %bb.7:
	s_or_saveexec_b64 s[6:7], s[2:3]
	s_load_dword s21, s[8:9], 0x14
	s_load_dword s13, s[8:9], 0x8
	v_ashrrev_i32_e32 v5, 31, v4
	v_mul_lo_u32 v48, v2, v23
	v_accvgpr_write_b32 a7, v5
	v_mov_b32_e32 v3, s4
	v_accvgpr_write_b32 a6, v4
	v_ashrrev_i32_e32 v49, 31, v48
	scratch_store_dword off, v19, s32 offset:284 ; 4-byte Folded Spill
	s_xor_b64 exec, exec, s[6:7]
	s_cbranch_execz .LBB375_269
; %bb.8:
	scratch_store_dword off, v34, s32 offset:296 ; 4-byte Folded Spill
	scratch_store_dwordx2 off, v[30:31], s32 offset:328 ; 8-byte Folded Spill
	scratch_store_dwordx2 off, v[36:37], s32 offset:336 ; 8-byte Folded Spill
	scratch_store_dwordx2 off, v[24:25], s32 offset:344 ; 8-byte Folded Spill
	scratch_store_dwordx2 off, v[32:33], s32 offset:352 ; 8-byte Folded Spill
	scratch_store_dwordx2 off, v[26:27], s32 offset:360 ; 8-byte Folded Spill
	v_lshlrev_b32_e32 v6, 7, v0
	ds_read_b128 v[2:5], v6
	ds_read_b128 v[26:29], v6 offset:16
	ds_read_b128 v[22:25], v6 offset:32
	v_mov_b32_e32 v7, v19
	ds_read_b128 v[18:21], v6 offset:48
	s_waitcnt lgkmcnt(0)
	v_lshlrev_b32_e32 v10, 16, v2
	v_and_b32_e32 v2, 0xffff0000, v2
	scratch_store_dword off, v2, s32 offset:204 ; 4-byte Folded Spill
	v_lshlrev_b32_e32 v2, 16, v3
	scratch_store_dword off, v2, s32 offset:208 ; 4-byte Folded Spill
	v_and_b32_e32 v2, 0xffff0000, v3
	scratch_store_dword off, v2, s32 offset:212 ; 4-byte Folded Spill
	v_lshlrev_b32_e32 v2, 16, v4
	scratch_store_dword off, v2, s32 offset:216 ; 4-byte Folded Spill
	;; [unrolled: 4-line block ×9, first 2 shown]
	v_and_b32_e32 v2, 0xffff0000, v23
	scratch_store_dword off, v2, s32 offset:276 ; 4-byte Folded Spill
	v_lshlrev_b32_e32 v2, 16, v24
	v_accvgpr_write_b32 a49, v2
	v_and_b32_e32 v2, 0xffff0000, v24
	v_accvgpr_write_b32 a50, v2
	v_lshlrev_b32_e32 v2, 16, v25
	v_accvgpr_write_b32 a51, v2
	v_and_b32_e32 v2, 0xffff0000, v25
	v_accvgpr_write_b32 a52, v2
	;; [unrolled: 4-line block ×4, first 2 shown]
	v_lshlrev_b32_e32 v2, 16, v20
	v_accvgpr_write_b32 a57, v2
	ds_read_b128 v[2:5], v6 offset:64
	ds_read_b128 v[16:19], v6 offset:80
	scratch_store_dword off, v10, s32 offset:200 ; 4-byte Folded Spill
	v_and_b32_e32 v10, 0xffff0000, v20
	v_accvgpr_write_b32 a58, v10
	v_lshlrev_b32_e32 v10, 16, v21
	v_accvgpr_write_b32 a59, v10
	v_and_b32_e32 v10, 0xffff0000, v21
	v_accvgpr_write_b32 a60, v10
	s_waitcnt lgkmcnt(1)
	v_lshlrev_b32_e32 v10, 16, v2
	v_and_b32_e32 v2, 0xffff0000, v2
	v_accvgpr_write_b32 a62, v2
	v_lshlrev_b32_e32 v2, 16, v3
	v_accvgpr_write_b32 a63, v2
	v_and_b32_e32 v2, 0xffff0000, v3
	v_accvgpr_write_b32 a2, v2
	v_lshlrev_b32_e32 v2, 16, v4
	v_accvgpr_write_b32 a19, v2
	;; [unrolled: 4-line block ×3, first 2 shown]
	v_and_b32_e32 v2, 0xffff0000, v5
	v_accvgpr_write_b32 a28, v2
	s_waitcnt lgkmcnt(0)
	v_lshlrev_b32_e32 v2, 16, v16
	v_accvgpr_write_b32 a27, v2
	v_and_b32_e32 v2, 0xffff0000, v16
	v_accvgpr_write_b32 a20, v2
	v_lshlrev_b32_e32 v2, 16, v17
	v_accvgpr_write_b32 a21, v2
	v_and_b32_e32 v2, 0xffff0000, v17
	v_accvgpr_write_b32 a5, v2
	v_lshlrev_b32_e32 v2, 16, v18
	v_accvgpr_write_b32 a0, v2
	v_and_b32_e32 v2, 0xffff0000, v18
	v_accvgpr_write_b32 a1, v2
	v_lshlrev_b32_e32 v2, 16, v19
	v_accvgpr_write_b32 a18, v2
	v_and_b32_e32 v2, 0xffff0000, v19
	v_accvgpr_write_b32 a16, v2
	ds_read_b128 v[2:5], v6 offset:96
	ds_read_b128 v[16:19], v6 offset:112
	v_mbcnt_hi_u32_b32 v1, -1, v1
	v_cmp_eq_u32_e32 vcc, 0, v0
	scratch_store_dword off, v1, s32 offset:312 ; 4-byte Folded Spill
	s_waitcnt lgkmcnt(1)
	v_lshlrev_b32_e32 v6, 16, v2
	v_and_b32_e32 v2, 0xffff0000, v2
	v_accvgpr_write_b32 a14, v2
	v_lshlrev_b32_e32 v2, 16, v3
	v_accvgpr_write_b32 a15, v2
	v_and_b32_e32 v2, 0xffff0000, v3
	v_accvgpr_write_b32 a12, v2
	v_lshlrev_b32_e32 v2, 16, v4
	v_accvgpr_write_b32 a13, v2
	;; [unrolled: 4-line block ×3, first 2 shown]
	v_and_b32_e32 v2, 0xffff0000, v5
	v_accvgpr_write_b32 a8, v2
	s_waitcnt lgkmcnt(0)
	v_lshlrev_b32_e32 v2, 16, v16
	v_accvgpr_write_b32 a9, v2
	v_and_b32_e32 v2, 0xffff0000, v16
	v_accvgpr_write_b32 a3, v2
	v_lshlrev_b32_e32 v2, 16, v17
	v_accvgpr_write_b32 a29, v2
	v_and_b32_e32 v2, 0xffff0000, v17
	v_accvgpr_write_b32 a30, v2
	;; [unrolled: 4-line block ×3, first 2 shown]
	v_lshlrev_b32_e32 v2, 16, v19
	v_accvgpr_write_b32 a33, v2
	v_and_b32_e32 v2, 0xffff0000, v19
	v_bfe_u32 v4, v7, 1, 5
	v_accvgpr_write_b32 a34, v2
	v_lshl_add_u64 v[2:3], v[8:9], 0, v[48:49]
	v_lshlrev_b32_e32 v8, 4, v4
	v_mov_b32_e32 v9, 0
	v_lshl_add_u64 v[2:3], v[2:3], 0, v[8:9]
	v_accvgpr_write_b32 a37, v3
	v_lshlrev_b32_e32 v8, 2, v0
	v_and_b32_e32 v0, 64, v1
	v_accvgpr_write_b32 a36, v2
	v_add_u32_e32 v2, 64, v0
	v_xor_b32_e32 v0, 1, v1
	v_cmp_lt_i32_e64 s[2:3], v0, v2
	scratch_store_dword off, v2, s32 offset:308 ; 4-byte Folded Spill
	v_accvgpr_read_b32 v2, a6
	v_cndmask_b32_e64 v0, v1, v0, s[2:3]
	v_lshlrev_b32_e32 v0, 2, v0
	v_accvgpr_write_b32 a35, v0
	scratch_load_dword v0, off, s32 offset:280 ; 4-byte Folded Reload
	v_accvgpr_read_b32 v3, a7
	s_ashr_i32 s19, s18, 31
	s_lshl_b64 s[4:5], s[18:19], 2
	s_getpc_b64 s[8:9]
	s_add_u32 s8, s8, llvm.amdgcn.dynlds.offset.table@rel32@lo+4
	s_addc_u32 s9, s9, llvm.amdgcn.dynlds.offset.table@rel32@hi+12
	s_add_u32 s8, s4, s8
	v_accvgpr_write_b32 a61, v10
	v_accvgpr_write_b32 a17, v6
	s_addc_u32 s9, s5, s9
	s_mov_b64 s[22:23], 0
	s_mov_b32 s19, 0x7f800000
	s_movk_i32 s27, 0x7fff
	v_mov_b32_e32 v47, v2
	scratch_store_dwordx2 off, v[48:49], s32 offset:300 ; 8-byte Folded Spill
	scratch_store_dwordx2 off, v[38:39], s32 offset:316 ; 8-byte Folded Spill
	;; [unrolled: 1-line block ×3, first 2 shown]
	scratch_store_dword off, v31, s32 offset:324 ; 4-byte Folded Spill
	s_waitcnt vmcnt(4)
	v_cmp_neq_f32_e64 s[2:3], 0, v0
	v_lshlrev_b64 v[0:1], 2, v[2:3]
	v_lshl_add_u64 v[0:1], v[38:39], 2, v[0:1]
	v_lshl_add_u64 v[20:21], v[14:15], 0, v[0:1]
	v_lshlrev_b32_e32 v0, 5, v31
	v_add3_u32 v45, s26, v0, v4
	v_lshlrev_b32_e32 v0, 2, v4
	v_lshl_or_b32 v46, v31, 7, v0
	v_mov_b32_e32 v0, 0xff7fffff
	scratch_store_dword off, v0, s32 offset:196 ; 4-byte Folded Spill
	s_branch .LBB375_10
.LBB375_9:                              ;   in Loop: Header=BB375_10 Depth=1
	s_or_b64 exec, exec, s[24:25]
	scratch_load_dword v0, off, s32 offset:192 ; 4-byte Folded Reload
	v_add_u32_e32 v47, 2, v47
	v_lshl_add_u64 v[20:21], v[20:21], 0, 8
	v_add_u32_e32 v45, 64, v45
	v_add_u32_e32 v46, 0x100, v46
	s_waitcnt vmcnt(0)
	v_cmp_ge_i32_e64 s[4:5], v47, v0
	s_or_b64 s[22:23], s[4:5], s[22:23]
	s_andn2_b64 exec, exec, s[22:23]
	s_cbranch_execz .LBB375_268
.LBB375_10:                             ; =>This Inner Loop Header: Depth=1
	flat_load_dword v0, v[20:21]
	v_accvgpr_read_b32 v4, a36
	v_accvgpr_read_b32 v2, a4
	;; [unrolled: 1-line block ×3, first 2 shown]
                                        ; implicit-def: $vgpr13
	s_waitcnt vmcnt(0) lgkmcnt(0)
	v_mad_i64_i32 v[0:1], s[4:5], v0, v2, v[4:5]
	v_lshl_add_u64 v[32:33], v[0:1], 0, v[8:9]
	flat_load_dword v0, v[32:33]
	v_accvgpr_read_b32 v2, a24
	v_accvgpr_read_b32 v3, a25
	flat_load_dword v59, v[2:3]
	s_waitcnt vmcnt(0) lgkmcnt(0)
	v_and_b32_e32 v1, 0xff, v0
	v_cvt_f32_fp8_sdwa v1, v1 src0_sel:BYTE_0
	s_nop 0
	v_mul_f32_e32 v1, v59, v1
	v_and_b32_e32 v2, 0x7f800000, v1
	v_cmp_ne_u32_e64 s[4:5], s19, v2
	s_and_saveexec_b64 s[24:25], s[4:5]
	s_xor_b64 s[4:5], exec, s[24:25]
; %bb.11:                               ;   in Loop: Header=BB375_10 Depth=1
	v_bfe_u32 v2, v1, 16, 1
	v_add3_u32 v13, v1, v2, s27
                                        ; implicit-def: $vgpr1
; %bb.12:                               ;   in Loop: Header=BB375_10 Depth=1
	s_andn2_saveexec_b64 s[24:25], s[4:5]
; %bb.13:                               ;   in Loop: Header=BB375_10 Depth=1
	v_or_b32_e32 v2, 0x10000, v1
	v_cmp_eq_u32_sdwa s[4:5], v1, v9 src0_sel:WORD_0 src1_sel:DWORD
	s_nop 1
	v_cndmask_b32_e64 v13, v2, v1, s[4:5]
; %bb.14:                               ;   in Loop: Header=BB375_10 Depth=1
	s_or_b64 exec, exec, s[24:25]
	v_bfe_u32 v1, v0, 8, 8
	v_cvt_f32_fp8_sdwa v1, v1 src0_sel:BYTE_0
                                        ; implicit-def: $vgpr30
	s_nop 0
	v_mul_f32_e32 v1, v59, v1
	v_and_b32_e32 v2, 0x7f800000, v1
	v_cmp_ne_u32_e64 s[4:5], s19, v2
	s_and_saveexec_b64 s[24:25], s[4:5]
	s_xor_b64 s[4:5], exec, s[24:25]
; %bb.15:                               ;   in Loop: Header=BB375_10 Depth=1
	v_bfe_u32 v2, v1, 16, 1
	v_add3_u32 v30, v1, v2, s27
                                        ; implicit-def: $vgpr1
; %bb.16:                               ;   in Loop: Header=BB375_10 Depth=1
	s_andn2_saveexec_b64 s[24:25], s[4:5]
; %bb.17:                               ;   in Loop: Header=BB375_10 Depth=1
	v_or_b32_e32 v2, 0x10000, v1
	v_cmp_eq_u32_sdwa s[4:5], v1, v9 src0_sel:WORD_0 src1_sel:DWORD
	s_nop 1
	v_cndmask_b32_e64 v30, v2, v1, s[4:5]
; %bb.18:                               ;   in Loop: Header=BB375_10 Depth=1
	s_or_b64 exec, exec, s[24:25]
	v_bfe_u32 v1, v0, 16, 8
	v_cvt_f32_fp8_sdwa v1, v1 src0_sel:BYTE_0
                                        ; implicit-def: $vgpr38
	s_nop 0
	v_mul_f32_e32 v1, v59, v1
	v_and_b32_e32 v2, 0x7f800000, v1
	v_cmp_ne_u32_e64 s[4:5], s19, v2
	s_and_saveexec_b64 s[24:25], s[4:5]
	s_xor_b64 s[4:5], exec, s[24:25]
; %bb.19:                               ;   in Loop: Header=BB375_10 Depth=1
	v_bfe_u32 v2, v1, 16, 1
	v_add3_u32 v38, v1, v2, s27
                                        ; implicit-def: $vgpr1
; %bb.20:                               ;   in Loop: Header=BB375_10 Depth=1
	s_andn2_saveexec_b64 s[24:25], s[4:5]
; %bb.21:                               ;   in Loop: Header=BB375_10 Depth=1
	v_or_b32_e32 v2, 0x10000, v1
	v_cmp_eq_u32_sdwa s[4:5], v1, v9 src0_sel:WORD_0 src1_sel:DWORD
	s_nop 1
	v_cndmask_b32_e64 v38, v2, v1, s[4:5]
; %bb.22:                               ;   in Loop: Header=BB375_10 Depth=1
	s_or_b64 exec, exec, s[24:25]
	v_lshrrev_b32_e32 v0, 24, v0
	v_cvt_f32_fp8_sdwa v0, v0 src0_sel:BYTE_0
                                        ; implicit-def: $agpr38
	s_nop 0
	v_mul_f32_e32 v0, v59, v0
	v_and_b32_e32 v1, 0x7f800000, v0
	v_cmp_ne_u32_e64 s[4:5], s19, v1
	s_and_saveexec_b64 s[24:25], s[4:5]
	s_xor_b64 s[4:5], exec, s[24:25]
; %bb.23:                               ;   in Loop: Header=BB375_10 Depth=1
	v_bfe_u32 v1, v0, 16, 1
	v_add3_u32 v0, v0, v1, s27
	v_accvgpr_write_b32 a38, v0
                                        ; implicit-def: $vgpr0
; %bb.24:                               ;   in Loop: Header=BB375_10 Depth=1
	s_andn2_saveexec_b64 s[24:25], s[4:5]
; %bb.25:                               ;   in Loop: Header=BB375_10 Depth=1
	v_or_b32_e32 v1, 0x10000, v0
	v_cmp_eq_u32_sdwa s[4:5], v0, v9 src0_sel:WORD_0 src1_sel:DWORD
	s_nop 1
	v_cndmask_b32_e64 v0, v1, v0, s[4:5]
	v_accvgpr_write_b32 a38, v0
; %bb.26:                               ;   in Loop: Header=BB375_10 Depth=1
	s_or_b64 exec, exec, s[24:25]
	flat_load_dword v0, v[32:33] offset:8
                                        ; implicit-def: $agpr39
	s_waitcnt vmcnt(0) lgkmcnt(0)
	v_and_b32_e32 v1, 0xff, v0
	v_cvt_f32_fp8_sdwa v1, v1 src0_sel:BYTE_0
	s_nop 0
	v_mul_f32_e32 v1, v59, v1
	v_and_b32_e32 v2, 0x7f800000, v1
	v_cmp_ne_u32_e64 s[4:5], s19, v2
	s_and_saveexec_b64 s[24:25], s[4:5]
	s_xor_b64 s[4:5], exec, s[24:25]
; %bb.27:                               ;   in Loop: Header=BB375_10 Depth=1
	v_bfe_u32 v2, v1, 16, 1
	v_add3_u32 v1, v1, v2, s27
	v_accvgpr_write_b32 a39, v1
                                        ; implicit-def: $vgpr1
; %bb.28:                               ;   in Loop: Header=BB375_10 Depth=1
	s_andn2_saveexec_b64 s[24:25], s[4:5]
; %bb.29:                               ;   in Loop: Header=BB375_10 Depth=1
	v_or_b32_e32 v2, 0x10000, v1
	v_cmp_eq_u32_sdwa s[4:5], v1, v9 src0_sel:WORD_0 src1_sel:DWORD
	s_nop 1
	v_cndmask_b32_e64 v1, v2, v1, s[4:5]
	v_accvgpr_write_b32 a39, v1
; %bb.30:                               ;   in Loop: Header=BB375_10 Depth=1
	s_or_b64 exec, exec, s[24:25]
	v_bfe_u32 v1, v0, 8, 8
	v_cvt_f32_fp8_sdwa v1, v1 src0_sel:BYTE_0
                                        ; implicit-def: $agpr40
	s_nop 0
	v_mul_f32_e32 v1, v59, v1
	v_and_b32_e32 v2, 0x7f800000, v1
	v_cmp_ne_u32_e64 s[4:5], s19, v2
	s_and_saveexec_b64 s[24:25], s[4:5]
	s_xor_b64 s[4:5], exec, s[24:25]
; %bb.31:                               ;   in Loop: Header=BB375_10 Depth=1
	v_bfe_u32 v2, v1, 16, 1
	v_add3_u32 v1, v1, v2, s27
	v_accvgpr_write_b32 a40, v1
                                        ; implicit-def: $vgpr1
; %bb.32:                               ;   in Loop: Header=BB375_10 Depth=1
	s_andn2_saveexec_b64 s[24:25], s[4:5]
; %bb.33:                               ;   in Loop: Header=BB375_10 Depth=1
	v_or_b32_e32 v2, 0x10000, v1
	v_cmp_eq_u32_sdwa s[4:5], v1, v9 src0_sel:WORD_0 src1_sel:DWORD
	s_nop 1
	v_cndmask_b32_e64 v1, v2, v1, s[4:5]
	v_accvgpr_write_b32 a40, v1
; %bb.34:                               ;   in Loop: Header=BB375_10 Depth=1
	s_or_b64 exec, exec, s[24:25]
	v_bfe_u32 v1, v0, 16, 8
	v_cvt_f32_fp8_sdwa v1, v1 src0_sel:BYTE_0
                                        ; implicit-def: $agpr41
	s_nop 0
	v_mul_f32_e32 v1, v59, v1
	v_and_b32_e32 v2, 0x7f800000, v1
	v_cmp_ne_u32_e64 s[4:5], s19, v2
	s_and_saveexec_b64 s[24:25], s[4:5]
	s_xor_b64 s[4:5], exec, s[24:25]
; %bb.35:                               ;   in Loop: Header=BB375_10 Depth=1
	v_bfe_u32 v2, v1, 16, 1
	v_add3_u32 v1, v1, v2, s27
	v_accvgpr_write_b32 a41, v1
                                        ; implicit-def: $vgpr1
; %bb.36:                               ;   in Loop: Header=BB375_10 Depth=1
	s_andn2_saveexec_b64 s[24:25], s[4:5]
; %bb.37:                               ;   in Loop: Header=BB375_10 Depth=1
	v_or_b32_e32 v2, 0x10000, v1
	v_cmp_eq_u32_sdwa s[4:5], v1, v9 src0_sel:WORD_0 src1_sel:DWORD
	s_nop 1
	v_cndmask_b32_e64 v1, v2, v1, s[4:5]
	v_accvgpr_write_b32 a41, v1
; %bb.38:                               ;   in Loop: Header=BB375_10 Depth=1
	s_or_b64 exec, exec, s[24:25]
	v_lshrrev_b32_e32 v0, 24, v0
	v_cvt_f32_fp8_sdwa v0, v0 src0_sel:BYTE_0
                                        ; implicit-def: $agpr42
	s_nop 0
	v_mul_f32_e32 v0, v59, v0
	v_and_b32_e32 v1, 0x7f800000, v0
	v_cmp_ne_u32_e64 s[4:5], s19, v1
	s_and_saveexec_b64 s[24:25], s[4:5]
	s_xor_b64 s[4:5], exec, s[24:25]
; %bb.39:                               ;   in Loop: Header=BB375_10 Depth=1
	v_bfe_u32 v1, v0, 16, 1
	v_add3_u32 v0, v0, v1, s27
	v_accvgpr_write_b32 a42, v0
                                        ; implicit-def: $vgpr0
; %bb.40:                               ;   in Loop: Header=BB375_10 Depth=1
	s_andn2_saveexec_b64 s[24:25], s[4:5]
; %bb.41:                               ;   in Loop: Header=BB375_10 Depth=1
	v_or_b32_e32 v1, 0x10000, v0
	v_cmp_eq_u32_sdwa s[4:5], v0, v9 src0_sel:WORD_0 src1_sel:DWORD
	s_nop 1
	v_cndmask_b32_e64 v0, v1, v0, s[4:5]
	v_accvgpr_write_b32 a42, v0
; %bb.42:                               ;   in Loop: Header=BB375_10 Depth=1
	s_or_b64 exec, exec, s[24:25]
	flat_load_dword v0, v[32:33] offset:512
                                        ; implicit-def: $agpr43
	s_waitcnt vmcnt(0) lgkmcnt(0)
	v_and_b32_e32 v1, 0xff, v0
	v_cvt_f32_fp8_sdwa v1, v1 src0_sel:BYTE_0
	s_nop 0
	v_mul_f32_e32 v1, v59, v1
	v_and_b32_e32 v2, 0x7f800000, v1
	v_cmp_ne_u32_e64 s[4:5], s19, v2
	s_and_saveexec_b64 s[24:25], s[4:5]
	s_xor_b64 s[4:5], exec, s[24:25]
; %bb.43:                               ;   in Loop: Header=BB375_10 Depth=1
	v_bfe_u32 v2, v1, 16, 1
	v_add3_u32 v1, v1, v2, s27
	v_accvgpr_write_b32 a43, v1
                                        ; implicit-def: $vgpr1
; %bb.44:                               ;   in Loop: Header=BB375_10 Depth=1
	s_andn2_saveexec_b64 s[24:25], s[4:5]
; %bb.45:                               ;   in Loop: Header=BB375_10 Depth=1
	v_or_b32_e32 v2, 0x10000, v1
	v_cmp_eq_u32_sdwa s[4:5], v1, v9 src0_sel:WORD_0 src1_sel:DWORD
	s_nop 1
	v_cndmask_b32_e64 v1, v2, v1, s[4:5]
	v_accvgpr_write_b32 a43, v1
; %bb.46:                               ;   in Loop: Header=BB375_10 Depth=1
	s_or_b64 exec, exec, s[24:25]
	v_bfe_u32 v1, v0, 8, 8
	v_cvt_f32_fp8_sdwa v1, v1 src0_sel:BYTE_0
                                        ; implicit-def: $agpr44
	s_nop 0
	v_mul_f32_e32 v1, v59, v1
	v_and_b32_e32 v2, 0x7f800000, v1
	v_cmp_ne_u32_e64 s[4:5], s19, v2
	s_and_saveexec_b64 s[24:25], s[4:5]
	s_xor_b64 s[4:5], exec, s[24:25]
; %bb.47:                               ;   in Loop: Header=BB375_10 Depth=1
	v_bfe_u32 v2, v1, 16, 1
	v_add3_u32 v1, v1, v2, s27
	v_accvgpr_write_b32 a44, v1
                                        ; implicit-def: $vgpr1
; %bb.48:                               ;   in Loop: Header=BB375_10 Depth=1
	s_andn2_saveexec_b64 s[24:25], s[4:5]
; %bb.49:                               ;   in Loop: Header=BB375_10 Depth=1
	v_or_b32_e32 v2, 0x10000, v1
	v_cmp_eq_u32_sdwa s[4:5], v1, v9 src0_sel:WORD_0 src1_sel:DWORD
	s_nop 1
	v_cndmask_b32_e64 v1, v2, v1, s[4:5]
	v_accvgpr_write_b32 a44, v1
; %bb.50:                               ;   in Loop: Header=BB375_10 Depth=1
	s_or_b64 exec, exec, s[24:25]
	v_bfe_u32 v1, v0, 16, 8
	v_cvt_f32_fp8_sdwa v1, v1 src0_sel:BYTE_0
                                        ; implicit-def: $agpr45
	s_nop 0
	v_mul_f32_e32 v1, v59, v1
	v_and_b32_e32 v2, 0x7f800000, v1
	v_cmp_ne_u32_e64 s[4:5], s19, v2
	s_and_saveexec_b64 s[24:25], s[4:5]
	s_xor_b64 s[4:5], exec, s[24:25]
; %bb.51:                               ;   in Loop: Header=BB375_10 Depth=1
	v_bfe_u32 v2, v1, 16, 1
	v_add3_u32 v1, v1, v2, s27
	v_accvgpr_write_b32 a45, v1
                                        ; implicit-def: $vgpr1
; %bb.52:                               ;   in Loop: Header=BB375_10 Depth=1
	s_andn2_saveexec_b64 s[24:25], s[4:5]
; %bb.53:                               ;   in Loop: Header=BB375_10 Depth=1
	v_or_b32_e32 v2, 0x10000, v1
	v_cmp_eq_u32_sdwa s[4:5], v1, v9 src0_sel:WORD_0 src1_sel:DWORD
	s_nop 1
	v_cndmask_b32_e64 v1, v2, v1, s[4:5]
	v_accvgpr_write_b32 a45, v1
; %bb.54:                               ;   in Loop: Header=BB375_10 Depth=1
	s_or_b64 exec, exec, s[24:25]
	v_lshrrev_b32_e32 v0, 24, v0
	v_cvt_f32_fp8_sdwa v0, v0 src0_sel:BYTE_0
                                        ; implicit-def: $agpr46
	s_nop 0
	v_mul_f32_e32 v0, v59, v0
	v_and_b32_e32 v1, 0x7f800000, v0
	v_cmp_ne_u32_e64 s[4:5], s19, v1
	s_and_saveexec_b64 s[24:25], s[4:5]
	s_xor_b64 s[4:5], exec, s[24:25]
; %bb.55:                               ;   in Loop: Header=BB375_10 Depth=1
	v_bfe_u32 v1, v0, 16, 1
	v_add3_u32 v0, v0, v1, s27
	v_accvgpr_write_b32 a46, v0
                                        ; implicit-def: $vgpr0
; %bb.56:                               ;   in Loop: Header=BB375_10 Depth=1
	s_andn2_saveexec_b64 s[24:25], s[4:5]
; %bb.57:                               ;   in Loop: Header=BB375_10 Depth=1
	v_or_b32_e32 v1, 0x10000, v0
	v_cmp_eq_u32_sdwa s[4:5], v0, v9 src0_sel:WORD_0 src1_sel:DWORD
	s_nop 1
	v_cndmask_b32_e64 v0, v1, v0, s[4:5]
	v_accvgpr_write_b32 a46, v0
; %bb.58:                               ;   in Loop: Header=BB375_10 Depth=1
	s_or_b64 exec, exec, s[24:25]
	flat_load_dword v0, v[32:33] offset:520
                                        ; implicit-def: $agpr47
	s_waitcnt vmcnt(0) lgkmcnt(0)
	v_and_b32_e32 v1, 0xff, v0
	v_cvt_f32_fp8_sdwa v1, v1 src0_sel:BYTE_0
	s_nop 0
	v_mul_f32_e32 v1, v59, v1
	v_and_b32_e32 v2, 0x7f800000, v1
	v_cmp_ne_u32_e64 s[4:5], s19, v2
	s_and_saveexec_b64 s[24:25], s[4:5]
	s_xor_b64 s[4:5], exec, s[24:25]
; %bb.59:                               ;   in Loop: Header=BB375_10 Depth=1
	v_bfe_u32 v2, v1, 16, 1
	v_add3_u32 v1, v1, v2, s27
	v_accvgpr_write_b32 a47, v1
                                        ; implicit-def: $vgpr1
; %bb.60:                               ;   in Loop: Header=BB375_10 Depth=1
	s_andn2_saveexec_b64 s[24:25], s[4:5]
; %bb.61:                               ;   in Loop: Header=BB375_10 Depth=1
	v_or_b32_e32 v2, 0x10000, v1
	v_cmp_eq_u32_sdwa s[4:5], v1, v9 src0_sel:WORD_0 src1_sel:DWORD
	s_nop 1
	v_cndmask_b32_e64 v1, v2, v1, s[4:5]
	v_accvgpr_write_b32 a47, v1
; %bb.62:                               ;   in Loop: Header=BB375_10 Depth=1
	s_or_b64 exec, exec, s[24:25]
	v_bfe_u32 v1, v0, 8, 8
	v_cvt_f32_fp8_sdwa v1, v1 src0_sel:BYTE_0
                                        ; implicit-def: $agpr48
	s_nop 0
	v_mul_f32_e32 v1, v59, v1
	v_and_b32_e32 v2, 0x7f800000, v1
	v_cmp_ne_u32_e64 s[4:5], s19, v2
	s_and_saveexec_b64 s[24:25], s[4:5]
	s_xor_b64 s[4:5], exec, s[24:25]
; %bb.63:                               ;   in Loop: Header=BB375_10 Depth=1
	v_bfe_u32 v2, v1, 16, 1
	v_add3_u32 v1, v1, v2, s27
	v_accvgpr_write_b32 a48, v1
                                        ; implicit-def: $vgpr1
; %bb.64:                               ;   in Loop: Header=BB375_10 Depth=1
	s_andn2_saveexec_b64 s[24:25], s[4:5]
; %bb.65:                               ;   in Loop: Header=BB375_10 Depth=1
	v_or_b32_e32 v2, 0x10000, v1
	v_cmp_eq_u32_sdwa s[4:5], v1, v9 src0_sel:WORD_0 src1_sel:DWORD
	s_nop 1
	v_cndmask_b32_e64 v1, v2, v1, s[4:5]
	v_accvgpr_write_b32 a48, v1
; %bb.66:                               ;   in Loop: Header=BB375_10 Depth=1
	s_or_b64 exec, exec, s[24:25]
	v_bfe_u32 v1, v0, 16, 8
	v_cvt_f32_fp8_sdwa v1, v1 src0_sel:BYTE_0
                                        ; implicit-def: $vgpr12
	s_nop 0
	v_mul_f32_e32 v1, v59, v1
	v_and_b32_e32 v2, 0x7f800000, v1
	v_cmp_ne_u32_e64 s[4:5], s19, v2
	s_and_saveexec_b64 s[24:25], s[4:5]
	s_xor_b64 s[4:5], exec, s[24:25]
; %bb.67:                               ;   in Loop: Header=BB375_10 Depth=1
	v_bfe_u32 v2, v1, 16, 1
	v_add3_u32 v12, v1, v2, s27
                                        ; implicit-def: $vgpr1
; %bb.68:                               ;   in Loop: Header=BB375_10 Depth=1
	s_andn2_saveexec_b64 s[24:25], s[4:5]
; %bb.69:                               ;   in Loop: Header=BB375_10 Depth=1
	v_or_b32_e32 v2, 0x10000, v1
	v_cmp_eq_u32_sdwa s[4:5], v1, v9 src0_sel:WORD_0 src1_sel:DWORD
	s_nop 1
	v_cndmask_b32_e64 v12, v2, v1, s[4:5]
; %bb.70:                               ;   in Loop: Header=BB375_10 Depth=1
	s_or_b64 exec, exec, s[24:25]
	v_lshrrev_b32_e32 v0, 24, v0
	v_cvt_f32_fp8_sdwa v0, v0 src0_sel:BYTE_0
                                        ; implicit-def: $vgpr27
	s_nop 0
	v_mul_f32_e32 v0, v59, v0
	v_and_b32_e32 v1, 0x7f800000, v0
	v_cmp_ne_u32_e64 s[4:5], s19, v1
	s_and_saveexec_b64 s[24:25], s[4:5]
	s_xor_b64 s[4:5], exec, s[24:25]
; %bb.71:                               ;   in Loop: Header=BB375_10 Depth=1
	v_bfe_u32 v1, v0, 16, 1
	v_add3_u32 v27, v0, v1, s27
                                        ; implicit-def: $vgpr0
; %bb.72:                               ;   in Loop: Header=BB375_10 Depth=1
	s_andn2_saveexec_b64 s[24:25], s[4:5]
; %bb.73:                               ;   in Loop: Header=BB375_10 Depth=1
	v_or_b32_e32 v1, 0x10000, v0
	v_cmp_eq_u32_sdwa s[4:5], v0, v9 src0_sel:WORD_0 src1_sel:DWORD
	s_nop 1
	v_cndmask_b32_e64 v27, v1, v0, s[4:5]
; %bb.74:                               ;   in Loop: Header=BB375_10 Depth=1
	s_or_b64 exec, exec, s[24:25]
	flat_load_dword v0, v[32:33] offset:1024
                                        ; implicit-def: $vgpr26
	s_waitcnt vmcnt(0) lgkmcnt(0)
	v_and_b32_e32 v1, 0xff, v0
	v_cvt_f32_fp8_sdwa v1, v1 src0_sel:BYTE_0
	s_nop 0
	v_mul_f32_e32 v1, v59, v1
	v_and_b32_e32 v2, 0x7f800000, v1
	v_cmp_ne_u32_e64 s[4:5], s19, v2
	s_and_saveexec_b64 s[24:25], s[4:5]
	s_xor_b64 s[4:5], exec, s[24:25]
; %bb.75:                               ;   in Loop: Header=BB375_10 Depth=1
	v_bfe_u32 v2, v1, 16, 1
	v_add3_u32 v26, v1, v2, s27
                                        ; implicit-def: $vgpr1
; %bb.76:                               ;   in Loop: Header=BB375_10 Depth=1
	s_andn2_saveexec_b64 s[24:25], s[4:5]
; %bb.77:                               ;   in Loop: Header=BB375_10 Depth=1
	v_or_b32_e32 v2, 0x10000, v1
	v_cmp_eq_u32_sdwa s[4:5], v1, v9 src0_sel:WORD_0 src1_sel:DWORD
	s_nop 1
	v_cndmask_b32_e64 v26, v2, v1, s[4:5]
; %bb.78:                               ;   in Loop: Header=BB375_10 Depth=1
	s_or_b64 exec, exec, s[24:25]
	v_bfe_u32 v1, v0, 8, 8
	v_cvt_f32_fp8_sdwa v1, v1 src0_sel:BYTE_0
                                        ; implicit-def: $vgpr11
	s_nop 0
	v_mul_f32_e32 v1, v59, v1
	v_and_b32_e32 v2, 0x7f800000, v1
	v_cmp_ne_u32_e64 s[4:5], s19, v2
	s_and_saveexec_b64 s[24:25], s[4:5]
	s_xor_b64 s[4:5], exec, s[24:25]
; %bb.79:                               ;   in Loop: Header=BB375_10 Depth=1
	v_bfe_u32 v2, v1, 16, 1
	v_add3_u32 v11, v1, v2, s27
                                        ; implicit-def: $vgpr1
; %bb.80:                               ;   in Loop: Header=BB375_10 Depth=1
	s_andn2_saveexec_b64 s[24:25], s[4:5]
; %bb.81:                               ;   in Loop: Header=BB375_10 Depth=1
	v_or_b32_e32 v2, 0x10000, v1
	v_cmp_eq_u32_sdwa s[4:5], v1, v9 src0_sel:WORD_0 src1_sel:DWORD
	s_nop 1
	v_cndmask_b32_e64 v11, v2, v1, s[4:5]
; %bb.82:                               ;   in Loop: Header=BB375_10 Depth=1
	s_or_b64 exec, exec, s[24:25]
	v_bfe_u32 v1, v0, 16, 8
	v_cvt_f32_fp8_sdwa v1, v1 src0_sel:BYTE_0
                                        ; implicit-def: $vgpr10
	s_nop 0
	v_mul_f32_e32 v1, v59, v1
	v_and_b32_e32 v2, 0x7f800000, v1
	v_cmp_ne_u32_e64 s[4:5], s19, v2
	s_and_saveexec_b64 s[24:25], s[4:5]
	s_xor_b64 s[4:5], exec, s[24:25]
; %bb.83:                               ;   in Loop: Header=BB375_10 Depth=1
	v_bfe_u32 v2, v1, 16, 1
	v_add3_u32 v10, v1, v2, s27
                                        ; implicit-def: $vgpr1
; %bb.84:                               ;   in Loop: Header=BB375_10 Depth=1
	s_andn2_saveexec_b64 s[24:25], s[4:5]
; %bb.85:                               ;   in Loop: Header=BB375_10 Depth=1
	v_or_b32_e32 v2, 0x10000, v1
	v_cmp_eq_u32_sdwa s[4:5], v1, v9 src0_sel:WORD_0 src1_sel:DWORD
	s_nop 1
	v_cndmask_b32_e64 v10, v2, v1, s[4:5]
; %bb.86:                               ;   in Loop: Header=BB375_10 Depth=1
	s_or_b64 exec, exec, s[24:25]
	v_lshrrev_b32_e32 v0, 24, v0
	v_cvt_f32_fp8_sdwa v0, v0 src0_sel:BYTE_0
	s_nop 0
	v_mul_f32_e32 v0, v59, v0
	v_and_b32_e32 v1, 0x7f800000, v0
	v_cmp_ne_u32_e64 s[4:5], s19, v1
                                        ; implicit-def: $vgpr1
	s_and_saveexec_b64 s[24:25], s[4:5]
	s_xor_b64 s[4:5], exec, s[24:25]
; %bb.87:                               ;   in Loop: Header=BB375_10 Depth=1
	v_bfe_u32 v1, v0, 16, 1
	v_add3_u32 v1, v0, v1, s27
                                        ; implicit-def: $vgpr0
; %bb.88:                               ;   in Loop: Header=BB375_10 Depth=1
	s_andn2_saveexec_b64 s[24:25], s[4:5]
; %bb.89:                               ;   in Loop: Header=BB375_10 Depth=1
	v_or_b32_e32 v1, 0x10000, v0
	v_cmp_eq_u32_sdwa s[4:5], v0, v9 src0_sel:WORD_0 src1_sel:DWORD
	s_nop 1
	v_cndmask_b32_e64 v1, v1, v0, s[4:5]
; %bb.90:                               ;   in Loop: Header=BB375_10 Depth=1
	s_or_b64 exec, exec, s[24:25]
	flat_load_dword v4, v[32:33] offset:1032
	s_waitcnt vmcnt(0) lgkmcnt(0)
	v_and_b32_e32 v0, 0xff, v4
	v_cvt_f32_fp8_sdwa v0, v0 src0_sel:BYTE_0
	s_nop 0
	v_mul_f32_e32 v2, v59, v0
	v_and_b32_e32 v0, 0x7f800000, v2
	v_cmp_ne_u32_e64 s[4:5], s19, v0
                                        ; implicit-def: $vgpr0
	s_and_saveexec_b64 s[24:25], s[4:5]
	s_xor_b64 s[4:5], exec, s[24:25]
; %bb.91:                               ;   in Loop: Header=BB375_10 Depth=1
	v_bfe_u32 v0, v2, 16, 1
	v_add3_u32 v0, v2, v0, s27
                                        ; implicit-def: $vgpr2
; %bb.92:                               ;   in Loop: Header=BB375_10 Depth=1
	s_andn2_saveexec_b64 s[24:25], s[4:5]
; %bb.93:                               ;   in Loop: Header=BB375_10 Depth=1
	v_or_b32_e32 v0, 0x10000, v2
	v_cmp_eq_u32_sdwa s[4:5], v2, v9 src0_sel:WORD_0 src1_sel:DWORD
	s_nop 1
	v_cndmask_b32_e64 v0, v0, v2, s[4:5]
; %bb.94:                               ;   in Loop: Header=BB375_10 Depth=1
	s_or_b64 exec, exec, s[24:25]
	v_bfe_u32 v2, v4, 8, 8
	v_cvt_f32_fp8_sdwa v2, v2 src0_sel:BYTE_0
	s_nop 0
	v_mul_f32_e32 v2, v59, v2
	v_and_b32_e32 v3, 0x7f800000, v2
	v_cmp_ne_u32_e64 s[4:5], s19, v3
                                        ; implicit-def: $vgpr3
	s_and_saveexec_b64 s[24:25], s[4:5]
	s_xor_b64 s[4:5], exec, s[24:25]
; %bb.95:                               ;   in Loop: Header=BB375_10 Depth=1
	v_bfe_u32 v3, v2, 16, 1
	v_add3_u32 v3, v2, v3, s27
                                        ; implicit-def: $vgpr2
; %bb.96:                               ;   in Loop: Header=BB375_10 Depth=1
	s_andn2_saveexec_b64 s[24:25], s[4:5]
; %bb.97:                               ;   in Loop: Header=BB375_10 Depth=1
	v_or_b32_e32 v3, 0x10000, v2
	v_cmp_eq_u32_sdwa s[4:5], v2, v9 src0_sel:WORD_0 src1_sel:DWORD
	s_nop 1
	v_cndmask_b32_e64 v3, v3, v2, s[4:5]
; %bb.98:                               ;   in Loop: Header=BB375_10 Depth=1
	s_or_b64 exec, exec, s[24:25]
	v_bfe_u32 v2, v4, 16, 8
	v_cvt_f32_fp8_sdwa v2, v2 src0_sel:BYTE_0
	s_nop 0
	v_mul_f32_e32 v5, v59, v2
	v_and_b32_e32 v2, 0x7f800000, v5
	v_cmp_ne_u32_e64 s[4:5], s19, v2
                                        ; implicit-def: $vgpr2
	s_and_saveexec_b64 s[24:25], s[4:5]
	s_xor_b64 s[4:5], exec, s[24:25]
; %bb.99:                               ;   in Loop: Header=BB375_10 Depth=1
	v_bfe_u32 v2, v5, 16, 1
	v_add3_u32 v2, v5, v2, s27
                                        ; implicit-def: $vgpr5
; %bb.100:                              ;   in Loop: Header=BB375_10 Depth=1
	s_andn2_saveexec_b64 s[24:25], s[4:5]
; %bb.101:                              ;   in Loop: Header=BB375_10 Depth=1
	v_or_b32_e32 v2, 0x10000, v5
	v_cmp_eq_u32_sdwa s[4:5], v5, v9 src0_sel:WORD_0 src1_sel:DWORD
	s_nop 1
	v_cndmask_b32_e64 v2, v2, v5, s[4:5]
; %bb.102:                              ;   in Loop: Header=BB375_10 Depth=1
	s_or_b64 exec, exec, s[24:25]
	v_lshrrev_b32_e32 v4, 24, v4
	v_cvt_f32_fp8_sdwa v4, v4 src0_sel:BYTE_0
                                        ; implicit-def: $vgpr15
	s_nop 0
	v_mul_f32_e32 v4, v59, v4
	v_and_b32_e32 v5, 0x7f800000, v4
	v_cmp_ne_u32_e64 s[4:5], s19, v5
	s_and_saveexec_b64 s[24:25], s[4:5]
	s_xor_b64 s[4:5], exec, s[24:25]
; %bb.103:                              ;   in Loop: Header=BB375_10 Depth=1
	v_bfe_u32 v5, v4, 16, 1
	v_add3_u32 v15, v4, v5, s27
                                        ; implicit-def: $vgpr4
; %bb.104:                              ;   in Loop: Header=BB375_10 Depth=1
	s_andn2_saveexec_b64 s[24:25], s[4:5]
; %bb.105:                              ;   in Loop: Header=BB375_10 Depth=1
	v_or_b32_e32 v5, 0x10000, v4
	v_cmp_eq_u32_sdwa s[4:5], v4, v9 src0_sel:WORD_0 src1_sel:DWORD
	s_nop 1
	v_cndmask_b32_e64 v15, v5, v4, s[4:5]
; %bb.106:                              ;   in Loop: Header=BB375_10 Depth=1
	s_or_b64 exec, exec, s[24:25]
	flat_load_dword v4, v[32:33] offset:1536
                                        ; implicit-def: $vgpr14
	s_waitcnt vmcnt(0) lgkmcnt(0)
	v_and_b32_e32 v5, 0xff, v4
	v_cvt_f32_fp8_sdwa v5, v5 src0_sel:BYTE_0
	s_nop 0
	v_mul_f32_e32 v5, v59, v5
	v_and_b32_e32 v6, 0x7f800000, v5
	v_cmp_ne_u32_e64 s[4:5], s19, v6
	s_and_saveexec_b64 s[24:25], s[4:5]
	s_xor_b64 s[4:5], exec, s[24:25]
; %bb.107:                              ;   in Loop: Header=BB375_10 Depth=1
	v_bfe_u32 v6, v5, 16, 1
	v_add3_u32 v14, v5, v6, s27
                                        ; implicit-def: $vgpr5
; %bb.108:                              ;   in Loop: Header=BB375_10 Depth=1
	s_andn2_saveexec_b64 s[24:25], s[4:5]
; %bb.109:                              ;   in Loop: Header=BB375_10 Depth=1
	v_or_b32_e32 v6, 0x10000, v5
	v_cmp_eq_u32_sdwa s[4:5], v5, v9 src0_sel:WORD_0 src1_sel:DWORD
	s_nop 1
	v_cndmask_b32_e64 v14, v6, v5, s[4:5]
; %bb.110:                              ;   in Loop: Header=BB375_10 Depth=1
	s_or_b64 exec, exec, s[24:25]
	v_bfe_u32 v5, v4, 8, 8
	v_cvt_f32_fp8_sdwa v5, v5 src0_sel:BYTE_0
                                        ; implicit-def: $vgpr23
	s_nop 0
	v_mul_f32_e32 v5, v59, v5
	v_and_b32_e32 v6, 0x7f800000, v5
	v_cmp_ne_u32_e64 s[4:5], s19, v6
	s_and_saveexec_b64 s[24:25], s[4:5]
	s_xor_b64 s[4:5], exec, s[24:25]
; %bb.111:                              ;   in Loop: Header=BB375_10 Depth=1
	v_bfe_u32 v6, v5, 16, 1
	v_add3_u32 v23, v5, v6, s27
                                        ; implicit-def: $vgpr5
; %bb.112:                              ;   in Loop: Header=BB375_10 Depth=1
	s_andn2_saveexec_b64 s[24:25], s[4:5]
; %bb.113:                              ;   in Loop: Header=BB375_10 Depth=1
	v_or_b32_e32 v6, 0x10000, v5
	v_cmp_eq_u32_sdwa s[4:5], v5, v9 src0_sel:WORD_0 src1_sel:DWORD
	s_nop 1
	v_cndmask_b32_e64 v23, v6, v5, s[4:5]
; %bb.114:                              ;   in Loop: Header=BB375_10 Depth=1
	s_or_b64 exec, exec, s[24:25]
	v_bfe_u32 v5, v4, 16, 8
	v_cvt_f32_fp8_sdwa v5, v5 src0_sel:BYTE_0
                                        ; implicit-def: $vgpr22
	s_nop 0
	v_mul_f32_e32 v5, v59, v5
	v_and_b32_e32 v6, 0x7f800000, v5
	v_cmp_ne_u32_e64 s[4:5], s19, v6
	s_and_saveexec_b64 s[24:25], s[4:5]
	s_xor_b64 s[4:5], exec, s[24:25]
; %bb.115:                              ;   in Loop: Header=BB375_10 Depth=1
	v_bfe_u32 v6, v5, 16, 1
	v_add3_u32 v22, v5, v6, s27
                                        ; implicit-def: $vgpr5
; %bb.116:                              ;   in Loop: Header=BB375_10 Depth=1
	s_andn2_saveexec_b64 s[24:25], s[4:5]
; %bb.117:                              ;   in Loop: Header=BB375_10 Depth=1
	v_or_b32_e32 v6, 0x10000, v5
	v_cmp_eq_u32_sdwa s[4:5], v5, v9 src0_sel:WORD_0 src1_sel:DWORD
	s_nop 1
	v_cndmask_b32_e64 v22, v6, v5, s[4:5]
; %bb.118:                              ;   in Loop: Header=BB375_10 Depth=1
	s_or_b64 exec, exec, s[24:25]
	v_lshrrev_b32_e32 v4, 24, v4
	v_cvt_f32_fp8_sdwa v4, v4 src0_sel:BYTE_0
                                        ; implicit-def: $vgpr29
	s_nop 0
	v_mul_f32_e32 v4, v59, v4
	v_and_b32_e32 v5, 0x7f800000, v4
	v_cmp_ne_u32_e64 s[4:5], s19, v5
	s_and_saveexec_b64 s[24:25], s[4:5]
	s_xor_b64 s[4:5], exec, s[24:25]
; %bb.119:                              ;   in Loop: Header=BB375_10 Depth=1
	v_bfe_u32 v5, v4, 16, 1
	v_add3_u32 v29, v4, v5, s27
                                        ; implicit-def: $vgpr4
; %bb.120:                              ;   in Loop: Header=BB375_10 Depth=1
	s_andn2_saveexec_b64 s[24:25], s[4:5]
; %bb.121:                              ;   in Loop: Header=BB375_10 Depth=1
	v_or_b32_e32 v5, 0x10000, v4
	v_cmp_eq_u32_sdwa s[4:5], v4, v9 src0_sel:WORD_0 src1_sel:DWORD
	s_nop 1
	v_cndmask_b32_e64 v29, v5, v4, s[4:5]
; %bb.122:                              ;   in Loop: Header=BB375_10 Depth=1
	s_or_b64 exec, exec, s[24:25]
	flat_load_dword v4, v[32:33] offset:1544
                                        ; implicit-def: $vgpr34
	s_waitcnt vmcnt(0) lgkmcnt(0)
	v_and_b32_e32 v5, 0xff, v4
	v_cvt_f32_fp8_sdwa v5, v5 src0_sel:BYTE_0
	s_nop 0
	v_mul_f32_e32 v5, v59, v5
	v_and_b32_e32 v6, 0x7f800000, v5
	v_cmp_ne_u32_e64 s[4:5], s19, v6
	s_and_saveexec_b64 s[24:25], s[4:5]
	s_xor_b64 s[4:5], exec, s[24:25]
; %bb.123:                              ;   in Loop: Header=BB375_10 Depth=1
	v_bfe_u32 v6, v5, 16, 1
	v_add3_u32 v34, v5, v6, s27
                                        ; implicit-def: $vgpr5
; %bb.124:                              ;   in Loop: Header=BB375_10 Depth=1
	s_andn2_saveexec_b64 s[24:25], s[4:5]
; %bb.125:                              ;   in Loop: Header=BB375_10 Depth=1
	v_or_b32_e32 v6, 0x10000, v5
	v_cmp_eq_u32_sdwa s[4:5], v5, v9 src0_sel:WORD_0 src1_sel:DWORD
	s_nop 1
	v_cndmask_b32_e64 v34, v6, v5, s[4:5]
; %bb.126:                              ;   in Loop: Header=BB375_10 Depth=1
	s_or_b64 exec, exec, s[24:25]
	v_bfe_u32 v5, v4, 8, 8
	v_cvt_f32_fp8_sdwa v5, v5 src0_sel:BYTE_0
                                        ; implicit-def: $vgpr36
	s_nop 0
	v_mul_f32_e32 v5, v59, v5
	v_and_b32_e32 v6, 0x7f800000, v5
	v_cmp_ne_u32_e64 s[4:5], s19, v6
	s_and_saveexec_b64 s[24:25], s[4:5]
	s_xor_b64 s[4:5], exec, s[24:25]
; %bb.127:                              ;   in Loop: Header=BB375_10 Depth=1
	v_bfe_u32 v6, v5, 16, 1
	v_add3_u32 v36, v5, v6, s27
                                        ; implicit-def: $vgpr5
; %bb.128:                              ;   in Loop: Header=BB375_10 Depth=1
	s_andn2_saveexec_b64 s[24:25], s[4:5]
; %bb.129:                              ;   in Loop: Header=BB375_10 Depth=1
	v_or_b32_e32 v6, 0x10000, v5
	v_cmp_eq_u32_sdwa s[4:5], v5, v9 src0_sel:WORD_0 src1_sel:DWORD
	s_nop 1
	v_cndmask_b32_e64 v36, v6, v5, s[4:5]
; %bb.130:                              ;   in Loop: Header=BB375_10 Depth=1
	s_or_b64 exec, exec, s[24:25]
	v_bfe_u32 v5, v4, 16, 8
	v_cvt_f32_fp8_sdwa v5, v5 src0_sel:BYTE_0
                                        ; implicit-def: $vgpr37
	s_nop 0
	v_mul_f32_e32 v5, v59, v5
	v_and_b32_e32 v6, 0x7f800000, v5
	v_cmp_ne_u32_e64 s[4:5], s19, v6
	s_and_saveexec_b64 s[24:25], s[4:5]
	s_xor_b64 s[4:5], exec, s[24:25]
; %bb.131:                              ;   in Loop: Header=BB375_10 Depth=1
	v_bfe_u32 v6, v5, 16, 1
	v_add3_u32 v37, v5, v6, s27
                                        ; implicit-def: $vgpr5
; %bb.132:                              ;   in Loop: Header=BB375_10 Depth=1
	s_andn2_saveexec_b64 s[24:25], s[4:5]
; %bb.133:                              ;   in Loop: Header=BB375_10 Depth=1
	v_or_b32_e32 v6, 0x10000, v5
	v_cmp_eq_u32_sdwa s[4:5], v5, v9 src0_sel:WORD_0 src1_sel:DWORD
	s_nop 1
	v_cndmask_b32_e64 v37, v6, v5, s[4:5]
; %bb.134:                              ;   in Loop: Header=BB375_10 Depth=1
	s_or_b64 exec, exec, s[24:25]
	v_lshrrev_b32_e32 v4, 24, v4
	v_cvt_f32_fp8_sdwa v4, v4 src0_sel:BYTE_0
                                        ; implicit-def: $vgpr48
	s_nop 0
	v_mul_f32_e32 v4, v59, v4
	v_and_b32_e32 v5, 0x7f800000, v4
	v_cmp_ne_u32_e64 s[4:5], s19, v5
	s_and_saveexec_b64 s[24:25], s[4:5]
	s_xor_b64 s[4:5], exec, s[24:25]
; %bb.135:                              ;   in Loop: Header=BB375_10 Depth=1
	v_bfe_u32 v5, v4, 16, 1
	v_add3_u32 v48, v4, v5, s27
                                        ; implicit-def: $vgpr4
; %bb.136:                              ;   in Loop: Header=BB375_10 Depth=1
	s_andn2_saveexec_b64 s[24:25], s[4:5]
; %bb.137:                              ;   in Loop: Header=BB375_10 Depth=1
	v_or_b32_e32 v5, 0x10000, v4
	v_cmp_eq_u32_sdwa s[4:5], v4, v9 src0_sel:WORD_0 src1_sel:DWORD
	s_nop 1
	v_cndmask_b32_e64 v48, v5, v4, s[4:5]
; %bb.138:                              ;   in Loop: Header=BB375_10 Depth=1
	s_or_b64 exec, exec, s[24:25]
	flat_load_dword v4, v[32:33] offset:2048
                                        ; implicit-def: $vgpr49
	s_waitcnt vmcnt(0) lgkmcnt(0)
	v_and_b32_e32 v5, 0xff, v4
	v_cvt_f32_fp8_sdwa v5, v5 src0_sel:BYTE_0
	s_nop 0
	v_mul_f32_e32 v5, v59, v5
	v_and_b32_e32 v6, 0x7f800000, v5
	v_cmp_ne_u32_e64 s[4:5], s19, v6
	s_and_saveexec_b64 s[24:25], s[4:5]
	s_xor_b64 s[4:5], exec, s[24:25]
; %bb.139:                              ;   in Loop: Header=BB375_10 Depth=1
	v_bfe_u32 v6, v5, 16, 1
	v_add3_u32 v49, v5, v6, s27
                                        ; implicit-def: $vgpr5
; %bb.140:                              ;   in Loop: Header=BB375_10 Depth=1
	s_andn2_saveexec_b64 s[24:25], s[4:5]
; %bb.141:                              ;   in Loop: Header=BB375_10 Depth=1
	v_or_b32_e32 v6, 0x10000, v5
	v_cmp_eq_u32_sdwa s[4:5], v5, v9 src0_sel:WORD_0 src1_sel:DWORD
	s_nop 1
	v_cndmask_b32_e64 v49, v6, v5, s[4:5]
; %bb.142:                              ;   in Loop: Header=BB375_10 Depth=1
	s_or_b64 exec, exec, s[24:25]
	v_bfe_u32 v5, v4, 8, 8
	v_cvt_f32_fp8_sdwa v5, v5 src0_sel:BYTE_0
                                        ; implicit-def: $vgpr50
	s_nop 0
	v_mul_f32_e32 v5, v59, v5
	v_and_b32_e32 v6, 0x7f800000, v5
	v_cmp_ne_u32_e64 s[4:5], s19, v6
	s_and_saveexec_b64 s[24:25], s[4:5]
	s_xor_b64 s[4:5], exec, s[24:25]
; %bb.143:                              ;   in Loop: Header=BB375_10 Depth=1
	v_bfe_u32 v6, v5, 16, 1
	v_add3_u32 v50, v5, v6, s27
                                        ; implicit-def: $vgpr5
; %bb.144:                              ;   in Loop: Header=BB375_10 Depth=1
	s_andn2_saveexec_b64 s[24:25], s[4:5]
; %bb.145:                              ;   in Loop: Header=BB375_10 Depth=1
	v_or_b32_e32 v6, 0x10000, v5
	v_cmp_eq_u32_sdwa s[4:5], v5, v9 src0_sel:WORD_0 src1_sel:DWORD
	s_nop 1
	v_cndmask_b32_e64 v50, v6, v5, s[4:5]
; %bb.146:                              ;   in Loop: Header=BB375_10 Depth=1
	s_or_b64 exec, exec, s[24:25]
	v_bfe_u32 v5, v4, 16, 8
	v_cvt_f32_fp8_sdwa v5, v5 src0_sel:BYTE_0
                                        ; implicit-def: $vgpr51
	s_nop 0
	v_mul_f32_e32 v5, v59, v5
	v_and_b32_e32 v6, 0x7f800000, v5
	v_cmp_ne_u32_e64 s[4:5], s19, v6
	s_and_saveexec_b64 s[24:25], s[4:5]
	s_xor_b64 s[4:5], exec, s[24:25]
; %bb.147:                              ;   in Loop: Header=BB375_10 Depth=1
	v_bfe_u32 v6, v5, 16, 1
	v_add3_u32 v51, v5, v6, s27
                                        ; implicit-def: $vgpr5
; %bb.148:                              ;   in Loop: Header=BB375_10 Depth=1
	s_andn2_saveexec_b64 s[24:25], s[4:5]
; %bb.149:                              ;   in Loop: Header=BB375_10 Depth=1
	v_or_b32_e32 v6, 0x10000, v5
	v_cmp_eq_u32_sdwa s[4:5], v5, v9 src0_sel:WORD_0 src1_sel:DWORD
	s_nop 1
	v_cndmask_b32_e64 v51, v6, v5, s[4:5]
; %bb.150:                              ;   in Loop: Header=BB375_10 Depth=1
	s_or_b64 exec, exec, s[24:25]
	v_lshrrev_b32_e32 v4, 24, v4
	v_cvt_f32_fp8_sdwa v4, v4 src0_sel:BYTE_0
                                        ; implicit-def: $vgpr52
	s_nop 0
	v_mul_f32_e32 v4, v59, v4
	v_and_b32_e32 v5, 0x7f800000, v4
	v_cmp_ne_u32_e64 s[4:5], s19, v5
	s_and_saveexec_b64 s[24:25], s[4:5]
	s_xor_b64 s[4:5], exec, s[24:25]
; %bb.151:                              ;   in Loop: Header=BB375_10 Depth=1
	v_bfe_u32 v5, v4, 16, 1
	v_add3_u32 v52, v4, v5, s27
                                        ; implicit-def: $vgpr4
; %bb.152:                              ;   in Loop: Header=BB375_10 Depth=1
	s_andn2_saveexec_b64 s[24:25], s[4:5]
; %bb.153:                              ;   in Loop: Header=BB375_10 Depth=1
	v_or_b32_e32 v5, 0x10000, v4
	v_cmp_eq_u32_sdwa s[4:5], v4, v9 src0_sel:WORD_0 src1_sel:DWORD
	s_nop 1
	v_cndmask_b32_e64 v52, v5, v4, s[4:5]
; %bb.154:                              ;   in Loop: Header=BB375_10 Depth=1
	s_or_b64 exec, exec, s[24:25]
	flat_load_dword v4, v[32:33] offset:2056
                                        ; implicit-def: $vgpr53
	s_waitcnt vmcnt(0) lgkmcnt(0)
	v_and_b32_e32 v5, 0xff, v4
	v_cvt_f32_fp8_sdwa v5, v5 src0_sel:BYTE_0
	s_nop 0
	v_mul_f32_e32 v5, v59, v5
	v_and_b32_e32 v6, 0x7f800000, v5
	v_cmp_ne_u32_e64 s[4:5], s19, v6
	s_and_saveexec_b64 s[24:25], s[4:5]
	s_xor_b64 s[4:5], exec, s[24:25]
; %bb.155:                              ;   in Loop: Header=BB375_10 Depth=1
	v_bfe_u32 v6, v5, 16, 1
	v_add3_u32 v53, v5, v6, s27
                                        ; implicit-def: $vgpr5
; %bb.156:                              ;   in Loop: Header=BB375_10 Depth=1
	s_andn2_saveexec_b64 s[24:25], s[4:5]
; %bb.157:                              ;   in Loop: Header=BB375_10 Depth=1
	v_or_b32_e32 v6, 0x10000, v5
	v_cmp_eq_u32_sdwa s[4:5], v5, v9 src0_sel:WORD_0 src1_sel:DWORD
	s_nop 1
	v_cndmask_b32_e64 v53, v6, v5, s[4:5]
; %bb.158:                              ;   in Loop: Header=BB375_10 Depth=1
	s_or_b64 exec, exec, s[24:25]
	v_bfe_u32 v5, v4, 8, 8
	v_cvt_f32_fp8_sdwa v5, v5 src0_sel:BYTE_0
                                        ; implicit-def: $vgpr54
	s_nop 0
	v_mul_f32_e32 v5, v59, v5
	v_and_b32_e32 v6, 0x7f800000, v5
	v_cmp_ne_u32_e64 s[4:5], s19, v6
	s_and_saveexec_b64 s[24:25], s[4:5]
	s_xor_b64 s[4:5], exec, s[24:25]
; %bb.159:                              ;   in Loop: Header=BB375_10 Depth=1
	v_bfe_u32 v6, v5, 16, 1
	v_add3_u32 v54, v5, v6, s27
                                        ; implicit-def: $vgpr5
; %bb.160:                              ;   in Loop: Header=BB375_10 Depth=1
	s_andn2_saveexec_b64 s[24:25], s[4:5]
; %bb.161:                              ;   in Loop: Header=BB375_10 Depth=1
	v_or_b32_e32 v6, 0x10000, v5
	v_cmp_eq_u32_sdwa s[4:5], v5, v9 src0_sel:WORD_0 src1_sel:DWORD
	s_nop 1
	v_cndmask_b32_e64 v54, v6, v5, s[4:5]
; %bb.162:                              ;   in Loop: Header=BB375_10 Depth=1
	s_or_b64 exec, exec, s[24:25]
	v_bfe_u32 v5, v4, 16, 8
	v_cvt_f32_fp8_sdwa v5, v5 src0_sel:BYTE_0
                                        ; implicit-def: $vgpr55
	s_nop 0
	v_mul_f32_e32 v5, v59, v5
	v_and_b32_e32 v6, 0x7f800000, v5
	v_cmp_ne_u32_e64 s[4:5], s19, v6
	s_and_saveexec_b64 s[24:25], s[4:5]
	s_xor_b64 s[4:5], exec, s[24:25]
; %bb.163:                              ;   in Loop: Header=BB375_10 Depth=1
	v_bfe_u32 v6, v5, 16, 1
	v_add3_u32 v55, v5, v6, s27
                                        ; implicit-def: $vgpr5
; %bb.164:                              ;   in Loop: Header=BB375_10 Depth=1
	s_andn2_saveexec_b64 s[24:25], s[4:5]
; %bb.165:                              ;   in Loop: Header=BB375_10 Depth=1
	v_or_b32_e32 v6, 0x10000, v5
	v_cmp_eq_u32_sdwa s[4:5], v5, v9 src0_sel:WORD_0 src1_sel:DWORD
	s_nop 1
	v_cndmask_b32_e64 v55, v6, v5, s[4:5]
; %bb.166:                              ;   in Loop: Header=BB375_10 Depth=1
	s_or_b64 exec, exec, s[24:25]
	v_lshrrev_b32_e32 v4, 24, v4
	v_cvt_f32_fp8_sdwa v4, v4 src0_sel:BYTE_0
                                        ; implicit-def: $vgpr41
	s_nop 0
	v_mul_f32_e32 v4, v59, v4
	v_and_b32_e32 v5, 0x7f800000, v4
	v_cmp_ne_u32_e64 s[4:5], s19, v5
	s_and_saveexec_b64 s[24:25], s[4:5]
	s_xor_b64 s[4:5], exec, s[24:25]
; %bb.167:                              ;   in Loop: Header=BB375_10 Depth=1
	v_bfe_u32 v5, v4, 16, 1
	v_add3_u32 v41, v4, v5, s27
                                        ; implicit-def: $vgpr4
; %bb.168:                              ;   in Loop: Header=BB375_10 Depth=1
	s_andn2_saveexec_b64 s[24:25], s[4:5]
; %bb.169:                              ;   in Loop: Header=BB375_10 Depth=1
	v_or_b32_e32 v5, 0x10000, v4
	v_cmp_eq_u32_sdwa s[4:5], v4, v9 src0_sel:WORD_0 src1_sel:DWORD
	s_nop 1
	v_cndmask_b32_e64 v41, v5, v4, s[4:5]
; %bb.170:                              ;   in Loop: Header=BB375_10 Depth=1
	s_or_b64 exec, exec, s[24:25]
	flat_load_dword v4, v[32:33] offset:2560
                                        ; implicit-def: $vgpr42
	s_waitcnt vmcnt(0) lgkmcnt(0)
	v_and_b32_e32 v5, 0xff, v4
	v_cvt_f32_fp8_sdwa v5, v5 src0_sel:BYTE_0
	s_nop 0
	v_mul_f32_e32 v5, v59, v5
	v_and_b32_e32 v6, 0x7f800000, v5
	v_cmp_ne_u32_e64 s[4:5], s19, v6
	s_and_saveexec_b64 s[24:25], s[4:5]
	s_xor_b64 s[4:5], exec, s[24:25]
; %bb.171:                              ;   in Loop: Header=BB375_10 Depth=1
	v_bfe_u32 v6, v5, 16, 1
	v_add3_u32 v42, v5, v6, s27
                                        ; implicit-def: $vgpr5
; %bb.172:                              ;   in Loop: Header=BB375_10 Depth=1
	s_andn2_saveexec_b64 s[24:25], s[4:5]
; %bb.173:                              ;   in Loop: Header=BB375_10 Depth=1
	v_or_b32_e32 v6, 0x10000, v5
	v_cmp_eq_u32_sdwa s[4:5], v5, v9 src0_sel:WORD_0 src1_sel:DWORD
	s_nop 1
	v_cndmask_b32_e64 v42, v6, v5, s[4:5]
; %bb.174:                              ;   in Loop: Header=BB375_10 Depth=1
	s_or_b64 exec, exec, s[24:25]
	v_bfe_u32 v5, v4, 8, 8
	v_cvt_f32_fp8_sdwa v5, v5 src0_sel:BYTE_0
                                        ; implicit-def: $vgpr43
	s_nop 0
	v_mul_f32_e32 v5, v59, v5
	v_and_b32_e32 v6, 0x7f800000, v5
	v_cmp_ne_u32_e64 s[4:5], s19, v6
	s_and_saveexec_b64 s[24:25], s[4:5]
	s_xor_b64 s[4:5], exec, s[24:25]
; %bb.175:                              ;   in Loop: Header=BB375_10 Depth=1
	v_bfe_u32 v6, v5, 16, 1
	v_add3_u32 v43, v5, v6, s27
                                        ; implicit-def: $vgpr5
; %bb.176:                              ;   in Loop: Header=BB375_10 Depth=1
	s_andn2_saveexec_b64 s[24:25], s[4:5]
; %bb.177:                              ;   in Loop: Header=BB375_10 Depth=1
	v_or_b32_e32 v6, 0x10000, v5
	v_cmp_eq_u32_sdwa s[4:5], v5, v9 src0_sel:WORD_0 src1_sel:DWORD
	s_nop 1
	v_cndmask_b32_e64 v43, v6, v5, s[4:5]
; %bb.178:                              ;   in Loop: Header=BB375_10 Depth=1
	s_or_b64 exec, exec, s[24:25]
	v_bfe_u32 v5, v4, 16, 8
	v_cvt_f32_fp8_sdwa v5, v5 src0_sel:BYTE_0
                                        ; implicit-def: $vgpr44
	s_nop 0
	v_mul_f32_e32 v5, v59, v5
	v_and_b32_e32 v6, 0x7f800000, v5
	v_cmp_ne_u32_e64 s[4:5], s19, v6
	s_and_saveexec_b64 s[24:25], s[4:5]
	s_xor_b64 s[4:5], exec, s[24:25]
; %bb.179:                              ;   in Loop: Header=BB375_10 Depth=1
	v_bfe_u32 v6, v5, 16, 1
	v_add3_u32 v44, v5, v6, s27
                                        ; implicit-def: $vgpr5
; %bb.180:                              ;   in Loop: Header=BB375_10 Depth=1
	s_andn2_saveexec_b64 s[24:25], s[4:5]
; %bb.181:                              ;   in Loop: Header=BB375_10 Depth=1
	v_or_b32_e32 v6, 0x10000, v5
	v_cmp_eq_u32_sdwa s[4:5], v5, v9 src0_sel:WORD_0 src1_sel:DWORD
	s_nop 1
	v_cndmask_b32_e64 v44, v6, v5, s[4:5]
; %bb.182:                              ;   in Loop: Header=BB375_10 Depth=1
	s_or_b64 exec, exec, s[24:25]
	v_lshrrev_b32_e32 v4, 24, v4
	v_cvt_f32_fp8_sdwa v4, v4 src0_sel:BYTE_0
	s_nop 0
	v_mul_f32_e32 v5, v59, v4
	v_and_b32_e32 v4, 0x7f800000, v5
	v_cmp_ne_u32_e64 s[4:5], s19, v4
                                        ; implicit-def: $vgpr4
	s_and_saveexec_b64 s[24:25], s[4:5]
	s_xor_b64 s[4:5], exec, s[24:25]
; %bb.183:                              ;   in Loop: Header=BB375_10 Depth=1
	v_bfe_u32 v4, v5, 16, 1
	v_add3_u32 v4, v5, v4, s27
                                        ; implicit-def: $vgpr5
; %bb.184:                              ;   in Loop: Header=BB375_10 Depth=1
	s_andn2_saveexec_b64 s[24:25], s[4:5]
; %bb.185:                              ;   in Loop: Header=BB375_10 Depth=1
	v_or_b32_e32 v4, 0x10000, v5
	v_cmp_eq_u32_sdwa s[4:5], v5, v9 src0_sel:WORD_0 src1_sel:DWORD
	s_nop 1
	v_cndmask_b32_e64 v4, v4, v5, s[4:5]
; %bb.186:                              ;   in Loop: Header=BB375_10 Depth=1
	s_or_b64 exec, exec, s[24:25]
	flat_load_dword v6, v[32:33] offset:2568
                                        ; implicit-def: $vgpr31
	s_waitcnt vmcnt(0) lgkmcnt(0)
	v_and_b32_e32 v5, 0xff, v6
	v_cvt_f32_fp8_sdwa v5, v5 src0_sel:BYTE_0
	s_nop 0
	v_mul_f32_e32 v5, v59, v5
	v_and_b32_e32 v7, 0x7f800000, v5
	v_cmp_ne_u32_e64 s[4:5], s19, v7
	s_and_saveexec_b64 s[24:25], s[4:5]
	s_xor_b64 s[4:5], exec, s[24:25]
; %bb.187:                              ;   in Loop: Header=BB375_10 Depth=1
	v_bfe_u32 v7, v5, 16, 1
	v_add3_u32 v31, v5, v7, s27
                                        ; implicit-def: $vgpr5
; %bb.188:                              ;   in Loop: Header=BB375_10 Depth=1
	s_andn2_saveexec_b64 s[24:25], s[4:5]
; %bb.189:                              ;   in Loop: Header=BB375_10 Depth=1
	v_or_b32_e32 v7, 0x10000, v5
	v_cmp_eq_u32_sdwa s[4:5], v5, v9 src0_sel:WORD_0 src1_sel:DWORD
	s_nop 1
	v_cndmask_b32_e64 v31, v7, v5, s[4:5]
; %bb.190:                              ;   in Loop: Header=BB375_10 Depth=1
	s_or_b64 exec, exec, s[24:25]
	v_bfe_u32 v5, v6, 8, 8
	v_cvt_f32_fp8_sdwa v5, v5 src0_sel:BYTE_0
	s_nop 0
	v_mul_f32_e32 v7, v59, v5
	v_and_b32_e32 v5, 0x7f800000, v7
	v_cmp_ne_u32_e64 s[4:5], s19, v5
                                        ; implicit-def: $vgpr5
	s_and_saveexec_b64 s[24:25], s[4:5]
	s_xor_b64 s[4:5], exec, s[24:25]
; %bb.191:                              ;   in Loop: Header=BB375_10 Depth=1
	v_bfe_u32 v5, v7, 16, 1
	v_add3_u32 v5, v7, v5, s27
                                        ; implicit-def: $vgpr7
; %bb.192:                              ;   in Loop: Header=BB375_10 Depth=1
	s_andn2_saveexec_b64 s[24:25], s[4:5]
; %bb.193:                              ;   in Loop: Header=BB375_10 Depth=1
	v_or_b32_e32 v5, 0x10000, v7
	v_cmp_eq_u32_sdwa s[4:5], v7, v9 src0_sel:WORD_0 src1_sel:DWORD
	s_nop 1
	v_cndmask_b32_e64 v5, v5, v7, s[4:5]
; %bb.194:                              ;   in Loop: Header=BB375_10 Depth=1
	s_or_b64 exec, exec, s[24:25]
	v_bfe_u32 v7, v6, 16, 8
	v_cvt_f32_fp8_sdwa v7, v7 src0_sel:BYTE_0
                                        ; implicit-def: $vgpr18
	s_nop 0
	v_mul_f32_e32 v7, v59, v7
	v_and_b32_e32 v16, 0x7f800000, v7
	v_cmp_ne_u32_e64 s[4:5], s19, v16
	s_and_saveexec_b64 s[24:25], s[4:5]
	s_xor_b64 s[4:5], exec, s[24:25]
; %bb.195:                              ;   in Loop: Header=BB375_10 Depth=1
	v_bfe_u32 v16, v7, 16, 1
	v_add3_u32 v18, v7, v16, s27
                                        ; implicit-def: $vgpr7
; %bb.196:                              ;   in Loop: Header=BB375_10 Depth=1
	s_andn2_saveexec_b64 s[24:25], s[4:5]
; %bb.197:                              ;   in Loop: Header=BB375_10 Depth=1
	v_or_b32_e32 v16, 0x10000, v7
	v_cmp_eq_u32_sdwa s[4:5], v7, v9 src0_sel:WORD_0 src1_sel:DWORD
	s_nop 1
	v_cndmask_b32_e64 v18, v16, v7, s[4:5]
; %bb.198:                              ;   in Loop: Header=BB375_10 Depth=1
	s_or_b64 exec, exec, s[24:25]
	v_lshrrev_b32_e32 v6, 24, v6
	v_cvt_f32_fp8_sdwa v6, v6 src0_sel:BYTE_0
                                        ; implicit-def: $vgpr19
	s_nop 0
	v_mul_f32_e32 v6, v59, v6
	v_and_b32_e32 v7, 0x7f800000, v6
	v_cmp_ne_u32_e64 s[4:5], s19, v7
	s_and_saveexec_b64 s[24:25], s[4:5]
	s_xor_b64 s[4:5], exec, s[24:25]
; %bb.199:                              ;   in Loop: Header=BB375_10 Depth=1
	v_bfe_u32 v7, v6, 16, 1
	v_add3_u32 v19, v6, v7, s27
                                        ; implicit-def: $vgpr6
; %bb.200:                              ;   in Loop: Header=BB375_10 Depth=1
	s_andn2_saveexec_b64 s[24:25], s[4:5]
; %bb.201:                              ;   in Loop: Header=BB375_10 Depth=1
	v_or_b32_e32 v7, 0x10000, v6
	v_cmp_eq_u32_sdwa s[4:5], v6, v9 src0_sel:WORD_0 src1_sel:DWORD
	s_nop 1
	v_cndmask_b32_e64 v19, v7, v6, s[4:5]
; %bb.202:                              ;   in Loop: Header=BB375_10 Depth=1
	s_or_b64 exec, exec, s[24:25]
	flat_load_dword v6, v[32:33] offset:3072
                                        ; implicit-def: $vgpr40
	s_waitcnt vmcnt(0) lgkmcnt(0)
	v_and_b32_e32 v7, 0xff, v6
	v_cvt_f32_fp8_sdwa v7, v7 src0_sel:BYTE_0
	s_nop 0
	v_mul_f32_e32 v7, v59, v7
	v_and_b32_e32 v16, 0x7f800000, v7
	v_cmp_ne_u32_e64 s[4:5], s19, v16
	s_and_saveexec_b64 s[24:25], s[4:5]
	s_xor_b64 s[4:5], exec, s[24:25]
; %bb.203:                              ;   in Loop: Header=BB375_10 Depth=1
	v_bfe_u32 v16, v7, 16, 1
	v_add3_u32 v40, v7, v16, s27
                                        ; implicit-def: $vgpr7
; %bb.204:                              ;   in Loop: Header=BB375_10 Depth=1
	s_andn2_saveexec_b64 s[24:25], s[4:5]
; %bb.205:                              ;   in Loop: Header=BB375_10 Depth=1
	v_or_b32_e32 v16, 0x10000, v7
	v_cmp_eq_u32_sdwa s[4:5], v7, v9 src0_sel:WORD_0 src1_sel:DWORD
	s_nop 1
	v_cndmask_b32_e64 v40, v16, v7, s[4:5]
; %bb.206:                              ;   in Loop: Header=BB375_10 Depth=1
	s_or_b64 exec, exec, s[24:25]
	v_bfe_u32 v7, v6, 8, 8
	v_cvt_f32_fp8_sdwa v7, v7 src0_sel:BYTE_0
                                        ; implicit-def: $vgpr25
	s_nop 0
	v_mul_f32_e32 v7, v59, v7
	v_and_b32_e32 v16, 0x7f800000, v7
	v_cmp_ne_u32_e64 s[4:5], s19, v16
	s_and_saveexec_b64 s[24:25], s[4:5]
	s_xor_b64 s[4:5], exec, s[24:25]
; %bb.207:                              ;   in Loop: Header=BB375_10 Depth=1
	v_bfe_u32 v16, v7, 16, 1
	v_add3_u32 v25, v7, v16, s27
                                        ; implicit-def: $vgpr7
; %bb.208:                              ;   in Loop: Header=BB375_10 Depth=1
	s_andn2_saveexec_b64 s[24:25], s[4:5]
; %bb.209:                              ;   in Loop: Header=BB375_10 Depth=1
	v_or_b32_e32 v16, 0x10000, v7
	v_cmp_eq_u32_sdwa s[4:5], v7, v9 src0_sel:WORD_0 src1_sel:DWORD
	s_nop 1
	v_cndmask_b32_e64 v25, v16, v7, s[4:5]
; %bb.210:                              ;   in Loop: Header=BB375_10 Depth=1
	s_or_b64 exec, exec, s[24:25]
	v_bfe_u32 v7, v6, 16, 8
	v_cvt_f32_fp8_sdwa v7, v7 src0_sel:BYTE_0
                                        ; implicit-def: $vgpr24
	s_nop 0
	v_mul_f32_e32 v7, v59, v7
	v_and_b32_e32 v16, 0x7f800000, v7
	v_cmp_ne_u32_e64 s[4:5], s19, v16
	s_and_saveexec_b64 s[24:25], s[4:5]
	s_xor_b64 s[4:5], exec, s[24:25]
; %bb.211:                              ;   in Loop: Header=BB375_10 Depth=1
	v_bfe_u32 v16, v7, 16, 1
	v_add3_u32 v24, v7, v16, s27
                                        ; implicit-def: $vgpr7
; %bb.212:                              ;   in Loop: Header=BB375_10 Depth=1
	s_andn2_saveexec_b64 s[24:25], s[4:5]
; %bb.213:                              ;   in Loop: Header=BB375_10 Depth=1
	v_or_b32_e32 v16, 0x10000, v7
	v_cmp_eq_u32_sdwa s[4:5], v7, v9 src0_sel:WORD_0 src1_sel:DWORD
	s_nop 1
	v_cndmask_b32_e64 v24, v16, v7, s[4:5]
; %bb.214:                              ;   in Loop: Header=BB375_10 Depth=1
	s_or_b64 exec, exec, s[24:25]
	v_lshrrev_b32_e32 v6, 24, v6
	v_cvt_f32_fp8_sdwa v6, v6 src0_sel:BYTE_0
                                        ; implicit-def: $vgpr56
	s_nop 0
	v_mul_f32_e32 v6, v59, v6
	v_and_b32_e32 v7, 0x7f800000, v6
	v_cmp_ne_u32_e64 s[4:5], s19, v7
	s_and_saveexec_b64 s[24:25], s[4:5]
	s_xor_b64 s[4:5], exec, s[24:25]
; %bb.215:                              ;   in Loop: Header=BB375_10 Depth=1
	v_bfe_u32 v7, v6, 16, 1
	v_add3_u32 v56, v6, v7, s27
                                        ; implicit-def: $vgpr6
; %bb.216:                              ;   in Loop: Header=BB375_10 Depth=1
	s_andn2_saveexec_b64 s[24:25], s[4:5]
; %bb.217:                              ;   in Loop: Header=BB375_10 Depth=1
	v_or_b32_e32 v7, 0x10000, v6
	v_cmp_eq_u32_sdwa s[4:5], v6, v9 src0_sel:WORD_0 src1_sel:DWORD
	s_nop 1
	v_cndmask_b32_e64 v56, v7, v6, s[4:5]
; %bb.218:                              ;   in Loop: Header=BB375_10 Depth=1
	s_or_b64 exec, exec, s[24:25]
	flat_load_dword v6, v[32:33] offset:3080
                                        ; implicit-def: $vgpr57
	s_waitcnt vmcnt(0) lgkmcnt(0)
	v_and_b32_e32 v7, 0xff, v6
	v_cvt_f32_fp8_sdwa v7, v7 src0_sel:BYTE_0
	s_nop 0
	v_mul_f32_e32 v7, v59, v7
	v_and_b32_e32 v16, 0x7f800000, v7
	v_cmp_ne_u32_e64 s[4:5], s19, v16
	s_and_saveexec_b64 s[24:25], s[4:5]
	s_xor_b64 s[4:5], exec, s[24:25]
; %bb.219:                              ;   in Loop: Header=BB375_10 Depth=1
	v_bfe_u32 v16, v7, 16, 1
	v_add3_u32 v57, v7, v16, s27
                                        ; implicit-def: $vgpr7
; %bb.220:                              ;   in Loop: Header=BB375_10 Depth=1
	s_andn2_saveexec_b64 s[24:25], s[4:5]
; %bb.221:                              ;   in Loop: Header=BB375_10 Depth=1
	v_or_b32_e32 v16, 0x10000, v7
	v_cmp_eq_u32_sdwa s[4:5], v7, v9 src0_sel:WORD_0 src1_sel:DWORD
	s_nop 1
	v_cndmask_b32_e64 v57, v16, v7, s[4:5]
; %bb.222:                              ;   in Loop: Header=BB375_10 Depth=1
	s_or_b64 exec, exec, s[24:25]
	v_bfe_u32 v7, v6, 8, 8
	v_cvt_f32_fp8_sdwa v7, v7 src0_sel:BYTE_0
                                        ; implicit-def: $vgpr58
	s_nop 0
	v_mul_f32_e32 v7, v59, v7
	v_and_b32_e32 v16, 0x7f800000, v7
	v_cmp_ne_u32_e64 s[4:5], s19, v16
	s_and_saveexec_b64 s[24:25], s[4:5]
	s_xor_b64 s[4:5], exec, s[24:25]
; %bb.223:                              ;   in Loop: Header=BB375_10 Depth=1
	v_bfe_u32 v16, v7, 16, 1
	v_add3_u32 v58, v7, v16, s27
                                        ; implicit-def: $vgpr7
; %bb.224:                              ;   in Loop: Header=BB375_10 Depth=1
	s_andn2_saveexec_b64 s[24:25], s[4:5]
; %bb.225:                              ;   in Loop: Header=BB375_10 Depth=1
	v_or_b32_e32 v16, 0x10000, v7
	v_cmp_eq_u32_sdwa s[4:5], v7, v9 src0_sel:WORD_0 src1_sel:DWORD
	s_nop 1
	v_cndmask_b32_e64 v58, v16, v7, s[4:5]
; %bb.226:                              ;   in Loop: Header=BB375_10 Depth=1
	s_or_b64 exec, exec, s[24:25]
	v_bfe_u32 v7, v6, 16, 8
	v_cvt_f32_fp8_sdwa v7, v7 src0_sel:BYTE_0
                                        ; implicit-def: $vgpr60
	s_nop 0
	v_mul_f32_e32 v7, v59, v7
	v_and_b32_e32 v16, 0x7f800000, v7
	v_cmp_ne_u32_e64 s[4:5], s19, v16
	s_and_saveexec_b64 s[24:25], s[4:5]
	s_xor_b64 s[4:5], exec, s[24:25]
; %bb.227:                              ;   in Loop: Header=BB375_10 Depth=1
	v_bfe_u32 v16, v7, 16, 1
	v_add3_u32 v60, v7, v16, s27
                                        ; implicit-def: $vgpr7
; %bb.228:                              ;   in Loop: Header=BB375_10 Depth=1
	s_andn2_saveexec_b64 s[24:25], s[4:5]
; %bb.229:                              ;   in Loop: Header=BB375_10 Depth=1
	v_or_b32_e32 v16, 0x10000, v7
	v_cmp_eq_u32_sdwa s[4:5], v7, v9 src0_sel:WORD_0 src1_sel:DWORD
	s_nop 1
	v_cndmask_b32_e64 v60, v16, v7, s[4:5]
; %bb.230:                              ;   in Loop: Header=BB375_10 Depth=1
	s_or_b64 exec, exec, s[24:25]
	v_lshrrev_b32_e32 v6, 24, v6
	v_cvt_f32_fp8_sdwa v6, v6 src0_sel:BYTE_0
                                        ; implicit-def: $vgpr61
	s_nop 0
	v_mul_f32_e32 v6, v59, v6
	v_and_b32_e32 v7, 0x7f800000, v6
	v_cmp_ne_u32_e64 s[4:5], s19, v7
	s_and_saveexec_b64 s[24:25], s[4:5]
	s_xor_b64 s[4:5], exec, s[24:25]
; %bb.231:                              ;   in Loop: Header=BB375_10 Depth=1
	v_bfe_u32 v7, v6, 16, 1
	v_add3_u32 v61, v6, v7, s27
                                        ; implicit-def: $vgpr6
; %bb.232:                              ;   in Loop: Header=BB375_10 Depth=1
	s_andn2_saveexec_b64 s[24:25], s[4:5]
; %bb.233:                              ;   in Loop: Header=BB375_10 Depth=1
	v_or_b32_e32 v7, 0x10000, v6
	v_cmp_eq_u32_sdwa s[4:5], v6, v9 src0_sel:WORD_0 src1_sel:DWORD
	s_nop 1
	v_cndmask_b32_e64 v61, v7, v6, s[4:5]
; %bb.234:                              ;   in Loop: Header=BB375_10 Depth=1
	s_or_b64 exec, exec, s[24:25]
	flat_load_dword v6, v[32:33] offset:3584
                                        ; implicit-def: $vgpr62
	s_waitcnt vmcnt(0) lgkmcnt(0)
	v_and_b32_e32 v7, 0xff, v6
	v_cvt_f32_fp8_sdwa v7, v7 src0_sel:BYTE_0
	s_nop 0
	v_mul_f32_e32 v7, v59, v7
	v_and_b32_e32 v16, 0x7f800000, v7
	v_cmp_ne_u32_e64 s[4:5], s19, v16
	s_and_saveexec_b64 s[24:25], s[4:5]
	s_xor_b64 s[4:5], exec, s[24:25]
; %bb.235:                              ;   in Loop: Header=BB375_10 Depth=1
	v_bfe_u32 v16, v7, 16, 1
	v_add3_u32 v62, v7, v16, s27
                                        ; implicit-def: $vgpr7
; %bb.236:                              ;   in Loop: Header=BB375_10 Depth=1
	s_andn2_saveexec_b64 s[24:25], s[4:5]
; %bb.237:                              ;   in Loop: Header=BB375_10 Depth=1
	v_or_b32_e32 v16, 0x10000, v7
	v_cmp_eq_u32_sdwa s[4:5], v7, v9 src0_sel:WORD_0 src1_sel:DWORD
	s_nop 1
	v_cndmask_b32_e64 v62, v16, v7, s[4:5]
; %bb.238:                              ;   in Loop: Header=BB375_10 Depth=1
	s_or_b64 exec, exec, s[24:25]
	v_bfe_u32 v7, v6, 8, 8
	v_cvt_f32_fp8_sdwa v7, v7 src0_sel:BYTE_0
                                        ; implicit-def: $vgpr63
	s_nop 0
	v_mul_f32_e32 v7, v59, v7
	v_and_b32_e32 v16, 0x7f800000, v7
	v_cmp_ne_u32_e64 s[4:5], s19, v16
	s_and_saveexec_b64 s[24:25], s[4:5]
	s_xor_b64 s[4:5], exec, s[24:25]
; %bb.239:                              ;   in Loop: Header=BB375_10 Depth=1
	v_bfe_u32 v16, v7, 16, 1
	v_add3_u32 v63, v7, v16, s27
                                        ; implicit-def: $vgpr7
; %bb.240:                              ;   in Loop: Header=BB375_10 Depth=1
	s_andn2_saveexec_b64 s[24:25], s[4:5]
; %bb.241:                              ;   in Loop: Header=BB375_10 Depth=1
	v_or_b32_e32 v16, 0x10000, v7
	v_cmp_eq_u32_sdwa s[4:5], v7, v9 src0_sel:WORD_0 src1_sel:DWORD
	s_nop 1
	v_cndmask_b32_e64 v63, v16, v7, s[4:5]
; %bb.242:                              ;   in Loop: Header=BB375_10 Depth=1
	s_or_b64 exec, exec, s[24:25]
	v_bfe_u32 v7, v6, 16, 8
	v_cvt_f32_fp8_sdwa v7, v7 src0_sel:BYTE_0
                                        ; implicit-def: $vgpr39
	s_nop 0
	v_mul_f32_e32 v7, v59, v7
	v_and_b32_e32 v16, 0x7f800000, v7
	v_cmp_ne_u32_e64 s[4:5], s19, v16
	s_and_saveexec_b64 s[24:25], s[4:5]
	s_xor_b64 s[4:5], exec, s[24:25]
; %bb.243:                              ;   in Loop: Header=BB375_10 Depth=1
	v_bfe_u32 v16, v7, 16, 1
	v_add3_u32 v39, v7, v16, s27
                                        ; implicit-def: $vgpr7
; %bb.244:                              ;   in Loop: Header=BB375_10 Depth=1
	s_andn2_saveexec_b64 s[24:25], s[4:5]
; %bb.245:                              ;   in Loop: Header=BB375_10 Depth=1
	v_or_b32_e32 v16, 0x10000, v7
	v_cmp_eq_u32_sdwa s[4:5], v7, v9 src0_sel:WORD_0 src1_sel:DWORD
	s_nop 1
	v_cndmask_b32_e64 v39, v16, v7, s[4:5]
; %bb.246:                              ;   in Loop: Header=BB375_10 Depth=1
	s_or_b64 exec, exec, s[24:25]
	v_lshrrev_b32_e32 v6, 24, v6
	v_cvt_f32_fp8_sdwa v6, v6 src0_sel:BYTE_0
                                        ; implicit-def: $vgpr16
	s_nop 0
	v_mul_f32_e32 v6, v59, v6
	v_and_b32_e32 v7, 0x7f800000, v6
	v_cmp_ne_u32_e64 s[4:5], s19, v7
	s_and_saveexec_b64 s[24:25], s[4:5]
	s_xor_b64 s[4:5], exec, s[24:25]
; %bb.247:                              ;   in Loop: Header=BB375_10 Depth=1
	v_bfe_u32 v7, v6, 16, 1
	v_add3_u32 v16, v6, v7, s27
                                        ; implicit-def: $vgpr6
; %bb.248:                              ;   in Loop: Header=BB375_10 Depth=1
	s_andn2_saveexec_b64 s[24:25], s[4:5]
; %bb.249:                              ;   in Loop: Header=BB375_10 Depth=1
	v_or_b32_e32 v7, 0x10000, v6
	v_cmp_eq_u32_sdwa s[4:5], v6, v9 src0_sel:WORD_0 src1_sel:DWORD
	s_nop 1
	v_cndmask_b32_e64 v16, v7, v6, s[4:5]
; %bb.250:                              ;   in Loop: Header=BB375_10 Depth=1
	s_or_b64 exec, exec, s[24:25]
	flat_load_dword v6, v[32:33] offset:3592
	s_waitcnt vmcnt(0) lgkmcnt(0)
	v_and_b32_e32 v7, 0xff, v6
	v_cvt_f32_fp8_sdwa v7, v7 src0_sel:BYTE_0
	s_nop 0
	v_mul_f32_e32 v7, v59, v7
	v_and_b32_e32 v17, 0x7f800000, v7
	v_cmp_ne_u32_e64 s[4:5], s19, v17
                                        ; implicit-def: $vgpr17
	s_and_saveexec_b64 s[24:25], s[4:5]
	s_xor_b64 s[4:5], exec, s[24:25]
; %bb.251:                              ;   in Loop: Header=BB375_10 Depth=1
	v_bfe_u32 v17, v7, 16, 1
	v_add3_u32 v17, v7, v17, s27
                                        ; implicit-def: $vgpr7
; %bb.252:                              ;   in Loop: Header=BB375_10 Depth=1
	s_andn2_saveexec_b64 s[24:25], s[4:5]
; %bb.253:                              ;   in Loop: Header=BB375_10 Depth=1
	v_or_b32_e32 v17, 0x10000, v7
	v_cmp_eq_u32_sdwa s[4:5], v7, v9 src0_sel:WORD_0 src1_sel:DWORD
	s_nop 1
	v_cndmask_b32_e64 v17, v17, v7, s[4:5]
; %bb.254:                              ;   in Loop: Header=BB375_10 Depth=1
	s_or_b64 exec, exec, s[24:25]
	v_bfe_u32 v7, v6, 8, 8
	v_cvt_f32_fp8_sdwa v7, v7 src0_sel:BYTE_0
                                        ; implicit-def: $vgpr32
	s_nop 0
	v_mul_f32_e32 v7, v59, v7
	v_and_b32_e32 v28, 0x7f800000, v7
	v_cmp_ne_u32_e64 s[4:5], s19, v28
	s_and_saveexec_b64 s[24:25], s[4:5]
	s_xor_b64 s[4:5], exec, s[24:25]
; %bb.255:                              ;   in Loop: Header=BB375_10 Depth=1
	v_bfe_u32 v28, v7, 16, 1
	v_add3_u32 v32, v7, v28, s27
                                        ; implicit-def: $vgpr7
; %bb.256:                              ;   in Loop: Header=BB375_10 Depth=1
	s_andn2_saveexec_b64 s[24:25], s[4:5]
; %bb.257:                              ;   in Loop: Header=BB375_10 Depth=1
	v_or_b32_e32 v28, 0x10000, v7
	v_cmp_eq_u32_sdwa s[4:5], v7, v9 src0_sel:WORD_0 src1_sel:DWORD
	s_nop 1
	v_cndmask_b32_e64 v32, v28, v7, s[4:5]
; %bb.258:                              ;   in Loop: Header=BB375_10 Depth=1
	s_or_b64 exec, exec, s[24:25]
	v_bfe_u32 v7, v6, 16, 8
	v_cvt_f32_fp8_sdwa v7, v7 src0_sel:BYTE_0
                                        ; implicit-def: $vgpr33
	s_nop 0
	v_mul_f32_e32 v7, v59, v7
	v_and_b32_e32 v28, 0x7f800000, v7
	v_cmp_ne_u32_e64 s[4:5], s19, v28
	s_and_saveexec_b64 s[24:25], s[4:5]
	s_xor_b64 s[4:5], exec, s[24:25]
; %bb.259:                              ;   in Loop: Header=BB375_10 Depth=1
	v_bfe_u32 v28, v7, 16, 1
	v_add3_u32 v33, v7, v28, s27
                                        ; implicit-def: $vgpr7
; %bb.260:                              ;   in Loop: Header=BB375_10 Depth=1
	s_andn2_saveexec_b64 s[24:25], s[4:5]
; %bb.261:                              ;   in Loop: Header=BB375_10 Depth=1
	v_or_b32_e32 v28, 0x10000, v7
	v_cmp_eq_u32_sdwa s[4:5], v7, v9 src0_sel:WORD_0 src1_sel:DWORD
	s_nop 1
	v_cndmask_b32_e64 v33, v28, v7, s[4:5]
; %bb.262:                              ;   in Loop: Header=BB375_10 Depth=1
	s_or_b64 exec, exec, s[24:25]
	v_lshrrev_b32_e32 v6, 24, v6
	v_cvt_f32_fp8_sdwa v6, v6 src0_sel:BYTE_0
	s_nop 0
	v_mul_f32_e32 v6, v59, v6
	v_and_b32_e32 v7, 0x7f800000, v6
	v_cmp_ne_u32_e64 s[4:5], s19, v7
                                        ; implicit-def: $vgpr59
	s_and_saveexec_b64 s[24:25], s[4:5]
	s_xor_b64 s[4:5], exec, s[24:25]
; %bb.263:                              ;   in Loop: Header=BB375_10 Depth=1
	v_bfe_u32 v7, v6, 16, 1
	v_add3_u32 v59, v6, v7, s27
                                        ; implicit-def: $vgpr6
; %bb.264:                              ;   in Loop: Header=BB375_10 Depth=1
	s_andn2_saveexec_b64 s[24:25], s[4:5]
; %bb.265:                              ;   in Loop: Header=BB375_10 Depth=1
	v_or_b32_e32 v7, 0x10000, v6
	v_cmp_eq_u32_sdwa s[4:5], v6, v9 src0_sel:WORD_0 src1_sel:DWORD
	s_nop 1
	v_cndmask_b32_e64 v59, v7, v6, s[4:5]
; %bb.266:                              ;   in Loop: Header=BB375_10 Depth=1
	s_or_b64 exec, exec, s[24:25]
	v_and_b32_e32 v7, 0xffff0000, v13
	scratch_load_dword v13, off, s32 offset:216 ; 4-byte Folded Reload
	v_accvgpr_read_b32 v6, a39
	v_and_b32_e32 v6, 0xffff0000, v6
	v_and_b32_e32 v28, 0xffff0000, v30
	;; [unrolled: 1-line block ×8, first 2 shown]
	s_waitcnt vmcnt(0)
	v_mul_f32_e32 v6, v13, v6
	scratch_load_dword v13, off, s32 offset:200 ; 4-byte Folded Reload
	s_waitcnt vmcnt(0)
	v_fmac_f32_e32 v6, v13, v7
	scratch_load_dword v13, off, s32 offset:220 ; 4-byte Folded Reload
	v_accvgpr_read_b32 v7, a40
	v_and_b32_e32 v7, 0xffff0000, v7
	s_waitcnt vmcnt(0)
	v_mul_f32_e32 v7, v13, v7
	scratch_load_dword v13, off, s32 offset:204 ; 4-byte Folded Reload
	s_waitcnt vmcnt(0)
	v_fmac_f32_e32 v7, v13, v28
	v_accvgpr_read_b32 v13, a41
	v_and_b32_e32 v28, 0xffff0000, v13
	scratch_load_dword v13, off, s32 offset:224 ; 4-byte Folded Reload
	s_waitcnt vmcnt(0)
	v_mul_f32_e32 v38, v13, v28
	scratch_load_dword v13, off, s32 offset:208 ; 4-byte Folded Reload
	s_waitcnt vmcnt(0)
	v_fmac_f32_e32 v38, v13, v30
	v_accvgpr_read_b32 v13, a42
	v_and_b32_e32 v28, 0xffff0000, v13
	v_accvgpr_read_b32 v13, a38
	v_and_b32_e32 v30, 0xffff0000, v13
	scratch_load_dword v13, off, s32 offset:232 ; 4-byte Folded Reload
	s_waitcnt vmcnt(0)
	v_mul_f32_e32 v28, v13, v28
	scratch_load_dword v13, off, s32 offset:212 ; 4-byte Folded Reload
	s_waitcnt vmcnt(0)
	v_fmac_f32_e32 v28, v13, v30
	v_accvgpr_read_b32 v13, a43
	v_and_b32_e32 v30, 0xffff0000, v13
	scratch_load_dword v13, off, s32 offset:228 ; 4-byte Folded Reload
	s_waitcnt vmcnt(0)
	v_fmac_f32_e32 v6, v13, v30
	v_accvgpr_read_b32 v13, a44
	v_and_b32_e32 v30, 0xffff0000, v13
	;; [unrolled: 5-line block ×6, first 2 shown]
	scratch_load_dword v13, off, s32 offset:252 ; 4-byte Folded Reload
	s_waitcnt vmcnt(0)
	v_fmac_f32_e32 v7, v13, v30
	scratch_load_dword v13, off, s32 offset:256 ; 4-byte Folded Reload
	s_waitcnt vmcnt(0)
	v_fmac_f32_e32 v38, v13, v12
	scratch_load_dword v13, off, s32 offset:260 ; 4-byte Folded Reload
	v_and_b32_e32 v12, 0xffff0000, v27
	s_waitcnt vmcnt(0)
	v_fmac_f32_e32 v28, v13, v12
	scratch_load_dword v13, off, s32 offset:264 ; 4-byte Folded Reload
	v_and_b32_e32 v12, 0xffff0000, v26
	s_waitcnt vmcnt(0)
	v_fmac_f32_e32 v6, v13, v12
	scratch_load_dword v12, off, s32 offset:268 ; 4-byte Folded Reload
	s_waitcnt vmcnt(0)
	v_fmac_f32_e32 v7, v12, v11
	scratch_load_dword v11, off, s32 offset:272 ; 4-byte Folded Reload
	;; [unrolled: 3-line block ×3, first 2 shown]
	s_waitcnt vmcnt(0)
	v_fmac_f32_e32 v28, v10, v1
	v_accvgpr_read_b32 v1, a49
	v_fmac_f32_e32 v6, v1, v0
	v_and_b32_e32 v0, 0xffff0000, v3
	v_accvgpr_read_b32 v1, a50
	v_fmac_f32_e32 v7, v1, v0
	v_and_b32_e32 v0, 0xffff0000, v2
	;; [unrolled: 3-line block ×43, first 2 shown]
	v_accvgpr_read_b32 v1, a34
	v_fmac_f32_e32 v28, v1, v0
	v_add_f32_e32 v0, v6, v7
	v_add_f32_e32 v0, v0, v38
	;; [unrolled: 1-line block ×3, first 2 shown]
	v_accvgpr_read_b32 v1, a35
	ds_bpermute_b32 v1, v1, v0
	s_and_saveexec_b64 s[24:25], vcc
	s_cbranch_execz .LBB375_9
; %bb.267:                              ;   in Loop: Header=BB375_10 Depth=1
	s_waitcnt lgkmcnt(0)
	v_add_f32_e32 v0, v0, v1
	scratch_load_dword v1, off, s32 offset:280 ; 4-byte Folded Reload
	v_sub_u32_e32 v2, 1, v35
	v_add_u32_e32 v2, v2, v45
	v_cvt_f32_i32_e32 v2, v2
	s_load_dword s4, s[8:9], 0x0
	v_accvgpr_read_b32 v3, a26
	s_waitcnt vmcnt(0)
	v_mul_f32_e32 v1, v1, v2
	v_cndmask_b32_e64 v1, 0, v1, s[2:3]
	s_waitcnt lgkmcnt(0)
	v_add_u32_e32 v2, s4, v46
	v_fmac_f32_e32 v1, v0, v3
	v_cmp_lt_i32_e64 s[4:5], v45, v35
	s_nop 1
	v_cndmask_b32_e64 v0, 0, v1, s[4:5]
	ds_write_b32 v2, v0
	scratch_load_dword v2, off, s32 offset:196 ; 4-byte Folded Reload
	s_waitcnt vmcnt(0)
	v_max_f32_e32 v0, v2, v2
	v_max_f32_e32 v0, v0, v1
	v_cndmask_b32_e64 v2, v2, v0, s[4:5]
	scratch_store_dword off, v2, s32 offset:196 ; 4-byte Folded Spill
	s_branch .LBB375_9
.LBB375_268:
	s_or_b64 exec, exec, s[22:23]
	scratch_load_dword v19, off, s32 offset:284 ; 4-byte Folded Reload
	scratch_load_dwordx2 v[14:15], off, s32 offset:368 ; 8-byte Folded Reload
	scratch_load_dwordx2 v[26:27], off, s32 offset:360 ; 8-byte Folded Reload
	;; [unrolled: 1-line block ×6, first 2 shown]
	scratch_load_dword v31, off, s32 offset:324 ; 4-byte Folded Reload
	scratch_load_dword v34, off, s32 offset:296 ; 4-byte Folded Reload
	scratch_load_dwordx2 v[38:39], off, s32 offset:316 ; 8-byte Folded Reload
	scratch_load_dwordx2 v[48:49], off, s32 offset:300 ; 8-byte Folded Reload
	scratch_load_dword v10, off, s32 offset:312 ; 4-byte Folded Reload
	scratch_load_dword v11, off, s32 offset:308 ; 4-byte Folded Reload
	;; [unrolled: 1-line block ×3, first 2 shown]
.LBB375_269:
	s_or_b64 exec, exec, s[6:7]
	s_waitcnt vmcnt(2)
	v_xor_b32_e32 v0, 32, v10
	s_waitcnt vmcnt(1)
	v_cmp_lt_i32_e32 vcc, v0, v11
	s_waitcnt vmcnt(0) lgkmcnt(0)
	v_max_f32_e32 v1, v3, v3
	v_xor_b32_e32 v4, 8, v10
	v_cndmask_b32_e32 v0, v10, v0, vcc
	v_lshlrev_b32_e32 v2, 2, v0
	ds_bpermute_b32 v0, v2, v3
	v_xor_b32_e32 v3, 16, v10
	v_cmp_lt_i32_e32 vcc, v3, v11
	v_xor_b32_e32 v5, 4, v10
	v_xor_b32_e32 v6, 2, v10
	s_waitcnt lgkmcnt(0)
	v_max_f32_e32 v0, v0, v0
	v_max_f32_e32 v0, v1, v0
	v_cndmask_b32_e32 v1, v10, v3, vcc
	v_lshlrev_b32_e32 v3, 2, v1
	ds_bpermute_b32 v1, v3, v0
	v_cmp_lt_i32_e32 vcc, v4, v11
	v_and_b32_e32 v22, 63, v19
	s_lshr_b32 s21, s21, 16
	s_waitcnt lgkmcnt(0)
	v_max_f32_e32 v1, v1, v1
	v_max_f32_e32 v0, v0, v1
	v_cndmask_b32_e32 v1, v10, v4, vcc
	v_lshlrev_b32_e32 v4, 2, v1
	ds_bpermute_b32 v1, v4, v0
	v_cmp_lt_i32_e32 vcc, v5, v11
	s_waitcnt lgkmcnt(0)
	v_max_f32_e32 v1, v1, v1
	v_max_f32_e32 v0, v0, v1
	v_cndmask_b32_e32 v1, v10, v5, vcc
	v_lshlrev_b32_e32 v5, 2, v1
	ds_bpermute_b32 v1, v5, v0
	v_cmp_lt_i32_e32 vcc, v6, v11
	s_waitcnt lgkmcnt(0)
	v_max_f32_e32 v1, v1, v1
	v_max_f32_e32 v0, v0, v1
	v_cndmask_b32_e32 v1, v10, v6, vcc
	v_lshlrev_b32_e32 v23, 2, v1
	ds_bpermute_b32 v1, v23, v0
	v_cmp_eq_u32_e32 vcc, 0, v22
	v_lshlrev_b32_e32 v6, 2, v31
	s_and_saveexec_b64 s[2:3], vcc
	s_cbranch_execz .LBB375_271
; %bb.270:
	s_waitcnt lgkmcnt(0)
	v_max_f32_e32 v1, v1, v1
	v_max_f32_e32 v0, v0, v0
	v_max_f32_e32 v0, v0, v1
	ds_write_b32 v6, v0 offset:256
.LBB375_271:
	s_or_b64 exec, exec, s[2:3]
	v_cmp_gt_u32_e64 s[2:3], 2, v22
	v_mov_b32_e32 v0, 0xff7fffff
	v_lshlrev_b32_e32 v7, 2, v22
	s_waitcnt lgkmcnt(0)
	s_barrier
	s_and_saveexec_b64 s[4:5], s[2:3]
	s_cbranch_execz .LBB375_273
; %bb.272:
	ds_read_b32 v0, v7 offset:256
.LBB375_273:
	s_or_b64 exec, exec, s[4:5]
	scratch_load_dword v8, off, s32 offset:192 ; 4-byte Folded Reload
	v_xor_b32_e32 v1, 1, v10
	v_cmp_lt_i32_e64 s[4:5], v1, v11
	s_waitcnt vmcnt(0)
	v_subrev_u32_e32 v8, s15, v8
	v_cndmask_b32_e64 v1, v10, v1, s[4:5]
	v_lshlrev_b32_e32 v28, 2, v1
	s_waitcnt lgkmcnt(0)
	ds_bpermute_b32 v1, v28, v0
	v_max_f32_e32 v0, v0, v0
	v_lshl_add_u32 v9, v8, 5, s26
	v_min_i32_e32 v9, v9, v35
	s_waitcnt lgkmcnt(0)
	v_max_f32_e32 v1, v1, v1
	v_max_f32_e32 v0, v0, v1
	v_lshlrev_b32_e32 v1, 2, v10
	v_and_b32_e32 v8, 0xffffff00, v1
	ds_bpermute_b32 v0, v8, v0
	v_subrev_u32_e32 v1, s26, v9
	v_cmp_lt_i32_e64 s[4:5], v19, v1
	v_mov_b32_e32 v10, 0
	s_and_saveexec_b64 s[8:9], s[4:5]
	s_cbranch_execz .LBB375_277
; %bb.274:
	s_ashr_i32 s19, s18, 31
	s_lshl_b64 s[6:7], s[18:19], 2
	s_getpc_b64 s[22:23]
	s_add_u32 s22, s22, llvm.amdgcn.dynlds.offset.table@rel32@lo+4
	s_addc_u32 s23, s23, llvm.amdgcn.dynlds.offset.table@rel32@hi+12
	s_add_u32 s6, s6, s22
	s_addc_u32 s7, s7, s23
	s_load_dword s6, s[6:7], 0x0
	s_mov_b64 s[22:23], 0
	v_mov_b32_e32 v10, 0
	v_mov_b32_e32 v12, v19
	s_waitcnt lgkmcnt(0)
	v_lshl_add_u32 v11, v19, 2, s6
.LBB375_275:                            ; =>This Inner Loop Header: Depth=1
	ds_read_b32 v13, v11
	v_add_u32_e32 v12, 0x80, v12
	v_cmp_ge_i32_e64 s[6:7], v12, v1
	s_or_b64 s[22:23], s[6:7], s[22:23]
	s_waitcnt lgkmcnt(0)
	v_sub_f32_e32 v13, v13, v0
	v_mul_f32_e32 v13, 0x3fb8aa3b, v13
	v_exp_f32_e32 v13, v13
	ds_write_b32 v11, v13
	v_add_f32_e32 v10, v10, v13
	v_add_u32_e32 v11, 0x200, v11
	s_andn2_b64 exec, exec, s[22:23]
	s_cbranch_execnz .LBB375_275
; %bb.276:
	s_or_b64 exec, exec, s[22:23]
.LBB375_277:
	s_or_b64 exec, exec, s[8:9]
	ds_bpermute_b32 v2, v2, v10
	s_waitcnt lgkmcnt(0)
	v_add_f32_e32 v2, v10, v2
	ds_bpermute_b32 v3, v3, v2
	s_waitcnt lgkmcnt(0)
	v_add_f32_e32 v2, v2, v3
	;; [unrolled: 3-line block ×6, first 2 shown]
	s_and_saveexec_b64 s[6:7], vcc
	s_cbranch_execz .LBB375_279
; %bb.278:
	ds_write_b32 v6, v2 offset:264
.LBB375_279:
	s_or_b64 exec, exec, s[6:7]
	s_waitcnt lgkmcnt(0)
	s_barrier
	s_and_saveexec_b64 s[6:7], s[2:3]
	s_cbranch_execz .LBB375_281
; %bb.280:
	ds_read_b32 v2, v7 offset:264
.LBB375_281:
	s_or_b64 exec, exec, s[6:7]
	s_waitcnt lgkmcnt(0)
	ds_bpermute_b32 v3, v28, v2
	s_waitcnt lgkmcnt(0)
	v_add_f32_e32 v2, v2, v3
	ds_bpermute_b32 v2, v8, v2
	s_and_saveexec_b64 s[2:3], s[4:5]
	s_cbranch_execz .LBB375_294
; %bb.282:
	s_waitcnt lgkmcnt(0)
	v_add_f32_e32 v3, 0x358637bd, v2
	v_div_scale_f32 v4, s[4:5], v3, v3, 1.0
	v_rcp_f32_e32 v5, v4
	v_div_scale_f32 v6, vcc, 1.0, v3, 1.0
	s_movk_i32 s4, 0x7f
	v_fma_f32 v7, -v4, v5, 1.0
	v_fmac_f32_e32 v5, v7, v5
	v_mul_f32_e32 v7, v6, v5
	v_fma_f32 v8, -v4, v7, v6
	v_fmac_f32_e32 v7, v8, v5
	v_fma_f32 v4, -v4, v7, v6
	v_div_fmas_f32 v4, v4, v5, v7
	v_div_fixup_f32 v8, v4, v3, 1.0
	v_xad_u32 v3, v19, -1, v9
	v_subrev_u32_e32 v4, s26, v3
	v_cmp_lt_u32_e32 vcc, s4, v4
	s_mov_b64 s[6:7], -1
	v_mov_b32_e32 v3, v19
	s_and_saveexec_b64 s[4:5], vcc
	s_cbranch_execz .LBB375_291
; %bb.283:
	v_lshrrev_b32_e32 v3, 7, v4
	v_add_u32_e32 v5, -1, v3
	v_lshrrev_b32_e32 v4, 1, v5
	v_mov_b32_e32 v9, v8
	v_add_u32_e32 v4, 1, v4
	v_cmp_lt_u32_e32 vcc, 13, v5
	v_mov_b32_e32 v7, 0
	s_and_saveexec_b64 s[6:7], vcc
	s_cbranch_execz .LBB375_287
; %bb.284:
	s_ashr_i32 s19, s18, 31
	s_lshl_b64 s[8:9], s[18:19], 2
	s_getpc_b64 s[22:23]
	s_add_u32 s22, s22, llvm.amdgcn.dynlds.offset.table@rel32@lo+4
	s_addc_u32 s23, s23, llvm.amdgcn.dynlds.offset.table@rel32@hi+12
	s_add_u32 s8, s8, s22
	s_addc_u32 s9, s9, s23
	s_load_dword s8, s[8:9], 0x0
	v_and_b32_e32 v5, -8, v4
	s_mov_b32 s15, 0
	s_waitcnt lgkmcnt(0)
	v_lshl_add_u32 v6, v19, 2, s8
	s_mov_b64 s[8:9], 0
.LBB375_285:                            ; =>This Inner Loop Header: Depth=1
	ds_read2st64_b32 v[10:11], v6 offset1:2
	ds_read2st64_b32 v[12:13], v6 offset0:4 offset1:6
	ds_read2st64_b32 v[20:21], v6 offset0:8 offset1:10
	;; [unrolled: 1-line block ×3, first 2 shown]
	v_add_u32_e32 v5, -8, v5
	s_waitcnt lgkmcnt(3)
	v_pk_mul_f32 v[10:11], v[8:9], v[10:11]
	s_waitcnt lgkmcnt(2)
	v_pk_mul_f32 v[12:13], v[8:9], v[12:13]
	ds_write2st64_b32 v6, v10, v11 offset1:2
	ds_write2st64_b32 v6, v12, v13 offset0:4 offset1:6
	ds_read2st64_b32 v[12:13], v6 offset0:16 offset1:18
	s_waitcnt lgkmcnt(4)
	v_pk_mul_f32 v[10:11], v[8:9], v[20:21]
	ds_write2st64_b32 v6, v10, v11 offset0:8 offset1:10
	s_waitcnt lgkmcnt(4)
	v_pk_mul_f32 v[10:11], v[8:9], v[16:17]
	ds_write2st64_b32 v6, v10, v11 offset0:12 offset1:14
	ds_read2st64_b32 v[10:11], v6 offset0:20 offset1:22
	s_waitcnt lgkmcnt(3)
	v_pk_mul_f32 v[12:13], v[8:9], v[12:13]
	ds_read2st64_b32 v[16:17], v6 offset0:24 offset1:26
	ds_write2st64_b32 v6, v12, v13 offset0:16 offset1:18
	ds_read2st64_b32 v[12:13], v6 offset0:28 offset1:30
	s_waitcnt lgkmcnt(3)
	v_pk_mul_f32 v[10:11], v[8:9], v[10:11]
	ds_write2st64_b32 v6, v10, v11 offset0:20 offset1:22
	s_waitcnt lgkmcnt(3)
	v_pk_mul_f32 v[10:11], v[8:9], v[16:17]
	ds_write2st64_b32 v6, v10, v11 offset0:24 offset1:26
	s_waitcnt lgkmcnt(2)
	v_pk_mul_f32 v[10:11], v[8:9], v[12:13]
	s_add_i32 s15, s15, 16
	v_cmp_eq_u32_e32 vcc, 0, v5
	ds_write2st64_b32 v6, v10, v11 offset0:28 offset1:30
	v_add_u32_e32 v6, 0x2000, v6
	s_or_b64 s[8:9], vcc, s[8:9]
	v_mov_b32_e32 v7, s15
	s_andn2_b64 exec, exec, s[8:9]
	s_cbranch_execnz .LBB375_285
; %bb.286:
	s_or_b64 exec, exec, s[8:9]
.LBB375_287:
	s_or_b64 exec, exec, s[6:7]
	v_and_b32_e32 v4, 7, v4
	v_cmp_ne_u32_e32 vcc, 0, v4
	s_and_saveexec_b64 s[6:7], vcc
	s_cbranch_execz .LBB375_290
; %bb.288:
	s_ashr_i32 s19, s18, 31
	s_lshl_b64 s[8:9], s[18:19], 2
	s_getpc_b64 s[22:23]
	s_add_u32 s22, s22, llvm.amdgcn.dynlds.offset.table@rel32@lo+4
	s_addc_u32 s23, s23, llvm.amdgcn.dynlds.offset.table@rel32@hi+12
	s_add_u32 s8, s8, s22
	s_addc_u32 s9, s9, s23
	s_load_dword s8, s[8:9], 0x0
	v_lshlrev_b32_e32 v5, 9, v7
	v_lshlrev_b32_e32 v6, 2, v19
	s_waitcnt lgkmcnt(0)
	v_add3_u32 v5, v5, v6, s8
	s_mov_b64 s[8:9], 0
.LBB375_289:                            ; =>This Inner Loop Header: Depth=1
	ds_read2st64_b32 v[6:7], v5 offset1:2
	v_add_u32_e32 v4, -1, v4
	v_cmp_eq_u32_e32 vcc, 0, v4
	s_or_b64 s[8:9], vcc, s[8:9]
	s_waitcnt lgkmcnt(0)
	v_pk_mul_f32 v[6:7], v[8:9], v[6:7]
	ds_write2st64_b32 v5, v6, v7 offset1:2
	v_add_u32_e32 v5, 0x400, v5
	s_andn2_b64 exec, exec, s[8:9]
	s_cbranch_execnz .LBB375_289
.LBB375_290:
	s_or_b64 exec, exec, s[6:7]
	v_add_u32_e32 v4, 1, v3
	v_and_b32_e32 v5, 0x3fffffe, v4
	v_cmp_ne_u32_e32 vcc, v4, v5
	v_lshl_add_u32 v3, v5, 7, v19
	s_orn2_b64 s[6:7], vcc, exec
.LBB375_291:
	s_or_b64 exec, exec, s[4:5]
	s_and_b64 exec, exec, s[6:7]
	s_cbranch_execz .LBB375_294
; %bb.292:
	s_ashr_i32 s19, s18, 31
	s_lshl_b64 s[4:5], s[18:19], 2
	s_getpc_b64 s[6:7]
	s_add_u32 s6, s6, llvm.amdgcn.dynlds.offset.table@rel32@lo+4
	s_addc_u32 s7, s7, llvm.amdgcn.dynlds.offset.table@rel32@hi+12
	s_add_u32 s4, s4, s6
	s_addc_u32 s5, s5, s7
	s_load_dword s4, s[4:5], 0x0
	s_waitcnt lgkmcnt(0)
	v_lshl_add_u32 v4, v3, 2, s4
	s_mov_b64 s[4:5], 0
.LBB375_293:                            ; =>This Inner Loop Header: Depth=1
	ds_read_b32 v5, v4
	v_add_u32_e32 v3, 0x80, v3
	v_cmp_ge_i32_e32 vcc, v3, v1
	s_or_b64 s[4:5], vcc, s[4:5]
	s_waitcnt lgkmcnt(0)
	v_mul_f32_e32 v5, v8, v5
	ds_write_b32 v4, v5
	v_add_u32_e32 v4, 0x200, v4
	s_andn2_b64 exec, exec, s[4:5]
	s_cbranch_execnz .LBB375_293
.LBB375_294:
	s_or_b64 exec, exec, s[2:3]
	v_cmp_ne_u16_e64 s[2:3], s21, 0
	s_cmp_lg_u64 s[2:3], 0
	s_addc_u32 s8, s13, 0
	v_cmp_eq_u32_e32 vcc, 0, v19
	s_waitcnt lgkmcnt(0)
	s_barrier
	s_and_saveexec_b64 s[2:3], vcc
	s_cbranch_execz .LBB375_296
; %bb.295:
	s_mul_i32 s4, s8, s16
	s_mul_i32 s4, s4, s17
	;; [unrolled: 1-line block ×3, first 2 shown]
	s_ashr_i32 s5, s4, 31
	s_ashr_i32 s7, s6, 31
	;; [unrolled: 1-line block ×3, first 2 shown]
	s_lshl_b64 s[4:5], s[4:5], 2
	s_lshl_b64 s[6:7], s[6:7], 2
	;; [unrolled: 1-line block ×3, first 2 shown]
	s_add_u32 s6, s12, s6
	s_addc_u32 s7, s13, s7
	s_add_u32 s4, s6, s4
	s_addc_u32 s5, s7, s5
	v_lshl_add_u64 v[4:5], s[4:5], 0, v[36:37]
	flat_store_dword v[4:5], v0
	v_lshl_add_u64 v[0:1], s[4:5], 0, v[24:25]
	flat_store_dword v[0:1], v2
.LBB375_296:
	s_or_b64 exec, exec, s[2:3]
	v_mov_b32_e32 v13, 0
	v_and_b32_e32 v29, 3, v19
	v_mov_b32_e32 v12, 0
	v_mov_b32_e32 v19, 0
	;; [unrolled: 1-line block ×7, first 2 shown]
	s_and_saveexec_b64 s[2:3], s[0:1]
	s_cbranch_execz .LBB375_860
; %bb.297:
	flat_load_dword v37, v[26:27]
	s_ashr_i32 s19, s18, 31
	v_lshl_add_u64 v[0:1], v[32:33], 0, v[48:49]
	v_and_b32_e32 v10, 0x1f8, v30
	v_mov_b32_e32 v11, 0
	s_lshl_b64 s[0:1], s[18:19], 2
	v_lshl_add_u64 v[0:1], v[0:1], 0, v[10:11]
	s_getpc_b64 s[4:5]
	s_add_u32 s4, s4, llvm.amdgcn.dynlds.offset.table@rel32@lo+4
	s_addc_u32 s5, s5, llvm.amdgcn.dynlds.offset.table@rel32@hi+12
	v_accvgpr_write_b32 a13, v1
	s_add_u32 s0, s0, s4
	v_accvgpr_write_b32 a12, v0
	v_accvgpr_read_b32 v0, a6
	s_addc_u32 s1, s1, s5
	v_accvgpr_read_b32 v1, a7
	s_load_dword s0, s[0:1], 0x0
	v_lshlrev_b64 v[0:1], 2, v[0:1]
	v_lshl_add_u64 v[0:1], v[38:39], 2, v[0:1]
	v_and_b32_e32 v2, 24, v30
	v_lshl_add_u64 v[14:15], v[14:15], 0, v[0:1]
	v_lshl_add_u32 v0, v31, 5, s26
	v_add3_u32 v10, v0, v2, 7
	v_lshlrev_b32_e32 v0, 5, v29
	v_add_u32_e32 v3, -1, v34
	v_lshl_or_b32 v0, v31, 7, v0
	v_accvgpr_write_b32 a9, v28
	v_accvgpr_write_b32 a8, v23
	;; [unrolled: 1-line block ×5, first 2 shown]
	s_waitcnt lgkmcnt(0)
	v_add_u32_e32 v17, s0, v0
	s_mov_b64 s[4:5], 0
	s_mov_b32 s9, 0x7f800000
	s_movk_i32 s12, 0x7fff
	v_mov_b32_e32 v24, 0
	v_mov_b32_e32 v25, 0
	;; [unrolled: 1-line block ×8, first 2 shown]
	s_branch .LBB375_299
.LBB375_298:                            ;   in Loop: Header=BB375_299 Depth=1
	s_or_b64 exec, exec, s[0:1]
	v_accvgpr_read_b32 v23, a16
	v_and_b32_e32 v33, 0xffff0000, v23
	v_accvgpr_read_b32 v23, a14
	v_and_b32_e32 v32, 0xffff0000, v23
	;; [unrolled: 2-line block ×4, first 2 shown]
	v_accvgpr_read_b32 v23, a20
	v_pk_add_f32 v[32:33], v[42:43], v[32:33]
	v_and_b32_e32 v43, 0xffff0000, v23
	v_accvgpr_read_b32 v23, a18
	v_and_b32_e32 v42, 0xffff0000, v23
	v_accvgpr_read_b32 v23, a19
	;; [unrolled: 2-line block ×4, first 2 shown]
	v_pk_add_f32 v[42:43], v[44:45], v[42:43]
	v_add_f32_e32 v23, v32, v33
	v_and_b32_e32 v33, 0xffff0000, v29
	v_accvgpr_read_b32 v29, a29
	v_add_f32_e32 v23, v23, v42
	v_and_b32_e32 v32, 0xffff0000, v29
	v_accvgpr_read_b32 v29, a30
	;; [unrolled: 3-line block ×3, first 2 shown]
	v_and_b32_e32 v42, 0xffff0000, v29
	v_accvgpr_read_b32 v29, a35
	v_pk_add_f32 v[32:33], v[42:43], v[32:33]
	v_and_b32_e32 v43, 0xffff0000, v29
	v_accvgpr_read_b32 v29, a33
	v_and_b32_e32 v42, 0xffff0000, v29
	v_accvgpr_read_b32 v29, a34
	;; [unrolled: 2-line block ×4, first 2 shown]
	v_pk_add_f32 v[42:43], v[44:45], v[42:43]
	v_add_f32_e32 v29, v32, v33
	v_and_b32_e32 v33, 0xffff0000, v30
	v_accvgpr_read_b32 v30, a37
	v_add_f32_e32 v29, v29, v42
	v_and_b32_e32 v32, 0xffff0000, v30
	v_accvgpr_read_b32 v30, a38
	;; [unrolled: 3-line block ×3, first 2 shown]
	v_and_b32_e32 v42, 0xffff0000, v30
	v_accvgpr_read_b32 v30, a43
	v_pk_add_f32 v[32:33], v[42:43], v[32:33]
	v_and_b32_e32 v43, 0xffff0000, v30
	v_accvgpr_read_b32 v30, a41
	v_and_b32_e32 v42, 0xffff0000, v30
	v_accvgpr_read_b32 v30, a42
	;; [unrolled: 2-line block ×3, first 2 shown]
	v_and_b32_e32 v44, 0xffff0000, v30
	v_pk_add_f32 v[42:43], v[44:45], v[42:43]
	v_add_f32_e32 v24, v24, v23
	v_add_f32_e32 v23, v32, v33
	;; [unrolled: 1-line block ×5, first 2 shown]
	v_and_b32_e32 v23, 0xffff0000, v8
	v_accvgpr_read_b32 v8, a45
	v_and_b32_e32 v32, 0xffff0000, v8
	v_accvgpr_read_b32 v8, a44
	v_and_b32_e32 v33, 0xffff0000, v27
	v_and_b32_e32 v27, 0xffff0000, v26
	;; [unrolled: 1-line block ×6, first 2 shown]
	v_pk_add_f32 v[26:27], v[26:27], v[32:33]
	v_pk_add_f32 v[6:7], v[6:7], v[22:23]
	v_add_f32_e32 v8, v26, v27
	v_add_f32_e32 v6, v8, v6
	;; [unrolled: 1-line block ×4, first 2 shown]
	v_and_b32_e32 v27, 0xffff0000, v38
	v_and_b32_e32 v26, 0xffff0000, v28
	v_and_b32_e32 v29, 0xffff0000, v31
	v_and_b32_e32 v28, 0xffff0000, v9
	v_add_f32_e32 v21, v21, v6
	v_and_b32_e32 v7, 0xffff0000, v57
	v_and_b32_e32 v6, 0xffff0000, v47
	v_and_b32_e32 v23, 0xffff0000, v56
	v_and_b32_e32 v22, 0xffff0000, v39
	v_pk_add_f32 v[8:9], v[28:29], v[26:27]
	v_pk_add_f32 v[6:7], v[22:23], v[6:7]
	v_add_f32_e32 v8, v8, v9
	v_add_f32_e32 v6, v8, v6
	v_add_f32_e32 v6, v6, v7
	v_and_b32_e32 v23, 0xffff0000, v61
	v_and_b32_e32 v22, 0xffff0000, v59
	v_and_b32_e32 v27, 0xffff0000, v60
	v_and_b32_e32 v26, 0xffff0000, v58
	v_add_f32_e32 v18, v18, v6
	v_and_b32_e32 v7, 0xffff0000, v50
	v_and_b32_e32 v6, 0xffff0000, v48
	v_and_b32_e32 v9, 0xffff0000, v49
	v_and_b32_e32 v8, 0xffff0000, v62
	v_pk_add_f32 v[22:23], v[26:27], v[22:23]
	v_pk_add_f32 v[6:7], v[8:9], v[6:7]
	v_add_f32_e32 v8, v22, v23
	v_add_f32_e32 v6, v8, v6
	v_add_f32_e32 v6, v6, v7
	;; [unrolled: 14-line block ×4, first 2 shown]
	v_add_f32_e32 v13, v13, v0
	scratch_load_dword v0, off, s32 offset:192 ; 4-byte Folded Reload
	v_accvgpr_read_b32 v2, a6
	v_add_u32_e32 v2, 2, v2
	v_lshl_add_u64 v[14:15], v[14:15], 0, 8
	v_add_u32_e32 v10, 64, v10
	v_accvgpr_write_b32 a6, v2
	v_add_u32_e32 v17, 0x100, v17
	s_waitcnt vmcnt(0)
	v_cmp_ge_i32_e32 vcc, v2, v0
	s_or_b64 s[4:5], vcc, s[4:5]
	s_andn2_b64 exec, exec, s[4:5]
	s_cbranch_execz .LBB375_859
.LBB375_299:                            ; =>This Inner Loop Header: Depth=1
	flat_load_dword v16, v[14:15]
	ds_read2_b64 v[6:9], v17 offset1:1
	ds_read2_b64 v[0:3], v17 offset0:2 offset1:3
                                        ; implicit-def: $vgpr27
	s_waitcnt lgkmcnt(0)
	v_and_b32_e32 v4, 0x7f800000, v6
	v_cmp_ne_u32_e32 vcc, s9, v4
	s_and_saveexec_b64 s[0:1], vcc
	s_xor_b64 s[0:1], exec, s[0:1]
; %bb.300:                              ;   in Loop: Header=BB375_299 Depth=1
	v_bfe_u32 v4, v6, 16, 1
	v_add3_u32 v27, v6, v4, s12
; %bb.301:                              ;   in Loop: Header=BB375_299 Depth=1
	s_andn2_saveexec_b64 s[0:1], s[0:1]
; %bb.302:                              ;   in Loop: Header=BB375_299 Depth=1
	v_or_b32_e32 v4, 0x10000, v6
	v_cmp_eq_u32_sdwa vcc, v6, v11 src0_sel:WORD_0 src1_sel:DWORD
	s_nop 1
	v_cndmask_b32_e32 v27, v4, v6, vcc
; %bb.303:                              ;   in Loop: Header=BB375_299 Depth=1
	s_or_b64 exec, exec, s[0:1]
	v_and_b32_e32 v4, 0x7f800000, v7
	v_cmp_ne_u32_e32 vcc, s9, v4
                                        ; implicit-def: $vgpr26
	s_and_saveexec_b64 s[0:1], vcc
	s_xor_b64 s[0:1], exec, s[0:1]
; %bb.304:                              ;   in Loop: Header=BB375_299 Depth=1
	v_bfe_u32 v4, v7, 16, 1
	v_add3_u32 v26, v7, v4, s12
; %bb.305:                              ;   in Loop: Header=BB375_299 Depth=1
	s_andn2_saveexec_b64 s[0:1], s[0:1]
; %bb.306:                              ;   in Loop: Header=BB375_299 Depth=1
	v_or_b32_e32 v4, 0x10000, v7
	v_cmp_eq_u32_sdwa vcc, v7, v11 src0_sel:WORD_0 src1_sel:DWORD
	s_nop 1
	v_cndmask_b32_e32 v26, v4, v7, vcc
; %bb.307:                              ;   in Loop: Header=BB375_299 Depth=1
	s_or_b64 exec, exec, s[0:1]
	v_and_b32_e32 v4, 0x7f800000, v8
	v_cmp_ne_u32_e32 vcc, s9, v4
                                        ; implicit-def: $vgpr23
	s_and_saveexec_b64 s[0:1], vcc
	s_xor_b64 s[0:1], exec, s[0:1]
; %bb.308:                              ;   in Loop: Header=BB375_299 Depth=1
	v_bfe_u32 v4, v8, 16, 1
	v_add3_u32 v23, v8, v4, s12
; %bb.309:                              ;   in Loop: Header=BB375_299 Depth=1
	s_andn2_saveexec_b64 s[0:1], s[0:1]
; %bb.310:                              ;   in Loop: Header=BB375_299 Depth=1
	v_or_b32_e32 v4, 0x10000, v8
	v_cmp_eq_u32_sdwa vcc, v8, v11 src0_sel:WORD_0 src1_sel:DWORD
	s_nop 1
	v_cndmask_b32_e32 v23, v4, v8, vcc
; %bb.311:                              ;   in Loop: Header=BB375_299 Depth=1
	s_or_b64 exec, exec, s[0:1]
	v_and_b32_e32 v4, 0x7f800000, v9
	v_cmp_ne_u32_e32 vcc, s9, v4
                                        ; implicit-def: $vgpr22
	s_and_saveexec_b64 s[0:1], vcc
	s_xor_b64 s[0:1], exec, s[0:1]
; %bb.312:                              ;   in Loop: Header=BB375_299 Depth=1
	v_bfe_u32 v4, v9, 16, 1
	v_add3_u32 v22, v9, v4, s12
                                        ; implicit-def: $vgpr6_vgpr7_vgpr8_vgpr9
; %bb.313:                              ;   in Loop: Header=BB375_299 Depth=1
	s_andn2_saveexec_b64 s[0:1], s[0:1]
; %bb.314:                              ;   in Loop: Header=BB375_299 Depth=1
	v_or_b32_e32 v4, 0x10000, v9
	v_cmp_eq_u32_sdwa vcc, v9, v11 src0_sel:WORD_0 src1_sel:DWORD
	s_nop 1
	v_cndmask_b32_e32 v22, v4, v9, vcc
; %bb.315:                              ;   in Loop: Header=BB375_299 Depth=1
	s_or_b64 exec, exec, s[0:1]
	v_and_b32_e32 v4, 0x7f800000, v0
	v_cmp_ne_u32_e32 vcc, s9, v4
                                        ; implicit-def: $vgpr7
	s_and_saveexec_b64 s[0:1], vcc
	s_xor_b64 s[0:1], exec, s[0:1]
; %bb.316:                              ;   in Loop: Header=BB375_299 Depth=1
	v_bfe_u32 v4, v0, 16, 1
	v_add3_u32 v7, v0, v4, s12
; %bb.317:                              ;   in Loop: Header=BB375_299 Depth=1
	s_andn2_saveexec_b64 s[0:1], s[0:1]
; %bb.318:                              ;   in Loop: Header=BB375_299 Depth=1
	v_or_b32_e32 v4, 0x10000, v0
	v_cmp_eq_u32_sdwa vcc, v0, v11 src0_sel:WORD_0 src1_sel:DWORD
	s_nop 1
	v_cndmask_b32_e32 v7, v4, v0, vcc
; %bb.319:                              ;   in Loop: Header=BB375_299 Depth=1
	s_or_b64 exec, exec, s[0:1]
	v_and_b32_e32 v0, 0x7f800000, v1
	v_cmp_ne_u32_e32 vcc, s9, v0
                                        ; implicit-def: $vgpr6
	s_and_saveexec_b64 s[0:1], vcc
	s_xor_b64 s[0:1], exec, s[0:1]
; %bb.320:                              ;   in Loop: Header=BB375_299 Depth=1
	v_bfe_u32 v0, v1, 16, 1
	v_add3_u32 v6, v1, v0, s12
; %bb.321:                              ;   in Loop: Header=BB375_299 Depth=1
	s_andn2_saveexec_b64 s[0:1], s[0:1]
; %bb.322:                              ;   in Loop: Header=BB375_299 Depth=1
	v_or_b32_e32 v0, 0x10000, v1
	v_cmp_eq_u32_sdwa vcc, v1, v11 src0_sel:WORD_0 src1_sel:DWORD
	s_nop 1
	v_cndmask_b32_e32 v6, v0, v1, vcc
; %bb.323:                              ;   in Loop: Header=BB375_299 Depth=1
	s_or_b64 exec, exec, s[0:1]
	v_and_b32_e32 v0, 0x7f800000, v2
	v_cmp_ne_u32_e32 vcc, s9, v0
                                        ; implicit-def: $vgpr5
	s_and_saveexec_b64 s[0:1], vcc
	s_xor_b64 s[0:1], exec, s[0:1]
; %bb.324:                              ;   in Loop: Header=BB375_299 Depth=1
	v_bfe_u32 v0, v2, 16, 1
	v_add3_u32 v5, v2, v0, s12
; %bb.325:                              ;   in Loop: Header=BB375_299 Depth=1
	s_andn2_saveexec_b64 s[0:1], s[0:1]
; %bb.326:                              ;   in Loop: Header=BB375_299 Depth=1
	v_or_b32_e32 v0, 0x10000, v2
	v_cmp_eq_u32_sdwa vcc, v2, v11 src0_sel:WORD_0 src1_sel:DWORD
	s_nop 1
	v_cndmask_b32_e32 v5, v0, v2, vcc
; %bb.327:                              ;   in Loop: Header=BB375_299 Depth=1
	s_or_b64 exec, exec, s[0:1]
	v_and_b32_e32 v0, 0x7f800000, v3
	v_cmp_ne_u32_e32 vcc, s9, v0
                                        ; implicit-def: $vgpr4
	s_and_saveexec_b64 s[0:1], vcc
	s_xor_b64 s[0:1], exec, s[0:1]
; %bb.328:                              ;   in Loop: Header=BB375_299 Depth=1
	v_bfe_u32 v0, v3, 16, 1
	v_add3_u32 v4, v3, v0, s12
                                        ; implicit-def: $vgpr0_vgpr1_vgpr2_vgpr3
; %bb.329:                              ;   in Loop: Header=BB375_299 Depth=1
	s_andn2_saveexec_b64 s[0:1], s[0:1]
; %bb.330:                              ;   in Loop: Header=BB375_299 Depth=1
	v_or_b32_e32 v0, 0x10000, v3
	v_cmp_eq_u32_sdwa vcc, v3, v11 src0_sel:WORD_0 src1_sel:DWORD
	s_nop 1
	v_cndmask_b32_e32 v4, v0, v3, vcc
; %bb.331:                              ;   in Loop: Header=BB375_299 Depth=1
	s_or_b64 exec, exec, s[0:1]
	v_accvgpr_read_b32 v2, a12
	v_accvgpr_read_b32 v0, a4
	;; [unrolled: 1-line block ×3, first 2 shown]
	s_waitcnt vmcnt(0)
	v_mad_i64_i32 v[0:1], s[0:1], v16, v0, v[2:3]
	flat_load_dwordx2 v[2:3], v[0:1]
	s_waitcnt vmcnt(0) lgkmcnt(0)
	v_and_b32_e32 v8, 0xff, v2
	v_cvt_f32_fp8_sdwa v8, v8 src0_sel:BYTE_0
	s_nop 0
	v_mul_f32_e32 v9, v37, v8
	v_and_b32_e32 v8, 0x7f800000, v9
	v_cmp_ne_u32_e32 vcc, s9, v8
                                        ; implicit-def: $vgpr8
	s_and_saveexec_b64 s[0:1], vcc
	s_xor_b64 s[0:1], exec, s[0:1]
; %bb.332:                              ;   in Loop: Header=BB375_299 Depth=1
	v_bfe_u32 v8, v9, 16, 1
	v_add3_u32 v8, v9, v8, s12
                                        ; implicit-def: $vgpr9
; %bb.333:                              ;   in Loop: Header=BB375_299 Depth=1
	s_andn2_saveexec_b64 s[0:1], s[0:1]
; %bb.334:                              ;   in Loop: Header=BB375_299 Depth=1
	v_or_b32_e32 v8, 0x10000, v9
	v_cmp_eq_u32_sdwa vcc, v9, v11 src0_sel:WORD_0 src1_sel:DWORD
	s_nop 1
	v_cndmask_b32_e32 v8, v8, v9, vcc
; %bb.335:                              ;   in Loop: Header=BB375_299 Depth=1
	s_or_b64 exec, exec, s[0:1]
	v_bfe_u32 v9, v2, 8, 8
	v_cvt_f32_fp8_sdwa v9, v9 src0_sel:BYTE_0
	s_nop 0
	v_mul_f32_e32 v16, v37, v9
	v_and_b32_e32 v9, 0x7f800000, v16
	v_cmp_ne_u32_e32 vcc, s9, v9
                                        ; implicit-def: $vgpr9
	s_and_saveexec_b64 s[0:1], vcc
	s_xor_b64 s[0:1], exec, s[0:1]
; %bb.336:                              ;   in Loop: Header=BB375_299 Depth=1
	v_bfe_u32 v9, v16, 16, 1
	v_add3_u32 v9, v16, v9, s12
                                        ; implicit-def: $vgpr16
; %bb.337:                              ;   in Loop: Header=BB375_299 Depth=1
	s_andn2_saveexec_b64 s[0:1], s[0:1]
; %bb.338:                              ;   in Loop: Header=BB375_299 Depth=1
	v_or_b32_e32 v9, 0x10000, v16
	v_cmp_eq_u32_sdwa vcc, v16, v11 src0_sel:WORD_0 src1_sel:DWORD
	s_nop 1
	v_cndmask_b32_e32 v9, v9, v16, vcc
; %bb.339:                              ;   in Loop: Header=BB375_299 Depth=1
	s_or_b64 exec, exec, s[0:1]
	v_bfe_u32 v16, v2, 16, 8
	v_cvt_f32_fp8_sdwa v16, v16 src0_sel:BYTE_0
	s_nop 0
	v_mul_f32_e32 v16, v37, v16
	v_and_b32_e32 v28, 0x7f800000, v16
	v_cmp_ne_u32_e32 vcc, s9, v28
                                        ; implicit-def: $vgpr28
	s_and_saveexec_b64 s[0:1], vcc
	s_xor_b64 s[0:1], exec, s[0:1]
; %bb.340:                              ;   in Loop: Header=BB375_299 Depth=1
	v_bfe_u32 v28, v16, 16, 1
	v_add3_u32 v28, v16, v28, s12
                                        ; implicit-def: $vgpr16
; %bb.341:                              ;   in Loop: Header=BB375_299 Depth=1
	s_andn2_saveexec_b64 s[0:1], s[0:1]
; %bb.342:                              ;   in Loop: Header=BB375_299 Depth=1
	v_or_b32_e32 v28, 0x10000, v16
	v_cmp_eq_u32_sdwa vcc, v16, v11 src0_sel:WORD_0 src1_sel:DWORD
	s_nop 1
	v_cndmask_b32_e32 v28, v28, v16, vcc
; %bb.343:                              ;   in Loop: Header=BB375_299 Depth=1
	s_or_b64 exec, exec, s[0:1]
	v_lshrrev_b32_e32 v2, 24, v2
	v_cvt_f32_fp8_sdwa v2, v2 src0_sel:BYTE_0
	s_nop 0
	v_mul_f32_e32 v16, v37, v2
	v_and_b32_e32 v2, 0x7f800000, v16
	v_cmp_ne_u32_e32 vcc, s9, v2
                                        ; implicit-def: $vgpr2
	s_and_saveexec_b64 s[0:1], vcc
	s_xor_b64 s[0:1], exec, s[0:1]
; %bb.344:                              ;   in Loop: Header=BB375_299 Depth=1
	v_bfe_u32 v2, v16, 16, 1
	v_add3_u32 v2, v16, v2, s12
                                        ; implicit-def: $vgpr16
; %bb.345:                              ;   in Loop: Header=BB375_299 Depth=1
	s_andn2_saveexec_b64 s[0:1], s[0:1]
; %bb.346:                              ;   in Loop: Header=BB375_299 Depth=1
	v_or_b32_e32 v2, 0x10000, v16
	v_cmp_eq_u32_sdwa vcc, v16, v11 src0_sel:WORD_0 src1_sel:DWORD
	s_nop 1
	v_cndmask_b32_e32 v2, v2, v16, vcc
; %bb.347:                              ;   in Loop: Header=BB375_299 Depth=1
	s_or_b64 exec, exec, s[0:1]
	v_and_b32_e32 v16, 0xff, v3
	v_cvt_f32_fp8_sdwa v16, v16 src0_sel:BYTE_0
	s_nop 0
	v_mul_f32_e32 v16, v37, v16
	v_and_b32_e32 v29, 0x7f800000, v16
	v_cmp_ne_u32_e32 vcc, s9, v29
                                        ; implicit-def: $vgpr29
	s_and_saveexec_b64 s[0:1], vcc
	s_xor_b64 s[0:1], exec, s[0:1]
; %bb.348:                              ;   in Loop: Header=BB375_299 Depth=1
	v_bfe_u32 v29, v16, 16, 1
	v_add3_u32 v29, v16, v29, s12
                                        ; implicit-def: $vgpr16
; %bb.349:                              ;   in Loop: Header=BB375_299 Depth=1
	s_andn2_saveexec_b64 s[0:1], s[0:1]
; %bb.350:                              ;   in Loop: Header=BB375_299 Depth=1
	v_or_b32_e32 v29, 0x10000, v16
	v_cmp_eq_u32_sdwa vcc, v16, v11 src0_sel:WORD_0 src1_sel:DWORD
	s_nop 1
	v_cndmask_b32_e32 v29, v29, v16, vcc
; %bb.351:                              ;   in Loop: Header=BB375_299 Depth=1
	s_or_b64 exec, exec, s[0:1]
	v_bfe_u32 v16, v3, 8, 8
	v_cvt_f32_fp8_sdwa v16, v16 src0_sel:BYTE_0
	s_nop 0
	v_mul_f32_e32 v30, v37, v16
	v_and_b32_e32 v16, 0x7f800000, v30
	v_cmp_ne_u32_e32 vcc, s9, v16
                                        ; implicit-def: $vgpr16
	s_and_saveexec_b64 s[0:1], vcc
	s_xor_b64 s[0:1], exec, s[0:1]
; %bb.352:                              ;   in Loop: Header=BB375_299 Depth=1
	v_bfe_u32 v16, v30, 16, 1
	v_add3_u32 v16, v30, v16, s12
                                        ; implicit-def: $vgpr30
; %bb.353:                              ;   in Loop: Header=BB375_299 Depth=1
	s_andn2_saveexec_b64 s[0:1], s[0:1]
; %bb.354:                              ;   in Loop: Header=BB375_299 Depth=1
	v_or_b32_e32 v16, 0x10000, v30
	v_cmp_eq_u32_sdwa vcc, v30, v11 src0_sel:WORD_0 src1_sel:DWORD
	s_nop 1
	v_cndmask_b32_e32 v16, v16, v30, vcc
; %bb.355:                              ;   in Loop: Header=BB375_299 Depth=1
	s_or_b64 exec, exec, s[0:1]
	v_bfe_u32 v30, v3, 16, 8
	v_cvt_f32_fp8_sdwa v30, v30 src0_sel:BYTE_0
	s_nop 0
	v_mul_f32_e32 v30, v37, v30
	v_and_b32_e32 v31, 0x7f800000, v30
	v_cmp_ne_u32_e32 vcc, s9, v31
                                        ; implicit-def: $vgpr31
	s_and_saveexec_b64 s[0:1], vcc
	s_xor_b64 s[0:1], exec, s[0:1]
; %bb.356:                              ;   in Loop: Header=BB375_299 Depth=1
	v_bfe_u32 v31, v30, 16, 1
	v_add3_u32 v31, v30, v31, s12
                                        ; implicit-def: $vgpr30
; %bb.357:                              ;   in Loop: Header=BB375_299 Depth=1
	s_andn2_saveexec_b64 s[0:1], s[0:1]
; %bb.358:                              ;   in Loop: Header=BB375_299 Depth=1
	v_or_b32_e32 v31, 0x10000, v30
	v_cmp_eq_u32_sdwa vcc, v30, v11 src0_sel:WORD_0 src1_sel:DWORD
	s_nop 1
	v_cndmask_b32_e32 v31, v31, v30, vcc
; %bb.359:                              ;   in Loop: Header=BB375_299 Depth=1
	s_or_b64 exec, exec, s[0:1]
	v_lshrrev_b32_e32 v3, 24, v3
	v_cvt_f32_fp8_sdwa v3, v3 src0_sel:BYTE_0
                                        ; implicit-def: $vgpr32
	s_nop 0
	v_mul_f32_e32 v3, v37, v3
	v_and_b32_e32 v30, 0x7f800000, v3
	v_cmp_ne_u32_e32 vcc, s9, v30
	s_and_saveexec_b64 s[0:1], vcc
	s_xor_b64 s[0:1], exec, s[0:1]
; %bb.360:                              ;   in Loop: Header=BB375_299 Depth=1
	v_bfe_u32 v30, v3, 16, 1
	v_add3_u32 v32, v3, v30, s12
                                        ; implicit-def: $vgpr3
; %bb.361:                              ;   in Loop: Header=BB375_299 Depth=1
	s_andn2_saveexec_b64 s[0:1], s[0:1]
; %bb.362:                              ;   in Loop: Header=BB375_299 Depth=1
	v_or_b32_e32 v30, 0x10000, v3
	v_cmp_eq_u32_sdwa vcc, v3, v11 src0_sel:WORD_0 src1_sel:DWORD
	s_nop 1
	v_cndmask_b32_e32 v32, v30, v3, vcc
; %bb.363:                              ;   in Loop: Header=BB375_299 Depth=1
	s_or_b64 exec, exec, s[0:1]
	v_accvgpr_read_b32 v30, a6
	v_accvgpr_read_b32 v3, a10
	v_cmp_eq_u32_e32 vcc, v3, v30
	v_add_u32_e32 v3, -7, v10
	v_accvgpr_write_b32 a21, v3
	v_lshrrev_b32_e32 v3, 16, v31
	v_add_u32_e32 v31, -6, v10
	v_accvgpr_write_b32 a27, v31
	v_add_u32_e32 v31, -5, v10
	v_accvgpr_write_b32 a26, v31
	;; [unrolled: 2-line block ×5, first 2 shown]
	v_add_u32_e32 v31, -1, v10
	v_lshrrev_b32_e32 v16, 16, v16
	v_lshrrev_b32_e32 v29, 16, v29
	;; [unrolled: 1-line block ×7, first 2 shown]
	v_accvgpr_write_b32 a22, v31
	s_and_saveexec_b64 s[6:7], vcc
	s_cbranch_execz .LBB375_365
; %bb.364:                              ;   in Loop: Header=BB375_299 Depth=1
	v_accvgpr_read_b32 v31, a21
	v_cmp_lt_i32_e64 s[0:1], v31, v35
	v_accvgpr_read_b32 v31, a27
	s_nop 0
	v_cndmask_b32_e64 v8, 0, v8, s[0:1]
	v_cmp_lt_i32_e64 s[0:1], v31, v35
	v_accvgpr_read_b32 v31, a26
	s_nop 0
	v_cndmask_b32_e64 v9, 0, v9, s[0:1]
	;; [unrolled: 4-line block ×6, first 2 shown]
	v_cmp_lt_i32_e64 s[0:1], v31, v35
	s_nop 1
	v_cndmask_b32_e64 v3, 0, v3, s[0:1]
	v_cmp_lt_i32_e64 s[0:1], v10, v35
	s_nop 1
	v_cndmask_b32_e64 v2, 0, v2, s[0:1]
.LBB375_365:                            ;   in Loop: Header=BB375_299 Depth=1
	s_or_b64 exec, exec, s[6:7]
	v_and_b32_e32 v55, 0xffff0000, v27
	v_lshlrev_b32_e32 v8, 16, v8
	v_mul_f32_e32 v8, v55, v8
	v_and_b32_e32 v27, 0x7f800000, v8
	v_cmp_ne_u32_e64 s[0:1], s9, v27
                                        ; implicit-def: $agpr11
	s_and_saveexec_b64 s[6:7], s[0:1]
	s_xor_b64 s[0:1], exec, s[6:7]
; %bb.366:                              ;   in Loop: Header=BB375_299 Depth=1
	v_bfe_u32 v27, v8, 16, 1
	v_add3_u32 v8, v8, v27, s12
	v_accvgpr_write_b32 a11, v8
                                        ; implicit-def: $vgpr8
; %bb.367:                              ;   in Loop: Header=BB375_299 Depth=1
	s_andn2_saveexec_b64 s[6:7], s[0:1]
; %bb.368:                              ;   in Loop: Header=BB375_299 Depth=1
	v_or_b32_e32 v27, 0x10000, v8
	v_cmp_eq_u32_sdwa s[0:1], v8, v11 src0_sel:WORD_0 src1_sel:DWORD
	s_nop 1
	v_cndmask_b32_e64 v8, v27, v8, s[0:1]
	v_accvgpr_write_b32 a11, v8
; %bb.369:                              ;   in Loop: Header=BB375_299 Depth=1
	s_or_b64 exec, exec, s[6:7]
	v_and_b32_e32 v40, 0xffff0000, v26
	v_lshlrev_b32_e32 v8, 16, v9
	v_mul_f32_e32 v8, v40, v8
	v_and_b32_e32 v9, 0x7f800000, v8
	v_cmp_ne_u32_e64 s[0:1], s9, v9
                                        ; implicit-def: $agpr14
	s_and_saveexec_b64 s[6:7], s[0:1]
	s_xor_b64 s[0:1], exec, s[6:7]
; %bb.370:                              ;   in Loop: Header=BB375_299 Depth=1
	v_bfe_u32 v9, v8, 16, 1
	v_add3_u32 v8, v8, v9, s12
	v_accvgpr_write_b32 a14, v8
                                        ; implicit-def: $vgpr8
; %bb.371:                              ;   in Loop: Header=BB375_299 Depth=1
	s_andn2_saveexec_b64 s[6:7], s[0:1]
; %bb.372:                              ;   in Loop: Header=BB375_299 Depth=1
	v_or_b32_e32 v9, 0x10000, v8
	v_cmp_eq_u32_sdwa s[0:1], v8, v11 src0_sel:WORD_0 src1_sel:DWORD
	s_nop 1
	v_cndmask_b32_e64 v8, v9, v8, s[0:1]
	v_accvgpr_write_b32 a14, v8
; %bb.373:                              ;   in Loop: Header=BB375_299 Depth=1
	s_or_b64 exec, exec, s[6:7]
	v_and_b32_e32 v41, 0xffff0000, v23
	v_lshlrev_b32_e32 v8, 16, v28
	v_mul_f32_e32 v8, v41, v8
	v_and_b32_e32 v9, 0x7f800000, v8
	v_cmp_ne_u32_e64 s[0:1], s9, v9
                                        ; implicit-def: $agpr15
	s_and_saveexec_b64 s[6:7], s[0:1]
	s_xor_b64 s[0:1], exec, s[6:7]
; %bb.374:                              ;   in Loop: Header=BB375_299 Depth=1
	v_bfe_u32 v9, v8, 16, 1
	v_add3_u32 v8, v8, v9, s12
	v_accvgpr_write_b32 a15, v8
                                        ; implicit-def: $vgpr8
; %bb.375:                              ;   in Loop: Header=BB375_299 Depth=1
	s_andn2_saveexec_b64 s[6:7], s[0:1]
; %bb.376:                              ;   in Loop: Header=BB375_299 Depth=1
	v_or_b32_e32 v9, 0x10000, v8
	v_cmp_eq_u32_sdwa s[0:1], v8, v11 src0_sel:WORD_0 src1_sel:DWORD
	s_nop 1
	v_cndmask_b32_e64 v8, v9, v8, s[0:1]
	v_accvgpr_write_b32 a15, v8
; %bb.377:                              ;   in Loop: Header=BB375_299 Depth=1
	s_or_b64 exec, exec, s[6:7]
	v_and_b32_e32 v42, 0xffff0000, v22
	v_lshlrev_b32_e32 v8, 16, v30
	v_mul_f32_e32 v8, v42, v8
	v_and_b32_e32 v9, 0x7f800000, v8
	v_cmp_ne_u32_e64 s[0:1], s9, v9
                                        ; implicit-def: $agpr16
	s_and_saveexec_b64 s[6:7], s[0:1]
	s_xor_b64 s[0:1], exec, s[6:7]
; %bb.378:                              ;   in Loop: Header=BB375_299 Depth=1
	v_bfe_u32 v9, v8, 16, 1
	v_add3_u32 v8, v8, v9, s12
	v_accvgpr_write_b32 a16, v8
                                        ; implicit-def: $vgpr8
; %bb.379:                              ;   in Loop: Header=BB375_299 Depth=1
	s_andn2_saveexec_b64 s[6:7], s[0:1]
; %bb.380:                              ;   in Loop: Header=BB375_299 Depth=1
	v_or_b32_e32 v9, 0x10000, v8
	v_cmp_eq_u32_sdwa s[0:1], v8, v11 src0_sel:WORD_0 src1_sel:DWORD
	s_nop 1
	v_cndmask_b32_e64 v8, v9, v8, s[0:1]
	v_accvgpr_write_b32 a16, v8
; %bb.381:                              ;   in Loop: Header=BB375_299 Depth=1
	s_or_b64 exec, exec, s[6:7]
	v_and_b32_e32 v43, 0xffff0000, v7
	v_lshlrev_b32_e32 v7, 16, v29
	v_mul_f32_e32 v7, v43, v7
	v_and_b32_e32 v8, 0x7f800000, v7
	v_cmp_ne_u32_e64 s[0:1], s9, v8
                                        ; implicit-def: $agpr17
	s_and_saveexec_b64 s[6:7], s[0:1]
	s_xor_b64 s[0:1], exec, s[6:7]
; %bb.382:                              ;   in Loop: Header=BB375_299 Depth=1
	v_bfe_u32 v8, v7, 16, 1
	v_add3_u32 v7, v7, v8, s12
	v_accvgpr_write_b32 a17, v7
                                        ; implicit-def: $vgpr7
; %bb.383:                              ;   in Loop: Header=BB375_299 Depth=1
	s_andn2_saveexec_b64 s[6:7], s[0:1]
; %bb.384:                              ;   in Loop: Header=BB375_299 Depth=1
	v_or_b32_e32 v8, 0x10000, v7
	v_cmp_eq_u32_sdwa s[0:1], v7, v11 src0_sel:WORD_0 src1_sel:DWORD
	s_nop 1
	v_cndmask_b32_e64 v7, v8, v7, s[0:1]
	v_accvgpr_write_b32 a17, v7
; %bb.385:                              ;   in Loop: Header=BB375_299 Depth=1
	s_or_b64 exec, exec, s[6:7]
	v_and_b32_e32 v44, 0xffff0000, v6
	v_lshlrev_b32_e32 v6, 16, v16
	v_mul_f32_e32 v6, v44, v6
	v_and_b32_e32 v7, 0x7f800000, v6
	v_cmp_ne_u32_e64 s[0:1], s9, v7
                                        ; implicit-def: $agpr18
	s_and_saveexec_b64 s[6:7], s[0:1]
	s_xor_b64 s[0:1], exec, s[6:7]
; %bb.386:                              ;   in Loop: Header=BB375_299 Depth=1
	v_bfe_u32 v7, v6, 16, 1
	v_add3_u32 v6, v6, v7, s12
	v_accvgpr_write_b32 a18, v6
                                        ; implicit-def: $vgpr6
; %bb.387:                              ;   in Loop: Header=BB375_299 Depth=1
	s_andn2_saveexec_b64 s[6:7], s[0:1]
; %bb.388:                              ;   in Loop: Header=BB375_299 Depth=1
	v_or_b32_e32 v7, 0x10000, v6
	v_cmp_eq_u32_sdwa s[0:1], v6, v11 src0_sel:WORD_0 src1_sel:DWORD
	s_nop 1
	v_cndmask_b32_e64 v6, v7, v6, s[0:1]
	v_accvgpr_write_b32 a18, v6
; %bb.389:                              ;   in Loop: Header=BB375_299 Depth=1
	s_or_b64 exec, exec, s[6:7]
	v_and_b32_e32 v45, 0xffff0000, v5
	v_lshlrev_b32_e32 v3, 16, v3
	v_mul_f32_e32 v3, v45, v3
	v_and_b32_e32 v5, 0x7f800000, v3
	v_cmp_ne_u32_e64 s[0:1], s9, v5
                                        ; implicit-def: $agpr19
	s_and_saveexec_b64 s[6:7], s[0:1]
	s_xor_b64 s[0:1], exec, s[6:7]
; %bb.390:                              ;   in Loop: Header=BB375_299 Depth=1
	v_bfe_u32 v5, v3, 16, 1
	v_add3_u32 v3, v3, v5, s12
	v_accvgpr_write_b32 a19, v3
                                        ; implicit-def: $vgpr3
; %bb.391:                              ;   in Loop: Header=BB375_299 Depth=1
	s_andn2_saveexec_b64 s[6:7], s[0:1]
; %bb.392:                              ;   in Loop: Header=BB375_299 Depth=1
	v_or_b32_e32 v5, 0x10000, v3
	v_cmp_eq_u32_sdwa s[0:1], v3, v11 src0_sel:WORD_0 src1_sel:DWORD
	s_nop 1
	v_cndmask_b32_e64 v3, v5, v3, s[0:1]
	v_accvgpr_write_b32 a19, v3
; %bb.393:                              ;   in Loop: Header=BB375_299 Depth=1
	s_or_b64 exec, exec, s[6:7]
	v_and_b32_e32 v46, 0xffff0000, v4
	v_lshlrev_b32_e32 v2, 16, v2
	v_mul_f32_e32 v2, v46, v2
	v_and_b32_e32 v3, 0x7f800000, v2
	v_cmp_ne_u32_e64 s[0:1], s9, v3
                                        ; implicit-def: $agpr20
	s_and_saveexec_b64 s[6:7], s[0:1]
	s_xor_b64 s[0:1], exec, s[6:7]
; %bb.394:                              ;   in Loop: Header=BB375_299 Depth=1
	v_bfe_u32 v3, v2, 16, 1
	v_add3_u32 v2, v2, v3, s12
	v_accvgpr_write_b32 a20, v2
                                        ; implicit-def: $vgpr2
; %bb.395:                              ;   in Loop: Header=BB375_299 Depth=1
	s_andn2_saveexec_b64 s[6:7], s[0:1]
; %bb.396:                              ;   in Loop: Header=BB375_299 Depth=1
	v_or_b32_e32 v3, 0x10000, v2
	v_cmp_eq_u32_sdwa s[0:1], v2, v11 src0_sel:WORD_0 src1_sel:DWORD
	s_nop 1
	v_cndmask_b32_e64 v2, v3, v2, s[0:1]
	v_accvgpr_write_b32 a20, v2
; %bb.397:                              ;   in Loop: Header=BB375_299 Depth=1
	s_or_b64 exec, exec, s[6:7]
	flat_load_dwordx2 v[2:3], v[0:1] offset:512
	s_waitcnt vmcnt(0) lgkmcnt(0)
	v_and_b32_e32 v4, 0xff, v2
	v_cvt_f32_fp8_sdwa v4, v4 src0_sel:BYTE_0
	s_nop 0
	v_mul_f32_e32 v5, v37, v4
	v_and_b32_e32 v4, 0x7f800000, v5
	v_cmp_ne_u32_e64 s[0:1], s9, v4
                                        ; implicit-def: $vgpr4
	s_and_saveexec_b64 s[6:7], s[0:1]
	s_xor_b64 s[0:1], exec, s[6:7]
; %bb.398:                              ;   in Loop: Header=BB375_299 Depth=1
	v_bfe_u32 v4, v5, 16, 1
	v_add3_u32 v4, v5, v4, s12
                                        ; implicit-def: $vgpr5
; %bb.399:                              ;   in Loop: Header=BB375_299 Depth=1
	s_andn2_saveexec_b64 s[6:7], s[0:1]
; %bb.400:                              ;   in Loop: Header=BB375_299 Depth=1
	v_or_b32_e32 v4, 0x10000, v5
	v_cmp_eq_u32_sdwa s[0:1], v5, v11 src0_sel:WORD_0 src1_sel:DWORD
	s_nop 1
	v_cndmask_b32_e64 v4, v4, v5, s[0:1]
; %bb.401:                              ;   in Loop: Header=BB375_299 Depth=1
	s_or_b64 exec, exec, s[6:7]
	v_bfe_u32 v5, v2, 8, 8
	v_cvt_f32_fp8_sdwa v5, v5 src0_sel:BYTE_0
	s_nop 0
	v_mul_f32_e32 v6, v37, v5
	v_and_b32_e32 v5, 0x7f800000, v6
	v_cmp_ne_u32_e64 s[0:1], s9, v5
                                        ; implicit-def: $vgpr5
	s_and_saveexec_b64 s[6:7], s[0:1]
	s_xor_b64 s[0:1], exec, s[6:7]
; %bb.402:                              ;   in Loop: Header=BB375_299 Depth=1
	v_bfe_u32 v5, v6, 16, 1
	v_add3_u32 v5, v6, v5, s12
                                        ; implicit-def: $vgpr6
; %bb.403:                              ;   in Loop: Header=BB375_299 Depth=1
	s_andn2_saveexec_b64 s[6:7], s[0:1]
; %bb.404:                              ;   in Loop: Header=BB375_299 Depth=1
	v_or_b32_e32 v5, 0x10000, v6
	v_cmp_eq_u32_sdwa s[0:1], v6, v11 src0_sel:WORD_0 src1_sel:DWORD
	s_nop 1
	v_cndmask_b32_e64 v5, v5, v6, s[0:1]
; %bb.405:                              ;   in Loop: Header=BB375_299 Depth=1
	s_or_b64 exec, exec, s[6:7]
	v_bfe_u32 v6, v2, 16, 8
	v_cvt_f32_fp8_sdwa v6, v6 src0_sel:BYTE_0
	s_nop 0
	v_mul_f32_e32 v6, v37, v6
	v_and_b32_e32 v7, 0x7f800000, v6
	v_cmp_ne_u32_e64 s[0:1], s9, v7
                                        ; implicit-def: $vgpr7
	s_and_saveexec_b64 s[6:7], s[0:1]
	s_xor_b64 s[0:1], exec, s[6:7]
; %bb.406:                              ;   in Loop: Header=BB375_299 Depth=1
	v_bfe_u32 v7, v6, 16, 1
	v_add3_u32 v7, v6, v7, s12
                                        ; implicit-def: $vgpr6
; %bb.407:                              ;   in Loop: Header=BB375_299 Depth=1
	s_andn2_saveexec_b64 s[6:7], s[0:1]
; %bb.408:                              ;   in Loop: Header=BB375_299 Depth=1
	v_or_b32_e32 v7, 0x10000, v6
	v_cmp_eq_u32_sdwa s[0:1], v6, v11 src0_sel:WORD_0 src1_sel:DWORD
	s_nop 1
	v_cndmask_b32_e64 v7, v7, v6, s[0:1]
; %bb.409:                              ;   in Loop: Header=BB375_299 Depth=1
	s_or_b64 exec, exec, s[6:7]
	v_lshrrev_b32_e32 v2, 24, v2
	v_cvt_f32_fp8_sdwa v2, v2 src0_sel:BYTE_0
	s_nop 0
	v_mul_f32_e32 v6, v37, v2
	v_and_b32_e32 v2, 0x7f800000, v6
	v_cmp_ne_u32_e64 s[0:1], s9, v2
                                        ; implicit-def: $vgpr2
	s_and_saveexec_b64 s[6:7], s[0:1]
	s_xor_b64 s[0:1], exec, s[6:7]
; %bb.410:                              ;   in Loop: Header=BB375_299 Depth=1
	v_bfe_u32 v2, v6, 16, 1
	v_add3_u32 v2, v6, v2, s12
                                        ; implicit-def: $vgpr6
; %bb.411:                              ;   in Loop: Header=BB375_299 Depth=1
	s_andn2_saveexec_b64 s[6:7], s[0:1]
; %bb.412:                              ;   in Loop: Header=BB375_299 Depth=1
	v_or_b32_e32 v2, 0x10000, v6
	v_cmp_eq_u32_sdwa s[0:1], v6, v11 src0_sel:WORD_0 src1_sel:DWORD
	s_nop 1
	v_cndmask_b32_e64 v2, v2, v6, s[0:1]
; %bb.413:                              ;   in Loop: Header=BB375_299 Depth=1
	s_or_b64 exec, exec, s[6:7]
	v_and_b32_e32 v6, 0xff, v3
	v_cvt_f32_fp8_sdwa v6, v6 src0_sel:BYTE_0
	s_nop 0
	v_mul_f32_e32 v6, v37, v6
	v_and_b32_e32 v8, 0x7f800000, v6
	v_cmp_ne_u32_e64 s[0:1], s9, v8
                                        ; implicit-def: $vgpr8
	s_and_saveexec_b64 s[6:7], s[0:1]
	s_xor_b64 s[0:1], exec, s[6:7]
; %bb.414:                              ;   in Loop: Header=BB375_299 Depth=1
	v_bfe_u32 v8, v6, 16, 1
	v_add3_u32 v8, v6, v8, s12
                                        ; implicit-def: $vgpr6
; %bb.415:                              ;   in Loop: Header=BB375_299 Depth=1
	s_andn2_saveexec_b64 s[6:7], s[0:1]
; %bb.416:                              ;   in Loop: Header=BB375_299 Depth=1
	v_or_b32_e32 v8, 0x10000, v6
	v_cmp_eq_u32_sdwa s[0:1], v6, v11 src0_sel:WORD_0 src1_sel:DWORD
	s_nop 1
	v_cndmask_b32_e64 v8, v8, v6, s[0:1]
; %bb.417:                              ;   in Loop: Header=BB375_299 Depth=1
	s_or_b64 exec, exec, s[6:7]
	v_bfe_u32 v6, v3, 8, 8
	v_cvt_f32_fp8_sdwa v6, v6 src0_sel:BYTE_0
	s_nop 0
	v_mul_f32_e32 v9, v37, v6
	v_and_b32_e32 v6, 0x7f800000, v9
	v_cmp_ne_u32_e64 s[0:1], s9, v6
                                        ; implicit-def: $vgpr6
	s_and_saveexec_b64 s[6:7], s[0:1]
	s_xor_b64 s[0:1], exec, s[6:7]
; %bb.418:                              ;   in Loop: Header=BB375_299 Depth=1
	v_bfe_u32 v6, v9, 16, 1
	v_add3_u32 v6, v9, v6, s12
                                        ; implicit-def: $vgpr9
; %bb.419:                              ;   in Loop: Header=BB375_299 Depth=1
	s_andn2_saveexec_b64 s[6:7], s[0:1]
; %bb.420:                              ;   in Loop: Header=BB375_299 Depth=1
	v_or_b32_e32 v6, 0x10000, v9
	v_cmp_eq_u32_sdwa s[0:1], v9, v11 src0_sel:WORD_0 src1_sel:DWORD
	s_nop 1
	v_cndmask_b32_e64 v6, v6, v9, s[0:1]
; %bb.421:                              ;   in Loop: Header=BB375_299 Depth=1
	s_or_b64 exec, exec, s[6:7]
	v_bfe_u32 v9, v3, 16, 8
	v_cvt_f32_fp8_sdwa v9, v9 src0_sel:BYTE_0
	s_nop 0
	v_mul_f32_e32 v9, v37, v9
	v_and_b32_e32 v16, 0x7f800000, v9
	v_cmp_ne_u32_e64 s[0:1], s9, v16
                                        ; implicit-def: $vgpr16
	s_and_saveexec_b64 s[6:7], s[0:1]
	s_xor_b64 s[0:1], exec, s[6:7]
; %bb.422:                              ;   in Loop: Header=BB375_299 Depth=1
	v_bfe_u32 v16, v9, 16, 1
	v_add3_u32 v16, v9, v16, s12
                                        ; implicit-def: $vgpr9
; %bb.423:                              ;   in Loop: Header=BB375_299 Depth=1
	s_andn2_saveexec_b64 s[6:7], s[0:1]
; %bb.424:                              ;   in Loop: Header=BB375_299 Depth=1
	v_or_b32_e32 v16, 0x10000, v9
	v_cmp_eq_u32_sdwa s[0:1], v9, v11 src0_sel:WORD_0 src1_sel:DWORD
	s_nop 1
	v_cndmask_b32_e64 v16, v16, v9, s[0:1]
; %bb.425:                              ;   in Loop: Header=BB375_299 Depth=1
	s_or_b64 exec, exec, s[6:7]
	v_lshrrev_b32_e32 v3, 24, v3
	v_cvt_f32_fp8_sdwa v3, v3 src0_sel:BYTE_0
                                        ; implicit-def: $vgpr22
	s_nop 0
	v_mul_f32_e32 v3, v37, v3
	v_and_b32_e32 v9, 0x7f800000, v3
	v_cmp_ne_u32_e64 s[0:1], s9, v9
	s_and_saveexec_b64 s[6:7], s[0:1]
	s_xor_b64 s[0:1], exec, s[6:7]
; %bb.426:                              ;   in Loop: Header=BB375_299 Depth=1
	v_bfe_u32 v9, v3, 16, 1
	v_add3_u32 v22, v3, v9, s12
                                        ; implicit-def: $vgpr3
; %bb.427:                              ;   in Loop: Header=BB375_299 Depth=1
	s_andn2_saveexec_b64 s[6:7], s[0:1]
; %bb.428:                              ;   in Loop: Header=BB375_299 Depth=1
	v_or_b32_e32 v9, 0x10000, v3
	v_cmp_eq_u32_sdwa s[0:1], v3, v11 src0_sel:WORD_0 src1_sel:DWORD
	s_nop 1
	v_cndmask_b32_e64 v22, v9, v3, s[0:1]
; %bb.429:                              ;   in Loop: Header=BB375_299 Depth=1
	s_or_b64 exec, exec, s[6:7]
	v_lshrrev_b32_e32 v6, 16, v6
	v_lshrrev_b32_e32 v8, 16, v8
	;; [unrolled: 1-line block ×8, first 2 shown]
	s_and_saveexec_b64 s[6:7], vcc
	s_cbranch_execz .LBB375_431
; %bb.430:                              ;   in Loop: Header=BB375_299 Depth=1
	v_accvgpr_read_b32 v16, a21
	v_cmp_lt_i32_e64 s[0:1], v16, v35
	v_accvgpr_read_b32 v16, a27
	s_nop 0
	v_cndmask_b32_e64 v4, 0, v4, s[0:1]
	v_cmp_lt_i32_e64 s[0:1], v16, v35
	v_accvgpr_read_b32 v16, a26
	s_nop 0
	v_cndmask_b32_e64 v5, 0, v5, s[0:1]
	;; [unrolled: 4-line block ×6, first 2 shown]
	v_cmp_lt_i32_e64 s[0:1], v16, v35
	s_nop 1
	v_cndmask_b32_e64 v3, 0, v3, s[0:1]
	v_cmp_lt_i32_e64 s[0:1], v10, v35
	s_nop 1
	v_cndmask_b32_e64 v2, 0, v2, s[0:1]
.LBB375_431:                            ;   in Loop: Header=BB375_299 Depth=1
	s_or_b64 exec, exec, s[6:7]
	v_lshlrev_b32_e32 v4, 16, v4
	v_mul_f32_e32 v4, v55, v4
	v_and_b32_e32 v16, 0x7f800000, v4
	v_cmp_ne_u32_e64 s[0:1], s9, v16
                                        ; implicit-def: $agpr28
	s_and_saveexec_b64 s[6:7], s[0:1]
	s_xor_b64 s[0:1], exec, s[6:7]
; %bb.432:                              ;   in Loop: Header=BB375_299 Depth=1
	v_bfe_u32 v16, v4, 16, 1
	v_add3_u32 v4, v4, v16, s12
	v_accvgpr_write_b32 a28, v4
                                        ; implicit-def: $vgpr4
; %bb.433:                              ;   in Loop: Header=BB375_299 Depth=1
	s_andn2_saveexec_b64 s[6:7], s[0:1]
; %bb.434:                              ;   in Loop: Header=BB375_299 Depth=1
	v_or_b32_e32 v16, 0x10000, v4
	v_cmp_eq_u32_sdwa s[0:1], v4, v11 src0_sel:WORD_0 src1_sel:DWORD
	s_nop 1
	v_cndmask_b32_e64 v4, v16, v4, s[0:1]
	v_accvgpr_write_b32 a28, v4
; %bb.435:                              ;   in Loop: Header=BB375_299 Depth=1
	s_or_b64 exec, exec, s[6:7]
	v_lshlrev_b32_e32 v4, 16, v5
	v_mul_f32_e32 v4, v40, v4
	v_and_b32_e32 v5, 0x7f800000, v4
	v_cmp_ne_u32_e64 s[0:1], s9, v5
                                        ; implicit-def: $agpr29
	s_and_saveexec_b64 s[6:7], s[0:1]
	s_xor_b64 s[0:1], exec, s[6:7]
; %bb.436:                              ;   in Loop: Header=BB375_299 Depth=1
	v_bfe_u32 v5, v4, 16, 1
	v_add3_u32 v4, v4, v5, s12
	v_accvgpr_write_b32 a29, v4
                                        ; implicit-def: $vgpr4
; %bb.437:                              ;   in Loop: Header=BB375_299 Depth=1
	s_andn2_saveexec_b64 s[6:7], s[0:1]
; %bb.438:                              ;   in Loop: Header=BB375_299 Depth=1
	v_or_b32_e32 v5, 0x10000, v4
	v_cmp_eq_u32_sdwa s[0:1], v4, v11 src0_sel:WORD_0 src1_sel:DWORD
	s_nop 1
	v_cndmask_b32_e64 v4, v5, v4, s[0:1]
	v_accvgpr_write_b32 a29, v4
; %bb.439:                              ;   in Loop: Header=BB375_299 Depth=1
	s_or_b64 exec, exec, s[6:7]
	v_lshlrev_b32_e32 v4, 16, v7
	v_mul_f32_e32 v4, v41, v4
	v_and_b32_e32 v5, 0x7f800000, v4
	v_cmp_ne_u32_e64 s[0:1], s9, v5
                                        ; implicit-def: $agpr30
	s_and_saveexec_b64 s[6:7], s[0:1]
	s_xor_b64 s[0:1], exec, s[6:7]
; %bb.440:                              ;   in Loop: Header=BB375_299 Depth=1
	v_bfe_u32 v5, v4, 16, 1
	v_add3_u32 v4, v4, v5, s12
	v_accvgpr_write_b32 a30, v4
                                        ; implicit-def: $vgpr4
; %bb.441:                              ;   in Loop: Header=BB375_299 Depth=1
	s_andn2_saveexec_b64 s[6:7], s[0:1]
; %bb.442:                              ;   in Loop: Header=BB375_299 Depth=1
	v_or_b32_e32 v5, 0x10000, v4
	v_cmp_eq_u32_sdwa s[0:1], v4, v11 src0_sel:WORD_0 src1_sel:DWORD
	s_nop 1
	v_cndmask_b32_e64 v4, v5, v4, s[0:1]
	v_accvgpr_write_b32 a30, v4
; %bb.443:                              ;   in Loop: Header=BB375_299 Depth=1
	s_or_b64 exec, exec, s[6:7]
	v_lshlrev_b32_e32 v4, 16, v9
	v_mul_f32_e32 v4, v42, v4
	v_and_b32_e32 v5, 0x7f800000, v4
	v_cmp_ne_u32_e64 s[0:1], s9, v5
                                        ; implicit-def: $agpr31
	s_and_saveexec_b64 s[6:7], s[0:1]
	s_xor_b64 s[0:1], exec, s[6:7]
; %bb.444:                              ;   in Loop: Header=BB375_299 Depth=1
	v_bfe_u32 v5, v4, 16, 1
	v_add3_u32 v4, v4, v5, s12
	v_accvgpr_write_b32 a31, v4
                                        ; implicit-def: $vgpr4
; %bb.445:                              ;   in Loop: Header=BB375_299 Depth=1
	s_andn2_saveexec_b64 s[6:7], s[0:1]
; %bb.446:                              ;   in Loop: Header=BB375_299 Depth=1
	v_or_b32_e32 v5, 0x10000, v4
	v_cmp_eq_u32_sdwa s[0:1], v4, v11 src0_sel:WORD_0 src1_sel:DWORD
	s_nop 1
	v_cndmask_b32_e64 v4, v5, v4, s[0:1]
	v_accvgpr_write_b32 a31, v4
; %bb.447:                              ;   in Loop: Header=BB375_299 Depth=1
	s_or_b64 exec, exec, s[6:7]
	v_lshlrev_b32_e32 v4, 16, v8
	v_mul_f32_e32 v4, v43, v4
	v_and_b32_e32 v5, 0x7f800000, v4
	v_cmp_ne_u32_e64 s[0:1], s9, v5
                                        ; implicit-def: $agpr32
	s_and_saveexec_b64 s[6:7], s[0:1]
	s_xor_b64 s[0:1], exec, s[6:7]
; %bb.448:                              ;   in Loop: Header=BB375_299 Depth=1
	v_bfe_u32 v5, v4, 16, 1
	v_add3_u32 v4, v4, v5, s12
	v_accvgpr_write_b32 a32, v4
                                        ; implicit-def: $vgpr4
; %bb.449:                              ;   in Loop: Header=BB375_299 Depth=1
	s_andn2_saveexec_b64 s[6:7], s[0:1]
; %bb.450:                              ;   in Loop: Header=BB375_299 Depth=1
	v_or_b32_e32 v5, 0x10000, v4
	v_cmp_eq_u32_sdwa s[0:1], v4, v11 src0_sel:WORD_0 src1_sel:DWORD
	s_nop 1
	v_cndmask_b32_e64 v4, v5, v4, s[0:1]
	v_accvgpr_write_b32 a32, v4
; %bb.451:                              ;   in Loop: Header=BB375_299 Depth=1
	s_or_b64 exec, exec, s[6:7]
	v_lshlrev_b32_e32 v4, 16, v6
	v_mul_f32_e32 v4, v44, v4
	v_and_b32_e32 v5, 0x7f800000, v4
	v_cmp_ne_u32_e64 s[0:1], s9, v5
                                        ; implicit-def: $agpr33
	s_and_saveexec_b64 s[6:7], s[0:1]
	s_xor_b64 s[0:1], exec, s[6:7]
; %bb.452:                              ;   in Loop: Header=BB375_299 Depth=1
	v_bfe_u32 v5, v4, 16, 1
	v_add3_u32 v4, v4, v5, s12
	v_accvgpr_write_b32 a33, v4
                                        ; implicit-def: $vgpr4
; %bb.453:                              ;   in Loop: Header=BB375_299 Depth=1
	s_andn2_saveexec_b64 s[6:7], s[0:1]
; %bb.454:                              ;   in Loop: Header=BB375_299 Depth=1
	v_or_b32_e32 v5, 0x10000, v4
	v_cmp_eq_u32_sdwa s[0:1], v4, v11 src0_sel:WORD_0 src1_sel:DWORD
	s_nop 1
	v_cndmask_b32_e64 v4, v5, v4, s[0:1]
	v_accvgpr_write_b32 a33, v4
; %bb.455:                              ;   in Loop: Header=BB375_299 Depth=1
	s_or_b64 exec, exec, s[6:7]
	v_lshlrev_b32_e32 v3, 16, v3
	v_mul_f32_e32 v3, v45, v3
	v_and_b32_e32 v4, 0x7f800000, v3
	v_cmp_ne_u32_e64 s[0:1], s9, v4
                                        ; implicit-def: $agpr34
	s_and_saveexec_b64 s[6:7], s[0:1]
	s_xor_b64 s[0:1], exec, s[6:7]
; %bb.456:                              ;   in Loop: Header=BB375_299 Depth=1
	v_bfe_u32 v4, v3, 16, 1
	v_add3_u32 v3, v3, v4, s12
	v_accvgpr_write_b32 a34, v3
                                        ; implicit-def: $vgpr3
; %bb.457:                              ;   in Loop: Header=BB375_299 Depth=1
	s_andn2_saveexec_b64 s[6:7], s[0:1]
; %bb.458:                              ;   in Loop: Header=BB375_299 Depth=1
	v_or_b32_e32 v4, 0x10000, v3
	v_cmp_eq_u32_sdwa s[0:1], v3, v11 src0_sel:WORD_0 src1_sel:DWORD
	s_nop 1
	v_cndmask_b32_e64 v3, v4, v3, s[0:1]
	v_accvgpr_write_b32 a34, v3
; %bb.459:                              ;   in Loop: Header=BB375_299 Depth=1
	s_or_b64 exec, exec, s[6:7]
	v_lshlrev_b32_e32 v2, 16, v2
	v_mul_f32_e32 v2, v46, v2
	v_and_b32_e32 v3, 0x7f800000, v2
	v_cmp_ne_u32_e64 s[0:1], s9, v3
                                        ; implicit-def: $agpr35
	s_and_saveexec_b64 s[6:7], s[0:1]
	s_xor_b64 s[0:1], exec, s[6:7]
; %bb.460:                              ;   in Loop: Header=BB375_299 Depth=1
	v_bfe_u32 v3, v2, 16, 1
	v_add3_u32 v2, v2, v3, s12
	v_accvgpr_write_b32 a35, v2
                                        ; implicit-def: $vgpr2
; %bb.461:                              ;   in Loop: Header=BB375_299 Depth=1
	s_andn2_saveexec_b64 s[6:7], s[0:1]
; %bb.462:                              ;   in Loop: Header=BB375_299 Depth=1
	v_or_b32_e32 v3, 0x10000, v2
	v_cmp_eq_u32_sdwa s[0:1], v2, v11 src0_sel:WORD_0 src1_sel:DWORD
	s_nop 1
	v_cndmask_b32_e64 v2, v3, v2, s[0:1]
	v_accvgpr_write_b32 a35, v2
; %bb.463:                              ;   in Loop: Header=BB375_299 Depth=1
	s_or_b64 exec, exec, s[6:7]
	flat_load_dwordx2 v[2:3], v[0:1] offset:1024
	s_waitcnt vmcnt(0) lgkmcnt(0)
	v_and_b32_e32 v4, 0xff, v2
	v_cvt_f32_fp8_sdwa v4, v4 src0_sel:BYTE_0
	s_nop 0
	v_mul_f32_e32 v5, v37, v4
	v_and_b32_e32 v4, 0x7f800000, v5
	v_cmp_ne_u32_e64 s[0:1], s9, v4
                                        ; implicit-def: $vgpr4
	s_and_saveexec_b64 s[6:7], s[0:1]
	s_xor_b64 s[0:1], exec, s[6:7]
; %bb.464:                              ;   in Loop: Header=BB375_299 Depth=1
	v_bfe_u32 v4, v5, 16, 1
	v_add3_u32 v4, v5, v4, s12
                                        ; implicit-def: $vgpr5
; %bb.465:                              ;   in Loop: Header=BB375_299 Depth=1
	s_andn2_saveexec_b64 s[6:7], s[0:1]
; %bb.466:                              ;   in Loop: Header=BB375_299 Depth=1
	v_or_b32_e32 v4, 0x10000, v5
	v_cmp_eq_u32_sdwa s[0:1], v5, v11 src0_sel:WORD_0 src1_sel:DWORD
	s_nop 1
	v_cndmask_b32_e64 v4, v4, v5, s[0:1]
; %bb.467:                              ;   in Loop: Header=BB375_299 Depth=1
	s_or_b64 exec, exec, s[6:7]
	v_bfe_u32 v5, v2, 8, 8
	v_cvt_f32_fp8_sdwa v5, v5 src0_sel:BYTE_0
	s_nop 0
	v_mul_f32_e32 v6, v37, v5
	v_and_b32_e32 v5, 0x7f800000, v6
	v_cmp_ne_u32_e64 s[0:1], s9, v5
                                        ; implicit-def: $vgpr5
	s_and_saveexec_b64 s[6:7], s[0:1]
	s_xor_b64 s[0:1], exec, s[6:7]
; %bb.468:                              ;   in Loop: Header=BB375_299 Depth=1
	v_bfe_u32 v5, v6, 16, 1
	v_add3_u32 v5, v6, v5, s12
                                        ; implicit-def: $vgpr6
; %bb.469:                              ;   in Loop: Header=BB375_299 Depth=1
	s_andn2_saveexec_b64 s[6:7], s[0:1]
; %bb.470:                              ;   in Loop: Header=BB375_299 Depth=1
	v_or_b32_e32 v5, 0x10000, v6
	v_cmp_eq_u32_sdwa s[0:1], v6, v11 src0_sel:WORD_0 src1_sel:DWORD
	s_nop 1
	v_cndmask_b32_e64 v5, v5, v6, s[0:1]
; %bb.471:                              ;   in Loop: Header=BB375_299 Depth=1
	s_or_b64 exec, exec, s[6:7]
	v_bfe_u32 v6, v2, 16, 8
	v_cvt_f32_fp8_sdwa v6, v6 src0_sel:BYTE_0
	s_nop 0
	v_mul_f32_e32 v6, v37, v6
	v_and_b32_e32 v7, 0x7f800000, v6
	v_cmp_ne_u32_e64 s[0:1], s9, v7
                                        ; implicit-def: $vgpr7
	s_and_saveexec_b64 s[6:7], s[0:1]
	s_xor_b64 s[0:1], exec, s[6:7]
; %bb.472:                              ;   in Loop: Header=BB375_299 Depth=1
	v_bfe_u32 v7, v6, 16, 1
	v_add3_u32 v7, v6, v7, s12
                                        ; implicit-def: $vgpr6
; %bb.473:                              ;   in Loop: Header=BB375_299 Depth=1
	s_andn2_saveexec_b64 s[6:7], s[0:1]
; %bb.474:                              ;   in Loop: Header=BB375_299 Depth=1
	v_or_b32_e32 v7, 0x10000, v6
	v_cmp_eq_u32_sdwa s[0:1], v6, v11 src0_sel:WORD_0 src1_sel:DWORD
	s_nop 1
	v_cndmask_b32_e64 v7, v7, v6, s[0:1]
; %bb.475:                              ;   in Loop: Header=BB375_299 Depth=1
	s_or_b64 exec, exec, s[6:7]
	v_lshrrev_b32_e32 v2, 24, v2
	v_cvt_f32_fp8_sdwa v2, v2 src0_sel:BYTE_0
	s_nop 0
	v_mul_f32_e32 v6, v37, v2
	v_and_b32_e32 v2, 0x7f800000, v6
	v_cmp_ne_u32_e64 s[0:1], s9, v2
                                        ; implicit-def: $vgpr2
	s_and_saveexec_b64 s[6:7], s[0:1]
	s_xor_b64 s[0:1], exec, s[6:7]
; %bb.476:                              ;   in Loop: Header=BB375_299 Depth=1
	v_bfe_u32 v2, v6, 16, 1
	v_add3_u32 v2, v6, v2, s12
                                        ; implicit-def: $vgpr6
; %bb.477:                              ;   in Loop: Header=BB375_299 Depth=1
	s_andn2_saveexec_b64 s[6:7], s[0:1]
; %bb.478:                              ;   in Loop: Header=BB375_299 Depth=1
	v_or_b32_e32 v2, 0x10000, v6
	v_cmp_eq_u32_sdwa s[0:1], v6, v11 src0_sel:WORD_0 src1_sel:DWORD
	s_nop 1
	v_cndmask_b32_e64 v2, v2, v6, s[0:1]
; %bb.479:                              ;   in Loop: Header=BB375_299 Depth=1
	s_or_b64 exec, exec, s[6:7]
	v_and_b32_e32 v6, 0xff, v3
	v_cvt_f32_fp8_sdwa v6, v6 src0_sel:BYTE_0
	s_nop 0
	v_mul_f32_e32 v6, v37, v6
	v_and_b32_e32 v8, 0x7f800000, v6
	v_cmp_ne_u32_e64 s[0:1], s9, v8
                                        ; implicit-def: $vgpr8
	s_and_saveexec_b64 s[6:7], s[0:1]
	s_xor_b64 s[0:1], exec, s[6:7]
; %bb.480:                              ;   in Loop: Header=BB375_299 Depth=1
	v_bfe_u32 v8, v6, 16, 1
	v_add3_u32 v8, v6, v8, s12
                                        ; implicit-def: $vgpr6
; %bb.481:                              ;   in Loop: Header=BB375_299 Depth=1
	s_andn2_saveexec_b64 s[6:7], s[0:1]
; %bb.482:                              ;   in Loop: Header=BB375_299 Depth=1
	v_or_b32_e32 v8, 0x10000, v6
	v_cmp_eq_u32_sdwa s[0:1], v6, v11 src0_sel:WORD_0 src1_sel:DWORD
	s_nop 1
	v_cndmask_b32_e64 v8, v8, v6, s[0:1]
; %bb.483:                              ;   in Loop: Header=BB375_299 Depth=1
	s_or_b64 exec, exec, s[6:7]
	v_bfe_u32 v6, v3, 8, 8
	v_cvt_f32_fp8_sdwa v6, v6 src0_sel:BYTE_0
	s_nop 0
	v_mul_f32_e32 v9, v37, v6
	v_and_b32_e32 v6, 0x7f800000, v9
	v_cmp_ne_u32_e64 s[0:1], s9, v6
                                        ; implicit-def: $vgpr6
	s_and_saveexec_b64 s[6:7], s[0:1]
	s_xor_b64 s[0:1], exec, s[6:7]
; %bb.484:                              ;   in Loop: Header=BB375_299 Depth=1
	v_bfe_u32 v6, v9, 16, 1
	v_add3_u32 v6, v9, v6, s12
                                        ; implicit-def: $vgpr9
; %bb.485:                              ;   in Loop: Header=BB375_299 Depth=1
	s_andn2_saveexec_b64 s[6:7], s[0:1]
; %bb.486:                              ;   in Loop: Header=BB375_299 Depth=1
	v_or_b32_e32 v6, 0x10000, v9
	v_cmp_eq_u32_sdwa s[0:1], v9, v11 src0_sel:WORD_0 src1_sel:DWORD
	s_nop 1
	v_cndmask_b32_e64 v6, v6, v9, s[0:1]
; %bb.487:                              ;   in Loop: Header=BB375_299 Depth=1
	s_or_b64 exec, exec, s[6:7]
	v_bfe_u32 v9, v3, 16, 8
	v_cvt_f32_fp8_sdwa v9, v9 src0_sel:BYTE_0
	s_nop 0
	v_mul_f32_e32 v9, v37, v9
	v_and_b32_e32 v16, 0x7f800000, v9
	v_cmp_ne_u32_e64 s[0:1], s9, v16
                                        ; implicit-def: $vgpr16
	s_and_saveexec_b64 s[6:7], s[0:1]
	s_xor_b64 s[0:1], exec, s[6:7]
; %bb.488:                              ;   in Loop: Header=BB375_299 Depth=1
	v_bfe_u32 v16, v9, 16, 1
	v_add3_u32 v16, v9, v16, s12
                                        ; implicit-def: $vgpr9
; %bb.489:                              ;   in Loop: Header=BB375_299 Depth=1
	s_andn2_saveexec_b64 s[6:7], s[0:1]
; %bb.490:                              ;   in Loop: Header=BB375_299 Depth=1
	v_or_b32_e32 v16, 0x10000, v9
	v_cmp_eq_u32_sdwa s[0:1], v9, v11 src0_sel:WORD_0 src1_sel:DWORD
	s_nop 1
	v_cndmask_b32_e64 v16, v16, v9, s[0:1]
; %bb.491:                              ;   in Loop: Header=BB375_299 Depth=1
	s_or_b64 exec, exec, s[6:7]
	v_lshrrev_b32_e32 v3, 24, v3
	v_cvt_f32_fp8_sdwa v3, v3 src0_sel:BYTE_0
                                        ; implicit-def: $vgpr22
	s_nop 0
	v_mul_f32_e32 v3, v37, v3
	v_and_b32_e32 v9, 0x7f800000, v3
	v_cmp_ne_u32_e64 s[0:1], s9, v9
	s_and_saveexec_b64 s[6:7], s[0:1]
	s_xor_b64 s[0:1], exec, s[6:7]
; %bb.492:                              ;   in Loop: Header=BB375_299 Depth=1
	v_bfe_u32 v9, v3, 16, 1
	v_add3_u32 v22, v3, v9, s12
                                        ; implicit-def: $vgpr3
; %bb.493:                              ;   in Loop: Header=BB375_299 Depth=1
	s_andn2_saveexec_b64 s[6:7], s[0:1]
; %bb.494:                              ;   in Loop: Header=BB375_299 Depth=1
	v_or_b32_e32 v9, 0x10000, v3
	v_cmp_eq_u32_sdwa s[0:1], v3, v11 src0_sel:WORD_0 src1_sel:DWORD
	s_nop 1
	v_cndmask_b32_e64 v22, v9, v3, s[0:1]
; %bb.495:                              ;   in Loop: Header=BB375_299 Depth=1
	s_or_b64 exec, exec, s[6:7]
	v_lshrrev_b32_e32 v6, 16, v6
	v_lshrrev_b32_e32 v8, 16, v8
	;; [unrolled: 1-line block ×8, first 2 shown]
	s_and_saveexec_b64 s[6:7], vcc
	s_cbranch_execz .LBB375_497
; %bb.496:                              ;   in Loop: Header=BB375_299 Depth=1
	v_accvgpr_read_b32 v16, a21
	v_cmp_lt_i32_e64 s[0:1], v16, v35
	v_accvgpr_read_b32 v16, a27
	s_nop 0
	v_cndmask_b32_e64 v4, 0, v4, s[0:1]
	v_cmp_lt_i32_e64 s[0:1], v16, v35
	v_accvgpr_read_b32 v16, a26
	s_nop 0
	v_cndmask_b32_e64 v5, 0, v5, s[0:1]
	;; [unrolled: 4-line block ×6, first 2 shown]
	v_cmp_lt_i32_e64 s[0:1], v16, v35
	s_nop 1
	v_cndmask_b32_e64 v3, 0, v3, s[0:1]
	v_cmp_lt_i32_e64 s[0:1], v10, v35
	s_nop 1
	v_cndmask_b32_e64 v2, 0, v2, s[0:1]
.LBB375_497:                            ;   in Loop: Header=BB375_299 Depth=1
	s_or_b64 exec, exec, s[6:7]
	v_lshlrev_b32_e32 v4, 16, v4
	v_mul_f32_e32 v4, v55, v4
	v_and_b32_e32 v16, 0x7f800000, v4
	v_cmp_ne_u32_e64 s[0:1], s9, v16
                                        ; implicit-def: $agpr36
	s_and_saveexec_b64 s[6:7], s[0:1]
	s_xor_b64 s[0:1], exec, s[6:7]
; %bb.498:                              ;   in Loop: Header=BB375_299 Depth=1
	v_bfe_u32 v16, v4, 16, 1
	v_add3_u32 v4, v4, v16, s12
	v_accvgpr_write_b32 a36, v4
                                        ; implicit-def: $vgpr4
; %bb.499:                              ;   in Loop: Header=BB375_299 Depth=1
	s_andn2_saveexec_b64 s[6:7], s[0:1]
; %bb.500:                              ;   in Loop: Header=BB375_299 Depth=1
	v_or_b32_e32 v16, 0x10000, v4
	v_cmp_eq_u32_sdwa s[0:1], v4, v11 src0_sel:WORD_0 src1_sel:DWORD
	s_nop 1
	v_cndmask_b32_e64 v4, v16, v4, s[0:1]
	v_accvgpr_write_b32 a36, v4
; %bb.501:                              ;   in Loop: Header=BB375_299 Depth=1
	s_or_b64 exec, exec, s[6:7]
	v_lshlrev_b32_e32 v4, 16, v5
	v_mul_f32_e32 v4, v40, v4
	v_and_b32_e32 v5, 0x7f800000, v4
	v_cmp_ne_u32_e64 s[0:1], s9, v5
                                        ; implicit-def: $agpr37
	s_and_saveexec_b64 s[6:7], s[0:1]
	s_xor_b64 s[0:1], exec, s[6:7]
; %bb.502:                              ;   in Loop: Header=BB375_299 Depth=1
	v_bfe_u32 v5, v4, 16, 1
	v_add3_u32 v4, v4, v5, s12
	v_accvgpr_write_b32 a37, v4
                                        ; implicit-def: $vgpr4
; %bb.503:                              ;   in Loop: Header=BB375_299 Depth=1
	s_andn2_saveexec_b64 s[6:7], s[0:1]
; %bb.504:                              ;   in Loop: Header=BB375_299 Depth=1
	v_or_b32_e32 v5, 0x10000, v4
	v_cmp_eq_u32_sdwa s[0:1], v4, v11 src0_sel:WORD_0 src1_sel:DWORD
	s_nop 1
	v_cndmask_b32_e64 v4, v5, v4, s[0:1]
	v_accvgpr_write_b32 a37, v4
; %bb.505:                              ;   in Loop: Header=BB375_299 Depth=1
	s_or_b64 exec, exec, s[6:7]
	v_lshlrev_b32_e32 v4, 16, v7
	v_mul_f32_e32 v4, v41, v4
	v_and_b32_e32 v5, 0x7f800000, v4
	v_cmp_ne_u32_e64 s[0:1], s9, v5
                                        ; implicit-def: $agpr38
	s_and_saveexec_b64 s[6:7], s[0:1]
	s_xor_b64 s[0:1], exec, s[6:7]
; %bb.506:                              ;   in Loop: Header=BB375_299 Depth=1
	v_bfe_u32 v5, v4, 16, 1
	v_add3_u32 v4, v4, v5, s12
	v_accvgpr_write_b32 a38, v4
                                        ; implicit-def: $vgpr4
; %bb.507:                              ;   in Loop: Header=BB375_299 Depth=1
	s_andn2_saveexec_b64 s[6:7], s[0:1]
; %bb.508:                              ;   in Loop: Header=BB375_299 Depth=1
	v_or_b32_e32 v5, 0x10000, v4
	v_cmp_eq_u32_sdwa s[0:1], v4, v11 src0_sel:WORD_0 src1_sel:DWORD
	s_nop 1
	v_cndmask_b32_e64 v4, v5, v4, s[0:1]
	v_accvgpr_write_b32 a38, v4
; %bb.509:                              ;   in Loop: Header=BB375_299 Depth=1
	s_or_b64 exec, exec, s[6:7]
	v_lshlrev_b32_e32 v4, 16, v9
	v_mul_f32_e32 v4, v42, v4
	v_and_b32_e32 v5, 0x7f800000, v4
	v_cmp_ne_u32_e64 s[0:1], s9, v5
                                        ; implicit-def: $agpr39
	s_and_saveexec_b64 s[6:7], s[0:1]
	s_xor_b64 s[0:1], exec, s[6:7]
; %bb.510:                              ;   in Loop: Header=BB375_299 Depth=1
	v_bfe_u32 v5, v4, 16, 1
	v_add3_u32 v4, v4, v5, s12
	v_accvgpr_write_b32 a39, v4
                                        ; implicit-def: $vgpr4
; %bb.511:                              ;   in Loop: Header=BB375_299 Depth=1
	s_andn2_saveexec_b64 s[6:7], s[0:1]
; %bb.512:                              ;   in Loop: Header=BB375_299 Depth=1
	v_or_b32_e32 v5, 0x10000, v4
	v_cmp_eq_u32_sdwa s[0:1], v4, v11 src0_sel:WORD_0 src1_sel:DWORD
	s_nop 1
	v_cndmask_b32_e64 v4, v5, v4, s[0:1]
	v_accvgpr_write_b32 a39, v4
; %bb.513:                              ;   in Loop: Header=BB375_299 Depth=1
	s_or_b64 exec, exec, s[6:7]
	v_lshlrev_b32_e32 v4, 16, v8
	v_mul_f32_e32 v4, v43, v4
	v_and_b32_e32 v5, 0x7f800000, v4
	v_cmp_ne_u32_e64 s[0:1], s9, v5
                                        ; implicit-def: $agpr40
	s_and_saveexec_b64 s[6:7], s[0:1]
	s_xor_b64 s[0:1], exec, s[6:7]
; %bb.514:                              ;   in Loop: Header=BB375_299 Depth=1
	v_bfe_u32 v5, v4, 16, 1
	v_add3_u32 v4, v4, v5, s12
	v_accvgpr_write_b32 a40, v4
                                        ; implicit-def: $vgpr4
; %bb.515:                              ;   in Loop: Header=BB375_299 Depth=1
	s_andn2_saveexec_b64 s[6:7], s[0:1]
; %bb.516:                              ;   in Loop: Header=BB375_299 Depth=1
	v_or_b32_e32 v5, 0x10000, v4
	v_cmp_eq_u32_sdwa s[0:1], v4, v11 src0_sel:WORD_0 src1_sel:DWORD
	s_nop 1
	v_cndmask_b32_e64 v4, v5, v4, s[0:1]
	v_accvgpr_write_b32 a40, v4
; %bb.517:                              ;   in Loop: Header=BB375_299 Depth=1
	s_or_b64 exec, exec, s[6:7]
	v_lshlrev_b32_e32 v4, 16, v6
	v_mul_f32_e32 v4, v44, v4
	v_and_b32_e32 v5, 0x7f800000, v4
	v_cmp_ne_u32_e64 s[0:1], s9, v5
                                        ; implicit-def: $agpr41
	s_and_saveexec_b64 s[6:7], s[0:1]
	s_xor_b64 s[0:1], exec, s[6:7]
; %bb.518:                              ;   in Loop: Header=BB375_299 Depth=1
	v_bfe_u32 v5, v4, 16, 1
	v_add3_u32 v4, v4, v5, s12
	v_accvgpr_write_b32 a41, v4
                                        ; implicit-def: $vgpr4
; %bb.519:                              ;   in Loop: Header=BB375_299 Depth=1
	s_andn2_saveexec_b64 s[6:7], s[0:1]
; %bb.520:                              ;   in Loop: Header=BB375_299 Depth=1
	v_or_b32_e32 v5, 0x10000, v4
	v_cmp_eq_u32_sdwa s[0:1], v4, v11 src0_sel:WORD_0 src1_sel:DWORD
	s_nop 1
	v_cndmask_b32_e64 v4, v5, v4, s[0:1]
	v_accvgpr_write_b32 a41, v4
; %bb.521:                              ;   in Loop: Header=BB375_299 Depth=1
	s_or_b64 exec, exec, s[6:7]
	v_lshlrev_b32_e32 v3, 16, v3
	v_mul_f32_e32 v3, v45, v3
	v_and_b32_e32 v4, 0x7f800000, v3
	v_cmp_ne_u32_e64 s[0:1], s9, v4
                                        ; implicit-def: $agpr42
	s_and_saveexec_b64 s[6:7], s[0:1]
	s_xor_b64 s[0:1], exec, s[6:7]
; %bb.522:                              ;   in Loop: Header=BB375_299 Depth=1
	v_bfe_u32 v4, v3, 16, 1
	v_add3_u32 v3, v3, v4, s12
	v_accvgpr_write_b32 a42, v3
                                        ; implicit-def: $vgpr3
; %bb.523:                              ;   in Loop: Header=BB375_299 Depth=1
	s_andn2_saveexec_b64 s[6:7], s[0:1]
; %bb.524:                              ;   in Loop: Header=BB375_299 Depth=1
	v_or_b32_e32 v4, 0x10000, v3
	v_cmp_eq_u32_sdwa s[0:1], v3, v11 src0_sel:WORD_0 src1_sel:DWORD
	s_nop 1
	v_cndmask_b32_e64 v3, v4, v3, s[0:1]
	v_accvgpr_write_b32 a42, v3
; %bb.525:                              ;   in Loop: Header=BB375_299 Depth=1
	s_or_b64 exec, exec, s[6:7]
	v_lshlrev_b32_e32 v2, 16, v2
	v_mul_f32_e32 v2, v46, v2
	v_and_b32_e32 v3, 0x7f800000, v2
	v_cmp_ne_u32_e64 s[0:1], s9, v3
                                        ; implicit-def: $agpr43
	s_and_saveexec_b64 s[6:7], s[0:1]
	s_xor_b64 s[0:1], exec, s[6:7]
; %bb.526:                              ;   in Loop: Header=BB375_299 Depth=1
	v_bfe_u32 v3, v2, 16, 1
	v_add3_u32 v2, v2, v3, s12
	v_accvgpr_write_b32 a43, v2
                                        ; implicit-def: $vgpr2
; %bb.527:                              ;   in Loop: Header=BB375_299 Depth=1
	s_andn2_saveexec_b64 s[6:7], s[0:1]
; %bb.528:                              ;   in Loop: Header=BB375_299 Depth=1
	v_or_b32_e32 v3, 0x10000, v2
	v_cmp_eq_u32_sdwa s[0:1], v2, v11 src0_sel:WORD_0 src1_sel:DWORD
	s_nop 1
	v_cndmask_b32_e64 v2, v3, v2, s[0:1]
	v_accvgpr_write_b32 a43, v2
; %bb.529:                              ;   in Loop: Header=BB375_299 Depth=1
	s_or_b64 exec, exec, s[6:7]
	flat_load_dwordx2 v[2:3], v[0:1] offset:1536
                                        ; implicit-def: $vgpr6
	s_waitcnt vmcnt(0) lgkmcnt(0)
	v_and_b32_e32 v4, 0xff, v2
	v_cvt_f32_fp8_sdwa v4, v4 src0_sel:BYTE_0
	s_nop 0
	v_mul_f32_e32 v4, v37, v4
	v_and_b32_e32 v5, 0x7f800000, v4
	v_cmp_ne_u32_e64 s[0:1], s9, v5
	s_and_saveexec_b64 s[6:7], s[0:1]
	s_xor_b64 s[0:1], exec, s[6:7]
; %bb.530:                              ;   in Loop: Header=BB375_299 Depth=1
	v_bfe_u32 v5, v4, 16, 1
	v_add3_u32 v6, v4, v5, s12
                                        ; implicit-def: $vgpr4
; %bb.531:                              ;   in Loop: Header=BB375_299 Depth=1
	s_andn2_saveexec_b64 s[6:7], s[0:1]
; %bb.532:                              ;   in Loop: Header=BB375_299 Depth=1
	v_or_b32_e32 v5, 0x10000, v4
	v_cmp_eq_u32_sdwa s[0:1], v4, v11 src0_sel:WORD_0 src1_sel:DWORD
	s_nop 1
	v_cndmask_b32_e64 v6, v5, v4, s[0:1]
; %bb.533:                              ;   in Loop: Header=BB375_299 Depth=1
	s_or_b64 exec, exec, s[6:7]
	v_bfe_u32 v4, v2, 8, 8
	v_cvt_f32_fp8_sdwa v4, v4 src0_sel:BYTE_0
                                        ; implicit-def: $vgpr7
	s_nop 0
	v_mul_f32_e32 v4, v37, v4
	v_and_b32_e32 v5, 0x7f800000, v4
	v_cmp_ne_u32_e64 s[0:1], s9, v5
	s_and_saveexec_b64 s[6:7], s[0:1]
	s_xor_b64 s[0:1], exec, s[6:7]
; %bb.534:                              ;   in Loop: Header=BB375_299 Depth=1
	v_bfe_u32 v5, v4, 16, 1
	v_add3_u32 v7, v4, v5, s12
                                        ; implicit-def: $vgpr4
; %bb.535:                              ;   in Loop: Header=BB375_299 Depth=1
	s_andn2_saveexec_b64 s[6:7], s[0:1]
; %bb.536:                              ;   in Loop: Header=BB375_299 Depth=1
	v_or_b32_e32 v5, 0x10000, v4
	v_cmp_eq_u32_sdwa s[0:1], v4, v11 src0_sel:WORD_0 src1_sel:DWORD
	s_nop 1
	v_cndmask_b32_e64 v7, v5, v4, s[0:1]
; %bb.537:                              ;   in Loop: Header=BB375_299 Depth=1
	s_or_b64 exec, exec, s[6:7]
	v_bfe_u32 v4, v2, 16, 8
	v_cvt_f32_fp8_sdwa v4, v4 src0_sel:BYTE_0
	s_nop 0
	v_mul_f32_e32 v4, v37, v4
	v_and_b32_e32 v5, 0x7f800000, v4
	v_cmp_ne_u32_e64 s[0:1], s9, v5
                                        ; implicit-def: $vgpr5
	s_and_saveexec_b64 s[6:7], s[0:1]
	s_xor_b64 s[0:1], exec, s[6:7]
; %bb.538:                              ;   in Loop: Header=BB375_299 Depth=1
	v_bfe_u32 v5, v4, 16, 1
	v_add3_u32 v5, v4, v5, s12
                                        ; implicit-def: $vgpr4
; %bb.539:                              ;   in Loop: Header=BB375_299 Depth=1
	s_andn2_saveexec_b64 s[6:7], s[0:1]
; %bb.540:                              ;   in Loop: Header=BB375_299 Depth=1
	v_or_b32_e32 v5, 0x10000, v4
	v_cmp_eq_u32_sdwa s[0:1], v4, v11 src0_sel:WORD_0 src1_sel:DWORD
	s_nop 1
	v_cndmask_b32_e64 v5, v5, v4, s[0:1]
; %bb.541:                              ;   in Loop: Header=BB375_299 Depth=1
	s_or_b64 exec, exec, s[6:7]
	v_lshrrev_b32_e32 v2, 24, v2
	v_cvt_f32_fp8_sdwa v2, v2 src0_sel:BYTE_0
	s_nop 0
	v_mul_f32_e32 v4, v37, v2
	v_and_b32_e32 v2, 0x7f800000, v4
	v_cmp_ne_u32_e64 s[0:1], s9, v2
                                        ; implicit-def: $vgpr2
	s_and_saveexec_b64 s[6:7], s[0:1]
	s_xor_b64 s[0:1], exec, s[6:7]
; %bb.542:                              ;   in Loop: Header=BB375_299 Depth=1
	v_bfe_u32 v2, v4, 16, 1
	v_add3_u32 v2, v4, v2, s12
                                        ; implicit-def: $vgpr4
; %bb.543:                              ;   in Loop: Header=BB375_299 Depth=1
	s_andn2_saveexec_b64 s[6:7], s[0:1]
; %bb.544:                              ;   in Loop: Header=BB375_299 Depth=1
	v_or_b32_e32 v2, 0x10000, v4
	v_cmp_eq_u32_sdwa s[0:1], v4, v11 src0_sel:WORD_0 src1_sel:DWORD
	s_nop 1
	v_cndmask_b32_e64 v2, v2, v4, s[0:1]
; %bb.545:                              ;   in Loop: Header=BB375_299 Depth=1
	s_or_b64 exec, exec, s[6:7]
	v_and_b32_e32 v4, 0xff, v3
	v_cvt_f32_fp8_sdwa v4, v4 src0_sel:BYTE_0
	s_nop 0
	v_mul_f32_e32 v8, v37, v4
	v_and_b32_e32 v4, 0x7f800000, v8
	v_cmp_ne_u32_e64 s[0:1], s9, v4
                                        ; implicit-def: $vgpr4
	s_and_saveexec_b64 s[6:7], s[0:1]
	s_xor_b64 s[0:1], exec, s[6:7]
; %bb.546:                              ;   in Loop: Header=BB375_299 Depth=1
	v_bfe_u32 v4, v8, 16, 1
	v_add3_u32 v4, v8, v4, s12
                                        ; implicit-def: $vgpr8
; %bb.547:                              ;   in Loop: Header=BB375_299 Depth=1
	s_andn2_saveexec_b64 s[6:7], s[0:1]
; %bb.548:                              ;   in Loop: Header=BB375_299 Depth=1
	v_or_b32_e32 v4, 0x10000, v8
	v_cmp_eq_u32_sdwa s[0:1], v8, v11 src0_sel:WORD_0 src1_sel:DWORD
	s_nop 1
	v_cndmask_b32_e64 v4, v4, v8, s[0:1]
; %bb.549:                              ;   in Loop: Header=BB375_299 Depth=1
	s_or_b64 exec, exec, s[6:7]
	v_bfe_u32 v8, v3, 8, 8
	v_cvt_f32_fp8_sdwa v8, v8 src0_sel:BYTE_0
	s_nop 0
	v_mul_f32_e32 v9, v37, v8
	v_and_b32_e32 v8, 0x7f800000, v9
	v_cmp_ne_u32_e64 s[0:1], s9, v8
                                        ; implicit-def: $vgpr8
	s_and_saveexec_b64 s[6:7], s[0:1]
	s_xor_b64 s[0:1], exec, s[6:7]
; %bb.550:                              ;   in Loop: Header=BB375_299 Depth=1
	v_bfe_u32 v8, v9, 16, 1
	v_add3_u32 v8, v9, v8, s12
                                        ; implicit-def: $vgpr9
; %bb.551:                              ;   in Loop: Header=BB375_299 Depth=1
	s_andn2_saveexec_b64 s[6:7], s[0:1]
; %bb.552:                              ;   in Loop: Header=BB375_299 Depth=1
	v_or_b32_e32 v8, 0x10000, v9
	v_cmp_eq_u32_sdwa s[0:1], v9, v11 src0_sel:WORD_0 src1_sel:DWORD
	s_nop 1
	v_cndmask_b32_e64 v8, v8, v9, s[0:1]
; %bb.553:                              ;   in Loop: Header=BB375_299 Depth=1
	s_or_b64 exec, exec, s[6:7]
	v_bfe_u32 v9, v3, 16, 8
	v_cvt_f32_fp8_sdwa v9, v9 src0_sel:BYTE_0
	s_nop 0
	v_mul_f32_e32 v9, v37, v9
	v_and_b32_e32 v16, 0x7f800000, v9
	v_cmp_ne_u32_e64 s[0:1], s9, v16
                                        ; implicit-def: $vgpr16
	s_and_saveexec_b64 s[6:7], s[0:1]
	s_xor_b64 s[0:1], exec, s[6:7]
; %bb.554:                              ;   in Loop: Header=BB375_299 Depth=1
	v_bfe_u32 v16, v9, 16, 1
	v_add3_u32 v16, v9, v16, s12
                                        ; implicit-def: $vgpr9
; %bb.555:                              ;   in Loop: Header=BB375_299 Depth=1
	s_andn2_saveexec_b64 s[6:7], s[0:1]
; %bb.556:                              ;   in Loop: Header=BB375_299 Depth=1
	v_or_b32_e32 v16, 0x10000, v9
	v_cmp_eq_u32_sdwa s[0:1], v9, v11 src0_sel:WORD_0 src1_sel:DWORD
	s_nop 1
	v_cndmask_b32_e64 v16, v16, v9, s[0:1]
; %bb.557:                              ;   in Loop: Header=BB375_299 Depth=1
	s_or_b64 exec, exec, s[6:7]
	v_lshrrev_b32_e32 v3, 24, v3
	v_cvt_f32_fp8_sdwa v3, v3 src0_sel:BYTE_0
                                        ; implicit-def: $vgpr22
	s_nop 0
	v_mul_f32_e32 v3, v37, v3
	v_and_b32_e32 v9, 0x7f800000, v3
	v_cmp_ne_u32_e64 s[0:1], s9, v9
	s_and_saveexec_b64 s[6:7], s[0:1]
	s_xor_b64 s[0:1], exec, s[6:7]
; %bb.558:                              ;   in Loop: Header=BB375_299 Depth=1
	v_bfe_u32 v9, v3, 16, 1
	v_add3_u32 v22, v3, v9, s12
                                        ; implicit-def: $vgpr3
; %bb.559:                              ;   in Loop: Header=BB375_299 Depth=1
	s_andn2_saveexec_b64 s[6:7], s[0:1]
; %bb.560:                              ;   in Loop: Header=BB375_299 Depth=1
	v_or_b32_e32 v9, 0x10000, v3
	v_cmp_eq_u32_sdwa s[0:1], v3, v11 src0_sel:WORD_0 src1_sel:DWORD
	s_nop 1
	v_cndmask_b32_e64 v22, v9, v3, s[0:1]
; %bb.561:                              ;   in Loop: Header=BB375_299 Depth=1
	s_or_b64 exec, exec, s[6:7]
	v_lshrrev_b32_e32 v8, 16, v8
	v_lshrrev_b32_e32 v9, 16, v4
	;; [unrolled: 1-line block ×8, first 2 shown]
	s_and_saveexec_b64 s[6:7], vcc
	s_cbranch_execz .LBB375_563
; %bb.562:                              ;   in Loop: Header=BB375_299 Depth=1
	v_accvgpr_read_b32 v16, a21
	v_cmp_lt_i32_e64 s[0:1], v16, v35
	v_accvgpr_read_b32 v16, a27
	s_nop 0
	v_cndmask_b32_e64 v6, 0, v6, s[0:1]
	v_cmp_lt_i32_e64 s[0:1], v16, v35
	v_accvgpr_read_b32 v16, a26
	s_nop 0
	v_cndmask_b32_e64 v7, 0, v7, s[0:1]
	;; [unrolled: 4-line block ×6, first 2 shown]
	v_cmp_lt_i32_e64 s[0:1], v16, v35
	s_nop 1
	v_cndmask_b32_e64 v3, 0, v3, s[0:1]
	v_cmp_lt_i32_e64 s[0:1], v10, v35
	s_nop 1
	v_cndmask_b32_e64 v2, 0, v2, s[0:1]
.LBB375_563:                            ;   in Loop: Header=BB375_299 Depth=1
	s_or_b64 exec, exec, s[6:7]
	v_lshlrev_b32_e32 v6, 16, v6
	v_mul_f32_e32 v6, v55, v6
	v_and_b32_e32 v16, 0x7f800000, v6
	v_cmp_ne_u32_e64 s[0:1], s9, v16
                                        ; implicit-def: $agpr44
	s_and_saveexec_b64 s[6:7], s[0:1]
	s_xor_b64 s[0:1], exec, s[6:7]
; %bb.564:                              ;   in Loop: Header=BB375_299 Depth=1
	v_bfe_u32 v16, v6, 16, 1
	v_add3_u32 v6, v6, v16, s12
	v_accvgpr_write_b32 a44, v6
                                        ; implicit-def: $vgpr6
; %bb.565:                              ;   in Loop: Header=BB375_299 Depth=1
	s_andn2_saveexec_b64 s[6:7], s[0:1]
; %bb.566:                              ;   in Loop: Header=BB375_299 Depth=1
	v_or_b32_e32 v16, 0x10000, v6
	v_cmp_eq_u32_sdwa s[0:1], v6, v11 src0_sel:WORD_0 src1_sel:DWORD
	s_nop 1
	v_cndmask_b32_e64 v6, v16, v6, s[0:1]
	v_accvgpr_write_b32 a44, v6
; %bb.567:                              ;   in Loop: Header=BB375_299 Depth=1
	s_or_b64 exec, exec, s[6:7]
	v_lshlrev_b32_e32 v6, 16, v7
	v_mul_f32_e32 v6, v40, v6
	v_and_b32_e32 v7, 0x7f800000, v6
	v_cmp_ne_u32_e64 s[0:1], s9, v7
                                        ; implicit-def: $agpr45
	s_and_saveexec_b64 s[6:7], s[0:1]
	s_xor_b64 s[0:1], exec, s[6:7]
; %bb.568:                              ;   in Loop: Header=BB375_299 Depth=1
	v_bfe_u32 v7, v6, 16, 1
	v_add3_u32 v6, v6, v7, s12
	v_accvgpr_write_b32 a45, v6
                                        ; implicit-def: $vgpr6
; %bb.569:                              ;   in Loop: Header=BB375_299 Depth=1
	s_andn2_saveexec_b64 s[6:7], s[0:1]
; %bb.570:                              ;   in Loop: Header=BB375_299 Depth=1
	v_or_b32_e32 v7, 0x10000, v6
	v_cmp_eq_u32_sdwa s[0:1], v6, v11 src0_sel:WORD_0 src1_sel:DWORD
	s_nop 1
	v_cndmask_b32_e64 v6, v7, v6, s[0:1]
	v_accvgpr_write_b32 a45, v6
; %bb.571:                              ;   in Loop: Header=BB375_299 Depth=1
	s_or_b64 exec, exec, s[6:7]
	v_lshlrev_b32_e32 v5, 16, v5
	v_mul_f32_e32 v5, v41, v5
	v_and_b32_e32 v6, 0x7f800000, v5
	v_cmp_ne_u32_e64 s[0:1], s9, v6
                                        ; implicit-def: $vgpr26
	s_and_saveexec_b64 s[6:7], s[0:1]
	s_xor_b64 s[0:1], exec, s[6:7]
; %bb.572:                              ;   in Loop: Header=BB375_299 Depth=1
	v_bfe_u32 v6, v5, 16, 1
	v_add3_u32 v26, v5, v6, s12
                                        ; implicit-def: $vgpr5
; %bb.573:                              ;   in Loop: Header=BB375_299 Depth=1
	s_andn2_saveexec_b64 s[6:7], s[0:1]
; %bb.574:                              ;   in Loop: Header=BB375_299 Depth=1
	v_or_b32_e32 v6, 0x10000, v5
	v_cmp_eq_u32_sdwa s[0:1], v5, v11 src0_sel:WORD_0 src1_sel:DWORD
	s_nop 1
	v_cndmask_b32_e64 v26, v6, v5, s[0:1]
; %bb.575:                              ;   in Loop: Header=BB375_299 Depth=1
	s_or_b64 exec, exec, s[6:7]
	v_lshlrev_b32_e32 v4, 16, v4
	v_mul_f32_e32 v4, v42, v4
	v_and_b32_e32 v5, 0x7f800000, v4
	v_cmp_ne_u32_e64 s[0:1], s9, v5
                                        ; implicit-def: $vgpr27
	s_and_saveexec_b64 s[6:7], s[0:1]
	s_xor_b64 s[0:1], exec, s[6:7]
; %bb.576:                              ;   in Loop: Header=BB375_299 Depth=1
	v_bfe_u32 v5, v4, 16, 1
	v_add3_u32 v27, v4, v5, s12
                                        ; implicit-def: $vgpr4
; %bb.577:                              ;   in Loop: Header=BB375_299 Depth=1
	s_andn2_saveexec_b64 s[6:7], s[0:1]
; %bb.578:                              ;   in Loop: Header=BB375_299 Depth=1
	v_or_b32_e32 v5, 0x10000, v4
	v_cmp_eq_u32_sdwa s[0:1], v4, v11 src0_sel:WORD_0 src1_sel:DWORD
	s_nop 1
	v_cndmask_b32_e64 v27, v5, v4, s[0:1]
; %bb.579:                              ;   in Loop: Header=BB375_299 Depth=1
	s_or_b64 exec, exec, s[6:7]
	v_lshlrev_b32_e32 v4, 16, v9
	v_mul_f32_e32 v4, v43, v4
	v_and_b32_e32 v5, 0x7f800000, v4
	v_cmp_ne_u32_e64 s[0:1], s9, v5
                                        ; implicit-def: $vgpr6
	s_and_saveexec_b64 s[6:7], s[0:1]
	s_xor_b64 s[0:1], exec, s[6:7]
; %bb.580:                              ;   in Loop: Header=BB375_299 Depth=1
	v_bfe_u32 v5, v4, 16, 1
	v_add3_u32 v6, v4, v5, s12
                                        ; implicit-def: $vgpr4
; %bb.581:                              ;   in Loop: Header=BB375_299 Depth=1
	s_andn2_saveexec_b64 s[6:7], s[0:1]
; %bb.582:                              ;   in Loop: Header=BB375_299 Depth=1
	v_or_b32_e32 v5, 0x10000, v4
	v_cmp_eq_u32_sdwa s[0:1], v4, v11 src0_sel:WORD_0 src1_sel:DWORD
	s_nop 1
	v_cndmask_b32_e64 v6, v5, v4, s[0:1]
; %bb.583:                              ;   in Loop: Header=BB375_299 Depth=1
	s_or_b64 exec, exec, s[6:7]
	v_lshlrev_b32_e32 v4, 16, v8
	v_mul_f32_e32 v4, v44, v4
	v_and_b32_e32 v5, 0x7f800000, v4
	v_cmp_ne_u32_e64 s[0:1], s9, v5
                                        ; implicit-def: $vgpr22
	s_and_saveexec_b64 s[6:7], s[0:1]
	s_xor_b64 s[0:1], exec, s[6:7]
; %bb.584:                              ;   in Loop: Header=BB375_299 Depth=1
	v_bfe_u32 v5, v4, 16, 1
	v_add3_u32 v22, v4, v5, s12
                                        ; implicit-def: $vgpr4
; %bb.585:                              ;   in Loop: Header=BB375_299 Depth=1
	s_andn2_saveexec_b64 s[6:7], s[0:1]
; %bb.586:                              ;   in Loop: Header=BB375_299 Depth=1
	v_or_b32_e32 v5, 0x10000, v4
	v_cmp_eq_u32_sdwa s[0:1], v4, v11 src0_sel:WORD_0 src1_sel:DWORD
	s_nop 1
	v_cndmask_b32_e64 v22, v5, v4, s[0:1]
; %bb.587:                              ;   in Loop: Header=BB375_299 Depth=1
	s_or_b64 exec, exec, s[6:7]
	v_lshlrev_b32_e32 v3, 16, v3
	v_mul_f32_e32 v3, v45, v3
	v_and_b32_e32 v4, 0x7f800000, v3
	v_cmp_ne_u32_e64 s[0:1], s9, v4
                                        ; implicit-def: $vgpr7
	s_and_saveexec_b64 s[6:7], s[0:1]
	s_xor_b64 s[0:1], exec, s[6:7]
; %bb.588:                              ;   in Loop: Header=BB375_299 Depth=1
	v_bfe_u32 v4, v3, 16, 1
	v_add3_u32 v7, v3, v4, s12
                                        ; implicit-def: $vgpr3
; %bb.589:                              ;   in Loop: Header=BB375_299 Depth=1
	s_andn2_saveexec_b64 s[6:7], s[0:1]
; %bb.590:                              ;   in Loop: Header=BB375_299 Depth=1
	v_or_b32_e32 v4, 0x10000, v3
	v_cmp_eq_u32_sdwa s[0:1], v3, v11 src0_sel:WORD_0 src1_sel:DWORD
	s_nop 1
	v_cndmask_b32_e64 v7, v4, v3, s[0:1]
; %bb.591:                              ;   in Loop: Header=BB375_299 Depth=1
	s_or_b64 exec, exec, s[6:7]
	v_lshlrev_b32_e32 v2, 16, v2
	v_mul_f32_e32 v2, v46, v2
	v_and_b32_e32 v3, 0x7f800000, v2
	v_cmp_ne_u32_e64 s[0:1], s9, v3
                                        ; implicit-def: $vgpr8
	s_and_saveexec_b64 s[6:7], s[0:1]
	s_xor_b64 s[0:1], exec, s[6:7]
; %bb.592:                              ;   in Loop: Header=BB375_299 Depth=1
	v_bfe_u32 v3, v2, 16, 1
	v_add3_u32 v8, v2, v3, s12
                                        ; implicit-def: $vgpr2
; %bb.593:                              ;   in Loop: Header=BB375_299 Depth=1
	s_andn2_saveexec_b64 s[6:7], s[0:1]
; %bb.594:                              ;   in Loop: Header=BB375_299 Depth=1
	v_or_b32_e32 v3, 0x10000, v2
	v_cmp_eq_u32_sdwa s[0:1], v2, v11 src0_sel:WORD_0 src1_sel:DWORD
	s_nop 1
	v_cndmask_b32_e64 v8, v3, v2, s[0:1]
; %bb.595:                              ;   in Loop: Header=BB375_299 Depth=1
	s_or_b64 exec, exec, s[6:7]
	flat_load_dwordx2 v[2:3], v[0:1] offset:2048
                                        ; implicit-def: $vgpr9
	s_waitcnt vmcnt(0) lgkmcnt(0)
	v_and_b32_e32 v4, 0xff, v2
	v_cvt_f32_fp8_sdwa v4, v4 src0_sel:BYTE_0
	s_nop 0
	v_mul_f32_e32 v4, v37, v4
	v_and_b32_e32 v5, 0x7f800000, v4
	v_cmp_ne_u32_e64 s[0:1], s9, v5
	s_and_saveexec_b64 s[6:7], s[0:1]
	s_xor_b64 s[0:1], exec, s[6:7]
; %bb.596:                              ;   in Loop: Header=BB375_299 Depth=1
	v_bfe_u32 v5, v4, 16, 1
	v_add3_u32 v9, v4, v5, s12
                                        ; implicit-def: $vgpr4
; %bb.597:                              ;   in Loop: Header=BB375_299 Depth=1
	s_andn2_saveexec_b64 s[6:7], s[0:1]
; %bb.598:                              ;   in Loop: Header=BB375_299 Depth=1
	v_or_b32_e32 v5, 0x10000, v4
	v_cmp_eq_u32_sdwa s[0:1], v4, v11 src0_sel:WORD_0 src1_sel:DWORD
	s_nop 1
	v_cndmask_b32_e64 v9, v5, v4, s[0:1]
; %bb.599:                              ;   in Loop: Header=BB375_299 Depth=1
	s_or_b64 exec, exec, s[6:7]
	v_bfe_u32 v4, v2, 8, 8
	v_cvt_f32_fp8_sdwa v4, v4 src0_sel:BYTE_0
                                        ; implicit-def: $vgpr16
	s_nop 0
	v_mul_f32_e32 v4, v37, v4
	v_and_b32_e32 v5, 0x7f800000, v4
	v_cmp_ne_u32_e64 s[0:1], s9, v5
	s_and_saveexec_b64 s[6:7], s[0:1]
	s_xor_b64 s[0:1], exec, s[6:7]
; %bb.600:                              ;   in Loop: Header=BB375_299 Depth=1
	v_bfe_u32 v5, v4, 16, 1
	v_add3_u32 v16, v4, v5, s12
                                        ; implicit-def: $vgpr4
; %bb.601:                              ;   in Loop: Header=BB375_299 Depth=1
	s_andn2_saveexec_b64 s[6:7], s[0:1]
; %bb.602:                              ;   in Loop: Header=BB375_299 Depth=1
	v_or_b32_e32 v5, 0x10000, v4
	v_cmp_eq_u32_sdwa s[0:1], v4, v11 src0_sel:WORD_0 src1_sel:DWORD
	s_nop 1
	v_cndmask_b32_e64 v16, v5, v4, s[0:1]
; %bb.603:                              ;   in Loop: Header=BB375_299 Depth=1
	s_or_b64 exec, exec, s[6:7]
	v_bfe_u32 v4, v2, 16, 8
	v_cvt_f32_fp8_sdwa v4, v4 src0_sel:BYTE_0
	s_nop 0
	v_mul_f32_e32 v4, v37, v4
	v_and_b32_e32 v5, 0x7f800000, v4
	v_cmp_ne_u32_e64 s[0:1], s9, v5
                                        ; implicit-def: $vgpr5
	s_and_saveexec_b64 s[6:7], s[0:1]
	s_xor_b64 s[0:1], exec, s[6:7]
; %bb.604:                              ;   in Loop: Header=BB375_299 Depth=1
	v_bfe_u32 v5, v4, 16, 1
	v_add3_u32 v5, v4, v5, s12
                                        ; implicit-def: $vgpr4
; %bb.605:                              ;   in Loop: Header=BB375_299 Depth=1
	s_andn2_saveexec_b64 s[6:7], s[0:1]
; %bb.606:                              ;   in Loop: Header=BB375_299 Depth=1
	v_or_b32_e32 v5, 0x10000, v4
	v_cmp_eq_u32_sdwa s[0:1], v4, v11 src0_sel:WORD_0 src1_sel:DWORD
	s_nop 1
	v_cndmask_b32_e64 v5, v5, v4, s[0:1]
; %bb.607:                              ;   in Loop: Header=BB375_299 Depth=1
	s_or_b64 exec, exec, s[6:7]
	v_lshrrev_b32_e32 v2, 24, v2
	v_cvt_f32_fp8_sdwa v2, v2 src0_sel:BYTE_0
	s_nop 0
	v_mul_f32_e32 v4, v37, v2
	v_and_b32_e32 v2, 0x7f800000, v4
	v_cmp_ne_u32_e64 s[0:1], s9, v2
                                        ; implicit-def: $vgpr2
	s_and_saveexec_b64 s[6:7], s[0:1]
	s_xor_b64 s[0:1], exec, s[6:7]
; %bb.608:                              ;   in Loop: Header=BB375_299 Depth=1
	v_bfe_u32 v2, v4, 16, 1
	v_add3_u32 v2, v4, v2, s12
                                        ; implicit-def: $vgpr4
; %bb.609:                              ;   in Loop: Header=BB375_299 Depth=1
	s_andn2_saveexec_b64 s[6:7], s[0:1]
; %bb.610:                              ;   in Loop: Header=BB375_299 Depth=1
	v_or_b32_e32 v2, 0x10000, v4
	v_cmp_eq_u32_sdwa s[0:1], v4, v11 src0_sel:WORD_0 src1_sel:DWORD
	s_nop 1
	v_cndmask_b32_e64 v2, v2, v4, s[0:1]
; %bb.611:                              ;   in Loop: Header=BB375_299 Depth=1
	s_or_b64 exec, exec, s[6:7]
	v_and_b32_e32 v4, 0xff, v3
	v_cvt_f32_fp8_sdwa v4, v4 src0_sel:BYTE_0
	s_nop 0
	v_mul_f32_e32 v23, v37, v4
	v_and_b32_e32 v4, 0x7f800000, v23
	v_cmp_ne_u32_e64 s[0:1], s9, v4
                                        ; implicit-def: $vgpr4
	s_and_saveexec_b64 s[6:7], s[0:1]
	s_xor_b64 s[0:1], exec, s[6:7]
; %bb.612:                              ;   in Loop: Header=BB375_299 Depth=1
	v_bfe_u32 v4, v23, 16, 1
	v_add3_u32 v4, v23, v4, s12
                                        ; implicit-def: $vgpr23
; %bb.613:                              ;   in Loop: Header=BB375_299 Depth=1
	s_andn2_saveexec_b64 s[6:7], s[0:1]
; %bb.614:                              ;   in Loop: Header=BB375_299 Depth=1
	v_or_b32_e32 v4, 0x10000, v23
	v_cmp_eq_u32_sdwa s[0:1], v23, v11 src0_sel:WORD_0 src1_sel:DWORD
	s_nop 1
	v_cndmask_b32_e64 v4, v4, v23, s[0:1]
; %bb.615:                              ;   in Loop: Header=BB375_299 Depth=1
	s_or_b64 exec, exec, s[6:7]
	v_bfe_u32 v23, v3, 8, 8
	v_cvt_f32_fp8_sdwa v23, v23 src0_sel:BYTE_0
	s_nop 0
	v_mul_f32_e32 v28, v37, v23
	v_and_b32_e32 v23, 0x7f800000, v28
	v_cmp_ne_u32_e64 s[0:1], s9, v23
                                        ; implicit-def: $vgpr23
	s_and_saveexec_b64 s[6:7], s[0:1]
	s_xor_b64 s[0:1], exec, s[6:7]
; %bb.616:                              ;   in Loop: Header=BB375_299 Depth=1
	v_bfe_u32 v23, v28, 16, 1
	v_add3_u32 v23, v28, v23, s12
                                        ; implicit-def: $vgpr28
; %bb.617:                              ;   in Loop: Header=BB375_299 Depth=1
	s_andn2_saveexec_b64 s[6:7], s[0:1]
; %bb.618:                              ;   in Loop: Header=BB375_299 Depth=1
	v_or_b32_e32 v23, 0x10000, v28
	v_cmp_eq_u32_sdwa s[0:1], v28, v11 src0_sel:WORD_0 src1_sel:DWORD
	s_nop 1
	v_cndmask_b32_e64 v23, v23, v28, s[0:1]
; %bb.619:                              ;   in Loop: Header=BB375_299 Depth=1
	s_or_b64 exec, exec, s[6:7]
	v_bfe_u32 v28, v3, 16, 8
	v_cvt_f32_fp8_sdwa v28, v28 src0_sel:BYTE_0
	s_nop 0
	v_mul_f32_e32 v29, v37, v28
	v_and_b32_e32 v28, 0x7f800000, v29
	v_cmp_ne_u32_e64 s[0:1], s9, v28
                                        ; implicit-def: $vgpr28
	s_and_saveexec_b64 s[6:7], s[0:1]
	s_xor_b64 s[0:1], exec, s[6:7]
; %bb.620:                              ;   in Loop: Header=BB375_299 Depth=1
	v_bfe_u32 v28, v29, 16, 1
	v_add3_u32 v28, v29, v28, s12
                                        ; implicit-def: $vgpr29
; %bb.621:                              ;   in Loop: Header=BB375_299 Depth=1
	s_andn2_saveexec_b64 s[6:7], s[0:1]
; %bb.622:                              ;   in Loop: Header=BB375_299 Depth=1
	v_or_b32_e32 v28, 0x10000, v29
	v_cmp_eq_u32_sdwa s[0:1], v29, v11 src0_sel:WORD_0 src1_sel:DWORD
	s_nop 1
	v_cndmask_b32_e64 v28, v28, v29, s[0:1]
; %bb.623:                              ;   in Loop: Header=BB375_299 Depth=1
	s_or_b64 exec, exec, s[6:7]
	v_lshrrev_b32_e32 v3, 24, v3
	v_cvt_f32_fp8_sdwa v3, v3 src0_sel:BYTE_0
                                        ; implicit-def: $vgpr30
	s_nop 0
	v_mul_f32_e32 v3, v37, v3
	v_and_b32_e32 v29, 0x7f800000, v3
	v_cmp_ne_u32_e64 s[0:1], s9, v29
	s_and_saveexec_b64 s[6:7], s[0:1]
	s_xor_b64 s[0:1], exec, s[6:7]
; %bb.624:                              ;   in Loop: Header=BB375_299 Depth=1
	v_bfe_u32 v29, v3, 16, 1
	v_add3_u32 v30, v3, v29, s12
                                        ; implicit-def: $vgpr3
; %bb.625:                              ;   in Loop: Header=BB375_299 Depth=1
	s_andn2_saveexec_b64 s[6:7], s[0:1]
; %bb.626:                              ;   in Loop: Header=BB375_299 Depth=1
	v_or_b32_e32 v29, 0x10000, v3
	v_cmp_eq_u32_sdwa s[0:1], v3, v11 src0_sel:WORD_0 src1_sel:DWORD
	s_nop 1
	v_cndmask_b32_e64 v30, v29, v3, s[0:1]
; %bb.627:                              ;   in Loop: Header=BB375_299 Depth=1
	s_or_b64 exec, exec, s[6:7]
	v_lshrrev_b32_e32 v23, 16, v23
	v_lshrrev_b32_e32 v34, 16, v4
	;; [unrolled: 1-line block ×8, first 2 shown]
	s_and_saveexec_b64 s[6:7], vcc
	s_cbranch_execz .LBB375_629
; %bb.628:                              ;   in Loop: Header=BB375_299 Depth=1
	v_accvgpr_read_b32 v28, a21
	v_cmp_lt_i32_e64 s[0:1], v28, v35
	v_accvgpr_read_b32 v28, a27
	s_nop 0
	v_cndmask_b32_e64 v9, 0, v9, s[0:1]
	v_cmp_lt_i32_e64 s[0:1], v28, v35
	v_accvgpr_read_b32 v28, a26
	s_nop 0
	v_cndmask_b32_e64 v16, 0, v16, s[0:1]
	;; [unrolled: 4-line block ×6, first 2 shown]
	v_cmp_lt_i32_e64 s[0:1], v28, v35
	s_nop 1
	v_cndmask_b32_e64 v3, 0, v3, s[0:1]
	v_cmp_lt_i32_e64 s[0:1], v10, v35
	s_nop 1
	v_cndmask_b32_e64 v2, 0, v2, s[0:1]
.LBB375_629:                            ;   in Loop: Header=BB375_299 Depth=1
	s_or_b64 exec, exec, s[6:7]
	v_lshlrev_b32_e32 v9, 16, v9
	v_mul_f32_e32 v28, v55, v9
	v_and_b32_e32 v9, 0x7f800000, v28
	v_cmp_ne_u32_e64 s[0:1], s9, v9
                                        ; implicit-def: $vgpr9
	s_and_saveexec_b64 s[6:7], s[0:1]
	s_xor_b64 s[0:1], exec, s[6:7]
; %bb.630:                              ;   in Loop: Header=BB375_299 Depth=1
	v_bfe_u32 v9, v28, 16, 1
	v_add3_u32 v9, v28, v9, s12
                                        ; implicit-def: $vgpr28
; %bb.631:                              ;   in Loop: Header=BB375_299 Depth=1
	s_andn2_saveexec_b64 s[6:7], s[0:1]
; %bb.632:                              ;   in Loop: Header=BB375_299 Depth=1
	v_or_b32_e32 v9, 0x10000, v28
	v_cmp_eq_u32_sdwa s[0:1], v28, v11 src0_sel:WORD_0 src1_sel:DWORD
	s_nop 1
	v_cndmask_b32_e64 v9, v9, v28, s[0:1]
; %bb.633:                              ;   in Loop: Header=BB375_299 Depth=1
	s_or_b64 exec, exec, s[6:7]
	v_lshlrev_b32_e32 v16, 16, v16
	v_mul_f32_e32 v16, v40, v16
	v_and_b32_e32 v28, 0x7f800000, v16
	v_cmp_ne_u32_e64 s[0:1], s9, v28
                                        ; implicit-def: $vgpr28
	s_and_saveexec_b64 s[6:7], s[0:1]
	s_xor_b64 s[0:1], exec, s[6:7]
; %bb.634:                              ;   in Loop: Header=BB375_299 Depth=1
	v_bfe_u32 v28, v16, 16, 1
	v_add3_u32 v28, v16, v28, s12
                                        ; implicit-def: $vgpr16
; %bb.635:                              ;   in Loop: Header=BB375_299 Depth=1
	s_andn2_saveexec_b64 s[6:7], s[0:1]
; %bb.636:                              ;   in Loop: Header=BB375_299 Depth=1
	v_or_b32_e32 v28, 0x10000, v16
	v_cmp_eq_u32_sdwa s[0:1], v16, v11 src0_sel:WORD_0 src1_sel:DWORD
	s_nop 1
	v_cndmask_b32_e64 v28, v28, v16, s[0:1]
; %bb.637:                              ;   in Loop: Header=BB375_299 Depth=1
	s_or_b64 exec, exec, s[6:7]
	v_lshlrev_b32_e32 v5, 16, v5
	v_mul_f32_e32 v5, v41, v5
	v_and_b32_e32 v16, 0x7f800000, v5
	v_cmp_ne_u32_e64 s[0:1], s9, v16
                                        ; implicit-def: $vgpr31
	s_and_saveexec_b64 s[6:7], s[0:1]
	s_xor_b64 s[0:1], exec, s[6:7]
; %bb.638:                              ;   in Loop: Header=BB375_299 Depth=1
	v_bfe_u32 v16, v5, 16, 1
	v_add3_u32 v31, v5, v16, s12
                                        ; implicit-def: $vgpr5
; %bb.639:                              ;   in Loop: Header=BB375_299 Depth=1
	s_andn2_saveexec_b64 s[6:7], s[0:1]
; %bb.640:                              ;   in Loop: Header=BB375_299 Depth=1
	v_or_b32_e32 v16, 0x10000, v5
	v_cmp_eq_u32_sdwa s[0:1], v5, v11 src0_sel:WORD_0 src1_sel:DWORD
	s_nop 1
	v_cndmask_b32_e64 v31, v16, v5, s[0:1]
; %bb.641:                              ;   in Loop: Header=BB375_299 Depth=1
	s_or_b64 exec, exec, s[6:7]
	v_lshlrev_b32_e32 v4, 16, v4
	v_mul_f32_e32 v4, v42, v4
	v_and_b32_e32 v5, 0x7f800000, v4
	v_cmp_ne_u32_e64 s[0:1], s9, v5
                                        ; implicit-def: $vgpr38
	s_and_saveexec_b64 s[6:7], s[0:1]
	s_xor_b64 s[0:1], exec, s[6:7]
; %bb.642:                              ;   in Loop: Header=BB375_299 Depth=1
	v_bfe_u32 v5, v4, 16, 1
	v_add3_u32 v38, v4, v5, s12
                                        ; implicit-def: $vgpr4
; %bb.643:                              ;   in Loop: Header=BB375_299 Depth=1
	s_andn2_saveexec_b64 s[6:7], s[0:1]
; %bb.644:                              ;   in Loop: Header=BB375_299 Depth=1
	v_or_b32_e32 v5, 0x10000, v4
	v_cmp_eq_u32_sdwa s[0:1], v4, v11 src0_sel:WORD_0 src1_sel:DWORD
	s_nop 1
	v_cndmask_b32_e64 v38, v5, v4, s[0:1]
; %bb.645:                              ;   in Loop: Header=BB375_299 Depth=1
	s_or_b64 exec, exec, s[6:7]
	v_lshlrev_b32_e32 v4, 16, v34
	v_mul_f32_e32 v4, v43, v4
	v_and_b32_e32 v5, 0x7f800000, v4
	v_cmp_ne_u32_e64 s[0:1], s9, v5
                                        ; implicit-def: $vgpr39
	s_and_saveexec_b64 s[6:7], s[0:1]
	s_xor_b64 s[0:1], exec, s[6:7]
; %bb.646:                              ;   in Loop: Header=BB375_299 Depth=1
	v_bfe_u32 v5, v4, 16, 1
	v_add3_u32 v39, v4, v5, s12
                                        ; implicit-def: $vgpr4
; %bb.647:                              ;   in Loop: Header=BB375_299 Depth=1
	s_andn2_saveexec_b64 s[6:7], s[0:1]
; %bb.648:                              ;   in Loop: Header=BB375_299 Depth=1
	v_or_b32_e32 v5, 0x10000, v4
	v_cmp_eq_u32_sdwa s[0:1], v4, v11 src0_sel:WORD_0 src1_sel:DWORD
	s_nop 1
	v_cndmask_b32_e64 v39, v5, v4, s[0:1]
; %bb.649:                              ;   in Loop: Header=BB375_299 Depth=1
	s_or_b64 exec, exec, s[6:7]
	v_lshlrev_b32_e32 v4, 16, v23
	v_mul_f32_e32 v4, v44, v4
	v_and_b32_e32 v5, 0x7f800000, v4
	v_cmp_ne_u32_e64 s[0:1], s9, v5
                                        ; implicit-def: $vgpr47
	s_and_saveexec_b64 s[6:7], s[0:1]
	s_xor_b64 s[0:1], exec, s[6:7]
; %bb.650:                              ;   in Loop: Header=BB375_299 Depth=1
	v_bfe_u32 v5, v4, 16, 1
	v_add3_u32 v47, v4, v5, s12
                                        ; implicit-def: $vgpr4
; %bb.651:                              ;   in Loop: Header=BB375_299 Depth=1
	s_andn2_saveexec_b64 s[6:7], s[0:1]
; %bb.652:                              ;   in Loop: Header=BB375_299 Depth=1
	v_or_b32_e32 v5, 0x10000, v4
	v_cmp_eq_u32_sdwa s[0:1], v4, v11 src0_sel:WORD_0 src1_sel:DWORD
	s_nop 1
	v_cndmask_b32_e64 v47, v5, v4, s[0:1]
; %bb.653:                              ;   in Loop: Header=BB375_299 Depth=1
	s_or_b64 exec, exec, s[6:7]
	v_lshlrev_b32_e32 v3, 16, v3
	v_mul_f32_e32 v3, v45, v3
	v_and_b32_e32 v4, 0x7f800000, v3
	v_cmp_ne_u32_e64 s[0:1], s9, v4
                                        ; implicit-def: $vgpr56
	s_and_saveexec_b64 s[6:7], s[0:1]
	s_xor_b64 s[0:1], exec, s[6:7]
; %bb.654:                              ;   in Loop: Header=BB375_299 Depth=1
	v_bfe_u32 v4, v3, 16, 1
	v_add3_u32 v56, v3, v4, s12
                                        ; implicit-def: $vgpr3
; %bb.655:                              ;   in Loop: Header=BB375_299 Depth=1
	s_andn2_saveexec_b64 s[6:7], s[0:1]
; %bb.656:                              ;   in Loop: Header=BB375_299 Depth=1
	v_or_b32_e32 v4, 0x10000, v3
	v_cmp_eq_u32_sdwa s[0:1], v3, v11 src0_sel:WORD_0 src1_sel:DWORD
	s_nop 1
	v_cndmask_b32_e64 v56, v4, v3, s[0:1]
; %bb.657:                              ;   in Loop: Header=BB375_299 Depth=1
	s_or_b64 exec, exec, s[6:7]
	v_lshlrev_b32_e32 v2, 16, v2
	v_mul_f32_e32 v2, v46, v2
	v_and_b32_e32 v3, 0x7f800000, v2
	v_cmp_ne_u32_e64 s[0:1], s9, v3
                                        ; implicit-def: $vgpr57
	s_and_saveexec_b64 s[6:7], s[0:1]
	s_xor_b64 s[0:1], exec, s[6:7]
; %bb.658:                              ;   in Loop: Header=BB375_299 Depth=1
	v_bfe_u32 v3, v2, 16, 1
	v_add3_u32 v57, v2, v3, s12
                                        ; implicit-def: $vgpr2
; %bb.659:                              ;   in Loop: Header=BB375_299 Depth=1
	s_andn2_saveexec_b64 s[6:7], s[0:1]
; %bb.660:                              ;   in Loop: Header=BB375_299 Depth=1
	v_or_b32_e32 v3, 0x10000, v2
	v_cmp_eq_u32_sdwa s[0:1], v2, v11 src0_sel:WORD_0 src1_sel:DWORD
	s_nop 1
	v_cndmask_b32_e64 v57, v3, v2, s[0:1]
; %bb.661:                              ;   in Loop: Header=BB375_299 Depth=1
	s_or_b64 exec, exec, s[6:7]
	flat_load_dwordx2 v[2:3], v[0:1] offset:2560
                                        ; implicit-def: $vgpr16
	s_waitcnt vmcnt(0) lgkmcnt(0)
	v_and_b32_e32 v4, 0xff, v2
	v_cvt_f32_fp8_sdwa v4, v4 src0_sel:BYTE_0
	s_nop 0
	v_mul_f32_e32 v4, v37, v4
	v_and_b32_e32 v5, 0x7f800000, v4
	v_cmp_ne_u32_e64 s[0:1], s9, v5
	s_and_saveexec_b64 s[6:7], s[0:1]
	s_xor_b64 s[0:1], exec, s[6:7]
; %bb.662:                              ;   in Loop: Header=BB375_299 Depth=1
	v_bfe_u32 v5, v4, 16, 1
	v_add3_u32 v16, v4, v5, s12
                                        ; implicit-def: $vgpr4
; %bb.663:                              ;   in Loop: Header=BB375_299 Depth=1
	s_andn2_saveexec_b64 s[6:7], s[0:1]
; %bb.664:                              ;   in Loop: Header=BB375_299 Depth=1
	v_or_b32_e32 v5, 0x10000, v4
	v_cmp_eq_u32_sdwa s[0:1], v4, v11 src0_sel:WORD_0 src1_sel:DWORD
	s_nop 1
	v_cndmask_b32_e64 v16, v5, v4, s[0:1]
; %bb.665:                              ;   in Loop: Header=BB375_299 Depth=1
	s_or_b64 exec, exec, s[6:7]
	v_bfe_u32 v4, v2, 8, 8
	v_cvt_f32_fp8_sdwa v4, v4 src0_sel:BYTE_0
                                        ; implicit-def: $vgpr23
	s_nop 0
	v_mul_f32_e32 v4, v37, v4
	v_and_b32_e32 v5, 0x7f800000, v4
	v_cmp_ne_u32_e64 s[0:1], s9, v5
	s_and_saveexec_b64 s[6:7], s[0:1]
	s_xor_b64 s[0:1], exec, s[6:7]
; %bb.666:                              ;   in Loop: Header=BB375_299 Depth=1
	v_bfe_u32 v5, v4, 16, 1
	v_add3_u32 v23, v4, v5, s12
                                        ; implicit-def: $vgpr4
; %bb.667:                              ;   in Loop: Header=BB375_299 Depth=1
	s_andn2_saveexec_b64 s[6:7], s[0:1]
; %bb.668:                              ;   in Loop: Header=BB375_299 Depth=1
	v_or_b32_e32 v5, 0x10000, v4
	v_cmp_eq_u32_sdwa s[0:1], v4, v11 src0_sel:WORD_0 src1_sel:DWORD
	s_nop 1
	v_cndmask_b32_e64 v23, v5, v4, s[0:1]
; %bb.669:                              ;   in Loop: Header=BB375_299 Depth=1
	s_or_b64 exec, exec, s[6:7]
	v_bfe_u32 v4, v2, 16, 8
	v_cvt_f32_fp8_sdwa v4, v4 src0_sel:BYTE_0
	s_nop 0
	v_mul_f32_e32 v4, v37, v4
	v_and_b32_e32 v5, 0x7f800000, v4
	v_cmp_ne_u32_e64 s[0:1], s9, v5
                                        ; implicit-def: $vgpr5
	s_and_saveexec_b64 s[6:7], s[0:1]
	s_xor_b64 s[0:1], exec, s[6:7]
; %bb.670:                              ;   in Loop: Header=BB375_299 Depth=1
	v_bfe_u32 v5, v4, 16, 1
	v_add3_u32 v5, v4, v5, s12
                                        ; implicit-def: $vgpr4
; %bb.671:                              ;   in Loop: Header=BB375_299 Depth=1
	s_andn2_saveexec_b64 s[6:7], s[0:1]
; %bb.672:                              ;   in Loop: Header=BB375_299 Depth=1
	v_or_b32_e32 v5, 0x10000, v4
	v_cmp_eq_u32_sdwa s[0:1], v4, v11 src0_sel:WORD_0 src1_sel:DWORD
	s_nop 1
	v_cndmask_b32_e64 v5, v5, v4, s[0:1]
; %bb.673:                              ;   in Loop: Header=BB375_299 Depth=1
	s_or_b64 exec, exec, s[6:7]
	v_lshrrev_b32_e32 v2, 24, v2
	v_cvt_f32_fp8_sdwa v2, v2 src0_sel:BYTE_0
	s_nop 0
	v_mul_f32_e32 v4, v37, v2
	v_and_b32_e32 v2, 0x7f800000, v4
	v_cmp_ne_u32_e64 s[0:1], s9, v2
                                        ; implicit-def: $vgpr2
	s_and_saveexec_b64 s[6:7], s[0:1]
	s_xor_b64 s[0:1], exec, s[6:7]
; %bb.674:                              ;   in Loop: Header=BB375_299 Depth=1
	v_bfe_u32 v2, v4, 16, 1
	v_add3_u32 v2, v4, v2, s12
                                        ; implicit-def: $vgpr4
; %bb.675:                              ;   in Loop: Header=BB375_299 Depth=1
	s_andn2_saveexec_b64 s[6:7], s[0:1]
; %bb.676:                              ;   in Loop: Header=BB375_299 Depth=1
	v_or_b32_e32 v2, 0x10000, v4
	v_cmp_eq_u32_sdwa s[0:1], v4, v11 src0_sel:WORD_0 src1_sel:DWORD
	s_nop 1
	v_cndmask_b32_e64 v2, v2, v4, s[0:1]
; %bb.677:                              ;   in Loop: Header=BB375_299 Depth=1
	s_or_b64 exec, exec, s[6:7]
	v_and_b32_e32 v4, 0xff, v3
	v_cvt_f32_fp8_sdwa v4, v4 src0_sel:BYTE_0
	s_nop 0
	v_mul_f32_e32 v29, v37, v4
	v_and_b32_e32 v4, 0x7f800000, v29
	v_cmp_ne_u32_e64 s[0:1], s9, v4
                                        ; implicit-def: $vgpr4
	s_and_saveexec_b64 s[6:7], s[0:1]
	s_xor_b64 s[0:1], exec, s[6:7]
; %bb.678:                              ;   in Loop: Header=BB375_299 Depth=1
	v_bfe_u32 v4, v29, 16, 1
	v_add3_u32 v4, v29, v4, s12
                                        ; implicit-def: $vgpr29
; %bb.679:                              ;   in Loop: Header=BB375_299 Depth=1
	s_andn2_saveexec_b64 s[6:7], s[0:1]
; %bb.680:                              ;   in Loop: Header=BB375_299 Depth=1
	v_or_b32_e32 v4, 0x10000, v29
	v_cmp_eq_u32_sdwa s[0:1], v29, v11 src0_sel:WORD_0 src1_sel:DWORD
	s_nop 1
	v_cndmask_b32_e64 v4, v4, v29, s[0:1]
; %bb.681:                              ;   in Loop: Header=BB375_299 Depth=1
	s_or_b64 exec, exec, s[6:7]
	v_bfe_u32 v29, v3, 8, 8
	v_cvt_f32_fp8_sdwa v29, v29 src0_sel:BYTE_0
                                        ; implicit-def: $vgpr32
	s_nop 0
	v_mul_f32_e32 v29, v37, v29
	v_and_b32_e32 v30, 0x7f800000, v29
	v_cmp_ne_u32_e64 s[0:1], s9, v30
	s_and_saveexec_b64 s[6:7], s[0:1]
	s_xor_b64 s[0:1], exec, s[6:7]
; %bb.682:                              ;   in Loop: Header=BB375_299 Depth=1
	v_bfe_u32 v30, v29, 16, 1
	v_add3_u32 v32, v29, v30, s12
                                        ; implicit-def: $vgpr29
; %bb.683:                              ;   in Loop: Header=BB375_299 Depth=1
	s_andn2_saveexec_b64 s[6:7], s[0:1]
; %bb.684:                              ;   in Loop: Header=BB375_299 Depth=1
	v_or_b32_e32 v30, 0x10000, v29
	v_cmp_eq_u32_sdwa s[0:1], v29, v11 src0_sel:WORD_0 src1_sel:DWORD
	s_nop 1
	v_cndmask_b32_e64 v32, v30, v29, s[0:1]
; %bb.685:                              ;   in Loop: Header=BB375_299 Depth=1
	s_or_b64 exec, exec, s[6:7]
	v_bfe_u32 v29, v3, 16, 8
	v_cvt_f32_fp8_sdwa v29, v29 src0_sel:BYTE_0
                                        ; implicit-def: $vgpr33
	s_nop 0
	v_mul_f32_e32 v29, v37, v29
	v_and_b32_e32 v30, 0x7f800000, v29
	v_cmp_ne_u32_e64 s[0:1], s9, v30
	s_and_saveexec_b64 s[6:7], s[0:1]
	s_xor_b64 s[0:1], exec, s[6:7]
; %bb.686:                              ;   in Loop: Header=BB375_299 Depth=1
	v_bfe_u32 v30, v29, 16, 1
	v_add3_u32 v33, v29, v30, s12
                                        ; implicit-def: $vgpr29
; %bb.687:                              ;   in Loop: Header=BB375_299 Depth=1
	s_andn2_saveexec_b64 s[6:7], s[0:1]
; %bb.688:                              ;   in Loop: Header=BB375_299 Depth=1
	v_or_b32_e32 v30, 0x10000, v29
	v_cmp_eq_u32_sdwa s[0:1], v29, v11 src0_sel:WORD_0 src1_sel:DWORD
	s_nop 1
	v_cndmask_b32_e64 v33, v30, v29, s[0:1]
; %bb.689:                              ;   in Loop: Header=BB375_299 Depth=1
	s_or_b64 exec, exec, s[6:7]
	v_lshrrev_b32_e32 v3, 24, v3
	v_cvt_f32_fp8_sdwa v3, v3 src0_sel:BYTE_0
                                        ; implicit-def: $vgpr30
	s_nop 0
	v_mul_f32_e32 v3, v37, v3
	v_and_b32_e32 v29, 0x7f800000, v3
	v_cmp_ne_u32_e64 s[0:1], s9, v29
	s_and_saveexec_b64 s[6:7], s[0:1]
	s_xor_b64 s[0:1], exec, s[6:7]
; %bb.690:                              ;   in Loop: Header=BB375_299 Depth=1
	v_bfe_u32 v29, v3, 16, 1
	v_add3_u32 v30, v3, v29, s12
                                        ; implicit-def: $vgpr3
; %bb.691:                              ;   in Loop: Header=BB375_299 Depth=1
	s_andn2_saveexec_b64 s[6:7], s[0:1]
; %bb.692:                              ;   in Loop: Header=BB375_299 Depth=1
	v_or_b32_e32 v29, 0x10000, v3
	v_cmp_eq_u32_sdwa s[0:1], v3, v11 src0_sel:WORD_0 src1_sel:DWORD
	s_nop 1
	v_cndmask_b32_e64 v30, v29, v3, s[0:1]
; %bb.693:                              ;   in Loop: Header=BB375_299 Depth=1
	s_or_b64 exec, exec, s[6:7]
	v_lshrrev_b32_e32 v34, 16, v32
	v_lshrrev_b32_e32 v36, 16, v4
	;; [unrolled: 1-line block ×8, first 2 shown]
	s_and_saveexec_b64 s[6:7], vcc
	s_cbranch_execz .LBB375_695
; %bb.694:                              ;   in Loop: Header=BB375_299 Depth=1
	v_accvgpr_read_b32 v29, a21
	v_cmp_lt_i32_e64 s[0:1], v29, v35
	v_accvgpr_read_b32 v29, a27
	s_nop 0
	v_cndmask_b32_e64 v16, 0, v16, s[0:1]
	v_cmp_lt_i32_e64 s[0:1], v29, v35
	v_accvgpr_read_b32 v29, a26
	s_nop 0
	v_cndmask_b32_e64 v23, 0, v23, s[0:1]
	;; [unrolled: 4-line block ×6, first 2 shown]
	v_cmp_lt_i32_e64 s[0:1], v29, v35
	s_nop 1
	v_cndmask_b32_e64 v3, 0, v3, s[0:1]
	v_cmp_lt_i32_e64 s[0:1], v10, v35
	s_nop 1
	v_cndmask_b32_e64 v2, 0, v2, s[0:1]
.LBB375_695:                            ;   in Loop: Header=BB375_299 Depth=1
	s_or_b64 exec, exec, s[6:7]
	v_lshlrev_b32_e32 v16, 16, v16
	v_mul_f32_e32 v16, v55, v16
	v_and_b32_e32 v29, 0x7f800000, v16
	v_cmp_ne_u32_e64 s[0:1], s9, v29
                                        ; implicit-def: $vgpr58
	s_and_saveexec_b64 s[6:7], s[0:1]
	s_xor_b64 s[0:1], exec, s[6:7]
; %bb.696:                              ;   in Loop: Header=BB375_299 Depth=1
	v_bfe_u32 v29, v16, 16, 1
	v_add3_u32 v58, v16, v29, s12
                                        ; implicit-def: $vgpr16
; %bb.697:                              ;   in Loop: Header=BB375_299 Depth=1
	s_andn2_saveexec_b64 s[6:7], s[0:1]
; %bb.698:                              ;   in Loop: Header=BB375_299 Depth=1
	v_or_b32_e32 v29, 0x10000, v16
	v_cmp_eq_u32_sdwa s[0:1], v16, v11 src0_sel:WORD_0 src1_sel:DWORD
	s_nop 1
	v_cndmask_b32_e64 v58, v29, v16, s[0:1]
; %bb.699:                              ;   in Loop: Header=BB375_299 Depth=1
	s_or_b64 exec, exec, s[6:7]
	v_lshlrev_b32_e32 v16, 16, v23
	v_mul_f32_e32 v16, v40, v16
	v_and_b32_e32 v23, 0x7f800000, v16
	v_cmp_ne_u32_e64 s[0:1], s9, v23
                                        ; implicit-def: $vgpr59
	s_and_saveexec_b64 s[6:7], s[0:1]
	s_xor_b64 s[0:1], exec, s[6:7]
; %bb.700:                              ;   in Loop: Header=BB375_299 Depth=1
	v_bfe_u32 v23, v16, 16, 1
	v_add3_u32 v59, v16, v23, s12
                                        ; implicit-def: $vgpr16
; %bb.701:                              ;   in Loop: Header=BB375_299 Depth=1
	s_andn2_saveexec_b64 s[6:7], s[0:1]
; %bb.702:                              ;   in Loop: Header=BB375_299 Depth=1
	v_or_b32_e32 v23, 0x10000, v16
	v_cmp_eq_u32_sdwa s[0:1], v16, v11 src0_sel:WORD_0 src1_sel:DWORD
	s_nop 1
	v_cndmask_b32_e64 v59, v23, v16, s[0:1]
; %bb.703:                              ;   in Loop: Header=BB375_299 Depth=1
	s_or_b64 exec, exec, s[6:7]
	v_lshlrev_b32_e32 v5, 16, v5
	v_mul_f32_e32 v5, v41, v5
	v_and_b32_e32 v16, 0x7f800000, v5
	v_cmp_ne_u32_e64 s[0:1], s9, v16
                                        ; implicit-def: $vgpr60
	s_and_saveexec_b64 s[6:7], s[0:1]
	s_xor_b64 s[0:1], exec, s[6:7]
; %bb.704:                              ;   in Loop: Header=BB375_299 Depth=1
	v_bfe_u32 v16, v5, 16, 1
	v_add3_u32 v60, v5, v16, s12
                                        ; implicit-def: $vgpr5
; %bb.705:                              ;   in Loop: Header=BB375_299 Depth=1
	s_andn2_saveexec_b64 s[6:7], s[0:1]
; %bb.706:                              ;   in Loop: Header=BB375_299 Depth=1
	v_or_b32_e32 v16, 0x10000, v5
	v_cmp_eq_u32_sdwa s[0:1], v5, v11 src0_sel:WORD_0 src1_sel:DWORD
	s_nop 1
	v_cndmask_b32_e64 v60, v16, v5, s[0:1]
; %bb.707:                              ;   in Loop: Header=BB375_299 Depth=1
	s_or_b64 exec, exec, s[6:7]
	v_lshlrev_b32_e32 v4, 16, v4
	v_mul_f32_e32 v4, v42, v4
	v_and_b32_e32 v5, 0x7f800000, v4
	v_cmp_ne_u32_e64 s[0:1], s9, v5
                                        ; implicit-def: $vgpr61
	s_and_saveexec_b64 s[6:7], s[0:1]
	s_xor_b64 s[0:1], exec, s[6:7]
; %bb.708:                              ;   in Loop: Header=BB375_299 Depth=1
	v_bfe_u32 v5, v4, 16, 1
	v_add3_u32 v61, v4, v5, s12
                                        ; implicit-def: $vgpr4
; %bb.709:                              ;   in Loop: Header=BB375_299 Depth=1
	s_andn2_saveexec_b64 s[6:7], s[0:1]
; %bb.710:                              ;   in Loop: Header=BB375_299 Depth=1
	v_or_b32_e32 v5, 0x10000, v4
	v_cmp_eq_u32_sdwa s[0:1], v4, v11 src0_sel:WORD_0 src1_sel:DWORD
	s_nop 1
	v_cndmask_b32_e64 v61, v5, v4, s[0:1]
; %bb.711:                              ;   in Loop: Header=BB375_299 Depth=1
	s_or_b64 exec, exec, s[6:7]
	v_lshlrev_b32_e32 v4, 16, v36
	v_mul_f32_e32 v4, v43, v4
	v_and_b32_e32 v5, 0x7f800000, v4
	v_cmp_ne_u32_e64 s[0:1], s9, v5
                                        ; implicit-def: $vgpr62
	s_and_saveexec_b64 s[6:7], s[0:1]
	s_xor_b64 s[0:1], exec, s[6:7]
; %bb.712:                              ;   in Loop: Header=BB375_299 Depth=1
	v_bfe_u32 v5, v4, 16, 1
	v_add3_u32 v62, v4, v5, s12
                                        ; implicit-def: $vgpr4
; %bb.713:                              ;   in Loop: Header=BB375_299 Depth=1
	s_andn2_saveexec_b64 s[6:7], s[0:1]
; %bb.714:                              ;   in Loop: Header=BB375_299 Depth=1
	v_or_b32_e32 v5, 0x10000, v4
	v_cmp_eq_u32_sdwa s[0:1], v4, v11 src0_sel:WORD_0 src1_sel:DWORD
	s_nop 1
	v_cndmask_b32_e64 v62, v5, v4, s[0:1]
; %bb.715:                              ;   in Loop: Header=BB375_299 Depth=1
	s_or_b64 exec, exec, s[6:7]
	v_lshlrev_b32_e32 v4, 16, v34
	v_mul_f32_e32 v4, v44, v4
	v_and_b32_e32 v5, 0x7f800000, v4
	v_cmp_ne_u32_e64 s[0:1], s9, v5
                                        ; implicit-def: $vgpr48
	s_and_saveexec_b64 s[6:7], s[0:1]
	s_xor_b64 s[0:1], exec, s[6:7]
; %bb.716:                              ;   in Loop: Header=BB375_299 Depth=1
	v_bfe_u32 v5, v4, 16, 1
	v_add3_u32 v48, v4, v5, s12
                                        ; implicit-def: $vgpr4
; %bb.717:                              ;   in Loop: Header=BB375_299 Depth=1
	s_andn2_saveexec_b64 s[6:7], s[0:1]
; %bb.718:                              ;   in Loop: Header=BB375_299 Depth=1
	v_or_b32_e32 v5, 0x10000, v4
	v_cmp_eq_u32_sdwa s[0:1], v4, v11 src0_sel:WORD_0 src1_sel:DWORD
	s_nop 1
	v_cndmask_b32_e64 v48, v5, v4, s[0:1]
; %bb.719:                              ;   in Loop: Header=BB375_299 Depth=1
	s_or_b64 exec, exec, s[6:7]
	v_lshlrev_b32_e32 v3, 16, v3
	v_mul_f32_e32 v3, v45, v3
	v_and_b32_e32 v4, 0x7f800000, v3
	v_cmp_ne_u32_e64 s[0:1], s9, v4
                                        ; implicit-def: $vgpr49
	s_and_saveexec_b64 s[6:7], s[0:1]
	s_xor_b64 s[0:1], exec, s[6:7]
; %bb.720:                              ;   in Loop: Header=BB375_299 Depth=1
	v_bfe_u32 v4, v3, 16, 1
	v_add3_u32 v49, v3, v4, s12
                                        ; implicit-def: $vgpr3
; %bb.721:                              ;   in Loop: Header=BB375_299 Depth=1
	s_andn2_saveexec_b64 s[6:7], s[0:1]
; %bb.722:                              ;   in Loop: Header=BB375_299 Depth=1
	v_or_b32_e32 v4, 0x10000, v3
	v_cmp_eq_u32_sdwa s[0:1], v3, v11 src0_sel:WORD_0 src1_sel:DWORD
	s_nop 1
	v_cndmask_b32_e64 v49, v4, v3, s[0:1]
; %bb.723:                              ;   in Loop: Header=BB375_299 Depth=1
	s_or_b64 exec, exec, s[6:7]
	v_lshlrev_b32_e32 v2, 16, v2
	v_mul_f32_e32 v2, v46, v2
	v_and_b32_e32 v3, 0x7f800000, v2
	v_cmp_ne_u32_e64 s[0:1], s9, v3
                                        ; implicit-def: $vgpr50
	s_and_saveexec_b64 s[6:7], s[0:1]
	s_xor_b64 s[0:1], exec, s[6:7]
; %bb.724:                              ;   in Loop: Header=BB375_299 Depth=1
	v_bfe_u32 v3, v2, 16, 1
	v_add3_u32 v50, v2, v3, s12
                                        ; implicit-def: $vgpr2
; %bb.725:                              ;   in Loop: Header=BB375_299 Depth=1
	s_andn2_saveexec_b64 s[6:7], s[0:1]
; %bb.726:                              ;   in Loop: Header=BB375_299 Depth=1
	v_or_b32_e32 v3, 0x10000, v2
	v_cmp_eq_u32_sdwa s[0:1], v2, v11 src0_sel:WORD_0 src1_sel:DWORD
	s_nop 1
	v_cndmask_b32_e64 v50, v3, v2, s[0:1]
; %bb.727:                              ;   in Loop: Header=BB375_299 Depth=1
	s_or_b64 exec, exec, s[6:7]
	flat_load_dwordx2 v[2:3], v[0:1] offset:3072
                                        ; implicit-def: $vgpr16
	s_waitcnt vmcnt(0) lgkmcnt(0)
	v_and_b32_e32 v4, 0xff, v2
	v_cvt_f32_fp8_sdwa v4, v4 src0_sel:BYTE_0
	s_nop 0
	v_mul_f32_e32 v4, v37, v4
	v_and_b32_e32 v5, 0x7f800000, v4
	v_cmp_ne_u32_e64 s[0:1], s9, v5
	s_and_saveexec_b64 s[6:7], s[0:1]
	s_xor_b64 s[0:1], exec, s[6:7]
; %bb.728:                              ;   in Loop: Header=BB375_299 Depth=1
	v_bfe_u32 v5, v4, 16, 1
	v_add3_u32 v16, v4, v5, s12
                                        ; implicit-def: $vgpr4
; %bb.729:                              ;   in Loop: Header=BB375_299 Depth=1
	s_andn2_saveexec_b64 s[6:7], s[0:1]
; %bb.730:                              ;   in Loop: Header=BB375_299 Depth=1
	v_or_b32_e32 v5, 0x10000, v4
	v_cmp_eq_u32_sdwa s[0:1], v4, v11 src0_sel:WORD_0 src1_sel:DWORD
	s_nop 1
	v_cndmask_b32_e64 v16, v5, v4, s[0:1]
; %bb.731:                              ;   in Loop: Header=BB375_299 Depth=1
	s_or_b64 exec, exec, s[6:7]
	v_bfe_u32 v4, v2, 8, 8
	v_cvt_f32_fp8_sdwa v4, v4 src0_sel:BYTE_0
                                        ; implicit-def: $vgpr23
	s_nop 0
	v_mul_f32_e32 v4, v37, v4
	v_and_b32_e32 v5, 0x7f800000, v4
	v_cmp_ne_u32_e64 s[0:1], s9, v5
	s_and_saveexec_b64 s[6:7], s[0:1]
	s_xor_b64 s[0:1], exec, s[6:7]
; %bb.732:                              ;   in Loop: Header=BB375_299 Depth=1
	v_bfe_u32 v5, v4, 16, 1
	v_add3_u32 v23, v4, v5, s12
                                        ; implicit-def: $vgpr4
; %bb.733:                              ;   in Loop: Header=BB375_299 Depth=1
	s_andn2_saveexec_b64 s[6:7], s[0:1]
; %bb.734:                              ;   in Loop: Header=BB375_299 Depth=1
	v_or_b32_e32 v5, 0x10000, v4
	v_cmp_eq_u32_sdwa s[0:1], v4, v11 src0_sel:WORD_0 src1_sel:DWORD
	s_nop 1
	v_cndmask_b32_e64 v23, v5, v4, s[0:1]
; %bb.735:                              ;   in Loop: Header=BB375_299 Depth=1
	s_or_b64 exec, exec, s[6:7]
	v_bfe_u32 v4, v2, 16, 8
	v_cvt_f32_fp8_sdwa v4, v4 src0_sel:BYTE_0
	s_nop 0
	v_mul_f32_e32 v4, v37, v4
	v_and_b32_e32 v5, 0x7f800000, v4
	v_cmp_ne_u32_e64 s[0:1], s9, v5
                                        ; implicit-def: $vgpr5
	s_and_saveexec_b64 s[6:7], s[0:1]
	s_xor_b64 s[0:1], exec, s[6:7]
; %bb.736:                              ;   in Loop: Header=BB375_299 Depth=1
	v_bfe_u32 v5, v4, 16, 1
	v_add3_u32 v5, v4, v5, s12
                                        ; implicit-def: $vgpr4
; %bb.737:                              ;   in Loop: Header=BB375_299 Depth=1
	s_andn2_saveexec_b64 s[6:7], s[0:1]
; %bb.738:                              ;   in Loop: Header=BB375_299 Depth=1
	v_or_b32_e32 v5, 0x10000, v4
	v_cmp_eq_u32_sdwa s[0:1], v4, v11 src0_sel:WORD_0 src1_sel:DWORD
	s_nop 1
	v_cndmask_b32_e64 v5, v5, v4, s[0:1]
; %bb.739:                              ;   in Loop: Header=BB375_299 Depth=1
	s_or_b64 exec, exec, s[6:7]
	v_lshrrev_b32_e32 v2, 24, v2
	v_cvt_f32_fp8_sdwa v2, v2 src0_sel:BYTE_0
	s_nop 0
	v_mul_f32_e32 v4, v37, v2
	v_and_b32_e32 v2, 0x7f800000, v4
	v_cmp_ne_u32_e64 s[0:1], s9, v2
                                        ; implicit-def: $vgpr2
	s_and_saveexec_b64 s[6:7], s[0:1]
	s_xor_b64 s[0:1], exec, s[6:7]
; %bb.740:                              ;   in Loop: Header=BB375_299 Depth=1
	v_bfe_u32 v2, v4, 16, 1
	v_add3_u32 v2, v4, v2, s12
                                        ; implicit-def: $vgpr4
; %bb.741:                              ;   in Loop: Header=BB375_299 Depth=1
	s_andn2_saveexec_b64 s[6:7], s[0:1]
; %bb.742:                              ;   in Loop: Header=BB375_299 Depth=1
	v_or_b32_e32 v2, 0x10000, v4
	v_cmp_eq_u32_sdwa s[0:1], v4, v11 src0_sel:WORD_0 src1_sel:DWORD
	s_nop 1
	v_cndmask_b32_e64 v2, v2, v4, s[0:1]
; %bb.743:                              ;   in Loop: Header=BB375_299 Depth=1
	s_or_b64 exec, exec, s[6:7]
	v_and_b32_e32 v4, 0xff, v3
	v_cvt_f32_fp8_sdwa v4, v4 src0_sel:BYTE_0
	s_nop 0
	v_mul_f32_e32 v29, v37, v4
	v_and_b32_e32 v4, 0x7f800000, v29
	v_cmp_ne_u32_e64 s[0:1], s9, v4
                                        ; implicit-def: $vgpr4
	s_and_saveexec_b64 s[6:7], s[0:1]
	s_xor_b64 s[0:1], exec, s[6:7]
; %bb.744:                              ;   in Loop: Header=BB375_299 Depth=1
	v_bfe_u32 v4, v29, 16, 1
	v_add3_u32 v4, v29, v4, s12
                                        ; implicit-def: $vgpr29
; %bb.745:                              ;   in Loop: Header=BB375_299 Depth=1
	s_andn2_saveexec_b64 s[6:7], s[0:1]
; %bb.746:                              ;   in Loop: Header=BB375_299 Depth=1
	v_or_b32_e32 v4, 0x10000, v29
	v_cmp_eq_u32_sdwa s[0:1], v29, v11 src0_sel:WORD_0 src1_sel:DWORD
	s_nop 1
	v_cndmask_b32_e64 v4, v4, v29, s[0:1]
; %bb.747:                              ;   in Loop: Header=BB375_299 Depth=1
	s_or_b64 exec, exec, s[6:7]
	v_bfe_u32 v29, v3, 8, 8
	v_cvt_f32_fp8_sdwa v29, v29 src0_sel:BYTE_0
                                        ; implicit-def: $vgpr32
	s_nop 0
	v_mul_f32_e32 v29, v37, v29
	v_and_b32_e32 v30, 0x7f800000, v29
	v_cmp_ne_u32_e64 s[0:1], s9, v30
	s_and_saveexec_b64 s[6:7], s[0:1]
	s_xor_b64 s[0:1], exec, s[6:7]
; %bb.748:                              ;   in Loop: Header=BB375_299 Depth=1
	v_bfe_u32 v30, v29, 16, 1
	v_add3_u32 v32, v29, v30, s12
                                        ; implicit-def: $vgpr29
; %bb.749:                              ;   in Loop: Header=BB375_299 Depth=1
	s_andn2_saveexec_b64 s[6:7], s[0:1]
; %bb.750:                              ;   in Loop: Header=BB375_299 Depth=1
	v_or_b32_e32 v30, 0x10000, v29
	v_cmp_eq_u32_sdwa s[0:1], v29, v11 src0_sel:WORD_0 src1_sel:DWORD
	s_nop 1
	v_cndmask_b32_e64 v32, v30, v29, s[0:1]
; %bb.751:                              ;   in Loop: Header=BB375_299 Depth=1
	s_or_b64 exec, exec, s[6:7]
	v_bfe_u32 v29, v3, 16, 8
	v_cvt_f32_fp8_sdwa v29, v29 src0_sel:BYTE_0
                                        ; implicit-def: $vgpr33
	s_nop 0
	v_mul_f32_e32 v29, v37, v29
	v_and_b32_e32 v30, 0x7f800000, v29
	v_cmp_ne_u32_e64 s[0:1], s9, v30
	s_and_saveexec_b64 s[6:7], s[0:1]
	s_xor_b64 s[0:1], exec, s[6:7]
; %bb.752:                              ;   in Loop: Header=BB375_299 Depth=1
	v_bfe_u32 v30, v29, 16, 1
	v_add3_u32 v33, v29, v30, s12
                                        ; implicit-def: $vgpr29
; %bb.753:                              ;   in Loop: Header=BB375_299 Depth=1
	s_andn2_saveexec_b64 s[6:7], s[0:1]
; %bb.754:                              ;   in Loop: Header=BB375_299 Depth=1
	v_or_b32_e32 v30, 0x10000, v29
	v_cmp_eq_u32_sdwa s[0:1], v29, v11 src0_sel:WORD_0 src1_sel:DWORD
	s_nop 1
	v_cndmask_b32_e64 v33, v30, v29, s[0:1]
; %bb.755:                              ;   in Loop: Header=BB375_299 Depth=1
	s_or_b64 exec, exec, s[6:7]
	v_lshrrev_b32_e32 v3, 24, v3
	v_cvt_f32_fp8_sdwa v3, v3 src0_sel:BYTE_0
                                        ; implicit-def: $vgpr30
	s_nop 0
	v_mul_f32_e32 v3, v37, v3
	v_and_b32_e32 v29, 0x7f800000, v3
	v_cmp_ne_u32_e64 s[0:1], s9, v29
	s_and_saveexec_b64 s[6:7], s[0:1]
	s_xor_b64 s[0:1], exec, s[6:7]
; %bb.756:                              ;   in Loop: Header=BB375_299 Depth=1
	v_bfe_u32 v29, v3, 16, 1
	v_add3_u32 v30, v3, v29, s12
                                        ; implicit-def: $vgpr3
; %bb.757:                              ;   in Loop: Header=BB375_299 Depth=1
	s_andn2_saveexec_b64 s[6:7], s[0:1]
; %bb.758:                              ;   in Loop: Header=BB375_299 Depth=1
	v_or_b32_e32 v29, 0x10000, v3
	v_cmp_eq_u32_sdwa s[0:1], v3, v11 src0_sel:WORD_0 src1_sel:DWORD
	s_nop 1
	v_cndmask_b32_e64 v30, v29, v3, s[0:1]
; %bb.759:                              ;   in Loop: Header=BB375_299 Depth=1
	s_or_b64 exec, exec, s[6:7]
	v_lshrrev_b32_e32 v34, 16, v32
	v_lshrrev_b32_e32 v36, 16, v4
	;; [unrolled: 1-line block ×8, first 2 shown]
	s_and_saveexec_b64 s[6:7], vcc
	s_cbranch_execz .LBB375_761
; %bb.760:                              ;   in Loop: Header=BB375_299 Depth=1
	v_accvgpr_read_b32 v29, a21
	v_cmp_lt_i32_e64 s[0:1], v29, v35
	v_accvgpr_read_b32 v29, a27
	s_nop 0
	v_cndmask_b32_e64 v2, 0, v2, s[0:1]
	v_cmp_lt_i32_e64 s[0:1], v29, v35
	v_accvgpr_read_b32 v29, a26
	s_nop 0
	v_cndmask_b32_e64 v3, 0, v3, s[0:1]
	;; [unrolled: 4-line block ×6, first 2 shown]
	v_cmp_lt_i32_e64 s[0:1], v29, v35
	s_nop 1
	v_cndmask_b32_e64 v23, 0, v23, s[0:1]
	v_cmp_lt_i32_e64 s[0:1], v10, v35
	s_nop 1
	v_cndmask_b32_e64 v16, 0, v16, s[0:1]
.LBB375_761:                            ;   in Loop: Header=BB375_299 Depth=1
	s_or_b64 exec, exec, s[6:7]
	v_lshlrev_b32_e32 v2, 16, v2
	v_mul_f32_e32 v29, v55, v2
	v_and_b32_e32 v2, 0x7f800000, v29
	v_cmp_ne_u32_e64 s[0:1], s9, v2
                                        ; implicit-def: $vgpr2
	s_and_saveexec_b64 s[6:7], s[0:1]
	s_xor_b64 s[0:1], exec, s[6:7]
; %bb.762:                              ;   in Loop: Header=BB375_299 Depth=1
	v_bfe_u32 v2, v29, 16, 1
	v_add3_u32 v2, v29, v2, s12
                                        ; implicit-def: $vgpr29
; %bb.763:                              ;   in Loop: Header=BB375_299 Depth=1
	s_andn2_saveexec_b64 s[6:7], s[0:1]
; %bb.764:                              ;   in Loop: Header=BB375_299 Depth=1
	v_or_b32_e32 v2, 0x10000, v29
	v_cmp_eq_u32_sdwa s[0:1], v29, v11 src0_sel:WORD_0 src1_sel:DWORD
	s_nop 1
	v_cndmask_b32_e64 v2, v2, v29, s[0:1]
; %bb.765:                              ;   in Loop: Header=BB375_299 Depth=1
	s_or_b64 exec, exec, s[6:7]
	v_lshlrev_b32_e32 v3, 16, v3
	v_mul_f32_e32 v29, v40, v3
	v_and_b32_e32 v3, 0x7f800000, v29
	v_cmp_ne_u32_e64 s[0:1], s9, v3
                                        ; implicit-def: $vgpr3
	s_and_saveexec_b64 s[6:7], s[0:1]
	s_xor_b64 s[0:1], exec, s[6:7]
; %bb.766:                              ;   in Loop: Header=BB375_299 Depth=1
	v_bfe_u32 v3, v29, 16, 1
	v_add3_u32 v3, v29, v3, s12
                                        ; implicit-def: $vgpr29
; %bb.767:                              ;   in Loop: Header=BB375_299 Depth=1
	s_andn2_saveexec_b64 s[6:7], s[0:1]
; %bb.768:                              ;   in Loop: Header=BB375_299 Depth=1
	v_or_b32_e32 v3, 0x10000, v29
	v_cmp_eq_u32_sdwa s[0:1], v29, v11 src0_sel:WORD_0 src1_sel:DWORD
	s_nop 1
	v_cndmask_b32_e64 v3, v3, v29, s[0:1]
; %bb.769:                              ;   in Loop: Header=BB375_299 Depth=1
	s_or_b64 exec, exec, s[6:7]
	v_lshlrev_b32_e32 v5, 16, v5
	v_mul_f32_e32 v5, v41, v5
	v_and_b32_e32 v29, 0x7f800000, v5
	v_cmp_ne_u32_e64 s[0:1], s9, v29
                                        ; implicit-def: $vgpr51
	s_and_saveexec_b64 s[6:7], s[0:1]
	s_xor_b64 s[0:1], exec, s[6:7]
; %bb.770:                              ;   in Loop: Header=BB375_299 Depth=1
	v_bfe_u32 v29, v5, 16, 1
	v_add3_u32 v51, v5, v29, s12
                                        ; implicit-def: $vgpr5
; %bb.771:                              ;   in Loop: Header=BB375_299 Depth=1
	s_andn2_saveexec_b64 s[6:7], s[0:1]
; %bb.772:                              ;   in Loop: Header=BB375_299 Depth=1
	v_or_b32_e32 v29, 0x10000, v5
	v_cmp_eq_u32_sdwa s[0:1], v5, v11 src0_sel:WORD_0 src1_sel:DWORD
	s_nop 1
	v_cndmask_b32_e64 v51, v29, v5, s[0:1]
; %bb.773:                              ;   in Loop: Header=BB375_299 Depth=1
	s_or_b64 exec, exec, s[6:7]
	v_lshlrev_b32_e32 v4, 16, v4
	v_mul_f32_e32 v4, v42, v4
	v_and_b32_e32 v5, 0x7f800000, v4
	v_cmp_ne_u32_e64 s[0:1], s9, v5
                                        ; implicit-def: $vgpr52
	s_and_saveexec_b64 s[6:7], s[0:1]
	s_xor_b64 s[0:1], exec, s[6:7]
; %bb.774:                              ;   in Loop: Header=BB375_299 Depth=1
	v_bfe_u32 v5, v4, 16, 1
	v_add3_u32 v52, v4, v5, s12
                                        ; implicit-def: $vgpr4
; %bb.775:                              ;   in Loop: Header=BB375_299 Depth=1
	s_andn2_saveexec_b64 s[6:7], s[0:1]
; %bb.776:                              ;   in Loop: Header=BB375_299 Depth=1
	v_or_b32_e32 v5, 0x10000, v4
	v_cmp_eq_u32_sdwa s[0:1], v4, v11 src0_sel:WORD_0 src1_sel:DWORD
	s_nop 1
	v_cndmask_b32_e64 v52, v5, v4, s[0:1]
; %bb.777:                              ;   in Loop: Header=BB375_299 Depth=1
	s_or_b64 exec, exec, s[6:7]
	v_lshlrev_b32_e32 v4, 16, v36
	v_mul_f32_e32 v4, v43, v4
	v_and_b32_e32 v5, 0x7f800000, v4
	v_cmp_ne_u32_e64 s[0:1], s9, v5
                                        ; implicit-def: $vgpr53
	s_and_saveexec_b64 s[6:7], s[0:1]
	s_xor_b64 s[0:1], exec, s[6:7]
; %bb.778:                              ;   in Loop: Header=BB375_299 Depth=1
	v_bfe_u32 v5, v4, 16, 1
	v_add3_u32 v53, v4, v5, s12
                                        ; implicit-def: $vgpr4
; %bb.779:                              ;   in Loop: Header=BB375_299 Depth=1
	s_andn2_saveexec_b64 s[6:7], s[0:1]
; %bb.780:                              ;   in Loop: Header=BB375_299 Depth=1
	v_or_b32_e32 v5, 0x10000, v4
	v_cmp_eq_u32_sdwa s[0:1], v4, v11 src0_sel:WORD_0 src1_sel:DWORD
	s_nop 1
	v_cndmask_b32_e64 v53, v5, v4, s[0:1]
; %bb.781:                              ;   in Loop: Header=BB375_299 Depth=1
	s_or_b64 exec, exec, s[6:7]
	v_lshlrev_b32_e32 v4, 16, v34
	v_mul_f32_e32 v4, v44, v4
	v_and_b32_e32 v5, 0x7f800000, v4
	v_cmp_ne_u32_e64 s[0:1], s9, v5
                                        ; implicit-def: $vgpr54
	s_and_saveexec_b64 s[6:7], s[0:1]
	s_xor_b64 s[0:1], exec, s[6:7]
; %bb.782:                              ;   in Loop: Header=BB375_299 Depth=1
	v_bfe_u32 v5, v4, 16, 1
	v_add3_u32 v54, v4, v5, s12
                                        ; implicit-def: $vgpr4
; %bb.783:                              ;   in Loop: Header=BB375_299 Depth=1
	s_andn2_saveexec_b64 s[6:7], s[0:1]
; %bb.784:                              ;   in Loop: Header=BB375_299 Depth=1
	v_or_b32_e32 v5, 0x10000, v4
	v_cmp_eq_u32_sdwa s[0:1], v4, v11 src0_sel:WORD_0 src1_sel:DWORD
	s_nop 1
	v_cndmask_b32_e64 v54, v5, v4, s[0:1]
; %bb.785:                              ;   in Loop: Header=BB375_299 Depth=1
	s_or_b64 exec, exec, s[6:7]
	v_lshlrev_b32_e32 v4, 16, v23
	v_mul_f32_e32 v4, v45, v4
	v_and_b32_e32 v5, 0x7f800000, v4
	v_cmp_ne_u32_e64 s[0:1], s9, v5
                                        ; implicit-def: $vgpr63
	s_and_saveexec_b64 s[6:7], s[0:1]
	s_xor_b64 s[0:1], exec, s[6:7]
; %bb.786:                              ;   in Loop: Header=BB375_299 Depth=1
	v_bfe_u32 v5, v4, 16, 1
	v_add3_u32 v63, v4, v5, s12
                                        ; implicit-def: $vgpr4
; %bb.787:                              ;   in Loop: Header=BB375_299 Depth=1
	s_andn2_saveexec_b64 s[6:7], s[0:1]
; %bb.788:                              ;   in Loop: Header=BB375_299 Depth=1
	v_or_b32_e32 v5, 0x10000, v4
	v_cmp_eq_u32_sdwa s[0:1], v4, v11 src0_sel:WORD_0 src1_sel:DWORD
	s_nop 1
	v_cndmask_b32_e64 v63, v5, v4, s[0:1]
; %bb.789:                              ;   in Loop: Header=BB375_299 Depth=1
	s_or_b64 exec, exec, s[6:7]
	v_lshlrev_b32_e32 v4, 16, v16
	v_mul_f32_e32 v4, v46, v4
	v_and_b32_e32 v5, 0x7f800000, v4
	v_cmp_ne_u32_e64 s[0:1], s9, v5
                                        ; implicit-def: $vgpr36
	s_and_saveexec_b64 s[6:7], s[0:1]
	s_xor_b64 s[0:1], exec, s[6:7]
; %bb.790:                              ;   in Loop: Header=BB375_299 Depth=1
	v_bfe_u32 v5, v4, 16, 1
	v_add3_u32 v36, v4, v5, s12
                                        ; implicit-def: $vgpr4
; %bb.791:                              ;   in Loop: Header=BB375_299 Depth=1
	s_andn2_saveexec_b64 s[6:7], s[0:1]
; %bb.792:                              ;   in Loop: Header=BB375_299 Depth=1
	v_or_b32_e32 v5, 0x10000, v4
	v_cmp_eq_u32_sdwa s[0:1], v4, v11 src0_sel:WORD_0 src1_sel:DWORD
	s_nop 1
	v_cndmask_b32_e64 v36, v5, v4, s[0:1]
; %bb.793:                              ;   in Loop: Header=BB375_299 Depth=1
	s_or_b64 exec, exec, s[6:7]
	flat_load_dwordx2 v[0:1], v[0:1] offset:3584
                                        ; implicit-def: $vgpr16
	s_waitcnt vmcnt(0) lgkmcnt(0)
	v_and_b32_e32 v4, 0xff, v0
	v_cvt_f32_fp8_sdwa v4, v4 src0_sel:BYTE_0
	s_nop 0
	v_mul_f32_e32 v4, v37, v4
	v_and_b32_e32 v5, 0x7f800000, v4
	v_cmp_ne_u32_e64 s[0:1], s9, v5
	s_and_saveexec_b64 s[6:7], s[0:1]
	s_xor_b64 s[0:1], exec, s[6:7]
; %bb.794:                              ;   in Loop: Header=BB375_299 Depth=1
	v_bfe_u32 v5, v4, 16, 1
	v_add3_u32 v16, v4, v5, s12
                                        ; implicit-def: $vgpr4
; %bb.795:                              ;   in Loop: Header=BB375_299 Depth=1
	s_andn2_saveexec_b64 s[6:7], s[0:1]
; %bb.796:                              ;   in Loop: Header=BB375_299 Depth=1
	v_or_b32_e32 v5, 0x10000, v4
	v_cmp_eq_u32_sdwa s[0:1], v4, v11 src0_sel:WORD_0 src1_sel:DWORD
	s_nop 1
	v_cndmask_b32_e64 v16, v5, v4, s[0:1]
; %bb.797:                              ;   in Loop: Header=BB375_299 Depth=1
	s_or_b64 exec, exec, s[6:7]
	v_bfe_u32 v4, v0, 8, 8
	v_cvt_f32_fp8_sdwa v4, v4 src0_sel:BYTE_0
                                        ; implicit-def: $vgpr23
	s_nop 0
	v_mul_f32_e32 v4, v37, v4
	v_and_b32_e32 v5, 0x7f800000, v4
	v_cmp_ne_u32_e64 s[0:1], s9, v5
	s_and_saveexec_b64 s[6:7], s[0:1]
	s_xor_b64 s[0:1], exec, s[6:7]
; %bb.798:                              ;   in Loop: Header=BB375_299 Depth=1
	v_bfe_u32 v5, v4, 16, 1
	v_add3_u32 v23, v4, v5, s12
                                        ; implicit-def: $vgpr4
; %bb.799:                              ;   in Loop: Header=BB375_299 Depth=1
	s_andn2_saveexec_b64 s[6:7], s[0:1]
; %bb.800:                              ;   in Loop: Header=BB375_299 Depth=1
	v_or_b32_e32 v5, 0x10000, v4
	v_cmp_eq_u32_sdwa s[0:1], v4, v11 src0_sel:WORD_0 src1_sel:DWORD
	s_nop 1
	v_cndmask_b32_e64 v23, v5, v4, s[0:1]
; %bb.801:                              ;   in Loop: Header=BB375_299 Depth=1
	s_or_b64 exec, exec, s[6:7]
	v_bfe_u32 v4, v0, 16, 8
	v_cvt_f32_fp8_sdwa v4, v4 src0_sel:BYTE_0
                                        ; implicit-def: $vgpr34
	s_nop 0
	v_mul_f32_e32 v4, v37, v4
	v_and_b32_e32 v5, 0x7f800000, v4
	v_cmp_ne_u32_e64 s[0:1], s9, v5
	s_and_saveexec_b64 s[6:7], s[0:1]
	s_xor_b64 s[0:1], exec, s[6:7]
; %bb.802:                              ;   in Loop: Header=BB375_299 Depth=1
	v_bfe_u32 v5, v4, 16, 1
	v_add3_u32 v34, v4, v5, s12
                                        ; implicit-def: $vgpr4
; %bb.803:                              ;   in Loop: Header=BB375_299 Depth=1
	s_andn2_saveexec_b64 s[6:7], s[0:1]
; %bb.804:                              ;   in Loop: Header=BB375_299 Depth=1
	v_or_b32_e32 v5, 0x10000, v4
	v_cmp_eq_u32_sdwa s[0:1], v4, v11 src0_sel:WORD_0 src1_sel:DWORD
	s_nop 1
	v_cndmask_b32_e64 v34, v5, v4, s[0:1]
; %bb.805:                              ;   in Loop: Header=BB375_299 Depth=1
	s_or_b64 exec, exec, s[6:7]
	v_lshrrev_b32_e32 v0, 24, v0
	v_cvt_f32_fp8_sdwa v0, v0 src0_sel:BYTE_0
	s_nop 0
	v_mul_f32_e32 v4, v37, v0
	v_and_b32_e32 v0, 0x7f800000, v4
	v_cmp_ne_u32_e64 s[0:1], s9, v0
                                        ; implicit-def: $vgpr0
	s_and_saveexec_b64 s[6:7], s[0:1]
	s_xor_b64 s[0:1], exec, s[6:7]
; %bb.806:                              ;   in Loop: Header=BB375_299 Depth=1
	v_bfe_u32 v0, v4, 16, 1
	v_add3_u32 v0, v4, v0, s12
                                        ; implicit-def: $vgpr4
; %bb.807:                              ;   in Loop: Header=BB375_299 Depth=1
	s_andn2_saveexec_b64 s[6:7], s[0:1]
; %bb.808:                              ;   in Loop: Header=BB375_299 Depth=1
	v_or_b32_e32 v0, 0x10000, v4
	v_cmp_eq_u32_sdwa s[0:1], v4, v11 src0_sel:WORD_0 src1_sel:DWORD
	s_nop 1
	v_cndmask_b32_e64 v0, v0, v4, s[0:1]
; %bb.809:                              ;   in Loop: Header=BB375_299 Depth=1
	s_or_b64 exec, exec, s[6:7]
	v_and_b32_e32 v4, 0xff, v1
	v_cvt_f32_fp8_sdwa v4, v4 src0_sel:BYTE_0
	s_nop 0
	v_mul_f32_e32 v5, v37, v4
	v_and_b32_e32 v4, 0x7f800000, v5
	v_cmp_ne_u32_e64 s[0:1], s9, v4
                                        ; implicit-def: $vgpr4
	s_and_saveexec_b64 s[6:7], s[0:1]
	s_xor_b64 s[0:1], exec, s[6:7]
; %bb.810:                              ;   in Loop: Header=BB375_299 Depth=1
	v_bfe_u32 v4, v5, 16, 1
	v_add3_u32 v4, v5, v4, s12
                                        ; implicit-def: $vgpr5
; %bb.811:                              ;   in Loop: Header=BB375_299 Depth=1
	s_andn2_saveexec_b64 s[6:7], s[0:1]
; %bb.812:                              ;   in Loop: Header=BB375_299 Depth=1
	v_or_b32_e32 v4, 0x10000, v5
	v_cmp_eq_u32_sdwa s[0:1], v5, v11 src0_sel:WORD_0 src1_sel:DWORD
	s_nop 1
	v_cndmask_b32_e64 v4, v4, v5, s[0:1]
; %bb.813:                              ;   in Loop: Header=BB375_299 Depth=1
	s_or_b64 exec, exec, s[6:7]
	v_bfe_u32 v5, v1, 8, 8
	v_cvt_f32_fp8_sdwa v5, v5 src0_sel:BYTE_0
	s_nop 0
	v_mul_f32_e32 v29, v37, v5
	v_and_b32_e32 v5, 0x7f800000, v29
	v_cmp_ne_u32_e64 s[0:1], s9, v5
                                        ; implicit-def: $vgpr5
	s_and_saveexec_b64 s[6:7], s[0:1]
	s_xor_b64 s[0:1], exec, s[6:7]
; %bb.814:                              ;   in Loop: Header=BB375_299 Depth=1
	v_bfe_u32 v5, v29, 16, 1
	v_add3_u32 v5, v29, v5, s12
                                        ; implicit-def: $vgpr29
; %bb.815:                              ;   in Loop: Header=BB375_299 Depth=1
	s_andn2_saveexec_b64 s[6:7], s[0:1]
; %bb.816:                              ;   in Loop: Header=BB375_299 Depth=1
	v_or_b32_e32 v5, 0x10000, v29
	v_cmp_eq_u32_sdwa s[0:1], v29, v11 src0_sel:WORD_0 src1_sel:DWORD
	s_nop 1
	v_cndmask_b32_e64 v5, v5, v29, s[0:1]
; %bb.817:                              ;   in Loop: Header=BB375_299 Depth=1
	s_or_b64 exec, exec, s[6:7]
	v_bfe_u32 v29, v1, 16, 8
	v_cvt_f32_fp8_sdwa v29, v29 src0_sel:BYTE_0
	s_nop 0
	v_mul_f32_e32 v29, v37, v29
	v_and_b32_e32 v30, 0x7f800000, v29
	v_cmp_ne_u32_e64 s[0:1], s9, v30
                                        ; implicit-def: $vgpr30
	s_and_saveexec_b64 s[6:7], s[0:1]
	s_xor_b64 s[0:1], exec, s[6:7]
; %bb.818:                              ;   in Loop: Header=BB375_299 Depth=1
	v_bfe_u32 v30, v29, 16, 1
	v_add3_u32 v30, v29, v30, s12
                                        ; implicit-def: $vgpr29
; %bb.819:                              ;   in Loop: Header=BB375_299 Depth=1
	s_andn2_saveexec_b64 s[6:7], s[0:1]
; %bb.820:                              ;   in Loop: Header=BB375_299 Depth=1
	v_or_b32_e32 v30, 0x10000, v29
	v_cmp_eq_u32_sdwa s[0:1], v29, v11 src0_sel:WORD_0 src1_sel:DWORD
	s_nop 1
	v_cndmask_b32_e64 v30, v30, v29, s[0:1]
; %bb.821:                              ;   in Loop: Header=BB375_299 Depth=1
	s_or_b64 exec, exec, s[6:7]
	v_lshrrev_b32_e32 v1, 24, v1
	v_cvt_f32_fp8_sdwa v1, v1 src0_sel:BYTE_0
	s_nop 0
	v_mul_f32_e32 v1, v37, v1
	v_and_b32_e32 v29, 0x7f800000, v1
	v_cmp_ne_u32_e64 s[0:1], s9, v29
                                        ; implicit-def: $vgpr29
	s_and_saveexec_b64 s[6:7], s[0:1]
	s_xor_b64 s[0:1], exec, s[6:7]
; %bb.822:                              ;   in Loop: Header=BB375_299 Depth=1
	v_bfe_u32 v29, v1, 16, 1
	v_add3_u32 v29, v1, v29, s12
                                        ; implicit-def: $vgpr1
; %bb.823:                              ;   in Loop: Header=BB375_299 Depth=1
	s_andn2_saveexec_b64 s[6:7], s[0:1]
; %bb.824:                              ;   in Loop: Header=BB375_299 Depth=1
	v_or_b32_e32 v29, 0x10000, v1
	v_cmp_eq_u32_sdwa s[0:1], v1, v11 src0_sel:WORD_0 src1_sel:DWORD
	s_nop 1
	v_cndmask_b32_e64 v29, v29, v1, s[0:1]
; %bb.825:                              ;   in Loop: Header=BB375_299 Depth=1
	s_or_b64 exec, exec, s[6:7]
	v_lshrrev_b32_e32 v5, 16, v5
	v_lshrrev_b32_e32 v4, 16, v4
	;; [unrolled: 1-line block ×8, first 2 shown]
	s_and_saveexec_b64 s[0:1], vcc
	s_cbranch_execz .LBB375_827
; %bb.826:                              ;   in Loop: Header=BB375_299 Depth=1
	v_accvgpr_read_b32 v16, a21
	v_cmp_lt_i32_e32 vcc, v16, v35
	v_accvgpr_read_b32 v16, a27
	s_nop 0
	v_cndmask_b32_e32 v0, 0, v0, vcc
	v_cmp_lt_i32_e32 vcc, v16, v35
	v_accvgpr_read_b32 v16, a26
	s_nop 0
	v_cndmask_b32_e32 v1, 0, v1, vcc
	;; [unrolled: 4-line block ×6, first 2 shown]
	v_cmp_lt_i32_e32 vcc, v16, v35
	s_nop 1
	v_cndmask_b32_e32 v34, 0, v34, vcc
	v_cmp_lt_i32_e32 vcc, v10, v35
	s_nop 1
	v_cndmask_b32_e32 v23, 0, v23, vcc
.LBB375_827:                            ;   in Loop: Header=BB375_299 Depth=1
	s_or_b64 exec, exec, s[0:1]
	v_lshlrev_b32_e32 v0, 16, v0
	v_mul_f32_e32 v16, v55, v0
	v_and_b32_e32 v0, 0x7f800000, v16
	v_cmp_ne_u32_e32 vcc, s9, v0
                                        ; implicit-def: $vgpr0
	s_and_saveexec_b64 s[0:1], vcc
	s_xor_b64 s[0:1], exec, s[0:1]
; %bb.828:                              ;   in Loop: Header=BB375_299 Depth=1
	v_bfe_u32 v0, v16, 16, 1
	v_add3_u32 v0, v16, v0, s12
                                        ; implicit-def: $vgpr16
; %bb.829:                              ;   in Loop: Header=BB375_299 Depth=1
	s_andn2_saveexec_b64 s[0:1], s[0:1]
; %bb.830:                              ;   in Loop: Header=BB375_299 Depth=1
	v_or_b32_e32 v0, 0x10000, v16
	v_cmp_eq_u32_sdwa vcc, v16, v11 src0_sel:WORD_0 src1_sel:DWORD
	s_nop 1
	v_cndmask_b32_e32 v0, v0, v16, vcc
; %bb.831:                              ;   in Loop: Header=BB375_299 Depth=1
	s_or_b64 exec, exec, s[0:1]
	v_lshlrev_b32_e32 v1, 16, v1
	v_mul_f32_e32 v16, v40, v1
	v_and_b32_e32 v1, 0x7f800000, v16
	v_cmp_ne_u32_e32 vcc, s9, v1
                                        ; implicit-def: $vgpr1
	s_and_saveexec_b64 s[0:1], vcc
	s_xor_b64 s[0:1], exec, s[0:1]
; %bb.832:                              ;   in Loop: Header=BB375_299 Depth=1
	v_bfe_u32 v1, v16, 16, 1
	v_add3_u32 v1, v16, v1, s12
                                        ; implicit-def: $vgpr16
; %bb.833:                              ;   in Loop: Header=BB375_299 Depth=1
	s_andn2_saveexec_b64 s[0:1], s[0:1]
; %bb.834:                              ;   in Loop: Header=BB375_299 Depth=1
	v_or_b32_e32 v1, 0x10000, v16
	v_cmp_eq_u32_sdwa vcc, v16, v11 src0_sel:WORD_0 src1_sel:DWORD
	s_nop 1
	v_cndmask_b32_e32 v1, v1, v16, vcc
; %bb.835:                              ;   in Loop: Header=BB375_299 Depth=1
	s_or_b64 exec, exec, s[0:1]
	v_lshlrev_b32_e32 v16, 16, v33
	v_mul_f32_e32 v29, v41, v16
	v_and_b32_e32 v16, 0x7f800000, v29
	v_cmp_ne_u32_e32 vcc, s9, v16
                                        ; implicit-def: $vgpr16
	s_and_saveexec_b64 s[0:1], vcc
	s_xor_b64 s[0:1], exec, s[0:1]
; %bb.836:                              ;   in Loop: Header=BB375_299 Depth=1
	v_bfe_u32 v16, v29, 16, 1
	v_add3_u32 v16, v29, v16, s12
                                        ; implicit-def: $vgpr29
; %bb.837:                              ;   in Loop: Header=BB375_299 Depth=1
	s_andn2_saveexec_b64 s[0:1], s[0:1]
; %bb.838:                              ;   in Loop: Header=BB375_299 Depth=1
	v_or_b32_e32 v16, 0x10000, v29
	v_cmp_eq_u32_sdwa vcc, v29, v11 src0_sel:WORD_0 src1_sel:DWORD
	s_nop 1
	v_cndmask_b32_e32 v16, v16, v29, vcc
; %bb.839:                              ;   in Loop: Header=BB375_299 Depth=1
	s_or_b64 exec, exec, s[0:1]
	v_lshlrev_b32_e32 v29, 16, v32
	v_mul_f32_e32 v29, v42, v29
	v_and_b32_e32 v30, 0x7f800000, v29
	v_cmp_ne_u32_e32 vcc, s9, v30
                                        ; implicit-def: $vgpr55
	s_and_saveexec_b64 s[0:1], vcc
	s_xor_b64 s[0:1], exec, s[0:1]
; %bb.840:                              ;   in Loop: Header=BB375_299 Depth=1
	v_bfe_u32 v30, v29, 16, 1
	v_add3_u32 v55, v29, v30, s12
                                        ; implicit-def: $vgpr29
; %bb.841:                              ;   in Loop: Header=BB375_299 Depth=1
	s_andn2_saveexec_b64 s[0:1], s[0:1]
; %bb.842:                              ;   in Loop: Header=BB375_299 Depth=1
	v_or_b32_e32 v30, 0x10000, v29
	v_cmp_eq_u32_sdwa vcc, v29, v11 src0_sel:WORD_0 src1_sel:DWORD
	s_nop 1
	v_cndmask_b32_e32 v55, v30, v29, vcc
; %bb.843:                              ;   in Loop: Header=BB375_299 Depth=1
	s_or_b64 exec, exec, s[0:1]
	v_lshlrev_b32_e32 v4, 16, v4
	v_mul_f32_e32 v4, v43, v4
	v_and_b32_e32 v29, 0x7f800000, v4
	v_cmp_ne_u32_e32 vcc, s9, v29
                                        ; implicit-def: $vgpr40
	s_and_saveexec_b64 s[0:1], vcc
	s_xor_b64 s[0:1], exec, s[0:1]
; %bb.844:                              ;   in Loop: Header=BB375_299 Depth=1
	v_bfe_u32 v29, v4, 16, 1
	v_add3_u32 v40, v4, v29, s12
                                        ; implicit-def: $vgpr4
; %bb.845:                              ;   in Loop: Header=BB375_299 Depth=1
	s_andn2_saveexec_b64 s[0:1], s[0:1]
; %bb.846:                              ;   in Loop: Header=BB375_299 Depth=1
	v_or_b32_e32 v29, 0x10000, v4
	v_cmp_eq_u32_sdwa vcc, v4, v11 src0_sel:WORD_0 src1_sel:DWORD
	s_nop 1
	v_cndmask_b32_e32 v40, v29, v4, vcc
; %bb.847:                              ;   in Loop: Header=BB375_299 Depth=1
	s_or_b64 exec, exec, s[0:1]
	v_lshlrev_b32_e32 v4, 16, v5
	v_mul_f32_e32 v4, v44, v4
	v_and_b32_e32 v5, 0x7f800000, v4
	v_cmp_ne_u32_e32 vcc, s9, v5
                                        ; implicit-def: $vgpr41
	s_and_saveexec_b64 s[0:1], vcc
	s_xor_b64 s[0:1], exec, s[0:1]
; %bb.848:                              ;   in Loop: Header=BB375_299 Depth=1
	v_bfe_u32 v5, v4, 16, 1
	v_add3_u32 v41, v4, v5, s12
                                        ; implicit-def: $vgpr4
; %bb.849:                              ;   in Loop: Header=BB375_299 Depth=1
	s_andn2_saveexec_b64 s[0:1], s[0:1]
; %bb.850:                              ;   in Loop: Header=BB375_299 Depth=1
	v_or_b32_e32 v5, 0x10000, v4
	v_cmp_eq_u32_sdwa vcc, v4, v11 src0_sel:WORD_0 src1_sel:DWORD
	s_nop 1
	v_cndmask_b32_e32 v41, v5, v4, vcc
; %bb.851:                              ;   in Loop: Header=BB375_299 Depth=1
	s_or_b64 exec, exec, s[0:1]
	v_lshlrev_b32_e32 v4, 16, v34
	v_mul_f32_e32 v4, v45, v4
	v_and_b32_e32 v5, 0x7f800000, v4
	v_cmp_ne_u32_e32 vcc, s9, v5
                                        ; implicit-def: $vgpr5
	s_and_saveexec_b64 s[0:1], vcc
	s_xor_b64 s[0:1], exec, s[0:1]
; %bb.852:                              ;   in Loop: Header=BB375_299 Depth=1
	v_bfe_u32 v5, v4, 16, 1
	v_add3_u32 v5, v4, v5, s12
                                        ; implicit-def: $vgpr4
; %bb.853:                              ;   in Loop: Header=BB375_299 Depth=1
	s_andn2_saveexec_b64 s[0:1], s[0:1]
; %bb.854:                              ;   in Loop: Header=BB375_299 Depth=1
	v_or_b32_e32 v5, 0x10000, v4
	v_cmp_eq_u32_sdwa vcc, v4, v11 src0_sel:WORD_0 src1_sel:DWORD
	s_nop 1
	v_cndmask_b32_e32 v5, v5, v4, vcc
; %bb.855:                              ;   in Loop: Header=BB375_299 Depth=1
	s_or_b64 exec, exec, s[0:1]
	v_lshlrev_b32_e32 v4, 16, v23
	v_mul_f32_e32 v23, v46, v4
	v_and_b32_e32 v4, 0x7f800000, v23
	v_cmp_ne_u32_e32 vcc, s9, v4
                                        ; implicit-def: $vgpr4
	s_and_saveexec_b64 s[0:1], vcc
	s_xor_b64 s[0:1], exec, s[0:1]
; %bb.856:                              ;   in Loop: Header=BB375_299 Depth=1
	v_bfe_u32 v4, v23, 16, 1
	v_add3_u32 v4, v23, v4, s12
                                        ; implicit-def: $vgpr23
; %bb.857:                              ;   in Loop: Header=BB375_299 Depth=1
	s_andn2_saveexec_b64 s[0:1], s[0:1]
	s_cbranch_execz .LBB375_298
; %bb.858:                              ;   in Loop: Header=BB375_299 Depth=1
	v_or_b32_e32 v4, 0x10000, v23
	v_cmp_eq_u32_sdwa vcc, v23, v11 src0_sel:WORD_0 src1_sel:DWORD
	s_nop 1
	v_cndmask_b32_e32 v4, v4, v23, vcc
	s_branch .LBB375_298
.LBB375_859:
	s_or_b64 exec, exec, s[4:5]
	v_accvgpr_read_b32 v22, a5
	v_accvgpr_read_b32 v23, a8
	;; [unrolled: 1-line block ×4, first 2 shown]
.LBB375_860:
	s_or_b64 exec, exec, s[2:3]
	ds_bpermute_b32 v0, v23, v24
	ds_bpermute_b32 v1, v23, v25
	ds_bpermute_b32 v6, v23, v18
	ds_bpermute_b32 v7, v23, v19
	ds_bpermute_b32 v8, v23, v12
	ds_bpermute_b32 v9, v23, v13
	s_waitcnt lgkmcnt(0)
	v_pk_add_f32 v[0:1], v[24:25], v[0:1]
	ds_bpermute_b32 v4, v28, v0
	v_pk_add_f32 v[6:7], v[18:19], v[6:7]
	ds_bpermute_b32 v5, v28, v1
	;; [unrolled: 2-line block ×3, first 2 shown]
	ds_bpermute_b32 v15, v28, v7
	ds_bpermute_b32 v16, v28, v12
	;; [unrolled: 1-line block ×3, first 2 shown]
	s_waitcnt lgkmcnt(0)
	v_pk_add_f32 v[8:9], v[0:1], v[4:5]
	v_pk_add_f32 v[0:1], v[6:7], v[14:15]
	s_barrier
	v_pk_add_f32 v[6:7], v[12:13], v[16:17]
	scratch_load_dword v12, off, s32 offset:284 ; 4-byte Folded Reload
	ds_bpermute_b32 v2, v23, v20
	ds_bpermute_b32 v3, v23, v21
	s_waitcnt lgkmcnt(0)
	v_pk_add_f32 v[2:3], v[20:21], v[2:3]
	ds_bpermute_b32 v10, v28, v2
	ds_bpermute_b32 v11, v28, v3
	s_waitcnt lgkmcnt(0)
	v_pk_add_f32 v[2:3], v[2:3], v[10:11]
	s_waitcnt vmcnt(0)
	v_and_b32_e32 v4, 0x3c3, v12
	v_cmp_eq_u32_e32 vcc, 64, v4
	s_and_saveexec_b64 s[0:1], vcc
	s_cbranch_execz .LBB375_862
; %bb.861:
	s_ashr_i32 s19, s18, 31
	s_lshl_b64 s[2:3], s[18:19], 2
	s_getpc_b64 s[4:5]
	s_add_u32 s4, s4, llvm.amdgcn.dynlds.offset.table@rel32@lo+4
	s_addc_u32 s5, s5, llvm.amdgcn.dynlds.offset.table@rel32@hi+12
	s_add_u32 s2, s2, s4
	s_addc_u32 s3, s3, s5
	s_load_dword s2, s[2:3], 0x0
	s_waitcnt lgkmcnt(0)
	v_add_u32_e32 v4, s2, v22
	ds_write2_b32 v4, v8, v9 offset1:16
	ds_write2_b32 v4, v2, v3 offset0:32 offset1:48
	ds_write2_b32 v4, v0, v1 offset0:64 offset1:80
	;; [unrolled: 1-line block ×3, first 2 shown]
.LBB375_862:
	s_or_b64 exec, exec, s[0:1]
	v_cmp_gt_u32_e32 vcc, 64, v12
	s_waitcnt lgkmcnt(0)
	s_barrier
	s_and_saveexec_b64 s[2:3], vcc
	s_cbranch_execz .LBB375_873
; %bb.863:
	v_cmp_eq_u32_e64 s[0:1], 0, v29
	v_lshrrev_b32_e32 v4, 2, v12
	s_and_saveexec_b64 s[4:5], s[0:1]
	s_cbranch_execnz .LBB375_909
; %bb.864:
	s_or_b64 exec, exec, s[4:5]
	s_and_saveexec_b64 s[4:5], s[0:1]
	s_cbranch_execnz .LBB375_910
.LBB375_865:
	s_or_b64 exec, exec, s[4:5]
	s_and_saveexec_b64 s[4:5], s[0:1]
	s_cbranch_execnz .LBB375_911
.LBB375_866:
	s_or_b64 exec, exec, s[4:5]
	s_and_saveexec_b64 s[4:5], s[0:1]
	s_cbranch_execnz .LBB375_912
.LBB375_867:
	s_or_b64 exec, exec, s[4:5]
	s_and_saveexec_b64 s[4:5], s[0:1]
	s_cbranch_execnz .LBB375_913
.LBB375_868:
	s_or_b64 exec, exec, s[4:5]
	s_and_saveexec_b64 s[4:5], s[0:1]
	s_cbranch_execnz .LBB375_914
.LBB375_869:
	s_or_b64 exec, exec, s[4:5]
	s_and_saveexec_b64 s[4:5], s[0:1]
	s_cbranch_execnz .LBB375_915
.LBB375_870:
	s_or_b64 exec, exec, s[4:5]
	s_and_saveexec_b64 s[4:5], s[0:1]
	s_cbranch_execz .LBB375_872
.LBB375_871:
	s_ashr_i32 s19, s18, 31
	s_lshl_b64 s[0:1], s[18:19], 2
	s_getpc_b64 s[6:7]
	s_add_u32 s6, s6, llvm.amdgcn.dynlds.offset.table@rel32@lo+4
	s_addc_u32 s7, s7, llvm.amdgcn.dynlds.offset.table@rel32@hi+12
	s_add_u32 s0, s0, s6
	s_addc_u32 s1, s1, s7
	s_load_dword s0, s[0:1], 0x0
	s_waitcnt lgkmcnt(0)
	v_lshl_add_u32 v4, v4, 2, s0
	ds_read_b32 v4, v4 offset:448
	s_waitcnt lgkmcnt(0)
	v_add_f32_e32 v7, v7, v4
.LBB375_872:
	s_or_b64 exec, exec, s[4:5]
.LBB375_873:
	s_or_b64 exec, exec, s[2:3]
	s_barrier
	s_and_b64 exec, exec, vcc
	s_cbranch_execz .LBB375_908
; %bb.874:
	v_cmp_eq_u32_e32 vcc, 0, v29
	s_and_b64 exec, exec, vcc
	s_cbranch_execz .LBB375_908
; %bb.875:
	s_mov_b32 s0, 0x7f800000
	v_and_b32_e32 v4, 0x7f800000, v8
	v_cmp_ne_u32_e32 vcc, s0, v4
                                        ; implicit-def: $vgpr4
	s_and_saveexec_b64 s[0:1], vcc
	s_xor_b64 s[0:1], exec, s[0:1]
; %bb.876:
	v_bfe_u32 v4, v8, 16, 1
	s_movk_i32 s2, 0x7fff
	v_add3_u32 v4, v8, v4, s2
; %bb.877:
	s_andn2_saveexec_b64 s[0:1], s[0:1]
; %bb.878:
	v_mov_b32_e32 v4, 0
	v_or_b32_e32 v5, 0x10000, v8
	v_cmp_eq_u32_sdwa vcc, v8, v4 src0_sel:WORD_0 src1_sel:DWORD
	s_nop 1
	v_cndmask_b32_e32 v4, v5, v8, vcc
; %bb.879:
	s_or_b64 exec, exec, s[0:1]
	scratch_load_dwordx2 v[10:11], off, s32 offset:288 ; 8-byte Folded Reload
	s_mul_i32 s0, s8, s16
	s_mul_i32 s0, s0, s17
	s_lshl_b32 s0, s0, 7
	s_mul_i32 s2, s20, s8
	s_lshl_b32 s4, s14, 7
	s_ashr_i32 s1, s0, 31
	s_ashr_i32 s3, s2, 31
	;; [unrolled: 1-line block ×3, first 2 shown]
	s_lshl_b64 s[0:1], s[0:1], 1
	s_lshl_b64 s[2:3], s[2:3], 1
	s_lshl_b64 s[4:5], s[4:5], 1
	s_add_u32 s2, s4, s2
	s_addc_u32 s3, s5, s3
	s_add_u32 s0, s2, s0
	s_addc_u32 s1, s3, s1
	v_lshrrev_b32_e32 v5, 1, v12
	v_and_b32_e32 v12, 0x1fe, v5
	v_mov_b32_e32 v13, 0
	s_waitcnt vmcnt(0)
	v_lshl_add_u64 v[10:11], s[0:1], 0, v[10:11]
	v_lshl_add_u64 v[10:11], v[10:11], 0, v[12:13]
	flat_store_short_d16_hi v[10:11], v4
	s_mov_b32 s0, 0x7f800000
	v_and_b32_e32 v4, 0x7f800000, v9
	v_cmp_ne_u32_e32 vcc, s0, v4
                                        ; implicit-def: $vgpr4
	s_and_saveexec_b64 s[0:1], vcc
	s_xor_b64 s[0:1], exec, s[0:1]
; %bb.880:
	v_bfe_u32 v4, v9, 16, 1
	s_movk_i32 s2, 0x7fff
	v_add3_u32 v4, v9, v4, s2
; %bb.881:
	s_andn2_saveexec_b64 s[0:1], s[0:1]
; %bb.882:
	v_mov_b32_e32 v4, 0
	v_or_b32_e32 v5, 0x10000, v9
	v_cmp_eq_u32_sdwa vcc, v9, v4 src0_sel:WORD_0 src1_sel:DWORD
	s_nop 1
	v_cndmask_b32_e32 v4, v5, v9, vcc
; %bb.883:
	s_or_b64 exec, exec, s[0:1]
	flat_store_short_d16_hi v[10:11], v4 offset:32
	s_mov_b32 s0, 0x7f800000
	v_and_b32_e32 v4, 0x7f800000, v2
	v_cmp_ne_u32_e32 vcc, s0, v4
                                        ; implicit-def: $vgpr4
	s_and_saveexec_b64 s[0:1], vcc
	s_xor_b64 s[0:1], exec, s[0:1]
; %bb.884:
	v_bfe_u32 v4, v2, 16, 1
	s_movk_i32 s2, 0x7fff
	v_add3_u32 v4, v2, v4, s2
; %bb.885:
	s_andn2_saveexec_b64 s[0:1], s[0:1]
; %bb.886:
	v_mov_b32_e32 v4, 0
	v_or_b32_e32 v5, 0x10000, v2
	v_cmp_eq_u32_sdwa vcc, v2, v4 src0_sel:WORD_0 src1_sel:DWORD
	s_nop 1
	v_cndmask_b32_e32 v4, v5, v2, vcc
; %bb.887:
	s_or_b64 exec, exec, s[0:1]
	s_mov_b32 s0, 0x7f800000
	v_and_b32_e32 v2, 0x7f800000, v3
	v_cmp_ne_u32_e32 vcc, s0, v2
	flat_store_short_d16_hi v[10:11], v4 offset:64
                                        ; implicit-def: $vgpr2
	s_and_saveexec_b64 s[0:1], vcc
	s_xor_b64 s[0:1], exec, s[0:1]
; %bb.888:
	v_bfe_u32 v2, v3, 16, 1
	s_movk_i32 s2, 0x7fff
	v_add3_u32 v2, v3, v2, s2
; %bb.889:
	s_andn2_saveexec_b64 s[0:1], s[0:1]
; %bb.890:
	v_mov_b32_e32 v2, 0
	v_or_b32_e32 v4, 0x10000, v3
	v_cmp_eq_u32_sdwa vcc, v3, v2 src0_sel:WORD_0 src1_sel:DWORD
	s_nop 1
	v_cndmask_b32_e32 v2, v4, v3, vcc
; %bb.891:
	s_or_b64 exec, exec, s[0:1]
	flat_store_short_d16_hi v[10:11], v2 offset:96
	s_mov_b32 s0, 0x7f800000
	v_and_b32_e32 v2, 0x7f800000, v0
	v_cmp_ne_u32_e32 vcc, s0, v2
                                        ; implicit-def: $vgpr2
	s_and_saveexec_b64 s[0:1], vcc
	s_xor_b64 s[0:1], exec, s[0:1]
; %bb.892:
	v_bfe_u32 v2, v0, 16, 1
	s_movk_i32 s2, 0x7fff
	v_add3_u32 v2, v0, v2, s2
; %bb.893:
	s_andn2_saveexec_b64 s[0:1], s[0:1]
; %bb.894:
	v_mov_b32_e32 v2, 0
	v_or_b32_e32 v3, 0x10000, v0
	v_cmp_eq_u32_sdwa vcc, v0, v2 src0_sel:WORD_0 src1_sel:DWORD
	s_nop 1
	v_cndmask_b32_e32 v2, v3, v0, vcc
; %bb.895:
	s_or_b64 exec, exec, s[0:1]
	s_mov_b32 s0, 0x7f800000
	v_and_b32_e32 v0, 0x7f800000, v1
	v_cmp_ne_u32_e32 vcc, s0, v0
	flat_store_short_d16_hi v[10:11], v2 offset:128
                                        ; implicit-def: $vgpr0
	s_and_saveexec_b64 s[0:1], vcc
	s_xor_b64 s[0:1], exec, s[0:1]
; %bb.896:
	v_bfe_u32 v0, v1, 16, 1
	s_movk_i32 s2, 0x7fff
	v_add3_u32 v0, v1, v0, s2
; %bb.897:
	s_andn2_saveexec_b64 s[0:1], s[0:1]
; %bb.898:
	v_mov_b32_e32 v0, 0
	v_or_b32_e32 v2, 0x10000, v1
	v_cmp_eq_u32_sdwa vcc, v1, v0 src0_sel:WORD_0 src1_sel:DWORD
	s_nop 1
	v_cndmask_b32_e32 v0, v2, v1, vcc
; %bb.899:
	s_or_b64 exec, exec, s[0:1]
	flat_store_short_d16_hi v[10:11], v0 offset:160
	s_mov_b32 s0, 0x7f800000
	v_and_b32_e32 v0, 0x7f800000, v6
	v_cmp_ne_u32_e32 vcc, s0, v0
                                        ; implicit-def: $vgpr0
	s_and_saveexec_b64 s[0:1], vcc
	s_xor_b64 s[0:1], exec, s[0:1]
; %bb.900:
	v_bfe_u32 v0, v6, 16, 1
	s_movk_i32 s2, 0x7fff
	v_add3_u32 v0, v6, v0, s2
; %bb.901:
	s_andn2_saveexec_b64 s[0:1], s[0:1]
; %bb.902:
	v_mov_b32_e32 v0, 0
	v_or_b32_e32 v1, 0x10000, v6
	v_cmp_eq_u32_sdwa vcc, v6, v0 src0_sel:WORD_0 src1_sel:DWORD
	s_nop 1
	v_cndmask_b32_e32 v0, v1, v6, vcc
; %bb.903:
	s_or_b64 exec, exec, s[0:1]
	flat_store_short_d16_hi v[10:11], v0 offset:192
	s_mov_b32 s0, 0x7f800000
	v_and_b32_e32 v0, 0x7f800000, v7
	v_cmp_ne_u32_e32 vcc, s0, v0
                                        ; implicit-def: $vgpr8
	s_and_saveexec_b64 s[0:1], vcc
	s_xor_b64 s[0:1], exec, s[0:1]
; %bb.904:
	v_bfe_u32 v0, v7, 16, 1
	s_movk_i32 s2, 0x7fff
	v_add3_u32 v8, v7, v0, s2
                                        ; implicit-def: $vgpr0_vgpr1_vgpr2_vgpr3_vgpr4_vgpr5_vgpr6_vgpr7
; %bb.905:
	s_andn2_saveexec_b64 s[0:1], s[0:1]
; %bb.906:
	v_mov_b32_e32 v0, 0
	v_or_b32_e32 v1, 0x10000, v7
	v_cmp_eq_u32_sdwa vcc, v7, v0 src0_sel:WORD_0 src1_sel:DWORD
	s_nop 1
	v_cndmask_b32_e32 v8, v1, v7, vcc
; %bb.907:
	s_or_b64 exec, exec, s[0:1]
	flat_store_short_d16_hi v[10:11], v8 offset:224
.LBB375_908:
	s_or_b64 exec, exec, s[10:11]
	scratch_load_dword a63, off, s32        ; 4-byte Folded Reload
	scratch_load_dword a62, off, s32 offset:4 ; 4-byte Folded Reload
	scratch_load_dword a61, off, s32 offset:8 ; 4-byte Folded Reload
	;; [unrolled: 1-line block ×47, first 2 shown]
	s_waitcnt vmcnt(0) lgkmcnt(0)
	s_setpc_b64 s[30:31]
.LBB375_909:
	s_ashr_i32 s19, s18, 31
	s_lshl_b64 s[6:7], s[18:19], 2
	s_getpc_b64 s[12:13]
	s_add_u32 s12, s12, llvm.amdgcn.dynlds.offset.table@rel32@lo+4
	s_addc_u32 s13, s13, llvm.amdgcn.dynlds.offset.table@rel32@hi+12
	s_add_u32 s6, s6, s12
	s_addc_u32 s7, s7, s13
	s_load_dword s6, s[6:7], 0x0
	s_waitcnt lgkmcnt(0)
	v_lshl_add_u32 v5, v4, 2, s6
	ds_read_b32 v5, v5
	s_waitcnt lgkmcnt(0)
	v_add_f32_e32 v8, v8, v5
	s_or_b64 exec, exec, s[4:5]
	s_and_saveexec_b64 s[4:5], s[0:1]
	s_cbranch_execz .LBB375_865
.LBB375_910:
	s_ashr_i32 s19, s18, 31
	s_lshl_b64 s[6:7], s[18:19], 2
	s_getpc_b64 s[12:13]
	s_add_u32 s12, s12, llvm.amdgcn.dynlds.offset.table@rel32@lo+4
	s_addc_u32 s13, s13, llvm.amdgcn.dynlds.offset.table@rel32@hi+12
	s_add_u32 s6, s6, s12
	s_addc_u32 s7, s7, s13
	s_load_dword s6, s[6:7], 0x0
	s_waitcnt lgkmcnt(0)
	v_lshl_add_u32 v5, v4, 2, s6
	ds_read_b32 v5, v5 offset:64
	s_waitcnt lgkmcnt(0)
	v_add_f32_e32 v9, v9, v5
	s_or_b64 exec, exec, s[4:5]
	s_and_saveexec_b64 s[4:5], s[0:1]
	s_cbranch_execz .LBB375_866
.LBB375_911:
	s_ashr_i32 s19, s18, 31
	s_lshl_b64 s[6:7], s[18:19], 2
	s_getpc_b64 s[12:13]
	s_add_u32 s12, s12, llvm.amdgcn.dynlds.offset.table@rel32@lo+4
	s_addc_u32 s13, s13, llvm.amdgcn.dynlds.offset.table@rel32@hi+12
	s_add_u32 s6, s6, s12
	s_addc_u32 s7, s7, s13
	s_load_dword s6, s[6:7], 0x0
	s_waitcnt lgkmcnt(0)
	v_lshl_add_u32 v5, v4, 2, s6
	ds_read_b32 v5, v5 offset:128
	s_waitcnt lgkmcnt(0)
	v_add_f32_e32 v2, v2, v5
	s_or_b64 exec, exec, s[4:5]
	s_and_saveexec_b64 s[4:5], s[0:1]
	s_cbranch_execz .LBB375_867
.LBB375_912:
	s_ashr_i32 s19, s18, 31
	s_lshl_b64 s[6:7], s[18:19], 2
	s_getpc_b64 s[12:13]
	s_add_u32 s12, s12, llvm.amdgcn.dynlds.offset.table@rel32@lo+4
	s_addc_u32 s13, s13, llvm.amdgcn.dynlds.offset.table@rel32@hi+12
	s_add_u32 s6, s6, s12
	s_addc_u32 s7, s7, s13
	s_load_dword s6, s[6:7], 0x0
	s_waitcnt lgkmcnt(0)
	v_lshl_add_u32 v5, v4, 2, s6
	ds_read_b32 v5, v5 offset:192
	s_waitcnt lgkmcnt(0)
	v_add_f32_e32 v3, v3, v5
	s_or_b64 exec, exec, s[4:5]
	s_and_saveexec_b64 s[4:5], s[0:1]
	s_cbranch_execz .LBB375_868
.LBB375_913:
	s_ashr_i32 s19, s18, 31
	s_lshl_b64 s[6:7], s[18:19], 2
	s_getpc_b64 s[12:13]
	s_add_u32 s12, s12, llvm.amdgcn.dynlds.offset.table@rel32@lo+4
	s_addc_u32 s13, s13, llvm.amdgcn.dynlds.offset.table@rel32@hi+12
	s_add_u32 s6, s6, s12
	s_addc_u32 s7, s7, s13
	s_load_dword s6, s[6:7], 0x0
	s_waitcnt lgkmcnt(0)
	v_lshl_add_u32 v5, v4, 2, s6
	ds_read_b32 v5, v5 offset:256
	s_waitcnt lgkmcnt(0)
	v_add_f32_e32 v0, v0, v5
	s_or_b64 exec, exec, s[4:5]
	s_and_saveexec_b64 s[4:5], s[0:1]
	s_cbranch_execz .LBB375_869
.LBB375_914:
	s_ashr_i32 s19, s18, 31
	s_lshl_b64 s[6:7], s[18:19], 2
	s_getpc_b64 s[12:13]
	s_add_u32 s12, s12, llvm.amdgcn.dynlds.offset.table@rel32@lo+4
	s_addc_u32 s13, s13, llvm.amdgcn.dynlds.offset.table@rel32@hi+12
	s_add_u32 s6, s6, s12
	s_addc_u32 s7, s7, s13
	s_load_dword s6, s[6:7], 0x0
	s_waitcnt lgkmcnt(0)
	v_lshl_add_u32 v5, v4, 2, s6
	ds_read_b32 v5, v5 offset:320
	s_waitcnt lgkmcnt(0)
	v_add_f32_e32 v1, v1, v5
	s_or_b64 exec, exec, s[4:5]
	s_and_saveexec_b64 s[4:5], s[0:1]
	s_cbranch_execz .LBB375_870
.LBB375_915:
	s_ashr_i32 s19, s18, 31
	s_lshl_b64 s[6:7], s[18:19], 2
	s_getpc_b64 s[12:13]
	s_add_u32 s12, s12, llvm.amdgcn.dynlds.offset.table@rel32@lo+4
	s_addc_u32 s13, s13, llvm.amdgcn.dynlds.offset.table@rel32@hi+12
	s_add_u32 s6, s6, s12
	s_addc_u32 s7, s7, s13
	s_load_dword s6, s[6:7], 0x0
	s_waitcnt lgkmcnt(0)
	v_lshl_add_u32 v5, v4, 2, s6
	ds_read_b32 v5, v5 offset:384
	s_waitcnt lgkmcnt(0)
	v_add_f32_e32 v6, v6, v5
	s_or_b64 exec, exec, s[4:5]
	s_and_saveexec_b64 s[4:5], s[0:1]
	s_cbranch_execnz .LBB375_871
	s_branch .LBB375_872
.Lfunc_end375:
	.size	_ZN4vllm22paged_attention_kernelI14__hip_bfloat16hLi128ELi32ELi128ELNS_18Fp8KVCacheDataTypeE1ELb0ELi512EEEvPfS3_PT_PKS4_PKT0_SA_ifPKiSC_iPKfiiiSE_SE_iiiii, .Lfunc_end375-_ZN4vllm22paged_attention_kernelI14__hip_bfloat16hLi128ELi32ELi128ELNS_18Fp8KVCacheDataTypeE1ELb0ELi512EEEvPfS3_PT_PKS4_PKT0_SA_ifPKiSC_iPKfiiiSE_SE_iiiii
                                        ; -- End function
	.section	.AMDGPU.csdata,"",@progbits
; Function info:
; codeLenInByte = 31460
; NumSgprs: 39
; NumVgprs: 64
; NumAgprs: 64
; TotalNumVgprs: 128
; ScratchSize: 380
; MemoryBound: 0
	.section	.text._ZN4vllm25paged_attention_v2_kernelI14__hip_bfloat16hLi128ELi32ELi128ELNS_18Fp8KVCacheDataTypeE1ELb0ELi512EEEvPfS3_PT_PKS4_PKT0_SA_ifPKiSC_iPKfiiiSE_SE_iiiii,"axG",@progbits,_ZN4vllm25paged_attention_v2_kernelI14__hip_bfloat16hLi128ELi32ELi128ELNS_18Fp8KVCacheDataTypeE1ELb0ELi512EEEvPfS3_PT_PKS4_PKT0_SA_ifPKiSC_iPKfiiiSE_SE_iiiii,comdat
	.protected	_ZN4vllm25paged_attention_v2_kernelI14__hip_bfloat16hLi128ELi32ELi128ELNS_18Fp8KVCacheDataTypeE1ELb0ELi512EEEvPfS3_PT_PKS4_PKT0_SA_ifPKiSC_iPKfiiiSE_SE_iiiii ; -- Begin function _ZN4vllm25paged_attention_v2_kernelI14__hip_bfloat16hLi128ELi32ELi128ELNS_18Fp8KVCacheDataTypeE1ELb0ELi512EEEvPfS3_PT_PKS4_PKT0_SA_ifPKiSC_iPKfiiiSE_SE_iiiii
	.globl	_ZN4vllm25paged_attention_v2_kernelI14__hip_bfloat16hLi128ELi32ELi128ELNS_18Fp8KVCacheDataTypeE1ELb0ELi512EEEvPfS3_PT_PKS4_PKT0_SA_ifPKiSC_iPKfiiiSE_SE_iiiii
	.p2align	8
	.type	_ZN4vllm25paged_attention_v2_kernelI14__hip_bfloat16hLi128ELi32ELi128ELNS_18Fp8KVCacheDataTypeE1ELb0ELi512EEEvPfS3_PT_PKS4_PKT0_SA_ifPKiSC_iPKfiiiSE_SE_iiiii,@function
_ZN4vllm25paged_attention_v2_kernelI14__hip_bfloat16hLi128ELi32ELi128ELNS_18Fp8KVCacheDataTypeE1ELb0ELi512EEEvPfS3_PT_PKS4_PKT0_SA_ifPKiSC_iPKfiiiSE_SE_iiiii: ; @_ZN4vllm25paged_attention_v2_kernelI14__hip_bfloat16hLi128ELi32ELi128ELNS_18Fp8KVCacheDataTypeE1ELb0ELi512EEEvPfS3_PT_PKS4_PKT0_SA_ifPKiSC_iPKfiiiSE_SE_iiiii
; %bb.0:
	s_load_dwordx8 s[24:31], s[0:1], 0x0
	s_load_dwordx8 s[16:23], s[0:1], 0x20
	s_load_dwordx2 s[6:7], s[0:1], 0x40
	s_load_dwordx2 s[10:11], s[0:1], 0x50
	s_load_dword s5, s[0:1], 0x48
	s_load_dwordx8 s[36:43], s[0:1], 0x58
	s_add_u32 s8, s0, 0x90
	s_addc_u32 s9, s1, 0
	s_mov_b32 s12, s2
	s_mov_b32 s13, s3
	;; [unrolled: 1-line block ×4, first 2 shown]
	v_mov_b32_e32 v31, v0
	s_waitcnt lgkmcnt(0)
	v_mov_b32_e32 v0, s24
	v_mov_b32_e32 v1, s25
	;; [unrolled: 1-line block ×28, first 2 shown]
	s_mov_b32 s32, 0
	s_getpc_b64 s[0:1]
	s_add_u32 s0, s0, _ZN4vllm22paged_attention_kernelI14__hip_bfloat16hLi128ELi32ELi128ELNS_18Fp8KVCacheDataTypeE1ELb0ELi512EEEvPfS3_PT_PKS4_PKT0_SA_ifPKiSC_iPKfiiiSE_SE_iiiii@rel32@lo+4
	s_addc_u32 s1, s1, _ZN4vllm22paged_attention_kernelI14__hip_bfloat16hLi128ELi32ELi128ELNS_18Fp8KVCacheDataTypeE1ELb0ELi512EEEvPfS3_PT_PKS4_PKT0_SA_ifPKiSC_iPKfiiiSE_SE_iiiii@rel32@hi+12
	s_swappc_b64 s[30:31], s[0:1]
	s_endpgm
	.section	.rodata,"a",@progbits
	.p2align	6, 0x0
	.amdhsa_kernel _ZN4vllm25paged_attention_v2_kernelI14__hip_bfloat16hLi128ELi32ELi128ELNS_18Fp8KVCacheDataTypeE1ELb0ELi512EEEvPfS3_PT_PKS4_PKT0_SA_ifPKiSC_iPKfiiiSE_SE_iiiii
		.amdhsa_group_segment_fixed_size 272
		.amdhsa_private_segment_fixed_size 380
		.amdhsa_kernarg_size 400
		.amdhsa_user_sgpr_count 2
		.amdhsa_user_sgpr_dispatch_ptr 0
		.amdhsa_user_sgpr_queue_ptr 0
		.amdhsa_user_sgpr_kernarg_segment_ptr 1
		.amdhsa_user_sgpr_dispatch_id 0
		.amdhsa_user_sgpr_kernarg_preload_length 0
		.amdhsa_user_sgpr_kernarg_preload_offset 0
		.amdhsa_user_sgpr_private_segment_size 0
		.amdhsa_uses_dynamic_stack 0
		.amdhsa_enable_private_segment 1
		.amdhsa_system_sgpr_workgroup_id_x 1
		.amdhsa_system_sgpr_workgroup_id_y 1
		.amdhsa_system_sgpr_workgroup_id_z 1
		.amdhsa_system_sgpr_workgroup_info 0
		.amdhsa_system_vgpr_workitem_id 0
		.amdhsa_next_free_vgpr 128
		.amdhsa_next_free_sgpr 44
		.amdhsa_accum_offset 64
		.amdhsa_reserve_vcc 1
		.amdhsa_float_round_mode_32 0
		.amdhsa_float_round_mode_16_64 0
		.amdhsa_float_denorm_mode_32 3
		.amdhsa_float_denorm_mode_16_64 3
		.amdhsa_dx10_clamp 1
		.amdhsa_ieee_mode 1
		.amdhsa_fp16_overflow 0
		.amdhsa_tg_split 0
		.amdhsa_exception_fp_ieee_invalid_op 0
		.amdhsa_exception_fp_denorm_src 0
		.amdhsa_exception_fp_ieee_div_zero 0
		.amdhsa_exception_fp_ieee_overflow 0
		.amdhsa_exception_fp_ieee_underflow 0
		.amdhsa_exception_fp_ieee_inexact 0
		.amdhsa_exception_int_div_zero 0
	.end_amdhsa_kernel
	.section	.text._ZN4vllm25paged_attention_v2_kernelI14__hip_bfloat16hLi128ELi32ELi128ELNS_18Fp8KVCacheDataTypeE1ELb0ELi512EEEvPfS3_PT_PKS4_PKT0_SA_ifPKiSC_iPKfiiiSE_SE_iiiii,"axG",@progbits,_ZN4vllm25paged_attention_v2_kernelI14__hip_bfloat16hLi128ELi32ELi128ELNS_18Fp8KVCacheDataTypeE1ELb0ELi512EEEvPfS3_PT_PKS4_PKT0_SA_ifPKiSC_iPKfiiiSE_SE_iiiii,comdat
.Lfunc_end376:
	.size	_ZN4vllm25paged_attention_v2_kernelI14__hip_bfloat16hLi128ELi32ELi128ELNS_18Fp8KVCacheDataTypeE1ELb0ELi512EEEvPfS3_PT_PKS4_PKT0_SA_ifPKiSC_iPKfiiiSE_SE_iiiii, .Lfunc_end376-_ZN4vllm25paged_attention_v2_kernelI14__hip_bfloat16hLi128ELi32ELi128ELNS_18Fp8KVCacheDataTypeE1ELb0ELi512EEEvPfS3_PT_PKS4_PKT0_SA_ifPKiSC_iPKfiiiSE_SE_iiiii
                                        ; -- End function
	.section	.AMDGPU.csdata,"",@progbits
; Kernel info:
; codeLenInByte = 228
; NumSgprs: 50
; NumVgprs: 64
; NumAgprs: 64
; TotalNumVgprs: 128
; ScratchSize: 380
; MemoryBound: 0
; FloatMode: 240
; IeeeMode: 1
; LDSByteSize: 272 bytes/workgroup (compile time only)
; SGPRBlocks: 6
; VGPRBlocks: 15
; NumSGPRsForWavesPerEU: 50
; NumVGPRsForWavesPerEU: 128
; AccumOffset: 64
; Occupancy: 4
; WaveLimiterHint : 1
; COMPUTE_PGM_RSRC2:SCRATCH_EN: 1
; COMPUTE_PGM_RSRC2:USER_SGPR: 2
; COMPUTE_PGM_RSRC2:TRAP_HANDLER: 0
; COMPUTE_PGM_RSRC2:TGID_X_EN: 1
; COMPUTE_PGM_RSRC2:TGID_Y_EN: 1
; COMPUTE_PGM_RSRC2:TGID_Z_EN: 1
; COMPUTE_PGM_RSRC2:TIDIG_COMP_CNT: 0
; COMPUTE_PGM_RSRC3_GFX90A:ACCUM_OFFSET: 15
; COMPUTE_PGM_RSRC3_GFX90A:TG_SPLIT: 0
	.text
	.p2align	2                               ; -- Begin function _ZN4vllm22paged_attention_kernelI14__hip_bfloat16hLi192ELi32ELi128ELNS_18Fp8KVCacheDataTypeE1ELb0ELi512EEEvPfS3_PT_PKS4_PKT0_SA_ifPKiSC_iPKfiiiSE_SE_iiiii
	.type	_ZN4vllm22paged_attention_kernelI14__hip_bfloat16hLi192ELi32ELi128ELNS_18Fp8KVCacheDataTypeE1ELb0ELi512EEEvPfS3_PT_PKS4_PKT0_SA_ifPKiSC_iPKfiiiSE_SE_iiiii,@function
_ZN4vllm22paged_attention_kernelI14__hip_bfloat16hLi192ELi32ELi128ELNS_18Fp8KVCacheDataTypeE1ELb0ELi512EEEvPfS3_PT_PKS4_PKT0_SA_ifPKiSC_iPKfiiiSE_SE_iiiii: ; @_ZN4vllm22paged_attention_kernelI14__hip_bfloat16hLi192ELi32ELi128ELNS_18Fp8KVCacheDataTypeE1ELb0ELi512EEEvPfS3_PT_PKS4_PKT0_SA_ifPKiSC_iPKfiiiSE_SE_iiiii
; %bb.0:
	s_waitcnt vmcnt(0) expcnt(0) lgkmcnt(0)
	s_or_saveexec_b64 s[0:1], -1
	scratch_store_dword off, v63, s32 offset:656 ; 4-byte Folded Spill
	s_mov_b64 exec, s[0:1]
	scratch_store_dword off, v40, s32 offset:184 ; 4-byte Folded Spill
	scratch_store_dword off, v41, s32 offset:180 ; 4-byte Folded Spill
	scratch_store_dword off, v42, s32 offset:176 ; 4-byte Folded Spill
	scratch_store_dword off, v43, s32 offset:172 ; 4-byte Folded Spill
	scratch_store_dword off, v44, s32 offset:168 ; 4-byte Folded Spill
	scratch_store_dword off, v45, s32 offset:164 ; 4-byte Folded Spill
	scratch_store_dword off, v46, s32 offset:160 ; 4-byte Folded Spill
	scratch_store_dword off, v47, s32 offset:156 ; 4-byte Folded Spill
	scratch_store_dword off, v56, s32 offset:152 ; 4-byte Folded Spill
	scratch_store_dword off, v57, s32 offset:148 ; 4-byte Folded Spill
	scratch_store_dword off, v58, s32 offset:144 ; 4-byte Folded Spill
	scratch_store_dword off, v59, s32 offset:140 ; 4-byte Folded Spill
	scratch_store_dword off, v60, s32 offset:136 ; 4-byte Folded Spill
	scratch_store_dword off, v61, s32 offset:132 ; 4-byte Folded Spill
	scratch_store_dword off, v62, s32 offset:128 ; 4-byte Folded Spill
	scratch_store_dword off, a32, s32 offset:124 ; 4-byte Folded Spill
	scratch_store_dword off, a33, s32 offset:120 ; 4-byte Folded Spill
	scratch_store_dword off, a34, s32 offset:116 ; 4-byte Folded Spill
	scratch_store_dword off, a35, s32 offset:112 ; 4-byte Folded Spill
	scratch_store_dword off, a36, s32 offset:108 ; 4-byte Folded Spill
	scratch_store_dword off, a37, s32 offset:104 ; 4-byte Folded Spill
	scratch_store_dword off, a38, s32 offset:100 ; 4-byte Folded Spill
	scratch_store_dword off, a39, s32 offset:96 ; 4-byte Folded Spill
	scratch_store_dword off, a40, s32 offset:92 ; 4-byte Folded Spill
	scratch_store_dword off, a41, s32 offset:88 ; 4-byte Folded Spill
	scratch_store_dword off, a42, s32 offset:84 ; 4-byte Folded Spill
	scratch_store_dword off, a43, s32 offset:80 ; 4-byte Folded Spill
	scratch_store_dword off, a44, s32 offset:76 ; 4-byte Folded Spill
	scratch_store_dword off, a45, s32 offset:72 ; 4-byte Folded Spill
	scratch_store_dword off, a46, s32 offset:68 ; 4-byte Folded Spill
	scratch_store_dword off, a47, s32 offset:64 ; 4-byte Folded Spill
	scratch_store_dword off, a48, s32 offset:60 ; 4-byte Folded Spill
	scratch_store_dword off, a49, s32 offset:56 ; 4-byte Folded Spill
	scratch_store_dword off, a50, s32 offset:52 ; 4-byte Folded Spill
	scratch_store_dword off, a51, s32 offset:48 ; 4-byte Folded Spill
	scratch_store_dword off, a52, s32 offset:44 ; 4-byte Folded Spill
	scratch_store_dword off, a53, s32 offset:40 ; 4-byte Folded Spill
	scratch_store_dword off, a54, s32 offset:36 ; 4-byte Folded Spill
	scratch_store_dword off, a55, s32 offset:32 ; 4-byte Folded Spill
	scratch_store_dword off, a56, s32 offset:28 ; 4-byte Folded Spill
	scratch_store_dword off, a57, s32 offset:24 ; 4-byte Folded Spill
	scratch_store_dword off, a58, s32 offset:20 ; 4-byte Folded Spill
	scratch_store_dword off, a59, s32 offset:16 ; 4-byte Folded Spill
	scratch_store_dword off, a60, s32 offset:12 ; 4-byte Folded Spill
	scratch_store_dword off, a61, s32 offset:8 ; 4-byte Folded Spill
	scratch_store_dword off, a62, s32 offset:4 ; 4-byte Folded Spill
	scratch_store_dword off, a63, s32       ; 4-byte Folded Spill
	v_writelane_b32 v63, s34, 0
	v_writelane_b32 v63, s35, 1
	;; [unrolled: 1-line block ×7, first 2 shown]
	s_nop 1
	v_writelane_b32 v63, s31, 7
	s_mov_b32 s16, s13
	v_accvgpr_write_b32 a24, v24
	s_ashr_i32 s17, s13, 31
	v_accvgpr_write_b32 a25, v25
	v_mov_b32_e32 v25, v1
	v_mov_b32_e32 v24, v0
	v_lshl_add_u64 v[0:1], s[16:17], 2, v[16:17]
	flat_load_dword v49, v[0:1]
	s_lshl_b32 s36, s14, 9
	v_mov_b32_e32 v29, v20
	v_mov_b32_e32 v28, v19
	v_accvgpr_write_b32 a26, v13
	v_mov_b32_e32 v37, v11
	v_mov_b32_e32 v36, v10
	;; [unrolled: 1-line block ×4, first 2 shown]
	scratch_store_dwordx2 off, v[22:23], s32 offset:192 ; 8-byte Folded Spill
	scratch_store_dwordx2 off, v[4:5], s32 offset:572 ; 8-byte Folded Spill
	s_waitcnt vmcnt(0) lgkmcnt(0)
	v_cmp_lt_i32_e32 vcc, s36, v49
	s_and_saveexec_b64 s[10:11], vcc
	s_cbranch_execz .LBB377_1322
; %bb.1:
	v_sub_u32_e32 v0, 0, v12
	v_max_i32_e32 v0, v12, v0
	v_cvt_f32_u32_e32 v1, v0
	s_load_dword s0, s[8:9], 0x10
	s_load_dword s2, s[8:9], 0x0
	v_sub_u32_e32 v3, 0, v0
	s_mov_b32 s18, s15
	v_rcp_iflag_f32_e32 v1, v1
	s_waitcnt lgkmcnt(0)
	s_lshr_b32 s0, s0, 16
	s_cmp_lg_u32 s0, 0
	s_cselect_b64 s[0:1], -1, 0
	v_mul_f32_e32 v1, 0x4f7ffffe, v1
	v_cvt_u32_f32_e32 v1, v1
	s_cmp_lg_u64 s[0:1], 0
	s_addc_u32 s17, s2, 0
	s_abs_i32 s0, s17
	v_mul_lo_u32 v3, v3, v1
	v_mul_hi_u32 v3, v1, v3
	v_add_u32_e32 v1, v1, v3
	v_mul_hi_u32 v1, s0, v1
	v_mul_lo_u32 v3, v1, v0
	v_sub_u32_e32 v3, s0, v3
	v_add_u32_e32 v4, 1, v1
	v_cmp_ge_u32_e32 vcc, v3, v0
	v_xor_b32_e32 v2, s17, v12
	v_ashrrev_i32_e32 v2, 31, v2
	v_cndmask_b32_e32 v1, v1, v4, vcc
	v_sub_u32_e32 v4, v3, v0
	v_cndmask_b32_e32 v3, v3, v4, vcc
	v_add_u32_e32 v4, 1, v1
	v_cmp_ge_u32_e32 vcc, v3, v0
	s_abs_i32 s2, s12
	s_nop 0
	v_cndmask_b32_e32 v0, v1, v4, vcc
	v_xor_b32_e32 v0, v0, v2
	v_sub_u32_e32 v0, v0, v2
	v_sub_u32_e32 v1, 0, v0
	v_max_i32_e32 v1, v0, v1
	v_cvt_f32_u32_e32 v2, v1
	v_sub_u32_e32 v3, 0, v1
	v_cmp_ne_u64_e32 vcc, 0, v[28:29]
	v_rcp_iflag_f32_e32 v2, v2
	s_nop 0
	v_mul_f32_e32 v2, 0x4f7ffffe, v2
	v_cvt_u32_f32_e32 v2, v2
	v_mul_lo_u32 v3, v3, v2
	v_mul_hi_u32 v3, v2, v3
	v_add_u32_e32 v2, v2, v3
	v_mad_u64_u32 v[16:17], s[0:1], s2, v2, 0
	v_mov_b32_e32 v2, 0
	scratch_store_dword off, v2, s32 offset:560 ; 4-byte Folded Spill
	s_and_saveexec_b64 s[0:1], vcc
	s_cbranch_execz .LBB377_3
; %bb.2:
	s_ashr_i32 s13, s12, 31
	v_lshl_add_u64 v[2:3], s[12:13], 2, v[28:29]
	flat_load_dword v2, v[2:3]
	s_waitcnt vmcnt(0) lgkmcnt(0)
	scratch_store_dword off, v2, s32 offset:560 ; 4-byte Folded Spill
.LBB377_3:
	s_or_b64 exec, exec, s[0:1]
	v_and_b32_e32 v19, 0x3ff, v31
	s_ashr_i32 s3, s12, 31
	v_ashrrev_i32_e32 v2, 31, v0
	v_and_b32_e32 v0, 1, v19
	s_movk_i32 s4, 0xc0
	s_mul_i32 s20, s12, 0xc0
	v_cmp_gt_u32_e32 vcc, 48, v19
	v_lshlrev_b32_e32 v4, 3, v19
	scratch_store_dwordx2 off, v[4:5], s32 offset:596 ; 8-byte Folded Spill
	s_and_saveexec_b64 s[0:1], vcc
	s_cbranch_execz .LBB377_5
; %bb.4:
	v_mul_lo_u32 v4, s16, v21
	v_ashrrev_i32_e32 v5, 31, v4
	v_lshl_add_u64 v[4:5], v[4:5], 1, v[6:7]
	s_ashr_i32 s21, s20, 31
	v_lshl_add_u64 v[4:5], s[20:21], 1, v[4:5]
	v_lshlrev_b32_e32 v6, 3, v19
	v_mov_b32_e32 v7, 0
	v_lshl_add_u64 v[4:5], v[4:5], 0, v[6:7]
	flat_load_dwordx2 v[4:5], v[4:5]
	v_lshlrev_b32_e32 v3, 2, v19
	v_and_b32_e32 v3, 0xff8, v3
	v_mov_b32_e32 v10, v6
	v_mad_u32_u24 v3, v0, s4, v3
	scratch_store_dwordx2 off, v[10:11], s32 offset:596 ; 8-byte Folded Spill
	s_waitcnt vmcnt(0) lgkmcnt(0)
	ds_write_b64 v3, v[4:5]
.LBB377_5:
	s_or_b64 exec, exec, s[0:1]
	v_add_u32_e32 v3, 31, v49
	v_ashrrev_i32_e32 v4, 31, v3
	v_lshrrev_b32_e32 v4, 27, v4
	v_add_u32_e32 v3, v3, v4
	v_ashrrev_i32_e32 v22, 5, v3
	v_mul_lo_u32 v3, v17, v1
	v_sub_u32_e32 v3, s2, v3
	v_add_u32_e32 v4, 1, v17
	v_cmp_ge_u32_e32 vcc, v3, v1
	v_sub_u32_e32 v5, v3, v1
	s_lshl_b32 s15, s14, 4
	v_cndmask_b32_e32 v4, v17, v4, vcc
	v_cndmask_b32_e32 v3, v3, v5, vcc
	v_add_u32_e32 v5, 1, v4
	v_cmp_ge_u32_e32 vcc, v3, v1
	s_add_i32 s0, s15, 16
	v_lshrrev_b32_e32 v7, 6, v19
	v_xor_b32_e32 v2, s3, v2
	v_cndmask_b32_e32 v1, v4, v5, vcc
	v_mul_lo_u32 v4, s16, v18
	v_min_i32_e32 v6, s0, v22
	v_xor_b32_e32 v1, v1, v2
	v_ashrrev_i32_e32 v5, 31, v4
	v_or_b32_e32 v10, s15, v7
	v_sub_u32_e32 v2, v1, v2
	s_waitcnt lgkmcnt(0)
	s_barrier
	scratch_store_dwordx2 off, v[4:5], s32 offset:580 ; 8-byte Folded Spill
	scratch_store_dword off, v7, s32 offset:564 ; 4-byte Folded Spill
	v_cmp_lt_i32_e64 s[0:1], v10, v6
	v_mov_b32_e32 v4, v10
	v_cmp_ge_i32_e32 vcc, v10, v6
	v_mbcnt_lo_u32_b32 v1, -1, 0
	scratch_store_dword off, v6, s32 offset:188 ; 4-byte Folded Spill
                                        ; implicit-def: $sgpr4
                                        ; implicit-def: $vgpr10
                                        ; implicit-def: $vgpr11
	s_and_saveexec_b64 s[2:3], vcc
	s_xor_b64 s[2:3], exec, s[2:3]
; %bb.6:
	v_mbcnt_hi_u32_b32 v10, -1, v1
	v_and_b32_e32 v0, 64, v10
	v_add_u32_e32 v11, 64, v0
	s_mov_b32 s4, 0xff7fffff
                                        ; implicit-def: $vgpr0
                                        ; kill: killed $vgpr0
                                        ; implicit-def: $agpr26
                                        ; implicit-def: $agpr24
                                        ; implicit-def: $vgpr8
                                        ; implicit-def: $vgpr0
                                        ; implicit-def: $vgpr1
; %bb.7:
	s_or_saveexec_b64 s[6:7], s[2:3]
	s_load_dword s21, s[8:9], 0x14
	s_load_dword s13, s[8:9], 0x8
	v_ashrrev_i32_e32 v5, 31, v4
	v_mul_lo_u32 v2, v2, v23
	v_accvgpr_write_b32 a7, v5
	v_mov_b32_e32 v6, s4
	v_accvgpr_write_b32 a6, v4
	v_ashrrev_i32_e32 v3, 31, v2
	scratch_store_dwordx2 off, v[2:3], s32 offset:588 ; 8-byte Folded Spill
	scratch_store_dword off, v19, s32 offset:568 ; 4-byte Folded Spill
	s_xor_b64 exec, exec, s[6:7]
	s_cbranch_execz .LBB377_397
; %bb.8:
	scratch_store_dword off, v22, s32 offset:604 ; 4-byte Folded Spill
	scratch_store_dwordx2 off, v[38:39], s32 offset:616 ; 8-byte Folded Spill
	scratch_store_dwordx2 off, v[24:25], s32 offset:624 ; 8-byte Folded Spill
	;; [unrolled: 1-line block ×4, first 2 shown]
	v_mul_u32_u24_e32 v2, 0xc0, v0
	ds_read_b128 v[4:7], v2
	ds_read_b128 v[10:13], v2 offset:16
	ds_read_b128 v[24:27], v2 offset:32
	v_mov_b32_e32 v22, v19
	ds_read_b128 v[18:21], v2 offset:48
	s_waitcnt lgkmcnt(0)
	v_lshlrev_b32_e32 v3, 16, v4
	scratch_store_dword off, v3, s32 offset:204 ; 4-byte Folded Spill
	v_and_b32_e32 v3, 0xffff0000, v4
	scratch_store_dword off, v3, s32 offset:208 ; 4-byte Folded Spill
	v_lshlrev_b32_e32 v3, 16, v5
	scratch_store_dword off, v3, s32 offset:212 ; 4-byte Folded Spill
	v_and_b32_e32 v3, 0xffff0000, v5
	scratch_store_dword off, v3, s32 offset:216 ; 4-byte Folded Spill
	;; [unrolled: 4-line block ×3, first 2 shown]
	v_lshlrev_b32_e32 v3, 16, v7
	scratch_store_dword off, v3, s32 offset:228 ; 4-byte Folded Spill
	v_and_b32_e32 v3, 0xffff0000, v7
	ds_read_b128 v[4:7], v2 offset:64
	scratch_store_dword off, v3, s32 offset:232 ; 4-byte Folded Spill
	v_lshlrev_b32_e32 v3, 16, v10
	scratch_store_dword off, v3, s32 offset:240 ; 4-byte Folded Spill
	v_and_b32_e32 v3, 0xffff0000, v10
	scratch_store_dword off, v3, s32 offset:248 ; 4-byte Folded Spill
	v_lshlrev_b32_e32 v3, 16, v11
	scratch_store_dword off, v3, s32 offset:256 ; 4-byte Folded Spill
	v_and_b32_e32 v3, 0xffff0000, v11
	;; [unrolled: 4-line block ×12, first 2 shown]
	scratch_store_dword off, v3, s32 offset:348 ; 4-byte Folded Spill
	s_waitcnt lgkmcnt(0)
	v_lshlrev_b32_e32 v3, 16, v4
	scratch_store_dword off, v3, s32 offset:352 ; 4-byte Folded Spill
	v_and_b32_e32 v3, 0xffff0000, v4
	scratch_store_dword off, v3, s32 offset:356 ; 4-byte Folded Spill
	v_lshlrev_b32_e32 v3, 16, v5
	ds_read_b128 v[10:13], v2 offset:80
	scratch_store_dword off, v3, s32 offset:360 ; 4-byte Folded Spill
	v_and_b32_e32 v3, 0xffff0000, v5
	scratch_store_dword off, v3, s32 offset:364 ; 4-byte Folded Spill
	v_lshlrev_b32_e32 v3, 16, v6
	scratch_store_dword off, v3, s32 offset:368 ; 4-byte Folded Spill
	v_and_b32_e32 v3, 0xffff0000, v6
	scratch_store_dword off, v3, s32 offset:372 ; 4-byte Folded Spill
	v_lshlrev_b32_e32 v3, 16, v7
	scratch_store_dword off, v3, s32 offset:376 ; 4-byte Folded Spill
	v_and_b32_e32 v3, 0xffff0000, v7
	scratch_store_dword off, v3, s32 offset:384 ; 4-byte Folded Spill
	s_waitcnt lgkmcnt(0)
	v_lshlrev_b32_e32 v3, 16, v10
	scratch_store_dword off, v3, s32 offset:380 ; 4-byte Folded Spill
	v_and_b32_e32 v3, 0xffff0000, v10
	scratch_store_dword off, v3, s32 offset:388 ; 4-byte Folded Spill
	v_lshlrev_b32_e32 v3, 16, v11
	scratch_store_dword off, v3, s32 offset:392 ; 4-byte Folded Spill
	v_and_b32_e32 v3, 0xffff0000, v11
	scratch_store_dword off, v3, s32 offset:396 ; 4-byte Folded Spill
	;; [unrolled: 4-line block ×4, first 2 shown]
	ds_read_b128 v[4:7], v2 offset:96
	ds_read_b128 v[10:13], v2 offset:112
	v_mbcnt_hi_u32_b32 v1, -1, v1
	v_cmp_eq_u32_e64 s[2:3], 0, v0
	s_ashr_i32 s19, s18, 31
	s_waitcnt lgkmcnt(1)
	v_lshlrev_b32_e32 v3, 16, v4
	scratch_store_dword off, v3, s32 offset:416 ; 4-byte Folded Spill
	v_and_b32_e32 v3, 0xffff0000, v4
	scratch_store_dword off, v3, s32 offset:420 ; 4-byte Folded Spill
	v_lshlrev_b32_e32 v3, 16, v5
	scratch_store_dword off, v3, s32 offset:424 ; 4-byte Folded Spill
	v_and_b32_e32 v3, 0xffff0000, v5
	scratch_store_dword off, v3, s32 offset:428 ; 4-byte Folded Spill
	;; [unrolled: 4-line block ×4, first 2 shown]
	s_waitcnt lgkmcnt(0)
	v_lshlrev_b32_e32 v3, 16, v10
	scratch_store_dword off, v3, s32 offset:448 ; 4-byte Folded Spill
	v_and_b32_e32 v3, 0xffff0000, v10
	scratch_store_dword off, v3, s32 offset:452 ; 4-byte Folded Spill
	v_lshlrev_b32_e32 v3, 16, v11
	scratch_store_dword off, v3, s32 offset:456 ; 4-byte Folded Spill
	v_and_b32_e32 v3, 0xffff0000, v11
	scratch_store_dword off, v3, s32 offset:460 ; 4-byte Folded Spill
	;; [unrolled: 4-line block ×4, first 2 shown]
	ds_read_b128 v[4:7], v2 offset:128
	ds_read_b128 v[10:13], v2 offset:144
	s_lshl_b64 s[8:9], s[18:19], 2
	s_getpc_b64 s[22:23]
	s_add_u32 s22, s22, llvm.amdgcn.dynlds.offset.table@rel32@lo+4
	s_addc_u32 s23, s23, llvm.amdgcn.dynlds.offset.table@rel32@hi+12
	s_add_u32 s8, s8, s22
	s_waitcnt lgkmcnt(1)
	v_lshlrev_b32_e32 v3, 16, v4
	scratch_store_dword off, v3, s32 offset:480 ; 4-byte Folded Spill
	v_and_b32_e32 v3, 0xffff0000, v4
	scratch_store_dword off, v3, s32 offset:484 ; 4-byte Folded Spill
	v_lshlrev_b32_e32 v3, 16, v5
	scratch_store_dword off, v3, s32 offset:488 ; 4-byte Folded Spill
	v_and_b32_e32 v3, 0xffff0000, v5
	scratch_store_dword off, v3, s32 offset:492 ; 4-byte Folded Spill
	;; [unrolled: 4-line block ×4, first 2 shown]
	s_waitcnt lgkmcnt(0)
	v_lshlrev_b32_e32 v3, 16, v10
	scratch_store_dword off, v3, s32 offset:512 ; 4-byte Folded Spill
	v_and_b32_e32 v3, 0xffff0000, v10
	scratch_store_dword off, v3, s32 offset:516 ; 4-byte Folded Spill
	v_lshlrev_b32_e32 v3, 16, v11
	scratch_store_dword off, v3, s32 offset:520 ; 4-byte Folded Spill
	v_and_b32_e32 v3, 0xffff0000, v11
	scratch_store_dword off, v3, s32 offset:524 ; 4-byte Folded Spill
	;; [unrolled: 4-line block ×4, first 2 shown]
	ds_read_b128 v[4:7], v2 offset:160
	ds_read_b128 v[10:13], v2 offset:176
	scratch_store_dword off, v1, s32 offset:612 ; 4-byte Folded Spill
	s_addc_u32 s9, s9, s23
	s_mov_b64 s[22:23], 0
	s_waitcnt lgkmcnt(1)
	v_lshlrev_b32_e32 v2, 16, v4
	scratch_store_dword off, v2, s32 offset:544 ; 4-byte Folded Spill
	v_and_b32_e32 v2, 0xffff0000, v4
	scratch_store_dword off, v2, s32 offset:548 ; 4-byte Folded Spill
	v_lshlrev_b32_e32 v2, 16, v5
	scratch_store_dword off, v2, s32 offset:552 ; 4-byte Folded Spill
	v_and_b32_e32 v2, 0xffff0000, v5
	scratch_store_dword off, v2, s32 offset:556 ; 4-byte Folded Spill
	v_lshlrev_b32_e32 v2, 16, v6
	v_accvgpr_write_b32 a55, v2
	v_and_b32_e32 v2, 0xffff0000, v6
	v_accvgpr_write_b32 a56, v2
	v_lshlrev_b32_e32 v2, 16, v7
	v_accvgpr_write_b32 a57, v2
	v_and_b32_e32 v2, 0xffff0000, v7
	v_accvgpr_write_b32 a2, v2
	s_waitcnt lgkmcnt(0)
	v_lshlrev_b32_e32 v2, 16, v10
	v_accvgpr_write_b32 a58, v2
	v_and_b32_e32 v2, 0xffff0000, v10
	v_accvgpr_write_b32 a59, v2
	v_lshlrev_b32_e32 v2, 16, v11
	v_accvgpr_write_b32 a60, v2
	v_and_b32_e32 v2, 0xffff0000, v11
	v_accvgpr_write_b32 a61, v2
	;; [unrolled: 4-line block ×4, first 2 shown]
	scratch_load_dwordx2 v[2:3], off, s32 offset:588 ; 8-byte Folded Reload
	v_bfe_u32 v4, v22, 1, 5
	scratch_load_dwordx2 v[6:7], off, s32 offset:580 ; 8-byte Folded Reload
	s_mov_b32 s19, 0x7f800000
	s_movk_i32 s37, 0x7fff
	s_mov_b64 s[24:25], 0x1000
	s_mov_b64 s[26:27], 0x1200
	;; [unrolled: 1-line block ×4, first 2 shown]
	scratch_store_dwordx2 off, v[14:15], s32 offset:648 ; 8-byte Folded Spill
	s_waitcnt vmcnt(2)
	v_lshl_add_u64 v[2:3], v[8:9], 0, v[2:3]
	v_lshlrev_b32_e32 v8, 4, v4
	v_mov_b32_e32 v9, 0
	v_lshl_add_u64 v[2:3], v[2:3], 0, v[8:9]
	v_accvgpr_write_b32 a0, v2
	v_lshlrev_b32_e32 v8, 2, v0
	v_and_b32_e32 v0, 64, v1
	v_accvgpr_write_b32 a1, v3
	v_add_u32_e32 v2, 64, v0
	v_xor_b32_e32 v0, 1, v1
	v_cmp_lt_i32_e32 vcc, v0, v2
	scratch_store_dword off, v2, s32 offset:608 ; 4-byte Folded Spill
	v_accvgpr_read_b32 v2, a6
	v_cndmask_b32_e32 v0, v1, v0, vcc
	v_lshlrev_b32_e32 v0, 2, v0
	v_accvgpr_write_b32 a27, v0
	scratch_load_dword v0, off, s32 offset:560 ; 4-byte Folded Reload
	v_accvgpr_read_b32 v3, a7
	v_mov_b32_e32 v39, v2
	s_waitcnt vmcnt(0)
	v_cmp_neq_f32_e64 s[4:5], 0, v0
	v_lshlrev_b64 v[0:1], 2, v[2:3]
	v_lshl_add_u64 v[0:1], v[6:7], 2, v[0:1]
	v_lshl_add_u64 v[20:21], v[14:15], 0, v[0:1]
	scratch_load_dword v1, off, s32 offset:564 ; 4-byte Folded Reload
	s_waitcnt vmcnt(0)
	v_lshlrev_b32_e32 v0, 5, v1
	v_add3_u32 v36, s36, v0, v4
	v_lshlrev_b32_e32 v0, 2, v4
	v_lshl_or_b32 v38, v1, 7, v0
	v_mov_b32_e32 v0, 0xff7fffff
	scratch_store_dword off, v0, s32 offset:200 ; 4-byte Folded Spill
	s_branch .LBB377_10
.LBB377_9:                              ;   in Loop: Header=BB377_10 Depth=1
	s_or_b64 exec, exec, s[34:35]
	scratch_load_dword v0, off, s32 offset:188 ; 4-byte Folded Reload
	v_add_u32_e32 v39, 2, v39
	v_lshl_add_u64 v[20:21], v[20:21], 0, 8
	v_add_u32_e32 v36, 64, v36
	v_add_u32_e32 v38, 0x100, v38
	s_waitcnt vmcnt(0)
	v_cmp_ge_i32_e32 vcc, v39, v0
	s_or_b64 s[22:23], vcc, s[22:23]
	s_andn2_b64 exec, exec, s[22:23]
	s_cbranch_execz .LBB377_396
.LBB377_10:                             ; =>This Inner Loop Header: Depth=1
	flat_load_dword v0, v[20:21]
	scratch_load_dwordx2 v[2:3], off, s32 offset:192 ; 8-byte Folded Reload
	v_accvgpr_read_b32 v5, a1
	v_accvgpr_read_b32 v4, a0
                                        ; implicit-def: $vgpr18
	s_waitcnt vmcnt(0) lgkmcnt(0)
	v_mad_i64_i32 v[0:1], vcc, v0, v2, v[4:5]
	v_lshl_add_u64 v[28:29], v[0:1], 0, v[8:9]
	flat_load_dword v0, v[28:29]
	v_accvgpr_read_b32 v2, a24
	v_accvgpr_read_b32 v3, a25
	flat_load_dword v53, v[2:3]
	s_waitcnt vmcnt(0) lgkmcnt(0)
	v_and_b32_e32 v1, 0xff, v0
	v_cvt_f32_fp8_sdwa v1, v1 src0_sel:BYTE_0
	s_nop 0
	v_mul_f32_e32 v1, v53, v1
	v_and_b32_e32 v2, 0x7f800000, v1
	v_cmp_ne_u32_e32 vcc, s19, v2
	s_and_saveexec_b64 s[34:35], vcc
	s_xor_b64 vcc, exec, s[34:35]
; %bb.11:                               ;   in Loop: Header=BB377_10 Depth=1
	v_bfe_u32 v2, v1, 16, 1
	v_add3_u32 v18, v1, v2, s37
                                        ; implicit-def: $vgpr1
; %bb.12:                               ;   in Loop: Header=BB377_10 Depth=1
	s_andn2_saveexec_b64 s[34:35], vcc
; %bb.13:                               ;   in Loop: Header=BB377_10 Depth=1
	v_or_b32_e32 v2, 0x10000, v1
	v_cmp_eq_u32_sdwa vcc, v1, v9 src0_sel:WORD_0 src1_sel:DWORD
	s_nop 1
	v_cndmask_b32_e32 v18, v2, v1, vcc
; %bb.14:                               ;   in Loop: Header=BB377_10 Depth=1
	s_or_b64 exec, exec, s[34:35]
	v_bfe_u32 v1, v0, 8, 8
	v_cvt_f32_fp8_sdwa v1, v1 src0_sel:BYTE_0
                                        ; implicit-def: $vgpr19
	s_nop 0
	v_mul_f32_e32 v1, v53, v1
	v_and_b32_e32 v2, 0x7f800000, v1
	v_cmp_ne_u32_e32 vcc, s19, v2
	s_and_saveexec_b64 s[34:35], vcc
	s_xor_b64 vcc, exec, s[34:35]
; %bb.15:                               ;   in Loop: Header=BB377_10 Depth=1
	v_bfe_u32 v2, v1, 16, 1
	v_add3_u32 v19, v1, v2, s37
                                        ; implicit-def: $vgpr1
; %bb.16:                               ;   in Loop: Header=BB377_10 Depth=1
	s_andn2_saveexec_b64 s[34:35], vcc
; %bb.17:                               ;   in Loop: Header=BB377_10 Depth=1
	v_or_b32_e32 v2, 0x10000, v1
	v_cmp_eq_u32_sdwa vcc, v1, v9 src0_sel:WORD_0 src1_sel:DWORD
	s_nop 1
	v_cndmask_b32_e32 v19, v2, v1, vcc
; %bb.18:                               ;   in Loop: Header=BB377_10 Depth=1
	s_or_b64 exec, exec, s[34:35]
	v_bfe_u32 v1, v0, 16, 8
	v_cvt_f32_fp8_sdwa v1, v1 src0_sel:BYTE_0
                                        ; implicit-def: $agpr22
	s_nop 0
	v_mul_f32_e32 v1, v53, v1
	v_and_b32_e32 v2, 0x7f800000, v1
	v_cmp_ne_u32_e32 vcc, s19, v2
	s_and_saveexec_b64 s[34:35], vcc
	s_xor_b64 vcc, exec, s[34:35]
; %bb.19:                               ;   in Loop: Header=BB377_10 Depth=1
	v_bfe_u32 v2, v1, 16, 1
	v_add3_u32 v1, v1, v2, s37
	v_accvgpr_write_b32 a22, v1
                                        ; implicit-def: $vgpr1
; %bb.20:                               ;   in Loop: Header=BB377_10 Depth=1
	s_andn2_saveexec_b64 s[34:35], vcc
; %bb.21:                               ;   in Loop: Header=BB377_10 Depth=1
	v_or_b32_e32 v2, 0x10000, v1
	v_cmp_eq_u32_sdwa vcc, v1, v9 src0_sel:WORD_0 src1_sel:DWORD
	s_nop 1
	v_cndmask_b32_e32 v1, v2, v1, vcc
	v_accvgpr_write_b32 a22, v1
; %bb.22:                               ;   in Loop: Header=BB377_10 Depth=1
	s_or_b64 exec, exec, s[34:35]
	v_lshrrev_b32_e32 v0, 24, v0
	v_cvt_f32_fp8_sdwa v0, v0 src0_sel:BYTE_0
                                        ; implicit-def: $agpr23
	s_nop 0
	v_mul_f32_e32 v0, v53, v0
	v_and_b32_e32 v1, 0x7f800000, v0
	v_cmp_ne_u32_e32 vcc, s19, v1
	s_and_saveexec_b64 s[34:35], vcc
	s_xor_b64 vcc, exec, s[34:35]
; %bb.23:                               ;   in Loop: Header=BB377_10 Depth=1
	v_bfe_u32 v1, v0, 16, 1
	v_add3_u32 v0, v0, v1, s37
	v_accvgpr_write_b32 a23, v0
                                        ; implicit-def: $vgpr0
; %bb.24:                               ;   in Loop: Header=BB377_10 Depth=1
	s_andn2_saveexec_b64 s[34:35], vcc
; %bb.25:                               ;   in Loop: Header=BB377_10 Depth=1
	v_or_b32_e32 v1, 0x10000, v0
	v_cmp_eq_u32_sdwa vcc, v0, v9 src0_sel:WORD_0 src1_sel:DWORD
	s_nop 1
	v_cndmask_b32_e32 v0, v1, v0, vcc
	v_accvgpr_write_b32 a23, v0
; %bb.26:                               ;   in Loop: Header=BB377_10 Depth=1
	s_or_b64 exec, exec, s[34:35]
	flat_load_dword v0, v[28:29] offset:8
                                        ; implicit-def: $vgpr33
	s_waitcnt vmcnt(0) lgkmcnt(0)
	v_and_b32_e32 v1, 0xff, v0
	v_cvt_f32_fp8_sdwa v1, v1 src0_sel:BYTE_0
	s_nop 0
	v_mul_f32_e32 v1, v53, v1
	v_and_b32_e32 v2, 0x7f800000, v1
	v_cmp_ne_u32_e32 vcc, s19, v2
	s_and_saveexec_b64 s[34:35], vcc
	s_xor_b64 vcc, exec, s[34:35]
; %bb.27:                               ;   in Loop: Header=BB377_10 Depth=1
	v_bfe_u32 v2, v1, 16, 1
	v_add3_u32 v33, v1, v2, s37
                                        ; implicit-def: $vgpr1
; %bb.28:                               ;   in Loop: Header=BB377_10 Depth=1
	s_andn2_saveexec_b64 s[34:35], vcc
; %bb.29:                               ;   in Loop: Header=BB377_10 Depth=1
	v_or_b32_e32 v2, 0x10000, v1
	v_cmp_eq_u32_sdwa vcc, v1, v9 src0_sel:WORD_0 src1_sel:DWORD
	s_nop 1
	v_cndmask_b32_e32 v33, v2, v1, vcc
; %bb.30:                               ;   in Loop: Header=BB377_10 Depth=1
	s_or_b64 exec, exec, s[34:35]
	v_bfe_u32 v1, v0, 8, 8
	v_cvt_f32_fp8_sdwa v1, v1 src0_sel:BYTE_0
                                        ; implicit-def: $agpr20
	s_nop 0
	v_mul_f32_e32 v1, v53, v1
	v_and_b32_e32 v2, 0x7f800000, v1
	v_cmp_ne_u32_e32 vcc, s19, v2
	s_and_saveexec_b64 s[34:35], vcc
	s_xor_b64 vcc, exec, s[34:35]
; %bb.31:                               ;   in Loop: Header=BB377_10 Depth=1
	v_bfe_u32 v2, v1, 16, 1
	v_add3_u32 v1, v1, v2, s37
	v_accvgpr_write_b32 a20, v1
                                        ; implicit-def: $vgpr1
; %bb.32:                               ;   in Loop: Header=BB377_10 Depth=1
	s_andn2_saveexec_b64 s[34:35], vcc
; %bb.33:                               ;   in Loop: Header=BB377_10 Depth=1
	v_or_b32_e32 v2, 0x10000, v1
	v_cmp_eq_u32_sdwa vcc, v1, v9 src0_sel:WORD_0 src1_sel:DWORD
	s_nop 1
	v_cndmask_b32_e32 v1, v2, v1, vcc
	v_accvgpr_write_b32 a20, v1
; %bb.34:                               ;   in Loop: Header=BB377_10 Depth=1
	s_or_b64 exec, exec, s[34:35]
	v_bfe_u32 v1, v0, 16, 8
	v_cvt_f32_fp8_sdwa v1, v1 src0_sel:BYTE_0
                                        ; implicit-def: $agpr21
	s_nop 0
	v_mul_f32_e32 v1, v53, v1
	v_and_b32_e32 v2, 0x7f800000, v1
	v_cmp_ne_u32_e32 vcc, s19, v2
	s_and_saveexec_b64 s[34:35], vcc
	s_xor_b64 vcc, exec, s[34:35]
; %bb.35:                               ;   in Loop: Header=BB377_10 Depth=1
	v_bfe_u32 v2, v1, 16, 1
	v_add3_u32 v1, v1, v2, s37
	v_accvgpr_write_b32 a21, v1
                                        ; implicit-def: $vgpr1
; %bb.36:                               ;   in Loop: Header=BB377_10 Depth=1
	s_andn2_saveexec_b64 s[34:35], vcc
; %bb.37:                               ;   in Loop: Header=BB377_10 Depth=1
	v_or_b32_e32 v2, 0x10000, v1
	v_cmp_eq_u32_sdwa vcc, v1, v9 src0_sel:WORD_0 src1_sel:DWORD
	s_nop 1
	v_cndmask_b32_e32 v1, v2, v1, vcc
	v_accvgpr_write_b32 a21, v1
; %bb.38:                               ;   in Loop: Header=BB377_10 Depth=1
	s_or_b64 exec, exec, s[34:35]
	v_lshrrev_b32_e32 v0, 24, v0
	v_cvt_f32_fp8_sdwa v0, v0 src0_sel:BYTE_0
                                        ; implicit-def: $agpr16
	s_nop 0
	v_mul_f32_e32 v0, v53, v0
	v_and_b32_e32 v1, 0x7f800000, v0
	v_cmp_ne_u32_e32 vcc, s19, v1
	s_and_saveexec_b64 s[34:35], vcc
	s_xor_b64 vcc, exec, s[34:35]
; %bb.39:                               ;   in Loop: Header=BB377_10 Depth=1
	v_bfe_u32 v1, v0, 16, 1
	v_add3_u32 v0, v0, v1, s37
	v_accvgpr_write_b32 a16, v0
                                        ; implicit-def: $vgpr0
; %bb.40:                               ;   in Loop: Header=BB377_10 Depth=1
	s_andn2_saveexec_b64 s[34:35], vcc
; %bb.41:                               ;   in Loop: Header=BB377_10 Depth=1
	v_or_b32_e32 v1, 0x10000, v0
	v_cmp_eq_u32_sdwa vcc, v0, v9 src0_sel:WORD_0 src1_sel:DWORD
	s_nop 1
	v_cndmask_b32_e32 v0, v1, v0, vcc
	v_accvgpr_write_b32 a16, v0
; %bb.42:                               ;   in Loop: Header=BB377_10 Depth=1
	s_or_b64 exec, exec, s[34:35]
	flat_load_dword v0, v[28:29] offset:512
                                        ; implicit-def: $agpr17
	s_waitcnt vmcnt(0) lgkmcnt(0)
	v_and_b32_e32 v1, 0xff, v0
	v_cvt_f32_fp8_sdwa v1, v1 src0_sel:BYTE_0
	s_nop 0
	v_mul_f32_e32 v1, v53, v1
	v_and_b32_e32 v2, 0x7f800000, v1
	v_cmp_ne_u32_e32 vcc, s19, v2
	s_and_saveexec_b64 s[34:35], vcc
	s_xor_b64 vcc, exec, s[34:35]
; %bb.43:                               ;   in Loop: Header=BB377_10 Depth=1
	v_bfe_u32 v2, v1, 16, 1
	v_add3_u32 v1, v1, v2, s37
	v_accvgpr_write_b32 a17, v1
                                        ; implicit-def: $vgpr1
; %bb.44:                               ;   in Loop: Header=BB377_10 Depth=1
	s_andn2_saveexec_b64 s[34:35], vcc
; %bb.45:                               ;   in Loop: Header=BB377_10 Depth=1
	v_or_b32_e32 v2, 0x10000, v1
	v_cmp_eq_u32_sdwa vcc, v1, v9 src0_sel:WORD_0 src1_sel:DWORD
	s_nop 1
	v_cndmask_b32_e32 v1, v2, v1, vcc
	v_accvgpr_write_b32 a17, v1
; %bb.46:                               ;   in Loop: Header=BB377_10 Depth=1
	s_or_b64 exec, exec, s[34:35]
	v_bfe_u32 v1, v0, 8, 8
	v_cvt_f32_fp8_sdwa v1, v1 src0_sel:BYTE_0
                                        ; implicit-def: $agpr14
	s_nop 0
	v_mul_f32_e32 v1, v53, v1
	v_and_b32_e32 v2, 0x7f800000, v1
	v_cmp_ne_u32_e32 vcc, s19, v2
	s_and_saveexec_b64 s[34:35], vcc
	s_xor_b64 vcc, exec, s[34:35]
; %bb.47:                               ;   in Loop: Header=BB377_10 Depth=1
	v_bfe_u32 v2, v1, 16, 1
	v_add3_u32 v1, v1, v2, s37
	v_accvgpr_write_b32 a14, v1
                                        ; implicit-def: $vgpr1
; %bb.48:                               ;   in Loop: Header=BB377_10 Depth=1
	s_andn2_saveexec_b64 s[34:35], vcc
; %bb.49:                               ;   in Loop: Header=BB377_10 Depth=1
	v_or_b32_e32 v2, 0x10000, v1
	v_cmp_eq_u32_sdwa vcc, v1, v9 src0_sel:WORD_0 src1_sel:DWORD
	s_nop 1
	v_cndmask_b32_e32 v1, v2, v1, vcc
	v_accvgpr_write_b32 a14, v1
; %bb.50:                               ;   in Loop: Header=BB377_10 Depth=1
	s_or_b64 exec, exec, s[34:35]
	v_bfe_u32 v1, v0, 16, 8
	v_cvt_f32_fp8_sdwa v1, v1 src0_sel:BYTE_0
                                        ; implicit-def: $agpr15
	s_nop 0
	v_mul_f32_e32 v1, v53, v1
	v_and_b32_e32 v2, 0x7f800000, v1
	v_cmp_ne_u32_e32 vcc, s19, v2
	s_and_saveexec_b64 s[34:35], vcc
	s_xor_b64 vcc, exec, s[34:35]
; %bb.51:                               ;   in Loop: Header=BB377_10 Depth=1
	v_bfe_u32 v2, v1, 16, 1
	v_add3_u32 v1, v1, v2, s37
	v_accvgpr_write_b32 a15, v1
                                        ; implicit-def: $vgpr1
; %bb.52:                               ;   in Loop: Header=BB377_10 Depth=1
	s_andn2_saveexec_b64 s[34:35], vcc
; %bb.53:                               ;   in Loop: Header=BB377_10 Depth=1
	v_or_b32_e32 v2, 0x10000, v1
	v_cmp_eq_u32_sdwa vcc, v1, v9 src0_sel:WORD_0 src1_sel:DWORD
	s_nop 1
	v_cndmask_b32_e32 v1, v2, v1, vcc
	v_accvgpr_write_b32 a15, v1
; %bb.54:                               ;   in Loop: Header=BB377_10 Depth=1
	s_or_b64 exec, exec, s[34:35]
	v_lshrrev_b32_e32 v0, 24, v0
	v_cvt_f32_fp8_sdwa v0, v0 src0_sel:BYTE_0
                                        ; implicit-def: $agpr4
	s_nop 0
	v_mul_f32_e32 v0, v53, v0
	v_and_b32_e32 v1, 0x7f800000, v0
	v_cmp_ne_u32_e32 vcc, s19, v1
	s_and_saveexec_b64 s[34:35], vcc
	s_xor_b64 vcc, exec, s[34:35]
; %bb.55:                               ;   in Loop: Header=BB377_10 Depth=1
	v_bfe_u32 v1, v0, 16, 1
	v_add3_u32 v0, v0, v1, s37
	v_accvgpr_write_b32 a4, v0
                                        ; implicit-def: $vgpr0
; %bb.56:                               ;   in Loop: Header=BB377_10 Depth=1
	s_andn2_saveexec_b64 s[34:35], vcc
; %bb.57:                               ;   in Loop: Header=BB377_10 Depth=1
	v_or_b32_e32 v1, 0x10000, v0
	v_cmp_eq_u32_sdwa vcc, v0, v9 src0_sel:WORD_0 src1_sel:DWORD
	s_nop 1
	v_cndmask_b32_e32 v0, v1, v0, vcc
	v_accvgpr_write_b32 a4, v0
; %bb.58:                               ;   in Loop: Header=BB377_10 Depth=1
	s_or_b64 exec, exec, s[34:35]
	flat_load_dword v0, v[28:29] offset:520
                                        ; implicit-def: $agpr12
	s_waitcnt vmcnt(0) lgkmcnt(0)
	v_and_b32_e32 v1, 0xff, v0
	v_cvt_f32_fp8_sdwa v1, v1 src0_sel:BYTE_0
	s_nop 0
	v_mul_f32_e32 v1, v53, v1
	v_and_b32_e32 v2, 0x7f800000, v1
	v_cmp_ne_u32_e32 vcc, s19, v2
	s_and_saveexec_b64 s[34:35], vcc
	s_xor_b64 vcc, exec, s[34:35]
; %bb.59:                               ;   in Loop: Header=BB377_10 Depth=1
	v_bfe_u32 v2, v1, 16, 1
	v_add3_u32 v1, v1, v2, s37
	v_accvgpr_write_b32 a12, v1
                                        ; implicit-def: $vgpr1
; %bb.60:                               ;   in Loop: Header=BB377_10 Depth=1
	s_andn2_saveexec_b64 s[34:35], vcc
; %bb.61:                               ;   in Loop: Header=BB377_10 Depth=1
	v_or_b32_e32 v2, 0x10000, v1
	v_cmp_eq_u32_sdwa vcc, v1, v9 src0_sel:WORD_0 src1_sel:DWORD
	s_nop 1
	v_cndmask_b32_e32 v1, v2, v1, vcc
	v_accvgpr_write_b32 a12, v1
; %bb.62:                               ;   in Loop: Header=BB377_10 Depth=1
	s_or_b64 exec, exec, s[34:35]
	v_bfe_u32 v1, v0, 8, 8
	v_cvt_f32_fp8_sdwa v1, v1 src0_sel:BYTE_0
                                        ; implicit-def: $agpr13
	s_nop 0
	v_mul_f32_e32 v1, v53, v1
	v_and_b32_e32 v2, 0x7f800000, v1
	v_cmp_ne_u32_e32 vcc, s19, v2
	s_and_saveexec_b64 s[34:35], vcc
	s_xor_b64 vcc, exec, s[34:35]
; %bb.63:                               ;   in Loop: Header=BB377_10 Depth=1
	v_bfe_u32 v2, v1, 16, 1
	v_add3_u32 v1, v1, v2, s37
	v_accvgpr_write_b32 a13, v1
                                        ; implicit-def: $vgpr1
; %bb.64:                               ;   in Loop: Header=BB377_10 Depth=1
	s_andn2_saveexec_b64 s[34:35], vcc
; %bb.65:                               ;   in Loop: Header=BB377_10 Depth=1
	v_or_b32_e32 v2, 0x10000, v1
	v_cmp_eq_u32_sdwa vcc, v1, v9 src0_sel:WORD_0 src1_sel:DWORD
	s_nop 1
	v_cndmask_b32_e32 v1, v2, v1, vcc
	v_accvgpr_write_b32 a13, v1
; %bb.66:                               ;   in Loop: Header=BB377_10 Depth=1
	s_or_b64 exec, exec, s[34:35]
	v_bfe_u32 v1, v0, 16, 8
	v_cvt_f32_fp8_sdwa v1, v1 src0_sel:BYTE_0
                                        ; implicit-def: $agpr10
	s_nop 0
	v_mul_f32_e32 v1, v53, v1
	v_and_b32_e32 v2, 0x7f800000, v1
	v_cmp_ne_u32_e32 vcc, s19, v2
	s_and_saveexec_b64 s[34:35], vcc
	s_xor_b64 vcc, exec, s[34:35]
; %bb.67:                               ;   in Loop: Header=BB377_10 Depth=1
	v_bfe_u32 v2, v1, 16, 1
	v_add3_u32 v1, v1, v2, s37
	v_accvgpr_write_b32 a10, v1
                                        ; implicit-def: $vgpr1
; %bb.68:                               ;   in Loop: Header=BB377_10 Depth=1
	s_andn2_saveexec_b64 s[34:35], vcc
; %bb.69:                               ;   in Loop: Header=BB377_10 Depth=1
	v_or_b32_e32 v2, 0x10000, v1
	v_cmp_eq_u32_sdwa vcc, v1, v9 src0_sel:WORD_0 src1_sel:DWORD
	s_nop 1
	v_cndmask_b32_e32 v1, v2, v1, vcc
	v_accvgpr_write_b32 a10, v1
; %bb.70:                               ;   in Loop: Header=BB377_10 Depth=1
	s_or_b64 exec, exec, s[34:35]
	v_lshrrev_b32_e32 v0, 24, v0
	v_cvt_f32_fp8_sdwa v0, v0 src0_sel:BYTE_0
                                        ; implicit-def: $agpr11
	s_nop 0
	v_mul_f32_e32 v0, v53, v0
	v_and_b32_e32 v1, 0x7f800000, v0
	v_cmp_ne_u32_e32 vcc, s19, v1
	s_and_saveexec_b64 s[34:35], vcc
	s_xor_b64 vcc, exec, s[34:35]
; %bb.71:                               ;   in Loop: Header=BB377_10 Depth=1
	v_bfe_u32 v1, v0, 16, 1
	v_add3_u32 v0, v0, v1, s37
	v_accvgpr_write_b32 a11, v0
                                        ; implicit-def: $vgpr0
; %bb.72:                               ;   in Loop: Header=BB377_10 Depth=1
	s_andn2_saveexec_b64 s[34:35], vcc
; %bb.73:                               ;   in Loop: Header=BB377_10 Depth=1
	v_or_b32_e32 v1, 0x10000, v0
	v_cmp_eq_u32_sdwa vcc, v0, v9 src0_sel:WORD_0 src1_sel:DWORD
	s_nop 1
	v_cndmask_b32_e32 v0, v1, v0, vcc
	v_accvgpr_write_b32 a11, v0
; %bb.74:                               ;   in Loop: Header=BB377_10 Depth=1
	s_or_b64 exec, exec, s[34:35]
	flat_load_dword v0, v[28:29] offset:1024
                                        ; implicit-def: $agpr8
	s_waitcnt vmcnt(0) lgkmcnt(0)
	v_and_b32_e32 v1, 0xff, v0
	v_cvt_f32_fp8_sdwa v1, v1 src0_sel:BYTE_0
	s_nop 0
	v_mul_f32_e32 v1, v53, v1
	v_and_b32_e32 v2, 0x7f800000, v1
	v_cmp_ne_u32_e32 vcc, s19, v2
	s_and_saveexec_b64 s[34:35], vcc
	s_xor_b64 vcc, exec, s[34:35]
; %bb.75:                               ;   in Loop: Header=BB377_10 Depth=1
	v_bfe_u32 v2, v1, 16, 1
	v_add3_u32 v1, v1, v2, s37
	v_accvgpr_write_b32 a8, v1
                                        ; implicit-def: $vgpr1
; %bb.76:                               ;   in Loop: Header=BB377_10 Depth=1
	s_andn2_saveexec_b64 s[34:35], vcc
; %bb.77:                               ;   in Loop: Header=BB377_10 Depth=1
	v_or_b32_e32 v2, 0x10000, v1
	v_cmp_eq_u32_sdwa vcc, v1, v9 src0_sel:WORD_0 src1_sel:DWORD
	s_nop 1
	v_cndmask_b32_e32 v1, v2, v1, vcc
	v_accvgpr_write_b32 a8, v1
; %bb.78:                               ;   in Loop: Header=BB377_10 Depth=1
	s_or_b64 exec, exec, s[34:35]
	v_bfe_u32 v1, v0, 8, 8
	v_cvt_f32_fp8_sdwa v1, v1 src0_sel:BYTE_0
                                        ; implicit-def: $agpr9
	s_nop 0
	v_mul_f32_e32 v1, v53, v1
	v_and_b32_e32 v2, 0x7f800000, v1
	v_cmp_ne_u32_e32 vcc, s19, v2
	s_and_saveexec_b64 s[34:35], vcc
	s_xor_b64 vcc, exec, s[34:35]
; %bb.79:                               ;   in Loop: Header=BB377_10 Depth=1
	v_bfe_u32 v2, v1, 16, 1
	v_add3_u32 v1, v1, v2, s37
	v_accvgpr_write_b32 a9, v1
                                        ; implicit-def: $vgpr1
; %bb.80:                               ;   in Loop: Header=BB377_10 Depth=1
	s_andn2_saveexec_b64 s[34:35], vcc
; %bb.81:                               ;   in Loop: Header=BB377_10 Depth=1
	v_or_b32_e32 v2, 0x10000, v1
	v_cmp_eq_u32_sdwa vcc, v1, v9 src0_sel:WORD_0 src1_sel:DWORD
	s_nop 1
	v_cndmask_b32_e32 v1, v2, v1, vcc
	v_accvgpr_write_b32 a9, v1
; %bb.82:                               ;   in Loop: Header=BB377_10 Depth=1
	s_or_b64 exec, exec, s[34:35]
	v_bfe_u32 v1, v0, 16, 8
	v_cvt_f32_fp8_sdwa v1, v1 src0_sel:BYTE_0
                                        ; implicit-def: $agpr5
	s_nop 0
	v_mul_f32_e32 v1, v53, v1
	v_and_b32_e32 v2, 0x7f800000, v1
	v_cmp_ne_u32_e32 vcc, s19, v2
	s_and_saveexec_b64 s[34:35], vcc
	s_xor_b64 vcc, exec, s[34:35]
; %bb.83:                               ;   in Loop: Header=BB377_10 Depth=1
	v_bfe_u32 v2, v1, 16, 1
	v_add3_u32 v1, v1, v2, s37
	v_accvgpr_write_b32 a5, v1
                                        ; implicit-def: $vgpr1
; %bb.84:                               ;   in Loop: Header=BB377_10 Depth=1
	s_andn2_saveexec_b64 s[34:35], vcc
; %bb.85:                               ;   in Loop: Header=BB377_10 Depth=1
	v_or_b32_e32 v2, 0x10000, v1
	v_cmp_eq_u32_sdwa vcc, v1, v9 src0_sel:WORD_0 src1_sel:DWORD
	s_nop 1
	v_cndmask_b32_e32 v1, v2, v1, vcc
	v_accvgpr_write_b32 a5, v1
; %bb.86:                               ;   in Loop: Header=BB377_10 Depth=1
	s_or_b64 exec, exec, s[34:35]
	v_lshrrev_b32_e32 v0, 24, v0
	v_cvt_f32_fp8_sdwa v0, v0 src0_sel:BYTE_0
                                        ; implicit-def: $agpr18
	s_nop 0
	v_mul_f32_e32 v0, v53, v0
	v_and_b32_e32 v1, 0x7f800000, v0
	v_cmp_ne_u32_e32 vcc, s19, v1
	s_and_saveexec_b64 s[34:35], vcc
	s_xor_b64 vcc, exec, s[34:35]
; %bb.87:                               ;   in Loop: Header=BB377_10 Depth=1
	v_bfe_u32 v1, v0, 16, 1
	v_add3_u32 v0, v0, v1, s37
	v_accvgpr_write_b32 a18, v0
                                        ; implicit-def: $vgpr0
; %bb.88:                               ;   in Loop: Header=BB377_10 Depth=1
	s_andn2_saveexec_b64 s[34:35], vcc
; %bb.89:                               ;   in Loop: Header=BB377_10 Depth=1
	v_or_b32_e32 v1, 0x10000, v0
	v_cmp_eq_u32_sdwa vcc, v0, v9 src0_sel:WORD_0 src1_sel:DWORD
	s_nop 1
	v_cndmask_b32_e32 v0, v1, v0, vcc
	v_accvgpr_write_b32 a18, v0
; %bb.90:                               ;   in Loop: Header=BB377_10 Depth=1
	s_or_b64 exec, exec, s[34:35]
	flat_load_dword v0, v[28:29] offset:1032
                                        ; implicit-def: $agpr3
	s_waitcnt vmcnt(0) lgkmcnt(0)
	v_and_b32_e32 v1, 0xff, v0
	v_cvt_f32_fp8_sdwa v1, v1 src0_sel:BYTE_0
	s_nop 0
	v_mul_f32_e32 v1, v53, v1
	v_and_b32_e32 v2, 0x7f800000, v1
	v_cmp_ne_u32_e32 vcc, s19, v2
	s_and_saveexec_b64 s[34:35], vcc
	s_xor_b64 vcc, exec, s[34:35]
; %bb.91:                               ;   in Loop: Header=BB377_10 Depth=1
	v_bfe_u32 v2, v1, 16, 1
	v_add3_u32 v1, v1, v2, s37
	v_accvgpr_write_b32 a3, v1
                                        ; implicit-def: $vgpr1
; %bb.92:                               ;   in Loop: Header=BB377_10 Depth=1
	s_andn2_saveexec_b64 s[34:35], vcc
; %bb.93:                               ;   in Loop: Header=BB377_10 Depth=1
	v_or_b32_e32 v2, 0x10000, v1
	v_cmp_eq_u32_sdwa vcc, v1, v9 src0_sel:WORD_0 src1_sel:DWORD
	s_nop 1
	v_cndmask_b32_e32 v1, v2, v1, vcc
	v_accvgpr_write_b32 a3, v1
; %bb.94:                               ;   in Loop: Header=BB377_10 Depth=1
	s_or_b64 exec, exec, s[34:35]
	v_bfe_u32 v1, v0, 8, 8
	v_cvt_f32_fp8_sdwa v1, v1 src0_sel:BYTE_0
                                        ; implicit-def: $agpr28
	s_nop 0
	v_mul_f32_e32 v1, v53, v1
	v_and_b32_e32 v2, 0x7f800000, v1
	v_cmp_ne_u32_e32 vcc, s19, v2
	s_and_saveexec_b64 s[34:35], vcc
	s_xor_b64 vcc, exec, s[34:35]
; %bb.95:                               ;   in Loop: Header=BB377_10 Depth=1
	v_bfe_u32 v2, v1, 16, 1
	v_add3_u32 v1, v1, v2, s37
	v_accvgpr_write_b32 a28, v1
                                        ; implicit-def: $vgpr1
; %bb.96:                               ;   in Loop: Header=BB377_10 Depth=1
	s_andn2_saveexec_b64 s[34:35], vcc
; %bb.97:                               ;   in Loop: Header=BB377_10 Depth=1
	v_or_b32_e32 v2, 0x10000, v1
	v_cmp_eq_u32_sdwa vcc, v1, v9 src0_sel:WORD_0 src1_sel:DWORD
	s_nop 1
	v_cndmask_b32_e32 v1, v2, v1, vcc
	v_accvgpr_write_b32 a28, v1
; %bb.98:                               ;   in Loop: Header=BB377_10 Depth=1
	s_or_b64 exec, exec, s[34:35]
	v_bfe_u32 v1, v0, 16, 8
	v_cvt_f32_fp8_sdwa v1, v1 src0_sel:BYTE_0
                                        ; implicit-def: $agpr29
	s_nop 0
	v_mul_f32_e32 v1, v53, v1
	v_and_b32_e32 v2, 0x7f800000, v1
	v_cmp_ne_u32_e32 vcc, s19, v2
	s_and_saveexec_b64 s[34:35], vcc
	s_xor_b64 vcc, exec, s[34:35]
; %bb.99:                               ;   in Loop: Header=BB377_10 Depth=1
	v_bfe_u32 v2, v1, 16, 1
	v_add3_u32 v1, v1, v2, s37
	v_accvgpr_write_b32 a29, v1
                                        ; implicit-def: $vgpr1
; %bb.100:                              ;   in Loop: Header=BB377_10 Depth=1
	s_andn2_saveexec_b64 s[34:35], vcc
; %bb.101:                              ;   in Loop: Header=BB377_10 Depth=1
	v_or_b32_e32 v2, 0x10000, v1
	v_cmp_eq_u32_sdwa vcc, v1, v9 src0_sel:WORD_0 src1_sel:DWORD
	s_nop 1
	v_cndmask_b32_e32 v1, v2, v1, vcc
	v_accvgpr_write_b32 a29, v1
; %bb.102:                              ;   in Loop: Header=BB377_10 Depth=1
	s_or_b64 exec, exec, s[34:35]
	v_lshrrev_b32_e32 v0, 24, v0
	v_cvt_f32_fp8_sdwa v0, v0 src0_sel:BYTE_0
                                        ; implicit-def: $agpr30
	s_nop 0
	v_mul_f32_e32 v0, v53, v0
	v_and_b32_e32 v1, 0x7f800000, v0
	v_cmp_ne_u32_e32 vcc, s19, v1
	s_and_saveexec_b64 s[34:35], vcc
	s_xor_b64 vcc, exec, s[34:35]
; %bb.103:                              ;   in Loop: Header=BB377_10 Depth=1
	v_bfe_u32 v1, v0, 16, 1
	v_add3_u32 v0, v0, v1, s37
	v_accvgpr_write_b32 a30, v0
                                        ; implicit-def: $vgpr0
; %bb.104:                              ;   in Loop: Header=BB377_10 Depth=1
	s_andn2_saveexec_b64 s[34:35], vcc
; %bb.105:                              ;   in Loop: Header=BB377_10 Depth=1
	v_or_b32_e32 v1, 0x10000, v0
	v_cmp_eq_u32_sdwa vcc, v0, v9 src0_sel:WORD_0 src1_sel:DWORD
	s_nop 1
	v_cndmask_b32_e32 v0, v1, v0, vcc
	v_accvgpr_write_b32 a30, v0
; %bb.106:                              ;   in Loop: Header=BB377_10 Depth=1
	s_or_b64 exec, exec, s[34:35]
	flat_load_dword v0, v[28:29] offset:1536
                                        ; implicit-def: $agpr31
	s_waitcnt vmcnt(0) lgkmcnt(0)
	v_and_b32_e32 v1, 0xff, v0
	v_cvt_f32_fp8_sdwa v1, v1 src0_sel:BYTE_0
	s_nop 0
	v_mul_f32_e32 v1, v53, v1
	v_and_b32_e32 v2, 0x7f800000, v1
	v_cmp_ne_u32_e32 vcc, s19, v2
	s_and_saveexec_b64 s[34:35], vcc
	s_xor_b64 vcc, exec, s[34:35]
; %bb.107:                              ;   in Loop: Header=BB377_10 Depth=1
	v_bfe_u32 v2, v1, 16, 1
	v_add3_u32 v1, v1, v2, s37
	v_accvgpr_write_b32 a31, v1
                                        ; implicit-def: $vgpr1
; %bb.108:                              ;   in Loop: Header=BB377_10 Depth=1
	s_andn2_saveexec_b64 s[34:35], vcc
; %bb.109:                              ;   in Loop: Header=BB377_10 Depth=1
	v_or_b32_e32 v2, 0x10000, v1
	v_cmp_eq_u32_sdwa vcc, v1, v9 src0_sel:WORD_0 src1_sel:DWORD
	s_nop 1
	v_cndmask_b32_e32 v1, v2, v1, vcc
	v_accvgpr_write_b32 a31, v1
; %bb.110:                              ;   in Loop: Header=BB377_10 Depth=1
	s_or_b64 exec, exec, s[34:35]
	v_bfe_u32 v1, v0, 8, 8
	v_cvt_f32_fp8_sdwa v1, v1 src0_sel:BYTE_0
                                        ; implicit-def: $agpr32
	s_nop 0
	v_mul_f32_e32 v1, v53, v1
	v_and_b32_e32 v2, 0x7f800000, v1
	v_cmp_ne_u32_e32 vcc, s19, v2
	s_and_saveexec_b64 s[34:35], vcc
	s_xor_b64 vcc, exec, s[34:35]
; %bb.111:                              ;   in Loop: Header=BB377_10 Depth=1
	v_bfe_u32 v2, v1, 16, 1
	v_add3_u32 v1, v1, v2, s37
	v_accvgpr_write_b32 a32, v1
                                        ; implicit-def: $vgpr1
; %bb.112:                              ;   in Loop: Header=BB377_10 Depth=1
	s_andn2_saveexec_b64 s[34:35], vcc
; %bb.113:                              ;   in Loop: Header=BB377_10 Depth=1
	v_or_b32_e32 v2, 0x10000, v1
	v_cmp_eq_u32_sdwa vcc, v1, v9 src0_sel:WORD_0 src1_sel:DWORD
	s_nop 1
	v_cndmask_b32_e32 v1, v2, v1, vcc
	v_accvgpr_write_b32 a32, v1
; %bb.114:                              ;   in Loop: Header=BB377_10 Depth=1
	s_or_b64 exec, exec, s[34:35]
	v_bfe_u32 v1, v0, 16, 8
	v_cvt_f32_fp8_sdwa v1, v1 src0_sel:BYTE_0
                                        ; implicit-def: $agpr34
	s_nop 0
	v_mul_f32_e32 v1, v53, v1
	v_and_b32_e32 v2, 0x7f800000, v1
	v_cmp_ne_u32_e32 vcc, s19, v2
	s_and_saveexec_b64 s[34:35], vcc
	s_xor_b64 vcc, exec, s[34:35]
; %bb.115:                              ;   in Loop: Header=BB377_10 Depth=1
	v_bfe_u32 v2, v1, 16, 1
	v_add3_u32 v1, v1, v2, s37
	v_accvgpr_write_b32 a34, v1
                                        ; implicit-def: $vgpr1
; %bb.116:                              ;   in Loop: Header=BB377_10 Depth=1
	s_andn2_saveexec_b64 s[34:35], vcc
; %bb.117:                              ;   in Loop: Header=BB377_10 Depth=1
	v_or_b32_e32 v2, 0x10000, v1
	v_cmp_eq_u32_sdwa vcc, v1, v9 src0_sel:WORD_0 src1_sel:DWORD
	s_nop 1
	v_cndmask_b32_e32 v1, v2, v1, vcc
	v_accvgpr_write_b32 a34, v1
; %bb.118:                              ;   in Loop: Header=BB377_10 Depth=1
	s_or_b64 exec, exec, s[34:35]
	v_lshrrev_b32_e32 v0, 24, v0
	v_cvt_f32_fp8_sdwa v0, v0 src0_sel:BYTE_0
                                        ; implicit-def: $agpr35
	s_nop 0
	v_mul_f32_e32 v0, v53, v0
	v_and_b32_e32 v1, 0x7f800000, v0
	v_cmp_ne_u32_e32 vcc, s19, v1
	s_and_saveexec_b64 s[34:35], vcc
	s_xor_b64 vcc, exec, s[34:35]
; %bb.119:                              ;   in Loop: Header=BB377_10 Depth=1
	v_bfe_u32 v1, v0, 16, 1
	v_add3_u32 v0, v0, v1, s37
	v_accvgpr_write_b32 a35, v0
                                        ; implicit-def: $vgpr0
; %bb.120:                              ;   in Loop: Header=BB377_10 Depth=1
	s_andn2_saveexec_b64 s[34:35], vcc
; %bb.121:                              ;   in Loop: Header=BB377_10 Depth=1
	v_or_b32_e32 v1, 0x10000, v0
	v_cmp_eq_u32_sdwa vcc, v0, v9 src0_sel:WORD_0 src1_sel:DWORD
	s_nop 1
	v_cndmask_b32_e32 v0, v1, v0, vcc
	v_accvgpr_write_b32 a35, v0
; %bb.122:                              ;   in Loop: Header=BB377_10 Depth=1
	s_or_b64 exec, exec, s[34:35]
	flat_load_dword v0, v[28:29] offset:1544
                                        ; implicit-def: $agpr36
	s_waitcnt vmcnt(0) lgkmcnt(0)
	v_and_b32_e32 v1, 0xff, v0
	v_cvt_f32_fp8_sdwa v1, v1 src0_sel:BYTE_0
	s_nop 0
	v_mul_f32_e32 v1, v53, v1
	v_and_b32_e32 v2, 0x7f800000, v1
	v_cmp_ne_u32_e32 vcc, s19, v2
	s_and_saveexec_b64 s[34:35], vcc
	s_xor_b64 vcc, exec, s[34:35]
; %bb.123:                              ;   in Loop: Header=BB377_10 Depth=1
	v_bfe_u32 v2, v1, 16, 1
	v_add3_u32 v1, v1, v2, s37
	v_accvgpr_write_b32 a36, v1
                                        ; implicit-def: $vgpr1
; %bb.124:                              ;   in Loop: Header=BB377_10 Depth=1
	s_andn2_saveexec_b64 s[34:35], vcc
; %bb.125:                              ;   in Loop: Header=BB377_10 Depth=1
	v_or_b32_e32 v2, 0x10000, v1
	v_cmp_eq_u32_sdwa vcc, v1, v9 src0_sel:WORD_0 src1_sel:DWORD
	s_nop 1
	v_cndmask_b32_e32 v1, v2, v1, vcc
	v_accvgpr_write_b32 a36, v1
; %bb.126:                              ;   in Loop: Header=BB377_10 Depth=1
	s_or_b64 exec, exec, s[34:35]
	v_bfe_u32 v1, v0, 8, 8
	v_cvt_f32_fp8_sdwa v1, v1 src0_sel:BYTE_0
                                        ; implicit-def: $agpr37
	s_nop 0
	v_mul_f32_e32 v1, v53, v1
	v_and_b32_e32 v2, 0x7f800000, v1
	v_cmp_ne_u32_e32 vcc, s19, v2
	s_and_saveexec_b64 s[34:35], vcc
	s_xor_b64 vcc, exec, s[34:35]
; %bb.127:                              ;   in Loop: Header=BB377_10 Depth=1
	v_bfe_u32 v2, v1, 16, 1
	v_add3_u32 v1, v1, v2, s37
	v_accvgpr_write_b32 a37, v1
                                        ; implicit-def: $vgpr1
; %bb.128:                              ;   in Loop: Header=BB377_10 Depth=1
	s_andn2_saveexec_b64 s[34:35], vcc
; %bb.129:                              ;   in Loop: Header=BB377_10 Depth=1
	v_or_b32_e32 v2, 0x10000, v1
	v_cmp_eq_u32_sdwa vcc, v1, v9 src0_sel:WORD_0 src1_sel:DWORD
	s_nop 1
	v_cndmask_b32_e32 v1, v2, v1, vcc
	v_accvgpr_write_b32 a37, v1
; %bb.130:                              ;   in Loop: Header=BB377_10 Depth=1
	s_or_b64 exec, exec, s[34:35]
	v_bfe_u32 v1, v0, 16, 8
	v_cvt_f32_fp8_sdwa v1, v1 src0_sel:BYTE_0
                                        ; implicit-def: $agpr38
	s_nop 0
	v_mul_f32_e32 v1, v53, v1
	v_and_b32_e32 v2, 0x7f800000, v1
	v_cmp_ne_u32_e32 vcc, s19, v2
	s_and_saveexec_b64 s[34:35], vcc
	s_xor_b64 vcc, exec, s[34:35]
; %bb.131:                              ;   in Loop: Header=BB377_10 Depth=1
	v_bfe_u32 v2, v1, 16, 1
	v_add3_u32 v1, v1, v2, s37
	v_accvgpr_write_b32 a38, v1
                                        ; implicit-def: $vgpr1
; %bb.132:                              ;   in Loop: Header=BB377_10 Depth=1
	s_andn2_saveexec_b64 s[34:35], vcc
; %bb.133:                              ;   in Loop: Header=BB377_10 Depth=1
	v_or_b32_e32 v2, 0x10000, v1
	v_cmp_eq_u32_sdwa vcc, v1, v9 src0_sel:WORD_0 src1_sel:DWORD
	s_nop 1
	v_cndmask_b32_e32 v1, v2, v1, vcc
	v_accvgpr_write_b32 a38, v1
; %bb.134:                              ;   in Loop: Header=BB377_10 Depth=1
	s_or_b64 exec, exec, s[34:35]
	v_lshrrev_b32_e32 v0, 24, v0
	v_cvt_f32_fp8_sdwa v0, v0 src0_sel:BYTE_0
                                        ; implicit-def: $agpr39
	s_nop 0
	v_mul_f32_e32 v0, v53, v0
	v_and_b32_e32 v1, 0x7f800000, v0
	v_cmp_ne_u32_e32 vcc, s19, v1
	s_and_saveexec_b64 s[34:35], vcc
	s_xor_b64 vcc, exec, s[34:35]
; %bb.135:                              ;   in Loop: Header=BB377_10 Depth=1
	v_bfe_u32 v1, v0, 16, 1
	v_add3_u32 v0, v0, v1, s37
	v_accvgpr_write_b32 a39, v0
                                        ; implicit-def: $vgpr0
; %bb.136:                              ;   in Loop: Header=BB377_10 Depth=1
	s_andn2_saveexec_b64 s[34:35], vcc
; %bb.137:                              ;   in Loop: Header=BB377_10 Depth=1
	v_or_b32_e32 v1, 0x10000, v0
	v_cmp_eq_u32_sdwa vcc, v0, v9 src0_sel:WORD_0 src1_sel:DWORD
	s_nop 1
	v_cndmask_b32_e32 v0, v1, v0, vcc
	v_accvgpr_write_b32 a39, v0
; %bb.138:                              ;   in Loop: Header=BB377_10 Depth=1
	s_or_b64 exec, exec, s[34:35]
	flat_load_dword v0, v[28:29] offset:2048
                                        ; implicit-def: $agpr40
	s_waitcnt vmcnt(0) lgkmcnt(0)
	v_and_b32_e32 v1, 0xff, v0
	v_cvt_f32_fp8_sdwa v1, v1 src0_sel:BYTE_0
	s_nop 0
	v_mul_f32_e32 v1, v53, v1
	v_and_b32_e32 v2, 0x7f800000, v1
	v_cmp_ne_u32_e32 vcc, s19, v2
	s_and_saveexec_b64 s[34:35], vcc
	s_xor_b64 vcc, exec, s[34:35]
; %bb.139:                              ;   in Loop: Header=BB377_10 Depth=1
	v_bfe_u32 v2, v1, 16, 1
	v_add3_u32 v1, v1, v2, s37
	v_accvgpr_write_b32 a40, v1
                                        ; implicit-def: $vgpr1
; %bb.140:                              ;   in Loop: Header=BB377_10 Depth=1
	s_andn2_saveexec_b64 s[34:35], vcc
; %bb.141:                              ;   in Loop: Header=BB377_10 Depth=1
	v_or_b32_e32 v2, 0x10000, v1
	v_cmp_eq_u32_sdwa vcc, v1, v9 src0_sel:WORD_0 src1_sel:DWORD
	s_nop 1
	v_cndmask_b32_e32 v1, v2, v1, vcc
	v_accvgpr_write_b32 a40, v1
; %bb.142:                              ;   in Loop: Header=BB377_10 Depth=1
	s_or_b64 exec, exec, s[34:35]
	v_bfe_u32 v1, v0, 8, 8
	v_cvt_f32_fp8_sdwa v1, v1 src0_sel:BYTE_0
                                        ; implicit-def: $agpr41
	s_nop 0
	v_mul_f32_e32 v1, v53, v1
	v_and_b32_e32 v2, 0x7f800000, v1
	v_cmp_ne_u32_e32 vcc, s19, v2
	s_and_saveexec_b64 s[34:35], vcc
	s_xor_b64 vcc, exec, s[34:35]
; %bb.143:                              ;   in Loop: Header=BB377_10 Depth=1
	v_bfe_u32 v2, v1, 16, 1
	v_add3_u32 v1, v1, v2, s37
	v_accvgpr_write_b32 a41, v1
                                        ; implicit-def: $vgpr1
; %bb.144:                              ;   in Loop: Header=BB377_10 Depth=1
	s_andn2_saveexec_b64 s[34:35], vcc
; %bb.145:                              ;   in Loop: Header=BB377_10 Depth=1
	v_or_b32_e32 v2, 0x10000, v1
	v_cmp_eq_u32_sdwa vcc, v1, v9 src0_sel:WORD_0 src1_sel:DWORD
	s_nop 1
	v_cndmask_b32_e32 v1, v2, v1, vcc
	v_accvgpr_write_b32 a41, v1
; %bb.146:                              ;   in Loop: Header=BB377_10 Depth=1
	s_or_b64 exec, exec, s[34:35]
	v_bfe_u32 v1, v0, 16, 8
	v_cvt_f32_fp8_sdwa v1, v1 src0_sel:BYTE_0
                                        ; implicit-def: $agpr42
	s_nop 0
	v_mul_f32_e32 v1, v53, v1
	v_and_b32_e32 v2, 0x7f800000, v1
	v_cmp_ne_u32_e32 vcc, s19, v2
	s_and_saveexec_b64 s[34:35], vcc
	s_xor_b64 vcc, exec, s[34:35]
; %bb.147:                              ;   in Loop: Header=BB377_10 Depth=1
	v_bfe_u32 v2, v1, 16, 1
	v_add3_u32 v1, v1, v2, s37
	v_accvgpr_write_b32 a42, v1
                                        ; implicit-def: $vgpr1
; %bb.148:                              ;   in Loop: Header=BB377_10 Depth=1
	s_andn2_saveexec_b64 s[34:35], vcc
; %bb.149:                              ;   in Loop: Header=BB377_10 Depth=1
	v_or_b32_e32 v2, 0x10000, v1
	v_cmp_eq_u32_sdwa vcc, v1, v9 src0_sel:WORD_0 src1_sel:DWORD
	s_nop 1
	v_cndmask_b32_e32 v1, v2, v1, vcc
	v_accvgpr_write_b32 a42, v1
; %bb.150:                              ;   in Loop: Header=BB377_10 Depth=1
	s_or_b64 exec, exec, s[34:35]
	v_lshrrev_b32_e32 v0, 24, v0
	v_cvt_f32_fp8_sdwa v0, v0 src0_sel:BYTE_0
                                        ; implicit-def: $agpr43
	s_nop 0
	v_mul_f32_e32 v0, v53, v0
	v_and_b32_e32 v1, 0x7f800000, v0
	v_cmp_ne_u32_e32 vcc, s19, v1
	s_and_saveexec_b64 s[34:35], vcc
	s_xor_b64 vcc, exec, s[34:35]
; %bb.151:                              ;   in Loop: Header=BB377_10 Depth=1
	v_bfe_u32 v1, v0, 16, 1
	v_add3_u32 v0, v0, v1, s37
	v_accvgpr_write_b32 a43, v0
                                        ; implicit-def: $vgpr0
; %bb.152:                              ;   in Loop: Header=BB377_10 Depth=1
	s_andn2_saveexec_b64 s[34:35], vcc
; %bb.153:                              ;   in Loop: Header=BB377_10 Depth=1
	v_or_b32_e32 v1, 0x10000, v0
	v_cmp_eq_u32_sdwa vcc, v0, v9 src0_sel:WORD_0 src1_sel:DWORD
	s_nop 1
	v_cndmask_b32_e32 v0, v1, v0, vcc
	v_accvgpr_write_b32 a43, v0
; %bb.154:                              ;   in Loop: Header=BB377_10 Depth=1
	s_or_b64 exec, exec, s[34:35]
	flat_load_dword v0, v[28:29] offset:2056
                                        ; implicit-def: $agpr44
	s_waitcnt vmcnt(0) lgkmcnt(0)
	v_and_b32_e32 v1, 0xff, v0
	v_cvt_f32_fp8_sdwa v1, v1 src0_sel:BYTE_0
	s_nop 0
	v_mul_f32_e32 v1, v53, v1
	v_and_b32_e32 v2, 0x7f800000, v1
	v_cmp_ne_u32_e32 vcc, s19, v2
	s_and_saveexec_b64 s[34:35], vcc
	s_xor_b64 vcc, exec, s[34:35]
; %bb.155:                              ;   in Loop: Header=BB377_10 Depth=1
	v_bfe_u32 v2, v1, 16, 1
	v_add3_u32 v1, v1, v2, s37
	v_accvgpr_write_b32 a44, v1
                                        ; implicit-def: $vgpr1
; %bb.156:                              ;   in Loop: Header=BB377_10 Depth=1
	s_andn2_saveexec_b64 s[34:35], vcc
; %bb.157:                              ;   in Loop: Header=BB377_10 Depth=1
	v_or_b32_e32 v2, 0x10000, v1
	v_cmp_eq_u32_sdwa vcc, v1, v9 src0_sel:WORD_0 src1_sel:DWORD
	s_nop 1
	v_cndmask_b32_e32 v1, v2, v1, vcc
	v_accvgpr_write_b32 a44, v1
; %bb.158:                              ;   in Loop: Header=BB377_10 Depth=1
	s_or_b64 exec, exec, s[34:35]
	v_bfe_u32 v1, v0, 8, 8
	v_cvt_f32_fp8_sdwa v1, v1 src0_sel:BYTE_0
                                        ; implicit-def: $agpr45
	s_nop 0
	v_mul_f32_e32 v1, v53, v1
	v_and_b32_e32 v2, 0x7f800000, v1
	v_cmp_ne_u32_e32 vcc, s19, v2
	s_and_saveexec_b64 s[34:35], vcc
	s_xor_b64 vcc, exec, s[34:35]
; %bb.159:                              ;   in Loop: Header=BB377_10 Depth=1
	v_bfe_u32 v2, v1, 16, 1
	v_add3_u32 v1, v1, v2, s37
	v_accvgpr_write_b32 a45, v1
                                        ; implicit-def: $vgpr1
; %bb.160:                              ;   in Loop: Header=BB377_10 Depth=1
	s_andn2_saveexec_b64 s[34:35], vcc
; %bb.161:                              ;   in Loop: Header=BB377_10 Depth=1
	v_or_b32_e32 v2, 0x10000, v1
	v_cmp_eq_u32_sdwa vcc, v1, v9 src0_sel:WORD_0 src1_sel:DWORD
	s_nop 1
	v_cndmask_b32_e32 v1, v2, v1, vcc
	v_accvgpr_write_b32 a45, v1
; %bb.162:                              ;   in Loop: Header=BB377_10 Depth=1
	s_or_b64 exec, exec, s[34:35]
	v_bfe_u32 v1, v0, 16, 8
	v_cvt_f32_fp8_sdwa v1, v1 src0_sel:BYTE_0
                                        ; implicit-def: $agpr46
	s_nop 0
	v_mul_f32_e32 v1, v53, v1
	v_and_b32_e32 v2, 0x7f800000, v1
	v_cmp_ne_u32_e32 vcc, s19, v2
	s_and_saveexec_b64 s[34:35], vcc
	s_xor_b64 vcc, exec, s[34:35]
; %bb.163:                              ;   in Loop: Header=BB377_10 Depth=1
	v_bfe_u32 v2, v1, 16, 1
	v_add3_u32 v1, v1, v2, s37
	v_accvgpr_write_b32 a46, v1
                                        ; implicit-def: $vgpr1
; %bb.164:                              ;   in Loop: Header=BB377_10 Depth=1
	s_andn2_saveexec_b64 s[34:35], vcc
; %bb.165:                              ;   in Loop: Header=BB377_10 Depth=1
	v_or_b32_e32 v2, 0x10000, v1
	v_cmp_eq_u32_sdwa vcc, v1, v9 src0_sel:WORD_0 src1_sel:DWORD
	s_nop 1
	v_cndmask_b32_e32 v1, v2, v1, vcc
	v_accvgpr_write_b32 a46, v1
; %bb.166:                              ;   in Loop: Header=BB377_10 Depth=1
	s_or_b64 exec, exec, s[34:35]
	v_lshrrev_b32_e32 v0, 24, v0
	v_cvt_f32_fp8_sdwa v0, v0 src0_sel:BYTE_0
                                        ; implicit-def: $agpr47
	s_nop 0
	v_mul_f32_e32 v0, v53, v0
	v_and_b32_e32 v1, 0x7f800000, v0
	v_cmp_ne_u32_e32 vcc, s19, v1
	s_and_saveexec_b64 s[34:35], vcc
	s_xor_b64 vcc, exec, s[34:35]
; %bb.167:                              ;   in Loop: Header=BB377_10 Depth=1
	v_bfe_u32 v1, v0, 16, 1
	v_add3_u32 v0, v0, v1, s37
	v_accvgpr_write_b32 a47, v0
                                        ; implicit-def: $vgpr0
; %bb.168:                              ;   in Loop: Header=BB377_10 Depth=1
	s_andn2_saveexec_b64 s[34:35], vcc
; %bb.169:                              ;   in Loop: Header=BB377_10 Depth=1
	v_or_b32_e32 v1, 0x10000, v0
	v_cmp_eq_u32_sdwa vcc, v0, v9 src0_sel:WORD_0 src1_sel:DWORD
	s_nop 1
	v_cndmask_b32_e32 v0, v1, v0, vcc
	v_accvgpr_write_b32 a47, v0
; %bb.170:                              ;   in Loop: Header=BB377_10 Depth=1
	s_or_b64 exec, exec, s[34:35]
	flat_load_dword v0, v[28:29] offset:2560
                                        ; implicit-def: $agpr48
	s_waitcnt vmcnt(0) lgkmcnt(0)
	v_and_b32_e32 v1, 0xff, v0
	v_cvt_f32_fp8_sdwa v1, v1 src0_sel:BYTE_0
	s_nop 0
	v_mul_f32_e32 v1, v53, v1
	v_and_b32_e32 v2, 0x7f800000, v1
	v_cmp_ne_u32_e32 vcc, s19, v2
	s_and_saveexec_b64 s[34:35], vcc
	s_xor_b64 vcc, exec, s[34:35]
; %bb.171:                              ;   in Loop: Header=BB377_10 Depth=1
	v_bfe_u32 v2, v1, 16, 1
	v_add3_u32 v1, v1, v2, s37
	v_accvgpr_write_b32 a48, v1
                                        ; implicit-def: $vgpr1
; %bb.172:                              ;   in Loop: Header=BB377_10 Depth=1
	s_andn2_saveexec_b64 s[34:35], vcc
; %bb.173:                              ;   in Loop: Header=BB377_10 Depth=1
	v_or_b32_e32 v2, 0x10000, v1
	v_cmp_eq_u32_sdwa vcc, v1, v9 src0_sel:WORD_0 src1_sel:DWORD
	s_nop 1
	v_cndmask_b32_e32 v1, v2, v1, vcc
	v_accvgpr_write_b32 a48, v1
; %bb.174:                              ;   in Loop: Header=BB377_10 Depth=1
	s_or_b64 exec, exec, s[34:35]
	v_bfe_u32 v1, v0, 8, 8
	v_cvt_f32_fp8_sdwa v1, v1 src0_sel:BYTE_0
                                        ; implicit-def: $agpr49
	s_nop 0
	v_mul_f32_e32 v1, v53, v1
	v_and_b32_e32 v2, 0x7f800000, v1
	v_cmp_ne_u32_e32 vcc, s19, v2
	s_and_saveexec_b64 s[34:35], vcc
	s_xor_b64 vcc, exec, s[34:35]
; %bb.175:                              ;   in Loop: Header=BB377_10 Depth=1
	v_bfe_u32 v2, v1, 16, 1
	v_add3_u32 v1, v1, v2, s37
	v_accvgpr_write_b32 a49, v1
                                        ; implicit-def: $vgpr1
; %bb.176:                              ;   in Loop: Header=BB377_10 Depth=1
	s_andn2_saveexec_b64 s[34:35], vcc
; %bb.177:                              ;   in Loop: Header=BB377_10 Depth=1
	v_or_b32_e32 v2, 0x10000, v1
	v_cmp_eq_u32_sdwa vcc, v1, v9 src0_sel:WORD_0 src1_sel:DWORD
	s_nop 1
	v_cndmask_b32_e32 v1, v2, v1, vcc
	v_accvgpr_write_b32 a49, v1
; %bb.178:                              ;   in Loop: Header=BB377_10 Depth=1
	s_or_b64 exec, exec, s[34:35]
	v_bfe_u32 v1, v0, 16, 8
	v_cvt_f32_fp8_sdwa v1, v1 src0_sel:BYTE_0
                                        ; implicit-def: $agpr50
	s_nop 0
	v_mul_f32_e32 v1, v53, v1
	v_and_b32_e32 v2, 0x7f800000, v1
	v_cmp_ne_u32_e32 vcc, s19, v2
	s_and_saveexec_b64 s[34:35], vcc
	s_xor_b64 vcc, exec, s[34:35]
; %bb.179:                              ;   in Loop: Header=BB377_10 Depth=1
	v_bfe_u32 v2, v1, 16, 1
	v_add3_u32 v1, v1, v2, s37
	v_accvgpr_write_b32 a50, v1
                                        ; implicit-def: $vgpr1
; %bb.180:                              ;   in Loop: Header=BB377_10 Depth=1
	s_andn2_saveexec_b64 s[34:35], vcc
; %bb.181:                              ;   in Loop: Header=BB377_10 Depth=1
	v_or_b32_e32 v2, 0x10000, v1
	v_cmp_eq_u32_sdwa vcc, v1, v9 src0_sel:WORD_0 src1_sel:DWORD
	s_nop 1
	v_cndmask_b32_e32 v1, v2, v1, vcc
	v_accvgpr_write_b32 a50, v1
; %bb.182:                              ;   in Loop: Header=BB377_10 Depth=1
	s_or_b64 exec, exec, s[34:35]
	v_lshrrev_b32_e32 v0, 24, v0
	v_cvt_f32_fp8_sdwa v0, v0 src0_sel:BYTE_0
                                        ; implicit-def: $agpr51
	s_nop 0
	v_mul_f32_e32 v0, v53, v0
	v_and_b32_e32 v1, 0x7f800000, v0
	v_cmp_ne_u32_e32 vcc, s19, v1
	s_and_saveexec_b64 s[34:35], vcc
	s_xor_b64 vcc, exec, s[34:35]
; %bb.183:                              ;   in Loop: Header=BB377_10 Depth=1
	v_bfe_u32 v1, v0, 16, 1
	v_add3_u32 v0, v0, v1, s37
	v_accvgpr_write_b32 a51, v0
                                        ; implicit-def: $vgpr0
; %bb.184:                              ;   in Loop: Header=BB377_10 Depth=1
	s_andn2_saveexec_b64 s[34:35], vcc
; %bb.185:                              ;   in Loop: Header=BB377_10 Depth=1
	v_or_b32_e32 v1, 0x10000, v0
	v_cmp_eq_u32_sdwa vcc, v0, v9 src0_sel:WORD_0 src1_sel:DWORD
	s_nop 1
	v_cndmask_b32_e32 v0, v1, v0, vcc
	v_accvgpr_write_b32 a51, v0
; %bb.186:                              ;   in Loop: Header=BB377_10 Depth=1
	s_or_b64 exec, exec, s[34:35]
	flat_load_dword v0, v[28:29] offset:2568
                                        ; implicit-def: $agpr52
	s_waitcnt vmcnt(0) lgkmcnt(0)
	v_and_b32_e32 v1, 0xff, v0
	v_cvt_f32_fp8_sdwa v1, v1 src0_sel:BYTE_0
	s_nop 0
	v_mul_f32_e32 v1, v53, v1
	v_and_b32_e32 v2, 0x7f800000, v1
	v_cmp_ne_u32_e32 vcc, s19, v2
	s_and_saveexec_b64 s[34:35], vcc
	s_xor_b64 vcc, exec, s[34:35]
; %bb.187:                              ;   in Loop: Header=BB377_10 Depth=1
	v_bfe_u32 v2, v1, 16, 1
	v_add3_u32 v1, v1, v2, s37
	v_accvgpr_write_b32 a52, v1
                                        ; implicit-def: $vgpr1
; %bb.188:                              ;   in Loop: Header=BB377_10 Depth=1
	s_andn2_saveexec_b64 s[34:35], vcc
; %bb.189:                              ;   in Loop: Header=BB377_10 Depth=1
	v_or_b32_e32 v2, 0x10000, v1
	v_cmp_eq_u32_sdwa vcc, v1, v9 src0_sel:WORD_0 src1_sel:DWORD
	s_nop 1
	v_cndmask_b32_e32 v1, v2, v1, vcc
	v_accvgpr_write_b32 a52, v1
; %bb.190:                              ;   in Loop: Header=BB377_10 Depth=1
	s_or_b64 exec, exec, s[34:35]
	v_bfe_u32 v1, v0, 8, 8
	v_cvt_f32_fp8_sdwa v1, v1 src0_sel:BYTE_0
                                        ; implicit-def: $agpr53
	s_nop 0
	v_mul_f32_e32 v1, v53, v1
	v_and_b32_e32 v2, 0x7f800000, v1
	v_cmp_ne_u32_e32 vcc, s19, v2
	s_and_saveexec_b64 s[34:35], vcc
	s_xor_b64 vcc, exec, s[34:35]
; %bb.191:                              ;   in Loop: Header=BB377_10 Depth=1
	v_bfe_u32 v2, v1, 16, 1
	v_add3_u32 v1, v1, v2, s37
	v_accvgpr_write_b32 a53, v1
                                        ; implicit-def: $vgpr1
; %bb.192:                              ;   in Loop: Header=BB377_10 Depth=1
	s_andn2_saveexec_b64 s[34:35], vcc
; %bb.193:                              ;   in Loop: Header=BB377_10 Depth=1
	v_or_b32_e32 v2, 0x10000, v1
	v_cmp_eq_u32_sdwa vcc, v1, v9 src0_sel:WORD_0 src1_sel:DWORD
	s_nop 1
	v_cndmask_b32_e32 v1, v2, v1, vcc
	v_accvgpr_write_b32 a53, v1
; %bb.194:                              ;   in Loop: Header=BB377_10 Depth=1
	s_or_b64 exec, exec, s[34:35]
	v_bfe_u32 v1, v0, 16, 8
	v_cvt_f32_fp8_sdwa v1, v1 src0_sel:BYTE_0
                                        ; implicit-def: $agpr54
	s_nop 0
	v_mul_f32_e32 v1, v53, v1
	v_and_b32_e32 v2, 0x7f800000, v1
	v_cmp_ne_u32_e32 vcc, s19, v2
	s_and_saveexec_b64 s[34:35], vcc
	s_xor_b64 vcc, exec, s[34:35]
; %bb.195:                              ;   in Loop: Header=BB377_10 Depth=1
	v_bfe_u32 v2, v1, 16, 1
	v_add3_u32 v1, v1, v2, s37
	v_accvgpr_write_b32 a54, v1
                                        ; implicit-def: $vgpr1
; %bb.196:                              ;   in Loop: Header=BB377_10 Depth=1
	s_andn2_saveexec_b64 s[34:35], vcc
; %bb.197:                              ;   in Loop: Header=BB377_10 Depth=1
	v_or_b32_e32 v2, 0x10000, v1
	v_cmp_eq_u32_sdwa vcc, v1, v9 src0_sel:WORD_0 src1_sel:DWORD
	s_nop 1
	v_cndmask_b32_e32 v1, v2, v1, vcc
	v_accvgpr_write_b32 a54, v1
; %bb.198:                              ;   in Loop: Header=BB377_10 Depth=1
	s_or_b64 exec, exec, s[34:35]
	v_lshrrev_b32_e32 v0, 24, v0
	v_cvt_f32_fp8_sdwa v0, v0 src0_sel:BYTE_0
                                        ; implicit-def: $vgpr31
	s_nop 0
	v_mul_f32_e32 v0, v53, v0
	v_and_b32_e32 v1, 0x7f800000, v0
	v_cmp_ne_u32_e32 vcc, s19, v1
	s_and_saveexec_b64 s[34:35], vcc
	s_xor_b64 vcc, exec, s[34:35]
; %bb.199:                              ;   in Loop: Header=BB377_10 Depth=1
	v_bfe_u32 v1, v0, 16, 1
	v_add3_u32 v31, v0, v1, s37
                                        ; implicit-def: $vgpr0
; %bb.200:                              ;   in Loop: Header=BB377_10 Depth=1
	s_andn2_saveexec_b64 s[34:35], vcc
; %bb.201:                              ;   in Loop: Header=BB377_10 Depth=1
	v_or_b32_e32 v1, 0x10000, v0
	v_cmp_eq_u32_sdwa vcc, v0, v9 src0_sel:WORD_0 src1_sel:DWORD
	s_nop 1
	v_cndmask_b32_e32 v31, v1, v0, vcc
; %bb.202:                              ;   in Loop: Header=BB377_10 Depth=1
	s_or_b64 exec, exec, s[34:35]
	flat_load_dword v0, v[28:29] offset:3072
                                        ; implicit-def: $vgpr25
	s_waitcnt vmcnt(0) lgkmcnt(0)
	v_and_b32_e32 v1, 0xff, v0
	v_cvt_f32_fp8_sdwa v1, v1 src0_sel:BYTE_0
	s_nop 0
	v_mul_f32_e32 v1, v53, v1
	v_and_b32_e32 v2, 0x7f800000, v1
	v_cmp_ne_u32_e32 vcc, s19, v2
	s_and_saveexec_b64 s[34:35], vcc
	s_xor_b64 vcc, exec, s[34:35]
; %bb.203:                              ;   in Loop: Header=BB377_10 Depth=1
	v_bfe_u32 v2, v1, 16, 1
	v_add3_u32 v25, v1, v2, s37
                                        ; implicit-def: $vgpr1
; %bb.204:                              ;   in Loop: Header=BB377_10 Depth=1
	s_andn2_saveexec_b64 s[34:35], vcc
; %bb.205:                              ;   in Loop: Header=BB377_10 Depth=1
	v_or_b32_e32 v2, 0x10000, v1
	v_cmp_eq_u32_sdwa vcc, v1, v9 src0_sel:WORD_0 src1_sel:DWORD
	s_nop 1
	v_cndmask_b32_e32 v25, v2, v1, vcc
; %bb.206:                              ;   in Loop: Header=BB377_10 Depth=1
	s_or_b64 exec, exec, s[34:35]
	v_bfe_u32 v1, v0, 8, 8
	v_cvt_f32_fp8_sdwa v1, v1 src0_sel:BYTE_0
                                        ; implicit-def: $vgpr24
	s_nop 0
	v_mul_f32_e32 v1, v53, v1
	v_and_b32_e32 v2, 0x7f800000, v1
	v_cmp_ne_u32_e32 vcc, s19, v2
	s_and_saveexec_b64 s[34:35], vcc
	s_xor_b64 vcc, exec, s[34:35]
; %bb.207:                              ;   in Loop: Header=BB377_10 Depth=1
	v_bfe_u32 v2, v1, 16, 1
	v_add3_u32 v24, v1, v2, s37
                                        ; implicit-def: $vgpr1
; %bb.208:                              ;   in Loop: Header=BB377_10 Depth=1
	s_andn2_saveexec_b64 s[34:35], vcc
; %bb.209:                              ;   in Loop: Header=BB377_10 Depth=1
	v_or_b32_e32 v2, 0x10000, v1
	v_cmp_eq_u32_sdwa vcc, v1, v9 src0_sel:WORD_0 src1_sel:DWORD
	s_nop 1
	v_cndmask_b32_e32 v24, v2, v1, vcc
; %bb.210:                              ;   in Loop: Header=BB377_10 Depth=1
	s_or_b64 exec, exec, s[34:35]
	v_bfe_u32 v1, v0, 16, 8
	v_cvt_f32_fp8_sdwa v1, v1 src0_sel:BYTE_0
                                        ; implicit-def: $vgpr48
	s_nop 0
	v_mul_f32_e32 v1, v53, v1
	v_and_b32_e32 v2, 0x7f800000, v1
	v_cmp_ne_u32_e32 vcc, s19, v2
	s_and_saveexec_b64 s[34:35], vcc
	s_xor_b64 vcc, exec, s[34:35]
; %bb.211:                              ;   in Loop: Header=BB377_10 Depth=1
	v_bfe_u32 v2, v1, 16, 1
	v_add3_u32 v48, v1, v2, s37
                                        ; implicit-def: $vgpr1
; %bb.212:                              ;   in Loop: Header=BB377_10 Depth=1
	s_andn2_saveexec_b64 s[34:35], vcc
; %bb.213:                              ;   in Loop: Header=BB377_10 Depth=1
	v_or_b32_e32 v2, 0x10000, v1
	v_cmp_eq_u32_sdwa vcc, v1, v9 src0_sel:WORD_0 src1_sel:DWORD
	s_nop 1
	v_cndmask_b32_e32 v48, v2, v1, vcc
; %bb.214:                              ;   in Loop: Header=BB377_10 Depth=1
	s_or_b64 exec, exec, s[34:35]
	v_lshrrev_b32_e32 v0, 24, v0
	v_cvt_f32_fp8_sdwa v0, v0 src0_sel:BYTE_0
                                        ; implicit-def: $vgpr50
	s_nop 0
	v_mul_f32_e32 v0, v53, v0
	v_and_b32_e32 v1, 0x7f800000, v0
	v_cmp_ne_u32_e32 vcc, s19, v1
	s_and_saveexec_b64 s[34:35], vcc
	s_xor_b64 vcc, exec, s[34:35]
; %bb.215:                              ;   in Loop: Header=BB377_10 Depth=1
	v_bfe_u32 v1, v0, 16, 1
	v_add3_u32 v50, v0, v1, s37
                                        ; implicit-def: $vgpr0
; %bb.216:                              ;   in Loop: Header=BB377_10 Depth=1
	s_andn2_saveexec_b64 s[34:35], vcc
; %bb.217:                              ;   in Loop: Header=BB377_10 Depth=1
	v_or_b32_e32 v1, 0x10000, v0
	v_cmp_eq_u32_sdwa vcc, v0, v9 src0_sel:WORD_0 src1_sel:DWORD
	s_nop 1
	v_cndmask_b32_e32 v50, v1, v0, vcc
; %bb.218:                              ;   in Loop: Header=BB377_10 Depth=1
	s_or_b64 exec, exec, s[34:35]
	flat_load_dword v0, v[28:29] offset:3080
                                        ; implicit-def: $vgpr51
	s_waitcnt vmcnt(0) lgkmcnt(0)
	v_and_b32_e32 v1, 0xff, v0
	v_cvt_f32_fp8_sdwa v1, v1 src0_sel:BYTE_0
	s_nop 0
	v_mul_f32_e32 v1, v53, v1
	v_and_b32_e32 v2, 0x7f800000, v1
	v_cmp_ne_u32_e32 vcc, s19, v2
	s_and_saveexec_b64 s[34:35], vcc
	s_xor_b64 vcc, exec, s[34:35]
; %bb.219:                              ;   in Loop: Header=BB377_10 Depth=1
	v_bfe_u32 v2, v1, 16, 1
	v_add3_u32 v51, v1, v2, s37
                                        ; implicit-def: $vgpr1
; %bb.220:                              ;   in Loop: Header=BB377_10 Depth=1
	s_andn2_saveexec_b64 s[34:35], vcc
; %bb.221:                              ;   in Loop: Header=BB377_10 Depth=1
	v_or_b32_e32 v2, 0x10000, v1
	v_cmp_eq_u32_sdwa vcc, v1, v9 src0_sel:WORD_0 src1_sel:DWORD
	s_nop 1
	v_cndmask_b32_e32 v51, v2, v1, vcc
; %bb.222:                              ;   in Loop: Header=BB377_10 Depth=1
	s_or_b64 exec, exec, s[34:35]
	v_bfe_u32 v1, v0, 8, 8
	v_cvt_f32_fp8_sdwa v1, v1 src0_sel:BYTE_0
                                        ; implicit-def: $vgpr52
	s_nop 0
	v_mul_f32_e32 v1, v53, v1
	v_and_b32_e32 v2, 0x7f800000, v1
	v_cmp_ne_u32_e32 vcc, s19, v2
	s_and_saveexec_b64 s[34:35], vcc
	s_xor_b64 vcc, exec, s[34:35]
; %bb.223:                              ;   in Loop: Header=BB377_10 Depth=1
	v_bfe_u32 v2, v1, 16, 1
	v_add3_u32 v52, v1, v2, s37
                                        ; implicit-def: $vgpr1
; %bb.224:                              ;   in Loop: Header=BB377_10 Depth=1
	s_andn2_saveexec_b64 s[34:35], vcc
; %bb.225:                              ;   in Loop: Header=BB377_10 Depth=1
	v_or_b32_e32 v2, 0x10000, v1
	v_cmp_eq_u32_sdwa vcc, v1, v9 src0_sel:WORD_0 src1_sel:DWORD
	s_nop 1
	v_cndmask_b32_e32 v52, v2, v1, vcc
; %bb.226:                              ;   in Loop: Header=BB377_10 Depth=1
	s_or_b64 exec, exec, s[34:35]
	v_bfe_u32 v1, v0, 16, 8
	v_cvt_f32_fp8_sdwa v1, v1 src0_sel:BYTE_0
                                        ; implicit-def: $vgpr54
	s_nop 0
	v_mul_f32_e32 v1, v53, v1
	v_and_b32_e32 v2, 0x7f800000, v1
	v_cmp_ne_u32_e32 vcc, s19, v2
	s_and_saveexec_b64 s[34:35], vcc
	s_xor_b64 vcc, exec, s[34:35]
; %bb.227:                              ;   in Loop: Header=BB377_10 Depth=1
	v_bfe_u32 v2, v1, 16, 1
	v_add3_u32 v54, v1, v2, s37
                                        ; implicit-def: $vgpr1
; %bb.228:                              ;   in Loop: Header=BB377_10 Depth=1
	s_andn2_saveexec_b64 s[34:35], vcc
; %bb.229:                              ;   in Loop: Header=BB377_10 Depth=1
	v_or_b32_e32 v2, 0x10000, v1
	v_cmp_eq_u32_sdwa vcc, v1, v9 src0_sel:WORD_0 src1_sel:DWORD
	s_nop 1
	v_cndmask_b32_e32 v54, v2, v1, vcc
; %bb.230:                              ;   in Loop: Header=BB377_10 Depth=1
	s_or_b64 exec, exec, s[34:35]
	v_lshrrev_b32_e32 v0, 24, v0
	v_cvt_f32_fp8_sdwa v0, v0 src0_sel:BYTE_0
                                        ; implicit-def: $vgpr55
	s_nop 0
	v_mul_f32_e32 v0, v53, v0
	v_and_b32_e32 v1, 0x7f800000, v0
	v_cmp_ne_u32_e32 vcc, s19, v1
	s_and_saveexec_b64 s[34:35], vcc
	s_xor_b64 vcc, exec, s[34:35]
; %bb.231:                              ;   in Loop: Header=BB377_10 Depth=1
	v_bfe_u32 v1, v0, 16, 1
	v_add3_u32 v55, v0, v1, s37
                                        ; implicit-def: $vgpr0
; %bb.232:                              ;   in Loop: Header=BB377_10 Depth=1
	s_andn2_saveexec_b64 s[34:35], vcc
; %bb.233:                              ;   in Loop: Header=BB377_10 Depth=1
	v_or_b32_e32 v1, 0x10000, v0
	v_cmp_eq_u32_sdwa vcc, v0, v9 src0_sel:WORD_0 src1_sel:DWORD
	s_nop 1
	v_cndmask_b32_e32 v55, v1, v0, vcc
; %bb.234:                              ;   in Loop: Header=BB377_10 Depth=1
	s_or_b64 exec, exec, s[34:35]
	flat_load_dword v0, v[28:29] offset:3584
                                        ; implicit-def: $vgpr40
	s_waitcnt vmcnt(0) lgkmcnt(0)
	v_and_b32_e32 v1, 0xff, v0
	v_cvt_f32_fp8_sdwa v1, v1 src0_sel:BYTE_0
	s_nop 0
	v_mul_f32_e32 v1, v53, v1
	v_and_b32_e32 v2, 0x7f800000, v1
	v_cmp_ne_u32_e32 vcc, s19, v2
	s_and_saveexec_b64 s[34:35], vcc
	s_xor_b64 vcc, exec, s[34:35]
; %bb.235:                              ;   in Loop: Header=BB377_10 Depth=1
	v_bfe_u32 v2, v1, 16, 1
	v_add3_u32 v40, v1, v2, s37
                                        ; implicit-def: $vgpr1
; %bb.236:                              ;   in Loop: Header=BB377_10 Depth=1
	s_andn2_saveexec_b64 s[34:35], vcc
; %bb.237:                              ;   in Loop: Header=BB377_10 Depth=1
	v_or_b32_e32 v2, 0x10000, v1
	v_cmp_eq_u32_sdwa vcc, v1, v9 src0_sel:WORD_0 src1_sel:DWORD
	s_nop 1
	v_cndmask_b32_e32 v40, v2, v1, vcc
; %bb.238:                              ;   in Loop: Header=BB377_10 Depth=1
	s_or_b64 exec, exec, s[34:35]
	v_bfe_u32 v1, v0, 8, 8
	v_cvt_f32_fp8_sdwa v1, v1 src0_sel:BYTE_0
                                        ; implicit-def: $vgpr41
	s_nop 0
	v_mul_f32_e32 v1, v53, v1
	v_and_b32_e32 v2, 0x7f800000, v1
	v_cmp_ne_u32_e32 vcc, s19, v2
	s_and_saveexec_b64 s[34:35], vcc
	s_xor_b64 vcc, exec, s[34:35]
; %bb.239:                              ;   in Loop: Header=BB377_10 Depth=1
	v_bfe_u32 v2, v1, 16, 1
	v_add3_u32 v41, v1, v2, s37
                                        ; implicit-def: $vgpr1
; %bb.240:                              ;   in Loop: Header=BB377_10 Depth=1
	s_andn2_saveexec_b64 s[34:35], vcc
; %bb.241:                              ;   in Loop: Header=BB377_10 Depth=1
	v_or_b32_e32 v2, 0x10000, v1
	v_cmp_eq_u32_sdwa vcc, v1, v9 src0_sel:WORD_0 src1_sel:DWORD
	s_nop 1
	v_cndmask_b32_e32 v41, v2, v1, vcc
; %bb.242:                              ;   in Loop: Header=BB377_10 Depth=1
	s_or_b64 exec, exec, s[34:35]
	v_bfe_u32 v1, v0, 16, 8
	v_cvt_f32_fp8_sdwa v1, v1 src0_sel:BYTE_0
                                        ; implicit-def: $vgpr42
	s_nop 0
	v_mul_f32_e32 v1, v53, v1
	v_and_b32_e32 v2, 0x7f800000, v1
	v_cmp_ne_u32_e32 vcc, s19, v2
	s_and_saveexec_b64 s[34:35], vcc
	s_xor_b64 vcc, exec, s[34:35]
; %bb.243:                              ;   in Loop: Header=BB377_10 Depth=1
	v_bfe_u32 v2, v1, 16, 1
	v_add3_u32 v42, v1, v2, s37
                                        ; implicit-def: $vgpr1
; %bb.244:                              ;   in Loop: Header=BB377_10 Depth=1
	s_andn2_saveexec_b64 s[34:35], vcc
; %bb.245:                              ;   in Loop: Header=BB377_10 Depth=1
	v_or_b32_e32 v2, 0x10000, v1
	v_cmp_eq_u32_sdwa vcc, v1, v9 src0_sel:WORD_0 src1_sel:DWORD
	s_nop 1
	v_cndmask_b32_e32 v42, v2, v1, vcc
; %bb.246:                              ;   in Loop: Header=BB377_10 Depth=1
	s_or_b64 exec, exec, s[34:35]
	v_lshrrev_b32_e32 v0, 24, v0
	v_cvt_f32_fp8_sdwa v0, v0 src0_sel:BYTE_0
                                        ; implicit-def: $vgpr43
	s_nop 0
	v_mul_f32_e32 v0, v53, v0
	v_and_b32_e32 v1, 0x7f800000, v0
	v_cmp_ne_u32_e32 vcc, s19, v1
	s_and_saveexec_b64 s[34:35], vcc
	s_xor_b64 vcc, exec, s[34:35]
; %bb.247:                              ;   in Loop: Header=BB377_10 Depth=1
	v_bfe_u32 v1, v0, 16, 1
	v_add3_u32 v43, v0, v1, s37
                                        ; implicit-def: $vgpr0
; %bb.248:                              ;   in Loop: Header=BB377_10 Depth=1
	s_andn2_saveexec_b64 s[34:35], vcc
; %bb.249:                              ;   in Loop: Header=BB377_10 Depth=1
	v_or_b32_e32 v1, 0x10000, v0
	v_cmp_eq_u32_sdwa vcc, v0, v9 src0_sel:WORD_0 src1_sel:DWORD
	s_nop 1
	v_cndmask_b32_e32 v43, v1, v0, vcc
; %bb.250:                              ;   in Loop: Header=BB377_10 Depth=1
	s_or_b64 exec, exec, s[34:35]
	flat_load_dword v0, v[28:29] offset:3592
                                        ; implicit-def: $vgpr44
	s_waitcnt vmcnt(0) lgkmcnt(0)
	v_and_b32_e32 v1, 0xff, v0
	v_cvt_f32_fp8_sdwa v1, v1 src0_sel:BYTE_0
	s_nop 0
	v_mul_f32_e32 v1, v53, v1
	v_and_b32_e32 v2, 0x7f800000, v1
	v_cmp_ne_u32_e32 vcc, s19, v2
	s_and_saveexec_b64 s[34:35], vcc
	s_xor_b64 vcc, exec, s[34:35]
; %bb.251:                              ;   in Loop: Header=BB377_10 Depth=1
	v_bfe_u32 v2, v1, 16, 1
	v_add3_u32 v44, v1, v2, s37
                                        ; implicit-def: $vgpr1
; %bb.252:                              ;   in Loop: Header=BB377_10 Depth=1
	s_andn2_saveexec_b64 s[34:35], vcc
; %bb.253:                              ;   in Loop: Header=BB377_10 Depth=1
	v_or_b32_e32 v2, 0x10000, v1
	v_cmp_eq_u32_sdwa vcc, v1, v9 src0_sel:WORD_0 src1_sel:DWORD
	s_nop 1
	v_cndmask_b32_e32 v44, v2, v1, vcc
; %bb.254:                              ;   in Loop: Header=BB377_10 Depth=1
	s_or_b64 exec, exec, s[34:35]
	v_bfe_u32 v1, v0, 8, 8
	v_cvt_f32_fp8_sdwa v1, v1 src0_sel:BYTE_0
                                        ; implicit-def: $vgpr45
	s_nop 0
	v_mul_f32_e32 v1, v53, v1
	v_and_b32_e32 v2, 0x7f800000, v1
	v_cmp_ne_u32_e32 vcc, s19, v2
	s_and_saveexec_b64 s[34:35], vcc
	s_xor_b64 vcc, exec, s[34:35]
; %bb.255:                              ;   in Loop: Header=BB377_10 Depth=1
	v_bfe_u32 v2, v1, 16, 1
	v_add3_u32 v45, v1, v2, s37
                                        ; implicit-def: $vgpr1
; %bb.256:                              ;   in Loop: Header=BB377_10 Depth=1
	s_andn2_saveexec_b64 s[34:35], vcc
; %bb.257:                              ;   in Loop: Header=BB377_10 Depth=1
	v_or_b32_e32 v2, 0x10000, v1
	v_cmp_eq_u32_sdwa vcc, v1, v9 src0_sel:WORD_0 src1_sel:DWORD
	s_nop 1
	v_cndmask_b32_e32 v45, v2, v1, vcc
; %bb.258:                              ;   in Loop: Header=BB377_10 Depth=1
	s_or_b64 exec, exec, s[34:35]
	v_bfe_u32 v1, v0, 16, 8
	v_cvt_f32_fp8_sdwa v1, v1 src0_sel:BYTE_0
                                        ; implicit-def: $vgpr46
	s_nop 0
	v_mul_f32_e32 v1, v53, v1
	v_and_b32_e32 v2, 0x7f800000, v1
	v_cmp_ne_u32_e32 vcc, s19, v2
	s_and_saveexec_b64 s[34:35], vcc
	s_xor_b64 vcc, exec, s[34:35]
; %bb.259:                              ;   in Loop: Header=BB377_10 Depth=1
	v_bfe_u32 v2, v1, 16, 1
	v_add3_u32 v46, v1, v2, s37
                                        ; implicit-def: $vgpr1
; %bb.260:                              ;   in Loop: Header=BB377_10 Depth=1
	s_andn2_saveexec_b64 s[34:35], vcc
; %bb.261:                              ;   in Loop: Header=BB377_10 Depth=1
	v_or_b32_e32 v2, 0x10000, v1
	v_cmp_eq_u32_sdwa vcc, v1, v9 src0_sel:WORD_0 src1_sel:DWORD
	s_nop 1
	v_cndmask_b32_e32 v46, v2, v1, vcc
; %bb.262:                              ;   in Loop: Header=BB377_10 Depth=1
	s_or_b64 exec, exec, s[34:35]
	v_lshrrev_b32_e32 v0, 24, v0
	v_cvt_f32_fp8_sdwa v0, v0 src0_sel:BYTE_0
                                        ; implicit-def: $vgpr47
	s_nop 0
	v_mul_f32_e32 v0, v53, v0
	v_and_b32_e32 v1, 0x7f800000, v0
	v_cmp_ne_u32_e32 vcc, s19, v1
	s_and_saveexec_b64 s[34:35], vcc
	s_xor_b64 vcc, exec, s[34:35]
; %bb.263:                              ;   in Loop: Header=BB377_10 Depth=1
	v_bfe_u32 v1, v0, 16, 1
	v_add3_u32 v47, v0, v1, s37
                                        ; implicit-def: $vgpr0
; %bb.264:                              ;   in Loop: Header=BB377_10 Depth=1
	s_andn2_saveexec_b64 s[34:35], vcc
; %bb.265:                              ;   in Loop: Header=BB377_10 Depth=1
	v_or_b32_e32 v1, 0x10000, v0
	v_cmp_eq_u32_sdwa vcc, v0, v9 src0_sel:WORD_0 src1_sel:DWORD
	s_nop 1
	v_cndmask_b32_e32 v47, v1, v0, vcc
; %bb.266:                              ;   in Loop: Header=BB377_10 Depth=1
	s_or_b64 exec, exec, s[34:35]
	v_add_co_u32_e32 v0, vcc, 0x1000, v28
                                        ; implicit-def: $vgpr56
	s_nop 1
	v_addc_co_u32_e32 v1, vcc, 0, v29, vcc
	flat_load_dword v0, v[0:1]
	s_waitcnt vmcnt(0) lgkmcnt(0)
	v_and_b32_e32 v1, 0xff, v0
	v_cvt_f32_fp8_sdwa v1, v1 src0_sel:BYTE_0
	s_nop 0
	v_mul_f32_e32 v1, v53, v1
	v_and_b32_e32 v2, 0x7f800000, v1
	v_cmp_ne_u32_e32 vcc, s19, v2
	s_and_saveexec_b64 s[34:35], vcc
	s_xor_b64 vcc, exec, s[34:35]
; %bb.267:                              ;   in Loop: Header=BB377_10 Depth=1
	v_bfe_u32 v2, v1, 16, 1
	v_add3_u32 v56, v1, v2, s37
                                        ; implicit-def: $vgpr1
; %bb.268:                              ;   in Loop: Header=BB377_10 Depth=1
	s_andn2_saveexec_b64 s[34:35], vcc
; %bb.269:                              ;   in Loop: Header=BB377_10 Depth=1
	v_or_b32_e32 v2, 0x10000, v1
	v_cmp_eq_u32_sdwa vcc, v1, v9 src0_sel:WORD_0 src1_sel:DWORD
	s_nop 1
	v_cndmask_b32_e32 v56, v2, v1, vcc
; %bb.270:                              ;   in Loop: Header=BB377_10 Depth=1
	s_or_b64 exec, exec, s[34:35]
	v_bfe_u32 v1, v0, 8, 8
	v_cvt_f32_fp8_sdwa v1, v1 src0_sel:BYTE_0
                                        ; implicit-def: $vgpr57
	s_nop 0
	v_mul_f32_e32 v1, v53, v1
	v_and_b32_e32 v2, 0x7f800000, v1
	v_cmp_ne_u32_e32 vcc, s19, v2
	s_and_saveexec_b64 s[34:35], vcc
	s_xor_b64 vcc, exec, s[34:35]
; %bb.271:                              ;   in Loop: Header=BB377_10 Depth=1
	v_bfe_u32 v2, v1, 16, 1
	v_add3_u32 v57, v1, v2, s37
                                        ; implicit-def: $vgpr1
; %bb.272:                              ;   in Loop: Header=BB377_10 Depth=1
	s_andn2_saveexec_b64 s[34:35], vcc
; %bb.273:                              ;   in Loop: Header=BB377_10 Depth=1
	v_or_b32_e32 v2, 0x10000, v1
	v_cmp_eq_u32_sdwa vcc, v1, v9 src0_sel:WORD_0 src1_sel:DWORD
	s_nop 1
	v_cndmask_b32_e32 v57, v2, v1, vcc
; %bb.274:                              ;   in Loop: Header=BB377_10 Depth=1
	s_or_b64 exec, exec, s[34:35]
	v_bfe_u32 v1, v0, 16, 8
	v_cvt_f32_fp8_sdwa v1, v1 src0_sel:BYTE_0
                                        ; implicit-def: $vgpr16
	s_nop 0
	v_mul_f32_e32 v1, v53, v1
	v_and_b32_e32 v2, 0x7f800000, v1
	v_cmp_ne_u32_e32 vcc, s19, v2
	s_and_saveexec_b64 s[34:35], vcc
	s_xor_b64 vcc, exec, s[34:35]
; %bb.275:                              ;   in Loop: Header=BB377_10 Depth=1
	v_bfe_u32 v2, v1, 16, 1
	v_add3_u32 v16, v1, v2, s37
                                        ; implicit-def: $vgpr1
; %bb.276:                              ;   in Loop: Header=BB377_10 Depth=1
	s_andn2_saveexec_b64 s[34:35], vcc
; %bb.277:                              ;   in Loop: Header=BB377_10 Depth=1
	v_or_b32_e32 v2, 0x10000, v1
	v_cmp_eq_u32_sdwa vcc, v1, v9 src0_sel:WORD_0 src1_sel:DWORD
	s_nop 1
	v_cndmask_b32_e32 v16, v2, v1, vcc
; %bb.278:                              ;   in Loop: Header=BB377_10 Depth=1
	s_or_b64 exec, exec, s[34:35]
	v_lshrrev_b32_e32 v0, 24, v0
	v_cvt_f32_fp8_sdwa v0, v0 src0_sel:BYTE_0
                                        ; implicit-def: $vgpr17
	s_nop 0
	v_mul_f32_e32 v0, v53, v0
	v_and_b32_e32 v1, 0x7f800000, v0
	v_cmp_ne_u32_e32 vcc, s19, v1
	s_and_saveexec_b64 s[34:35], vcc
	s_xor_b64 vcc, exec, s[34:35]
; %bb.279:                              ;   in Loop: Header=BB377_10 Depth=1
	v_bfe_u32 v1, v0, 16, 1
	v_add3_u32 v17, v0, v1, s37
                                        ; implicit-def: $vgpr0
; %bb.280:                              ;   in Loop: Header=BB377_10 Depth=1
	s_andn2_saveexec_b64 s[34:35], vcc
; %bb.281:                              ;   in Loop: Header=BB377_10 Depth=1
	v_or_b32_e32 v1, 0x10000, v0
	v_cmp_eq_u32_sdwa vcc, v0, v9 src0_sel:WORD_0 src1_sel:DWORD
	s_nop 1
	v_cndmask_b32_e32 v17, v1, v0, vcc
; %bb.282:                              ;   in Loop: Header=BB377_10 Depth=1
	s_or_b64 exec, exec, s[34:35]
	v_lshl_add_u64 v[0:1], v[28:29], 0, s[24:25]
	flat_load_dword v0, v[0:1] offset:8
                                        ; implicit-def: $vgpr58
	s_waitcnt vmcnt(0) lgkmcnt(0)
	v_and_b32_e32 v1, 0xff, v0
	v_cvt_f32_fp8_sdwa v1, v1 src0_sel:BYTE_0
	s_nop 0
	v_mul_f32_e32 v1, v53, v1
	v_and_b32_e32 v2, 0x7f800000, v1
	v_cmp_ne_u32_e32 vcc, s19, v2
	s_and_saveexec_b64 s[34:35], vcc
	s_xor_b64 vcc, exec, s[34:35]
; %bb.283:                              ;   in Loop: Header=BB377_10 Depth=1
	v_bfe_u32 v2, v1, 16, 1
	v_add3_u32 v58, v1, v2, s37
                                        ; implicit-def: $vgpr1
; %bb.284:                              ;   in Loop: Header=BB377_10 Depth=1
	s_andn2_saveexec_b64 s[34:35], vcc
; %bb.285:                              ;   in Loop: Header=BB377_10 Depth=1
	v_or_b32_e32 v2, 0x10000, v1
	v_cmp_eq_u32_sdwa vcc, v1, v9 src0_sel:WORD_0 src1_sel:DWORD
	s_nop 1
	v_cndmask_b32_e32 v58, v2, v1, vcc
; %bb.286:                              ;   in Loop: Header=BB377_10 Depth=1
	s_or_b64 exec, exec, s[34:35]
	v_bfe_u32 v1, v0, 8, 8
	v_cvt_f32_fp8_sdwa v1, v1 src0_sel:BYTE_0
                                        ; implicit-def: $vgpr59
	s_nop 0
	v_mul_f32_e32 v1, v53, v1
	v_and_b32_e32 v2, 0x7f800000, v1
	v_cmp_ne_u32_e32 vcc, s19, v2
	s_and_saveexec_b64 s[34:35], vcc
	s_xor_b64 vcc, exec, s[34:35]
; %bb.287:                              ;   in Loop: Header=BB377_10 Depth=1
	v_bfe_u32 v2, v1, 16, 1
	v_add3_u32 v59, v1, v2, s37
                                        ; implicit-def: $vgpr1
; %bb.288:                              ;   in Loop: Header=BB377_10 Depth=1
	s_andn2_saveexec_b64 s[34:35], vcc
; %bb.289:                              ;   in Loop: Header=BB377_10 Depth=1
	v_or_b32_e32 v2, 0x10000, v1
	v_cmp_eq_u32_sdwa vcc, v1, v9 src0_sel:WORD_0 src1_sel:DWORD
	s_nop 1
	v_cndmask_b32_e32 v59, v2, v1, vcc
; %bb.290:                              ;   in Loop: Header=BB377_10 Depth=1
	s_or_b64 exec, exec, s[34:35]
	v_bfe_u32 v1, v0, 16, 8
	v_cvt_f32_fp8_sdwa v1, v1 src0_sel:BYTE_0
                                        ; implicit-def: $vgpr60
	s_nop 0
	v_mul_f32_e32 v1, v53, v1
	v_and_b32_e32 v2, 0x7f800000, v1
	v_cmp_ne_u32_e32 vcc, s19, v2
	s_and_saveexec_b64 s[34:35], vcc
	s_xor_b64 vcc, exec, s[34:35]
; %bb.291:                              ;   in Loop: Header=BB377_10 Depth=1
	v_bfe_u32 v2, v1, 16, 1
	v_add3_u32 v60, v1, v2, s37
                                        ; implicit-def: $vgpr1
; %bb.292:                              ;   in Loop: Header=BB377_10 Depth=1
	s_andn2_saveexec_b64 s[34:35], vcc
; %bb.293:                              ;   in Loop: Header=BB377_10 Depth=1
	v_or_b32_e32 v2, 0x10000, v1
	v_cmp_eq_u32_sdwa vcc, v1, v9 src0_sel:WORD_0 src1_sel:DWORD
	s_nop 1
	v_cndmask_b32_e32 v60, v2, v1, vcc
; %bb.294:                              ;   in Loop: Header=BB377_10 Depth=1
	s_or_b64 exec, exec, s[34:35]
	v_lshrrev_b32_e32 v0, 24, v0
	v_cvt_f32_fp8_sdwa v0, v0 src0_sel:BYTE_0
                                        ; implicit-def: $vgpr61
	s_nop 0
	v_mul_f32_e32 v0, v53, v0
	v_and_b32_e32 v1, 0x7f800000, v0
	v_cmp_ne_u32_e32 vcc, s19, v1
	s_and_saveexec_b64 s[34:35], vcc
	s_xor_b64 vcc, exec, s[34:35]
; %bb.295:                              ;   in Loop: Header=BB377_10 Depth=1
	v_bfe_u32 v1, v0, 16, 1
	v_add3_u32 v61, v0, v1, s37
                                        ; implicit-def: $vgpr0
; %bb.296:                              ;   in Loop: Header=BB377_10 Depth=1
	s_andn2_saveexec_b64 s[34:35], vcc
; %bb.297:                              ;   in Loop: Header=BB377_10 Depth=1
	v_or_b32_e32 v1, 0x10000, v0
	v_cmp_eq_u32_sdwa vcc, v0, v9 src0_sel:WORD_0 src1_sel:DWORD
	s_nop 1
	v_cndmask_b32_e32 v61, v1, v0, vcc
; %bb.298:                              ;   in Loop: Header=BB377_10 Depth=1
	s_or_b64 exec, exec, s[34:35]
	v_add_co_u32_e32 v0, vcc, 0x1000, v28
                                        ; implicit-def: $vgpr62
	s_nop 1
	v_addc_co_u32_e32 v1, vcc, 0, v29, vcc
	flat_load_dword v0, v[0:1] offset:512
	s_waitcnt vmcnt(0) lgkmcnt(0)
	v_and_b32_e32 v1, 0xff, v0
	v_cvt_f32_fp8_sdwa v1, v1 src0_sel:BYTE_0
	s_nop 0
	v_mul_f32_e32 v1, v53, v1
	v_and_b32_e32 v2, 0x7f800000, v1
	v_cmp_ne_u32_e32 vcc, s19, v2
	s_and_saveexec_b64 s[34:35], vcc
	s_xor_b64 vcc, exec, s[34:35]
; %bb.299:                              ;   in Loop: Header=BB377_10 Depth=1
	v_bfe_u32 v2, v1, 16, 1
	v_add3_u32 v62, v1, v2, s37
                                        ; implicit-def: $vgpr1
; %bb.300:                              ;   in Loop: Header=BB377_10 Depth=1
	s_andn2_saveexec_b64 s[34:35], vcc
; %bb.301:                              ;   in Loop: Header=BB377_10 Depth=1
	v_or_b32_e32 v2, 0x10000, v1
	v_cmp_eq_u32_sdwa vcc, v1, v9 src0_sel:WORD_0 src1_sel:DWORD
	s_nop 1
	v_cndmask_b32_e32 v62, v2, v1, vcc
; %bb.302:                              ;   in Loop: Header=BB377_10 Depth=1
	s_or_b64 exec, exec, s[34:35]
	v_bfe_u32 v1, v0, 8, 8
	v_cvt_f32_fp8_sdwa v1, v1 src0_sel:BYTE_0
                                        ; implicit-def: $vgpr5
	s_nop 0
	v_mul_f32_e32 v1, v53, v1
	v_and_b32_e32 v2, 0x7f800000, v1
	v_cmp_ne_u32_e32 vcc, s19, v2
	s_and_saveexec_b64 s[34:35], vcc
	s_xor_b64 vcc, exec, s[34:35]
; %bb.303:                              ;   in Loop: Header=BB377_10 Depth=1
	v_bfe_u32 v2, v1, 16, 1
	v_add3_u32 v5, v1, v2, s37
                                        ; implicit-def: $vgpr1
; %bb.304:                              ;   in Loop: Header=BB377_10 Depth=1
	s_andn2_saveexec_b64 s[34:35], vcc
; %bb.305:                              ;   in Loop: Header=BB377_10 Depth=1
	v_or_b32_e32 v2, 0x10000, v1
	v_cmp_eq_u32_sdwa vcc, v1, v9 src0_sel:WORD_0 src1_sel:DWORD
	s_nop 1
	v_cndmask_b32_e32 v5, v2, v1, vcc
; %bb.306:                              ;   in Loop: Header=BB377_10 Depth=1
	s_or_b64 exec, exec, s[34:35]
	v_bfe_u32 v1, v0, 16, 8
	v_cvt_f32_fp8_sdwa v1, v1 src0_sel:BYTE_0
                                        ; implicit-def: $vgpr6
	s_nop 0
	v_mul_f32_e32 v1, v53, v1
	v_and_b32_e32 v2, 0x7f800000, v1
	v_cmp_ne_u32_e32 vcc, s19, v2
	s_and_saveexec_b64 s[34:35], vcc
	s_xor_b64 vcc, exec, s[34:35]
; %bb.307:                              ;   in Loop: Header=BB377_10 Depth=1
	v_bfe_u32 v2, v1, 16, 1
	v_add3_u32 v6, v1, v2, s37
                                        ; implicit-def: $vgpr1
; %bb.308:                              ;   in Loop: Header=BB377_10 Depth=1
	s_andn2_saveexec_b64 s[34:35], vcc
; %bb.309:                              ;   in Loop: Header=BB377_10 Depth=1
	v_or_b32_e32 v2, 0x10000, v1
	v_cmp_eq_u32_sdwa vcc, v1, v9 src0_sel:WORD_0 src1_sel:DWORD
	s_nop 1
	v_cndmask_b32_e32 v6, v2, v1, vcc
; %bb.310:                              ;   in Loop: Header=BB377_10 Depth=1
	s_or_b64 exec, exec, s[34:35]
	v_lshrrev_b32_e32 v0, 24, v0
	v_cvt_f32_fp8_sdwa v0, v0 src0_sel:BYTE_0
                                        ; implicit-def: $vgpr7
	s_nop 0
	v_mul_f32_e32 v0, v53, v0
	v_and_b32_e32 v1, 0x7f800000, v0
	v_cmp_ne_u32_e32 vcc, s19, v1
	s_and_saveexec_b64 s[34:35], vcc
	s_xor_b64 vcc, exec, s[34:35]
; %bb.311:                              ;   in Loop: Header=BB377_10 Depth=1
	v_bfe_u32 v1, v0, 16, 1
	v_add3_u32 v7, v0, v1, s37
                                        ; implicit-def: $vgpr0
; %bb.312:                              ;   in Loop: Header=BB377_10 Depth=1
	s_andn2_saveexec_b64 s[34:35], vcc
; %bb.313:                              ;   in Loop: Header=BB377_10 Depth=1
	v_or_b32_e32 v1, 0x10000, v0
	v_cmp_eq_u32_sdwa vcc, v0, v9 src0_sel:WORD_0 src1_sel:DWORD
	s_nop 1
	v_cndmask_b32_e32 v7, v1, v0, vcc
; %bb.314:                              ;   in Loop: Header=BB377_10 Depth=1
	s_or_b64 exec, exec, s[34:35]
	v_lshl_add_u64 v[0:1], v[28:29], 0, s[26:27]
	flat_load_dword v0, v[0:1] offset:8
                                        ; implicit-def: $vgpr4
	s_waitcnt vmcnt(0) lgkmcnt(0)
	v_and_b32_e32 v1, 0xff, v0
	v_cvt_f32_fp8_sdwa v1, v1 src0_sel:BYTE_0
	s_nop 0
	v_mul_f32_e32 v1, v53, v1
	v_and_b32_e32 v2, 0x7f800000, v1
	v_cmp_ne_u32_e32 vcc, s19, v2
	s_and_saveexec_b64 s[34:35], vcc
	s_xor_b64 vcc, exec, s[34:35]
; %bb.315:                              ;   in Loop: Header=BB377_10 Depth=1
	v_bfe_u32 v2, v1, 16, 1
	v_add3_u32 v4, v1, v2, s37
                                        ; implicit-def: $vgpr1
; %bb.316:                              ;   in Loop: Header=BB377_10 Depth=1
	s_andn2_saveexec_b64 s[34:35], vcc
; %bb.317:                              ;   in Loop: Header=BB377_10 Depth=1
	v_or_b32_e32 v2, 0x10000, v1
	v_cmp_eq_u32_sdwa vcc, v1, v9 src0_sel:WORD_0 src1_sel:DWORD
	s_nop 1
	v_cndmask_b32_e32 v4, v2, v1, vcc
; %bb.318:                              ;   in Loop: Header=BB377_10 Depth=1
	s_or_b64 exec, exec, s[34:35]
	v_bfe_u32 v1, v0, 8, 8
	v_cvt_f32_fp8_sdwa v1, v1 src0_sel:BYTE_0
                                        ; implicit-def: $vgpr32
	s_nop 0
	v_mul_f32_e32 v1, v53, v1
	v_and_b32_e32 v2, 0x7f800000, v1
	v_cmp_ne_u32_e32 vcc, s19, v2
	s_and_saveexec_b64 s[34:35], vcc
	s_xor_b64 vcc, exec, s[34:35]
; %bb.319:                              ;   in Loop: Header=BB377_10 Depth=1
	v_bfe_u32 v2, v1, 16, 1
	v_add3_u32 v32, v1, v2, s37
                                        ; implicit-def: $vgpr1
; %bb.320:                              ;   in Loop: Header=BB377_10 Depth=1
	s_andn2_saveexec_b64 s[34:35], vcc
; %bb.321:                              ;   in Loop: Header=BB377_10 Depth=1
	v_or_b32_e32 v2, 0x10000, v1
	v_cmp_eq_u32_sdwa vcc, v1, v9 src0_sel:WORD_0 src1_sel:DWORD
	s_nop 1
	v_cndmask_b32_e32 v32, v2, v1, vcc
; %bb.322:                              ;   in Loop: Header=BB377_10 Depth=1
	s_or_b64 exec, exec, s[34:35]
	v_bfe_u32 v1, v0, 16, 8
	v_cvt_f32_fp8_sdwa v1, v1 src0_sel:BYTE_0
                                        ; implicit-def: $vgpr34
	s_nop 0
	v_mul_f32_e32 v1, v53, v1
	v_and_b32_e32 v2, 0x7f800000, v1
	v_cmp_ne_u32_e32 vcc, s19, v2
	s_and_saveexec_b64 s[34:35], vcc
	s_xor_b64 vcc, exec, s[34:35]
; %bb.323:                              ;   in Loop: Header=BB377_10 Depth=1
	v_bfe_u32 v2, v1, 16, 1
	v_add3_u32 v34, v1, v2, s37
                                        ; implicit-def: $vgpr1
; %bb.324:                              ;   in Loop: Header=BB377_10 Depth=1
	s_andn2_saveexec_b64 s[34:35], vcc
; %bb.325:                              ;   in Loop: Header=BB377_10 Depth=1
	v_or_b32_e32 v2, 0x10000, v1
	v_cmp_eq_u32_sdwa vcc, v1, v9 src0_sel:WORD_0 src1_sel:DWORD
	s_nop 1
	v_cndmask_b32_e32 v34, v2, v1, vcc
; %bb.326:                              ;   in Loop: Header=BB377_10 Depth=1
	s_or_b64 exec, exec, s[34:35]
	v_lshrrev_b32_e32 v0, 24, v0
	v_cvt_f32_fp8_sdwa v0, v0 src0_sel:BYTE_0
                                        ; implicit-def: $vgpr35
	s_nop 0
	v_mul_f32_e32 v0, v53, v0
	v_and_b32_e32 v1, 0x7f800000, v0
	v_cmp_ne_u32_e32 vcc, s19, v1
	s_and_saveexec_b64 s[34:35], vcc
	s_xor_b64 vcc, exec, s[34:35]
; %bb.327:                              ;   in Loop: Header=BB377_10 Depth=1
	v_bfe_u32 v1, v0, 16, 1
	v_add3_u32 v35, v0, v1, s37
                                        ; implicit-def: $vgpr0
; %bb.328:                              ;   in Loop: Header=BB377_10 Depth=1
	s_andn2_saveexec_b64 s[34:35], vcc
; %bb.329:                              ;   in Loop: Header=BB377_10 Depth=1
	v_or_b32_e32 v1, 0x10000, v0
	v_cmp_eq_u32_sdwa vcc, v0, v9 src0_sel:WORD_0 src1_sel:DWORD
	s_nop 1
	v_cndmask_b32_e32 v35, v1, v0, vcc
; %bb.330:                              ;   in Loop: Header=BB377_10 Depth=1
	s_or_b64 exec, exec, s[34:35]
	v_add_co_u32_e32 v0, vcc, 0x1000, v28
                                        ; implicit-def: $vgpr37
	s_nop 1
	v_addc_co_u32_e32 v1, vcc, 0, v29, vcc
	flat_load_dword v0, v[0:1] offset:1024
	s_waitcnt vmcnt(0) lgkmcnt(0)
	v_and_b32_e32 v1, 0xff, v0
	v_cvt_f32_fp8_sdwa v1, v1 src0_sel:BYTE_0
	s_nop 0
	v_mul_f32_e32 v1, v53, v1
	v_and_b32_e32 v2, 0x7f800000, v1
	v_cmp_ne_u32_e32 vcc, s19, v2
	s_and_saveexec_b64 s[34:35], vcc
	s_xor_b64 vcc, exec, s[34:35]
; %bb.331:                              ;   in Loop: Header=BB377_10 Depth=1
	v_bfe_u32 v2, v1, 16, 1
	v_add3_u32 v37, v1, v2, s37
                                        ; implicit-def: $vgpr1
; %bb.332:                              ;   in Loop: Header=BB377_10 Depth=1
	s_andn2_saveexec_b64 s[34:35], vcc
; %bb.333:                              ;   in Loop: Header=BB377_10 Depth=1
	v_or_b32_e32 v2, 0x10000, v1
	v_cmp_eq_u32_sdwa vcc, v1, v9 src0_sel:WORD_0 src1_sel:DWORD
	s_nop 1
	v_cndmask_b32_e32 v37, v2, v1, vcc
; %bb.334:                              ;   in Loop: Header=BB377_10 Depth=1
	s_or_b64 exec, exec, s[34:35]
	v_bfe_u32 v1, v0, 8, 8
	v_cvt_f32_fp8_sdwa v1, v1 src0_sel:BYTE_0
                                        ; implicit-def: $vgpr27
	s_nop 0
	v_mul_f32_e32 v1, v53, v1
	v_and_b32_e32 v2, 0x7f800000, v1
	v_cmp_ne_u32_e32 vcc, s19, v2
	s_and_saveexec_b64 s[34:35], vcc
	s_xor_b64 vcc, exec, s[34:35]
; %bb.335:                              ;   in Loop: Header=BB377_10 Depth=1
	v_bfe_u32 v2, v1, 16, 1
	v_add3_u32 v27, v1, v2, s37
                                        ; implicit-def: $vgpr1
; %bb.336:                              ;   in Loop: Header=BB377_10 Depth=1
	s_andn2_saveexec_b64 s[34:35], vcc
; %bb.337:                              ;   in Loop: Header=BB377_10 Depth=1
	v_or_b32_e32 v2, 0x10000, v1
	v_cmp_eq_u32_sdwa vcc, v1, v9 src0_sel:WORD_0 src1_sel:DWORD
	s_nop 1
	v_cndmask_b32_e32 v27, v2, v1, vcc
; %bb.338:                              ;   in Loop: Header=BB377_10 Depth=1
	s_or_b64 exec, exec, s[34:35]
	v_bfe_u32 v1, v0, 16, 8
	v_cvt_f32_fp8_sdwa v1, v1 src0_sel:BYTE_0
                                        ; implicit-def: $vgpr26
	s_nop 0
	v_mul_f32_e32 v1, v53, v1
	v_and_b32_e32 v2, 0x7f800000, v1
	v_cmp_ne_u32_e32 vcc, s19, v2
	s_and_saveexec_b64 s[34:35], vcc
	s_xor_b64 vcc, exec, s[34:35]
; %bb.339:                              ;   in Loop: Header=BB377_10 Depth=1
	v_bfe_u32 v2, v1, 16, 1
	v_add3_u32 v26, v1, v2, s37
                                        ; implicit-def: $vgpr1
; %bb.340:                              ;   in Loop: Header=BB377_10 Depth=1
	s_andn2_saveexec_b64 s[34:35], vcc
; %bb.341:                              ;   in Loop: Header=BB377_10 Depth=1
	v_or_b32_e32 v2, 0x10000, v1
	v_cmp_eq_u32_sdwa vcc, v1, v9 src0_sel:WORD_0 src1_sel:DWORD
	s_nop 1
	v_cndmask_b32_e32 v26, v2, v1, vcc
; %bb.342:                              ;   in Loop: Header=BB377_10 Depth=1
	s_or_b64 exec, exec, s[34:35]
	v_lshrrev_b32_e32 v0, 24, v0
	v_cvt_f32_fp8_sdwa v0, v0 src0_sel:BYTE_0
                                        ; implicit-def: $vgpr11
	s_nop 0
	v_mul_f32_e32 v0, v53, v0
	v_and_b32_e32 v1, 0x7f800000, v0
	v_cmp_ne_u32_e32 vcc, s19, v1
	s_and_saveexec_b64 s[34:35], vcc
	s_xor_b64 vcc, exec, s[34:35]
; %bb.343:                              ;   in Loop: Header=BB377_10 Depth=1
	v_bfe_u32 v1, v0, 16, 1
	v_add3_u32 v11, v0, v1, s37
                                        ; implicit-def: $vgpr0
; %bb.344:                              ;   in Loop: Header=BB377_10 Depth=1
	s_andn2_saveexec_b64 s[34:35], vcc
; %bb.345:                              ;   in Loop: Header=BB377_10 Depth=1
	v_or_b32_e32 v1, 0x10000, v0
	v_cmp_eq_u32_sdwa vcc, v0, v9 src0_sel:WORD_0 src1_sel:DWORD
	s_nop 1
	v_cndmask_b32_e32 v11, v1, v0, vcc
; %bb.346:                              ;   in Loop: Header=BB377_10 Depth=1
	s_or_b64 exec, exec, s[34:35]
	v_lshl_add_u64 v[0:1], v[28:29], 0, s[28:29]
	flat_load_dword v2, v[0:1] offset:8
                                        ; implicit-def: $vgpr10
	s_waitcnt vmcnt(0) lgkmcnt(0)
	v_and_b32_e32 v0, 0xff, v2
	v_cvt_f32_fp8_sdwa v0, v0 src0_sel:BYTE_0
	s_nop 0
	v_mul_f32_e32 v0, v53, v0
	v_and_b32_e32 v1, 0x7f800000, v0
	v_cmp_ne_u32_e32 vcc, s19, v1
	s_and_saveexec_b64 s[34:35], vcc
	s_xor_b64 vcc, exec, s[34:35]
; %bb.347:                              ;   in Loop: Header=BB377_10 Depth=1
	v_bfe_u32 v1, v0, 16, 1
	v_add3_u32 v10, v0, v1, s37
                                        ; implicit-def: $vgpr0
; %bb.348:                              ;   in Loop: Header=BB377_10 Depth=1
	s_andn2_saveexec_b64 s[34:35], vcc
; %bb.349:                              ;   in Loop: Header=BB377_10 Depth=1
	v_or_b32_e32 v1, 0x10000, v0
	v_cmp_eq_u32_sdwa vcc, v0, v9 src0_sel:WORD_0 src1_sel:DWORD
	s_nop 1
	v_cndmask_b32_e32 v10, v1, v0, vcc
; %bb.350:                              ;   in Loop: Header=BB377_10 Depth=1
	s_or_b64 exec, exec, s[34:35]
	v_bfe_u32 v0, v2, 8, 8
	v_cvt_f32_fp8_sdwa v0, v0 src0_sel:BYTE_0
	s_nop 0
	v_mul_f32_e32 v0, v53, v0
	v_and_b32_e32 v1, 0x7f800000, v0
	v_cmp_ne_u32_e32 vcc, s19, v1
                                        ; implicit-def: $vgpr1
	s_and_saveexec_b64 s[34:35], vcc
	s_xor_b64 vcc, exec, s[34:35]
; %bb.351:                              ;   in Loop: Header=BB377_10 Depth=1
	v_bfe_u32 v1, v0, 16, 1
	v_add3_u32 v1, v0, v1, s37
                                        ; implicit-def: $vgpr0
; %bb.352:                              ;   in Loop: Header=BB377_10 Depth=1
	s_andn2_saveexec_b64 s[34:35], vcc
; %bb.353:                              ;   in Loop: Header=BB377_10 Depth=1
	v_or_b32_e32 v1, 0x10000, v0
	v_cmp_eq_u32_sdwa vcc, v0, v9 src0_sel:WORD_0 src1_sel:DWORD
	s_nop 1
	v_cndmask_b32_e32 v1, v1, v0, vcc
; %bb.354:                              ;   in Loop: Header=BB377_10 Depth=1
	s_or_b64 exec, exec, s[34:35]
	v_bfe_u32 v0, v2, 16, 8
	v_cvt_f32_fp8_sdwa v0, v0 src0_sel:BYTE_0
	s_nop 0
	v_mul_f32_e32 v3, v53, v0
	v_and_b32_e32 v0, 0x7f800000, v3
	v_cmp_ne_u32_e32 vcc, s19, v0
                                        ; implicit-def: $vgpr0
	s_and_saveexec_b64 s[34:35], vcc
	s_xor_b64 vcc, exec, s[34:35]
; %bb.355:                              ;   in Loop: Header=BB377_10 Depth=1
	v_bfe_u32 v0, v3, 16, 1
	v_add3_u32 v0, v3, v0, s37
                                        ; implicit-def: $vgpr3
; %bb.356:                              ;   in Loop: Header=BB377_10 Depth=1
	s_andn2_saveexec_b64 s[34:35], vcc
; %bb.357:                              ;   in Loop: Header=BB377_10 Depth=1
	v_or_b32_e32 v0, 0x10000, v3
	v_cmp_eq_u32_sdwa vcc, v3, v9 src0_sel:WORD_0 src1_sel:DWORD
	s_nop 1
	v_cndmask_b32_e32 v0, v0, v3, vcc
; %bb.358:                              ;   in Loop: Header=BB377_10 Depth=1
	s_or_b64 exec, exec, s[34:35]
	v_lshrrev_b32_e32 v2, 24, v2
	v_cvt_f32_fp8_sdwa v2, v2 src0_sel:BYTE_0
	s_nop 0
	v_mul_f32_e32 v2, v53, v2
	v_and_b32_e32 v3, 0x7f800000, v2
	v_cmp_ne_u32_e32 vcc, s19, v3
                                        ; implicit-def: $vgpr3
	s_and_saveexec_b64 s[34:35], vcc
	s_xor_b64 vcc, exec, s[34:35]
; %bb.359:                              ;   in Loop: Header=BB377_10 Depth=1
	v_bfe_u32 v3, v2, 16, 1
	v_add3_u32 v3, v2, v3, s37
                                        ; implicit-def: $vgpr2
; %bb.360:                              ;   in Loop: Header=BB377_10 Depth=1
	s_andn2_saveexec_b64 s[34:35], vcc
; %bb.361:                              ;   in Loop: Header=BB377_10 Depth=1
	v_or_b32_e32 v3, 0x10000, v2
	v_cmp_eq_u32_sdwa vcc, v2, v9 src0_sel:WORD_0 src1_sel:DWORD
	s_nop 1
	v_cndmask_b32_e32 v3, v3, v2, vcc
; %bb.362:                              ;   in Loop: Header=BB377_10 Depth=1
	s_or_b64 exec, exec, s[34:35]
	v_add_co_u32_e32 v12, vcc, 0x1000, v28
	s_nop 1
	v_addc_co_u32_e32 v13, vcc, 0, v29, vcc
	flat_load_dword v12, v[12:13] offset:1536
	s_waitcnt vmcnt(0) lgkmcnt(0)
	v_and_b32_e32 v2, 0xff, v12
	v_cvt_f32_fp8_sdwa v2, v2 src0_sel:BYTE_0
	s_nop 0
	v_mul_f32_e32 v13, v53, v2
	v_and_b32_e32 v2, 0x7f800000, v13
	v_cmp_ne_u32_e32 vcc, s19, v2
                                        ; implicit-def: $vgpr2
	s_and_saveexec_b64 s[34:35], vcc
	s_xor_b64 vcc, exec, s[34:35]
; %bb.363:                              ;   in Loop: Header=BB377_10 Depth=1
	v_bfe_u32 v2, v13, 16, 1
	v_add3_u32 v2, v13, v2, s37
                                        ; implicit-def: $vgpr13
; %bb.364:                              ;   in Loop: Header=BB377_10 Depth=1
	s_andn2_saveexec_b64 s[34:35], vcc
; %bb.365:                              ;   in Loop: Header=BB377_10 Depth=1
	v_or_b32_e32 v2, 0x10000, v13
	v_cmp_eq_u32_sdwa vcc, v13, v9 src0_sel:WORD_0 src1_sel:DWORD
	s_nop 1
	v_cndmask_b32_e32 v2, v2, v13, vcc
; %bb.366:                              ;   in Loop: Header=BB377_10 Depth=1
	s_or_b64 exec, exec, s[34:35]
	v_bfe_u32 v13, v12, 8, 8
	v_cvt_f32_fp8_sdwa v13, v13 src0_sel:BYTE_0
                                        ; implicit-def: $vgpr15
	s_nop 0
	v_mul_f32_e32 v13, v53, v13
	v_and_b32_e32 v14, 0x7f800000, v13
	v_cmp_ne_u32_e32 vcc, s19, v14
	s_and_saveexec_b64 s[34:35], vcc
	s_xor_b64 vcc, exec, s[34:35]
; %bb.367:                              ;   in Loop: Header=BB377_10 Depth=1
	v_bfe_u32 v14, v13, 16, 1
	v_add3_u32 v15, v13, v14, s37
                                        ; implicit-def: $vgpr13
; %bb.368:                              ;   in Loop: Header=BB377_10 Depth=1
	s_andn2_saveexec_b64 s[34:35], vcc
; %bb.369:                              ;   in Loop: Header=BB377_10 Depth=1
	v_or_b32_e32 v14, 0x10000, v13
	v_cmp_eq_u32_sdwa vcc, v13, v9 src0_sel:WORD_0 src1_sel:DWORD
	s_nop 1
	v_cndmask_b32_e32 v15, v14, v13, vcc
; %bb.370:                              ;   in Loop: Header=BB377_10 Depth=1
	s_or_b64 exec, exec, s[34:35]
	v_bfe_u32 v13, v12, 16, 8
	v_cvt_f32_fp8_sdwa v13, v13 src0_sel:BYTE_0
	s_nop 0
	v_mul_f32_e32 v13, v53, v13
	v_and_b32_e32 v14, 0x7f800000, v13
	v_cmp_ne_u32_e32 vcc, s19, v14
                                        ; implicit-def: $vgpr14
	s_and_saveexec_b64 s[34:35], vcc
	s_xor_b64 vcc, exec, s[34:35]
; %bb.371:                              ;   in Loop: Header=BB377_10 Depth=1
	v_bfe_u32 v14, v13, 16, 1
	v_add3_u32 v14, v13, v14, s37
                                        ; implicit-def: $vgpr13
; %bb.372:                              ;   in Loop: Header=BB377_10 Depth=1
	s_andn2_saveexec_b64 s[34:35], vcc
; %bb.373:                              ;   in Loop: Header=BB377_10 Depth=1
	v_or_b32_e32 v14, 0x10000, v13
	v_cmp_eq_u32_sdwa vcc, v13, v9 src0_sel:WORD_0 src1_sel:DWORD
	s_nop 1
	v_cndmask_b32_e32 v14, v14, v13, vcc
; %bb.374:                              ;   in Loop: Header=BB377_10 Depth=1
	s_or_b64 exec, exec, s[34:35]
	v_lshrrev_b32_e32 v12, 24, v12
	v_cvt_f32_fp8_sdwa v12, v12 src0_sel:BYTE_0
                                        ; implicit-def: $vgpr23
	s_nop 0
	v_mul_f32_e32 v12, v53, v12
	v_and_b32_e32 v13, 0x7f800000, v12
	v_cmp_ne_u32_e32 vcc, s19, v13
	s_and_saveexec_b64 s[34:35], vcc
	s_xor_b64 vcc, exec, s[34:35]
; %bb.375:                              ;   in Loop: Header=BB377_10 Depth=1
	v_bfe_u32 v13, v12, 16, 1
	v_add3_u32 v23, v12, v13, s37
                                        ; implicit-def: $vgpr12
; %bb.376:                              ;   in Loop: Header=BB377_10 Depth=1
	s_andn2_saveexec_b64 s[34:35], vcc
; %bb.377:                              ;   in Loop: Header=BB377_10 Depth=1
	v_or_b32_e32 v13, 0x10000, v12
	v_cmp_eq_u32_sdwa vcc, v12, v9 src0_sel:WORD_0 src1_sel:DWORD
	s_nop 1
	v_cndmask_b32_e32 v23, v13, v12, vcc
; %bb.378:                              ;   in Loop: Header=BB377_10 Depth=1
	s_or_b64 exec, exec, s[34:35]
	v_lshl_add_u64 v[12:13], v[28:29], 0, s[30:31]
	flat_load_dword v12, v[12:13] offset:8
                                        ; implicit-def: $vgpr28
	s_waitcnt vmcnt(0) lgkmcnt(0)
	v_and_b32_e32 v13, 0xff, v12
	v_cvt_f32_fp8_sdwa v13, v13 src0_sel:BYTE_0
	s_nop 0
	v_mul_f32_e32 v13, v53, v13
	v_and_b32_e32 v22, 0x7f800000, v13
	v_cmp_ne_u32_e32 vcc, s19, v22
	s_and_saveexec_b64 s[34:35], vcc
	s_xor_b64 vcc, exec, s[34:35]
; %bb.379:                              ;   in Loop: Header=BB377_10 Depth=1
	v_bfe_u32 v22, v13, 16, 1
	v_add3_u32 v28, v13, v22, s37
                                        ; implicit-def: $vgpr13
; %bb.380:                              ;   in Loop: Header=BB377_10 Depth=1
	s_andn2_saveexec_b64 s[34:35], vcc
; %bb.381:                              ;   in Loop: Header=BB377_10 Depth=1
	v_or_b32_e32 v22, 0x10000, v13
	v_cmp_eq_u32_sdwa vcc, v13, v9 src0_sel:WORD_0 src1_sel:DWORD
	s_nop 1
	v_cndmask_b32_e32 v28, v22, v13, vcc
; %bb.382:                              ;   in Loop: Header=BB377_10 Depth=1
	s_or_b64 exec, exec, s[34:35]
	v_bfe_u32 v13, v12, 8, 8
	v_cvt_f32_fp8_sdwa v13, v13 src0_sel:BYTE_0
                                        ; implicit-def: $vgpr29
	s_nop 0
	v_mul_f32_e32 v13, v53, v13
	v_and_b32_e32 v22, 0x7f800000, v13
	v_cmp_ne_u32_e32 vcc, s19, v22
	s_and_saveexec_b64 s[34:35], vcc
	s_xor_b64 vcc, exec, s[34:35]
; %bb.383:                              ;   in Loop: Header=BB377_10 Depth=1
	v_bfe_u32 v22, v13, 16, 1
	v_add3_u32 v29, v13, v22, s37
                                        ; implicit-def: $vgpr13
; %bb.384:                              ;   in Loop: Header=BB377_10 Depth=1
	s_andn2_saveexec_b64 s[34:35], vcc
; %bb.385:                              ;   in Loop: Header=BB377_10 Depth=1
	v_or_b32_e32 v22, 0x10000, v13
	v_cmp_eq_u32_sdwa vcc, v13, v9 src0_sel:WORD_0 src1_sel:DWORD
	s_nop 1
	v_cndmask_b32_e32 v29, v22, v13, vcc
; %bb.386:                              ;   in Loop: Header=BB377_10 Depth=1
	s_or_b64 exec, exec, s[34:35]
	v_bfe_u32 v13, v12, 16, 8
	v_cvt_f32_fp8_sdwa v13, v13 src0_sel:BYTE_0
                                        ; implicit-def: $vgpr30
	s_nop 0
	v_mul_f32_e32 v13, v53, v13
	v_and_b32_e32 v22, 0x7f800000, v13
	v_cmp_ne_u32_e32 vcc, s19, v22
	s_and_saveexec_b64 s[34:35], vcc
	s_xor_b64 vcc, exec, s[34:35]
; %bb.387:                              ;   in Loop: Header=BB377_10 Depth=1
	v_bfe_u32 v22, v13, 16, 1
	v_add3_u32 v30, v13, v22, s37
                                        ; implicit-def: $vgpr13
; %bb.388:                              ;   in Loop: Header=BB377_10 Depth=1
	s_andn2_saveexec_b64 s[34:35], vcc
; %bb.389:                              ;   in Loop: Header=BB377_10 Depth=1
	v_or_b32_e32 v22, 0x10000, v13
	v_cmp_eq_u32_sdwa vcc, v13, v9 src0_sel:WORD_0 src1_sel:DWORD
	s_nop 1
	v_cndmask_b32_e32 v30, v22, v13, vcc
; %bb.390:                              ;   in Loop: Header=BB377_10 Depth=1
	s_or_b64 exec, exec, s[34:35]
	v_lshrrev_b32_e32 v12, 24, v12
	v_cvt_f32_fp8_sdwa v12, v12 src0_sel:BYTE_0
	s_nop 0
	v_mul_f32_e32 v12, v53, v12
	v_and_b32_e32 v13, 0x7f800000, v12
	v_cmp_ne_u32_e32 vcc, s19, v13
                                        ; implicit-def: $vgpr53
	s_and_saveexec_b64 s[34:35], vcc
	s_xor_b64 vcc, exec, s[34:35]
; %bb.391:                              ;   in Loop: Header=BB377_10 Depth=1
	v_bfe_u32 v13, v12, 16, 1
	v_add3_u32 v53, v12, v13, s37
                                        ; implicit-def: $vgpr12
; %bb.392:                              ;   in Loop: Header=BB377_10 Depth=1
	s_andn2_saveexec_b64 s[34:35], vcc
; %bb.393:                              ;   in Loop: Header=BB377_10 Depth=1
	v_or_b32_e32 v13, 0x10000, v12
	v_cmp_eq_u32_sdwa vcc, v12, v9 src0_sel:WORD_0 src1_sel:DWORD
	s_nop 1
	v_cndmask_b32_e32 v53, v13, v12, vcc
; %bb.394:                              ;   in Loop: Header=BB377_10 Depth=1
	s_or_b64 exec, exec, s[34:35]
	v_and_b32_e32 v13, 0xffff0000, v18
	scratch_load_dword v18, off, s32 offset:220 ; 4-byte Folded Reload
	v_and_b32_e32 v12, 0xffff0000, v33
	v_and_b32_e32 v16, 0xffff0000, v16
	;; [unrolled: 1-line block ×6, first 2 shown]
	s_waitcnt vmcnt(0)
	v_mul_f32_e32 v33, v18, v12
	scratch_load_dword v12, off, s32 offset:204 ; 4-byte Folded Reload
	scratch_load_dword v18, off, s32 offset:224 ; 4-byte Folded Reload
	s_waitcnt vmcnt(1)
	v_fmac_f32_e32 v33, v12, v13
	v_accvgpr_read_b32 v12, a20
	v_and_b32_e32 v12, 0xffff0000, v12
	s_waitcnt vmcnt(0)
	v_mul_f32_e32 v12, v18, v12
	scratch_load_dword v18, off, s32 offset:208 ; 4-byte Folded Reload
	v_and_b32_e32 v13, 0xffff0000, v19
	scratch_load_dword v19, off, s32 offset:232 ; 4-byte Folded Reload
	s_waitcnt vmcnt(1)
	v_fmac_f32_e32 v12, v18, v13
	v_accvgpr_read_b32 v18, a22
	v_and_b32_e32 v22, 0xffff0000, v18
	scratch_load_dword v18, off, s32 offset:228 ; 4-byte Folded Reload
	v_accvgpr_read_b32 v13, a21
	v_and_b32_e32 v13, 0xffff0000, v13
	s_waitcnt vmcnt(0)
	v_mul_f32_e32 v13, v18, v13
	scratch_load_dword v18, off, s32 offset:212 ; 4-byte Folded Reload
	s_waitcnt vmcnt(0)
	v_fmac_f32_e32 v13, v18, v22
	v_accvgpr_read_b32 v18, a16
	v_and_b32_e32 v22, 0xffff0000, v18
	v_mul_f32_e32 v22, v19, v22
	scratch_load_dword v19, off, s32 offset:216 ; 4-byte Folded Reload
	v_accvgpr_read_b32 v18, a23
	v_and_b32_e32 v18, 0xffff0000, v18
	s_waitcnt vmcnt(0)
	v_fmac_f32_e32 v22, v19, v18
	scratch_load_dword v19, off, s32 offset:240 ; 4-byte Folded Reload
	v_accvgpr_read_b32 v18, a17
	v_and_b32_e32 v18, 0xffff0000, v18
	s_waitcnt vmcnt(0)
	v_fmac_f32_e32 v33, v19, v18
	;; [unrolled: 5-line block ×40, first 2 shown]
	scratch_load_dword v19, off, s32 offset:412 ; 4-byte Folded Reload
	v_and_b32_e32 v18, 0xffff0000, v31
	s_waitcnt vmcnt(0)
	v_fmac_f32_e32 v22, v19, v18
	scratch_load_dword v19, off, s32 offset:416 ; 4-byte Folded Reload
	v_and_b32_e32 v18, 0xffff0000, v25
	s_waitcnt vmcnt(0)
	v_fmac_f32_e32 v33, v19, v18
	;; [unrolled: 4-line block ×19, first 2 shown]
	scratch_load_dword v18, off, s32 offset:488 ; 4-byte Folded Reload
	s_waitcnt vmcnt(0)
	v_fmac_f32_e32 v13, v18, v16
	v_and_b32_e32 v16, 0xffff0000, v17
	scratch_load_dword v17, off, s32 offset:492 ; 4-byte Folded Reload
	s_waitcnt vmcnt(0)
	v_fmac_f32_e32 v22, v17, v16
	scratch_load_dword v17, off, s32 offset:496 ; 4-byte Folded Reload
	v_and_b32_e32 v16, 0xffff0000, v58
	s_waitcnt vmcnt(0)
	v_fmac_f32_e32 v33, v17, v16
	scratch_load_dword v17, off, s32 offset:500 ; 4-byte Folded Reload
	v_and_b32_e32 v16, 0xffff0000, v59
	s_waitcnt vmcnt(0)
	v_fmac_f32_e32 v12, v17, v16
	scratch_load_dword v17, off, s32 offset:504 ; 4-byte Folded Reload
	v_and_b32_e32 v16, 0xffff0000, v60
	s_waitcnt vmcnt(0)
	v_fmac_f32_e32 v13, v17, v16
	scratch_load_dword v17, off, s32 offset:508 ; 4-byte Folded Reload
	v_and_b32_e32 v16, 0xffff0000, v61
	s_waitcnt vmcnt(0)
	v_fmac_f32_e32 v22, v17, v16
	scratch_load_dword v17, off, s32 offset:512 ; 4-byte Folded Reload
	v_and_b32_e32 v16, 0xffff0000, v62
	s_waitcnt vmcnt(0)
	v_fmac_f32_e32 v33, v17, v16
	scratch_load_dword v16, off, s32 offset:516 ; 4-byte Folded Reload
	s_waitcnt vmcnt(0)
	v_fmac_f32_e32 v12, v16, v5
	v_and_b32_e32 v5, 0xffff0000, v6
	scratch_load_dword v6, off, s32 offset:520 ; 4-byte Folded Reload
	s_waitcnt vmcnt(0)
	v_fmac_f32_e32 v13, v6, v5
	scratch_load_dword v6, off, s32 offset:524 ; 4-byte Folded Reload
	v_and_b32_e32 v5, 0xffff0000, v7
	s_waitcnt vmcnt(0)
	v_fmac_f32_e32 v22, v6, v5
	scratch_load_dword v5, off, s32 offset:528 ; 4-byte Folded Reload
	s_waitcnt vmcnt(0)
	v_fmac_f32_e32 v33, v5, v4
	scratch_load_dword v5, off, s32 offset:532 ; 4-byte Folded Reload
	v_and_b32_e32 v4, 0xffff0000, v32
	s_waitcnt vmcnt(0)
	v_fmac_f32_e32 v12, v5, v4
	scratch_load_dword v5, off, s32 offset:536 ; 4-byte Folded Reload
	v_and_b32_e32 v4, 0xffff0000, v34
	;; [unrolled: 4-line block ×7, first 2 shown]
	s_waitcnt vmcnt(0)
	v_fmac_f32_e32 v22, v5, v4
	v_and_b32_e32 v4, 0xffff0000, v10
	v_accvgpr_read_b32 v5, a55
	v_fmac_f32_e32 v33, v5, v4
	v_accvgpr_read_b32 v4, a56
	v_fmac_f32_e32 v12, v4, v1
	;; [unrolled: 2-line block ×3, first 2 shown]
	v_and_b32_e32 v0, 0xffff0000, v3
	v_accvgpr_read_b32 v1, a2
	v_fmac_f32_e32 v22, v1, v0
	v_and_b32_e32 v0, 0xffff0000, v2
	v_accvgpr_read_b32 v1, a58
	v_fmac_f32_e32 v33, v1, v0
	;; [unrolled: 3-line block ×9, first 2 shown]
	v_add_f32_e32 v0, v33, v12
	v_add_f32_e32 v0, v0, v13
	;; [unrolled: 1-line block ×3, first 2 shown]
	v_accvgpr_read_b32 v1, a27
	ds_bpermute_b32 v1, v1, v0
	s_and_saveexec_b64 s[34:35], s[2:3]
	s_cbranch_execz .LBB377_9
; %bb.395:                              ;   in Loop: Header=BB377_10 Depth=1
	s_waitcnt lgkmcnt(0)
	v_add_f32_e32 v0, v0, v1
	scratch_load_dword v1, off, s32 offset:560 ; 4-byte Folded Reload
	v_sub_u32_e32 v2, 1, v49
	v_add_u32_e32 v2, v2, v36
	v_cvt_f32_i32_e32 v2, v2
	s_load_dword vcc_lo, s[8:9], 0x0
	v_accvgpr_read_b32 v3, a26
	s_waitcnt vmcnt(0)
	v_mul_f32_e32 v1, v1, v2
	v_cndmask_b32_e64 v1, 0, v1, s[4:5]
	s_waitcnt lgkmcnt(0)
	v_add_u32_e32 v2, vcc_lo, v38
	v_fmac_f32_e32 v1, v0, v3
	v_cmp_lt_i32_e32 vcc, v36, v49
	s_nop 1
	v_cndmask_b32_e32 v0, 0, v1, vcc
	ds_write_b32 v2, v0
	scratch_load_dword v2, off, s32 offset:200 ; 4-byte Folded Reload
	s_waitcnt vmcnt(0)
	v_max_f32_e32 v0, v2, v2
	v_max_f32_e32 v0, v0, v1
	v_cndmask_b32_e32 v2, v2, v0, vcc
	scratch_store_dword off, v2, s32 offset:200 ; 4-byte Folded Spill
	s_branch .LBB377_9
.LBB377_396:
	s_or_b64 exec, exec, s[22:23]
	scratch_load_dword v19, off, s32 offset:568 ; 4-byte Folded Reload
	scratch_load_dwordx2 v[14:15], off, s32 offset:648 ; 8-byte Folded Reload
	scratch_load_dwordx2 v[26:27], off, s32 offset:640 ; 8-byte Folded Reload
	;; [unrolled: 1-line block ×5, first 2 shown]
	scratch_load_dword v22, off, s32 offset:604 ; 4-byte Folded Reload
	scratch_load_dword v10, off, s32 offset:612 ; 4-byte Folded Reload
	;; [unrolled: 1-line block ×4, first 2 shown]
.LBB377_397:
	s_or_b64 exec, exec, s[6:7]
	s_waitcnt vmcnt(2)
	v_xor_b32_e32 v0, 32, v10
	s_waitcnt vmcnt(1)
	v_cmp_lt_i32_e32 vcc, v0, v11
	v_xor_b32_e32 v3, 16, v10
	s_waitcnt vmcnt(0) lgkmcnt(0)
	v_max_f32_e32 v1, v6, v6
	v_cndmask_b32_e32 v0, v10, v0, vcc
	v_lshlrev_b32_e32 v2, 2, v0
	ds_bpermute_b32 v0, v2, v6
	v_cmp_lt_i32_e32 vcc, v3, v11
	v_xor_b32_e32 v4, 8, v10
	v_xor_b32_e32 v5, 4, v10
	;; [unrolled: 1-line block ×3, first 2 shown]
	s_waitcnt lgkmcnt(0)
	v_max_f32_e32 v0, v0, v0
	v_max_f32_e32 v0, v1, v0
	v_cndmask_b32_e32 v1, v10, v3, vcc
	v_lshlrev_b32_e32 v3, 2, v1
	ds_bpermute_b32 v1, v3, v0
	v_cmp_lt_i32_e32 vcc, v4, v11
	v_and_b32_e32 v33, 63, v19
	s_lshr_b32 s21, s21, 16
	s_waitcnt lgkmcnt(0)
	v_max_f32_e32 v1, v1, v1
	v_max_f32_e32 v0, v0, v1
	v_cndmask_b32_e32 v1, v10, v4, vcc
	v_lshlrev_b32_e32 v4, 2, v1
	ds_bpermute_b32 v1, v4, v0
	v_cmp_lt_i32_e32 vcc, v5, v11
	s_waitcnt lgkmcnt(0)
	v_max_f32_e32 v1, v1, v1
	v_max_f32_e32 v0, v0, v1
	v_cndmask_b32_e32 v1, v10, v5, vcc
	v_lshlrev_b32_e32 v5, 2, v1
	ds_bpermute_b32 v1, v5, v0
	v_cmp_lt_i32_e32 vcc, v6, v11
	s_waitcnt lgkmcnt(0)
	v_max_f32_e32 v1, v1, v1
	v_max_f32_e32 v0, v0, v1
	v_cndmask_b32_e32 v1, v10, v6, vcc
	scratch_load_dword v6, off, s32 offset:564 ; 4-byte Folded Reload
	v_lshlrev_b32_e32 v23, 2, v1
	ds_bpermute_b32 v1, v23, v0
	v_cmp_eq_u32_e32 vcc, 0, v33
	s_waitcnt vmcnt(0)
	v_lshlrev_b32_e32 v6, 2, v6
	s_and_saveexec_b64 s[2:3], vcc
	s_cbranch_execz .LBB377_399
; %bb.398:
	s_waitcnt lgkmcnt(0)
	v_max_f32_e32 v1, v1, v1
	v_max_f32_e32 v0, v0, v0
	;; [unrolled: 1-line block ×3, first 2 shown]
	ds_write_b32 v6, v0 offset:384
.LBB377_399:
	s_or_b64 exec, exec, s[2:3]
	v_cmp_gt_u32_e64 s[2:3], 2, v33
	v_mov_b32_e32 v0, 0xff7fffff
	v_lshlrev_b32_e32 v7, 2, v33
	s_waitcnt lgkmcnt(0)
	s_barrier
	s_and_saveexec_b64 s[4:5], s[2:3]
	s_cbranch_execz .LBB377_401
; %bb.400:
	ds_read_b32 v0, v7 offset:384
.LBB377_401:
	s_or_b64 exec, exec, s[4:5]
	scratch_load_dword v8, off, s32 offset:188 ; 4-byte Folded Reload
	v_xor_b32_e32 v1, 1, v10
	v_cmp_lt_i32_e64 s[4:5], v1, v11
	s_waitcnt vmcnt(0)
	v_subrev_u32_e32 v8, s15, v8
	v_cndmask_b32_e64 v1, v10, v1, s[4:5]
	v_lshlrev_b32_e32 v34, 2, v1
	s_waitcnt lgkmcnt(0)
	ds_bpermute_b32 v1, v34, v0
	v_max_f32_e32 v0, v0, v0
	v_lshl_add_u32 v9, v8, 5, s36
	v_min_i32_e32 v9, v9, v49
	s_waitcnt lgkmcnt(0)
	v_max_f32_e32 v1, v1, v1
	v_max_f32_e32 v0, v0, v1
	v_lshlrev_b32_e32 v1, 2, v10
	v_and_b32_e32 v8, 0xffffff00, v1
	ds_bpermute_b32 v0, v8, v0
	v_subrev_u32_e32 v1, s36, v9
	v_cmp_lt_i32_e64 s[4:5], v19, v1
	v_mov_b32_e32 v10, 0
	s_and_saveexec_b64 s[8:9], s[4:5]
	s_cbranch_execz .LBB377_405
; %bb.402:
	s_ashr_i32 s19, s18, 31
	s_lshl_b64 s[6:7], s[18:19], 2
	s_getpc_b64 s[22:23]
	s_add_u32 s22, s22, llvm.amdgcn.dynlds.offset.table@rel32@lo+4
	s_addc_u32 s23, s23, llvm.amdgcn.dynlds.offset.table@rel32@hi+12
	s_add_u32 s6, s6, s22
	s_addc_u32 s7, s7, s23
	s_load_dword s6, s[6:7], 0x0
	s_mov_b64 s[22:23], 0
	v_mov_b32_e32 v10, 0
	v_mov_b32_e32 v12, v19
	s_waitcnt lgkmcnt(0)
	v_lshl_add_u32 v11, v19, 2, s6
.LBB377_403:                            ; =>This Inner Loop Header: Depth=1
	ds_read_b32 v13, v11
	v_add_u32_e32 v12, 0x80, v12
	v_cmp_ge_i32_e64 s[6:7], v12, v1
	s_or_b64 s[22:23], s[6:7], s[22:23]
	s_waitcnt lgkmcnt(0)
	v_sub_f32_e32 v13, v13, v0
	v_mul_f32_e32 v13, 0x3fb8aa3b, v13
	v_exp_f32_e32 v13, v13
	ds_write_b32 v11, v13
	v_add_f32_e32 v10, v10, v13
	v_add_u32_e32 v11, 0x200, v11
	s_andn2_b64 exec, exec, s[22:23]
	s_cbranch_execnz .LBB377_403
; %bb.404:
	s_or_b64 exec, exec, s[22:23]
.LBB377_405:
	s_or_b64 exec, exec, s[8:9]
	ds_bpermute_b32 v2, v2, v10
	s_waitcnt lgkmcnt(0)
	v_add_f32_e32 v2, v10, v2
	ds_bpermute_b32 v3, v3, v2
	s_waitcnt lgkmcnt(0)
	v_add_f32_e32 v2, v2, v3
	;; [unrolled: 3-line block ×6, first 2 shown]
	s_and_saveexec_b64 s[6:7], vcc
	s_cbranch_execz .LBB377_407
; %bb.406:
	ds_write_b32 v6, v2 offset:392
.LBB377_407:
	s_or_b64 exec, exec, s[6:7]
	s_waitcnt lgkmcnt(0)
	s_barrier
	s_and_saveexec_b64 s[6:7], s[2:3]
	s_cbranch_execz .LBB377_409
; %bb.408:
	ds_read_b32 v2, v7 offset:392
.LBB377_409:
	s_or_b64 exec, exec, s[6:7]
	s_waitcnt lgkmcnt(0)
	ds_bpermute_b32 v3, v34, v2
	s_waitcnt lgkmcnt(0)
	v_add_f32_e32 v2, v2, v3
	ds_bpermute_b32 v2, v8, v2
	s_and_saveexec_b64 s[2:3], s[4:5]
	s_cbranch_execz .LBB377_422
; %bb.410:
	s_waitcnt lgkmcnt(0)
	v_add_f32_e32 v3, 0x358637bd, v2
	v_div_scale_f32 v4, s[4:5], v3, v3, 1.0
	v_rcp_f32_e32 v5, v4
	v_div_scale_f32 v6, vcc, 1.0, v3, 1.0
	s_movk_i32 s4, 0x7f
	v_fma_f32 v7, -v4, v5, 1.0
	v_fmac_f32_e32 v5, v7, v5
	v_mul_f32_e32 v7, v6, v5
	v_fma_f32 v8, -v4, v7, v6
	v_fmac_f32_e32 v7, v8, v5
	v_fma_f32 v4, -v4, v7, v6
	v_div_fmas_f32 v4, v4, v5, v7
	v_div_fixup_f32 v8, v4, v3, 1.0
	v_xad_u32 v3, v19, -1, v9
	v_subrev_u32_e32 v4, s36, v3
	v_cmp_lt_u32_e32 vcc, s4, v4
	s_mov_b64 s[6:7], -1
	v_mov_b32_e32 v3, v19
	s_and_saveexec_b64 s[4:5], vcc
	s_cbranch_execz .LBB377_419
; %bb.411:
	v_lshrrev_b32_e32 v3, 7, v4
	v_add_u32_e32 v5, -1, v3
	v_lshrrev_b32_e32 v4, 1, v5
	v_mov_b32_e32 v9, v8
	v_add_u32_e32 v4, 1, v4
	v_cmp_lt_u32_e32 vcc, 13, v5
	v_mov_b32_e32 v7, 0
	s_and_saveexec_b64 s[6:7], vcc
	s_cbranch_execz .LBB377_415
; %bb.412:
	s_ashr_i32 s19, s18, 31
	s_lshl_b64 s[8:9], s[18:19], 2
	s_getpc_b64 s[22:23]
	s_add_u32 s22, s22, llvm.amdgcn.dynlds.offset.table@rel32@lo+4
	s_addc_u32 s23, s23, llvm.amdgcn.dynlds.offset.table@rel32@hi+12
	s_add_u32 s8, s8, s22
	s_addc_u32 s9, s9, s23
	s_load_dword s8, s[8:9], 0x0
	v_and_b32_e32 v5, -8, v4
	s_mov_b32 s15, 0
	s_waitcnt lgkmcnt(0)
	v_lshl_add_u32 v6, v19, 2, s8
	s_mov_b64 s[8:9], 0
.LBB377_413:                            ; =>This Inner Loop Header: Depth=1
	ds_read2st64_b32 v[10:11], v6 offset1:2
	ds_read2st64_b32 v[12:13], v6 offset0:4 offset1:6
	ds_read2st64_b32 v[20:21], v6 offset0:8 offset1:10
	;; [unrolled: 1-line block ×3, first 2 shown]
	v_add_u32_e32 v5, -8, v5
	s_waitcnt lgkmcnt(3)
	v_pk_mul_f32 v[10:11], v[8:9], v[10:11]
	s_waitcnt lgkmcnt(2)
	v_pk_mul_f32 v[12:13], v[8:9], v[12:13]
	ds_write2st64_b32 v6, v10, v11 offset1:2
	ds_write2st64_b32 v6, v12, v13 offset0:4 offset1:6
	ds_read2st64_b32 v[12:13], v6 offset0:16 offset1:18
	s_waitcnt lgkmcnt(4)
	v_pk_mul_f32 v[10:11], v[8:9], v[20:21]
	ds_write2st64_b32 v6, v10, v11 offset0:8 offset1:10
	s_waitcnt lgkmcnt(4)
	v_pk_mul_f32 v[10:11], v[8:9], v[16:17]
	ds_write2st64_b32 v6, v10, v11 offset0:12 offset1:14
	ds_read2st64_b32 v[10:11], v6 offset0:20 offset1:22
	s_waitcnt lgkmcnt(3)
	v_pk_mul_f32 v[12:13], v[8:9], v[12:13]
	ds_read2st64_b32 v[16:17], v6 offset0:24 offset1:26
	ds_write2st64_b32 v6, v12, v13 offset0:16 offset1:18
	ds_read2st64_b32 v[12:13], v6 offset0:28 offset1:30
	s_waitcnt lgkmcnt(3)
	v_pk_mul_f32 v[10:11], v[8:9], v[10:11]
	ds_write2st64_b32 v6, v10, v11 offset0:20 offset1:22
	s_waitcnt lgkmcnt(3)
	v_pk_mul_f32 v[10:11], v[8:9], v[16:17]
	ds_write2st64_b32 v6, v10, v11 offset0:24 offset1:26
	s_waitcnt lgkmcnt(2)
	v_pk_mul_f32 v[10:11], v[8:9], v[12:13]
	s_add_i32 s15, s15, 16
	v_cmp_eq_u32_e32 vcc, 0, v5
	ds_write2st64_b32 v6, v10, v11 offset0:28 offset1:30
	v_add_u32_e32 v6, 0x2000, v6
	s_or_b64 s[8:9], vcc, s[8:9]
	v_mov_b32_e32 v7, s15
	s_andn2_b64 exec, exec, s[8:9]
	s_cbranch_execnz .LBB377_413
; %bb.414:
	s_or_b64 exec, exec, s[8:9]
.LBB377_415:
	s_or_b64 exec, exec, s[6:7]
	v_and_b32_e32 v4, 7, v4
	v_cmp_ne_u32_e32 vcc, 0, v4
	s_and_saveexec_b64 s[6:7], vcc
	s_cbranch_execz .LBB377_418
; %bb.416:
	s_ashr_i32 s19, s18, 31
	s_lshl_b64 s[8:9], s[18:19], 2
	s_getpc_b64 s[22:23]
	s_add_u32 s22, s22, llvm.amdgcn.dynlds.offset.table@rel32@lo+4
	s_addc_u32 s23, s23, llvm.amdgcn.dynlds.offset.table@rel32@hi+12
	s_add_u32 s8, s8, s22
	s_addc_u32 s9, s9, s23
	s_load_dword s8, s[8:9], 0x0
	v_lshlrev_b32_e32 v5, 9, v7
	v_lshlrev_b32_e32 v6, 2, v19
	s_waitcnt lgkmcnt(0)
	v_add3_u32 v5, v5, v6, s8
	s_mov_b64 s[8:9], 0
.LBB377_417:                            ; =>This Inner Loop Header: Depth=1
	ds_read2st64_b32 v[6:7], v5 offset1:2
	v_add_u32_e32 v4, -1, v4
	v_cmp_eq_u32_e32 vcc, 0, v4
	s_or_b64 s[8:9], vcc, s[8:9]
	s_waitcnt lgkmcnt(0)
	v_pk_mul_f32 v[6:7], v[8:9], v[6:7]
	ds_write2st64_b32 v5, v6, v7 offset1:2
	v_add_u32_e32 v5, 0x400, v5
	s_andn2_b64 exec, exec, s[8:9]
	s_cbranch_execnz .LBB377_417
.LBB377_418:
	s_or_b64 exec, exec, s[6:7]
	v_add_u32_e32 v4, 1, v3
	v_and_b32_e32 v5, 0x3fffffe, v4
	v_cmp_ne_u32_e32 vcc, v4, v5
	v_lshl_add_u32 v3, v5, 7, v19
	s_orn2_b64 s[6:7], vcc, exec
.LBB377_419:
	s_or_b64 exec, exec, s[4:5]
	s_and_b64 exec, exec, s[6:7]
	s_cbranch_execz .LBB377_422
; %bb.420:
	s_ashr_i32 s19, s18, 31
	s_lshl_b64 s[4:5], s[18:19], 2
	s_getpc_b64 s[6:7]
	s_add_u32 s6, s6, llvm.amdgcn.dynlds.offset.table@rel32@lo+4
	s_addc_u32 s7, s7, llvm.amdgcn.dynlds.offset.table@rel32@hi+12
	s_add_u32 s4, s4, s6
	s_addc_u32 s5, s5, s7
	s_load_dword s4, s[4:5], 0x0
	s_waitcnt lgkmcnt(0)
	v_lshl_add_u32 v4, v3, 2, s4
	s_mov_b64 s[4:5], 0
.LBB377_421:                            ; =>This Inner Loop Header: Depth=1
	ds_read_b32 v5, v4
	v_add_u32_e32 v3, 0x80, v3
	v_cmp_ge_i32_e32 vcc, v3, v1
	s_or_b64 s[4:5], vcc, s[4:5]
	s_waitcnt lgkmcnt(0)
	v_mul_f32_e32 v5, v8, v5
	ds_write_b32 v4, v5
	v_add_u32_e32 v4, 0x200, v4
	s_andn2_b64 exec, exec, s[4:5]
	s_cbranch_execnz .LBB377_421
.LBB377_422:
	s_or_b64 exec, exec, s[2:3]
	v_cmp_ne_u16_e64 s[2:3], s21, 0
	s_cmp_lg_u64 s[2:3], 0
	s_addc_u32 s8, s13, 0
	v_cmp_eq_u32_e32 vcc, 0, v19
	s_waitcnt lgkmcnt(0)
	s_barrier
	s_and_saveexec_b64 s[2:3], vcc
	s_cbranch_execz .LBB377_424
; %bb.423:
	s_mul_i32 s4, s8, s16
	s_mul_i32 s4, s4, s17
	;; [unrolled: 1-line block ×3, first 2 shown]
	s_ashr_i32 s5, s4, 31
	s_ashr_i32 s7, s6, 31
	;; [unrolled: 1-line block ×3, first 2 shown]
	s_lshl_b64 s[4:5], s[4:5], 2
	s_lshl_b64 s[6:7], s[6:7], 2
	;; [unrolled: 1-line block ×3, first 2 shown]
	s_add_u32 s6, s12, s6
	s_addc_u32 s7, s13, s7
	s_add_u32 s4, s6, s4
	s_addc_u32 s5, s7, s5
	v_lshl_add_u64 v[4:5], s[4:5], 0, v[38:39]
	flat_store_dword v[4:5], v0
	v_lshl_add_u64 v[0:1], s[4:5], 0, v[24:25]
	flat_store_dword v[0:1], v2
.LBB377_424:
	s_or_b64 exec, exec, s[2:3]
	v_mov_b32_e32 v30, 0
	v_and_b32_e32 v32, 3, v19
	v_mov_b32_e32 v31, 0
	v_mov_b32_e32 v28, 0
	;; [unrolled: 1-line block ×11, first 2 shown]
	s_and_saveexec_b64 s[2:3], s[0:1]
	s_cbranch_execz .LBB377_1252
; %bb.425:
	scratch_store_dword off, v34, s32 offset:276 ; 4-byte Folded Spill
	scratch_store_dword off, v23, s32 offset:272 ; 4-byte Folded Spill
	;; [unrolled: 1-line block ×3, first 2 shown]
	flat_load_dword v54, v[26:27]
	scratch_load_dwordx2 v[4:5], off, s32 offset:596 ; 8-byte Folded Reload
	scratch_load_dwordx2 v[0:1], off, s32 offset:588 ; 8-byte Folded Reload
	v_mov_b32_e32 v27, 0
	s_ashr_i32 s19, s18, 31
	s_lshl_b64 s[0:1], s[18:19], 2
	s_getpc_b64 s[4:5]
	s_add_u32 s4, s4, llvm.amdgcn.dynlds.offset.table@rel32@lo+4
	s_addc_u32 s5, s5, llvm.amdgcn.dynlds.offset.table@rel32@hi+12
	s_add_u32 s0, s0, s4
	s_addc_u32 s1, s1, s5
	s_load_dword s0, s[0:1], 0x0
	s_mov_b64 s[4:5], 0
	s_mov_b32 s9, 0x7f800000
	s_movk_i32 s12, 0x7fff
	v_mov_b32_e32 v13, v27
	v_mov_b32_e32 v12, v27
	;; [unrolled: 1-line block ×12, first 2 shown]
	scratch_store_dword off, v32, s32 offset:284 ; 4-byte Folded Spill
	s_waitcnt vmcnt(0)
	v_and_b32_e32 v2, 24, v4
	v_and_b32_e32 v26, 0x1f8, v4
	scratch_load_dwordx2 v[4:5], off, s32 offset:580 ; 8-byte Folded Reload
	v_lshl_add_u64 v[0:1], v[36:37], 0, v[0:1]
	scratch_store_dwordx2 off, v[0:1], s32 offset:232 ; 8-byte Folded Spill
	v_add_u32_e32 v0, -1, v22
	scratch_store_dword off, v0, s32 offset:228 ; 4-byte Folded Spill
	v_or_b32_e32 v0, 0x1000, v26
	v_mov_b32_e32 v1, v27
	scratch_store_dwordx2 off, v[0:1], s32 offset:240 ; 8-byte Folded Spill
	v_or_b32_e32 v0, 0x1200, v26
	scratch_store_dwordx2 off, v[0:1], s32 offset:248 ; 8-byte Folded Spill
	v_or_b32_e32 v0, 0x1400, v26
	;; [unrolled: 2-line block ×3, first 2 shown]
	scratch_store_dwordx2 off, v[0:1], s32 offset:264 ; 8-byte Folded Spill
	v_accvgpr_read_b32 v0, a6
	v_accvgpr_read_b32 v1, a7
	v_lshlrev_b64 v[0:1], 2, v[0:1]
	s_waitcnt vmcnt(0)
	v_lshl_add_u64 v[0:1], v[4:5], 2, v[0:1]
	v_lshl_add_u64 v[14:15], v[14:15], 0, v[0:1]
	scratch_load_dword v1, off, s32 offset:564 ; 4-byte Folded Reload
	s_waitcnt vmcnt(0)
	v_lshl_add_u32 v0, v1, 5, s36
	v_add3_u32 v17, v0, v2, 7
	v_lshlrev_b32_e32 v0, 5, v32
	v_lshl_or_b32 v0, v1, 7, v0
	s_waitcnt lgkmcnt(0)
	v_add_u32_e32 v40, s0, v0
	s_branch .LBB377_427
.LBB377_426:                            ;   in Loop: Header=BB377_427 Depth=1
	s_or_b64 exec, exec, s[0:1]
	v_and_b32_e32 v3, 0xffff0000, v3
	v_and_b32_e32 v2, 0xffff0000, v2
	v_add_f32_e32 v2, v2, v3
	v_and_b32_e32 v3, 0xffff0000, v45
	v_and_b32_e32 v7, 0xffff0000, v7
	v_add_f32_e32 v3, v7, v3
	v_add_f32_e32 v2, v2, v3
	v_and_b32_e32 v3, 0xffff0000, v55
	v_and_b32_e32 v7, 0xffff0000, v46
	v_add_f32_e32 v3, v7, v3
	v_add_f32_e32 v2, v2, v3
	v_and_b32_e32 v3, 0xffff0000, v50
	v_and_b32_e32 v7, 0xffff0000, v10
	v_add_f32_e32 v3, v3, v7
	v_add_f32_e32 v2, v2, v3
	v_add_f32_e32 v12, v12, v2
	v_and_b32_e32 v2, 0xffff0000, v58
	v_and_b32_e32 v3, 0xffff0000, v57
	v_add_f32_e32 v2, v3, v2
	v_and_b32_e32 v3, 0xffff0000, v60
	v_and_b32_e32 v7, 0xffff0000, v59
	v_add_f32_e32 v3, v7, v3
	v_add_f32_e32 v2, v2, v3
	v_and_b32_e32 v3, 0xffff0000, v16
	v_and_b32_e32 v7, 0xffff0000, v61
	v_add_f32_e32 v3, v7, v3
	v_add_f32_e32 v2, v2, v3
	v_and_b32_e32 v3, 0xffff0000, v44
	v_and_b32_e32 v6, 0xffff0000, v6
	v_add_f32_e32 v3, v3, v6
	v_add_f32_e32 v2, v2, v3
	v_add_f32_e32 v19, v19, v2
	;; [unrolled: 16-line block ×3, first 2 shown]
	v_accvgpr_read_b32 v2, a22
	v_accvgpr_read_b32 v3, a7
	v_and_b32_e32 v2, 0xffff0000, v2
	v_and_b32_e32 v3, 0xffff0000, v3
	v_add_f32_e32 v2, v3, v2
	v_accvgpr_read_b32 v3, a24
	v_accvgpr_read_b32 v6, a23
	v_and_b32_e32 v3, 0xffff0000, v3
	v_and_b32_e32 v6, 0xffff0000, v6
	v_add_f32_e32 v3, v6, v3
	v_add_f32_e32 v2, v2, v3
	v_accvgpr_read_b32 v3, a26
	v_accvgpr_read_b32 v6, a25
	v_and_b32_e32 v3, 0xffff0000, v3
	v_and_b32_e32 v6, 0xffff0000, v6
	v_add_f32_e32 v3, v6, v3
	v_add_f32_e32 v2, v2, v3
	v_accvgpr_read_b32 v3, a27
	v_and_b32_e32 v3, 0xffff0000, v3
	v_and_b32_e32 v6, 0xffff0000, v39
	v_add_f32_e32 v3, v3, v6
	v_add_f32_e32 v2, v2, v3
	v_add_f32_e32 v21, v21, v2
	v_accvgpr_read_b32 v2, a16
	v_accvgpr_read_b32 v3, a15
	v_and_b32_e32 v2, 0xffff0000, v2
	v_and_b32_e32 v3, 0xffff0000, v3
	v_add_f32_e32 v2, v3, v2
	v_accvgpr_read_b32 v3, a18
	v_accvgpr_read_b32 v6, a17
	v_and_b32_e32 v3, 0xffff0000, v3
	v_and_b32_e32 v6, 0xffff0000, v6
	v_add_f32_e32 v3, v6, v3
	v_add_f32_e32 v2, v2, v3
	v_accvgpr_read_b32 v3, a20
	v_accvgpr_read_b32 v6, a19
	v_and_b32_e32 v3, 0xffff0000, v3
	v_and_b32_e32 v6, 0xffff0000, v6
	v_add_f32_e32 v3, v6, v3
	v_add_f32_e32 v2, v2, v3
	v_accvgpr_read_b32 v3, a21
	v_accvgpr_read_b32 v6, a4
	v_and_b32_e32 v3, 0xffff0000, v3
	v_and_b32_e32 v6, 0xffff0000, v6
	v_add_f32_e32 v3, v3, v6
	v_add_f32_e32 v2, v2, v3
	v_add_f32_e32 v20, v20, v2
	v_accvgpr_read_b32 v2, a0
	v_accvgpr_read_b32 v3, a2
	v_and_b32_e32 v2, 0xffff0000, v2
	v_and_b32_e32 v3, 0xffff0000, v3
	v_add_f32_e32 v2, v3, v2
	v_accvgpr_read_b32 v3, a3
	v_accvgpr_read_b32 v6, a1
	v_and_b32_e32 v3, 0xffff0000, v3
	v_and_b32_e32 v6, 0xffff0000, v6
	v_add_f32_e32 v3, v6, v3
	v_add_f32_e32 v2, v2, v3
	v_accvgpr_read_b32 v3, a12
	v_accvgpr_read_b32 v6, a11
	v_and_b32_e32 v3, 0xffff0000, v3
	v_and_b32_e32 v6, 0xffff0000, v6
	v_add_f32_e32 v3, v6, v3
	v_add_f32_e32 v2, v2, v3
	v_accvgpr_read_b32 v3, a13
	;; [unrolled: 24-line block ×3, first 2 shown]
	v_accvgpr_read_b32 v6, a5
	v_and_b32_e32 v3, 0xffff0000, v3
	v_and_b32_e32 v6, 0xffff0000, v6
	v_add_f32_e32 v3, v3, v6
	v_add_f32_e32 v2, v2, v3
	v_accvgpr_read_b32 v6, a55
	v_accvgpr_read_b32 v7, a54
	v_accvgpr_read_b32 v8, a53
	v_accvgpr_read_b32 v9, a52
	v_add_f32_e32 v24, v24, v2
	v_accvgpr_read_b32 v2, a57
	v_accvgpr_read_b32 v3, a56
	v_and_b32_e32 v6, 0xffff0000, v6
	v_and_b32_e32 v7, 0xffff0000, v7
	v_and_b32_e32 v8, 0xffff0000, v8
	v_and_b32_e32 v9, 0xffff0000, v9
	v_and_b32_e32 v2, 0xffff0000, v2
	v_and_b32_e32 v3, 0xffff0000, v3
	v_accvgpr_read_b32 v10, a58
	v_accvgpr_read_b32 v16, a59
	v_add_f32_e32 v8, v9, v8
	v_add_f32_e32 v6, v7, v6
	v_and_b32_e32 v10, 0xffff0000, v10
	v_and_b32_e32 v16, 0xffff0000, v16
	v_add_f32_e32 v6, v8, v6
	v_add_f32_e32 v2, v3, v2
	v_add_f32_e32 v2, v6, v2
	v_add_f32_e32 v3, v10, v16
	v_add_f32_e32 v2, v2, v3
	v_accvgpr_read_b32 v6, a47
	v_accvgpr_read_b32 v7, a46
	v_accvgpr_read_b32 v8, a45
	v_accvgpr_read_b32 v9, a44
	v_add_f32_e32 v29, v29, v2
	v_accvgpr_read_b32 v2, a49
	v_accvgpr_read_b32 v3, a48
	v_and_b32_e32 v6, 0xffff0000, v6
	v_and_b32_e32 v7, 0xffff0000, v7
	v_and_b32_e32 v8, 0xffff0000, v8
	v_and_b32_e32 v9, 0xffff0000, v9
	v_and_b32_e32 v2, 0xffff0000, v2
	v_and_b32_e32 v3, 0xffff0000, v3
	v_accvgpr_read_b32 v10, a50
	v_accvgpr_read_b32 v16, a51
	v_add_f32_e32 v8, v9, v8
	v_add_f32_e32 v6, v7, v6
	v_and_b32_e32 v10, 0xffff0000, v10
	v_and_b32_e32 v16, 0xffff0000, v16
	v_add_f32_e32 v6, v8, v6
	v_add_f32_e32 v2, v3, v2
	v_add_f32_e32 v2, v6, v2
	;; [unrolled: 24-line block ×3, first 2 shown]
	v_add_f32_e32 v3, v10, v16
	v_add_f32_e32 v2, v2, v3
	;; [unrolled: 1-line block ×3, first 2 shown]
	scratch_load_dword v2, off, s32 offset:220 ; 4-byte Folded Reload
	scratch_load_dword v10, off, s32 offset:224 ; 4-byte Folded Reload
	;; [unrolled: 1-line block ×7, first 2 shown]
	v_accvgpr_read_b32 v16, a28
	v_and_b32_e32 v16, 0xffff0000, v16
	v_and_b32_e32 v5, 0xffff0000, v5
	;; [unrolled: 1-line block ×3, first 2 shown]
	v_lshl_add_u64 v[14:15], v[14:15], 0, 8
	v_add_u32_e32 v17, 64, v17
	v_add_u32_e32 v40, 0x100, v40
	s_waitcnt vmcnt(6)
	v_and_b32_e32 v2, 0xffff0000, v2
	s_waitcnt vmcnt(5)
	v_and_b32_e32 v10, 0xffff0000, v10
	;; [unrolled: 2-line block ×7, first 2 shown]
	v_add_f32_e32 v8, v9, v8
	v_add_f32_e32 v6, v7, v6
	;; [unrolled: 1-line block ×7, first 2 shown]
	v_and_b32_e32 v6, 0xffff0000, v4
	v_and_b32_e32 v4, 0xffff0000, v1
	;; [unrolled: 1-line block ×3, first 2 shown]
	v_add_f32_e32 v30, v30, v2
	v_and_b32_e32 v3, 0xffff0000, v11
	v_and_b32_e32 v2, 0xffff0000, v48
	;; [unrolled: 1-line block ×3, first 2 shown]
	v_pk_add_f32 v[0:1], v[0:1], v[4:5]
	v_pk_add_f32 v[2:3], v[6:7], v[2:3]
	v_add_f32_e32 v0, v0, v1
	v_add_f32_e32 v0, v0, v2
	;; [unrolled: 1-line block ×4, first 2 shown]
	scratch_load_dword v0, off, s32 offset:188 ; 4-byte Folded Reload
	v_accvgpr_read_b32 v2, a6
	v_add_u32_e32 v2, 2, v2
	v_accvgpr_write_b32 a6, v2
	s_waitcnt vmcnt(0)
	v_cmp_ge_i32_e32 vcc, v2, v0
	s_or_b64 s[4:5], vcc, s[4:5]
	s_andn2_b64 exec, exec, s[4:5]
	s_cbranch_execz .LBB377_1251
.LBB377_427:                            ; =>This Inner Loop Header: Depth=1
	flat_load_dword v23, v[14:15]
	ds_read2_b64 v[6:9], v40 offset1:1
	ds_read2_b64 v[0:3], v40 offset0:2 offset1:3
                                        ; implicit-def: $vgpr22
	s_waitcnt lgkmcnt(0)
	v_and_b32_e32 v4, 0x7f800000, v6
	v_cmp_ne_u32_e32 vcc, s9, v4
	s_and_saveexec_b64 s[0:1], vcc
	s_xor_b64 s[0:1], exec, s[0:1]
; %bb.428:                              ;   in Loop: Header=BB377_427 Depth=1
	v_bfe_u32 v4, v6, 16, 1
	v_add3_u32 v22, v6, v4, s12
; %bb.429:                              ;   in Loop: Header=BB377_427 Depth=1
	s_andn2_saveexec_b64 s[0:1], s[0:1]
; %bb.430:                              ;   in Loop: Header=BB377_427 Depth=1
	v_or_b32_e32 v4, 0x10000, v6
	v_cmp_eq_u32_sdwa vcc, v6, v27 src0_sel:WORD_0 src1_sel:DWORD
	s_nop 1
	v_cndmask_b32_e32 v22, v4, v6, vcc
; %bb.431:                              ;   in Loop: Header=BB377_427 Depth=1
	s_or_b64 exec, exec, s[0:1]
	v_and_b32_e32 v4, 0x7f800000, v7
	v_cmp_ne_u32_e32 vcc, s9, v4
                                        ; implicit-def: $vgpr16
	s_and_saveexec_b64 s[0:1], vcc
	s_xor_b64 s[0:1], exec, s[0:1]
; %bb.432:                              ;   in Loop: Header=BB377_427 Depth=1
	v_bfe_u32 v4, v7, 16, 1
	v_add3_u32 v16, v7, v4, s12
; %bb.433:                              ;   in Loop: Header=BB377_427 Depth=1
	s_andn2_saveexec_b64 s[0:1], s[0:1]
; %bb.434:                              ;   in Loop: Header=BB377_427 Depth=1
	v_or_b32_e32 v4, 0x10000, v7
	v_cmp_eq_u32_sdwa vcc, v7, v27 src0_sel:WORD_0 src1_sel:DWORD
	s_nop 1
	v_cndmask_b32_e32 v16, v4, v7, vcc
; %bb.435:                              ;   in Loop: Header=BB377_427 Depth=1
	s_or_b64 exec, exec, s[0:1]
	v_and_b32_e32 v4, 0x7f800000, v8
	v_cmp_ne_u32_e32 vcc, s9, v4
                                        ; implicit-def: $vgpr11
	s_and_saveexec_b64 s[0:1], vcc
	s_xor_b64 s[0:1], exec, s[0:1]
; %bb.436:                              ;   in Loop: Header=BB377_427 Depth=1
	v_bfe_u32 v4, v8, 16, 1
	v_add3_u32 v11, v8, v4, s12
; %bb.437:                              ;   in Loop: Header=BB377_427 Depth=1
	s_andn2_saveexec_b64 s[0:1], s[0:1]
; %bb.438:                              ;   in Loop: Header=BB377_427 Depth=1
	v_or_b32_e32 v4, 0x10000, v8
	v_cmp_eq_u32_sdwa vcc, v8, v27 src0_sel:WORD_0 src1_sel:DWORD
	s_nop 1
	v_cndmask_b32_e32 v11, v4, v8, vcc
; %bb.439:                              ;   in Loop: Header=BB377_427 Depth=1
	s_or_b64 exec, exec, s[0:1]
	v_and_b32_e32 v4, 0x7f800000, v9
	v_cmp_ne_u32_e32 vcc, s9, v4
                                        ; implicit-def: $vgpr5
	s_and_saveexec_b64 s[0:1], vcc
	s_xor_b64 s[0:1], exec, s[0:1]
; %bb.440:                              ;   in Loop: Header=BB377_427 Depth=1
	v_bfe_u32 v4, v9, 16, 1
	v_add3_u32 v5, v9, v4, s12
                                        ; implicit-def: $vgpr6_vgpr7_vgpr8_vgpr9
; %bb.441:                              ;   in Loop: Header=BB377_427 Depth=1
	s_andn2_saveexec_b64 s[0:1], s[0:1]
; %bb.442:                              ;   in Loop: Header=BB377_427 Depth=1
	v_or_b32_e32 v4, 0x10000, v9
	v_cmp_eq_u32_sdwa vcc, v9, v27 src0_sel:WORD_0 src1_sel:DWORD
	s_nop 1
	v_cndmask_b32_e32 v5, v4, v9, vcc
; %bb.443:                              ;   in Loop: Header=BB377_427 Depth=1
	s_or_b64 exec, exec, s[0:1]
	v_and_b32_e32 v4, 0x7f800000, v0
	v_cmp_ne_u32_e32 vcc, s9, v4
                                        ; implicit-def: $vgpr4
	s_and_saveexec_b64 s[0:1], vcc
	s_xor_b64 s[0:1], exec, s[0:1]
; %bb.444:                              ;   in Loop: Header=BB377_427 Depth=1
	v_bfe_u32 v4, v0, 16, 1
	v_add3_u32 v4, v0, v4, s12
; %bb.445:                              ;   in Loop: Header=BB377_427 Depth=1
	s_andn2_saveexec_b64 s[0:1], s[0:1]
; %bb.446:                              ;   in Loop: Header=BB377_427 Depth=1
	v_or_b32_e32 v4, 0x10000, v0
	v_cmp_eq_u32_sdwa vcc, v0, v27 src0_sel:WORD_0 src1_sel:DWORD
	s_nop 1
	v_cndmask_b32_e32 v4, v4, v0, vcc
; %bb.447:                              ;   in Loop: Header=BB377_427 Depth=1
	s_or_b64 exec, exec, s[0:1]
	v_and_b32_e32 v0, 0x7f800000, v1
	v_cmp_ne_u32_e32 vcc, s9, v0
                                        ; implicit-def: $vgpr10
	s_and_saveexec_b64 s[0:1], vcc
	s_xor_b64 s[0:1], exec, s[0:1]
; %bb.448:                              ;   in Loop: Header=BB377_427 Depth=1
	v_bfe_u32 v0, v1, 16, 1
	v_add3_u32 v10, v1, v0, s12
; %bb.449:                              ;   in Loop: Header=BB377_427 Depth=1
	s_andn2_saveexec_b64 s[0:1], s[0:1]
; %bb.450:                              ;   in Loop: Header=BB377_427 Depth=1
	v_or_b32_e32 v0, 0x10000, v1
	v_cmp_eq_u32_sdwa vcc, v1, v27 src0_sel:WORD_0 src1_sel:DWORD
	s_nop 1
	v_cndmask_b32_e32 v10, v0, v1, vcc
; %bb.451:                              ;   in Loop: Header=BB377_427 Depth=1
	s_or_b64 exec, exec, s[0:1]
	v_and_b32_e32 v0, 0x7f800000, v2
	v_cmp_ne_u32_e32 vcc, s9, v0
                                        ; implicit-def: $vgpr9
	s_and_saveexec_b64 s[0:1], vcc
	s_xor_b64 s[0:1], exec, s[0:1]
; %bb.452:                              ;   in Loop: Header=BB377_427 Depth=1
	v_bfe_u32 v0, v2, 16, 1
	v_add3_u32 v9, v2, v0, s12
; %bb.453:                              ;   in Loop: Header=BB377_427 Depth=1
	s_andn2_saveexec_b64 s[0:1], s[0:1]
; %bb.454:                              ;   in Loop: Header=BB377_427 Depth=1
	v_or_b32_e32 v0, 0x10000, v2
	v_cmp_eq_u32_sdwa vcc, v2, v27 src0_sel:WORD_0 src1_sel:DWORD
	s_nop 1
	v_cndmask_b32_e32 v9, v0, v2, vcc
; %bb.455:                              ;   in Loop: Header=BB377_427 Depth=1
	s_or_b64 exec, exec, s[0:1]
	v_and_b32_e32 v0, 0x7f800000, v3
	v_cmp_ne_u32_e32 vcc, s9, v0
                                        ; implicit-def: $vgpr8
	s_and_saveexec_b64 s[0:1], vcc
	s_xor_b64 s[0:1], exec, s[0:1]
; %bb.456:                              ;   in Loop: Header=BB377_427 Depth=1
	v_bfe_u32 v0, v3, 16, 1
	v_add3_u32 v8, v3, v0, s12
                                        ; implicit-def: $vgpr0_vgpr1_vgpr2_vgpr3
; %bb.457:                              ;   in Loop: Header=BB377_427 Depth=1
	s_andn2_saveexec_b64 s[0:1], s[0:1]
; %bb.458:                              ;   in Loop: Header=BB377_427 Depth=1
	v_or_b32_e32 v0, 0x10000, v3
	v_cmp_eq_u32_sdwa vcc, v3, v27 src0_sel:WORD_0 src1_sel:DWORD
	s_nop 1
	v_cndmask_b32_e32 v8, v0, v3, vcc
; %bb.459:                              ;   in Loop: Header=BB377_427 Depth=1
	s_or_b64 exec, exec, s[0:1]
	scratch_load_dwordx2 v[2:3], off, s32 offset:232 ; 8-byte Folded Reload
	scratch_load_dwordx2 v[0:1], off, s32 offset:192 ; 8-byte Folded Reload
	s_waitcnt vmcnt(0)
	v_mad_i64_i32 v[0:1], s[0:1], v23, v0, v[2:3]
	v_lshl_add_u64 v[2:3], v[0:1], 0, v[26:27]
	flat_load_dwordx2 v[6:7], v[2:3]
	s_waitcnt vmcnt(0) lgkmcnt(0)
	v_and_b32_e32 v23, 0xff, v6
	v_cvt_f32_fp8_sdwa v23, v23 src0_sel:BYTE_0
	s_nop 0
	v_mul_f32_e32 v32, v54, v23
	v_and_b32_e32 v23, 0x7f800000, v32
	v_cmp_ne_u32_e32 vcc, s9, v23
                                        ; implicit-def: $vgpr23
	s_and_saveexec_b64 s[0:1], vcc
	s_xor_b64 s[0:1], exec, s[0:1]
; %bb.460:                              ;   in Loop: Header=BB377_427 Depth=1
	v_bfe_u32 v23, v32, 16, 1
	v_add3_u32 v23, v32, v23, s12
                                        ; implicit-def: $vgpr32
; %bb.461:                              ;   in Loop: Header=BB377_427 Depth=1
	s_andn2_saveexec_b64 s[0:1], s[0:1]
; %bb.462:                              ;   in Loop: Header=BB377_427 Depth=1
	v_or_b32_e32 v23, 0x10000, v32
	v_cmp_eq_u32_sdwa vcc, v32, v27 src0_sel:WORD_0 src1_sel:DWORD
	s_nop 1
	v_cndmask_b32_e32 v23, v23, v32, vcc
; %bb.463:                              ;   in Loop: Header=BB377_427 Depth=1
	s_or_b64 exec, exec, s[0:1]
	v_bfe_u32 v32, v6, 8, 8
	v_cvt_f32_fp8_sdwa v32, v32 src0_sel:BYTE_0
	s_nop 0
	v_mul_f32_e32 v33, v54, v32
	v_and_b32_e32 v32, 0x7f800000, v33
	v_cmp_ne_u32_e32 vcc, s9, v32
                                        ; implicit-def: $vgpr32
	s_and_saveexec_b64 s[0:1], vcc
	s_xor_b64 s[0:1], exec, s[0:1]
; %bb.464:                              ;   in Loop: Header=BB377_427 Depth=1
	v_bfe_u32 v32, v33, 16, 1
	v_add3_u32 v32, v33, v32, s12
                                        ; implicit-def: $vgpr33
; %bb.465:                              ;   in Loop: Header=BB377_427 Depth=1
	s_andn2_saveexec_b64 s[0:1], s[0:1]
; %bb.466:                              ;   in Loop: Header=BB377_427 Depth=1
	v_or_b32_e32 v32, 0x10000, v33
	v_cmp_eq_u32_sdwa vcc, v33, v27 src0_sel:WORD_0 src1_sel:DWORD
	s_nop 1
	v_cndmask_b32_e32 v32, v32, v33, vcc
; %bb.467:                              ;   in Loop: Header=BB377_427 Depth=1
	s_or_b64 exec, exec, s[0:1]
	v_bfe_u32 v33, v6, 16, 8
	v_cvt_f32_fp8_sdwa v33, v33 src0_sel:BYTE_0
	s_nop 0
	v_mul_f32_e32 v33, v54, v33
	v_and_b32_e32 v34, 0x7f800000, v33
	v_cmp_ne_u32_e32 vcc, s9, v34
                                        ; implicit-def: $vgpr34
	s_and_saveexec_b64 s[0:1], vcc
	s_xor_b64 s[0:1], exec, s[0:1]
; %bb.468:                              ;   in Loop: Header=BB377_427 Depth=1
	v_bfe_u32 v34, v33, 16, 1
	v_add3_u32 v34, v33, v34, s12
                                        ; implicit-def: $vgpr33
; %bb.469:                              ;   in Loop: Header=BB377_427 Depth=1
	s_andn2_saveexec_b64 s[0:1], s[0:1]
; %bb.470:                              ;   in Loop: Header=BB377_427 Depth=1
	v_or_b32_e32 v34, 0x10000, v33
	v_cmp_eq_u32_sdwa vcc, v33, v27 src0_sel:WORD_0 src1_sel:DWORD
	s_nop 1
	v_cndmask_b32_e32 v34, v34, v33, vcc
; %bb.471:                              ;   in Loop: Header=BB377_427 Depth=1
	s_or_b64 exec, exec, s[0:1]
	v_lshrrev_b32_e32 v6, 24, v6
	v_cvt_f32_fp8_sdwa v6, v6 src0_sel:BYTE_0
	s_nop 0
	v_mul_f32_e32 v33, v54, v6
	v_and_b32_e32 v6, 0x7f800000, v33
	v_cmp_ne_u32_e32 vcc, s9, v6
                                        ; implicit-def: $vgpr6
	s_and_saveexec_b64 s[0:1], vcc
	s_xor_b64 s[0:1], exec, s[0:1]
; %bb.472:                              ;   in Loop: Header=BB377_427 Depth=1
	v_bfe_u32 v6, v33, 16, 1
	v_add3_u32 v6, v33, v6, s12
                                        ; implicit-def: $vgpr33
; %bb.473:                              ;   in Loop: Header=BB377_427 Depth=1
	s_andn2_saveexec_b64 s[0:1], s[0:1]
; %bb.474:                              ;   in Loop: Header=BB377_427 Depth=1
	v_or_b32_e32 v6, 0x10000, v33
	v_cmp_eq_u32_sdwa vcc, v33, v27 src0_sel:WORD_0 src1_sel:DWORD
	s_nop 1
	v_cndmask_b32_e32 v6, v6, v33, vcc
; %bb.475:                              ;   in Loop: Header=BB377_427 Depth=1
	s_or_b64 exec, exec, s[0:1]
	v_and_b32_e32 v33, 0xff, v7
	v_cvt_f32_fp8_sdwa v33, v33 src0_sel:BYTE_0
	s_nop 0
	v_mul_f32_e32 v33, v54, v33
	v_and_b32_e32 v35, 0x7f800000, v33
	v_cmp_ne_u32_e32 vcc, s9, v35
                                        ; implicit-def: $vgpr35
	s_and_saveexec_b64 s[0:1], vcc
	s_xor_b64 s[0:1], exec, s[0:1]
; %bb.476:                              ;   in Loop: Header=BB377_427 Depth=1
	v_bfe_u32 v35, v33, 16, 1
	v_add3_u32 v35, v33, v35, s12
                                        ; implicit-def: $vgpr33
; %bb.477:                              ;   in Loop: Header=BB377_427 Depth=1
	s_andn2_saveexec_b64 s[0:1], s[0:1]
; %bb.478:                              ;   in Loop: Header=BB377_427 Depth=1
	v_or_b32_e32 v35, 0x10000, v33
	v_cmp_eq_u32_sdwa vcc, v33, v27 src0_sel:WORD_0 src1_sel:DWORD
	s_nop 1
	v_cndmask_b32_e32 v35, v35, v33, vcc
; %bb.479:                              ;   in Loop: Header=BB377_427 Depth=1
	s_or_b64 exec, exec, s[0:1]
	v_bfe_u32 v33, v7, 8, 8
	v_cvt_f32_fp8_sdwa v33, v33 src0_sel:BYTE_0
	s_nop 0
	v_mul_f32_e32 v36, v54, v33
	v_and_b32_e32 v33, 0x7f800000, v36
	v_cmp_ne_u32_e32 vcc, s9, v33
                                        ; implicit-def: $vgpr33
	s_and_saveexec_b64 s[0:1], vcc
	s_xor_b64 s[0:1], exec, s[0:1]
; %bb.480:                              ;   in Loop: Header=BB377_427 Depth=1
	v_bfe_u32 v33, v36, 16, 1
	v_add3_u32 v33, v36, v33, s12
                                        ; implicit-def: $vgpr36
; %bb.481:                              ;   in Loop: Header=BB377_427 Depth=1
	s_andn2_saveexec_b64 s[0:1], s[0:1]
; %bb.482:                              ;   in Loop: Header=BB377_427 Depth=1
	v_or_b32_e32 v33, 0x10000, v36
	v_cmp_eq_u32_sdwa vcc, v36, v27 src0_sel:WORD_0 src1_sel:DWORD
	s_nop 1
	v_cndmask_b32_e32 v33, v33, v36, vcc
; %bb.483:                              ;   in Loop: Header=BB377_427 Depth=1
	s_or_b64 exec, exec, s[0:1]
	v_bfe_u32 v36, v7, 16, 8
	v_cvt_f32_fp8_sdwa v36, v36 src0_sel:BYTE_0
	s_nop 0
	v_mul_f32_e32 v36, v54, v36
	v_and_b32_e32 v37, 0x7f800000, v36
	v_cmp_ne_u32_e32 vcc, s9, v37
                                        ; implicit-def: $vgpr37
	s_and_saveexec_b64 s[0:1], vcc
	s_xor_b64 s[0:1], exec, s[0:1]
; %bb.484:                              ;   in Loop: Header=BB377_427 Depth=1
	v_bfe_u32 v37, v36, 16, 1
	v_add3_u32 v37, v36, v37, s12
                                        ; implicit-def: $vgpr36
; %bb.485:                              ;   in Loop: Header=BB377_427 Depth=1
	s_andn2_saveexec_b64 s[0:1], s[0:1]
; %bb.486:                              ;   in Loop: Header=BB377_427 Depth=1
	v_or_b32_e32 v37, 0x10000, v36
	v_cmp_eq_u32_sdwa vcc, v36, v27 src0_sel:WORD_0 src1_sel:DWORD
	s_nop 1
	v_cndmask_b32_e32 v37, v37, v36, vcc
; %bb.487:                              ;   in Loop: Header=BB377_427 Depth=1
	s_or_b64 exec, exec, s[0:1]
	v_lshrrev_b32_e32 v7, 24, v7
	v_cvt_f32_fp8_sdwa v7, v7 src0_sel:BYTE_0
                                        ; implicit-def: $vgpr38
	s_nop 0
	v_mul_f32_e32 v7, v54, v7
	v_and_b32_e32 v36, 0x7f800000, v7
	v_cmp_ne_u32_e32 vcc, s9, v36
	s_and_saveexec_b64 s[0:1], vcc
	s_xor_b64 s[0:1], exec, s[0:1]
; %bb.488:                              ;   in Loop: Header=BB377_427 Depth=1
	v_bfe_u32 v36, v7, 16, 1
	v_add3_u32 v38, v7, v36, s12
                                        ; implicit-def: $vgpr7
; %bb.489:                              ;   in Loop: Header=BB377_427 Depth=1
	s_andn2_saveexec_b64 s[0:1], s[0:1]
; %bb.490:                              ;   in Loop: Header=BB377_427 Depth=1
	v_or_b32_e32 v36, 0x10000, v7
	v_cmp_eq_u32_sdwa vcc, v7, v27 src0_sel:WORD_0 src1_sel:DWORD
	s_nop 1
	v_cndmask_b32_e32 v38, v36, v7, vcc
; %bb.491:                              ;   in Loop: Header=BB377_427 Depth=1
	s_or_b64 exec, exec, s[0:1]
	scratch_load_dword v7, off, s32 offset:228 ; 4-byte Folded Reload
	v_accvgpr_read_b32 v36, a6
	v_lshrrev_b32_e32 v33, 16, v33
	v_lshrrev_b32_e32 v35, 16, v35
	;; [unrolled: 1-line block ×5, first 2 shown]
	s_waitcnt vmcnt(0)
	v_cmp_eq_u32_e32 vcc, v7, v36
	v_add_u32_e32 v7, -7, v17
	v_accvgpr_write_b32 a29, v7
	v_lshrrev_b32_e32 v7, 16, v37
	v_add_u32_e32 v37, -6, v17
	v_accvgpr_write_b32 a35, v37
	v_add_u32_e32 v37, -5, v17
	v_accvgpr_write_b32 a34, v37
	;; [unrolled: 2-line block ×5, first 2 shown]
	v_add_u32_e32 v37, -1, v17
	v_lshrrev_b32_e32 v36, 16, v6
	v_lshrrev_b32_e32 v6, 16, v38
	v_accvgpr_write_b32 a30, v37
	s_and_saveexec_b64 s[6:7], vcc
	s_cbranch_execz .LBB377_493
; %bb.492:                              ;   in Loop: Header=BB377_427 Depth=1
	v_accvgpr_read_b32 v37, a29
	v_cmp_lt_i32_e64 s[0:1], v37, v49
	v_accvgpr_read_b32 v37, a35
	s_nop 0
	v_cndmask_b32_e64 v23, 0, v23, s[0:1]
	v_cmp_lt_i32_e64 s[0:1], v37, v49
	v_accvgpr_read_b32 v37, a34
	s_nop 0
	v_cndmask_b32_e64 v32, 0, v32, s[0:1]
	;; [unrolled: 4-line block ×6, first 2 shown]
	v_cmp_lt_i32_e64 s[0:1], v37, v49
	s_nop 1
	v_cndmask_b32_e64 v7, 0, v7, s[0:1]
	v_cmp_lt_i32_e64 s[0:1], v17, v49
	s_nop 1
	v_cndmask_b32_e64 v6, 0, v6, s[0:1]
.LBB377_493:                            ;   in Loop: Header=BB377_427 Depth=1
	s_or_b64 exec, exec, s[6:7]
	v_and_b32_e32 v62, 0xffff0000, v22
	v_lshlrev_b32_e32 v22, 16, v23
	v_mul_f32_e32 v22, v62, v22
	v_and_b32_e32 v23, 0x7f800000, v22
	v_cmp_ne_u32_e64 s[0:1], s9, v23
                                        ; implicit-def: $vgpr23
                                        ; kill: killed $vgpr23
	s_and_saveexec_b64 s[6:7], s[0:1]
	s_xor_b64 s[0:1], exec, s[6:7]
	s_cbranch_execz .LBB377_495
; %bb.494:                              ;   in Loop: Header=BB377_427 Depth=1
	v_bfe_u32 v23, v22, 16, 1
	v_add3_u32 v22, v22, v23, s12
	scratch_store_dword off, v22, s32 offset:200 ; 4-byte Folded Spill
                                        ; implicit-def: $vgpr22
.LBB377_495:                            ;   in Loop: Header=BB377_427 Depth=1
	s_andn2_saveexec_b64 s[6:7], s[0:1]
	s_cbranch_execz .LBB377_497
; %bb.496:                              ;   in Loop: Header=BB377_427 Depth=1
	v_or_b32_e32 v23, 0x10000, v22
	v_cmp_eq_u32_sdwa s[0:1], v22, v27 src0_sel:WORD_0 src1_sel:DWORD
	s_nop 1
	v_cndmask_b32_e64 v22, v23, v22, s[0:1]
	scratch_store_dword off, v22, s32 offset:200 ; 4-byte Folded Spill
.LBB377_497:                            ;   in Loop: Header=BB377_427 Depth=1
	s_or_b64 exec, exec, s[6:7]
	v_and_b32_e32 v23, 0xffff0000, v16
	v_lshlrev_b32_e32 v16, 16, v32
	v_mul_f32_e32 v16, v23, v16
	v_and_b32_e32 v22, 0x7f800000, v16
	v_cmp_ne_u32_e64 s[0:1], s9, v22
                                        ; implicit-def: $vgpr22
                                        ; kill: killed $vgpr22
	s_and_saveexec_b64 s[6:7], s[0:1]
	s_xor_b64 s[0:1], exec, s[6:7]
	s_cbranch_execz .LBB377_499
; %bb.498:                              ;   in Loop: Header=BB377_427 Depth=1
	v_bfe_u32 v22, v16, 16, 1
	v_add3_u32 v16, v16, v22, s12
	scratch_store_dword off, v16, s32 offset:204 ; 4-byte Folded Spill
                                        ; implicit-def: $vgpr16
.LBB377_499:                            ;   in Loop: Header=BB377_427 Depth=1
	s_andn2_saveexec_b64 s[6:7], s[0:1]
	s_cbranch_execz .LBB377_501
; %bb.500:                              ;   in Loop: Header=BB377_427 Depth=1
	v_or_b32_e32 v22, 0x10000, v16
	v_cmp_eq_u32_sdwa s[0:1], v16, v27 src0_sel:WORD_0 src1_sel:DWORD
	s_nop 1
	v_cndmask_b32_e64 v16, v22, v16, s[0:1]
	scratch_store_dword off, v16, s32 offset:204 ; 4-byte Folded Spill
.LBB377_501:                            ;   in Loop: Header=BB377_427 Depth=1
	s_or_b64 exec, exec, s[6:7]
	v_and_b32_e32 v51, 0xffff0000, v11
	v_lshlrev_b32_e32 v11, 16, v34
	v_mul_f32_e32 v11, v51, v11
	v_and_b32_e32 v16, 0x7f800000, v11
	v_cmp_ne_u32_e64 s[0:1], s9, v16
                                        ; implicit-def: $vgpr16
                                        ; kill: killed $vgpr16
	s_and_saveexec_b64 s[6:7], s[0:1]
	s_xor_b64 s[0:1], exec, s[6:7]
	s_cbranch_execz .LBB377_503
; %bb.502:                              ;   in Loop: Header=BB377_427 Depth=1
	v_bfe_u32 v16, v11, 16, 1
	v_add3_u32 v11, v11, v16, s12
	scratch_store_dword off, v11, s32 offset:208 ; 4-byte Folded Spill
                                        ; implicit-def: $vgpr11
.LBB377_503:                            ;   in Loop: Header=BB377_427 Depth=1
	s_andn2_saveexec_b64 s[6:7], s[0:1]
	s_cbranch_execz .LBB377_505
; %bb.504:                              ;   in Loop: Header=BB377_427 Depth=1
	v_or_b32_e32 v16, 0x10000, v11
	v_cmp_eq_u32_sdwa s[0:1], v11, v27 src0_sel:WORD_0 src1_sel:DWORD
	s_nop 1
	v_cndmask_b32_e64 v11, v16, v11, s[0:1]
	scratch_store_dword off, v11, s32 offset:208 ; 4-byte Folded Spill
.LBB377_505:                            ;   in Loop: Header=BB377_427 Depth=1
	s_or_b64 exec, exec, s[6:7]
	v_and_b32_e32 v5, 0xffff0000, v5
	v_lshlrev_b32_e32 v11, 16, v36
	v_mul_f32_e32 v11, v5, v11
	v_and_b32_e32 v16, 0x7f800000, v11
	v_cmp_ne_u32_e64 s[0:1], s9, v16
                                        ; implicit-def: $vgpr16
                                        ; kill: killed $vgpr16
	s_and_saveexec_b64 s[6:7], s[0:1]
	s_xor_b64 s[0:1], exec, s[6:7]
	s_cbranch_execz .LBB377_507
; %bb.506:                              ;   in Loop: Header=BB377_427 Depth=1
	v_bfe_u32 v16, v11, 16, 1
	v_add3_u32 v11, v11, v16, s12
	scratch_store_dword off, v11, s32 offset:212 ; 4-byte Folded Spill
                                        ; implicit-def: $vgpr11
.LBB377_507:                            ;   in Loop: Header=BB377_427 Depth=1
	;; [unrolled: 26-line block ×3, first 2 shown]
	s_andn2_saveexec_b64 s[6:7], s[0:1]
	s_cbranch_execz .LBB377_513
; %bb.512:                              ;   in Loop: Header=BB377_427 Depth=1
	v_or_b32_e32 v16, 0x10000, v11
	v_cmp_eq_u32_sdwa s[0:1], v11, v27 src0_sel:WORD_0 src1_sel:DWORD
	s_nop 1
	v_cndmask_b32_e64 v11, v16, v11, s[0:1]
	scratch_store_dword off, v11, s32 offset:216 ; 4-byte Folded Spill
.LBB377_513:                            ;   in Loop: Header=BB377_427 Depth=1
	s_or_b64 exec, exec, s[6:7]
	v_and_b32_e32 v48, 0xffff0000, v10
	v_lshlrev_b32_e32 v10, 16, v33
	v_mul_f32_e32 v10, v48, v10
	v_and_b32_e32 v11, 0x7f800000, v10
	v_cmp_ne_u32_e64 s[0:1], s9, v11
                                        ; implicit-def: $vgpr11
                                        ; kill: killed $vgpr11
	s_and_saveexec_b64 s[6:7], s[0:1]
	s_xor_b64 s[0:1], exec, s[6:7]
	s_cbranch_execz .LBB377_515
; %bb.514:                              ;   in Loop: Header=BB377_427 Depth=1
	v_bfe_u32 v11, v10, 16, 1
	v_add3_u32 v10, v10, v11, s12
	scratch_store_dword off, v10, s32 offset:220 ; 4-byte Folded Spill
                                        ; implicit-def: $vgpr10
.LBB377_515:                            ;   in Loop: Header=BB377_427 Depth=1
	s_andn2_saveexec_b64 s[6:7], s[0:1]
	s_cbranch_execz .LBB377_517
; %bb.516:                              ;   in Loop: Header=BB377_427 Depth=1
	v_or_b32_e32 v11, 0x10000, v10
	v_cmp_eq_u32_sdwa s[0:1], v10, v27 src0_sel:WORD_0 src1_sel:DWORD
	s_nop 1
	v_cndmask_b32_e64 v10, v11, v10, s[0:1]
	scratch_store_dword off, v10, s32 offset:220 ; 4-byte Folded Spill
.LBB377_517:                            ;   in Loop: Header=BB377_427 Depth=1
	s_or_b64 exec, exec, s[6:7]
	v_and_b32_e32 v52, 0xffff0000, v9
	v_lshlrev_b32_e32 v7, 16, v7
	v_mul_f32_e32 v7, v52, v7
	v_and_b32_e32 v9, 0x7f800000, v7
	v_cmp_ne_u32_e64 s[0:1], s9, v9
                                        ; implicit-def: $vgpr9
                                        ; kill: killed $vgpr9
	s_and_saveexec_b64 s[6:7], s[0:1]
	s_xor_b64 s[0:1], exec, s[6:7]
	s_cbranch_execz .LBB377_519
; %bb.518:                              ;   in Loop: Header=BB377_427 Depth=1
	v_bfe_u32 v9, v7, 16, 1
	v_add3_u32 v7, v7, v9, s12
	scratch_store_dword off, v7, s32 offset:224 ; 4-byte Folded Spill
                                        ; implicit-def: $vgpr7
.LBB377_519:                            ;   in Loop: Header=BB377_427 Depth=1
	s_andn2_saveexec_b64 s[6:7], s[0:1]
	s_cbranch_execz .LBB377_521
; %bb.520:                              ;   in Loop: Header=BB377_427 Depth=1
	v_or_b32_e32 v9, 0x10000, v7
	v_cmp_eq_u32_sdwa s[0:1], v7, v27 src0_sel:WORD_0 src1_sel:DWORD
	s_nop 1
	v_cndmask_b32_e64 v7, v9, v7, s[0:1]
	scratch_store_dword off, v7, s32 offset:224 ; 4-byte Folded Spill
.LBB377_521:                            ;   in Loop: Header=BB377_427 Depth=1
	s_or_b64 exec, exec, s[6:7]
	v_and_b32_e32 v53, 0xffff0000, v8
	v_lshlrev_b32_e32 v6, 16, v6
	v_mul_f32_e32 v6, v53, v6
	v_and_b32_e32 v7, 0x7f800000, v6
	v_cmp_ne_u32_e64 s[0:1], s9, v7
                                        ; implicit-def: $agpr28
	s_and_saveexec_b64 s[6:7], s[0:1]
	s_xor_b64 s[0:1], exec, s[6:7]
; %bb.522:                              ;   in Loop: Header=BB377_427 Depth=1
	v_bfe_u32 v7, v6, 16, 1
	v_add3_u32 v6, v6, v7, s12
	v_accvgpr_write_b32 a28, v6
                                        ; implicit-def: $vgpr6
; %bb.523:                              ;   in Loop: Header=BB377_427 Depth=1
	s_andn2_saveexec_b64 s[6:7], s[0:1]
; %bb.524:                              ;   in Loop: Header=BB377_427 Depth=1
	v_or_b32_e32 v7, 0x10000, v6
	v_cmp_eq_u32_sdwa s[0:1], v6, v27 src0_sel:WORD_0 src1_sel:DWORD
	s_nop 1
	v_cndmask_b32_e64 v6, v7, v6, s[0:1]
	v_accvgpr_write_b32 a28, v6
; %bb.525:                              ;   in Loop: Header=BB377_427 Depth=1
	s_or_b64 exec, exec, s[6:7]
	flat_load_dwordx2 v[6:7], v[2:3] offset:512
	s_waitcnt vmcnt(0) lgkmcnt(0)
	v_and_b32_e32 v8, 0xff, v6
	v_cvt_f32_fp8_sdwa v8, v8 src0_sel:BYTE_0
	s_nop 0
	v_mul_f32_e32 v9, v54, v8
	v_and_b32_e32 v8, 0x7f800000, v9
	v_cmp_ne_u32_e64 s[0:1], s9, v8
                                        ; implicit-def: $vgpr8
	s_and_saveexec_b64 s[6:7], s[0:1]
	s_xor_b64 s[0:1], exec, s[6:7]
; %bb.526:                              ;   in Loop: Header=BB377_427 Depth=1
	v_bfe_u32 v8, v9, 16, 1
	v_add3_u32 v8, v9, v8, s12
                                        ; implicit-def: $vgpr9
; %bb.527:                              ;   in Loop: Header=BB377_427 Depth=1
	s_andn2_saveexec_b64 s[6:7], s[0:1]
; %bb.528:                              ;   in Loop: Header=BB377_427 Depth=1
	v_or_b32_e32 v8, 0x10000, v9
	v_cmp_eq_u32_sdwa s[0:1], v9, v27 src0_sel:WORD_0 src1_sel:DWORD
	s_nop 1
	v_cndmask_b32_e64 v8, v8, v9, s[0:1]
; %bb.529:                              ;   in Loop: Header=BB377_427 Depth=1
	s_or_b64 exec, exec, s[6:7]
	v_bfe_u32 v9, v6, 8, 8
	v_cvt_f32_fp8_sdwa v9, v9 src0_sel:BYTE_0
	s_nop 0
	v_mul_f32_e32 v10, v54, v9
	v_and_b32_e32 v9, 0x7f800000, v10
	v_cmp_ne_u32_e64 s[0:1], s9, v9
                                        ; implicit-def: $vgpr9
	s_and_saveexec_b64 s[6:7], s[0:1]
	s_xor_b64 s[0:1], exec, s[6:7]
; %bb.530:                              ;   in Loop: Header=BB377_427 Depth=1
	v_bfe_u32 v9, v10, 16, 1
	v_add3_u32 v9, v10, v9, s12
                                        ; implicit-def: $vgpr10
; %bb.531:                              ;   in Loop: Header=BB377_427 Depth=1
	s_andn2_saveexec_b64 s[6:7], s[0:1]
; %bb.532:                              ;   in Loop: Header=BB377_427 Depth=1
	v_or_b32_e32 v9, 0x10000, v10
	v_cmp_eq_u32_sdwa s[0:1], v10, v27 src0_sel:WORD_0 src1_sel:DWORD
	s_nop 1
	v_cndmask_b32_e64 v9, v9, v10, s[0:1]
; %bb.533:                              ;   in Loop: Header=BB377_427 Depth=1
	s_or_b64 exec, exec, s[6:7]
	v_bfe_u32 v10, v6, 16, 8
	v_cvt_f32_fp8_sdwa v10, v10 src0_sel:BYTE_0
	s_nop 0
	v_mul_f32_e32 v10, v54, v10
	v_and_b32_e32 v11, 0x7f800000, v10
	v_cmp_ne_u32_e64 s[0:1], s9, v11
                                        ; implicit-def: $vgpr11
	s_and_saveexec_b64 s[6:7], s[0:1]
	s_xor_b64 s[0:1], exec, s[6:7]
; %bb.534:                              ;   in Loop: Header=BB377_427 Depth=1
	v_bfe_u32 v11, v10, 16, 1
	v_add3_u32 v11, v10, v11, s12
                                        ; implicit-def: $vgpr10
; %bb.535:                              ;   in Loop: Header=BB377_427 Depth=1
	s_andn2_saveexec_b64 s[6:7], s[0:1]
; %bb.536:                              ;   in Loop: Header=BB377_427 Depth=1
	v_or_b32_e32 v11, 0x10000, v10
	v_cmp_eq_u32_sdwa s[0:1], v10, v27 src0_sel:WORD_0 src1_sel:DWORD
	s_nop 1
	v_cndmask_b32_e64 v11, v11, v10, s[0:1]
; %bb.537:                              ;   in Loop: Header=BB377_427 Depth=1
	s_or_b64 exec, exec, s[6:7]
	v_lshrrev_b32_e32 v6, 24, v6
	v_cvt_f32_fp8_sdwa v6, v6 src0_sel:BYTE_0
	s_nop 0
	v_mul_f32_e32 v10, v54, v6
	v_and_b32_e32 v6, 0x7f800000, v10
	v_cmp_ne_u32_e64 s[0:1], s9, v6
                                        ; implicit-def: $vgpr6
	s_and_saveexec_b64 s[6:7], s[0:1]
	s_xor_b64 s[0:1], exec, s[6:7]
; %bb.538:                              ;   in Loop: Header=BB377_427 Depth=1
	v_bfe_u32 v6, v10, 16, 1
	v_add3_u32 v6, v10, v6, s12
                                        ; implicit-def: $vgpr10
; %bb.539:                              ;   in Loop: Header=BB377_427 Depth=1
	s_andn2_saveexec_b64 s[6:7], s[0:1]
; %bb.540:                              ;   in Loop: Header=BB377_427 Depth=1
	v_or_b32_e32 v6, 0x10000, v10
	v_cmp_eq_u32_sdwa s[0:1], v10, v27 src0_sel:WORD_0 src1_sel:DWORD
	s_nop 1
	v_cndmask_b32_e64 v6, v6, v10, s[0:1]
; %bb.541:                              ;   in Loop: Header=BB377_427 Depth=1
	s_or_b64 exec, exec, s[6:7]
	v_and_b32_e32 v10, 0xff, v7
	v_cvt_f32_fp8_sdwa v10, v10 src0_sel:BYTE_0
	s_nop 0
	v_mul_f32_e32 v10, v54, v10
	v_and_b32_e32 v16, 0x7f800000, v10
	v_cmp_ne_u32_e64 s[0:1], s9, v16
                                        ; implicit-def: $vgpr16
	s_and_saveexec_b64 s[6:7], s[0:1]
	s_xor_b64 s[0:1], exec, s[6:7]
; %bb.542:                              ;   in Loop: Header=BB377_427 Depth=1
	v_bfe_u32 v16, v10, 16, 1
	v_add3_u32 v16, v10, v16, s12
                                        ; implicit-def: $vgpr10
; %bb.543:                              ;   in Loop: Header=BB377_427 Depth=1
	s_andn2_saveexec_b64 s[6:7], s[0:1]
; %bb.544:                              ;   in Loop: Header=BB377_427 Depth=1
	v_or_b32_e32 v16, 0x10000, v10
	v_cmp_eq_u32_sdwa s[0:1], v10, v27 src0_sel:WORD_0 src1_sel:DWORD
	s_nop 1
	v_cndmask_b32_e64 v16, v16, v10, s[0:1]
; %bb.545:                              ;   in Loop: Header=BB377_427 Depth=1
	s_or_b64 exec, exec, s[6:7]
	v_bfe_u32 v10, v7, 8, 8
	v_cvt_f32_fp8_sdwa v10, v10 src0_sel:BYTE_0
	s_nop 0
	v_mul_f32_e32 v22, v54, v10
	v_and_b32_e32 v10, 0x7f800000, v22
	v_cmp_ne_u32_e64 s[0:1], s9, v10
                                        ; implicit-def: $vgpr10
	s_and_saveexec_b64 s[6:7], s[0:1]
	s_xor_b64 s[0:1], exec, s[6:7]
; %bb.546:                              ;   in Loop: Header=BB377_427 Depth=1
	v_bfe_u32 v10, v22, 16, 1
	v_add3_u32 v10, v22, v10, s12
                                        ; implicit-def: $vgpr22
; %bb.547:                              ;   in Loop: Header=BB377_427 Depth=1
	s_andn2_saveexec_b64 s[6:7], s[0:1]
; %bb.548:                              ;   in Loop: Header=BB377_427 Depth=1
	v_or_b32_e32 v10, 0x10000, v22
	v_cmp_eq_u32_sdwa s[0:1], v22, v27 src0_sel:WORD_0 src1_sel:DWORD
	s_nop 1
	v_cndmask_b32_e64 v10, v10, v22, s[0:1]
; %bb.549:                              ;   in Loop: Header=BB377_427 Depth=1
	s_or_b64 exec, exec, s[6:7]
	v_bfe_u32 v22, v7, 16, 8
	v_cvt_f32_fp8_sdwa v22, v22 src0_sel:BYTE_0
	s_nop 0
	v_mul_f32_e32 v22, v54, v22
	v_and_b32_e32 v32, 0x7f800000, v22
	v_cmp_ne_u32_e64 s[0:1], s9, v32
                                        ; implicit-def: $vgpr32
	s_and_saveexec_b64 s[6:7], s[0:1]
	s_xor_b64 s[0:1], exec, s[6:7]
; %bb.550:                              ;   in Loop: Header=BB377_427 Depth=1
	v_bfe_u32 v32, v22, 16, 1
	v_add3_u32 v32, v22, v32, s12
                                        ; implicit-def: $vgpr22
; %bb.551:                              ;   in Loop: Header=BB377_427 Depth=1
	s_andn2_saveexec_b64 s[6:7], s[0:1]
; %bb.552:                              ;   in Loop: Header=BB377_427 Depth=1
	v_or_b32_e32 v32, 0x10000, v22
	v_cmp_eq_u32_sdwa s[0:1], v22, v27 src0_sel:WORD_0 src1_sel:DWORD
	s_nop 1
	v_cndmask_b32_e64 v32, v32, v22, s[0:1]
; %bb.553:                              ;   in Loop: Header=BB377_427 Depth=1
	s_or_b64 exec, exec, s[6:7]
	v_lshrrev_b32_e32 v7, 24, v7
	v_cvt_f32_fp8_sdwa v7, v7 src0_sel:BYTE_0
                                        ; implicit-def: $vgpr33
	s_nop 0
	v_mul_f32_e32 v7, v54, v7
	v_and_b32_e32 v22, 0x7f800000, v7
	v_cmp_ne_u32_e64 s[0:1], s9, v22
	s_and_saveexec_b64 s[6:7], s[0:1]
	s_xor_b64 s[0:1], exec, s[6:7]
; %bb.554:                              ;   in Loop: Header=BB377_427 Depth=1
	v_bfe_u32 v22, v7, 16, 1
	v_add3_u32 v33, v7, v22, s12
                                        ; implicit-def: $vgpr7
; %bb.555:                              ;   in Loop: Header=BB377_427 Depth=1
	s_andn2_saveexec_b64 s[6:7], s[0:1]
; %bb.556:                              ;   in Loop: Header=BB377_427 Depth=1
	v_or_b32_e32 v22, 0x10000, v7
	v_cmp_eq_u32_sdwa s[0:1], v7, v27 src0_sel:WORD_0 src1_sel:DWORD
	s_nop 1
	v_cndmask_b32_e64 v33, v22, v7, s[0:1]
; %bb.557:                              ;   in Loop: Header=BB377_427 Depth=1
	s_or_b64 exec, exec, s[6:7]
	v_lshrrev_b32_e32 v10, 16, v10
	v_lshrrev_b32_e32 v16, 16, v16
	;; [unrolled: 1-line block ×8, first 2 shown]
	s_and_saveexec_b64 s[6:7], vcc
	s_cbranch_execz .LBB377_559
; %bb.558:                              ;   in Loop: Header=BB377_427 Depth=1
	v_accvgpr_read_b32 v32, a29
	v_cmp_lt_i32_e64 s[0:1], v32, v49
	v_accvgpr_read_b32 v32, a35
	s_nop 0
	v_cndmask_b32_e64 v8, 0, v8, s[0:1]
	v_cmp_lt_i32_e64 s[0:1], v32, v49
	v_accvgpr_read_b32 v32, a34
	s_nop 0
	v_cndmask_b32_e64 v9, 0, v9, s[0:1]
	;; [unrolled: 4-line block ×6, first 2 shown]
	v_cmp_lt_i32_e64 s[0:1], v32, v49
	s_nop 1
	v_cndmask_b32_e64 v7, 0, v7, s[0:1]
	v_cmp_lt_i32_e64 s[0:1], v17, v49
	s_nop 1
	v_cndmask_b32_e64 v6, 0, v6, s[0:1]
.LBB377_559:                            ;   in Loop: Header=BB377_427 Depth=1
	s_or_b64 exec, exec, s[6:7]
	v_lshlrev_b32_e32 v8, 16, v8
	v_mul_f32_e32 v8, v62, v8
	v_and_b32_e32 v32, 0x7f800000, v8
	v_cmp_ne_u32_e64 s[0:1], s9, v32
                                        ; implicit-def: $agpr36
	s_and_saveexec_b64 s[6:7], s[0:1]
	s_xor_b64 s[0:1], exec, s[6:7]
; %bb.560:                              ;   in Loop: Header=BB377_427 Depth=1
	v_bfe_u32 v32, v8, 16, 1
	v_add3_u32 v8, v8, v32, s12
	v_accvgpr_write_b32 a36, v8
                                        ; implicit-def: $vgpr8
; %bb.561:                              ;   in Loop: Header=BB377_427 Depth=1
	s_andn2_saveexec_b64 s[6:7], s[0:1]
; %bb.562:                              ;   in Loop: Header=BB377_427 Depth=1
	v_or_b32_e32 v32, 0x10000, v8
	v_cmp_eq_u32_sdwa s[0:1], v8, v27 src0_sel:WORD_0 src1_sel:DWORD
	s_nop 1
	v_cndmask_b32_e64 v8, v32, v8, s[0:1]
	v_accvgpr_write_b32 a36, v8
; %bb.563:                              ;   in Loop: Header=BB377_427 Depth=1
	s_or_b64 exec, exec, s[6:7]
	v_lshlrev_b32_e32 v8, 16, v9
	v_mul_f32_e32 v8, v23, v8
	v_and_b32_e32 v9, 0x7f800000, v8
	v_cmp_ne_u32_e64 s[0:1], s9, v9
                                        ; implicit-def: $agpr37
	s_and_saveexec_b64 s[6:7], s[0:1]
	s_xor_b64 s[0:1], exec, s[6:7]
; %bb.564:                              ;   in Loop: Header=BB377_427 Depth=1
	v_bfe_u32 v9, v8, 16, 1
	v_add3_u32 v8, v8, v9, s12
	v_accvgpr_write_b32 a37, v8
                                        ; implicit-def: $vgpr8
; %bb.565:                              ;   in Loop: Header=BB377_427 Depth=1
	s_andn2_saveexec_b64 s[6:7], s[0:1]
; %bb.566:                              ;   in Loop: Header=BB377_427 Depth=1
	v_or_b32_e32 v9, 0x10000, v8
	v_cmp_eq_u32_sdwa s[0:1], v8, v27 src0_sel:WORD_0 src1_sel:DWORD
	s_nop 1
	v_cndmask_b32_e64 v8, v9, v8, s[0:1]
	v_accvgpr_write_b32 a37, v8
; %bb.567:                              ;   in Loop: Header=BB377_427 Depth=1
	s_or_b64 exec, exec, s[6:7]
	v_lshlrev_b32_e32 v8, 16, v11
	v_mul_f32_e32 v8, v51, v8
	v_and_b32_e32 v9, 0x7f800000, v8
	v_cmp_ne_u32_e64 s[0:1], s9, v9
                                        ; implicit-def: $agpr38
	s_and_saveexec_b64 s[6:7], s[0:1]
	s_xor_b64 s[0:1], exec, s[6:7]
; %bb.568:                              ;   in Loop: Header=BB377_427 Depth=1
	v_bfe_u32 v9, v8, 16, 1
	v_add3_u32 v8, v8, v9, s12
	v_accvgpr_write_b32 a38, v8
                                        ; implicit-def: $vgpr8
; %bb.569:                              ;   in Loop: Header=BB377_427 Depth=1
	s_andn2_saveexec_b64 s[6:7], s[0:1]
; %bb.570:                              ;   in Loop: Header=BB377_427 Depth=1
	v_or_b32_e32 v9, 0x10000, v8
	v_cmp_eq_u32_sdwa s[0:1], v8, v27 src0_sel:WORD_0 src1_sel:DWORD
	s_nop 1
	v_cndmask_b32_e64 v8, v9, v8, s[0:1]
	v_accvgpr_write_b32 a38, v8
; %bb.571:                              ;   in Loop: Header=BB377_427 Depth=1
	s_or_b64 exec, exec, s[6:7]
	v_lshlrev_b32_e32 v8, 16, v22
	v_mul_f32_e32 v8, v5, v8
	v_and_b32_e32 v9, 0x7f800000, v8
	v_cmp_ne_u32_e64 s[0:1], s9, v9
                                        ; implicit-def: $agpr39
	s_and_saveexec_b64 s[6:7], s[0:1]
	s_xor_b64 s[0:1], exec, s[6:7]
; %bb.572:                              ;   in Loop: Header=BB377_427 Depth=1
	v_bfe_u32 v9, v8, 16, 1
	v_add3_u32 v8, v8, v9, s12
	v_accvgpr_write_b32 a39, v8
                                        ; implicit-def: $vgpr8
; %bb.573:                              ;   in Loop: Header=BB377_427 Depth=1
	s_andn2_saveexec_b64 s[6:7], s[0:1]
; %bb.574:                              ;   in Loop: Header=BB377_427 Depth=1
	v_or_b32_e32 v9, 0x10000, v8
	v_cmp_eq_u32_sdwa s[0:1], v8, v27 src0_sel:WORD_0 src1_sel:DWORD
	s_nop 1
	v_cndmask_b32_e64 v8, v9, v8, s[0:1]
	v_accvgpr_write_b32 a39, v8
; %bb.575:                              ;   in Loop: Header=BB377_427 Depth=1
	s_or_b64 exec, exec, s[6:7]
	v_lshlrev_b32_e32 v8, 16, v16
	v_mul_f32_e32 v8, v4, v8
	v_and_b32_e32 v9, 0x7f800000, v8
	v_cmp_ne_u32_e64 s[0:1], s9, v9
                                        ; implicit-def: $agpr40
	s_and_saveexec_b64 s[6:7], s[0:1]
	s_xor_b64 s[0:1], exec, s[6:7]
; %bb.576:                              ;   in Loop: Header=BB377_427 Depth=1
	v_bfe_u32 v9, v8, 16, 1
	v_add3_u32 v8, v8, v9, s12
	v_accvgpr_write_b32 a40, v8
                                        ; implicit-def: $vgpr8
; %bb.577:                              ;   in Loop: Header=BB377_427 Depth=1
	s_andn2_saveexec_b64 s[6:7], s[0:1]
; %bb.578:                              ;   in Loop: Header=BB377_427 Depth=1
	v_or_b32_e32 v9, 0x10000, v8
	v_cmp_eq_u32_sdwa s[0:1], v8, v27 src0_sel:WORD_0 src1_sel:DWORD
	s_nop 1
	v_cndmask_b32_e64 v8, v9, v8, s[0:1]
	v_accvgpr_write_b32 a40, v8
; %bb.579:                              ;   in Loop: Header=BB377_427 Depth=1
	s_or_b64 exec, exec, s[6:7]
	v_lshlrev_b32_e32 v8, 16, v10
	v_mul_f32_e32 v8, v48, v8
	v_and_b32_e32 v9, 0x7f800000, v8
	v_cmp_ne_u32_e64 s[0:1], s9, v9
                                        ; implicit-def: $agpr41
	s_and_saveexec_b64 s[6:7], s[0:1]
	s_xor_b64 s[0:1], exec, s[6:7]
; %bb.580:                              ;   in Loop: Header=BB377_427 Depth=1
	v_bfe_u32 v9, v8, 16, 1
	v_add3_u32 v8, v8, v9, s12
	v_accvgpr_write_b32 a41, v8
                                        ; implicit-def: $vgpr8
; %bb.581:                              ;   in Loop: Header=BB377_427 Depth=1
	s_andn2_saveexec_b64 s[6:7], s[0:1]
; %bb.582:                              ;   in Loop: Header=BB377_427 Depth=1
	v_or_b32_e32 v9, 0x10000, v8
	v_cmp_eq_u32_sdwa s[0:1], v8, v27 src0_sel:WORD_0 src1_sel:DWORD
	s_nop 1
	v_cndmask_b32_e64 v8, v9, v8, s[0:1]
	v_accvgpr_write_b32 a41, v8
; %bb.583:                              ;   in Loop: Header=BB377_427 Depth=1
	s_or_b64 exec, exec, s[6:7]
	v_lshlrev_b32_e32 v7, 16, v7
	v_mul_f32_e32 v7, v52, v7
	v_and_b32_e32 v8, 0x7f800000, v7
	v_cmp_ne_u32_e64 s[0:1], s9, v8
                                        ; implicit-def: $agpr42
	s_and_saveexec_b64 s[6:7], s[0:1]
	s_xor_b64 s[0:1], exec, s[6:7]
; %bb.584:                              ;   in Loop: Header=BB377_427 Depth=1
	v_bfe_u32 v8, v7, 16, 1
	v_add3_u32 v7, v7, v8, s12
	v_accvgpr_write_b32 a42, v7
                                        ; implicit-def: $vgpr7
; %bb.585:                              ;   in Loop: Header=BB377_427 Depth=1
	s_andn2_saveexec_b64 s[6:7], s[0:1]
; %bb.586:                              ;   in Loop: Header=BB377_427 Depth=1
	v_or_b32_e32 v8, 0x10000, v7
	v_cmp_eq_u32_sdwa s[0:1], v7, v27 src0_sel:WORD_0 src1_sel:DWORD
	s_nop 1
	v_cndmask_b32_e64 v7, v8, v7, s[0:1]
	v_accvgpr_write_b32 a42, v7
; %bb.587:                              ;   in Loop: Header=BB377_427 Depth=1
	s_or_b64 exec, exec, s[6:7]
	v_lshlrev_b32_e32 v6, 16, v6
	v_mul_f32_e32 v6, v53, v6
	v_and_b32_e32 v7, 0x7f800000, v6
	v_cmp_ne_u32_e64 s[0:1], s9, v7
                                        ; implicit-def: $agpr43
	s_and_saveexec_b64 s[6:7], s[0:1]
	s_xor_b64 s[0:1], exec, s[6:7]
; %bb.588:                              ;   in Loop: Header=BB377_427 Depth=1
	v_bfe_u32 v7, v6, 16, 1
	v_add3_u32 v6, v6, v7, s12
	v_accvgpr_write_b32 a43, v6
                                        ; implicit-def: $vgpr6
; %bb.589:                              ;   in Loop: Header=BB377_427 Depth=1
	s_andn2_saveexec_b64 s[6:7], s[0:1]
; %bb.590:                              ;   in Loop: Header=BB377_427 Depth=1
	v_or_b32_e32 v7, 0x10000, v6
	v_cmp_eq_u32_sdwa s[0:1], v6, v27 src0_sel:WORD_0 src1_sel:DWORD
	s_nop 1
	v_cndmask_b32_e64 v6, v7, v6, s[0:1]
	v_accvgpr_write_b32 a43, v6
; %bb.591:                              ;   in Loop: Header=BB377_427 Depth=1
	s_or_b64 exec, exec, s[6:7]
	flat_load_dwordx2 v[6:7], v[2:3] offset:1024
	s_waitcnt vmcnt(0) lgkmcnt(0)
	v_and_b32_e32 v8, 0xff, v6
	v_cvt_f32_fp8_sdwa v8, v8 src0_sel:BYTE_0
	s_nop 0
	v_mul_f32_e32 v9, v54, v8
	v_and_b32_e32 v8, 0x7f800000, v9
	v_cmp_ne_u32_e64 s[0:1], s9, v8
                                        ; implicit-def: $vgpr8
	s_and_saveexec_b64 s[6:7], s[0:1]
	s_xor_b64 s[0:1], exec, s[6:7]
; %bb.592:                              ;   in Loop: Header=BB377_427 Depth=1
	v_bfe_u32 v8, v9, 16, 1
	v_add3_u32 v8, v9, v8, s12
                                        ; implicit-def: $vgpr9
; %bb.593:                              ;   in Loop: Header=BB377_427 Depth=1
	s_andn2_saveexec_b64 s[6:7], s[0:1]
; %bb.594:                              ;   in Loop: Header=BB377_427 Depth=1
	v_or_b32_e32 v8, 0x10000, v9
	v_cmp_eq_u32_sdwa s[0:1], v9, v27 src0_sel:WORD_0 src1_sel:DWORD
	s_nop 1
	v_cndmask_b32_e64 v8, v8, v9, s[0:1]
; %bb.595:                              ;   in Loop: Header=BB377_427 Depth=1
	s_or_b64 exec, exec, s[6:7]
	v_bfe_u32 v9, v6, 8, 8
	v_cvt_f32_fp8_sdwa v9, v9 src0_sel:BYTE_0
	s_nop 0
	v_mul_f32_e32 v10, v54, v9
	v_and_b32_e32 v9, 0x7f800000, v10
	v_cmp_ne_u32_e64 s[0:1], s9, v9
                                        ; implicit-def: $vgpr9
	s_and_saveexec_b64 s[6:7], s[0:1]
	s_xor_b64 s[0:1], exec, s[6:7]
; %bb.596:                              ;   in Loop: Header=BB377_427 Depth=1
	v_bfe_u32 v9, v10, 16, 1
	v_add3_u32 v9, v10, v9, s12
                                        ; implicit-def: $vgpr10
; %bb.597:                              ;   in Loop: Header=BB377_427 Depth=1
	s_andn2_saveexec_b64 s[6:7], s[0:1]
; %bb.598:                              ;   in Loop: Header=BB377_427 Depth=1
	v_or_b32_e32 v9, 0x10000, v10
	v_cmp_eq_u32_sdwa s[0:1], v10, v27 src0_sel:WORD_0 src1_sel:DWORD
	s_nop 1
	v_cndmask_b32_e64 v9, v9, v10, s[0:1]
; %bb.599:                              ;   in Loop: Header=BB377_427 Depth=1
	s_or_b64 exec, exec, s[6:7]
	v_bfe_u32 v10, v6, 16, 8
	v_cvt_f32_fp8_sdwa v10, v10 src0_sel:BYTE_0
	s_nop 0
	v_mul_f32_e32 v10, v54, v10
	v_and_b32_e32 v11, 0x7f800000, v10
	v_cmp_ne_u32_e64 s[0:1], s9, v11
                                        ; implicit-def: $vgpr11
	s_and_saveexec_b64 s[6:7], s[0:1]
	s_xor_b64 s[0:1], exec, s[6:7]
; %bb.600:                              ;   in Loop: Header=BB377_427 Depth=1
	v_bfe_u32 v11, v10, 16, 1
	v_add3_u32 v11, v10, v11, s12
                                        ; implicit-def: $vgpr10
; %bb.601:                              ;   in Loop: Header=BB377_427 Depth=1
	s_andn2_saveexec_b64 s[6:7], s[0:1]
; %bb.602:                              ;   in Loop: Header=BB377_427 Depth=1
	v_or_b32_e32 v11, 0x10000, v10
	v_cmp_eq_u32_sdwa s[0:1], v10, v27 src0_sel:WORD_0 src1_sel:DWORD
	s_nop 1
	v_cndmask_b32_e64 v11, v11, v10, s[0:1]
; %bb.603:                              ;   in Loop: Header=BB377_427 Depth=1
	s_or_b64 exec, exec, s[6:7]
	v_lshrrev_b32_e32 v6, 24, v6
	v_cvt_f32_fp8_sdwa v6, v6 src0_sel:BYTE_0
	s_nop 0
	v_mul_f32_e32 v10, v54, v6
	v_and_b32_e32 v6, 0x7f800000, v10
	v_cmp_ne_u32_e64 s[0:1], s9, v6
                                        ; implicit-def: $vgpr6
	s_and_saveexec_b64 s[6:7], s[0:1]
	s_xor_b64 s[0:1], exec, s[6:7]
; %bb.604:                              ;   in Loop: Header=BB377_427 Depth=1
	v_bfe_u32 v6, v10, 16, 1
	v_add3_u32 v6, v10, v6, s12
                                        ; implicit-def: $vgpr10
; %bb.605:                              ;   in Loop: Header=BB377_427 Depth=1
	s_andn2_saveexec_b64 s[6:7], s[0:1]
; %bb.606:                              ;   in Loop: Header=BB377_427 Depth=1
	v_or_b32_e32 v6, 0x10000, v10
	v_cmp_eq_u32_sdwa s[0:1], v10, v27 src0_sel:WORD_0 src1_sel:DWORD
	s_nop 1
	v_cndmask_b32_e64 v6, v6, v10, s[0:1]
; %bb.607:                              ;   in Loop: Header=BB377_427 Depth=1
	s_or_b64 exec, exec, s[6:7]
	v_and_b32_e32 v10, 0xff, v7
	v_cvt_f32_fp8_sdwa v10, v10 src0_sel:BYTE_0
	s_nop 0
	v_mul_f32_e32 v10, v54, v10
	v_and_b32_e32 v16, 0x7f800000, v10
	v_cmp_ne_u32_e64 s[0:1], s9, v16
                                        ; implicit-def: $vgpr16
	s_and_saveexec_b64 s[6:7], s[0:1]
	s_xor_b64 s[0:1], exec, s[6:7]
; %bb.608:                              ;   in Loop: Header=BB377_427 Depth=1
	v_bfe_u32 v16, v10, 16, 1
	v_add3_u32 v16, v10, v16, s12
                                        ; implicit-def: $vgpr10
; %bb.609:                              ;   in Loop: Header=BB377_427 Depth=1
	s_andn2_saveexec_b64 s[6:7], s[0:1]
; %bb.610:                              ;   in Loop: Header=BB377_427 Depth=1
	v_or_b32_e32 v16, 0x10000, v10
	v_cmp_eq_u32_sdwa s[0:1], v10, v27 src0_sel:WORD_0 src1_sel:DWORD
	s_nop 1
	v_cndmask_b32_e64 v16, v16, v10, s[0:1]
; %bb.611:                              ;   in Loop: Header=BB377_427 Depth=1
	s_or_b64 exec, exec, s[6:7]
	v_bfe_u32 v10, v7, 8, 8
	v_cvt_f32_fp8_sdwa v10, v10 src0_sel:BYTE_0
	s_nop 0
	v_mul_f32_e32 v22, v54, v10
	v_and_b32_e32 v10, 0x7f800000, v22
	v_cmp_ne_u32_e64 s[0:1], s9, v10
                                        ; implicit-def: $vgpr10
	s_and_saveexec_b64 s[6:7], s[0:1]
	s_xor_b64 s[0:1], exec, s[6:7]
; %bb.612:                              ;   in Loop: Header=BB377_427 Depth=1
	v_bfe_u32 v10, v22, 16, 1
	v_add3_u32 v10, v22, v10, s12
                                        ; implicit-def: $vgpr22
; %bb.613:                              ;   in Loop: Header=BB377_427 Depth=1
	s_andn2_saveexec_b64 s[6:7], s[0:1]
; %bb.614:                              ;   in Loop: Header=BB377_427 Depth=1
	v_or_b32_e32 v10, 0x10000, v22
	v_cmp_eq_u32_sdwa s[0:1], v22, v27 src0_sel:WORD_0 src1_sel:DWORD
	s_nop 1
	v_cndmask_b32_e64 v10, v10, v22, s[0:1]
; %bb.615:                              ;   in Loop: Header=BB377_427 Depth=1
	s_or_b64 exec, exec, s[6:7]
	v_bfe_u32 v22, v7, 16, 8
	v_cvt_f32_fp8_sdwa v22, v22 src0_sel:BYTE_0
	s_nop 0
	v_mul_f32_e32 v22, v54, v22
	v_and_b32_e32 v32, 0x7f800000, v22
	v_cmp_ne_u32_e64 s[0:1], s9, v32
                                        ; implicit-def: $vgpr32
	s_and_saveexec_b64 s[6:7], s[0:1]
	s_xor_b64 s[0:1], exec, s[6:7]
; %bb.616:                              ;   in Loop: Header=BB377_427 Depth=1
	v_bfe_u32 v32, v22, 16, 1
	v_add3_u32 v32, v22, v32, s12
                                        ; implicit-def: $vgpr22
; %bb.617:                              ;   in Loop: Header=BB377_427 Depth=1
	s_andn2_saveexec_b64 s[6:7], s[0:1]
; %bb.618:                              ;   in Loop: Header=BB377_427 Depth=1
	v_or_b32_e32 v32, 0x10000, v22
	v_cmp_eq_u32_sdwa s[0:1], v22, v27 src0_sel:WORD_0 src1_sel:DWORD
	s_nop 1
	v_cndmask_b32_e64 v32, v32, v22, s[0:1]
; %bb.619:                              ;   in Loop: Header=BB377_427 Depth=1
	s_or_b64 exec, exec, s[6:7]
	v_lshrrev_b32_e32 v7, 24, v7
	v_cvt_f32_fp8_sdwa v7, v7 src0_sel:BYTE_0
                                        ; implicit-def: $vgpr33
	s_nop 0
	v_mul_f32_e32 v7, v54, v7
	v_and_b32_e32 v22, 0x7f800000, v7
	v_cmp_ne_u32_e64 s[0:1], s9, v22
	s_and_saveexec_b64 s[6:7], s[0:1]
	s_xor_b64 s[0:1], exec, s[6:7]
; %bb.620:                              ;   in Loop: Header=BB377_427 Depth=1
	v_bfe_u32 v22, v7, 16, 1
	v_add3_u32 v33, v7, v22, s12
                                        ; implicit-def: $vgpr7
; %bb.621:                              ;   in Loop: Header=BB377_427 Depth=1
	s_andn2_saveexec_b64 s[6:7], s[0:1]
; %bb.622:                              ;   in Loop: Header=BB377_427 Depth=1
	v_or_b32_e32 v22, 0x10000, v7
	v_cmp_eq_u32_sdwa s[0:1], v7, v27 src0_sel:WORD_0 src1_sel:DWORD
	s_nop 1
	v_cndmask_b32_e64 v33, v22, v7, s[0:1]
; %bb.623:                              ;   in Loop: Header=BB377_427 Depth=1
	s_or_b64 exec, exec, s[6:7]
	v_lshrrev_b32_e32 v10, 16, v10
	v_lshrrev_b32_e32 v16, 16, v16
	;; [unrolled: 1-line block ×8, first 2 shown]
	s_and_saveexec_b64 s[6:7], vcc
	s_cbranch_execz .LBB377_625
; %bb.624:                              ;   in Loop: Header=BB377_427 Depth=1
	v_accvgpr_read_b32 v32, a29
	v_cmp_lt_i32_e64 s[0:1], v32, v49
	v_accvgpr_read_b32 v32, a35
	s_nop 0
	v_cndmask_b32_e64 v8, 0, v8, s[0:1]
	v_cmp_lt_i32_e64 s[0:1], v32, v49
	v_accvgpr_read_b32 v32, a34
	s_nop 0
	v_cndmask_b32_e64 v9, 0, v9, s[0:1]
	;; [unrolled: 4-line block ×6, first 2 shown]
	v_cmp_lt_i32_e64 s[0:1], v32, v49
	s_nop 1
	v_cndmask_b32_e64 v7, 0, v7, s[0:1]
	v_cmp_lt_i32_e64 s[0:1], v17, v49
	s_nop 1
	v_cndmask_b32_e64 v6, 0, v6, s[0:1]
.LBB377_625:                            ;   in Loop: Header=BB377_427 Depth=1
	s_or_b64 exec, exec, s[6:7]
	v_lshlrev_b32_e32 v8, 16, v8
	v_mul_f32_e32 v8, v62, v8
	v_and_b32_e32 v32, 0x7f800000, v8
	v_cmp_ne_u32_e64 s[0:1], s9, v32
                                        ; implicit-def: $agpr44
	s_and_saveexec_b64 s[6:7], s[0:1]
	s_xor_b64 s[0:1], exec, s[6:7]
; %bb.626:                              ;   in Loop: Header=BB377_427 Depth=1
	v_bfe_u32 v32, v8, 16, 1
	v_add3_u32 v8, v8, v32, s12
	v_accvgpr_write_b32 a44, v8
                                        ; implicit-def: $vgpr8
; %bb.627:                              ;   in Loop: Header=BB377_427 Depth=1
	s_andn2_saveexec_b64 s[6:7], s[0:1]
; %bb.628:                              ;   in Loop: Header=BB377_427 Depth=1
	v_or_b32_e32 v32, 0x10000, v8
	v_cmp_eq_u32_sdwa s[0:1], v8, v27 src0_sel:WORD_0 src1_sel:DWORD
	s_nop 1
	v_cndmask_b32_e64 v8, v32, v8, s[0:1]
	v_accvgpr_write_b32 a44, v8
; %bb.629:                              ;   in Loop: Header=BB377_427 Depth=1
	s_or_b64 exec, exec, s[6:7]
	v_lshlrev_b32_e32 v8, 16, v9
	v_mul_f32_e32 v8, v23, v8
	v_and_b32_e32 v9, 0x7f800000, v8
	v_cmp_ne_u32_e64 s[0:1], s9, v9
                                        ; implicit-def: $agpr45
	s_and_saveexec_b64 s[6:7], s[0:1]
	s_xor_b64 s[0:1], exec, s[6:7]
; %bb.630:                              ;   in Loop: Header=BB377_427 Depth=1
	v_bfe_u32 v9, v8, 16, 1
	v_add3_u32 v8, v8, v9, s12
	v_accvgpr_write_b32 a45, v8
                                        ; implicit-def: $vgpr8
; %bb.631:                              ;   in Loop: Header=BB377_427 Depth=1
	s_andn2_saveexec_b64 s[6:7], s[0:1]
; %bb.632:                              ;   in Loop: Header=BB377_427 Depth=1
	v_or_b32_e32 v9, 0x10000, v8
	v_cmp_eq_u32_sdwa s[0:1], v8, v27 src0_sel:WORD_0 src1_sel:DWORD
	s_nop 1
	v_cndmask_b32_e64 v8, v9, v8, s[0:1]
	v_accvgpr_write_b32 a45, v8
; %bb.633:                              ;   in Loop: Header=BB377_427 Depth=1
	s_or_b64 exec, exec, s[6:7]
	v_lshlrev_b32_e32 v8, 16, v11
	v_mul_f32_e32 v8, v51, v8
	v_and_b32_e32 v9, 0x7f800000, v8
	v_cmp_ne_u32_e64 s[0:1], s9, v9
                                        ; implicit-def: $agpr46
	s_and_saveexec_b64 s[6:7], s[0:1]
	s_xor_b64 s[0:1], exec, s[6:7]
; %bb.634:                              ;   in Loop: Header=BB377_427 Depth=1
	v_bfe_u32 v9, v8, 16, 1
	v_add3_u32 v8, v8, v9, s12
	v_accvgpr_write_b32 a46, v8
                                        ; implicit-def: $vgpr8
; %bb.635:                              ;   in Loop: Header=BB377_427 Depth=1
	s_andn2_saveexec_b64 s[6:7], s[0:1]
; %bb.636:                              ;   in Loop: Header=BB377_427 Depth=1
	v_or_b32_e32 v9, 0x10000, v8
	v_cmp_eq_u32_sdwa s[0:1], v8, v27 src0_sel:WORD_0 src1_sel:DWORD
	s_nop 1
	v_cndmask_b32_e64 v8, v9, v8, s[0:1]
	v_accvgpr_write_b32 a46, v8
; %bb.637:                              ;   in Loop: Header=BB377_427 Depth=1
	s_or_b64 exec, exec, s[6:7]
	v_lshlrev_b32_e32 v8, 16, v22
	v_mul_f32_e32 v8, v5, v8
	v_and_b32_e32 v9, 0x7f800000, v8
	v_cmp_ne_u32_e64 s[0:1], s9, v9
                                        ; implicit-def: $agpr47
	s_and_saveexec_b64 s[6:7], s[0:1]
	s_xor_b64 s[0:1], exec, s[6:7]
; %bb.638:                              ;   in Loop: Header=BB377_427 Depth=1
	v_bfe_u32 v9, v8, 16, 1
	v_add3_u32 v8, v8, v9, s12
	v_accvgpr_write_b32 a47, v8
                                        ; implicit-def: $vgpr8
; %bb.639:                              ;   in Loop: Header=BB377_427 Depth=1
	s_andn2_saveexec_b64 s[6:7], s[0:1]
; %bb.640:                              ;   in Loop: Header=BB377_427 Depth=1
	v_or_b32_e32 v9, 0x10000, v8
	v_cmp_eq_u32_sdwa s[0:1], v8, v27 src0_sel:WORD_0 src1_sel:DWORD
	s_nop 1
	v_cndmask_b32_e64 v8, v9, v8, s[0:1]
	v_accvgpr_write_b32 a47, v8
; %bb.641:                              ;   in Loop: Header=BB377_427 Depth=1
	s_or_b64 exec, exec, s[6:7]
	v_lshlrev_b32_e32 v8, 16, v16
	v_mul_f32_e32 v8, v4, v8
	v_and_b32_e32 v9, 0x7f800000, v8
	v_cmp_ne_u32_e64 s[0:1], s9, v9
                                        ; implicit-def: $agpr48
	s_and_saveexec_b64 s[6:7], s[0:1]
	s_xor_b64 s[0:1], exec, s[6:7]
; %bb.642:                              ;   in Loop: Header=BB377_427 Depth=1
	v_bfe_u32 v9, v8, 16, 1
	v_add3_u32 v8, v8, v9, s12
	v_accvgpr_write_b32 a48, v8
                                        ; implicit-def: $vgpr8
; %bb.643:                              ;   in Loop: Header=BB377_427 Depth=1
	s_andn2_saveexec_b64 s[6:7], s[0:1]
; %bb.644:                              ;   in Loop: Header=BB377_427 Depth=1
	v_or_b32_e32 v9, 0x10000, v8
	v_cmp_eq_u32_sdwa s[0:1], v8, v27 src0_sel:WORD_0 src1_sel:DWORD
	s_nop 1
	v_cndmask_b32_e64 v8, v9, v8, s[0:1]
	v_accvgpr_write_b32 a48, v8
; %bb.645:                              ;   in Loop: Header=BB377_427 Depth=1
	s_or_b64 exec, exec, s[6:7]
	v_lshlrev_b32_e32 v8, 16, v10
	v_mul_f32_e32 v8, v48, v8
	v_and_b32_e32 v9, 0x7f800000, v8
	v_cmp_ne_u32_e64 s[0:1], s9, v9
                                        ; implicit-def: $agpr49
	s_and_saveexec_b64 s[6:7], s[0:1]
	s_xor_b64 s[0:1], exec, s[6:7]
; %bb.646:                              ;   in Loop: Header=BB377_427 Depth=1
	v_bfe_u32 v9, v8, 16, 1
	v_add3_u32 v8, v8, v9, s12
	v_accvgpr_write_b32 a49, v8
                                        ; implicit-def: $vgpr8
; %bb.647:                              ;   in Loop: Header=BB377_427 Depth=1
	s_andn2_saveexec_b64 s[6:7], s[0:1]
; %bb.648:                              ;   in Loop: Header=BB377_427 Depth=1
	v_or_b32_e32 v9, 0x10000, v8
	v_cmp_eq_u32_sdwa s[0:1], v8, v27 src0_sel:WORD_0 src1_sel:DWORD
	s_nop 1
	v_cndmask_b32_e64 v8, v9, v8, s[0:1]
	v_accvgpr_write_b32 a49, v8
; %bb.649:                              ;   in Loop: Header=BB377_427 Depth=1
	s_or_b64 exec, exec, s[6:7]
	v_lshlrev_b32_e32 v7, 16, v7
	v_mul_f32_e32 v7, v52, v7
	v_and_b32_e32 v8, 0x7f800000, v7
	v_cmp_ne_u32_e64 s[0:1], s9, v8
                                        ; implicit-def: $agpr50
	s_and_saveexec_b64 s[6:7], s[0:1]
	s_xor_b64 s[0:1], exec, s[6:7]
; %bb.650:                              ;   in Loop: Header=BB377_427 Depth=1
	v_bfe_u32 v8, v7, 16, 1
	v_add3_u32 v7, v7, v8, s12
	v_accvgpr_write_b32 a50, v7
                                        ; implicit-def: $vgpr7
; %bb.651:                              ;   in Loop: Header=BB377_427 Depth=1
	s_andn2_saveexec_b64 s[6:7], s[0:1]
; %bb.652:                              ;   in Loop: Header=BB377_427 Depth=1
	v_or_b32_e32 v8, 0x10000, v7
	v_cmp_eq_u32_sdwa s[0:1], v7, v27 src0_sel:WORD_0 src1_sel:DWORD
	s_nop 1
	v_cndmask_b32_e64 v7, v8, v7, s[0:1]
	v_accvgpr_write_b32 a50, v7
; %bb.653:                              ;   in Loop: Header=BB377_427 Depth=1
	s_or_b64 exec, exec, s[6:7]
	v_lshlrev_b32_e32 v6, 16, v6
	v_mul_f32_e32 v6, v53, v6
	v_and_b32_e32 v7, 0x7f800000, v6
	v_cmp_ne_u32_e64 s[0:1], s9, v7
                                        ; implicit-def: $agpr51
	s_and_saveexec_b64 s[6:7], s[0:1]
	s_xor_b64 s[0:1], exec, s[6:7]
; %bb.654:                              ;   in Loop: Header=BB377_427 Depth=1
	v_bfe_u32 v7, v6, 16, 1
	v_add3_u32 v6, v6, v7, s12
	v_accvgpr_write_b32 a51, v6
                                        ; implicit-def: $vgpr6
; %bb.655:                              ;   in Loop: Header=BB377_427 Depth=1
	s_andn2_saveexec_b64 s[6:7], s[0:1]
; %bb.656:                              ;   in Loop: Header=BB377_427 Depth=1
	v_or_b32_e32 v7, 0x10000, v6
	v_cmp_eq_u32_sdwa s[0:1], v6, v27 src0_sel:WORD_0 src1_sel:DWORD
	s_nop 1
	v_cndmask_b32_e64 v6, v7, v6, s[0:1]
	v_accvgpr_write_b32 a51, v6
; %bb.657:                              ;   in Loop: Header=BB377_427 Depth=1
	s_or_b64 exec, exec, s[6:7]
	flat_load_dwordx2 v[6:7], v[2:3] offset:1536
	s_waitcnt vmcnt(0) lgkmcnt(0)
	v_and_b32_e32 v8, 0xff, v6
	v_cvt_f32_fp8_sdwa v8, v8 src0_sel:BYTE_0
	s_nop 0
	v_mul_f32_e32 v9, v54, v8
	v_and_b32_e32 v8, 0x7f800000, v9
	v_cmp_ne_u32_e64 s[0:1], s9, v8
                                        ; implicit-def: $vgpr8
	s_and_saveexec_b64 s[6:7], s[0:1]
	s_xor_b64 s[0:1], exec, s[6:7]
; %bb.658:                              ;   in Loop: Header=BB377_427 Depth=1
	v_bfe_u32 v8, v9, 16, 1
	v_add3_u32 v8, v9, v8, s12
                                        ; implicit-def: $vgpr9
; %bb.659:                              ;   in Loop: Header=BB377_427 Depth=1
	s_andn2_saveexec_b64 s[6:7], s[0:1]
; %bb.660:                              ;   in Loop: Header=BB377_427 Depth=1
	v_or_b32_e32 v8, 0x10000, v9
	v_cmp_eq_u32_sdwa s[0:1], v9, v27 src0_sel:WORD_0 src1_sel:DWORD
	s_nop 1
	v_cndmask_b32_e64 v8, v8, v9, s[0:1]
; %bb.661:                              ;   in Loop: Header=BB377_427 Depth=1
	s_or_b64 exec, exec, s[6:7]
	v_bfe_u32 v9, v6, 8, 8
	v_cvt_f32_fp8_sdwa v9, v9 src0_sel:BYTE_0
	s_nop 0
	v_mul_f32_e32 v10, v54, v9
	v_and_b32_e32 v9, 0x7f800000, v10
	v_cmp_ne_u32_e64 s[0:1], s9, v9
                                        ; implicit-def: $vgpr9
	s_and_saveexec_b64 s[6:7], s[0:1]
	s_xor_b64 s[0:1], exec, s[6:7]
; %bb.662:                              ;   in Loop: Header=BB377_427 Depth=1
	v_bfe_u32 v9, v10, 16, 1
	v_add3_u32 v9, v10, v9, s12
                                        ; implicit-def: $vgpr10
; %bb.663:                              ;   in Loop: Header=BB377_427 Depth=1
	s_andn2_saveexec_b64 s[6:7], s[0:1]
; %bb.664:                              ;   in Loop: Header=BB377_427 Depth=1
	v_or_b32_e32 v9, 0x10000, v10
	v_cmp_eq_u32_sdwa s[0:1], v10, v27 src0_sel:WORD_0 src1_sel:DWORD
	s_nop 1
	v_cndmask_b32_e64 v9, v9, v10, s[0:1]
; %bb.665:                              ;   in Loop: Header=BB377_427 Depth=1
	s_or_b64 exec, exec, s[6:7]
	v_bfe_u32 v10, v6, 16, 8
	v_cvt_f32_fp8_sdwa v10, v10 src0_sel:BYTE_0
	s_nop 0
	v_mul_f32_e32 v10, v54, v10
	v_and_b32_e32 v11, 0x7f800000, v10
	v_cmp_ne_u32_e64 s[0:1], s9, v11
                                        ; implicit-def: $vgpr11
	s_and_saveexec_b64 s[6:7], s[0:1]
	s_xor_b64 s[0:1], exec, s[6:7]
; %bb.666:                              ;   in Loop: Header=BB377_427 Depth=1
	v_bfe_u32 v11, v10, 16, 1
	v_add3_u32 v11, v10, v11, s12
                                        ; implicit-def: $vgpr10
; %bb.667:                              ;   in Loop: Header=BB377_427 Depth=1
	s_andn2_saveexec_b64 s[6:7], s[0:1]
; %bb.668:                              ;   in Loop: Header=BB377_427 Depth=1
	v_or_b32_e32 v11, 0x10000, v10
	v_cmp_eq_u32_sdwa s[0:1], v10, v27 src0_sel:WORD_0 src1_sel:DWORD
	s_nop 1
	v_cndmask_b32_e64 v11, v11, v10, s[0:1]
; %bb.669:                              ;   in Loop: Header=BB377_427 Depth=1
	s_or_b64 exec, exec, s[6:7]
	v_lshrrev_b32_e32 v6, 24, v6
	v_cvt_f32_fp8_sdwa v6, v6 src0_sel:BYTE_0
	s_nop 0
	v_mul_f32_e32 v10, v54, v6
	v_and_b32_e32 v6, 0x7f800000, v10
	v_cmp_ne_u32_e64 s[0:1], s9, v6
                                        ; implicit-def: $vgpr6
	s_and_saveexec_b64 s[6:7], s[0:1]
	s_xor_b64 s[0:1], exec, s[6:7]
; %bb.670:                              ;   in Loop: Header=BB377_427 Depth=1
	v_bfe_u32 v6, v10, 16, 1
	v_add3_u32 v6, v10, v6, s12
                                        ; implicit-def: $vgpr10
; %bb.671:                              ;   in Loop: Header=BB377_427 Depth=1
	s_andn2_saveexec_b64 s[6:7], s[0:1]
; %bb.672:                              ;   in Loop: Header=BB377_427 Depth=1
	v_or_b32_e32 v6, 0x10000, v10
	v_cmp_eq_u32_sdwa s[0:1], v10, v27 src0_sel:WORD_0 src1_sel:DWORD
	s_nop 1
	v_cndmask_b32_e64 v6, v6, v10, s[0:1]
; %bb.673:                              ;   in Loop: Header=BB377_427 Depth=1
	s_or_b64 exec, exec, s[6:7]
	v_and_b32_e32 v10, 0xff, v7
	v_cvt_f32_fp8_sdwa v10, v10 src0_sel:BYTE_0
	s_nop 0
	v_mul_f32_e32 v10, v54, v10
	v_and_b32_e32 v16, 0x7f800000, v10
	v_cmp_ne_u32_e64 s[0:1], s9, v16
                                        ; implicit-def: $vgpr16
	s_and_saveexec_b64 s[6:7], s[0:1]
	s_xor_b64 s[0:1], exec, s[6:7]
; %bb.674:                              ;   in Loop: Header=BB377_427 Depth=1
	v_bfe_u32 v16, v10, 16, 1
	v_add3_u32 v16, v10, v16, s12
                                        ; implicit-def: $vgpr10
; %bb.675:                              ;   in Loop: Header=BB377_427 Depth=1
	s_andn2_saveexec_b64 s[6:7], s[0:1]
; %bb.676:                              ;   in Loop: Header=BB377_427 Depth=1
	v_or_b32_e32 v16, 0x10000, v10
	v_cmp_eq_u32_sdwa s[0:1], v10, v27 src0_sel:WORD_0 src1_sel:DWORD
	s_nop 1
	v_cndmask_b32_e64 v16, v16, v10, s[0:1]
; %bb.677:                              ;   in Loop: Header=BB377_427 Depth=1
	s_or_b64 exec, exec, s[6:7]
	v_bfe_u32 v10, v7, 8, 8
	v_cvt_f32_fp8_sdwa v10, v10 src0_sel:BYTE_0
	s_nop 0
	v_mul_f32_e32 v22, v54, v10
	v_and_b32_e32 v10, 0x7f800000, v22
	v_cmp_ne_u32_e64 s[0:1], s9, v10
                                        ; implicit-def: $vgpr10
	s_and_saveexec_b64 s[6:7], s[0:1]
	s_xor_b64 s[0:1], exec, s[6:7]
; %bb.678:                              ;   in Loop: Header=BB377_427 Depth=1
	v_bfe_u32 v10, v22, 16, 1
	v_add3_u32 v10, v22, v10, s12
                                        ; implicit-def: $vgpr22
; %bb.679:                              ;   in Loop: Header=BB377_427 Depth=1
	s_andn2_saveexec_b64 s[6:7], s[0:1]
; %bb.680:                              ;   in Loop: Header=BB377_427 Depth=1
	v_or_b32_e32 v10, 0x10000, v22
	v_cmp_eq_u32_sdwa s[0:1], v22, v27 src0_sel:WORD_0 src1_sel:DWORD
	s_nop 1
	v_cndmask_b32_e64 v10, v10, v22, s[0:1]
; %bb.681:                              ;   in Loop: Header=BB377_427 Depth=1
	s_or_b64 exec, exec, s[6:7]
	v_bfe_u32 v22, v7, 16, 8
	v_cvt_f32_fp8_sdwa v22, v22 src0_sel:BYTE_0
	s_nop 0
	v_mul_f32_e32 v22, v54, v22
	v_and_b32_e32 v32, 0x7f800000, v22
	v_cmp_ne_u32_e64 s[0:1], s9, v32
                                        ; implicit-def: $vgpr32
	s_and_saveexec_b64 s[6:7], s[0:1]
	s_xor_b64 s[0:1], exec, s[6:7]
; %bb.682:                              ;   in Loop: Header=BB377_427 Depth=1
	v_bfe_u32 v32, v22, 16, 1
	v_add3_u32 v32, v22, v32, s12
                                        ; implicit-def: $vgpr22
; %bb.683:                              ;   in Loop: Header=BB377_427 Depth=1
	s_andn2_saveexec_b64 s[6:7], s[0:1]
; %bb.684:                              ;   in Loop: Header=BB377_427 Depth=1
	v_or_b32_e32 v32, 0x10000, v22
	v_cmp_eq_u32_sdwa s[0:1], v22, v27 src0_sel:WORD_0 src1_sel:DWORD
	s_nop 1
	v_cndmask_b32_e64 v32, v32, v22, s[0:1]
; %bb.685:                              ;   in Loop: Header=BB377_427 Depth=1
	s_or_b64 exec, exec, s[6:7]
	v_lshrrev_b32_e32 v7, 24, v7
	v_cvt_f32_fp8_sdwa v7, v7 src0_sel:BYTE_0
                                        ; implicit-def: $vgpr33
	s_nop 0
	v_mul_f32_e32 v7, v54, v7
	v_and_b32_e32 v22, 0x7f800000, v7
	v_cmp_ne_u32_e64 s[0:1], s9, v22
	s_and_saveexec_b64 s[6:7], s[0:1]
	s_xor_b64 s[0:1], exec, s[6:7]
; %bb.686:                              ;   in Loop: Header=BB377_427 Depth=1
	v_bfe_u32 v22, v7, 16, 1
	v_add3_u32 v33, v7, v22, s12
                                        ; implicit-def: $vgpr7
; %bb.687:                              ;   in Loop: Header=BB377_427 Depth=1
	s_andn2_saveexec_b64 s[6:7], s[0:1]
; %bb.688:                              ;   in Loop: Header=BB377_427 Depth=1
	v_or_b32_e32 v22, 0x10000, v7
	v_cmp_eq_u32_sdwa s[0:1], v7, v27 src0_sel:WORD_0 src1_sel:DWORD
	s_nop 1
	v_cndmask_b32_e64 v33, v22, v7, s[0:1]
; %bb.689:                              ;   in Loop: Header=BB377_427 Depth=1
	s_or_b64 exec, exec, s[6:7]
	v_lshrrev_b32_e32 v10, 16, v10
	v_lshrrev_b32_e32 v16, 16, v16
	;; [unrolled: 1-line block ×8, first 2 shown]
	s_and_saveexec_b64 s[6:7], vcc
	s_cbranch_execz .LBB377_691
; %bb.690:                              ;   in Loop: Header=BB377_427 Depth=1
	v_accvgpr_read_b32 v32, a29
	v_cmp_lt_i32_e64 s[0:1], v32, v49
	v_accvgpr_read_b32 v32, a35
	s_nop 0
	v_cndmask_b32_e64 v8, 0, v8, s[0:1]
	v_cmp_lt_i32_e64 s[0:1], v32, v49
	v_accvgpr_read_b32 v32, a34
	s_nop 0
	v_cndmask_b32_e64 v9, 0, v9, s[0:1]
	;; [unrolled: 4-line block ×6, first 2 shown]
	v_cmp_lt_i32_e64 s[0:1], v32, v49
	s_nop 1
	v_cndmask_b32_e64 v7, 0, v7, s[0:1]
	v_cmp_lt_i32_e64 s[0:1], v17, v49
	s_nop 1
	v_cndmask_b32_e64 v6, 0, v6, s[0:1]
.LBB377_691:                            ;   in Loop: Header=BB377_427 Depth=1
	s_or_b64 exec, exec, s[6:7]
	v_lshlrev_b32_e32 v8, 16, v8
	v_mul_f32_e32 v8, v62, v8
	v_and_b32_e32 v32, 0x7f800000, v8
	v_cmp_ne_u32_e64 s[0:1], s9, v32
                                        ; implicit-def: $agpr52
	s_and_saveexec_b64 s[6:7], s[0:1]
	s_xor_b64 s[0:1], exec, s[6:7]
; %bb.692:                              ;   in Loop: Header=BB377_427 Depth=1
	v_bfe_u32 v32, v8, 16, 1
	v_add3_u32 v8, v8, v32, s12
	v_accvgpr_write_b32 a52, v8
                                        ; implicit-def: $vgpr8
; %bb.693:                              ;   in Loop: Header=BB377_427 Depth=1
	s_andn2_saveexec_b64 s[6:7], s[0:1]
; %bb.694:                              ;   in Loop: Header=BB377_427 Depth=1
	v_or_b32_e32 v32, 0x10000, v8
	v_cmp_eq_u32_sdwa s[0:1], v8, v27 src0_sel:WORD_0 src1_sel:DWORD
	s_nop 1
	v_cndmask_b32_e64 v8, v32, v8, s[0:1]
	v_accvgpr_write_b32 a52, v8
; %bb.695:                              ;   in Loop: Header=BB377_427 Depth=1
	s_or_b64 exec, exec, s[6:7]
	v_lshlrev_b32_e32 v8, 16, v9
	v_mul_f32_e32 v8, v23, v8
	v_and_b32_e32 v9, 0x7f800000, v8
	v_cmp_ne_u32_e64 s[0:1], s9, v9
                                        ; implicit-def: $agpr53
	s_and_saveexec_b64 s[6:7], s[0:1]
	s_xor_b64 s[0:1], exec, s[6:7]
; %bb.696:                              ;   in Loop: Header=BB377_427 Depth=1
	v_bfe_u32 v9, v8, 16, 1
	v_add3_u32 v8, v8, v9, s12
	v_accvgpr_write_b32 a53, v8
                                        ; implicit-def: $vgpr8
; %bb.697:                              ;   in Loop: Header=BB377_427 Depth=1
	s_andn2_saveexec_b64 s[6:7], s[0:1]
; %bb.698:                              ;   in Loop: Header=BB377_427 Depth=1
	v_or_b32_e32 v9, 0x10000, v8
	v_cmp_eq_u32_sdwa s[0:1], v8, v27 src0_sel:WORD_0 src1_sel:DWORD
	s_nop 1
	v_cndmask_b32_e64 v8, v9, v8, s[0:1]
	v_accvgpr_write_b32 a53, v8
; %bb.699:                              ;   in Loop: Header=BB377_427 Depth=1
	s_or_b64 exec, exec, s[6:7]
	v_lshlrev_b32_e32 v8, 16, v11
	v_mul_f32_e32 v8, v51, v8
	v_and_b32_e32 v9, 0x7f800000, v8
	v_cmp_ne_u32_e64 s[0:1], s9, v9
                                        ; implicit-def: $agpr54
	s_and_saveexec_b64 s[6:7], s[0:1]
	s_xor_b64 s[0:1], exec, s[6:7]
; %bb.700:                              ;   in Loop: Header=BB377_427 Depth=1
	v_bfe_u32 v9, v8, 16, 1
	v_add3_u32 v8, v8, v9, s12
	v_accvgpr_write_b32 a54, v8
                                        ; implicit-def: $vgpr8
; %bb.701:                              ;   in Loop: Header=BB377_427 Depth=1
	s_andn2_saveexec_b64 s[6:7], s[0:1]
; %bb.702:                              ;   in Loop: Header=BB377_427 Depth=1
	v_or_b32_e32 v9, 0x10000, v8
	v_cmp_eq_u32_sdwa s[0:1], v8, v27 src0_sel:WORD_0 src1_sel:DWORD
	s_nop 1
	v_cndmask_b32_e64 v8, v9, v8, s[0:1]
	v_accvgpr_write_b32 a54, v8
; %bb.703:                              ;   in Loop: Header=BB377_427 Depth=1
	s_or_b64 exec, exec, s[6:7]
	v_lshlrev_b32_e32 v8, 16, v22
	v_mul_f32_e32 v8, v5, v8
	v_and_b32_e32 v9, 0x7f800000, v8
	v_cmp_ne_u32_e64 s[0:1], s9, v9
                                        ; implicit-def: $agpr55
	s_and_saveexec_b64 s[6:7], s[0:1]
	s_xor_b64 s[0:1], exec, s[6:7]
; %bb.704:                              ;   in Loop: Header=BB377_427 Depth=1
	v_bfe_u32 v9, v8, 16, 1
	v_add3_u32 v8, v8, v9, s12
	v_accvgpr_write_b32 a55, v8
                                        ; implicit-def: $vgpr8
; %bb.705:                              ;   in Loop: Header=BB377_427 Depth=1
	s_andn2_saveexec_b64 s[6:7], s[0:1]
; %bb.706:                              ;   in Loop: Header=BB377_427 Depth=1
	v_or_b32_e32 v9, 0x10000, v8
	v_cmp_eq_u32_sdwa s[0:1], v8, v27 src0_sel:WORD_0 src1_sel:DWORD
	s_nop 1
	v_cndmask_b32_e64 v8, v9, v8, s[0:1]
	v_accvgpr_write_b32 a55, v8
; %bb.707:                              ;   in Loop: Header=BB377_427 Depth=1
	s_or_b64 exec, exec, s[6:7]
	v_lshlrev_b32_e32 v8, 16, v16
	v_mul_f32_e32 v8, v4, v8
	v_and_b32_e32 v9, 0x7f800000, v8
	v_cmp_ne_u32_e64 s[0:1], s9, v9
                                        ; implicit-def: $agpr56
	s_and_saveexec_b64 s[6:7], s[0:1]
	s_xor_b64 s[0:1], exec, s[6:7]
; %bb.708:                              ;   in Loop: Header=BB377_427 Depth=1
	v_bfe_u32 v9, v8, 16, 1
	v_add3_u32 v8, v8, v9, s12
	v_accvgpr_write_b32 a56, v8
                                        ; implicit-def: $vgpr8
; %bb.709:                              ;   in Loop: Header=BB377_427 Depth=1
	s_andn2_saveexec_b64 s[6:7], s[0:1]
; %bb.710:                              ;   in Loop: Header=BB377_427 Depth=1
	v_or_b32_e32 v9, 0x10000, v8
	v_cmp_eq_u32_sdwa s[0:1], v8, v27 src0_sel:WORD_0 src1_sel:DWORD
	s_nop 1
	v_cndmask_b32_e64 v8, v9, v8, s[0:1]
	v_accvgpr_write_b32 a56, v8
; %bb.711:                              ;   in Loop: Header=BB377_427 Depth=1
	s_or_b64 exec, exec, s[6:7]
	v_lshlrev_b32_e32 v8, 16, v10
	v_mul_f32_e32 v8, v48, v8
	v_and_b32_e32 v9, 0x7f800000, v8
	v_cmp_ne_u32_e64 s[0:1], s9, v9
                                        ; implicit-def: $agpr57
	s_and_saveexec_b64 s[6:7], s[0:1]
	s_xor_b64 s[0:1], exec, s[6:7]
; %bb.712:                              ;   in Loop: Header=BB377_427 Depth=1
	v_bfe_u32 v9, v8, 16, 1
	v_add3_u32 v8, v8, v9, s12
	v_accvgpr_write_b32 a57, v8
                                        ; implicit-def: $vgpr8
; %bb.713:                              ;   in Loop: Header=BB377_427 Depth=1
	s_andn2_saveexec_b64 s[6:7], s[0:1]
; %bb.714:                              ;   in Loop: Header=BB377_427 Depth=1
	v_or_b32_e32 v9, 0x10000, v8
	v_cmp_eq_u32_sdwa s[0:1], v8, v27 src0_sel:WORD_0 src1_sel:DWORD
	s_nop 1
	v_cndmask_b32_e64 v8, v9, v8, s[0:1]
	v_accvgpr_write_b32 a57, v8
; %bb.715:                              ;   in Loop: Header=BB377_427 Depth=1
	s_or_b64 exec, exec, s[6:7]
	v_lshlrev_b32_e32 v7, 16, v7
	v_mul_f32_e32 v7, v52, v7
	v_and_b32_e32 v8, 0x7f800000, v7
	v_cmp_ne_u32_e64 s[0:1], s9, v8
                                        ; implicit-def: $agpr58
	s_and_saveexec_b64 s[6:7], s[0:1]
	s_xor_b64 s[0:1], exec, s[6:7]
; %bb.716:                              ;   in Loop: Header=BB377_427 Depth=1
	v_bfe_u32 v8, v7, 16, 1
	v_add3_u32 v7, v7, v8, s12
	v_accvgpr_write_b32 a58, v7
                                        ; implicit-def: $vgpr7
; %bb.717:                              ;   in Loop: Header=BB377_427 Depth=1
	s_andn2_saveexec_b64 s[6:7], s[0:1]
; %bb.718:                              ;   in Loop: Header=BB377_427 Depth=1
	v_or_b32_e32 v8, 0x10000, v7
	v_cmp_eq_u32_sdwa s[0:1], v7, v27 src0_sel:WORD_0 src1_sel:DWORD
	s_nop 1
	v_cndmask_b32_e64 v7, v8, v7, s[0:1]
	v_accvgpr_write_b32 a58, v7
; %bb.719:                              ;   in Loop: Header=BB377_427 Depth=1
	s_or_b64 exec, exec, s[6:7]
	v_lshlrev_b32_e32 v6, 16, v6
	v_mul_f32_e32 v6, v53, v6
	v_and_b32_e32 v7, 0x7f800000, v6
	v_cmp_ne_u32_e64 s[0:1], s9, v7
                                        ; implicit-def: $agpr59
	s_and_saveexec_b64 s[6:7], s[0:1]
	s_xor_b64 s[0:1], exec, s[6:7]
; %bb.720:                              ;   in Loop: Header=BB377_427 Depth=1
	v_bfe_u32 v7, v6, 16, 1
	v_add3_u32 v6, v6, v7, s12
	v_accvgpr_write_b32 a59, v6
                                        ; implicit-def: $vgpr6
; %bb.721:                              ;   in Loop: Header=BB377_427 Depth=1
	s_andn2_saveexec_b64 s[6:7], s[0:1]
; %bb.722:                              ;   in Loop: Header=BB377_427 Depth=1
	v_or_b32_e32 v7, 0x10000, v6
	v_cmp_eq_u32_sdwa s[0:1], v6, v27 src0_sel:WORD_0 src1_sel:DWORD
	s_nop 1
	v_cndmask_b32_e64 v6, v7, v6, s[0:1]
	v_accvgpr_write_b32 a59, v6
; %bb.723:                              ;   in Loop: Header=BB377_427 Depth=1
	s_or_b64 exec, exec, s[6:7]
	flat_load_dwordx2 v[6:7], v[2:3] offset:2048
	s_waitcnt vmcnt(0) lgkmcnt(0)
	v_and_b32_e32 v8, 0xff, v6
	v_cvt_f32_fp8_sdwa v8, v8 src0_sel:BYTE_0
	s_nop 0
	v_mul_f32_e32 v9, v54, v8
	v_and_b32_e32 v8, 0x7f800000, v9
	v_cmp_ne_u32_e64 s[0:1], s9, v8
                                        ; implicit-def: $vgpr8
	s_and_saveexec_b64 s[6:7], s[0:1]
	s_xor_b64 s[0:1], exec, s[6:7]
; %bb.724:                              ;   in Loop: Header=BB377_427 Depth=1
	v_bfe_u32 v8, v9, 16, 1
	v_add3_u32 v8, v9, v8, s12
                                        ; implicit-def: $vgpr9
; %bb.725:                              ;   in Loop: Header=BB377_427 Depth=1
	s_andn2_saveexec_b64 s[6:7], s[0:1]
; %bb.726:                              ;   in Loop: Header=BB377_427 Depth=1
	v_or_b32_e32 v8, 0x10000, v9
	v_cmp_eq_u32_sdwa s[0:1], v9, v27 src0_sel:WORD_0 src1_sel:DWORD
	s_nop 1
	v_cndmask_b32_e64 v8, v8, v9, s[0:1]
; %bb.727:                              ;   in Loop: Header=BB377_427 Depth=1
	s_or_b64 exec, exec, s[6:7]
	v_bfe_u32 v9, v6, 8, 8
	v_cvt_f32_fp8_sdwa v9, v9 src0_sel:BYTE_0
	s_nop 0
	v_mul_f32_e32 v10, v54, v9
	v_and_b32_e32 v9, 0x7f800000, v10
	v_cmp_ne_u32_e64 s[0:1], s9, v9
                                        ; implicit-def: $vgpr9
	s_and_saveexec_b64 s[6:7], s[0:1]
	s_xor_b64 s[0:1], exec, s[6:7]
; %bb.728:                              ;   in Loop: Header=BB377_427 Depth=1
	v_bfe_u32 v9, v10, 16, 1
	v_add3_u32 v9, v10, v9, s12
                                        ; implicit-def: $vgpr10
; %bb.729:                              ;   in Loop: Header=BB377_427 Depth=1
	s_andn2_saveexec_b64 s[6:7], s[0:1]
; %bb.730:                              ;   in Loop: Header=BB377_427 Depth=1
	v_or_b32_e32 v9, 0x10000, v10
	v_cmp_eq_u32_sdwa s[0:1], v10, v27 src0_sel:WORD_0 src1_sel:DWORD
	s_nop 1
	v_cndmask_b32_e64 v9, v9, v10, s[0:1]
; %bb.731:                              ;   in Loop: Header=BB377_427 Depth=1
	s_or_b64 exec, exec, s[6:7]
	v_bfe_u32 v10, v6, 16, 8
	v_cvt_f32_fp8_sdwa v10, v10 src0_sel:BYTE_0
	s_nop 0
	v_mul_f32_e32 v10, v54, v10
	v_and_b32_e32 v11, 0x7f800000, v10
	v_cmp_ne_u32_e64 s[0:1], s9, v11
                                        ; implicit-def: $vgpr11
	s_and_saveexec_b64 s[6:7], s[0:1]
	s_xor_b64 s[0:1], exec, s[6:7]
; %bb.732:                              ;   in Loop: Header=BB377_427 Depth=1
	v_bfe_u32 v11, v10, 16, 1
	v_add3_u32 v11, v10, v11, s12
                                        ; implicit-def: $vgpr10
; %bb.733:                              ;   in Loop: Header=BB377_427 Depth=1
	s_andn2_saveexec_b64 s[6:7], s[0:1]
; %bb.734:                              ;   in Loop: Header=BB377_427 Depth=1
	v_or_b32_e32 v11, 0x10000, v10
	v_cmp_eq_u32_sdwa s[0:1], v10, v27 src0_sel:WORD_0 src1_sel:DWORD
	s_nop 1
	v_cndmask_b32_e64 v11, v11, v10, s[0:1]
; %bb.735:                              ;   in Loop: Header=BB377_427 Depth=1
	s_or_b64 exec, exec, s[6:7]
	v_lshrrev_b32_e32 v6, 24, v6
	v_cvt_f32_fp8_sdwa v6, v6 src0_sel:BYTE_0
	s_nop 0
	v_mul_f32_e32 v10, v54, v6
	v_and_b32_e32 v6, 0x7f800000, v10
	v_cmp_ne_u32_e64 s[0:1], s9, v6
                                        ; implicit-def: $vgpr6
	s_and_saveexec_b64 s[6:7], s[0:1]
	s_xor_b64 s[0:1], exec, s[6:7]
; %bb.736:                              ;   in Loop: Header=BB377_427 Depth=1
	v_bfe_u32 v6, v10, 16, 1
	v_add3_u32 v6, v10, v6, s12
                                        ; implicit-def: $vgpr10
; %bb.737:                              ;   in Loop: Header=BB377_427 Depth=1
	s_andn2_saveexec_b64 s[6:7], s[0:1]
; %bb.738:                              ;   in Loop: Header=BB377_427 Depth=1
	v_or_b32_e32 v6, 0x10000, v10
	v_cmp_eq_u32_sdwa s[0:1], v10, v27 src0_sel:WORD_0 src1_sel:DWORD
	s_nop 1
	v_cndmask_b32_e64 v6, v6, v10, s[0:1]
; %bb.739:                              ;   in Loop: Header=BB377_427 Depth=1
	s_or_b64 exec, exec, s[6:7]
	v_and_b32_e32 v10, 0xff, v7
	v_cvt_f32_fp8_sdwa v10, v10 src0_sel:BYTE_0
	s_nop 0
	v_mul_f32_e32 v10, v54, v10
	v_and_b32_e32 v16, 0x7f800000, v10
	v_cmp_ne_u32_e64 s[0:1], s9, v16
                                        ; implicit-def: $vgpr16
	s_and_saveexec_b64 s[6:7], s[0:1]
	s_xor_b64 s[0:1], exec, s[6:7]
; %bb.740:                              ;   in Loop: Header=BB377_427 Depth=1
	v_bfe_u32 v16, v10, 16, 1
	v_add3_u32 v16, v10, v16, s12
                                        ; implicit-def: $vgpr10
; %bb.741:                              ;   in Loop: Header=BB377_427 Depth=1
	s_andn2_saveexec_b64 s[6:7], s[0:1]
; %bb.742:                              ;   in Loop: Header=BB377_427 Depth=1
	v_or_b32_e32 v16, 0x10000, v10
	v_cmp_eq_u32_sdwa s[0:1], v10, v27 src0_sel:WORD_0 src1_sel:DWORD
	s_nop 1
	v_cndmask_b32_e64 v16, v16, v10, s[0:1]
; %bb.743:                              ;   in Loop: Header=BB377_427 Depth=1
	s_or_b64 exec, exec, s[6:7]
	v_bfe_u32 v10, v7, 8, 8
	v_cvt_f32_fp8_sdwa v10, v10 src0_sel:BYTE_0
	s_nop 0
	v_mul_f32_e32 v22, v54, v10
	v_and_b32_e32 v10, 0x7f800000, v22
	v_cmp_ne_u32_e64 s[0:1], s9, v10
                                        ; implicit-def: $vgpr10
	s_and_saveexec_b64 s[6:7], s[0:1]
	s_xor_b64 s[0:1], exec, s[6:7]
; %bb.744:                              ;   in Loop: Header=BB377_427 Depth=1
	v_bfe_u32 v10, v22, 16, 1
	v_add3_u32 v10, v22, v10, s12
                                        ; implicit-def: $vgpr22
; %bb.745:                              ;   in Loop: Header=BB377_427 Depth=1
	s_andn2_saveexec_b64 s[6:7], s[0:1]
; %bb.746:                              ;   in Loop: Header=BB377_427 Depth=1
	v_or_b32_e32 v10, 0x10000, v22
	v_cmp_eq_u32_sdwa s[0:1], v22, v27 src0_sel:WORD_0 src1_sel:DWORD
	s_nop 1
	v_cndmask_b32_e64 v10, v10, v22, s[0:1]
; %bb.747:                              ;   in Loop: Header=BB377_427 Depth=1
	s_or_b64 exec, exec, s[6:7]
	v_bfe_u32 v22, v7, 16, 8
	v_cvt_f32_fp8_sdwa v22, v22 src0_sel:BYTE_0
	s_nop 0
	v_mul_f32_e32 v22, v54, v22
	v_and_b32_e32 v32, 0x7f800000, v22
	v_cmp_ne_u32_e64 s[0:1], s9, v32
                                        ; implicit-def: $vgpr32
	s_and_saveexec_b64 s[6:7], s[0:1]
	s_xor_b64 s[0:1], exec, s[6:7]
; %bb.748:                              ;   in Loop: Header=BB377_427 Depth=1
	v_bfe_u32 v32, v22, 16, 1
	v_add3_u32 v32, v22, v32, s12
                                        ; implicit-def: $vgpr22
; %bb.749:                              ;   in Loop: Header=BB377_427 Depth=1
	s_andn2_saveexec_b64 s[6:7], s[0:1]
; %bb.750:                              ;   in Loop: Header=BB377_427 Depth=1
	v_or_b32_e32 v32, 0x10000, v22
	v_cmp_eq_u32_sdwa s[0:1], v22, v27 src0_sel:WORD_0 src1_sel:DWORD
	s_nop 1
	v_cndmask_b32_e64 v32, v32, v22, s[0:1]
; %bb.751:                              ;   in Loop: Header=BB377_427 Depth=1
	s_or_b64 exec, exec, s[6:7]
	v_lshrrev_b32_e32 v7, 24, v7
	v_cvt_f32_fp8_sdwa v7, v7 src0_sel:BYTE_0
                                        ; implicit-def: $vgpr33
	s_nop 0
	v_mul_f32_e32 v7, v54, v7
	v_and_b32_e32 v22, 0x7f800000, v7
	v_cmp_ne_u32_e64 s[0:1], s9, v22
	s_and_saveexec_b64 s[6:7], s[0:1]
	s_xor_b64 s[0:1], exec, s[6:7]
; %bb.752:                              ;   in Loop: Header=BB377_427 Depth=1
	v_bfe_u32 v22, v7, 16, 1
	v_add3_u32 v33, v7, v22, s12
                                        ; implicit-def: $vgpr7
; %bb.753:                              ;   in Loop: Header=BB377_427 Depth=1
	s_andn2_saveexec_b64 s[6:7], s[0:1]
; %bb.754:                              ;   in Loop: Header=BB377_427 Depth=1
	v_or_b32_e32 v22, 0x10000, v7
	v_cmp_eq_u32_sdwa s[0:1], v7, v27 src0_sel:WORD_0 src1_sel:DWORD
	s_nop 1
	v_cndmask_b32_e64 v33, v22, v7, s[0:1]
; %bb.755:                              ;   in Loop: Header=BB377_427 Depth=1
	s_or_b64 exec, exec, s[6:7]
	v_lshrrev_b32_e32 v10, 16, v10
	v_lshrrev_b32_e32 v16, 16, v16
	;; [unrolled: 1-line block ×8, first 2 shown]
	s_and_saveexec_b64 s[6:7], vcc
	s_cbranch_execz .LBB377_757
; %bb.756:                              ;   in Loop: Header=BB377_427 Depth=1
	v_accvgpr_read_b32 v32, a29
	v_cmp_lt_i32_e64 s[0:1], v32, v49
	v_accvgpr_read_b32 v32, a35
	s_nop 0
	v_cndmask_b32_e64 v8, 0, v8, s[0:1]
	v_cmp_lt_i32_e64 s[0:1], v32, v49
	v_accvgpr_read_b32 v32, a34
	s_nop 0
	v_cndmask_b32_e64 v9, 0, v9, s[0:1]
	;; [unrolled: 4-line block ×6, first 2 shown]
	v_cmp_lt_i32_e64 s[0:1], v32, v49
	s_nop 1
	v_cndmask_b32_e64 v7, 0, v7, s[0:1]
	v_cmp_lt_i32_e64 s[0:1], v17, v49
	s_nop 1
	v_cndmask_b32_e64 v6, 0, v6, s[0:1]
.LBB377_757:                            ;   in Loop: Header=BB377_427 Depth=1
	s_or_b64 exec, exec, s[6:7]
	v_lshlrev_b32_e32 v8, 16, v8
	v_mul_f32_e32 v8, v62, v8
	v_and_b32_e32 v32, 0x7f800000, v8
	v_cmp_ne_u32_e64 s[0:1], s9, v32
                                        ; implicit-def: $agpr60
	s_and_saveexec_b64 s[6:7], s[0:1]
	s_xor_b64 s[0:1], exec, s[6:7]
; %bb.758:                              ;   in Loop: Header=BB377_427 Depth=1
	v_bfe_u32 v32, v8, 16, 1
	v_add3_u32 v8, v8, v32, s12
	v_accvgpr_write_b32 a60, v8
                                        ; implicit-def: $vgpr8
; %bb.759:                              ;   in Loop: Header=BB377_427 Depth=1
	s_andn2_saveexec_b64 s[6:7], s[0:1]
; %bb.760:                              ;   in Loop: Header=BB377_427 Depth=1
	v_or_b32_e32 v32, 0x10000, v8
	v_cmp_eq_u32_sdwa s[0:1], v8, v27 src0_sel:WORD_0 src1_sel:DWORD
	s_nop 1
	v_cndmask_b32_e64 v8, v32, v8, s[0:1]
	v_accvgpr_write_b32 a60, v8
; %bb.761:                              ;   in Loop: Header=BB377_427 Depth=1
	s_or_b64 exec, exec, s[6:7]
	v_lshlrev_b32_e32 v8, 16, v9
	v_mul_f32_e32 v8, v23, v8
	v_and_b32_e32 v9, 0x7f800000, v8
	v_cmp_ne_u32_e64 s[0:1], s9, v9
                                        ; implicit-def: $agpr61
	s_and_saveexec_b64 s[6:7], s[0:1]
	s_xor_b64 s[0:1], exec, s[6:7]
; %bb.762:                              ;   in Loop: Header=BB377_427 Depth=1
	v_bfe_u32 v9, v8, 16, 1
	v_add3_u32 v8, v8, v9, s12
	v_accvgpr_write_b32 a61, v8
                                        ; implicit-def: $vgpr8
; %bb.763:                              ;   in Loop: Header=BB377_427 Depth=1
	s_andn2_saveexec_b64 s[6:7], s[0:1]
; %bb.764:                              ;   in Loop: Header=BB377_427 Depth=1
	v_or_b32_e32 v9, 0x10000, v8
	v_cmp_eq_u32_sdwa s[0:1], v8, v27 src0_sel:WORD_0 src1_sel:DWORD
	s_nop 1
	v_cndmask_b32_e64 v8, v9, v8, s[0:1]
	v_accvgpr_write_b32 a61, v8
; %bb.765:                              ;   in Loop: Header=BB377_427 Depth=1
	s_or_b64 exec, exec, s[6:7]
	v_lshlrev_b32_e32 v8, 16, v11
	v_mul_f32_e32 v8, v51, v8
	v_and_b32_e32 v9, 0x7f800000, v8
	v_cmp_ne_u32_e64 s[0:1], s9, v9
                                        ; implicit-def: $agpr62
	s_and_saveexec_b64 s[6:7], s[0:1]
	s_xor_b64 s[0:1], exec, s[6:7]
; %bb.766:                              ;   in Loop: Header=BB377_427 Depth=1
	v_bfe_u32 v9, v8, 16, 1
	v_add3_u32 v8, v8, v9, s12
	v_accvgpr_write_b32 a62, v8
                                        ; implicit-def: $vgpr8
; %bb.767:                              ;   in Loop: Header=BB377_427 Depth=1
	s_andn2_saveexec_b64 s[6:7], s[0:1]
; %bb.768:                              ;   in Loop: Header=BB377_427 Depth=1
	v_or_b32_e32 v9, 0x10000, v8
	v_cmp_eq_u32_sdwa s[0:1], v8, v27 src0_sel:WORD_0 src1_sel:DWORD
	s_nop 1
	v_cndmask_b32_e64 v8, v9, v8, s[0:1]
	v_accvgpr_write_b32 a62, v8
; %bb.769:                              ;   in Loop: Header=BB377_427 Depth=1
	s_or_b64 exec, exec, s[6:7]
	v_lshlrev_b32_e32 v8, 16, v22
	v_mul_f32_e32 v8, v5, v8
	v_and_b32_e32 v9, 0x7f800000, v8
	v_cmp_ne_u32_e64 s[0:1], s9, v9
                                        ; implicit-def: $agpr63
	s_and_saveexec_b64 s[6:7], s[0:1]
	s_xor_b64 s[0:1], exec, s[6:7]
; %bb.770:                              ;   in Loop: Header=BB377_427 Depth=1
	v_bfe_u32 v9, v8, 16, 1
	v_add3_u32 v8, v8, v9, s12
	v_accvgpr_write_b32 a63, v8
                                        ; implicit-def: $vgpr8
; %bb.771:                              ;   in Loop: Header=BB377_427 Depth=1
	s_andn2_saveexec_b64 s[6:7], s[0:1]
; %bb.772:                              ;   in Loop: Header=BB377_427 Depth=1
	v_or_b32_e32 v9, 0x10000, v8
	v_cmp_eq_u32_sdwa s[0:1], v8, v27 src0_sel:WORD_0 src1_sel:DWORD
	s_nop 1
	v_cndmask_b32_e64 v8, v9, v8, s[0:1]
	v_accvgpr_write_b32 a63, v8
; %bb.773:                              ;   in Loop: Header=BB377_427 Depth=1
	s_or_b64 exec, exec, s[6:7]
	v_lshlrev_b32_e32 v8, 16, v16
	v_mul_f32_e32 v8, v4, v8
	v_and_b32_e32 v9, 0x7f800000, v8
	v_cmp_ne_u32_e64 s[0:1], s9, v9
                                        ; implicit-def: $agpr9
	s_and_saveexec_b64 s[6:7], s[0:1]
	s_xor_b64 s[0:1], exec, s[6:7]
; %bb.774:                              ;   in Loop: Header=BB377_427 Depth=1
	v_bfe_u32 v9, v8, 16, 1
	v_add3_u32 v8, v8, v9, s12
	v_accvgpr_write_b32 a9, v8
                                        ; implicit-def: $vgpr8
; %bb.775:                              ;   in Loop: Header=BB377_427 Depth=1
	s_andn2_saveexec_b64 s[6:7], s[0:1]
; %bb.776:                              ;   in Loop: Header=BB377_427 Depth=1
	v_or_b32_e32 v9, 0x10000, v8
	v_cmp_eq_u32_sdwa s[0:1], v8, v27 src0_sel:WORD_0 src1_sel:DWORD
	s_nop 1
	v_cndmask_b32_e64 v8, v9, v8, s[0:1]
	v_accvgpr_write_b32 a9, v8
; %bb.777:                              ;   in Loop: Header=BB377_427 Depth=1
	s_or_b64 exec, exec, s[6:7]
	v_lshlrev_b32_e32 v8, 16, v10
	v_mul_f32_e32 v8, v48, v8
	v_and_b32_e32 v9, 0x7f800000, v8
	v_cmp_ne_u32_e64 s[0:1], s9, v9
                                        ; implicit-def: $agpr10
	s_and_saveexec_b64 s[6:7], s[0:1]
	s_xor_b64 s[0:1], exec, s[6:7]
; %bb.778:                              ;   in Loop: Header=BB377_427 Depth=1
	v_bfe_u32 v9, v8, 16, 1
	v_add3_u32 v8, v8, v9, s12
	v_accvgpr_write_b32 a10, v8
                                        ; implicit-def: $vgpr8
; %bb.779:                              ;   in Loop: Header=BB377_427 Depth=1
	s_andn2_saveexec_b64 s[6:7], s[0:1]
; %bb.780:                              ;   in Loop: Header=BB377_427 Depth=1
	v_or_b32_e32 v9, 0x10000, v8
	v_cmp_eq_u32_sdwa s[0:1], v8, v27 src0_sel:WORD_0 src1_sel:DWORD
	s_nop 1
	v_cndmask_b32_e64 v8, v9, v8, s[0:1]
	v_accvgpr_write_b32 a10, v8
; %bb.781:                              ;   in Loop: Header=BB377_427 Depth=1
	s_or_b64 exec, exec, s[6:7]
	v_lshlrev_b32_e32 v7, 16, v7
	v_mul_f32_e32 v7, v52, v7
	v_and_b32_e32 v8, 0x7f800000, v7
	v_cmp_ne_u32_e64 s[0:1], s9, v8
                                        ; implicit-def: $agpr8
	s_and_saveexec_b64 s[6:7], s[0:1]
	s_xor_b64 s[0:1], exec, s[6:7]
; %bb.782:                              ;   in Loop: Header=BB377_427 Depth=1
	v_bfe_u32 v8, v7, 16, 1
	v_add3_u32 v7, v7, v8, s12
	v_accvgpr_write_b32 a8, v7
                                        ; implicit-def: $vgpr7
; %bb.783:                              ;   in Loop: Header=BB377_427 Depth=1
	s_andn2_saveexec_b64 s[6:7], s[0:1]
; %bb.784:                              ;   in Loop: Header=BB377_427 Depth=1
	v_or_b32_e32 v8, 0x10000, v7
	v_cmp_eq_u32_sdwa s[0:1], v7, v27 src0_sel:WORD_0 src1_sel:DWORD
	s_nop 1
	v_cndmask_b32_e64 v7, v8, v7, s[0:1]
	v_accvgpr_write_b32 a8, v7
; %bb.785:                              ;   in Loop: Header=BB377_427 Depth=1
	s_or_b64 exec, exec, s[6:7]
	v_lshlrev_b32_e32 v6, 16, v6
	v_mul_f32_e32 v6, v53, v6
	v_and_b32_e32 v7, 0x7f800000, v6
	v_cmp_ne_u32_e64 s[0:1], s9, v7
                                        ; implicit-def: $agpr5
	s_and_saveexec_b64 s[6:7], s[0:1]
	s_xor_b64 s[0:1], exec, s[6:7]
; %bb.786:                              ;   in Loop: Header=BB377_427 Depth=1
	v_bfe_u32 v7, v6, 16, 1
	v_add3_u32 v6, v6, v7, s12
	v_accvgpr_write_b32 a5, v6
                                        ; implicit-def: $vgpr6
; %bb.787:                              ;   in Loop: Header=BB377_427 Depth=1
	s_andn2_saveexec_b64 s[6:7], s[0:1]
; %bb.788:                              ;   in Loop: Header=BB377_427 Depth=1
	v_or_b32_e32 v7, 0x10000, v6
	v_cmp_eq_u32_sdwa s[0:1], v6, v27 src0_sel:WORD_0 src1_sel:DWORD
	s_nop 1
	v_cndmask_b32_e64 v6, v7, v6, s[0:1]
	v_accvgpr_write_b32 a5, v6
; %bb.789:                              ;   in Loop: Header=BB377_427 Depth=1
	s_or_b64 exec, exec, s[6:7]
	flat_load_dwordx2 v[6:7], v[2:3] offset:2560
	s_waitcnt vmcnt(0) lgkmcnt(0)
	v_and_b32_e32 v8, 0xff, v6
	v_cvt_f32_fp8_sdwa v8, v8 src0_sel:BYTE_0
	s_nop 0
	v_mul_f32_e32 v9, v54, v8
	v_and_b32_e32 v8, 0x7f800000, v9
	v_cmp_ne_u32_e64 s[0:1], s9, v8
                                        ; implicit-def: $vgpr8
	s_and_saveexec_b64 s[6:7], s[0:1]
	s_xor_b64 s[0:1], exec, s[6:7]
; %bb.790:                              ;   in Loop: Header=BB377_427 Depth=1
	v_bfe_u32 v8, v9, 16, 1
	v_add3_u32 v8, v9, v8, s12
                                        ; implicit-def: $vgpr9
; %bb.791:                              ;   in Loop: Header=BB377_427 Depth=1
	s_andn2_saveexec_b64 s[6:7], s[0:1]
; %bb.792:                              ;   in Loop: Header=BB377_427 Depth=1
	v_or_b32_e32 v8, 0x10000, v9
	v_cmp_eq_u32_sdwa s[0:1], v9, v27 src0_sel:WORD_0 src1_sel:DWORD
	s_nop 1
	v_cndmask_b32_e64 v8, v8, v9, s[0:1]
; %bb.793:                              ;   in Loop: Header=BB377_427 Depth=1
	s_or_b64 exec, exec, s[6:7]
	v_bfe_u32 v9, v6, 8, 8
	v_cvt_f32_fp8_sdwa v9, v9 src0_sel:BYTE_0
	s_nop 0
	v_mul_f32_e32 v10, v54, v9
	v_and_b32_e32 v9, 0x7f800000, v10
	v_cmp_ne_u32_e64 s[0:1], s9, v9
                                        ; implicit-def: $vgpr9
	s_and_saveexec_b64 s[6:7], s[0:1]
	s_xor_b64 s[0:1], exec, s[6:7]
; %bb.794:                              ;   in Loop: Header=BB377_427 Depth=1
	v_bfe_u32 v9, v10, 16, 1
	v_add3_u32 v9, v10, v9, s12
                                        ; implicit-def: $vgpr10
; %bb.795:                              ;   in Loop: Header=BB377_427 Depth=1
	s_andn2_saveexec_b64 s[6:7], s[0:1]
; %bb.796:                              ;   in Loop: Header=BB377_427 Depth=1
	v_or_b32_e32 v9, 0x10000, v10
	v_cmp_eq_u32_sdwa s[0:1], v10, v27 src0_sel:WORD_0 src1_sel:DWORD
	s_nop 1
	v_cndmask_b32_e64 v9, v9, v10, s[0:1]
; %bb.797:                              ;   in Loop: Header=BB377_427 Depth=1
	s_or_b64 exec, exec, s[6:7]
	v_bfe_u32 v10, v6, 16, 8
	v_cvt_f32_fp8_sdwa v10, v10 src0_sel:BYTE_0
	s_nop 0
	v_mul_f32_e32 v10, v54, v10
	v_and_b32_e32 v11, 0x7f800000, v10
	v_cmp_ne_u32_e64 s[0:1], s9, v11
                                        ; implicit-def: $vgpr11
	s_and_saveexec_b64 s[6:7], s[0:1]
	s_xor_b64 s[0:1], exec, s[6:7]
; %bb.798:                              ;   in Loop: Header=BB377_427 Depth=1
	v_bfe_u32 v11, v10, 16, 1
	v_add3_u32 v11, v10, v11, s12
                                        ; implicit-def: $vgpr10
; %bb.799:                              ;   in Loop: Header=BB377_427 Depth=1
	s_andn2_saveexec_b64 s[6:7], s[0:1]
; %bb.800:                              ;   in Loop: Header=BB377_427 Depth=1
	v_or_b32_e32 v11, 0x10000, v10
	v_cmp_eq_u32_sdwa s[0:1], v10, v27 src0_sel:WORD_0 src1_sel:DWORD
	s_nop 1
	v_cndmask_b32_e64 v11, v11, v10, s[0:1]
; %bb.801:                              ;   in Loop: Header=BB377_427 Depth=1
	s_or_b64 exec, exec, s[6:7]
	v_lshrrev_b32_e32 v6, 24, v6
	v_cvt_f32_fp8_sdwa v6, v6 src0_sel:BYTE_0
	s_nop 0
	v_mul_f32_e32 v10, v54, v6
	v_and_b32_e32 v6, 0x7f800000, v10
	v_cmp_ne_u32_e64 s[0:1], s9, v6
                                        ; implicit-def: $vgpr6
	s_and_saveexec_b64 s[6:7], s[0:1]
	s_xor_b64 s[0:1], exec, s[6:7]
; %bb.802:                              ;   in Loop: Header=BB377_427 Depth=1
	v_bfe_u32 v6, v10, 16, 1
	v_add3_u32 v6, v10, v6, s12
                                        ; implicit-def: $vgpr10
; %bb.803:                              ;   in Loop: Header=BB377_427 Depth=1
	s_andn2_saveexec_b64 s[6:7], s[0:1]
; %bb.804:                              ;   in Loop: Header=BB377_427 Depth=1
	v_or_b32_e32 v6, 0x10000, v10
	v_cmp_eq_u32_sdwa s[0:1], v10, v27 src0_sel:WORD_0 src1_sel:DWORD
	s_nop 1
	v_cndmask_b32_e64 v6, v6, v10, s[0:1]
; %bb.805:                              ;   in Loop: Header=BB377_427 Depth=1
	s_or_b64 exec, exec, s[6:7]
	v_and_b32_e32 v10, 0xff, v7
	v_cvt_f32_fp8_sdwa v10, v10 src0_sel:BYTE_0
	s_nop 0
	v_mul_f32_e32 v10, v54, v10
	v_and_b32_e32 v16, 0x7f800000, v10
	v_cmp_ne_u32_e64 s[0:1], s9, v16
                                        ; implicit-def: $vgpr16
	s_and_saveexec_b64 s[6:7], s[0:1]
	s_xor_b64 s[0:1], exec, s[6:7]
; %bb.806:                              ;   in Loop: Header=BB377_427 Depth=1
	v_bfe_u32 v16, v10, 16, 1
	v_add3_u32 v16, v10, v16, s12
                                        ; implicit-def: $vgpr10
; %bb.807:                              ;   in Loop: Header=BB377_427 Depth=1
	s_andn2_saveexec_b64 s[6:7], s[0:1]
; %bb.808:                              ;   in Loop: Header=BB377_427 Depth=1
	v_or_b32_e32 v16, 0x10000, v10
	v_cmp_eq_u32_sdwa s[0:1], v10, v27 src0_sel:WORD_0 src1_sel:DWORD
	s_nop 1
	v_cndmask_b32_e64 v16, v16, v10, s[0:1]
; %bb.809:                              ;   in Loop: Header=BB377_427 Depth=1
	s_or_b64 exec, exec, s[6:7]
	v_bfe_u32 v10, v7, 8, 8
	v_cvt_f32_fp8_sdwa v10, v10 src0_sel:BYTE_0
	s_nop 0
	v_mul_f32_e32 v22, v54, v10
	v_and_b32_e32 v10, 0x7f800000, v22
	v_cmp_ne_u32_e64 s[0:1], s9, v10
                                        ; implicit-def: $vgpr10
	s_and_saveexec_b64 s[6:7], s[0:1]
	s_xor_b64 s[0:1], exec, s[6:7]
; %bb.810:                              ;   in Loop: Header=BB377_427 Depth=1
	v_bfe_u32 v10, v22, 16, 1
	v_add3_u32 v10, v22, v10, s12
                                        ; implicit-def: $vgpr22
; %bb.811:                              ;   in Loop: Header=BB377_427 Depth=1
	s_andn2_saveexec_b64 s[6:7], s[0:1]
; %bb.812:                              ;   in Loop: Header=BB377_427 Depth=1
	v_or_b32_e32 v10, 0x10000, v22
	v_cmp_eq_u32_sdwa s[0:1], v22, v27 src0_sel:WORD_0 src1_sel:DWORD
	s_nop 1
	v_cndmask_b32_e64 v10, v10, v22, s[0:1]
; %bb.813:                              ;   in Loop: Header=BB377_427 Depth=1
	s_or_b64 exec, exec, s[6:7]
	v_bfe_u32 v22, v7, 16, 8
	v_cvt_f32_fp8_sdwa v22, v22 src0_sel:BYTE_0
	s_nop 0
	v_mul_f32_e32 v22, v54, v22
	v_and_b32_e32 v32, 0x7f800000, v22
	v_cmp_ne_u32_e64 s[0:1], s9, v32
                                        ; implicit-def: $vgpr32
	s_and_saveexec_b64 s[6:7], s[0:1]
	s_xor_b64 s[0:1], exec, s[6:7]
; %bb.814:                              ;   in Loop: Header=BB377_427 Depth=1
	v_bfe_u32 v32, v22, 16, 1
	v_add3_u32 v32, v22, v32, s12
                                        ; implicit-def: $vgpr22
; %bb.815:                              ;   in Loop: Header=BB377_427 Depth=1
	s_andn2_saveexec_b64 s[6:7], s[0:1]
; %bb.816:                              ;   in Loop: Header=BB377_427 Depth=1
	v_or_b32_e32 v32, 0x10000, v22
	v_cmp_eq_u32_sdwa s[0:1], v22, v27 src0_sel:WORD_0 src1_sel:DWORD
	s_nop 1
	v_cndmask_b32_e64 v32, v32, v22, s[0:1]
; %bb.817:                              ;   in Loop: Header=BB377_427 Depth=1
	s_or_b64 exec, exec, s[6:7]
	v_lshrrev_b32_e32 v7, 24, v7
	v_cvt_f32_fp8_sdwa v7, v7 src0_sel:BYTE_0
                                        ; implicit-def: $vgpr33
	s_nop 0
	v_mul_f32_e32 v7, v54, v7
	v_and_b32_e32 v22, 0x7f800000, v7
	v_cmp_ne_u32_e64 s[0:1], s9, v22
	s_and_saveexec_b64 s[6:7], s[0:1]
	s_xor_b64 s[0:1], exec, s[6:7]
; %bb.818:                              ;   in Loop: Header=BB377_427 Depth=1
	v_bfe_u32 v22, v7, 16, 1
	v_add3_u32 v33, v7, v22, s12
                                        ; implicit-def: $vgpr7
; %bb.819:                              ;   in Loop: Header=BB377_427 Depth=1
	s_andn2_saveexec_b64 s[6:7], s[0:1]
; %bb.820:                              ;   in Loop: Header=BB377_427 Depth=1
	v_or_b32_e32 v22, 0x10000, v7
	v_cmp_eq_u32_sdwa s[0:1], v7, v27 src0_sel:WORD_0 src1_sel:DWORD
	s_nop 1
	v_cndmask_b32_e64 v33, v22, v7, s[0:1]
; %bb.821:                              ;   in Loop: Header=BB377_427 Depth=1
	s_or_b64 exec, exec, s[6:7]
	v_lshrrev_b32_e32 v10, 16, v10
	v_lshrrev_b32_e32 v16, 16, v16
	v_lshrrev_b32_e32 v22, 16, v6
	v_lshrrev_b32_e32 v11, 16, v11
	v_lshrrev_b32_e32 v9, 16, v9
	v_lshrrev_b32_e32 v8, 16, v8
	v_lshrrev_b32_e32 v7, 16, v32
	v_lshrrev_b32_e32 v6, 16, v33
	s_and_saveexec_b64 s[6:7], vcc
	s_cbranch_execz .LBB377_823
; %bb.822:                              ;   in Loop: Header=BB377_427 Depth=1
	v_accvgpr_read_b32 v32, a29
	v_cmp_lt_i32_e64 s[0:1], v32, v49
	v_accvgpr_read_b32 v32, a35
	s_nop 0
	v_cndmask_b32_e64 v8, 0, v8, s[0:1]
	v_cmp_lt_i32_e64 s[0:1], v32, v49
	v_accvgpr_read_b32 v32, a34
	s_nop 0
	v_cndmask_b32_e64 v9, 0, v9, s[0:1]
	;; [unrolled: 4-line block ×6, first 2 shown]
	v_cmp_lt_i32_e64 s[0:1], v32, v49
	s_nop 1
	v_cndmask_b32_e64 v7, 0, v7, s[0:1]
	v_cmp_lt_i32_e64 s[0:1], v17, v49
	s_nop 1
	v_cndmask_b32_e64 v6, 0, v6, s[0:1]
.LBB377_823:                            ;   in Loop: Header=BB377_427 Depth=1
	s_or_b64 exec, exec, s[6:7]
	v_lshlrev_b32_e32 v8, 16, v8
	v_mul_f32_e32 v8, v62, v8
	v_and_b32_e32 v32, 0x7f800000, v8
	v_cmp_ne_u32_e64 s[0:1], s9, v32
                                        ; implicit-def: $agpr2
	s_and_saveexec_b64 s[6:7], s[0:1]
	s_xor_b64 s[0:1], exec, s[6:7]
; %bb.824:                              ;   in Loop: Header=BB377_427 Depth=1
	v_bfe_u32 v32, v8, 16, 1
	v_add3_u32 v8, v8, v32, s12
	v_accvgpr_write_b32 a2, v8
                                        ; implicit-def: $vgpr8
; %bb.825:                              ;   in Loop: Header=BB377_427 Depth=1
	s_andn2_saveexec_b64 s[6:7], s[0:1]
; %bb.826:                              ;   in Loop: Header=BB377_427 Depth=1
	v_or_b32_e32 v32, 0x10000, v8
	v_cmp_eq_u32_sdwa s[0:1], v8, v27 src0_sel:WORD_0 src1_sel:DWORD
	s_nop 1
	v_cndmask_b32_e64 v8, v32, v8, s[0:1]
	v_accvgpr_write_b32 a2, v8
; %bb.827:                              ;   in Loop: Header=BB377_427 Depth=1
	s_or_b64 exec, exec, s[6:7]
	v_lshlrev_b32_e32 v8, 16, v9
	v_mul_f32_e32 v8, v23, v8
	v_and_b32_e32 v9, 0x7f800000, v8
	v_cmp_ne_u32_e64 s[0:1], s9, v9
                                        ; implicit-def: $agpr0
	s_and_saveexec_b64 s[6:7], s[0:1]
	s_xor_b64 s[0:1], exec, s[6:7]
; %bb.828:                              ;   in Loop: Header=BB377_427 Depth=1
	v_bfe_u32 v9, v8, 16, 1
	v_add3_u32 v8, v8, v9, s12
	v_accvgpr_write_b32 a0, v8
                                        ; implicit-def: $vgpr8
; %bb.829:                              ;   in Loop: Header=BB377_427 Depth=1
	s_andn2_saveexec_b64 s[6:7], s[0:1]
; %bb.830:                              ;   in Loop: Header=BB377_427 Depth=1
	v_or_b32_e32 v9, 0x10000, v8
	v_cmp_eq_u32_sdwa s[0:1], v8, v27 src0_sel:WORD_0 src1_sel:DWORD
	s_nop 1
	v_cndmask_b32_e64 v8, v9, v8, s[0:1]
	v_accvgpr_write_b32 a0, v8
; %bb.831:                              ;   in Loop: Header=BB377_427 Depth=1
	s_or_b64 exec, exec, s[6:7]
	v_lshlrev_b32_e32 v8, 16, v11
	v_mul_f32_e32 v8, v51, v8
	v_and_b32_e32 v9, 0x7f800000, v8
	v_cmp_ne_u32_e64 s[0:1], s9, v9
                                        ; implicit-def: $agpr1
	s_and_saveexec_b64 s[6:7], s[0:1]
	s_xor_b64 s[0:1], exec, s[6:7]
; %bb.832:                              ;   in Loop: Header=BB377_427 Depth=1
	v_bfe_u32 v9, v8, 16, 1
	v_add3_u32 v8, v8, v9, s12
	v_accvgpr_write_b32 a1, v8
                                        ; implicit-def: $vgpr8
; %bb.833:                              ;   in Loop: Header=BB377_427 Depth=1
	s_andn2_saveexec_b64 s[6:7], s[0:1]
; %bb.834:                              ;   in Loop: Header=BB377_427 Depth=1
	v_or_b32_e32 v9, 0x10000, v8
	v_cmp_eq_u32_sdwa s[0:1], v8, v27 src0_sel:WORD_0 src1_sel:DWORD
	s_nop 1
	v_cndmask_b32_e64 v8, v9, v8, s[0:1]
	v_accvgpr_write_b32 a1, v8
; %bb.835:                              ;   in Loop: Header=BB377_427 Depth=1
	s_or_b64 exec, exec, s[6:7]
	v_lshlrev_b32_e32 v8, 16, v22
	v_mul_f32_e32 v8, v5, v8
	v_and_b32_e32 v9, 0x7f800000, v8
	v_cmp_ne_u32_e64 s[0:1], s9, v9
                                        ; implicit-def: $agpr3
	s_and_saveexec_b64 s[6:7], s[0:1]
	s_xor_b64 s[0:1], exec, s[6:7]
; %bb.836:                              ;   in Loop: Header=BB377_427 Depth=1
	v_bfe_u32 v9, v8, 16, 1
	v_add3_u32 v8, v8, v9, s12
	v_accvgpr_write_b32 a3, v8
                                        ; implicit-def: $vgpr8
; %bb.837:                              ;   in Loop: Header=BB377_427 Depth=1
	s_andn2_saveexec_b64 s[6:7], s[0:1]
; %bb.838:                              ;   in Loop: Header=BB377_427 Depth=1
	v_or_b32_e32 v9, 0x10000, v8
	v_cmp_eq_u32_sdwa s[0:1], v8, v27 src0_sel:WORD_0 src1_sel:DWORD
	s_nop 1
	v_cndmask_b32_e64 v8, v9, v8, s[0:1]
	v_accvgpr_write_b32 a3, v8
; %bb.839:                              ;   in Loop: Header=BB377_427 Depth=1
	s_or_b64 exec, exec, s[6:7]
	v_lshlrev_b32_e32 v8, 16, v16
	v_mul_f32_e32 v8, v4, v8
	v_and_b32_e32 v9, 0x7f800000, v8
	v_cmp_ne_u32_e64 s[0:1], s9, v9
                                        ; implicit-def: $agpr11
	s_and_saveexec_b64 s[6:7], s[0:1]
	s_xor_b64 s[0:1], exec, s[6:7]
; %bb.840:                              ;   in Loop: Header=BB377_427 Depth=1
	v_bfe_u32 v9, v8, 16, 1
	v_add3_u32 v8, v8, v9, s12
	v_accvgpr_write_b32 a11, v8
                                        ; implicit-def: $vgpr8
; %bb.841:                              ;   in Loop: Header=BB377_427 Depth=1
	s_andn2_saveexec_b64 s[6:7], s[0:1]
; %bb.842:                              ;   in Loop: Header=BB377_427 Depth=1
	v_or_b32_e32 v9, 0x10000, v8
	v_cmp_eq_u32_sdwa s[0:1], v8, v27 src0_sel:WORD_0 src1_sel:DWORD
	s_nop 1
	v_cndmask_b32_e64 v8, v9, v8, s[0:1]
	v_accvgpr_write_b32 a11, v8
; %bb.843:                              ;   in Loop: Header=BB377_427 Depth=1
	s_or_b64 exec, exec, s[6:7]
	v_lshlrev_b32_e32 v8, 16, v10
	v_mul_f32_e32 v8, v48, v8
	v_and_b32_e32 v9, 0x7f800000, v8
	v_cmp_ne_u32_e64 s[0:1], s9, v9
                                        ; implicit-def: $agpr12
	s_and_saveexec_b64 s[6:7], s[0:1]
	s_xor_b64 s[0:1], exec, s[6:7]
; %bb.844:                              ;   in Loop: Header=BB377_427 Depth=1
	v_bfe_u32 v9, v8, 16, 1
	v_add3_u32 v8, v8, v9, s12
	v_accvgpr_write_b32 a12, v8
                                        ; implicit-def: $vgpr8
; %bb.845:                              ;   in Loop: Header=BB377_427 Depth=1
	s_andn2_saveexec_b64 s[6:7], s[0:1]
; %bb.846:                              ;   in Loop: Header=BB377_427 Depth=1
	v_or_b32_e32 v9, 0x10000, v8
	v_cmp_eq_u32_sdwa s[0:1], v8, v27 src0_sel:WORD_0 src1_sel:DWORD
	s_nop 1
	v_cndmask_b32_e64 v8, v9, v8, s[0:1]
	v_accvgpr_write_b32 a12, v8
; %bb.847:                              ;   in Loop: Header=BB377_427 Depth=1
	s_or_b64 exec, exec, s[6:7]
	v_lshlrev_b32_e32 v7, 16, v7
	v_mul_f32_e32 v7, v52, v7
	v_and_b32_e32 v8, 0x7f800000, v7
	v_cmp_ne_u32_e64 s[0:1], s9, v8
                                        ; implicit-def: $agpr13
	s_and_saveexec_b64 s[6:7], s[0:1]
	s_xor_b64 s[0:1], exec, s[6:7]
; %bb.848:                              ;   in Loop: Header=BB377_427 Depth=1
	v_bfe_u32 v8, v7, 16, 1
	v_add3_u32 v7, v7, v8, s12
	v_accvgpr_write_b32 a13, v7
                                        ; implicit-def: $vgpr7
; %bb.849:                              ;   in Loop: Header=BB377_427 Depth=1
	s_andn2_saveexec_b64 s[6:7], s[0:1]
; %bb.850:                              ;   in Loop: Header=BB377_427 Depth=1
	v_or_b32_e32 v8, 0x10000, v7
	v_cmp_eq_u32_sdwa s[0:1], v7, v27 src0_sel:WORD_0 src1_sel:DWORD
	s_nop 1
	v_cndmask_b32_e64 v7, v8, v7, s[0:1]
	v_accvgpr_write_b32 a13, v7
; %bb.851:                              ;   in Loop: Header=BB377_427 Depth=1
	s_or_b64 exec, exec, s[6:7]
	v_lshlrev_b32_e32 v6, 16, v6
	v_mul_f32_e32 v6, v53, v6
	v_and_b32_e32 v7, 0x7f800000, v6
	v_cmp_ne_u32_e64 s[0:1], s9, v7
                                        ; implicit-def: $agpr14
	s_and_saveexec_b64 s[6:7], s[0:1]
	s_xor_b64 s[0:1], exec, s[6:7]
; %bb.852:                              ;   in Loop: Header=BB377_427 Depth=1
	v_bfe_u32 v7, v6, 16, 1
	v_add3_u32 v6, v6, v7, s12
	v_accvgpr_write_b32 a14, v6
                                        ; implicit-def: $vgpr6
; %bb.853:                              ;   in Loop: Header=BB377_427 Depth=1
	s_andn2_saveexec_b64 s[6:7], s[0:1]
; %bb.854:                              ;   in Loop: Header=BB377_427 Depth=1
	v_or_b32_e32 v7, 0x10000, v6
	v_cmp_eq_u32_sdwa s[0:1], v6, v27 src0_sel:WORD_0 src1_sel:DWORD
	s_nop 1
	v_cndmask_b32_e64 v6, v7, v6, s[0:1]
	v_accvgpr_write_b32 a14, v6
; %bb.855:                              ;   in Loop: Header=BB377_427 Depth=1
	s_or_b64 exec, exec, s[6:7]
	flat_load_dwordx2 v[6:7], v[2:3] offset:3072
	s_waitcnt vmcnt(0) lgkmcnt(0)
	v_and_b32_e32 v8, 0xff, v6
	v_cvt_f32_fp8_sdwa v8, v8 src0_sel:BYTE_0
	s_nop 0
	v_mul_f32_e32 v9, v54, v8
	v_and_b32_e32 v8, 0x7f800000, v9
	v_cmp_ne_u32_e64 s[0:1], s9, v8
                                        ; implicit-def: $vgpr8
	s_and_saveexec_b64 s[6:7], s[0:1]
	s_xor_b64 s[0:1], exec, s[6:7]
; %bb.856:                              ;   in Loop: Header=BB377_427 Depth=1
	v_bfe_u32 v8, v9, 16, 1
	v_add3_u32 v8, v9, v8, s12
                                        ; implicit-def: $vgpr9
; %bb.857:                              ;   in Loop: Header=BB377_427 Depth=1
	s_andn2_saveexec_b64 s[6:7], s[0:1]
; %bb.858:                              ;   in Loop: Header=BB377_427 Depth=1
	v_or_b32_e32 v8, 0x10000, v9
	v_cmp_eq_u32_sdwa s[0:1], v9, v27 src0_sel:WORD_0 src1_sel:DWORD
	s_nop 1
	v_cndmask_b32_e64 v8, v8, v9, s[0:1]
; %bb.859:                              ;   in Loop: Header=BB377_427 Depth=1
	s_or_b64 exec, exec, s[6:7]
	v_bfe_u32 v9, v6, 8, 8
	v_cvt_f32_fp8_sdwa v9, v9 src0_sel:BYTE_0
	s_nop 0
	v_mul_f32_e32 v10, v54, v9
	v_and_b32_e32 v9, 0x7f800000, v10
	v_cmp_ne_u32_e64 s[0:1], s9, v9
                                        ; implicit-def: $vgpr9
	s_and_saveexec_b64 s[6:7], s[0:1]
	s_xor_b64 s[0:1], exec, s[6:7]
; %bb.860:                              ;   in Loop: Header=BB377_427 Depth=1
	v_bfe_u32 v9, v10, 16, 1
	v_add3_u32 v9, v10, v9, s12
                                        ; implicit-def: $vgpr10
; %bb.861:                              ;   in Loop: Header=BB377_427 Depth=1
	s_andn2_saveexec_b64 s[6:7], s[0:1]
; %bb.862:                              ;   in Loop: Header=BB377_427 Depth=1
	v_or_b32_e32 v9, 0x10000, v10
	v_cmp_eq_u32_sdwa s[0:1], v10, v27 src0_sel:WORD_0 src1_sel:DWORD
	s_nop 1
	v_cndmask_b32_e64 v9, v9, v10, s[0:1]
; %bb.863:                              ;   in Loop: Header=BB377_427 Depth=1
	s_or_b64 exec, exec, s[6:7]
	v_bfe_u32 v10, v6, 16, 8
	v_cvt_f32_fp8_sdwa v10, v10 src0_sel:BYTE_0
	s_nop 0
	v_mul_f32_e32 v10, v54, v10
	v_and_b32_e32 v11, 0x7f800000, v10
	v_cmp_ne_u32_e64 s[0:1], s9, v11
                                        ; implicit-def: $vgpr11
	s_and_saveexec_b64 s[6:7], s[0:1]
	s_xor_b64 s[0:1], exec, s[6:7]
; %bb.864:                              ;   in Loop: Header=BB377_427 Depth=1
	v_bfe_u32 v11, v10, 16, 1
	v_add3_u32 v11, v10, v11, s12
                                        ; implicit-def: $vgpr10
; %bb.865:                              ;   in Loop: Header=BB377_427 Depth=1
	s_andn2_saveexec_b64 s[6:7], s[0:1]
; %bb.866:                              ;   in Loop: Header=BB377_427 Depth=1
	v_or_b32_e32 v11, 0x10000, v10
	v_cmp_eq_u32_sdwa s[0:1], v10, v27 src0_sel:WORD_0 src1_sel:DWORD
	s_nop 1
	v_cndmask_b32_e64 v11, v11, v10, s[0:1]
; %bb.867:                              ;   in Loop: Header=BB377_427 Depth=1
	s_or_b64 exec, exec, s[6:7]
	v_lshrrev_b32_e32 v6, 24, v6
	v_cvt_f32_fp8_sdwa v6, v6 src0_sel:BYTE_0
	s_nop 0
	v_mul_f32_e32 v10, v54, v6
	v_and_b32_e32 v6, 0x7f800000, v10
	v_cmp_ne_u32_e64 s[0:1], s9, v6
                                        ; implicit-def: $vgpr6
	s_and_saveexec_b64 s[6:7], s[0:1]
	s_xor_b64 s[0:1], exec, s[6:7]
; %bb.868:                              ;   in Loop: Header=BB377_427 Depth=1
	v_bfe_u32 v6, v10, 16, 1
	v_add3_u32 v6, v10, v6, s12
                                        ; implicit-def: $vgpr10
; %bb.869:                              ;   in Loop: Header=BB377_427 Depth=1
	s_andn2_saveexec_b64 s[6:7], s[0:1]
; %bb.870:                              ;   in Loop: Header=BB377_427 Depth=1
	v_or_b32_e32 v6, 0x10000, v10
	v_cmp_eq_u32_sdwa s[0:1], v10, v27 src0_sel:WORD_0 src1_sel:DWORD
	s_nop 1
	v_cndmask_b32_e64 v6, v6, v10, s[0:1]
; %bb.871:                              ;   in Loop: Header=BB377_427 Depth=1
	s_or_b64 exec, exec, s[6:7]
	v_and_b32_e32 v10, 0xff, v7
	v_cvt_f32_fp8_sdwa v10, v10 src0_sel:BYTE_0
	s_nop 0
	v_mul_f32_e32 v10, v54, v10
	v_and_b32_e32 v16, 0x7f800000, v10
	v_cmp_ne_u32_e64 s[0:1], s9, v16
                                        ; implicit-def: $vgpr16
	s_and_saveexec_b64 s[6:7], s[0:1]
	s_xor_b64 s[0:1], exec, s[6:7]
; %bb.872:                              ;   in Loop: Header=BB377_427 Depth=1
	v_bfe_u32 v16, v10, 16, 1
	v_add3_u32 v16, v10, v16, s12
                                        ; implicit-def: $vgpr10
; %bb.873:                              ;   in Loop: Header=BB377_427 Depth=1
	s_andn2_saveexec_b64 s[6:7], s[0:1]
; %bb.874:                              ;   in Loop: Header=BB377_427 Depth=1
	v_or_b32_e32 v16, 0x10000, v10
	v_cmp_eq_u32_sdwa s[0:1], v10, v27 src0_sel:WORD_0 src1_sel:DWORD
	s_nop 1
	v_cndmask_b32_e64 v16, v16, v10, s[0:1]
; %bb.875:                              ;   in Loop: Header=BB377_427 Depth=1
	s_or_b64 exec, exec, s[6:7]
	v_bfe_u32 v10, v7, 8, 8
	v_cvt_f32_fp8_sdwa v10, v10 src0_sel:BYTE_0
	s_nop 0
	v_mul_f32_e32 v22, v54, v10
	v_and_b32_e32 v10, 0x7f800000, v22
	v_cmp_ne_u32_e64 s[0:1], s9, v10
                                        ; implicit-def: $vgpr10
	s_and_saveexec_b64 s[6:7], s[0:1]
	s_xor_b64 s[0:1], exec, s[6:7]
; %bb.876:                              ;   in Loop: Header=BB377_427 Depth=1
	v_bfe_u32 v10, v22, 16, 1
	v_add3_u32 v10, v22, v10, s12
                                        ; implicit-def: $vgpr22
; %bb.877:                              ;   in Loop: Header=BB377_427 Depth=1
	s_andn2_saveexec_b64 s[6:7], s[0:1]
; %bb.878:                              ;   in Loop: Header=BB377_427 Depth=1
	v_or_b32_e32 v10, 0x10000, v22
	v_cmp_eq_u32_sdwa s[0:1], v22, v27 src0_sel:WORD_0 src1_sel:DWORD
	s_nop 1
	v_cndmask_b32_e64 v10, v10, v22, s[0:1]
; %bb.879:                              ;   in Loop: Header=BB377_427 Depth=1
	s_or_b64 exec, exec, s[6:7]
	v_bfe_u32 v22, v7, 16, 8
	v_cvt_f32_fp8_sdwa v22, v22 src0_sel:BYTE_0
	s_nop 0
	v_mul_f32_e32 v22, v54, v22
	v_and_b32_e32 v32, 0x7f800000, v22
	v_cmp_ne_u32_e64 s[0:1], s9, v32
                                        ; implicit-def: $vgpr32
	s_and_saveexec_b64 s[6:7], s[0:1]
	s_xor_b64 s[0:1], exec, s[6:7]
; %bb.880:                              ;   in Loop: Header=BB377_427 Depth=1
	v_bfe_u32 v32, v22, 16, 1
	v_add3_u32 v32, v22, v32, s12
                                        ; implicit-def: $vgpr22
; %bb.881:                              ;   in Loop: Header=BB377_427 Depth=1
	s_andn2_saveexec_b64 s[6:7], s[0:1]
; %bb.882:                              ;   in Loop: Header=BB377_427 Depth=1
	v_or_b32_e32 v32, 0x10000, v22
	v_cmp_eq_u32_sdwa s[0:1], v22, v27 src0_sel:WORD_0 src1_sel:DWORD
	s_nop 1
	v_cndmask_b32_e64 v32, v32, v22, s[0:1]
; %bb.883:                              ;   in Loop: Header=BB377_427 Depth=1
	s_or_b64 exec, exec, s[6:7]
	v_lshrrev_b32_e32 v7, 24, v7
	v_cvt_f32_fp8_sdwa v7, v7 src0_sel:BYTE_0
                                        ; implicit-def: $vgpr33
	s_nop 0
	v_mul_f32_e32 v7, v54, v7
	v_and_b32_e32 v22, 0x7f800000, v7
	v_cmp_ne_u32_e64 s[0:1], s9, v22
	s_and_saveexec_b64 s[6:7], s[0:1]
	s_xor_b64 s[0:1], exec, s[6:7]
; %bb.884:                              ;   in Loop: Header=BB377_427 Depth=1
	v_bfe_u32 v22, v7, 16, 1
	v_add3_u32 v33, v7, v22, s12
                                        ; implicit-def: $vgpr7
; %bb.885:                              ;   in Loop: Header=BB377_427 Depth=1
	s_andn2_saveexec_b64 s[6:7], s[0:1]
; %bb.886:                              ;   in Loop: Header=BB377_427 Depth=1
	v_or_b32_e32 v22, 0x10000, v7
	v_cmp_eq_u32_sdwa s[0:1], v7, v27 src0_sel:WORD_0 src1_sel:DWORD
	s_nop 1
	v_cndmask_b32_e64 v33, v22, v7, s[0:1]
; %bb.887:                              ;   in Loop: Header=BB377_427 Depth=1
	s_or_b64 exec, exec, s[6:7]
	v_lshrrev_b32_e32 v10, 16, v10
	v_lshrrev_b32_e32 v16, 16, v16
	v_lshrrev_b32_e32 v22, 16, v6
	v_lshrrev_b32_e32 v11, 16, v11
	v_lshrrev_b32_e32 v9, 16, v9
	v_lshrrev_b32_e32 v8, 16, v8
	v_lshrrev_b32_e32 v7, 16, v32
	v_lshrrev_b32_e32 v6, 16, v33
	s_and_saveexec_b64 s[6:7], vcc
	s_cbranch_execz .LBB377_889
; %bb.888:                              ;   in Loop: Header=BB377_427 Depth=1
	v_accvgpr_read_b32 v32, a29
	v_cmp_lt_i32_e64 s[0:1], v32, v49
	v_accvgpr_read_b32 v32, a35
	s_nop 0
	v_cndmask_b32_e64 v8, 0, v8, s[0:1]
	v_cmp_lt_i32_e64 s[0:1], v32, v49
	v_accvgpr_read_b32 v32, a34
	s_nop 0
	v_cndmask_b32_e64 v9, 0, v9, s[0:1]
	;; [unrolled: 4-line block ×6, first 2 shown]
	v_cmp_lt_i32_e64 s[0:1], v32, v49
	s_nop 1
	v_cndmask_b32_e64 v7, 0, v7, s[0:1]
	v_cmp_lt_i32_e64 s[0:1], v17, v49
	s_nop 1
	v_cndmask_b32_e64 v6, 0, v6, s[0:1]
.LBB377_889:                            ;   in Loop: Header=BB377_427 Depth=1
	s_or_b64 exec, exec, s[6:7]
	v_lshlrev_b32_e32 v8, 16, v8
	v_mul_f32_e32 v8, v62, v8
	v_and_b32_e32 v32, 0x7f800000, v8
	v_cmp_ne_u32_e64 s[0:1], s9, v32
                                        ; implicit-def: $agpr15
	s_and_saveexec_b64 s[6:7], s[0:1]
	s_xor_b64 s[0:1], exec, s[6:7]
; %bb.890:                              ;   in Loop: Header=BB377_427 Depth=1
	v_bfe_u32 v32, v8, 16, 1
	v_add3_u32 v8, v8, v32, s12
	v_accvgpr_write_b32 a15, v8
                                        ; implicit-def: $vgpr8
; %bb.891:                              ;   in Loop: Header=BB377_427 Depth=1
	s_andn2_saveexec_b64 s[6:7], s[0:1]
; %bb.892:                              ;   in Loop: Header=BB377_427 Depth=1
	v_or_b32_e32 v32, 0x10000, v8
	v_cmp_eq_u32_sdwa s[0:1], v8, v27 src0_sel:WORD_0 src1_sel:DWORD
	s_nop 1
	v_cndmask_b32_e64 v8, v32, v8, s[0:1]
	v_accvgpr_write_b32 a15, v8
; %bb.893:                              ;   in Loop: Header=BB377_427 Depth=1
	s_or_b64 exec, exec, s[6:7]
	v_lshlrev_b32_e32 v8, 16, v9
	v_mul_f32_e32 v8, v23, v8
	v_and_b32_e32 v9, 0x7f800000, v8
	v_cmp_ne_u32_e64 s[0:1], s9, v9
                                        ; implicit-def: $agpr16
	s_and_saveexec_b64 s[6:7], s[0:1]
	s_xor_b64 s[0:1], exec, s[6:7]
; %bb.894:                              ;   in Loop: Header=BB377_427 Depth=1
	v_bfe_u32 v9, v8, 16, 1
	v_add3_u32 v8, v8, v9, s12
	v_accvgpr_write_b32 a16, v8
                                        ; implicit-def: $vgpr8
; %bb.895:                              ;   in Loop: Header=BB377_427 Depth=1
	s_andn2_saveexec_b64 s[6:7], s[0:1]
; %bb.896:                              ;   in Loop: Header=BB377_427 Depth=1
	v_or_b32_e32 v9, 0x10000, v8
	v_cmp_eq_u32_sdwa s[0:1], v8, v27 src0_sel:WORD_0 src1_sel:DWORD
	s_nop 1
	v_cndmask_b32_e64 v8, v9, v8, s[0:1]
	v_accvgpr_write_b32 a16, v8
; %bb.897:                              ;   in Loop: Header=BB377_427 Depth=1
	s_or_b64 exec, exec, s[6:7]
	v_lshlrev_b32_e32 v8, 16, v11
	v_mul_f32_e32 v8, v51, v8
	v_and_b32_e32 v9, 0x7f800000, v8
	v_cmp_ne_u32_e64 s[0:1], s9, v9
                                        ; implicit-def: $agpr17
	s_and_saveexec_b64 s[6:7], s[0:1]
	s_xor_b64 s[0:1], exec, s[6:7]
; %bb.898:                              ;   in Loop: Header=BB377_427 Depth=1
	v_bfe_u32 v9, v8, 16, 1
	v_add3_u32 v8, v8, v9, s12
	v_accvgpr_write_b32 a17, v8
                                        ; implicit-def: $vgpr8
; %bb.899:                              ;   in Loop: Header=BB377_427 Depth=1
	s_andn2_saveexec_b64 s[6:7], s[0:1]
; %bb.900:                              ;   in Loop: Header=BB377_427 Depth=1
	v_or_b32_e32 v9, 0x10000, v8
	v_cmp_eq_u32_sdwa s[0:1], v8, v27 src0_sel:WORD_0 src1_sel:DWORD
	s_nop 1
	v_cndmask_b32_e64 v8, v9, v8, s[0:1]
	v_accvgpr_write_b32 a17, v8
; %bb.901:                              ;   in Loop: Header=BB377_427 Depth=1
	s_or_b64 exec, exec, s[6:7]
	v_lshlrev_b32_e32 v8, 16, v22
	v_mul_f32_e32 v8, v5, v8
	v_and_b32_e32 v9, 0x7f800000, v8
	v_cmp_ne_u32_e64 s[0:1], s9, v9
                                        ; implicit-def: $agpr18
	s_and_saveexec_b64 s[6:7], s[0:1]
	s_xor_b64 s[0:1], exec, s[6:7]
; %bb.902:                              ;   in Loop: Header=BB377_427 Depth=1
	v_bfe_u32 v9, v8, 16, 1
	v_add3_u32 v8, v8, v9, s12
	v_accvgpr_write_b32 a18, v8
                                        ; implicit-def: $vgpr8
; %bb.903:                              ;   in Loop: Header=BB377_427 Depth=1
	s_andn2_saveexec_b64 s[6:7], s[0:1]
; %bb.904:                              ;   in Loop: Header=BB377_427 Depth=1
	v_or_b32_e32 v9, 0x10000, v8
	v_cmp_eq_u32_sdwa s[0:1], v8, v27 src0_sel:WORD_0 src1_sel:DWORD
	s_nop 1
	v_cndmask_b32_e64 v8, v9, v8, s[0:1]
	v_accvgpr_write_b32 a18, v8
; %bb.905:                              ;   in Loop: Header=BB377_427 Depth=1
	s_or_b64 exec, exec, s[6:7]
	v_lshlrev_b32_e32 v8, 16, v16
	v_mul_f32_e32 v8, v4, v8
	v_and_b32_e32 v9, 0x7f800000, v8
	v_cmp_ne_u32_e64 s[0:1], s9, v9
                                        ; implicit-def: $agpr19
	s_and_saveexec_b64 s[6:7], s[0:1]
	s_xor_b64 s[0:1], exec, s[6:7]
; %bb.906:                              ;   in Loop: Header=BB377_427 Depth=1
	v_bfe_u32 v9, v8, 16, 1
	v_add3_u32 v8, v8, v9, s12
	v_accvgpr_write_b32 a19, v8
                                        ; implicit-def: $vgpr8
; %bb.907:                              ;   in Loop: Header=BB377_427 Depth=1
	s_andn2_saveexec_b64 s[6:7], s[0:1]
; %bb.908:                              ;   in Loop: Header=BB377_427 Depth=1
	v_or_b32_e32 v9, 0x10000, v8
	v_cmp_eq_u32_sdwa s[0:1], v8, v27 src0_sel:WORD_0 src1_sel:DWORD
	s_nop 1
	v_cndmask_b32_e64 v8, v9, v8, s[0:1]
	v_accvgpr_write_b32 a19, v8
; %bb.909:                              ;   in Loop: Header=BB377_427 Depth=1
	s_or_b64 exec, exec, s[6:7]
	v_lshlrev_b32_e32 v8, 16, v10
	v_mul_f32_e32 v8, v48, v8
	v_and_b32_e32 v9, 0x7f800000, v8
	v_cmp_ne_u32_e64 s[0:1], s9, v9
                                        ; implicit-def: $agpr20
	s_and_saveexec_b64 s[6:7], s[0:1]
	s_xor_b64 s[0:1], exec, s[6:7]
; %bb.910:                              ;   in Loop: Header=BB377_427 Depth=1
	v_bfe_u32 v9, v8, 16, 1
	v_add3_u32 v8, v8, v9, s12
	v_accvgpr_write_b32 a20, v8
                                        ; implicit-def: $vgpr8
; %bb.911:                              ;   in Loop: Header=BB377_427 Depth=1
	s_andn2_saveexec_b64 s[6:7], s[0:1]
; %bb.912:                              ;   in Loop: Header=BB377_427 Depth=1
	v_or_b32_e32 v9, 0x10000, v8
	v_cmp_eq_u32_sdwa s[0:1], v8, v27 src0_sel:WORD_0 src1_sel:DWORD
	s_nop 1
	v_cndmask_b32_e64 v8, v9, v8, s[0:1]
	v_accvgpr_write_b32 a20, v8
; %bb.913:                              ;   in Loop: Header=BB377_427 Depth=1
	s_or_b64 exec, exec, s[6:7]
	v_lshlrev_b32_e32 v7, 16, v7
	v_mul_f32_e32 v7, v52, v7
	v_and_b32_e32 v8, 0x7f800000, v7
	v_cmp_ne_u32_e64 s[0:1], s9, v8
                                        ; implicit-def: $agpr21
	s_and_saveexec_b64 s[6:7], s[0:1]
	s_xor_b64 s[0:1], exec, s[6:7]
; %bb.914:                              ;   in Loop: Header=BB377_427 Depth=1
	v_bfe_u32 v8, v7, 16, 1
	v_add3_u32 v7, v7, v8, s12
	v_accvgpr_write_b32 a21, v7
                                        ; implicit-def: $vgpr7
; %bb.915:                              ;   in Loop: Header=BB377_427 Depth=1
	s_andn2_saveexec_b64 s[6:7], s[0:1]
; %bb.916:                              ;   in Loop: Header=BB377_427 Depth=1
	v_or_b32_e32 v8, 0x10000, v7
	v_cmp_eq_u32_sdwa s[0:1], v7, v27 src0_sel:WORD_0 src1_sel:DWORD
	s_nop 1
	v_cndmask_b32_e64 v7, v8, v7, s[0:1]
	v_accvgpr_write_b32 a21, v7
; %bb.917:                              ;   in Loop: Header=BB377_427 Depth=1
	s_or_b64 exec, exec, s[6:7]
	v_lshlrev_b32_e32 v6, 16, v6
	v_mul_f32_e32 v6, v53, v6
	v_and_b32_e32 v7, 0x7f800000, v6
	v_cmp_ne_u32_e64 s[0:1], s9, v7
                                        ; implicit-def: $agpr4
	s_and_saveexec_b64 s[6:7], s[0:1]
	s_xor_b64 s[0:1], exec, s[6:7]
; %bb.918:                              ;   in Loop: Header=BB377_427 Depth=1
	v_bfe_u32 v7, v6, 16, 1
	v_add3_u32 v6, v6, v7, s12
	v_accvgpr_write_b32 a4, v6
                                        ; implicit-def: $vgpr6
; %bb.919:                              ;   in Loop: Header=BB377_427 Depth=1
	s_andn2_saveexec_b64 s[6:7], s[0:1]
; %bb.920:                              ;   in Loop: Header=BB377_427 Depth=1
	v_or_b32_e32 v7, 0x10000, v6
	v_cmp_eq_u32_sdwa s[0:1], v6, v27 src0_sel:WORD_0 src1_sel:DWORD
	s_nop 1
	v_cndmask_b32_e64 v6, v7, v6, s[0:1]
	v_accvgpr_write_b32 a4, v6
; %bb.921:                              ;   in Loop: Header=BB377_427 Depth=1
	s_or_b64 exec, exec, s[6:7]
	flat_load_dwordx2 v[2:3], v[2:3] offset:3584
	s_waitcnt vmcnt(0) lgkmcnt(0)
	v_and_b32_e32 v6, 0xff, v2
	v_cvt_f32_fp8_sdwa v6, v6 src0_sel:BYTE_0
	s_nop 0
	v_mul_f32_e32 v7, v54, v6
	v_and_b32_e32 v6, 0x7f800000, v7
	v_cmp_ne_u32_e64 s[0:1], s9, v6
                                        ; implicit-def: $vgpr6
	s_and_saveexec_b64 s[6:7], s[0:1]
	s_xor_b64 s[0:1], exec, s[6:7]
; %bb.922:                              ;   in Loop: Header=BB377_427 Depth=1
	v_bfe_u32 v6, v7, 16, 1
	v_add3_u32 v6, v7, v6, s12
                                        ; implicit-def: $vgpr7
; %bb.923:                              ;   in Loop: Header=BB377_427 Depth=1
	s_andn2_saveexec_b64 s[6:7], s[0:1]
; %bb.924:                              ;   in Loop: Header=BB377_427 Depth=1
	v_or_b32_e32 v6, 0x10000, v7
	v_cmp_eq_u32_sdwa s[0:1], v7, v27 src0_sel:WORD_0 src1_sel:DWORD
	s_nop 1
	v_cndmask_b32_e64 v6, v6, v7, s[0:1]
; %bb.925:                              ;   in Loop: Header=BB377_427 Depth=1
	s_or_b64 exec, exec, s[6:7]
	v_bfe_u32 v7, v2, 8, 8
	v_cvt_f32_fp8_sdwa v7, v7 src0_sel:BYTE_0
	s_nop 0
	v_mul_f32_e32 v8, v54, v7
	v_and_b32_e32 v7, 0x7f800000, v8
	v_cmp_ne_u32_e64 s[0:1], s9, v7
                                        ; implicit-def: $vgpr7
	s_and_saveexec_b64 s[6:7], s[0:1]
	s_xor_b64 s[0:1], exec, s[6:7]
; %bb.926:                              ;   in Loop: Header=BB377_427 Depth=1
	v_bfe_u32 v7, v8, 16, 1
	v_add3_u32 v7, v8, v7, s12
                                        ; implicit-def: $vgpr8
; %bb.927:                              ;   in Loop: Header=BB377_427 Depth=1
	s_andn2_saveexec_b64 s[6:7], s[0:1]
; %bb.928:                              ;   in Loop: Header=BB377_427 Depth=1
	v_or_b32_e32 v7, 0x10000, v8
	v_cmp_eq_u32_sdwa s[0:1], v8, v27 src0_sel:WORD_0 src1_sel:DWORD
	s_nop 1
	v_cndmask_b32_e64 v7, v7, v8, s[0:1]
; %bb.929:                              ;   in Loop: Header=BB377_427 Depth=1
	s_or_b64 exec, exec, s[6:7]
	v_bfe_u32 v8, v2, 16, 8
	v_cvt_f32_fp8_sdwa v8, v8 src0_sel:BYTE_0
	s_nop 0
	v_mul_f32_e32 v8, v54, v8
	v_and_b32_e32 v9, 0x7f800000, v8
	v_cmp_ne_u32_e64 s[0:1], s9, v9
                                        ; implicit-def: $vgpr9
	s_and_saveexec_b64 s[6:7], s[0:1]
	s_xor_b64 s[0:1], exec, s[6:7]
; %bb.930:                              ;   in Loop: Header=BB377_427 Depth=1
	v_bfe_u32 v9, v8, 16, 1
	v_add3_u32 v9, v8, v9, s12
                                        ; implicit-def: $vgpr8
; %bb.931:                              ;   in Loop: Header=BB377_427 Depth=1
	s_andn2_saveexec_b64 s[6:7], s[0:1]
; %bb.932:                              ;   in Loop: Header=BB377_427 Depth=1
	v_or_b32_e32 v9, 0x10000, v8
	v_cmp_eq_u32_sdwa s[0:1], v8, v27 src0_sel:WORD_0 src1_sel:DWORD
	s_nop 1
	v_cndmask_b32_e64 v9, v9, v8, s[0:1]
; %bb.933:                              ;   in Loop: Header=BB377_427 Depth=1
	s_or_b64 exec, exec, s[6:7]
	v_lshrrev_b32_e32 v2, 24, v2
	v_cvt_f32_fp8_sdwa v2, v2 src0_sel:BYTE_0
	s_nop 0
	v_mul_f32_e32 v8, v54, v2
	v_and_b32_e32 v2, 0x7f800000, v8
	v_cmp_ne_u32_e64 s[0:1], s9, v2
                                        ; implicit-def: $vgpr2
	s_and_saveexec_b64 s[6:7], s[0:1]
	s_xor_b64 s[0:1], exec, s[6:7]
; %bb.934:                              ;   in Loop: Header=BB377_427 Depth=1
	v_bfe_u32 v2, v8, 16, 1
	v_add3_u32 v2, v8, v2, s12
                                        ; implicit-def: $vgpr8
; %bb.935:                              ;   in Loop: Header=BB377_427 Depth=1
	s_andn2_saveexec_b64 s[6:7], s[0:1]
; %bb.936:                              ;   in Loop: Header=BB377_427 Depth=1
	v_or_b32_e32 v2, 0x10000, v8
	v_cmp_eq_u32_sdwa s[0:1], v8, v27 src0_sel:WORD_0 src1_sel:DWORD
	s_nop 1
	v_cndmask_b32_e64 v2, v2, v8, s[0:1]
; %bb.937:                              ;   in Loop: Header=BB377_427 Depth=1
	s_or_b64 exec, exec, s[6:7]
	v_and_b32_e32 v8, 0xff, v3
	v_cvt_f32_fp8_sdwa v8, v8 src0_sel:BYTE_0
	s_nop 0
	v_mul_f32_e32 v8, v54, v8
	v_and_b32_e32 v10, 0x7f800000, v8
	v_cmp_ne_u32_e64 s[0:1], s9, v10
                                        ; implicit-def: $vgpr10
	s_and_saveexec_b64 s[6:7], s[0:1]
	s_xor_b64 s[0:1], exec, s[6:7]
; %bb.938:                              ;   in Loop: Header=BB377_427 Depth=1
	v_bfe_u32 v10, v8, 16, 1
	v_add3_u32 v10, v8, v10, s12
                                        ; implicit-def: $vgpr8
; %bb.939:                              ;   in Loop: Header=BB377_427 Depth=1
	s_andn2_saveexec_b64 s[6:7], s[0:1]
; %bb.940:                              ;   in Loop: Header=BB377_427 Depth=1
	v_or_b32_e32 v10, 0x10000, v8
	v_cmp_eq_u32_sdwa s[0:1], v8, v27 src0_sel:WORD_0 src1_sel:DWORD
	s_nop 1
	v_cndmask_b32_e64 v10, v10, v8, s[0:1]
; %bb.941:                              ;   in Loop: Header=BB377_427 Depth=1
	s_or_b64 exec, exec, s[6:7]
	v_bfe_u32 v8, v3, 8, 8
	v_cvt_f32_fp8_sdwa v8, v8 src0_sel:BYTE_0
	s_nop 0
	v_mul_f32_e32 v11, v54, v8
	v_and_b32_e32 v8, 0x7f800000, v11
	v_cmp_ne_u32_e64 s[0:1], s9, v8
                                        ; implicit-def: $vgpr8
	s_and_saveexec_b64 s[6:7], s[0:1]
	s_xor_b64 s[0:1], exec, s[6:7]
; %bb.942:                              ;   in Loop: Header=BB377_427 Depth=1
	v_bfe_u32 v8, v11, 16, 1
	v_add3_u32 v8, v11, v8, s12
                                        ; implicit-def: $vgpr11
; %bb.943:                              ;   in Loop: Header=BB377_427 Depth=1
	s_andn2_saveexec_b64 s[6:7], s[0:1]
; %bb.944:                              ;   in Loop: Header=BB377_427 Depth=1
	v_or_b32_e32 v8, 0x10000, v11
	v_cmp_eq_u32_sdwa s[0:1], v11, v27 src0_sel:WORD_0 src1_sel:DWORD
	s_nop 1
	v_cndmask_b32_e64 v8, v8, v11, s[0:1]
; %bb.945:                              ;   in Loop: Header=BB377_427 Depth=1
	s_or_b64 exec, exec, s[6:7]
	v_bfe_u32 v11, v3, 16, 8
	v_cvt_f32_fp8_sdwa v11, v11 src0_sel:BYTE_0
	s_nop 0
	v_mul_f32_e32 v11, v54, v11
	v_and_b32_e32 v16, 0x7f800000, v11
	v_cmp_ne_u32_e64 s[0:1], s9, v16
                                        ; implicit-def: $vgpr16
	s_and_saveexec_b64 s[6:7], s[0:1]
	s_xor_b64 s[0:1], exec, s[6:7]
; %bb.946:                              ;   in Loop: Header=BB377_427 Depth=1
	v_bfe_u32 v16, v11, 16, 1
	v_add3_u32 v16, v11, v16, s12
                                        ; implicit-def: $vgpr11
; %bb.947:                              ;   in Loop: Header=BB377_427 Depth=1
	s_andn2_saveexec_b64 s[6:7], s[0:1]
; %bb.948:                              ;   in Loop: Header=BB377_427 Depth=1
	v_or_b32_e32 v16, 0x10000, v11
	v_cmp_eq_u32_sdwa s[0:1], v11, v27 src0_sel:WORD_0 src1_sel:DWORD
	s_nop 1
	v_cndmask_b32_e64 v16, v16, v11, s[0:1]
; %bb.949:                              ;   in Loop: Header=BB377_427 Depth=1
	s_or_b64 exec, exec, s[6:7]
	v_lshrrev_b32_e32 v3, 24, v3
	v_cvt_f32_fp8_sdwa v3, v3 src0_sel:BYTE_0
                                        ; implicit-def: $vgpr22
	s_nop 0
	v_mul_f32_e32 v3, v54, v3
	v_and_b32_e32 v11, 0x7f800000, v3
	v_cmp_ne_u32_e64 s[0:1], s9, v11
	s_and_saveexec_b64 s[6:7], s[0:1]
	s_xor_b64 s[0:1], exec, s[6:7]
; %bb.950:                              ;   in Loop: Header=BB377_427 Depth=1
	v_bfe_u32 v11, v3, 16, 1
	v_add3_u32 v22, v3, v11, s12
                                        ; implicit-def: $vgpr3
; %bb.951:                              ;   in Loop: Header=BB377_427 Depth=1
	s_andn2_saveexec_b64 s[6:7], s[0:1]
; %bb.952:                              ;   in Loop: Header=BB377_427 Depth=1
	v_or_b32_e32 v11, 0x10000, v3
	v_cmp_eq_u32_sdwa s[0:1], v3, v27 src0_sel:WORD_0 src1_sel:DWORD
	s_nop 1
	v_cndmask_b32_e64 v22, v11, v3, s[0:1]
; %bb.953:                              ;   in Loop: Header=BB377_427 Depth=1
	s_or_b64 exec, exec, s[6:7]
	v_lshrrev_b32_e32 v8, 16, v8
	v_lshrrev_b32_e32 v10, 16, v10
	;; [unrolled: 1-line block ×8, first 2 shown]
	s_and_saveexec_b64 s[6:7], vcc
	s_cbranch_execz .LBB377_955
; %bb.954:                              ;   in Loop: Header=BB377_427 Depth=1
	v_accvgpr_read_b32 v16, a29
	v_cmp_lt_i32_e64 s[0:1], v16, v49
	v_accvgpr_read_b32 v16, a35
	s_nop 0
	v_cndmask_b32_e64 v6, 0, v6, s[0:1]
	v_cmp_lt_i32_e64 s[0:1], v16, v49
	v_accvgpr_read_b32 v16, a34
	s_nop 0
	v_cndmask_b32_e64 v7, 0, v7, s[0:1]
	;; [unrolled: 4-line block ×6, first 2 shown]
	v_cmp_lt_i32_e64 s[0:1], v16, v49
	s_nop 1
	v_cndmask_b32_e64 v3, 0, v3, s[0:1]
	v_cmp_lt_i32_e64 s[0:1], v17, v49
	s_nop 1
	v_cndmask_b32_e64 v2, 0, v2, s[0:1]
.LBB377_955:                            ;   in Loop: Header=BB377_427 Depth=1
	s_or_b64 exec, exec, s[6:7]
	v_lshlrev_b32_e32 v6, 16, v6
	v_mul_f32_e32 v6, v62, v6
	v_and_b32_e32 v16, 0x7f800000, v6
	v_cmp_ne_u32_e64 s[0:1], s9, v16
                                        ; implicit-def: $agpr7
	s_and_saveexec_b64 s[6:7], s[0:1]
	s_xor_b64 s[0:1], exec, s[6:7]
; %bb.956:                              ;   in Loop: Header=BB377_427 Depth=1
	v_bfe_u32 v16, v6, 16, 1
	v_add3_u32 v6, v6, v16, s12
	v_accvgpr_write_b32 a7, v6
                                        ; implicit-def: $vgpr6
; %bb.957:                              ;   in Loop: Header=BB377_427 Depth=1
	s_andn2_saveexec_b64 s[6:7], s[0:1]
; %bb.958:                              ;   in Loop: Header=BB377_427 Depth=1
	v_or_b32_e32 v16, 0x10000, v6
	v_cmp_eq_u32_sdwa s[0:1], v6, v27 src0_sel:WORD_0 src1_sel:DWORD
	s_nop 1
	v_cndmask_b32_e64 v6, v16, v6, s[0:1]
	v_accvgpr_write_b32 a7, v6
; %bb.959:                              ;   in Loop: Header=BB377_427 Depth=1
	s_or_b64 exec, exec, s[6:7]
	v_lshlrev_b32_e32 v6, 16, v7
	v_mul_f32_e32 v6, v23, v6
	v_and_b32_e32 v7, 0x7f800000, v6
	v_cmp_ne_u32_e64 s[0:1], s9, v7
                                        ; implicit-def: $agpr22
	s_and_saveexec_b64 s[6:7], s[0:1]
	s_xor_b64 s[0:1], exec, s[6:7]
; %bb.960:                              ;   in Loop: Header=BB377_427 Depth=1
	v_bfe_u32 v7, v6, 16, 1
	v_add3_u32 v6, v6, v7, s12
	v_accvgpr_write_b32 a22, v6
                                        ; implicit-def: $vgpr6
; %bb.961:                              ;   in Loop: Header=BB377_427 Depth=1
	s_andn2_saveexec_b64 s[6:7], s[0:1]
; %bb.962:                              ;   in Loop: Header=BB377_427 Depth=1
	v_or_b32_e32 v7, 0x10000, v6
	v_cmp_eq_u32_sdwa s[0:1], v6, v27 src0_sel:WORD_0 src1_sel:DWORD
	s_nop 1
	v_cndmask_b32_e64 v6, v7, v6, s[0:1]
	v_accvgpr_write_b32 a22, v6
; %bb.963:                              ;   in Loop: Header=BB377_427 Depth=1
	s_or_b64 exec, exec, s[6:7]
	v_lshlrev_b32_e32 v6, 16, v9
	v_mul_f32_e32 v6, v51, v6
	v_and_b32_e32 v7, 0x7f800000, v6
	v_cmp_ne_u32_e64 s[0:1], s9, v7
                                        ; implicit-def: $agpr23
	s_and_saveexec_b64 s[6:7], s[0:1]
	s_xor_b64 s[0:1], exec, s[6:7]
; %bb.964:                              ;   in Loop: Header=BB377_427 Depth=1
	v_bfe_u32 v7, v6, 16, 1
	v_add3_u32 v6, v6, v7, s12
	v_accvgpr_write_b32 a23, v6
                                        ; implicit-def: $vgpr6
; %bb.965:                              ;   in Loop: Header=BB377_427 Depth=1
	s_andn2_saveexec_b64 s[6:7], s[0:1]
; %bb.966:                              ;   in Loop: Header=BB377_427 Depth=1
	v_or_b32_e32 v7, 0x10000, v6
	v_cmp_eq_u32_sdwa s[0:1], v6, v27 src0_sel:WORD_0 src1_sel:DWORD
	s_nop 1
	v_cndmask_b32_e64 v6, v7, v6, s[0:1]
	v_accvgpr_write_b32 a23, v6
; %bb.967:                              ;   in Loop: Header=BB377_427 Depth=1
	s_or_b64 exec, exec, s[6:7]
	v_lshlrev_b32_e32 v6, 16, v11
	v_mul_f32_e32 v6, v5, v6
	v_and_b32_e32 v7, 0x7f800000, v6
	v_cmp_ne_u32_e64 s[0:1], s9, v7
                                        ; implicit-def: $agpr24
	s_and_saveexec_b64 s[6:7], s[0:1]
	s_xor_b64 s[0:1], exec, s[6:7]
; %bb.968:                              ;   in Loop: Header=BB377_427 Depth=1
	v_bfe_u32 v7, v6, 16, 1
	v_add3_u32 v6, v6, v7, s12
	v_accvgpr_write_b32 a24, v6
                                        ; implicit-def: $vgpr6
; %bb.969:                              ;   in Loop: Header=BB377_427 Depth=1
	s_andn2_saveexec_b64 s[6:7], s[0:1]
; %bb.970:                              ;   in Loop: Header=BB377_427 Depth=1
	v_or_b32_e32 v7, 0x10000, v6
	v_cmp_eq_u32_sdwa s[0:1], v6, v27 src0_sel:WORD_0 src1_sel:DWORD
	s_nop 1
	v_cndmask_b32_e64 v6, v7, v6, s[0:1]
	v_accvgpr_write_b32 a24, v6
; %bb.971:                              ;   in Loop: Header=BB377_427 Depth=1
	s_or_b64 exec, exec, s[6:7]
	v_lshlrev_b32_e32 v6, 16, v10
	v_mul_f32_e32 v6, v4, v6
	v_and_b32_e32 v7, 0x7f800000, v6
	v_cmp_ne_u32_e64 s[0:1], s9, v7
                                        ; implicit-def: $agpr25
	s_and_saveexec_b64 s[6:7], s[0:1]
	s_xor_b64 s[0:1], exec, s[6:7]
; %bb.972:                              ;   in Loop: Header=BB377_427 Depth=1
	v_bfe_u32 v7, v6, 16, 1
	v_add3_u32 v6, v6, v7, s12
	v_accvgpr_write_b32 a25, v6
                                        ; implicit-def: $vgpr6
; %bb.973:                              ;   in Loop: Header=BB377_427 Depth=1
	s_andn2_saveexec_b64 s[6:7], s[0:1]
; %bb.974:                              ;   in Loop: Header=BB377_427 Depth=1
	v_or_b32_e32 v7, 0x10000, v6
	v_cmp_eq_u32_sdwa s[0:1], v6, v27 src0_sel:WORD_0 src1_sel:DWORD
	s_nop 1
	v_cndmask_b32_e64 v6, v7, v6, s[0:1]
	v_accvgpr_write_b32 a25, v6
; %bb.975:                              ;   in Loop: Header=BB377_427 Depth=1
	s_or_b64 exec, exec, s[6:7]
	v_lshlrev_b32_e32 v6, 16, v8
	v_mul_f32_e32 v6, v48, v6
	v_and_b32_e32 v7, 0x7f800000, v6
	v_cmp_ne_u32_e64 s[0:1], s9, v7
                                        ; implicit-def: $agpr26
	s_and_saveexec_b64 s[6:7], s[0:1]
	s_xor_b64 s[0:1], exec, s[6:7]
; %bb.976:                              ;   in Loop: Header=BB377_427 Depth=1
	v_bfe_u32 v7, v6, 16, 1
	v_add3_u32 v6, v6, v7, s12
	v_accvgpr_write_b32 a26, v6
                                        ; implicit-def: $vgpr6
; %bb.977:                              ;   in Loop: Header=BB377_427 Depth=1
	s_andn2_saveexec_b64 s[6:7], s[0:1]
; %bb.978:                              ;   in Loop: Header=BB377_427 Depth=1
	v_or_b32_e32 v7, 0x10000, v6
	v_cmp_eq_u32_sdwa s[0:1], v6, v27 src0_sel:WORD_0 src1_sel:DWORD
	s_nop 1
	v_cndmask_b32_e64 v6, v7, v6, s[0:1]
	v_accvgpr_write_b32 a26, v6
; %bb.979:                              ;   in Loop: Header=BB377_427 Depth=1
	s_or_b64 exec, exec, s[6:7]
	v_lshlrev_b32_e32 v3, 16, v3
	v_mul_f32_e32 v3, v52, v3
	v_and_b32_e32 v6, 0x7f800000, v3
	v_cmp_ne_u32_e64 s[0:1], s9, v6
                                        ; implicit-def: $agpr27
	s_and_saveexec_b64 s[6:7], s[0:1]
	s_xor_b64 s[0:1], exec, s[6:7]
; %bb.980:                              ;   in Loop: Header=BB377_427 Depth=1
	v_bfe_u32 v6, v3, 16, 1
	v_add3_u32 v3, v3, v6, s12
	v_accvgpr_write_b32 a27, v3
                                        ; implicit-def: $vgpr3
; %bb.981:                              ;   in Loop: Header=BB377_427 Depth=1
	s_andn2_saveexec_b64 s[6:7], s[0:1]
; %bb.982:                              ;   in Loop: Header=BB377_427 Depth=1
	v_or_b32_e32 v6, 0x10000, v3
	v_cmp_eq_u32_sdwa s[0:1], v3, v27 src0_sel:WORD_0 src1_sel:DWORD
	s_nop 1
	v_cndmask_b32_e64 v3, v6, v3, s[0:1]
	v_accvgpr_write_b32 a27, v3
; %bb.983:                              ;   in Loop: Header=BB377_427 Depth=1
	s_or_b64 exec, exec, s[6:7]
	v_lshlrev_b32_e32 v2, 16, v2
	v_mul_f32_e32 v2, v53, v2
	v_and_b32_e32 v3, 0x7f800000, v2
	v_cmp_ne_u32_e64 s[0:1], s9, v3
                                        ; implicit-def: $vgpr39
	s_and_saveexec_b64 s[6:7], s[0:1]
	s_xor_b64 s[0:1], exec, s[6:7]
; %bb.984:                              ;   in Loop: Header=BB377_427 Depth=1
	v_bfe_u32 v3, v2, 16, 1
	v_add3_u32 v39, v2, v3, s12
                                        ; implicit-def: $vgpr2
; %bb.985:                              ;   in Loop: Header=BB377_427 Depth=1
	s_andn2_saveexec_b64 s[6:7], s[0:1]
; %bb.986:                              ;   in Loop: Header=BB377_427 Depth=1
	v_or_b32_e32 v3, 0x10000, v2
	v_cmp_eq_u32_sdwa s[0:1], v2, v27 src0_sel:WORD_0 src1_sel:DWORD
	s_nop 1
	v_cndmask_b32_e64 v39, v3, v2, s[0:1]
; %bb.987:                              ;   in Loop: Header=BB377_427 Depth=1
	s_or_b64 exec, exec, s[6:7]
	scratch_load_dwordx2 v[2:3], off, s32 offset:240 ; 8-byte Folded Reload
	s_waitcnt vmcnt(0)
	v_lshl_add_u64 v[2:3], v[0:1], 0, v[2:3]
	flat_load_dwordx2 v[2:3], v[2:3]
	s_waitcnt vmcnt(0) lgkmcnt(0)
	v_and_b32_e32 v6, 0xff, v2
	v_cvt_f32_fp8_sdwa v6, v6 src0_sel:BYTE_0
	s_nop 0
	v_mul_f32_e32 v7, v54, v6
	v_and_b32_e32 v6, 0x7f800000, v7
	v_cmp_ne_u32_e64 s[0:1], s9, v6
                                        ; implicit-def: $vgpr6
	s_and_saveexec_b64 s[6:7], s[0:1]
	s_xor_b64 s[0:1], exec, s[6:7]
; %bb.988:                              ;   in Loop: Header=BB377_427 Depth=1
	v_bfe_u32 v6, v7, 16, 1
	v_add3_u32 v6, v7, v6, s12
                                        ; implicit-def: $vgpr7
; %bb.989:                              ;   in Loop: Header=BB377_427 Depth=1
	s_andn2_saveexec_b64 s[6:7], s[0:1]
; %bb.990:                              ;   in Loop: Header=BB377_427 Depth=1
	v_or_b32_e32 v6, 0x10000, v7
	v_cmp_eq_u32_sdwa s[0:1], v7, v27 src0_sel:WORD_0 src1_sel:DWORD
	s_nop 1
	v_cndmask_b32_e64 v6, v6, v7, s[0:1]
; %bb.991:                              ;   in Loop: Header=BB377_427 Depth=1
	s_or_b64 exec, exec, s[6:7]
	v_bfe_u32 v7, v2, 8, 8
	v_cvt_f32_fp8_sdwa v7, v7 src0_sel:BYTE_0
	s_nop 0
	v_mul_f32_e32 v8, v54, v7
	v_and_b32_e32 v7, 0x7f800000, v8
	v_cmp_ne_u32_e64 s[0:1], s9, v7
                                        ; implicit-def: $vgpr7
	s_and_saveexec_b64 s[6:7], s[0:1]
	s_xor_b64 s[0:1], exec, s[6:7]
; %bb.992:                              ;   in Loop: Header=BB377_427 Depth=1
	v_bfe_u32 v7, v8, 16, 1
	v_add3_u32 v7, v8, v7, s12
                                        ; implicit-def: $vgpr8
; %bb.993:                              ;   in Loop: Header=BB377_427 Depth=1
	s_andn2_saveexec_b64 s[6:7], s[0:1]
; %bb.994:                              ;   in Loop: Header=BB377_427 Depth=1
	v_or_b32_e32 v7, 0x10000, v8
	v_cmp_eq_u32_sdwa s[0:1], v8, v27 src0_sel:WORD_0 src1_sel:DWORD
	s_nop 1
	v_cndmask_b32_e64 v7, v7, v8, s[0:1]
; %bb.995:                              ;   in Loop: Header=BB377_427 Depth=1
	s_or_b64 exec, exec, s[6:7]
	v_bfe_u32 v8, v2, 16, 8
	v_cvt_f32_fp8_sdwa v8, v8 src0_sel:BYTE_0
	s_nop 0
	v_mul_f32_e32 v9, v54, v8
	v_and_b32_e32 v8, 0x7f800000, v9
	v_cmp_ne_u32_e64 s[0:1], s9, v8
                                        ; implicit-def: $vgpr8
	s_and_saveexec_b64 s[6:7], s[0:1]
	s_xor_b64 s[0:1], exec, s[6:7]
; %bb.996:                              ;   in Loop: Header=BB377_427 Depth=1
	v_bfe_u32 v8, v9, 16, 1
	v_add3_u32 v8, v9, v8, s12
                                        ; implicit-def: $vgpr9
; %bb.997:                              ;   in Loop: Header=BB377_427 Depth=1
	s_andn2_saveexec_b64 s[6:7], s[0:1]
; %bb.998:                              ;   in Loop: Header=BB377_427 Depth=1
	v_or_b32_e32 v8, 0x10000, v9
	v_cmp_eq_u32_sdwa s[0:1], v9, v27 src0_sel:WORD_0 src1_sel:DWORD
	s_nop 1
	v_cndmask_b32_e64 v8, v8, v9, s[0:1]
; %bb.999:                              ;   in Loop: Header=BB377_427 Depth=1
	s_or_b64 exec, exec, s[6:7]
	v_lshrrev_b32_e32 v2, 24, v2
	v_cvt_f32_fp8_sdwa v2, v2 src0_sel:BYTE_0
	s_nop 0
	v_mul_f32_e32 v9, v54, v2
	v_and_b32_e32 v2, 0x7f800000, v9
	v_cmp_ne_u32_e64 s[0:1], s9, v2
                                        ; implicit-def: $vgpr2
	s_and_saveexec_b64 s[6:7], s[0:1]
	s_xor_b64 s[0:1], exec, s[6:7]
; %bb.1000:                             ;   in Loop: Header=BB377_427 Depth=1
	v_bfe_u32 v2, v9, 16, 1
	v_add3_u32 v2, v9, v2, s12
                                        ; implicit-def: $vgpr9
; %bb.1001:                             ;   in Loop: Header=BB377_427 Depth=1
	s_andn2_saveexec_b64 s[6:7], s[0:1]
; %bb.1002:                             ;   in Loop: Header=BB377_427 Depth=1
	v_or_b32_e32 v2, 0x10000, v9
	v_cmp_eq_u32_sdwa s[0:1], v9, v27 src0_sel:WORD_0 src1_sel:DWORD
	s_nop 1
	v_cndmask_b32_e64 v2, v2, v9, s[0:1]
; %bb.1003:                             ;   in Loop: Header=BB377_427 Depth=1
	s_or_b64 exec, exec, s[6:7]
	v_and_b32_e32 v9, 0xff, v3
	v_cvt_f32_fp8_sdwa v9, v9 src0_sel:BYTE_0
	s_nop 0
	v_mul_f32_e32 v10, v54, v9
	v_and_b32_e32 v9, 0x7f800000, v10
	v_cmp_ne_u32_e64 s[0:1], s9, v9
                                        ; implicit-def: $vgpr9
	s_and_saveexec_b64 s[6:7], s[0:1]
	s_xor_b64 s[0:1], exec, s[6:7]
; %bb.1004:                             ;   in Loop: Header=BB377_427 Depth=1
	v_bfe_u32 v9, v10, 16, 1
	v_add3_u32 v9, v10, v9, s12
                                        ; implicit-def: $vgpr10
; %bb.1005:                             ;   in Loop: Header=BB377_427 Depth=1
	s_andn2_saveexec_b64 s[6:7], s[0:1]
; %bb.1006:                             ;   in Loop: Header=BB377_427 Depth=1
	v_or_b32_e32 v9, 0x10000, v10
	v_cmp_eq_u32_sdwa s[0:1], v10, v27 src0_sel:WORD_0 src1_sel:DWORD
	s_nop 1
	v_cndmask_b32_e64 v9, v9, v10, s[0:1]
; %bb.1007:                             ;   in Loop: Header=BB377_427 Depth=1
	s_or_b64 exec, exec, s[6:7]
	v_bfe_u32 v10, v3, 8, 8
	v_cvt_f32_fp8_sdwa v10, v10 src0_sel:BYTE_0
	s_nop 0
	v_mul_f32_e32 v11, v54, v10
	v_and_b32_e32 v10, 0x7f800000, v11
	v_cmp_ne_u32_e64 s[0:1], s9, v10
                                        ; implicit-def: $vgpr10
	s_and_saveexec_b64 s[6:7], s[0:1]
	s_xor_b64 s[0:1], exec, s[6:7]
; %bb.1008:                             ;   in Loop: Header=BB377_427 Depth=1
	v_bfe_u32 v10, v11, 16, 1
	v_add3_u32 v10, v11, v10, s12
                                        ; implicit-def: $vgpr11
; %bb.1009:                             ;   in Loop: Header=BB377_427 Depth=1
	s_andn2_saveexec_b64 s[6:7], s[0:1]
; %bb.1010:                             ;   in Loop: Header=BB377_427 Depth=1
	v_or_b32_e32 v10, 0x10000, v11
	v_cmp_eq_u32_sdwa s[0:1], v11, v27 src0_sel:WORD_0 src1_sel:DWORD
	s_nop 1
	v_cndmask_b32_e64 v10, v10, v11, s[0:1]
; %bb.1011:                             ;   in Loop: Header=BB377_427 Depth=1
	s_or_b64 exec, exec, s[6:7]
	v_bfe_u32 v11, v3, 16, 8
	v_cvt_f32_fp8_sdwa v11, v11 src0_sel:BYTE_0
                                        ; implicit-def: $vgpr22
	s_nop 0
	v_mul_f32_e32 v11, v54, v11
	v_and_b32_e32 v16, 0x7f800000, v11
	v_cmp_ne_u32_e64 s[0:1], s9, v16
	s_and_saveexec_b64 s[6:7], s[0:1]
	s_xor_b64 s[0:1], exec, s[6:7]
; %bb.1012:                             ;   in Loop: Header=BB377_427 Depth=1
	v_bfe_u32 v16, v11, 16, 1
	v_add3_u32 v22, v11, v16, s12
                                        ; implicit-def: $vgpr11
; %bb.1013:                             ;   in Loop: Header=BB377_427 Depth=1
	s_andn2_saveexec_b64 s[6:7], s[0:1]
; %bb.1014:                             ;   in Loop: Header=BB377_427 Depth=1
	v_or_b32_e32 v16, 0x10000, v11
	v_cmp_eq_u32_sdwa s[0:1], v11, v27 src0_sel:WORD_0 src1_sel:DWORD
	s_nop 1
	v_cndmask_b32_e64 v22, v16, v11, s[0:1]
; %bb.1015:                             ;   in Loop: Header=BB377_427 Depth=1
	s_or_b64 exec, exec, s[6:7]
	v_lshrrev_b32_e32 v3, 24, v3
	v_cvt_f32_fp8_sdwa v3, v3 src0_sel:BYTE_0
                                        ; implicit-def: $vgpr32
	s_nop 0
	v_mul_f32_e32 v3, v54, v3
	v_and_b32_e32 v11, 0x7f800000, v3
	v_cmp_ne_u32_e64 s[0:1], s9, v11
	s_and_saveexec_b64 s[6:7], s[0:1]
	s_xor_b64 s[0:1], exec, s[6:7]
; %bb.1016:                             ;   in Loop: Header=BB377_427 Depth=1
	v_bfe_u32 v11, v3, 16, 1
	v_add3_u32 v32, v3, v11, s12
                                        ; implicit-def: $vgpr3
; %bb.1017:                             ;   in Loop: Header=BB377_427 Depth=1
	s_andn2_saveexec_b64 s[6:7], s[0:1]
; %bb.1018:                             ;   in Loop: Header=BB377_427 Depth=1
	v_or_b32_e32 v11, 0x10000, v3
	v_cmp_eq_u32_sdwa s[0:1], v3, v27 src0_sel:WORD_0 src1_sel:DWORD
	s_nop 1
	v_cndmask_b32_e64 v32, v11, v3, s[0:1]
; %bb.1019:                             ;   in Loop: Header=BB377_427 Depth=1
	s_or_b64 exec, exec, s[6:7]
	v_lshrrev_b32_e32 v10, 16, v10
	v_lshrrev_b32_e32 v11, 16, v9
	;; [unrolled: 1-line block ×8, first 2 shown]
	s_and_saveexec_b64 s[6:7], vcc
	s_cbranch_execz .LBB377_1021
; %bb.1020:                             ;   in Loop: Header=BB377_427 Depth=1
	v_accvgpr_read_b32 v8, a29
	v_cmp_lt_i32_e64 s[0:1], v8, v49
	v_accvgpr_read_b32 v8, a35
	s_nop 0
	v_cndmask_b32_e64 v6, 0, v6, s[0:1]
	v_cmp_lt_i32_e64 s[0:1], v8, v49
	v_accvgpr_read_b32 v8, a34
	s_nop 0
	v_cndmask_b32_e64 v7, 0, v7, s[0:1]
	;; [unrolled: 4-line block ×6, first 2 shown]
	v_cmp_lt_i32_e64 s[0:1], v8, v49
	s_nop 1
	v_cndmask_b32_e64 v3, 0, v3, s[0:1]
	v_cmp_lt_i32_e64 s[0:1], v17, v49
	s_nop 1
	v_cndmask_b32_e64 v2, 0, v2, s[0:1]
.LBB377_1021:                           ;   in Loop: Header=BB377_427 Depth=1
	s_or_b64 exec, exec, s[6:7]
	v_lshlrev_b32_e32 v6, 16, v6
	v_mul_f32_e32 v6, v62, v6
	v_and_b32_e32 v8, 0x7f800000, v6
	v_cmp_ne_u32_e64 s[0:1], s9, v8
                                        ; implicit-def: $vgpr8
	s_and_saveexec_b64 s[6:7], s[0:1]
	s_xor_b64 s[0:1], exec, s[6:7]
; %bb.1022:                             ;   in Loop: Header=BB377_427 Depth=1
	v_bfe_u32 v8, v6, 16, 1
	v_add3_u32 v8, v6, v8, s12
                                        ; implicit-def: $vgpr6
; %bb.1023:                             ;   in Loop: Header=BB377_427 Depth=1
	s_andn2_saveexec_b64 s[6:7], s[0:1]
; %bb.1024:                             ;   in Loop: Header=BB377_427 Depth=1
	v_or_b32_e32 v8, 0x10000, v6
	v_cmp_eq_u32_sdwa s[0:1], v6, v27 src0_sel:WORD_0 src1_sel:DWORD
	s_nop 1
	v_cndmask_b32_e64 v8, v8, v6, s[0:1]
; %bb.1025:                             ;   in Loop: Header=BB377_427 Depth=1
	s_or_b64 exec, exec, s[6:7]
	v_lshlrev_b32_e32 v6, 16, v7
	v_mul_f32_e32 v6, v23, v6
	v_and_b32_e32 v7, 0x7f800000, v6
	v_cmp_ne_u32_e64 s[0:1], s9, v7
                                        ; implicit-def: $vgpr22
	s_and_saveexec_b64 s[6:7], s[0:1]
	s_xor_b64 s[0:1], exec, s[6:7]
; %bb.1026:                             ;   in Loop: Header=BB377_427 Depth=1
	v_bfe_u32 v7, v6, 16, 1
	v_add3_u32 v22, v6, v7, s12
                                        ; implicit-def: $vgpr6
; %bb.1027:                             ;   in Loop: Header=BB377_427 Depth=1
	s_andn2_saveexec_b64 s[6:7], s[0:1]
; %bb.1028:                             ;   in Loop: Header=BB377_427 Depth=1
	v_or_b32_e32 v7, 0x10000, v6
	v_cmp_eq_u32_sdwa s[0:1], v6, v27 src0_sel:WORD_0 src1_sel:DWORD
	s_nop 1
	v_cndmask_b32_e64 v22, v7, v6, s[0:1]
; %bb.1029:                             ;   in Loop: Header=BB377_427 Depth=1
	s_or_b64 exec, exec, s[6:7]
	v_lshlrev_b32_e32 v6, 16, v9
	v_mul_f32_e32 v6, v51, v6
	v_and_b32_e32 v7, 0x7f800000, v6
	v_cmp_ne_u32_e64 s[0:1], s9, v7
                                        ; implicit-def: $vgpr9
	s_and_saveexec_b64 s[6:7], s[0:1]
	s_xor_b64 s[0:1], exec, s[6:7]
; %bb.1030:                             ;   in Loop: Header=BB377_427 Depth=1
	v_bfe_u32 v7, v6, 16, 1
	v_add3_u32 v9, v6, v7, s12
                                        ; implicit-def: $vgpr6
; %bb.1031:                             ;   in Loop: Header=BB377_427 Depth=1
	s_andn2_saveexec_b64 s[6:7], s[0:1]
; %bb.1032:                             ;   in Loop: Header=BB377_427 Depth=1
	v_or_b32_e32 v7, 0x10000, v6
	v_cmp_eq_u32_sdwa s[0:1], v6, v27 src0_sel:WORD_0 src1_sel:DWORD
	s_nop 1
	v_cndmask_b32_e64 v9, v7, v6, s[0:1]
; %bb.1033:                             ;   in Loop: Header=BB377_427 Depth=1
	s_or_b64 exec, exec, s[6:7]
	v_lshlrev_b32_e32 v6, 16, v16
	v_mul_f32_e32 v6, v5, v6
	v_and_b32_e32 v7, 0x7f800000, v6
	v_cmp_ne_u32_e64 s[0:1], s9, v7
                                        ; implicit-def: $vgpr41
	s_and_saveexec_b64 s[6:7], s[0:1]
	s_xor_b64 s[0:1], exec, s[6:7]
; %bb.1034:                             ;   in Loop: Header=BB377_427 Depth=1
	v_bfe_u32 v7, v6, 16, 1
	v_add3_u32 v41, v6, v7, s12
                                        ; implicit-def: $vgpr6
; %bb.1035:                             ;   in Loop: Header=BB377_427 Depth=1
	s_andn2_saveexec_b64 s[6:7], s[0:1]
; %bb.1036:                             ;   in Loop: Header=BB377_427 Depth=1
	v_or_b32_e32 v7, 0x10000, v6
	v_cmp_eq_u32_sdwa s[0:1], v6, v27 src0_sel:WORD_0 src1_sel:DWORD
	s_nop 1
	v_cndmask_b32_e64 v41, v7, v6, s[0:1]
; %bb.1037:                             ;   in Loop: Header=BB377_427 Depth=1
	s_or_b64 exec, exec, s[6:7]
	v_lshlrev_b32_e32 v6, 16, v11
	v_mul_f32_e32 v6, v4, v6
	v_and_b32_e32 v7, 0x7f800000, v6
	v_cmp_ne_u32_e64 s[0:1], s9, v7
                                        ; implicit-def: $vgpr42
	s_and_saveexec_b64 s[6:7], s[0:1]
	s_xor_b64 s[0:1], exec, s[6:7]
; %bb.1038:                             ;   in Loop: Header=BB377_427 Depth=1
	v_bfe_u32 v7, v6, 16, 1
	v_add3_u32 v42, v6, v7, s12
                                        ; implicit-def: $vgpr6
; %bb.1039:                             ;   in Loop: Header=BB377_427 Depth=1
	s_andn2_saveexec_b64 s[6:7], s[0:1]
; %bb.1040:                             ;   in Loop: Header=BB377_427 Depth=1
	v_or_b32_e32 v7, 0x10000, v6
	v_cmp_eq_u32_sdwa s[0:1], v6, v27 src0_sel:WORD_0 src1_sel:DWORD
	s_nop 1
	v_cndmask_b32_e64 v42, v7, v6, s[0:1]
; %bb.1041:                             ;   in Loop: Header=BB377_427 Depth=1
	s_or_b64 exec, exec, s[6:7]
	v_lshlrev_b32_e32 v6, 16, v10
	v_mul_f32_e32 v6, v48, v6
	v_and_b32_e32 v7, 0x7f800000, v6
	v_cmp_ne_u32_e64 s[0:1], s9, v7
                                        ; implicit-def: $vgpr47
	s_and_saveexec_b64 s[6:7], s[0:1]
	s_xor_b64 s[0:1], exec, s[6:7]
; %bb.1042:                             ;   in Loop: Header=BB377_427 Depth=1
	v_bfe_u32 v7, v6, 16, 1
	v_add3_u32 v47, v6, v7, s12
                                        ; implicit-def: $vgpr6
; %bb.1043:                             ;   in Loop: Header=BB377_427 Depth=1
	s_andn2_saveexec_b64 s[6:7], s[0:1]
; %bb.1044:                             ;   in Loop: Header=BB377_427 Depth=1
	v_or_b32_e32 v7, 0x10000, v6
	v_cmp_eq_u32_sdwa s[0:1], v6, v27 src0_sel:WORD_0 src1_sel:DWORD
	s_nop 1
	v_cndmask_b32_e64 v47, v7, v6, s[0:1]
; %bb.1045:                             ;   in Loop: Header=BB377_427 Depth=1
	s_or_b64 exec, exec, s[6:7]
	v_lshlrev_b32_e32 v3, 16, v3
	v_mul_f32_e32 v3, v52, v3
	v_and_b32_e32 v6, 0x7f800000, v3
	v_cmp_ne_u32_e64 s[0:1], s9, v6
                                        ; implicit-def: $vgpr43
	s_and_saveexec_b64 s[6:7], s[0:1]
	s_xor_b64 s[0:1], exec, s[6:7]
; %bb.1046:                             ;   in Loop: Header=BB377_427 Depth=1
	v_bfe_u32 v6, v3, 16, 1
	v_add3_u32 v43, v3, v6, s12
                                        ; implicit-def: $vgpr3
; %bb.1047:                             ;   in Loop: Header=BB377_427 Depth=1
	s_andn2_saveexec_b64 s[6:7], s[0:1]
; %bb.1048:                             ;   in Loop: Header=BB377_427 Depth=1
	v_or_b32_e32 v6, 0x10000, v3
	v_cmp_eq_u32_sdwa s[0:1], v3, v27 src0_sel:WORD_0 src1_sel:DWORD
	s_nop 1
	v_cndmask_b32_e64 v43, v6, v3, s[0:1]
; %bb.1049:                             ;   in Loop: Header=BB377_427 Depth=1
	s_or_b64 exec, exec, s[6:7]
	v_lshlrev_b32_e32 v2, 16, v2
	v_mul_f32_e32 v2, v53, v2
	v_and_b32_e32 v3, 0x7f800000, v2
	v_cmp_ne_u32_e64 s[0:1], s9, v3
                                        ; implicit-def: $vgpr56
	s_and_saveexec_b64 s[6:7], s[0:1]
	s_xor_b64 s[0:1], exec, s[6:7]
; %bb.1050:                             ;   in Loop: Header=BB377_427 Depth=1
	v_bfe_u32 v3, v2, 16, 1
	v_add3_u32 v56, v2, v3, s12
                                        ; implicit-def: $vgpr2
; %bb.1051:                             ;   in Loop: Header=BB377_427 Depth=1
	s_andn2_saveexec_b64 s[6:7], s[0:1]
; %bb.1052:                             ;   in Loop: Header=BB377_427 Depth=1
	v_or_b32_e32 v3, 0x10000, v2
	v_cmp_eq_u32_sdwa s[0:1], v2, v27 src0_sel:WORD_0 src1_sel:DWORD
	s_nop 1
	v_cndmask_b32_e64 v56, v3, v2, s[0:1]
; %bb.1053:                             ;   in Loop: Header=BB377_427 Depth=1
	s_or_b64 exec, exec, s[6:7]
	scratch_load_dwordx2 v[2:3], off, s32 offset:248 ; 8-byte Folded Reload
	s_waitcnt vmcnt(0)
	v_lshl_add_u64 v[2:3], v[0:1], 0, v[2:3]
	flat_load_dwordx2 v[2:3], v[2:3]
	s_waitcnt vmcnt(0) lgkmcnt(0)
	v_and_b32_e32 v6, 0xff, v2
	v_cvt_f32_fp8_sdwa v6, v6 src0_sel:BYTE_0
	s_nop 0
	v_mul_f32_e32 v7, v54, v6
	v_and_b32_e32 v6, 0x7f800000, v7
	v_cmp_ne_u32_e64 s[0:1], s9, v6
                                        ; implicit-def: $vgpr6
	s_and_saveexec_b64 s[6:7], s[0:1]
	s_xor_b64 s[0:1], exec, s[6:7]
; %bb.1054:                             ;   in Loop: Header=BB377_427 Depth=1
	v_bfe_u32 v6, v7, 16, 1
	v_add3_u32 v6, v7, v6, s12
                                        ; implicit-def: $vgpr7
; %bb.1055:                             ;   in Loop: Header=BB377_427 Depth=1
	s_andn2_saveexec_b64 s[6:7], s[0:1]
; %bb.1056:                             ;   in Loop: Header=BB377_427 Depth=1
	v_or_b32_e32 v6, 0x10000, v7
	v_cmp_eq_u32_sdwa s[0:1], v7, v27 src0_sel:WORD_0 src1_sel:DWORD
	s_nop 1
	v_cndmask_b32_e64 v6, v6, v7, s[0:1]
; %bb.1057:                             ;   in Loop: Header=BB377_427 Depth=1
	s_or_b64 exec, exec, s[6:7]
	v_bfe_u32 v7, v2, 8, 8
	v_cvt_f32_fp8_sdwa v7, v7 src0_sel:BYTE_0
	s_nop 0
	v_mul_f32_e32 v10, v54, v7
	v_and_b32_e32 v7, 0x7f800000, v10
	v_cmp_ne_u32_e64 s[0:1], s9, v7
                                        ; implicit-def: $vgpr7
	s_and_saveexec_b64 s[6:7], s[0:1]
	s_xor_b64 s[0:1], exec, s[6:7]
; %bb.1058:                             ;   in Loop: Header=BB377_427 Depth=1
	v_bfe_u32 v7, v10, 16, 1
	v_add3_u32 v7, v10, v7, s12
                                        ; implicit-def: $vgpr10
; %bb.1059:                             ;   in Loop: Header=BB377_427 Depth=1
	s_andn2_saveexec_b64 s[6:7], s[0:1]
; %bb.1060:                             ;   in Loop: Header=BB377_427 Depth=1
	v_or_b32_e32 v7, 0x10000, v10
	v_cmp_eq_u32_sdwa s[0:1], v10, v27 src0_sel:WORD_0 src1_sel:DWORD
	s_nop 1
	v_cndmask_b32_e64 v7, v7, v10, s[0:1]
; %bb.1061:                             ;   in Loop: Header=BB377_427 Depth=1
	s_or_b64 exec, exec, s[6:7]
	v_bfe_u32 v10, v2, 16, 8
	v_cvt_f32_fp8_sdwa v10, v10 src0_sel:BYTE_0
	s_nop 0
	v_mul_f32_e32 v10, v54, v10
	v_and_b32_e32 v11, 0x7f800000, v10
	v_cmp_ne_u32_e64 s[0:1], s9, v11
                                        ; implicit-def: $vgpr11
	s_and_saveexec_b64 s[6:7], s[0:1]
	s_xor_b64 s[0:1], exec, s[6:7]
; %bb.1062:                             ;   in Loop: Header=BB377_427 Depth=1
	v_bfe_u32 v11, v10, 16, 1
	v_add3_u32 v11, v10, v11, s12
                                        ; implicit-def: $vgpr10
; %bb.1063:                             ;   in Loop: Header=BB377_427 Depth=1
	s_andn2_saveexec_b64 s[6:7], s[0:1]
; %bb.1064:                             ;   in Loop: Header=BB377_427 Depth=1
	v_or_b32_e32 v11, 0x10000, v10
	v_cmp_eq_u32_sdwa s[0:1], v10, v27 src0_sel:WORD_0 src1_sel:DWORD
	s_nop 1
	v_cndmask_b32_e64 v11, v11, v10, s[0:1]
; %bb.1065:                             ;   in Loop: Header=BB377_427 Depth=1
	s_or_b64 exec, exec, s[6:7]
	v_lshrrev_b32_e32 v2, 24, v2
	v_cvt_f32_fp8_sdwa v2, v2 src0_sel:BYTE_0
	s_nop 0
	v_mul_f32_e32 v10, v54, v2
	v_and_b32_e32 v2, 0x7f800000, v10
	v_cmp_ne_u32_e64 s[0:1], s9, v2
                                        ; implicit-def: $vgpr2
	s_and_saveexec_b64 s[6:7], s[0:1]
	s_xor_b64 s[0:1], exec, s[6:7]
; %bb.1066:                             ;   in Loop: Header=BB377_427 Depth=1
	v_bfe_u32 v2, v10, 16, 1
	v_add3_u32 v2, v10, v2, s12
                                        ; implicit-def: $vgpr10
; %bb.1067:                             ;   in Loop: Header=BB377_427 Depth=1
	s_andn2_saveexec_b64 s[6:7], s[0:1]
; %bb.1068:                             ;   in Loop: Header=BB377_427 Depth=1
	v_or_b32_e32 v2, 0x10000, v10
	v_cmp_eq_u32_sdwa s[0:1], v10, v27 src0_sel:WORD_0 src1_sel:DWORD
	s_nop 1
	v_cndmask_b32_e64 v2, v2, v10, s[0:1]
; %bb.1069:                             ;   in Loop: Header=BB377_427 Depth=1
	s_or_b64 exec, exec, s[6:7]
	v_and_b32_e32 v10, 0xff, v3
	v_cvt_f32_fp8_sdwa v10, v10 src0_sel:BYTE_0
	s_nop 0
	v_mul_f32_e32 v10, v54, v10
	v_and_b32_e32 v16, 0x7f800000, v10
	v_cmp_ne_u32_e64 s[0:1], s9, v16
                                        ; implicit-def: $vgpr16
	s_and_saveexec_b64 s[6:7], s[0:1]
	s_xor_b64 s[0:1], exec, s[6:7]
; %bb.1070:                             ;   in Loop: Header=BB377_427 Depth=1
	v_bfe_u32 v16, v10, 16, 1
	v_add3_u32 v16, v10, v16, s12
                                        ; implicit-def: $vgpr10
; %bb.1071:                             ;   in Loop: Header=BB377_427 Depth=1
	s_andn2_saveexec_b64 s[6:7], s[0:1]
; %bb.1072:                             ;   in Loop: Header=BB377_427 Depth=1
	v_or_b32_e32 v16, 0x10000, v10
	v_cmp_eq_u32_sdwa s[0:1], v10, v27 src0_sel:WORD_0 src1_sel:DWORD
	s_nop 1
	v_cndmask_b32_e64 v16, v16, v10, s[0:1]
; %bb.1073:                             ;   in Loop: Header=BB377_427 Depth=1
	s_or_b64 exec, exec, s[6:7]
	v_bfe_u32 v10, v3, 8, 8
	v_cvt_f32_fp8_sdwa v10, v10 src0_sel:BYTE_0
	s_nop 0
	v_mul_f32_e32 v32, v54, v10
	v_and_b32_e32 v10, 0x7f800000, v32
	v_cmp_ne_u32_e64 s[0:1], s9, v10
                                        ; implicit-def: $vgpr10
	s_and_saveexec_b64 s[6:7], s[0:1]
	s_xor_b64 s[0:1], exec, s[6:7]
; %bb.1074:                             ;   in Loop: Header=BB377_427 Depth=1
	v_bfe_u32 v10, v32, 16, 1
	v_add3_u32 v10, v32, v10, s12
                                        ; implicit-def: $vgpr32
; %bb.1075:                             ;   in Loop: Header=BB377_427 Depth=1
	s_andn2_saveexec_b64 s[6:7], s[0:1]
; %bb.1076:                             ;   in Loop: Header=BB377_427 Depth=1
	v_or_b32_e32 v10, 0x10000, v32
	v_cmp_eq_u32_sdwa s[0:1], v32, v27 src0_sel:WORD_0 src1_sel:DWORD
	s_nop 1
	v_cndmask_b32_e64 v10, v10, v32, s[0:1]
; %bb.1077:                             ;   in Loop: Header=BB377_427 Depth=1
	s_or_b64 exec, exec, s[6:7]
	v_bfe_u32 v32, v3, 16, 8
	v_cvt_f32_fp8_sdwa v32, v32 src0_sel:BYTE_0
	s_nop 0
	v_mul_f32_e32 v32, v54, v32
	v_and_b32_e32 v33, 0x7f800000, v32
	v_cmp_ne_u32_e64 s[0:1], s9, v33
                                        ; implicit-def: $vgpr33
	s_and_saveexec_b64 s[6:7], s[0:1]
	s_xor_b64 s[0:1], exec, s[6:7]
; %bb.1078:                             ;   in Loop: Header=BB377_427 Depth=1
	v_bfe_u32 v33, v32, 16, 1
	v_add3_u32 v33, v32, v33, s12
                                        ; implicit-def: $vgpr32
; %bb.1079:                             ;   in Loop: Header=BB377_427 Depth=1
	s_andn2_saveexec_b64 s[6:7], s[0:1]
; %bb.1080:                             ;   in Loop: Header=BB377_427 Depth=1
	v_or_b32_e32 v33, 0x10000, v32
	v_cmp_eq_u32_sdwa s[0:1], v32, v27 src0_sel:WORD_0 src1_sel:DWORD
	s_nop 1
	v_cndmask_b32_e64 v33, v33, v32, s[0:1]
; %bb.1081:                             ;   in Loop: Header=BB377_427 Depth=1
	s_or_b64 exec, exec, s[6:7]
	v_lshrrev_b32_e32 v3, 24, v3
	v_cvt_f32_fp8_sdwa v3, v3 src0_sel:BYTE_0
                                        ; implicit-def: $vgpr34
	s_nop 0
	v_mul_f32_e32 v3, v54, v3
	v_and_b32_e32 v32, 0x7f800000, v3
	v_cmp_ne_u32_e64 s[0:1], s9, v32
	s_and_saveexec_b64 s[6:7], s[0:1]
	s_xor_b64 s[0:1], exec, s[6:7]
; %bb.1082:                             ;   in Loop: Header=BB377_427 Depth=1
	v_bfe_u32 v32, v3, 16, 1
	v_add3_u32 v34, v3, v32, s12
                                        ; implicit-def: $vgpr3
; %bb.1083:                             ;   in Loop: Header=BB377_427 Depth=1
	s_andn2_saveexec_b64 s[6:7], s[0:1]
; %bb.1084:                             ;   in Loop: Header=BB377_427 Depth=1
	v_or_b32_e32 v32, 0x10000, v3
	v_cmp_eq_u32_sdwa s[0:1], v3, v27 src0_sel:WORD_0 src1_sel:DWORD
	s_nop 1
	v_cndmask_b32_e64 v34, v32, v3, s[0:1]
; %bb.1085:                             ;   in Loop: Header=BB377_427 Depth=1
	s_or_b64 exec, exec, s[6:7]
	v_lshrrev_b32_e32 v10, 16, v10
	v_lshrrev_b32_e32 v16, 16, v16
	;; [unrolled: 1-line block ×8, first 2 shown]
	s_and_saveexec_b64 s[6:7], vcc
	s_cbranch_execz .LBB377_1087
; %bb.1086:                             ;   in Loop: Header=BB377_427 Depth=1
	v_accvgpr_read_b32 v33, a29
	v_cmp_lt_i32_e64 s[0:1], v33, v49
	v_accvgpr_read_b32 v33, a35
	s_nop 0
	v_cndmask_b32_e64 v6, 0, v6, s[0:1]
	v_cmp_lt_i32_e64 s[0:1], v33, v49
	v_accvgpr_read_b32 v33, a34
	s_nop 0
	v_cndmask_b32_e64 v7, 0, v7, s[0:1]
	;; [unrolled: 4-line block ×6, first 2 shown]
	v_cmp_lt_i32_e64 s[0:1], v33, v49
	s_nop 1
	v_cndmask_b32_e64 v3, 0, v3, s[0:1]
	v_cmp_lt_i32_e64 s[0:1], v17, v49
	s_nop 1
	v_cndmask_b32_e64 v2, 0, v2, s[0:1]
.LBB377_1087:                           ;   in Loop: Header=BB377_427 Depth=1
	s_or_b64 exec, exec, s[6:7]
	v_lshlrev_b32_e32 v6, 16, v6
	v_mul_f32_e32 v6, v62, v6
	v_and_b32_e32 v33, 0x7f800000, v6
	v_cmp_ne_u32_e64 s[0:1], s9, v33
                                        ; implicit-def: $vgpr57
	s_and_saveexec_b64 s[6:7], s[0:1]
	s_xor_b64 s[0:1], exec, s[6:7]
; %bb.1088:                             ;   in Loop: Header=BB377_427 Depth=1
	v_bfe_u32 v33, v6, 16, 1
	v_add3_u32 v57, v6, v33, s12
                                        ; implicit-def: $vgpr6
; %bb.1089:                             ;   in Loop: Header=BB377_427 Depth=1
	s_andn2_saveexec_b64 s[6:7], s[0:1]
; %bb.1090:                             ;   in Loop: Header=BB377_427 Depth=1
	v_or_b32_e32 v33, 0x10000, v6
	v_cmp_eq_u32_sdwa s[0:1], v6, v27 src0_sel:WORD_0 src1_sel:DWORD
	s_nop 1
	v_cndmask_b32_e64 v57, v33, v6, s[0:1]
; %bb.1091:                             ;   in Loop: Header=BB377_427 Depth=1
	s_or_b64 exec, exec, s[6:7]
	v_lshlrev_b32_e32 v6, 16, v7
	v_mul_f32_e32 v6, v23, v6
	v_and_b32_e32 v7, 0x7f800000, v6
	v_cmp_ne_u32_e64 s[0:1], s9, v7
                                        ; implicit-def: $vgpr58
	s_and_saveexec_b64 s[6:7], s[0:1]
	s_xor_b64 s[0:1], exec, s[6:7]
; %bb.1092:                             ;   in Loop: Header=BB377_427 Depth=1
	v_bfe_u32 v7, v6, 16, 1
	v_add3_u32 v58, v6, v7, s12
                                        ; implicit-def: $vgpr6
; %bb.1093:                             ;   in Loop: Header=BB377_427 Depth=1
	s_andn2_saveexec_b64 s[6:7], s[0:1]
; %bb.1094:                             ;   in Loop: Header=BB377_427 Depth=1
	v_or_b32_e32 v7, 0x10000, v6
	v_cmp_eq_u32_sdwa s[0:1], v6, v27 src0_sel:WORD_0 src1_sel:DWORD
	s_nop 1
	v_cndmask_b32_e64 v58, v7, v6, s[0:1]
; %bb.1095:                             ;   in Loop: Header=BB377_427 Depth=1
	s_or_b64 exec, exec, s[6:7]
	v_lshlrev_b32_e32 v6, 16, v11
	v_mul_f32_e32 v6, v51, v6
	v_and_b32_e32 v7, 0x7f800000, v6
	v_cmp_ne_u32_e64 s[0:1], s9, v7
                                        ; implicit-def: $vgpr59
	s_and_saveexec_b64 s[6:7], s[0:1]
	s_xor_b64 s[0:1], exec, s[6:7]
; %bb.1096:                             ;   in Loop: Header=BB377_427 Depth=1
	v_bfe_u32 v7, v6, 16, 1
	v_add3_u32 v59, v6, v7, s12
                                        ; implicit-def: $vgpr6
; %bb.1097:                             ;   in Loop: Header=BB377_427 Depth=1
	s_andn2_saveexec_b64 s[6:7], s[0:1]
; %bb.1098:                             ;   in Loop: Header=BB377_427 Depth=1
	v_or_b32_e32 v7, 0x10000, v6
	v_cmp_eq_u32_sdwa s[0:1], v6, v27 src0_sel:WORD_0 src1_sel:DWORD
	s_nop 1
	v_cndmask_b32_e64 v59, v7, v6, s[0:1]
; %bb.1099:                             ;   in Loop: Header=BB377_427 Depth=1
	s_or_b64 exec, exec, s[6:7]
	v_lshlrev_b32_e32 v6, 16, v32
	v_mul_f32_e32 v6, v5, v6
	v_and_b32_e32 v7, 0x7f800000, v6
	v_cmp_ne_u32_e64 s[0:1], s9, v7
                                        ; implicit-def: $vgpr60
	s_and_saveexec_b64 s[6:7], s[0:1]
	s_xor_b64 s[0:1], exec, s[6:7]
; %bb.1100:                             ;   in Loop: Header=BB377_427 Depth=1
	v_bfe_u32 v7, v6, 16, 1
	v_add3_u32 v60, v6, v7, s12
                                        ; implicit-def: $vgpr6
; %bb.1101:                             ;   in Loop: Header=BB377_427 Depth=1
	s_andn2_saveexec_b64 s[6:7], s[0:1]
; %bb.1102:                             ;   in Loop: Header=BB377_427 Depth=1
	v_or_b32_e32 v7, 0x10000, v6
	v_cmp_eq_u32_sdwa s[0:1], v6, v27 src0_sel:WORD_0 src1_sel:DWORD
	s_nop 1
	v_cndmask_b32_e64 v60, v7, v6, s[0:1]
; %bb.1103:                             ;   in Loop: Header=BB377_427 Depth=1
	s_or_b64 exec, exec, s[6:7]
	v_lshlrev_b32_e32 v6, 16, v16
	v_mul_f32_e32 v6, v4, v6
	v_and_b32_e32 v7, 0x7f800000, v6
	v_cmp_ne_u32_e64 s[0:1], s9, v7
                                        ; implicit-def: $vgpr61
	s_and_saveexec_b64 s[6:7], s[0:1]
	s_xor_b64 s[0:1], exec, s[6:7]
; %bb.1104:                             ;   in Loop: Header=BB377_427 Depth=1
	v_bfe_u32 v7, v6, 16, 1
	v_add3_u32 v61, v6, v7, s12
                                        ; implicit-def: $vgpr6
; %bb.1105:                             ;   in Loop: Header=BB377_427 Depth=1
	s_andn2_saveexec_b64 s[6:7], s[0:1]
; %bb.1106:                             ;   in Loop: Header=BB377_427 Depth=1
	v_or_b32_e32 v7, 0x10000, v6
	v_cmp_eq_u32_sdwa s[0:1], v6, v27 src0_sel:WORD_0 src1_sel:DWORD
	s_nop 1
	v_cndmask_b32_e64 v61, v7, v6, s[0:1]
; %bb.1107:                             ;   in Loop: Header=BB377_427 Depth=1
	s_or_b64 exec, exec, s[6:7]
	v_lshlrev_b32_e32 v6, 16, v10
	v_mul_f32_e32 v6, v48, v6
	v_and_b32_e32 v7, 0x7f800000, v6
	v_cmp_ne_u32_e64 s[0:1], s9, v7
                                        ; implicit-def: $vgpr16
	s_and_saveexec_b64 s[6:7], s[0:1]
	s_xor_b64 s[0:1], exec, s[6:7]
; %bb.1108:                             ;   in Loop: Header=BB377_427 Depth=1
	v_bfe_u32 v7, v6, 16, 1
	v_add3_u32 v16, v6, v7, s12
                                        ; implicit-def: $vgpr6
; %bb.1109:                             ;   in Loop: Header=BB377_427 Depth=1
	s_andn2_saveexec_b64 s[6:7], s[0:1]
; %bb.1110:                             ;   in Loop: Header=BB377_427 Depth=1
	v_or_b32_e32 v7, 0x10000, v6
	v_cmp_eq_u32_sdwa s[0:1], v6, v27 src0_sel:WORD_0 src1_sel:DWORD
	s_nop 1
	v_cndmask_b32_e64 v16, v7, v6, s[0:1]
; %bb.1111:                             ;   in Loop: Header=BB377_427 Depth=1
	s_or_b64 exec, exec, s[6:7]
	v_lshlrev_b32_e32 v3, 16, v3
	v_mul_f32_e32 v3, v52, v3
	v_and_b32_e32 v6, 0x7f800000, v3
	v_cmp_ne_u32_e64 s[0:1], s9, v6
                                        ; implicit-def: $vgpr44
	s_and_saveexec_b64 s[6:7], s[0:1]
	s_xor_b64 s[0:1], exec, s[6:7]
; %bb.1112:                             ;   in Loop: Header=BB377_427 Depth=1
	v_bfe_u32 v6, v3, 16, 1
	v_add3_u32 v44, v3, v6, s12
                                        ; implicit-def: $vgpr3
; %bb.1113:                             ;   in Loop: Header=BB377_427 Depth=1
	s_andn2_saveexec_b64 s[6:7], s[0:1]
; %bb.1114:                             ;   in Loop: Header=BB377_427 Depth=1
	v_or_b32_e32 v6, 0x10000, v3
	v_cmp_eq_u32_sdwa s[0:1], v3, v27 src0_sel:WORD_0 src1_sel:DWORD
	s_nop 1
	v_cndmask_b32_e64 v44, v6, v3, s[0:1]
; %bb.1115:                             ;   in Loop: Header=BB377_427 Depth=1
	s_or_b64 exec, exec, s[6:7]
	v_lshlrev_b32_e32 v2, 16, v2
	v_mul_f32_e32 v2, v53, v2
	v_and_b32_e32 v3, 0x7f800000, v2
	v_cmp_ne_u32_e64 s[0:1], s9, v3
                                        ; implicit-def: $vgpr6
	s_and_saveexec_b64 s[6:7], s[0:1]
	s_xor_b64 s[0:1], exec, s[6:7]
; %bb.1116:                             ;   in Loop: Header=BB377_427 Depth=1
	v_bfe_u32 v3, v2, 16, 1
	v_add3_u32 v6, v2, v3, s12
                                        ; implicit-def: $vgpr2
; %bb.1117:                             ;   in Loop: Header=BB377_427 Depth=1
	s_andn2_saveexec_b64 s[6:7], s[0:1]
; %bb.1118:                             ;   in Loop: Header=BB377_427 Depth=1
	v_or_b32_e32 v3, 0x10000, v2
	v_cmp_eq_u32_sdwa s[0:1], v2, v27 src0_sel:WORD_0 src1_sel:DWORD
	s_nop 1
	v_cndmask_b32_e64 v6, v3, v2, s[0:1]
; %bb.1119:                             ;   in Loop: Header=BB377_427 Depth=1
	s_or_b64 exec, exec, s[6:7]
	scratch_load_dwordx2 v[2:3], off, s32 offset:256 ; 8-byte Folded Reload
	s_waitcnt vmcnt(0)
	v_lshl_add_u64 v[2:3], v[0:1], 0, v[2:3]
	flat_load_dwordx2 v[2:3], v[2:3]
	s_waitcnt vmcnt(0) lgkmcnt(0)
	v_and_b32_e32 v7, 0xff, v2
	v_cvt_f32_fp8_sdwa v7, v7 src0_sel:BYTE_0
	s_nop 0
	v_mul_f32_e32 v10, v54, v7
	v_and_b32_e32 v7, 0x7f800000, v10
	v_cmp_ne_u32_e64 s[0:1], s9, v7
                                        ; implicit-def: $vgpr7
	s_and_saveexec_b64 s[6:7], s[0:1]
	s_xor_b64 s[0:1], exec, s[6:7]
; %bb.1120:                             ;   in Loop: Header=BB377_427 Depth=1
	v_bfe_u32 v7, v10, 16, 1
	v_add3_u32 v7, v10, v7, s12
                                        ; implicit-def: $vgpr10
; %bb.1121:                             ;   in Loop: Header=BB377_427 Depth=1
	s_andn2_saveexec_b64 s[6:7], s[0:1]
; %bb.1122:                             ;   in Loop: Header=BB377_427 Depth=1
	v_or_b32_e32 v7, 0x10000, v10
	v_cmp_eq_u32_sdwa s[0:1], v10, v27 src0_sel:WORD_0 src1_sel:DWORD
	s_nop 1
	v_cndmask_b32_e64 v7, v7, v10, s[0:1]
; %bb.1123:                             ;   in Loop: Header=BB377_427 Depth=1
	s_or_b64 exec, exec, s[6:7]
	v_bfe_u32 v10, v2, 8, 8
	v_cvt_f32_fp8_sdwa v10, v10 src0_sel:BYTE_0
	s_nop 0
	v_mul_f32_e32 v11, v54, v10
	v_and_b32_e32 v10, 0x7f800000, v11
	v_cmp_ne_u32_e64 s[0:1], s9, v10
                                        ; implicit-def: $vgpr10
	s_and_saveexec_b64 s[6:7], s[0:1]
	s_xor_b64 s[0:1], exec, s[6:7]
; %bb.1124:                             ;   in Loop: Header=BB377_427 Depth=1
	v_bfe_u32 v10, v11, 16, 1
	v_add3_u32 v10, v11, v10, s12
                                        ; implicit-def: $vgpr11
; %bb.1125:                             ;   in Loop: Header=BB377_427 Depth=1
	s_andn2_saveexec_b64 s[6:7], s[0:1]
; %bb.1126:                             ;   in Loop: Header=BB377_427 Depth=1
	v_or_b32_e32 v10, 0x10000, v11
	v_cmp_eq_u32_sdwa s[0:1], v11, v27 src0_sel:WORD_0 src1_sel:DWORD
	s_nop 1
	v_cndmask_b32_e64 v10, v10, v11, s[0:1]
; %bb.1127:                             ;   in Loop: Header=BB377_427 Depth=1
	s_or_b64 exec, exec, s[6:7]
	v_bfe_u32 v11, v2, 16, 8
	v_cvt_f32_fp8_sdwa v11, v11 src0_sel:BYTE_0
	s_nop 0
	v_mul_f32_e32 v32, v54, v11
	v_and_b32_e32 v11, 0x7f800000, v32
	v_cmp_ne_u32_e64 s[0:1], s9, v11
                                        ; implicit-def: $vgpr11
	s_and_saveexec_b64 s[6:7], s[0:1]
	s_xor_b64 s[0:1], exec, s[6:7]
; %bb.1128:                             ;   in Loop: Header=BB377_427 Depth=1
	v_bfe_u32 v11, v32, 16, 1
	v_add3_u32 v11, v32, v11, s12
                                        ; implicit-def: $vgpr32
; %bb.1129:                             ;   in Loop: Header=BB377_427 Depth=1
	s_andn2_saveexec_b64 s[6:7], s[0:1]
; %bb.1130:                             ;   in Loop: Header=BB377_427 Depth=1
	v_or_b32_e32 v11, 0x10000, v32
	v_cmp_eq_u32_sdwa s[0:1], v32, v27 src0_sel:WORD_0 src1_sel:DWORD
	s_nop 1
	v_cndmask_b32_e64 v11, v11, v32, s[0:1]
; %bb.1131:                             ;   in Loop: Header=BB377_427 Depth=1
	s_or_b64 exec, exec, s[6:7]
	v_lshrrev_b32_e32 v2, 24, v2
	v_cvt_f32_fp8_sdwa v2, v2 src0_sel:BYTE_0
	s_nop 0
	v_mul_f32_e32 v32, v54, v2
	v_and_b32_e32 v2, 0x7f800000, v32
	v_cmp_ne_u32_e64 s[0:1], s9, v2
                                        ; implicit-def: $vgpr2
	s_and_saveexec_b64 s[6:7], s[0:1]
	s_xor_b64 s[0:1], exec, s[6:7]
; %bb.1132:                             ;   in Loop: Header=BB377_427 Depth=1
	v_bfe_u32 v2, v32, 16, 1
	v_add3_u32 v2, v32, v2, s12
                                        ; implicit-def: $vgpr32
; %bb.1133:                             ;   in Loop: Header=BB377_427 Depth=1
	s_andn2_saveexec_b64 s[6:7], s[0:1]
; %bb.1134:                             ;   in Loop: Header=BB377_427 Depth=1
	v_or_b32_e32 v2, 0x10000, v32
	v_cmp_eq_u32_sdwa s[0:1], v32, v27 src0_sel:WORD_0 src1_sel:DWORD
	s_nop 1
	v_cndmask_b32_e64 v2, v2, v32, s[0:1]
; %bb.1135:                             ;   in Loop: Header=BB377_427 Depth=1
	s_or_b64 exec, exec, s[6:7]
	v_and_b32_e32 v32, 0xff, v3
	v_cvt_f32_fp8_sdwa v32, v32 src0_sel:BYTE_0
	s_nop 0
	v_mul_f32_e32 v32, v54, v32
	v_and_b32_e32 v33, 0x7f800000, v32
	v_cmp_ne_u32_e64 s[0:1], s9, v33
                                        ; implicit-def: $vgpr33
	s_and_saveexec_b64 s[6:7], s[0:1]
	s_xor_b64 s[0:1], exec, s[6:7]
; %bb.1136:                             ;   in Loop: Header=BB377_427 Depth=1
	v_bfe_u32 v33, v32, 16, 1
	v_add3_u32 v33, v32, v33, s12
                                        ; implicit-def: $vgpr32
; %bb.1137:                             ;   in Loop: Header=BB377_427 Depth=1
	s_andn2_saveexec_b64 s[6:7], s[0:1]
; %bb.1138:                             ;   in Loop: Header=BB377_427 Depth=1
	v_or_b32_e32 v33, 0x10000, v32
	v_cmp_eq_u32_sdwa s[0:1], v32, v27 src0_sel:WORD_0 src1_sel:DWORD
	s_nop 1
	v_cndmask_b32_e64 v33, v33, v32, s[0:1]
; %bb.1139:                             ;   in Loop: Header=BB377_427 Depth=1
	s_or_b64 exec, exec, s[6:7]
	v_bfe_u32 v32, v3, 8, 8
	v_cvt_f32_fp8_sdwa v32, v32 src0_sel:BYTE_0
	s_nop 0
	v_mul_f32_e32 v34, v54, v32
	v_and_b32_e32 v32, 0x7f800000, v34
	v_cmp_ne_u32_e64 s[0:1], s9, v32
                                        ; implicit-def: $vgpr32
	s_and_saveexec_b64 s[6:7], s[0:1]
	s_xor_b64 s[0:1], exec, s[6:7]
; %bb.1140:                             ;   in Loop: Header=BB377_427 Depth=1
	v_bfe_u32 v32, v34, 16, 1
	v_add3_u32 v32, v34, v32, s12
                                        ; implicit-def: $vgpr34
; %bb.1141:                             ;   in Loop: Header=BB377_427 Depth=1
	s_andn2_saveexec_b64 s[6:7], s[0:1]
; %bb.1142:                             ;   in Loop: Header=BB377_427 Depth=1
	v_or_b32_e32 v32, 0x10000, v34
	v_cmp_eq_u32_sdwa s[0:1], v34, v27 src0_sel:WORD_0 src1_sel:DWORD
	s_nop 1
	v_cndmask_b32_e64 v32, v32, v34, s[0:1]
; %bb.1143:                             ;   in Loop: Header=BB377_427 Depth=1
	s_or_b64 exec, exec, s[6:7]
	v_bfe_u32 v34, v3, 16, 8
	v_cvt_f32_fp8_sdwa v34, v34 src0_sel:BYTE_0
                                        ; implicit-def: $vgpr36
	s_nop 0
	v_mul_f32_e32 v34, v54, v34
	v_and_b32_e32 v35, 0x7f800000, v34
	v_cmp_ne_u32_e64 s[0:1], s9, v35
	s_and_saveexec_b64 s[6:7], s[0:1]
	s_xor_b64 s[0:1], exec, s[6:7]
; %bb.1144:                             ;   in Loop: Header=BB377_427 Depth=1
	v_bfe_u32 v35, v34, 16, 1
	v_add3_u32 v36, v34, v35, s12
                                        ; implicit-def: $vgpr34
; %bb.1145:                             ;   in Loop: Header=BB377_427 Depth=1
	s_andn2_saveexec_b64 s[6:7], s[0:1]
; %bb.1146:                             ;   in Loop: Header=BB377_427 Depth=1
	v_or_b32_e32 v35, 0x10000, v34
	v_cmp_eq_u32_sdwa s[0:1], v34, v27 src0_sel:WORD_0 src1_sel:DWORD
	s_nop 1
	v_cndmask_b32_e64 v36, v35, v34, s[0:1]
; %bb.1147:                             ;   in Loop: Header=BB377_427 Depth=1
	s_or_b64 exec, exec, s[6:7]
	v_lshrrev_b32_e32 v3, 24, v3
	v_cvt_f32_fp8_sdwa v3, v3 src0_sel:BYTE_0
                                        ; implicit-def: $vgpr37
	s_nop 0
	v_mul_f32_e32 v3, v54, v3
	v_and_b32_e32 v34, 0x7f800000, v3
	v_cmp_ne_u32_e64 s[0:1], s9, v34
	s_and_saveexec_b64 s[6:7], s[0:1]
	s_xor_b64 s[0:1], exec, s[6:7]
; %bb.1148:                             ;   in Loop: Header=BB377_427 Depth=1
	v_bfe_u32 v34, v3, 16, 1
	v_add3_u32 v37, v3, v34, s12
                                        ; implicit-def: $vgpr3
; %bb.1149:                             ;   in Loop: Header=BB377_427 Depth=1
	s_andn2_saveexec_b64 s[6:7], s[0:1]
; %bb.1150:                             ;   in Loop: Header=BB377_427 Depth=1
	v_or_b32_e32 v34, 0x10000, v3
	v_cmp_eq_u32_sdwa s[0:1], v3, v27 src0_sel:WORD_0 src1_sel:DWORD
	s_nop 1
	v_cndmask_b32_e64 v37, v34, v3, s[0:1]
; %bb.1151:                             ;   in Loop: Header=BB377_427 Depth=1
	s_or_b64 exec, exec, s[6:7]
	v_lshrrev_b32_e32 v32, 16, v32
	v_lshrrev_b32_e32 v33, 16, v33
	;; [unrolled: 1-line block ×8, first 2 shown]
	s_and_saveexec_b64 s[6:7], vcc
	s_cbranch_execz .LBB377_1153
; %bb.1152:                             ;   in Loop: Header=BB377_427 Depth=1
	v_accvgpr_read_b32 v7, a29
	v_cmp_lt_i32_e64 s[0:1], v7, v49
	v_accvgpr_read_b32 v7, a35
	s_nop 0
	v_cndmask_b32_e64 v2, 0, v2, s[0:1]
	v_cmp_lt_i32_e64 s[0:1], v7, v49
	v_accvgpr_read_b32 v7, a34
	s_nop 0
	v_cndmask_b32_e64 v3, 0, v3, s[0:1]
	;; [unrolled: 4-line block ×6, first 2 shown]
	v_cmp_lt_i32_e64 s[0:1], v7, v49
	s_nop 1
	v_cndmask_b32_e64 v11, 0, v11, s[0:1]
	v_cmp_lt_i32_e64 s[0:1], v17, v49
	s_nop 1
	v_cndmask_b32_e64 v10, 0, v10, s[0:1]
.LBB377_1153:                           ;   in Loop: Header=BB377_427 Depth=1
	s_or_b64 exec, exec, s[6:7]
	v_lshlrev_b32_e32 v2, 16, v2
	v_mul_f32_e32 v7, v62, v2
	v_and_b32_e32 v2, 0x7f800000, v7
	v_cmp_ne_u32_e64 s[0:1], s9, v2
                                        ; implicit-def: $vgpr2
	s_and_saveexec_b64 s[6:7], s[0:1]
	s_xor_b64 s[0:1], exec, s[6:7]
; %bb.1154:                             ;   in Loop: Header=BB377_427 Depth=1
	v_bfe_u32 v2, v7, 16, 1
	v_add3_u32 v2, v7, v2, s12
                                        ; implicit-def: $vgpr7
; %bb.1155:                             ;   in Loop: Header=BB377_427 Depth=1
	s_andn2_saveexec_b64 s[6:7], s[0:1]
; %bb.1156:                             ;   in Loop: Header=BB377_427 Depth=1
	v_or_b32_e32 v2, 0x10000, v7
	v_cmp_eq_u32_sdwa s[0:1], v7, v27 src0_sel:WORD_0 src1_sel:DWORD
	s_nop 1
	v_cndmask_b32_e64 v2, v2, v7, s[0:1]
; %bb.1157:                             ;   in Loop: Header=BB377_427 Depth=1
	s_or_b64 exec, exec, s[6:7]
	v_lshlrev_b32_e32 v3, 16, v3
	v_mul_f32_e32 v7, v23, v3
	v_and_b32_e32 v3, 0x7f800000, v7
	v_cmp_ne_u32_e64 s[0:1], s9, v3
                                        ; implicit-def: $vgpr3
	s_and_saveexec_b64 s[6:7], s[0:1]
	s_xor_b64 s[0:1], exec, s[6:7]
; %bb.1158:                             ;   in Loop: Header=BB377_427 Depth=1
	v_bfe_u32 v3, v7, 16, 1
	v_add3_u32 v3, v7, v3, s12
                                        ; implicit-def: $vgpr7
; %bb.1159:                             ;   in Loop: Header=BB377_427 Depth=1
	s_andn2_saveexec_b64 s[6:7], s[0:1]
; %bb.1160:                             ;   in Loop: Header=BB377_427 Depth=1
	v_or_b32_e32 v3, 0x10000, v7
	v_cmp_eq_u32_sdwa s[0:1], v7, v27 src0_sel:WORD_0 src1_sel:DWORD
	s_nop 1
	v_cndmask_b32_e64 v3, v3, v7, s[0:1]
; %bb.1161:                             ;   in Loop: Header=BB377_427 Depth=1
	s_or_b64 exec, exec, s[6:7]
	v_lshlrev_b32_e32 v7, 16, v35
	v_mul_f32_e32 v35, v51, v7
	v_and_b32_e32 v7, 0x7f800000, v35
	v_cmp_ne_u32_e64 s[0:1], s9, v7
                                        ; implicit-def: $vgpr7
	s_and_saveexec_b64 s[6:7], s[0:1]
	s_xor_b64 s[0:1], exec, s[6:7]
; %bb.1162:                             ;   in Loop: Header=BB377_427 Depth=1
	v_bfe_u32 v7, v35, 16, 1
	v_add3_u32 v7, v35, v7, s12
                                        ; implicit-def: $vgpr35
; %bb.1163:                             ;   in Loop: Header=BB377_427 Depth=1
	s_andn2_saveexec_b64 s[6:7], s[0:1]
; %bb.1164:                             ;   in Loop: Header=BB377_427 Depth=1
	v_or_b32_e32 v7, 0x10000, v35
	v_cmp_eq_u32_sdwa s[0:1], v35, v27 src0_sel:WORD_0 src1_sel:DWORD
	s_nop 1
	v_cndmask_b32_e64 v7, v7, v35, s[0:1]
; %bb.1165:                             ;   in Loop: Header=BB377_427 Depth=1
	s_or_b64 exec, exec, s[6:7]
	v_lshlrev_b32_e32 v34, 16, v34
	v_mul_f32_e32 v34, v5, v34
	v_and_b32_e32 v35, 0x7f800000, v34
	v_cmp_ne_u32_e64 s[0:1], s9, v35
                                        ; implicit-def: $vgpr45
	s_and_saveexec_b64 s[6:7], s[0:1]
	s_xor_b64 s[0:1], exec, s[6:7]
; %bb.1166:                             ;   in Loop: Header=BB377_427 Depth=1
	v_bfe_u32 v35, v34, 16, 1
	v_add3_u32 v45, v34, v35, s12
                                        ; implicit-def: $vgpr34
; %bb.1167:                             ;   in Loop: Header=BB377_427 Depth=1
	s_andn2_saveexec_b64 s[6:7], s[0:1]
; %bb.1168:                             ;   in Loop: Header=BB377_427 Depth=1
	v_or_b32_e32 v35, 0x10000, v34
	v_cmp_eq_u32_sdwa s[0:1], v34, v27 src0_sel:WORD_0 src1_sel:DWORD
	s_nop 1
	v_cndmask_b32_e64 v45, v35, v34, s[0:1]
; %bb.1169:                             ;   in Loop: Header=BB377_427 Depth=1
	s_or_b64 exec, exec, s[6:7]
	v_lshlrev_b32_e32 v33, 16, v33
	v_mul_f32_e32 v33, v4, v33
	v_and_b32_e32 v34, 0x7f800000, v33
	v_cmp_ne_u32_e64 s[0:1], s9, v34
                                        ; implicit-def: $vgpr46
	s_and_saveexec_b64 s[6:7], s[0:1]
	s_xor_b64 s[0:1], exec, s[6:7]
; %bb.1170:                             ;   in Loop: Header=BB377_427 Depth=1
	v_bfe_u32 v34, v33, 16, 1
	v_add3_u32 v46, v33, v34, s12
                                        ; implicit-def: $vgpr33
; %bb.1171:                             ;   in Loop: Header=BB377_427 Depth=1
	s_andn2_saveexec_b64 s[6:7], s[0:1]
; %bb.1172:                             ;   in Loop: Header=BB377_427 Depth=1
	v_or_b32_e32 v34, 0x10000, v33
	v_cmp_eq_u32_sdwa s[0:1], v33, v27 src0_sel:WORD_0 src1_sel:DWORD
	s_nop 1
	v_cndmask_b32_e64 v46, v34, v33, s[0:1]
; %bb.1173:                             ;   in Loop: Header=BB377_427 Depth=1
	s_or_b64 exec, exec, s[6:7]
	v_lshlrev_b32_e32 v32, 16, v32
	v_mul_f32_e32 v32, v48, v32
	v_and_b32_e32 v33, 0x7f800000, v32
	v_cmp_ne_u32_e64 s[0:1], s9, v33
                                        ; implicit-def: $vgpr55
	s_and_saveexec_b64 s[6:7], s[0:1]
	s_xor_b64 s[0:1], exec, s[6:7]
; %bb.1174:                             ;   in Loop: Header=BB377_427 Depth=1
	v_bfe_u32 v33, v32, 16, 1
	v_add3_u32 v55, v32, v33, s12
                                        ; implicit-def: $vgpr32
; %bb.1175:                             ;   in Loop: Header=BB377_427 Depth=1
	s_andn2_saveexec_b64 s[6:7], s[0:1]
; %bb.1176:                             ;   in Loop: Header=BB377_427 Depth=1
	v_or_b32_e32 v33, 0x10000, v32
	v_cmp_eq_u32_sdwa s[0:1], v32, v27 src0_sel:WORD_0 src1_sel:DWORD
	s_nop 1
	v_cndmask_b32_e64 v55, v33, v32, s[0:1]
; %bb.1177:                             ;   in Loop: Header=BB377_427 Depth=1
	s_or_b64 exec, exec, s[6:7]
	v_lshlrev_b32_e32 v11, 16, v11
	v_mul_f32_e32 v11, v52, v11
	v_and_b32_e32 v32, 0x7f800000, v11
	v_cmp_ne_u32_e64 s[0:1], s9, v32
                                        ; implicit-def: $vgpr50
	s_and_saveexec_b64 s[6:7], s[0:1]
	s_xor_b64 s[0:1], exec, s[6:7]
; %bb.1178:                             ;   in Loop: Header=BB377_427 Depth=1
	v_bfe_u32 v32, v11, 16, 1
	v_add3_u32 v50, v11, v32, s12
                                        ; implicit-def: $vgpr11
; %bb.1179:                             ;   in Loop: Header=BB377_427 Depth=1
	s_andn2_saveexec_b64 s[6:7], s[0:1]
; %bb.1180:                             ;   in Loop: Header=BB377_427 Depth=1
	v_or_b32_e32 v32, 0x10000, v11
	v_cmp_eq_u32_sdwa s[0:1], v11, v27 src0_sel:WORD_0 src1_sel:DWORD
	s_nop 1
	v_cndmask_b32_e64 v50, v32, v11, s[0:1]
; %bb.1181:                             ;   in Loop: Header=BB377_427 Depth=1
	s_or_b64 exec, exec, s[6:7]
	v_lshlrev_b32_e32 v10, 16, v10
	v_mul_f32_e32 v11, v53, v10
	v_and_b32_e32 v10, 0x7f800000, v11
	v_cmp_ne_u32_e64 s[0:1], s9, v10
                                        ; implicit-def: $vgpr10
	s_and_saveexec_b64 s[6:7], s[0:1]
	s_xor_b64 s[0:1], exec, s[6:7]
; %bb.1182:                             ;   in Loop: Header=BB377_427 Depth=1
	v_bfe_u32 v10, v11, 16, 1
	v_add3_u32 v10, v11, v10, s12
                                        ; implicit-def: $vgpr11
; %bb.1183:                             ;   in Loop: Header=BB377_427 Depth=1
	s_andn2_saveexec_b64 s[6:7], s[0:1]
; %bb.1184:                             ;   in Loop: Header=BB377_427 Depth=1
	v_or_b32_e32 v10, 0x10000, v11
	v_cmp_eq_u32_sdwa s[0:1], v11, v27 src0_sel:WORD_0 src1_sel:DWORD
	s_nop 1
	v_cndmask_b32_e64 v10, v10, v11, s[0:1]
; %bb.1185:                             ;   in Loop: Header=BB377_427 Depth=1
	s_or_b64 exec, exec, s[6:7]
	scratch_load_dwordx2 v[32:33], off, s32 offset:264 ; 8-byte Folded Reload
	s_waitcnt vmcnt(0)
	v_lshl_add_u64 v[0:1], v[0:1], 0, v[32:33]
	flat_load_dwordx2 v[0:1], v[0:1]
	s_waitcnt vmcnt(0) lgkmcnt(0)
	v_and_b32_e32 v11, 0xff, v0
	v_cvt_f32_fp8_sdwa v11, v11 src0_sel:BYTE_0
	s_nop 0
	v_mul_f32_e32 v32, v54, v11
	v_and_b32_e32 v11, 0x7f800000, v32
	v_cmp_ne_u32_e64 s[0:1], s9, v11
                                        ; implicit-def: $vgpr11
	s_and_saveexec_b64 s[6:7], s[0:1]
	s_xor_b64 s[0:1], exec, s[6:7]
; %bb.1186:                             ;   in Loop: Header=BB377_427 Depth=1
	v_bfe_u32 v11, v32, 16, 1
	v_add3_u32 v11, v32, v11, s12
                                        ; implicit-def: $vgpr32
; %bb.1187:                             ;   in Loop: Header=BB377_427 Depth=1
	s_andn2_saveexec_b64 s[6:7], s[0:1]
; %bb.1188:                             ;   in Loop: Header=BB377_427 Depth=1
	v_or_b32_e32 v11, 0x10000, v32
	v_cmp_eq_u32_sdwa s[0:1], v32, v27 src0_sel:WORD_0 src1_sel:DWORD
	s_nop 1
	v_cndmask_b32_e64 v11, v11, v32, s[0:1]
; %bb.1189:                             ;   in Loop: Header=BB377_427 Depth=1
	s_or_b64 exec, exec, s[6:7]
	v_bfe_u32 v32, v0, 8, 8
	v_cvt_f32_fp8_sdwa v32, v32 src0_sel:BYTE_0
	s_nop 0
	v_mul_f32_e32 v33, v54, v32
	v_and_b32_e32 v32, 0x7f800000, v33
	v_cmp_ne_u32_e64 s[0:1], s9, v32
                                        ; implicit-def: $vgpr32
	s_and_saveexec_b64 s[6:7], s[0:1]
	s_xor_b64 s[0:1], exec, s[6:7]
; %bb.1190:                             ;   in Loop: Header=BB377_427 Depth=1
	v_bfe_u32 v32, v33, 16, 1
	v_add3_u32 v32, v33, v32, s12
                                        ; implicit-def: $vgpr33
; %bb.1191:                             ;   in Loop: Header=BB377_427 Depth=1
	s_andn2_saveexec_b64 s[6:7], s[0:1]
; %bb.1192:                             ;   in Loop: Header=BB377_427 Depth=1
	v_or_b32_e32 v32, 0x10000, v33
	v_cmp_eq_u32_sdwa s[0:1], v33, v27 src0_sel:WORD_0 src1_sel:DWORD
	s_nop 1
	v_cndmask_b32_e64 v32, v32, v33, s[0:1]
; %bb.1193:                             ;   in Loop: Header=BB377_427 Depth=1
	s_or_b64 exec, exec, s[6:7]
	v_bfe_u32 v33, v0, 16, 8
	v_cvt_f32_fp8_sdwa v33, v33 src0_sel:BYTE_0
	s_nop 0
	v_mul_f32_e32 v33, v54, v33
	v_and_b32_e32 v34, 0x7f800000, v33
	v_cmp_ne_u32_e64 s[0:1], s9, v34
                                        ; implicit-def: $vgpr34
	s_and_saveexec_b64 s[6:7], s[0:1]
	s_xor_b64 s[0:1], exec, s[6:7]
; %bb.1194:                             ;   in Loop: Header=BB377_427 Depth=1
	v_bfe_u32 v34, v33, 16, 1
	v_add3_u32 v34, v33, v34, s12
                                        ; implicit-def: $vgpr33
; %bb.1195:                             ;   in Loop: Header=BB377_427 Depth=1
	s_andn2_saveexec_b64 s[6:7], s[0:1]
; %bb.1196:                             ;   in Loop: Header=BB377_427 Depth=1
	v_or_b32_e32 v34, 0x10000, v33
	v_cmp_eq_u32_sdwa s[0:1], v33, v27 src0_sel:WORD_0 src1_sel:DWORD
	s_nop 1
	v_cndmask_b32_e64 v34, v34, v33, s[0:1]
; %bb.1197:                             ;   in Loop: Header=BB377_427 Depth=1
	s_or_b64 exec, exec, s[6:7]
	v_lshrrev_b32_e32 v0, 24, v0
	v_cvt_f32_fp8_sdwa v0, v0 src0_sel:BYTE_0
	s_nop 0
	v_mul_f32_e32 v33, v54, v0
	v_and_b32_e32 v0, 0x7f800000, v33
	v_cmp_ne_u32_e64 s[0:1], s9, v0
                                        ; implicit-def: $vgpr0
	s_and_saveexec_b64 s[6:7], s[0:1]
	s_xor_b64 s[0:1], exec, s[6:7]
; %bb.1198:                             ;   in Loop: Header=BB377_427 Depth=1
	v_bfe_u32 v0, v33, 16, 1
	v_add3_u32 v0, v33, v0, s12
                                        ; implicit-def: $vgpr33
; %bb.1199:                             ;   in Loop: Header=BB377_427 Depth=1
	s_andn2_saveexec_b64 s[6:7], s[0:1]
; %bb.1200:                             ;   in Loop: Header=BB377_427 Depth=1
	v_or_b32_e32 v0, 0x10000, v33
	v_cmp_eq_u32_sdwa s[0:1], v33, v27 src0_sel:WORD_0 src1_sel:DWORD
	s_nop 1
	v_cndmask_b32_e64 v0, v0, v33, s[0:1]
; %bb.1201:                             ;   in Loop: Header=BB377_427 Depth=1
	s_or_b64 exec, exec, s[6:7]
	v_and_b32_e32 v33, 0xff, v1
	v_cvt_f32_fp8_sdwa v33, v33 src0_sel:BYTE_0
	s_nop 0
	v_mul_f32_e32 v33, v54, v33
	v_and_b32_e32 v35, 0x7f800000, v33
	v_cmp_ne_u32_e64 s[0:1], s9, v35
                                        ; implicit-def: $vgpr35
	s_and_saveexec_b64 s[6:7], s[0:1]
	s_xor_b64 s[0:1], exec, s[6:7]
; %bb.1202:                             ;   in Loop: Header=BB377_427 Depth=1
	v_bfe_u32 v35, v33, 16, 1
	v_add3_u32 v35, v33, v35, s12
                                        ; implicit-def: $vgpr33
; %bb.1203:                             ;   in Loop: Header=BB377_427 Depth=1
	s_andn2_saveexec_b64 s[6:7], s[0:1]
; %bb.1204:                             ;   in Loop: Header=BB377_427 Depth=1
	v_or_b32_e32 v35, 0x10000, v33
	v_cmp_eq_u32_sdwa s[0:1], v33, v27 src0_sel:WORD_0 src1_sel:DWORD
	s_nop 1
	v_cndmask_b32_e64 v35, v35, v33, s[0:1]
; %bb.1205:                             ;   in Loop: Header=BB377_427 Depth=1
	s_or_b64 exec, exec, s[6:7]
	v_bfe_u32 v33, v1, 8, 8
	v_cvt_f32_fp8_sdwa v33, v33 src0_sel:BYTE_0
	s_nop 0
	v_mul_f32_e32 v36, v54, v33
	v_and_b32_e32 v33, 0x7f800000, v36
	v_cmp_ne_u32_e64 s[0:1], s9, v33
                                        ; implicit-def: $vgpr33
	s_and_saveexec_b64 s[6:7], s[0:1]
	s_xor_b64 s[0:1], exec, s[6:7]
; %bb.1206:                             ;   in Loop: Header=BB377_427 Depth=1
	v_bfe_u32 v33, v36, 16, 1
	v_add3_u32 v33, v36, v33, s12
                                        ; implicit-def: $vgpr36
; %bb.1207:                             ;   in Loop: Header=BB377_427 Depth=1
	s_andn2_saveexec_b64 s[6:7], s[0:1]
; %bb.1208:                             ;   in Loop: Header=BB377_427 Depth=1
	v_or_b32_e32 v33, 0x10000, v36
	v_cmp_eq_u32_sdwa s[0:1], v36, v27 src0_sel:WORD_0 src1_sel:DWORD
	s_nop 1
	v_cndmask_b32_e64 v33, v33, v36, s[0:1]
; %bb.1209:                             ;   in Loop: Header=BB377_427 Depth=1
	s_or_b64 exec, exec, s[6:7]
	v_bfe_u32 v36, v1, 16, 8
	v_cvt_f32_fp8_sdwa v36, v36 src0_sel:BYTE_0
	s_nop 0
	v_mul_f32_e32 v36, v54, v36
	v_and_b32_e32 v37, 0x7f800000, v36
	v_cmp_ne_u32_e64 s[0:1], s9, v37
                                        ; implicit-def: $vgpr37
	s_and_saveexec_b64 s[6:7], s[0:1]
	s_xor_b64 s[0:1], exec, s[6:7]
; %bb.1210:                             ;   in Loop: Header=BB377_427 Depth=1
	v_bfe_u32 v37, v36, 16, 1
	v_add3_u32 v37, v36, v37, s12
                                        ; implicit-def: $vgpr36
; %bb.1211:                             ;   in Loop: Header=BB377_427 Depth=1
	s_andn2_saveexec_b64 s[6:7], s[0:1]
; %bb.1212:                             ;   in Loop: Header=BB377_427 Depth=1
	v_or_b32_e32 v37, 0x10000, v36
	v_cmp_eq_u32_sdwa s[0:1], v36, v27 src0_sel:WORD_0 src1_sel:DWORD
	s_nop 1
	v_cndmask_b32_e64 v37, v37, v36, s[0:1]
; %bb.1213:                             ;   in Loop: Header=BB377_427 Depth=1
	s_or_b64 exec, exec, s[6:7]
	v_lshrrev_b32_e32 v1, 24, v1
	v_cvt_f32_fp8_sdwa v1, v1 src0_sel:BYTE_0
                                        ; implicit-def: $vgpr38
	s_nop 0
	v_mul_f32_e32 v1, v54, v1
	v_and_b32_e32 v36, 0x7f800000, v1
	v_cmp_ne_u32_e64 s[0:1], s9, v36
	s_and_saveexec_b64 s[6:7], s[0:1]
	s_xor_b64 s[0:1], exec, s[6:7]
; %bb.1214:                             ;   in Loop: Header=BB377_427 Depth=1
	v_bfe_u32 v36, v1, 16, 1
	v_add3_u32 v38, v1, v36, s12
                                        ; implicit-def: $vgpr1
; %bb.1215:                             ;   in Loop: Header=BB377_427 Depth=1
	s_andn2_saveexec_b64 s[6:7], s[0:1]
; %bb.1216:                             ;   in Loop: Header=BB377_427 Depth=1
	v_or_b32_e32 v36, 0x10000, v1
	v_cmp_eq_u32_sdwa s[0:1], v1, v27 src0_sel:WORD_0 src1_sel:DWORD
	s_nop 1
	v_cndmask_b32_e64 v38, v36, v1, s[0:1]
; %bb.1217:                             ;   in Loop: Header=BB377_427 Depth=1
	s_or_b64 exec, exec, s[6:7]
	v_lshrrev_b32_e32 v33, 16, v33
	v_lshrrev_b32_e32 v35, 16, v35
	;; [unrolled: 1-line block ×8, first 2 shown]
	s_and_saveexec_b64 s[0:1], vcc
	s_cbranch_execz .LBB377_1219
; %bb.1218:                             ;   in Loop: Header=BB377_427 Depth=1
	v_accvgpr_read_b32 v37, a29
	v_cmp_lt_i32_e32 vcc, v37, v49
	v_accvgpr_read_b32 v37, a35
	s_nop 0
	v_cndmask_b32_e32 v0, 0, v0, vcc
	v_cmp_lt_i32_e32 vcc, v37, v49
	v_accvgpr_read_b32 v37, a34
	s_nop 0
	v_cndmask_b32_e32 v1, 0, v1, vcc
	;; [unrolled: 4-line block ×6, first 2 shown]
	v_cmp_lt_i32_e32 vcc, v37, v49
	s_nop 1
	v_cndmask_b32_e32 v32, 0, v32, vcc
	v_cmp_lt_i32_e32 vcc, v17, v49
	s_nop 1
	v_cndmask_b32_e32 v11, 0, v11, vcc
.LBB377_1219:                           ;   in Loop: Header=BB377_427 Depth=1
	s_or_b64 exec, exec, s[0:1]
	v_lshlrev_b32_e32 v0, 16, v0
	v_mul_f32_e32 v37, v62, v0
	v_and_b32_e32 v0, 0x7f800000, v37
	v_cmp_ne_u32_e32 vcc, s9, v0
                                        ; implicit-def: $vgpr0
	s_and_saveexec_b64 s[0:1], vcc
	s_xor_b64 s[0:1], exec, s[0:1]
; %bb.1220:                             ;   in Loop: Header=BB377_427 Depth=1
	v_bfe_u32 v0, v37, 16, 1
	v_add3_u32 v0, v37, v0, s12
                                        ; implicit-def: $vgpr37
; %bb.1221:                             ;   in Loop: Header=BB377_427 Depth=1
	s_andn2_saveexec_b64 s[0:1], s[0:1]
; %bb.1222:                             ;   in Loop: Header=BB377_427 Depth=1
	v_or_b32_e32 v0, 0x10000, v37
	v_cmp_eq_u32_sdwa vcc, v37, v27 src0_sel:WORD_0 src1_sel:DWORD
	s_nop 1
	v_cndmask_b32_e32 v0, v0, v37, vcc
; %bb.1223:                             ;   in Loop: Header=BB377_427 Depth=1
	s_or_b64 exec, exec, s[0:1]
	v_lshlrev_b32_e32 v1, 16, v1
	v_mul_f32_e32 v23, v23, v1
	v_and_b32_e32 v1, 0x7f800000, v23
	v_cmp_ne_u32_e32 vcc, s9, v1
                                        ; implicit-def: $vgpr1
	s_and_saveexec_b64 s[0:1], vcc
	s_xor_b64 s[0:1], exec, s[0:1]
; %bb.1224:                             ;   in Loop: Header=BB377_427 Depth=1
	v_bfe_u32 v1, v23, 16, 1
	v_add3_u32 v1, v23, v1, s12
                                        ; implicit-def: $vgpr23
; %bb.1225:                             ;   in Loop: Header=BB377_427 Depth=1
	s_andn2_saveexec_b64 s[0:1], s[0:1]
; %bb.1226:                             ;   in Loop: Header=BB377_427 Depth=1
	v_or_b32_e32 v1, 0x10000, v23
	v_cmp_eq_u32_sdwa vcc, v23, v27 src0_sel:WORD_0 src1_sel:DWORD
	s_nop 1
	v_cndmask_b32_e32 v1, v1, v23, vcc
; %bb.1227:                             ;   in Loop: Header=BB377_427 Depth=1
	s_or_b64 exec, exec, s[0:1]
	v_lshlrev_b32_e32 v23, 16, v34
	v_mul_f32_e32 v34, v51, v23
	v_and_b32_e32 v23, 0x7f800000, v34
	v_cmp_ne_u32_e32 vcc, s9, v23
                                        ; implicit-def: $vgpr23
	s_and_saveexec_b64 s[0:1], vcc
	s_xor_b64 s[0:1], exec, s[0:1]
; %bb.1228:                             ;   in Loop: Header=BB377_427 Depth=1
	v_bfe_u32 v23, v34, 16, 1
	v_add3_u32 v23, v34, v23, s12
                                        ; implicit-def: $vgpr34
; %bb.1229:                             ;   in Loop: Header=BB377_427 Depth=1
	s_andn2_saveexec_b64 s[0:1], s[0:1]
; %bb.1230:                             ;   in Loop: Header=BB377_427 Depth=1
	v_or_b32_e32 v23, 0x10000, v34
	v_cmp_eq_u32_sdwa vcc, v34, v27 src0_sel:WORD_0 src1_sel:DWORD
	s_nop 1
	v_cndmask_b32_e32 v23, v23, v34, vcc
; %bb.1231:                             ;   in Loop: Header=BB377_427 Depth=1
	s_or_b64 exec, exec, s[0:1]
	v_lshlrev_b32_e32 v34, 16, v36
	v_mul_f32_e32 v34, v5, v34
	v_and_b32_e32 v5, 0x7f800000, v34
	v_cmp_ne_u32_e32 vcc, s9, v5
                                        ; implicit-def: $vgpr5
	s_and_saveexec_b64 s[0:1], vcc
	s_xor_b64 s[0:1], exec, s[0:1]
; %bb.1232:                             ;   in Loop: Header=BB377_427 Depth=1
	v_bfe_u32 v5, v34, 16, 1
	v_add3_u32 v5, v34, v5, s12
                                        ; implicit-def: $vgpr34
; %bb.1233:                             ;   in Loop: Header=BB377_427 Depth=1
	s_andn2_saveexec_b64 s[0:1], s[0:1]
; %bb.1234:                             ;   in Loop: Header=BB377_427 Depth=1
	v_or_b32_e32 v5, 0x10000, v34
	v_cmp_eq_u32_sdwa vcc, v34, v27 src0_sel:WORD_0 src1_sel:DWORD
	s_nop 1
	v_cndmask_b32_e32 v5, v5, v34, vcc
; %bb.1235:                             ;   in Loop: Header=BB377_427 Depth=1
	s_or_b64 exec, exec, s[0:1]
	v_lshlrev_b32_e32 v34, 16, v35
	v_mul_f32_e32 v34, v4, v34
	v_and_b32_e32 v4, 0x7f800000, v34
	v_cmp_ne_u32_e32 vcc, s9, v4
                                        ; implicit-def: $vgpr4
	s_and_saveexec_b64 s[0:1], vcc
	s_xor_b64 s[0:1], exec, s[0:1]
; %bb.1236:                             ;   in Loop: Header=BB377_427 Depth=1
	v_bfe_u32 v4, v34, 16, 1
	v_add3_u32 v4, v34, v4, s12
                                        ; implicit-def: $vgpr34
; %bb.1237:                             ;   in Loop: Header=BB377_427 Depth=1
	s_andn2_saveexec_b64 s[0:1], s[0:1]
; %bb.1238:                             ;   in Loop: Header=BB377_427 Depth=1
	v_or_b32_e32 v4, 0x10000, v34
	v_cmp_eq_u32_sdwa vcc, v34, v27 src0_sel:WORD_0 src1_sel:DWORD
	s_nop 1
	v_cndmask_b32_e32 v4, v4, v34, vcc
; %bb.1239:                             ;   in Loop: Header=BB377_427 Depth=1
	s_or_b64 exec, exec, s[0:1]
	v_lshlrev_b32_e32 v33, 16, v33
	v_mul_f32_e32 v33, v48, v33
	v_and_b32_e32 v34, 0x7f800000, v33
	v_cmp_ne_u32_e32 vcc, s9, v34
                                        ; implicit-def: $vgpr48
	s_and_saveexec_b64 s[0:1], vcc
	s_xor_b64 s[0:1], exec, s[0:1]
; %bb.1240:                             ;   in Loop: Header=BB377_427 Depth=1
	v_bfe_u32 v34, v33, 16, 1
	v_add3_u32 v48, v33, v34, s12
                                        ; implicit-def: $vgpr33
; %bb.1241:                             ;   in Loop: Header=BB377_427 Depth=1
	s_andn2_saveexec_b64 s[0:1], s[0:1]
; %bb.1242:                             ;   in Loop: Header=BB377_427 Depth=1
	v_or_b32_e32 v34, 0x10000, v33
	v_cmp_eq_u32_sdwa vcc, v33, v27 src0_sel:WORD_0 src1_sel:DWORD
	s_nop 1
	v_cndmask_b32_e32 v48, v34, v33, vcc
; %bb.1243:                             ;   in Loop: Header=BB377_427 Depth=1
	s_or_b64 exec, exec, s[0:1]
	v_lshlrev_b32_e32 v32, 16, v32
	v_mul_f32_e32 v32, v52, v32
	v_and_b32_e32 v33, 0x7f800000, v32
	v_cmp_ne_u32_e32 vcc, s9, v33
                                        ; implicit-def: $vgpr51
	s_and_saveexec_b64 s[0:1], vcc
	s_xor_b64 s[0:1], exec, s[0:1]
; %bb.1244:                             ;   in Loop: Header=BB377_427 Depth=1
	v_bfe_u32 v33, v32, 16, 1
	v_add3_u32 v51, v32, v33, s12
                                        ; implicit-def: $vgpr32
; %bb.1245:                             ;   in Loop: Header=BB377_427 Depth=1
	s_andn2_saveexec_b64 s[0:1], s[0:1]
; %bb.1246:                             ;   in Loop: Header=BB377_427 Depth=1
	v_or_b32_e32 v33, 0x10000, v32
	v_cmp_eq_u32_sdwa vcc, v32, v27 src0_sel:WORD_0 src1_sel:DWORD
	s_nop 1
	v_cndmask_b32_e32 v51, v33, v32, vcc
; %bb.1247:                             ;   in Loop: Header=BB377_427 Depth=1
	s_or_b64 exec, exec, s[0:1]
	v_lshlrev_b32_e32 v11, 16, v11
	v_mul_f32_e32 v32, v53, v11
	v_and_b32_e32 v11, 0x7f800000, v32
	v_cmp_ne_u32_e32 vcc, s9, v11
                                        ; implicit-def: $vgpr11
	s_and_saveexec_b64 s[0:1], vcc
	s_xor_b64 s[0:1], exec, s[0:1]
; %bb.1248:                             ;   in Loop: Header=BB377_427 Depth=1
	v_bfe_u32 v11, v32, 16, 1
	v_add3_u32 v11, v32, v11, s12
                                        ; implicit-def: $vgpr32
; %bb.1249:                             ;   in Loop: Header=BB377_427 Depth=1
	s_andn2_saveexec_b64 s[0:1], s[0:1]
	s_cbranch_execz .LBB377_426
; %bb.1250:                             ;   in Loop: Header=BB377_427 Depth=1
	v_or_b32_e32 v11, 0x10000, v32
	v_cmp_eq_u32_sdwa vcc, v32, v27 src0_sel:WORD_0 src1_sel:DWORD
	s_nop 1
	v_cndmask_b32_e32 v11, v11, v32, vcc
	s_branch .LBB377_426
.LBB377_1251:
	s_or_b64 exec, exec, s[4:5]
	scratch_load_dword v32, off, s32 offset:284 ; 4-byte Folded Reload
	scratch_load_dword v33, off, s32 offset:280 ; 4-byte Folded Reload
	scratch_load_dword v23, off, s32 offset:272 ; 4-byte Folded Reload
	scratch_load_dword v34, off, s32 offset:276 ; 4-byte Folded Reload
.LBB377_1252:
	s_or_b64 exec, exec, s[2:3]
	s_waitcnt vmcnt(0)
	ds_bpermute_b32 v0, v23, v30
	ds_bpermute_b32 v1, v23, v31
	;; [unrolled: 1-line block ×6, first 2 shown]
	s_waitcnt lgkmcnt(0)
	v_pk_add_f32 v[0:1], v[30:31], v[0:1]
	ds_bpermute_b32 v4, v34, v0
	ds_bpermute_b32 v5, v34, v1
	v_pk_add_f32 v[2:3], v[28:29], v[2:3]
	ds_bpermute_b32 v8, v34, v2
	ds_bpermute_b32 v9, v34, v3
	;; [unrolled: 1-line block ×3, first 2 shown]
	s_waitcnt lgkmcnt(3)
	v_pk_add_f32 v[14:15], v[0:1], v[4:5]
	ds_bpermute_b32 v4, v23, v20
	ds_bpermute_b32 v5, v23, v21
	v_pk_add_f32 v[0:1], v[24:25], v[6:7]
	ds_bpermute_b32 v6, v34, v0
	ds_bpermute_b32 v11, v23, v19
	ds_bpermute_b32 v7, v34, v1
	s_waitcnt lgkmcnt(3)
	v_pk_add_f32 v[4:5], v[20:21], v[4:5]
	ds_bpermute_b32 v16, v34, v4
	ds_bpermute_b32 v17, v34, v5
	s_waitcnt lgkmcnt(3)
	v_pk_add_f32 v[18:19], v[18:19], v[10:11]
	v_pk_add_f32 v[10:11], v[2:3], v[8:9]
	s_waitcnt lgkmcnt(2)
	v_pk_add_f32 v[8:9], v[0:1], v[6:7]
	s_waitcnt lgkmcnt(0)
	v_pk_add_f32 v[6:7], v[4:5], v[16:17]
	s_barrier
	scratch_load_dword v16, off, s32 offset:568 ; 4-byte Folded Reload
	ds_bpermute_b32 v22, v23, v12
	ds_bpermute_b32 v23, v23, v13
	;; [unrolled: 1-line block ×4, first 2 shown]
	s_waitcnt lgkmcnt(2)
	v_pk_add_f32 v[2:3], v[12:13], v[22:23]
	ds_bpermute_b32 v12, v34, v2
	ds_bpermute_b32 v13, v34, v3
	s_waitcnt lgkmcnt(2)
	v_pk_add_f32 v[0:1], v[18:19], v[20:21]
	s_waitcnt vmcnt(0)
	v_and_b32_e32 v4, 0x3c3, v16
	v_cmp_ne_u32_e32 vcc, 64, v4
	s_and_saveexec_b64 s[0:1], vcc
	s_xor_b64 s[0:1], exec, s[0:1]
; %bb.1253:
                                        ; implicit-def: $vgpr33
; %bb.1254:
	s_or_saveexec_b64 s[0:1], s[0:1]
	s_waitcnt lgkmcnt(0)
	v_pk_add_f32 v[2:3], v[2:3], v[12:13]
	s_xor_b64 exec, exec, s[0:1]
	s_cbranch_execz .LBB377_1256
; %bb.1255:
	s_ashr_i32 s19, s18, 31
	s_lshl_b64 s[2:3], s[18:19], 2
	s_getpc_b64 s[4:5]
	s_add_u32 s4, s4, llvm.amdgcn.dynlds.offset.table@rel32@lo+4
	s_addc_u32 s5, s5, llvm.amdgcn.dynlds.offset.table@rel32@hi+12
	s_add_u32 s2, s2, s4
	s_addc_u32 s3, s3, s5
	s_load_dword s2, s[2:3], 0x0
	s_waitcnt lgkmcnt(0)
	v_add_u32_e32 v4, s2, v33
	ds_write2_b32 v4, v14, v15 offset1:16
	ds_write2_b32 v4, v10, v11 offset0:32 offset1:48
	ds_write2_b32 v4, v8, v9 offset0:64 offset1:80
	;; [unrolled: 1-line block ×5, first 2 shown]
.LBB377_1256:
	s_or_b64 exec, exec, s[0:1]
	v_cmp_gt_u32_e32 vcc, 64, v16
	v_cmp_lt_u32_e64 s[0:1], 63, v16
	s_waitcnt lgkmcnt(0)
	s_barrier
	s_and_saveexec_b64 s[2:3], s[0:1]
	s_xor_b64 s[0:1], exec, s[2:3]
	s_andn2_saveexec_b64 s[2:3], s[0:1]
	s_cbranch_execz .LBB377_1271
; %bb.1257:
	v_cmp_eq_u32_e64 s[0:1], 0, v32
	v_lshrrev_b32_e32 v4, 2, v16
	s_and_saveexec_b64 s[4:5], s[0:1]
	s_cbranch_execnz .LBB377_1323
; %bb.1258:
	s_or_b64 exec, exec, s[4:5]
	s_and_saveexec_b64 s[4:5], s[0:1]
	s_cbranch_execnz .LBB377_1324
.LBB377_1259:
	s_or_b64 exec, exec, s[4:5]
	s_and_saveexec_b64 s[4:5], s[0:1]
	s_cbranch_execnz .LBB377_1325
.LBB377_1260:
	s_or_b64 exec, exec, s[4:5]
	s_and_saveexec_b64 s[4:5], s[0:1]
	s_cbranch_execnz .LBB377_1326
.LBB377_1261:
	s_or_b64 exec, exec, s[4:5]
	s_and_saveexec_b64 s[4:5], s[0:1]
	s_cbranch_execnz .LBB377_1327
.LBB377_1262:
	s_or_b64 exec, exec, s[4:5]
	s_and_saveexec_b64 s[4:5], s[0:1]
	s_cbranch_execnz .LBB377_1328
.LBB377_1263:
	s_or_b64 exec, exec, s[4:5]
	s_and_saveexec_b64 s[4:5], s[0:1]
	s_cbranch_execnz .LBB377_1329
.LBB377_1264:
	s_or_b64 exec, exec, s[4:5]
	s_and_saveexec_b64 s[4:5], s[0:1]
	s_cbranch_execnz .LBB377_1330
.LBB377_1265:
	s_or_b64 exec, exec, s[4:5]
	s_and_saveexec_b64 s[4:5], s[0:1]
	s_cbranch_execnz .LBB377_1331
.LBB377_1266:
	s_or_b64 exec, exec, s[4:5]
	s_and_saveexec_b64 s[4:5], s[0:1]
	s_cbranch_execnz .LBB377_1332
.LBB377_1267:
	s_or_b64 exec, exec, s[4:5]
	s_and_saveexec_b64 s[4:5], s[0:1]
	s_cbranch_execnz .LBB377_1333
.LBB377_1268:
	s_or_b64 exec, exec, s[4:5]
	s_and_saveexec_b64 s[4:5], s[0:1]
	s_cbranch_execz .LBB377_1270
.LBB377_1269:
	s_ashr_i32 s19, s18, 31
	s_lshl_b64 s[0:1], s[18:19], 2
	s_getpc_b64 s[6:7]
	s_add_u32 s6, s6, llvm.amdgcn.dynlds.offset.table@rel32@lo+4
	s_addc_u32 s7, s7, llvm.amdgcn.dynlds.offset.table@rel32@hi+12
	s_add_u32 s0, s0, s6
	s_addc_u32 s1, s1, s7
	s_load_dword s0, s[0:1], 0x0
	s_waitcnt lgkmcnt(0)
	v_lshl_add_u32 v4, v4, 2, s0
	ds_read_b32 v4, v4 offset:704
	s_waitcnt lgkmcnt(0)
	v_add_f32_e32 v3, v4, v3
.LBB377_1270:
	s_or_b64 exec, exec, s[4:5]
.LBB377_1271:
	s_or_b64 exec, exec, s[2:3]
	s_barrier
	s_and_b64 exec, exec, vcc
	s_cbranch_execz .LBB377_1322
; %bb.1272:
	v_cmp_eq_u32_e32 vcc, 0, v32
	s_and_b64 exec, exec, vcc
	s_cbranch_execz .LBB377_1322
; %bb.1273:
	s_mov_b32 s0, 0x7f800000
	v_and_b32_e32 v4, 0x7f800000, v14
	v_cmp_ne_u32_e32 vcc, s0, v4
                                        ; implicit-def: $vgpr12
	s_and_saveexec_b64 s[0:1], vcc
	s_xor_b64 s[0:1], exec, s[0:1]
; %bb.1274:
	v_bfe_u32 v4, v14, 16, 1
	s_movk_i32 s2, 0x7fff
	v_add3_u32 v12, v14, v4, s2
; %bb.1275:
	s_andn2_saveexec_b64 s[0:1], s[0:1]
; %bb.1276:
	v_mov_b32_e32 v4, 0
	v_or_b32_e32 v5, 0x10000, v14
	v_cmp_eq_u32_sdwa vcc, v14, v4 src0_sel:WORD_0 src1_sel:DWORD
	s_nop 1
	v_cndmask_b32_e32 v12, v5, v14, vcc
; %bb.1277:
	s_or_b64 exec, exec, s[0:1]
	scratch_load_dwordx2 v[4:5], off, s32 offset:572 ; 8-byte Folded Reload
	s_mul_i32 s0, s8, s16
	s_mul_i32 s0, s0, s17
	s_mulk_i32 s0, 0xc0
	s_mul_i32 s2, s20, s8
	s_mul_i32 s4, s14, 0xc0
	s_ashr_i32 s1, s0, 31
	s_ashr_i32 s3, s2, 31
	;; [unrolled: 1-line block ×3, first 2 shown]
	s_lshl_b64 s[0:1], s[0:1], 1
	s_lshl_b64 s[2:3], s[2:3], 1
	;; [unrolled: 1-line block ×3, first 2 shown]
	s_add_u32 s2, s4, s2
	s_addc_u32 s3, s5, s3
	s_add_u32 s0, s2, s0
	s_addc_u32 s1, s3, s1
	v_lshrrev_b32_e32 v13, 1, v16
	v_and_b32_e32 v16, 0x1fe, v13
	v_mov_b32_e32 v17, 0
	s_waitcnt vmcnt(0)
	v_lshl_add_u64 v[4:5], s[0:1], 0, v[4:5]
	v_lshl_add_u64 v[4:5], v[4:5], 0, v[16:17]
	flat_store_short_d16_hi v[4:5], v12
	s_mov_b32 s0, 0x7f800000
	v_and_b32_e32 v12, 0x7f800000, v15
	v_cmp_ne_u32_e32 vcc, s0, v12
                                        ; implicit-def: $vgpr12
	s_and_saveexec_b64 s[0:1], vcc
	s_xor_b64 s[0:1], exec, s[0:1]
; %bb.1278:
	v_bfe_u32 v12, v15, 16, 1
	s_movk_i32 s2, 0x7fff
	v_add3_u32 v12, v15, v12, s2
                                        ; implicit-def: $vgpr14_vgpr15
; %bb.1279:
	s_andn2_saveexec_b64 s[0:1], s[0:1]
; %bb.1280:
	v_mov_b32_e32 v12, 0
	v_or_b32_e32 v13, 0x10000, v15
	v_cmp_eq_u32_sdwa vcc, v15, v12 src0_sel:WORD_0 src1_sel:DWORD
	s_nop 1
	v_cndmask_b32_e32 v12, v13, v15, vcc
; %bb.1281:
	s_or_b64 exec, exec, s[0:1]
	flat_store_short_d16_hi v[4:5], v12 offset:32
	s_mov_b32 s0, 0x7f800000
	v_and_b32_e32 v12, 0x7f800000, v10
	v_cmp_ne_u32_e32 vcc, s0, v12
                                        ; implicit-def: $vgpr12
	s_and_saveexec_b64 s[0:1], vcc
	s_xor_b64 s[0:1], exec, s[0:1]
; %bb.1282:
	v_bfe_u32 v12, v10, 16, 1
	s_movk_i32 s2, 0x7fff
	v_add3_u32 v12, v10, v12, s2
; %bb.1283:
	s_andn2_saveexec_b64 s[0:1], s[0:1]
; %bb.1284:
	v_mov_b32_e32 v12, 0
	v_or_b32_e32 v13, 0x10000, v10
	v_cmp_eq_u32_sdwa vcc, v10, v12 src0_sel:WORD_0 src1_sel:DWORD
	s_nop 1
	v_cndmask_b32_e32 v12, v13, v10, vcc
; %bb.1285:
	s_or_b64 exec, exec, s[0:1]
	s_mov_b32 s0, 0x7f800000
	v_and_b32_e32 v10, 0x7f800000, v11
	v_cmp_ne_u32_e32 vcc, s0, v10
	flat_store_short_d16_hi v[4:5], v12 offset:64
                                        ; implicit-def: $vgpr12
	s_and_saveexec_b64 s[0:1], vcc
	s_xor_b64 s[0:1], exec, s[0:1]
; %bb.1286:
	v_bfe_u32 v10, v11, 16, 1
	s_movk_i32 s2, 0x7fff
	v_add3_u32 v12, v11, v10, s2
                                        ; implicit-def: $vgpr10_vgpr11
; %bb.1287:
	s_andn2_saveexec_b64 s[0:1], s[0:1]
; %bb.1288:
	v_mov_b32_e32 v10, 0
	v_or_b32_e32 v12, 0x10000, v11
	v_cmp_eq_u32_sdwa vcc, v11, v10 src0_sel:WORD_0 src1_sel:DWORD
	s_nop 1
	v_cndmask_b32_e32 v12, v12, v11, vcc
; %bb.1289:
	s_or_b64 exec, exec, s[0:1]
	s_mov_b32 s0, 0x7f800000
	v_and_b32_e32 v10, 0x7f800000, v8
	v_cmp_ne_u32_e32 vcc, s0, v10
	flat_store_short_d16_hi v[4:5], v12 offset:96
                                        ; implicit-def: $vgpr10
	s_and_saveexec_b64 s[0:1], vcc
	s_xor_b64 s[0:1], exec, s[0:1]
; %bb.1290:
	v_bfe_u32 v10, v8, 16, 1
	s_movk_i32 s2, 0x7fff
	v_add3_u32 v10, v8, v10, s2
; %bb.1291:
	s_andn2_saveexec_b64 s[0:1], s[0:1]
; %bb.1292:
	v_mov_b32_e32 v10, 0
	v_or_b32_e32 v11, 0x10000, v8
	v_cmp_eq_u32_sdwa vcc, v8, v10 src0_sel:WORD_0 src1_sel:DWORD
	s_nop 1
	v_cndmask_b32_e32 v10, v11, v8, vcc
; %bb.1293:
	s_or_b64 exec, exec, s[0:1]
	s_mov_b32 s0, 0x7f800000
	v_and_b32_e32 v8, 0x7f800000, v9
	v_cmp_ne_u32_e32 vcc, s0, v8
	flat_store_short_d16_hi v[4:5], v10 offset:128
                                        ; implicit-def: $vgpr10
	s_and_saveexec_b64 s[0:1], vcc
	s_xor_b64 s[0:1], exec, s[0:1]
; %bb.1294:
	v_bfe_u32 v8, v9, 16, 1
	s_movk_i32 s2, 0x7fff
	v_add3_u32 v10, v9, v8, s2
                                        ; implicit-def: $vgpr8_vgpr9
; %bb.1295:
	s_andn2_saveexec_b64 s[0:1], s[0:1]
; %bb.1296:
	v_mov_b32_e32 v8, 0
	v_or_b32_e32 v10, 0x10000, v9
	v_cmp_eq_u32_sdwa vcc, v9, v8 src0_sel:WORD_0 src1_sel:DWORD
	s_nop 1
	v_cndmask_b32_e32 v10, v10, v9, vcc
; %bb.1297:
	s_or_b64 exec, exec, s[0:1]
	s_mov_b32 s0, 0x7f800000
	v_and_b32_e32 v8, 0x7f800000, v6
	v_cmp_ne_u32_e32 vcc, s0, v8
	flat_store_short_d16_hi v[4:5], v10 offset:160
                                        ; implicit-def: $vgpr8
	s_and_saveexec_b64 s[0:1], vcc
	s_xor_b64 s[0:1], exec, s[0:1]
; %bb.1298:
	v_bfe_u32 v8, v6, 16, 1
	s_movk_i32 s2, 0x7fff
	v_add3_u32 v8, v6, v8, s2
; %bb.1299:
	s_andn2_saveexec_b64 s[0:1], s[0:1]
; %bb.1300:
	v_mov_b32_e32 v8, 0
	v_or_b32_e32 v9, 0x10000, v6
	v_cmp_eq_u32_sdwa vcc, v6, v8 src0_sel:WORD_0 src1_sel:DWORD
	s_nop 1
	v_cndmask_b32_e32 v8, v9, v6, vcc
; %bb.1301:
	s_or_b64 exec, exec, s[0:1]
	s_mov_b32 s0, 0x7f800000
	v_and_b32_e32 v6, 0x7f800000, v7
	v_cmp_ne_u32_e32 vcc, s0, v6
	flat_store_short_d16_hi v[4:5], v8 offset:192
                                        ; implicit-def: $vgpr8
	s_and_saveexec_b64 s[0:1], vcc
	s_xor_b64 s[0:1], exec, s[0:1]
; %bb.1302:
	v_bfe_u32 v6, v7, 16, 1
	s_movk_i32 s2, 0x7fff
	v_add3_u32 v8, v7, v6, s2
                                        ; implicit-def: $vgpr6_vgpr7
; %bb.1303:
	s_andn2_saveexec_b64 s[0:1], s[0:1]
; %bb.1304:
	v_mov_b32_e32 v6, 0
	v_or_b32_e32 v8, 0x10000, v7
	v_cmp_eq_u32_sdwa vcc, v7, v6 src0_sel:WORD_0 src1_sel:DWORD
	s_nop 1
	v_cndmask_b32_e32 v8, v8, v7, vcc
; %bb.1305:
	s_or_b64 exec, exec, s[0:1]
	s_mov_b32 s0, 0x7f800000
	v_and_b32_e32 v6, 0x7f800000, v0
	v_cmp_ne_u32_e32 vcc, s0, v6
	flat_store_short_d16_hi v[4:5], v8 offset:224
                                        ; implicit-def: $vgpr6
	s_and_saveexec_b64 s[0:1], vcc
	s_xor_b64 s[0:1], exec, s[0:1]
; %bb.1306:
	v_bfe_u32 v6, v0, 16, 1
	s_movk_i32 s2, 0x7fff
	v_add3_u32 v6, v0, v6, s2
; %bb.1307:
	s_andn2_saveexec_b64 s[0:1], s[0:1]
; %bb.1308:
	v_mov_b32_e32 v6, 0
	v_or_b32_e32 v7, 0x10000, v0
	v_cmp_eq_u32_sdwa vcc, v0, v6 src0_sel:WORD_0 src1_sel:DWORD
	s_nop 1
	v_cndmask_b32_e32 v6, v7, v0, vcc
; %bb.1309:
	s_or_b64 exec, exec, s[0:1]
	s_mov_b32 s0, 0x7f800000
	v_and_b32_e32 v0, 0x7f800000, v1
	v_cmp_ne_u32_e32 vcc, s0, v0
	flat_store_short_d16_hi v[4:5], v6 offset:256
                                        ; implicit-def: $vgpr6
	s_and_saveexec_b64 s[0:1], vcc
	s_xor_b64 s[0:1], exec, s[0:1]
; %bb.1310:
	v_bfe_u32 v0, v1, 16, 1
	s_movk_i32 s2, 0x7fff
	v_add3_u32 v6, v1, v0, s2
                                        ; implicit-def: $vgpr0_vgpr1
; %bb.1311:
	s_andn2_saveexec_b64 s[0:1], s[0:1]
; %bb.1312:
	v_mov_b32_e32 v0, 0
	v_or_b32_e32 v6, 0x10000, v1
	v_cmp_eq_u32_sdwa vcc, v1, v0 src0_sel:WORD_0 src1_sel:DWORD
	s_nop 1
	v_cndmask_b32_e32 v6, v6, v1, vcc
; %bb.1313:
	s_or_b64 exec, exec, s[0:1]
	s_mov_b32 s0, 0x7f800000
	v_and_b32_e32 v0, 0x7f800000, v2
	v_cmp_ne_u32_e32 vcc, s0, v0
	flat_store_short_d16_hi v[4:5], v6 offset:288
                                        ; implicit-def: $vgpr0
	s_and_saveexec_b64 s[0:1], vcc
	s_xor_b64 s[0:1], exec, s[0:1]
; %bb.1314:
	v_bfe_u32 v0, v2, 16, 1
	s_movk_i32 s2, 0x7fff
	v_add3_u32 v0, v2, v0, s2
; %bb.1315:
	s_andn2_saveexec_b64 s[0:1], s[0:1]
; %bb.1316:
	v_mov_b32_e32 v0, 0
	v_or_b32_e32 v1, 0x10000, v2
	v_cmp_eq_u32_sdwa vcc, v2, v0 src0_sel:WORD_0 src1_sel:DWORD
	s_nop 1
	v_cndmask_b32_e32 v0, v1, v2, vcc
; %bb.1317:
	s_or_b64 exec, exec, s[0:1]
	flat_store_short_d16_hi v[4:5], v0 offset:320
	s_mov_b32 s0, 0x7f800000
	v_and_b32_e32 v0, 0x7f800000, v3
	v_cmp_ne_u32_e32 vcc, s0, v0
                                        ; implicit-def: $vgpr0
	s_and_saveexec_b64 s[0:1], vcc
	s_xor_b64 s[0:1], exec, s[0:1]
; %bb.1318:
	v_bfe_u32 v0, v3, 16, 1
	s_movk_i32 s2, 0x7fff
	v_add3_u32 v0, v3, v0, s2
                                        ; implicit-def: $vgpr2_vgpr3
; %bb.1319:
	s_andn2_saveexec_b64 s[0:1], s[0:1]
; %bb.1320:
	v_mov_b32_e32 v0, 0
	v_or_b32_e32 v1, 0x10000, v3
	v_cmp_eq_u32_sdwa vcc, v3, v0 src0_sel:WORD_0 src1_sel:DWORD
	s_nop 1
	v_cndmask_b32_e32 v0, v1, v3, vcc
; %bb.1321:
	s_or_b64 exec, exec, s[0:1]
	flat_store_short_d16_hi v[4:5], v0 offset:352
.LBB377_1322:
	s_or_b64 exec, exec, s[10:11]
	scratch_load_dword a63, off, s32        ; 4-byte Folded Reload
	scratch_load_dword a62, off, s32 offset:4 ; 4-byte Folded Reload
	scratch_load_dword a61, off, s32 offset:8 ; 4-byte Folded Reload
	;; [unrolled: 1-line block ×46, first 2 shown]
	v_readlane_b32 s30, v63, 6
	v_readlane_b32 s31, v63, 7
	;; [unrolled: 1-line block ×8, first 2 shown]
	s_or_saveexec_b64 s[0:1], -1
	scratch_load_dword v63, off, s32 offset:656 ; 4-byte Folded Reload
	s_mov_b64 exec, s[0:1]
	s_waitcnt vmcnt(0) lgkmcnt(0)
	s_setpc_b64 s[30:31]
.LBB377_1323:
	s_ashr_i32 s19, s18, 31
	s_lshl_b64 s[6:7], s[18:19], 2
	s_getpc_b64 s[12:13]
	s_add_u32 s12, s12, llvm.amdgcn.dynlds.offset.table@rel32@lo+4
	s_addc_u32 s13, s13, llvm.amdgcn.dynlds.offset.table@rel32@hi+12
	s_add_u32 s6, s6, s12
	s_addc_u32 s7, s7, s13
	s_load_dword s6, s[6:7], 0x0
	s_waitcnt lgkmcnt(0)
	v_lshl_add_u32 v5, v4, 2, s6
	ds_read_b32 v5, v5
	s_waitcnt lgkmcnt(0)
	v_add_f32_e32 v14, v5, v14
	s_or_b64 exec, exec, s[4:5]
	s_and_saveexec_b64 s[4:5], s[0:1]
	s_cbranch_execz .LBB377_1259
.LBB377_1324:
	s_ashr_i32 s19, s18, 31
	s_lshl_b64 s[6:7], s[18:19], 2
	s_getpc_b64 s[12:13]
	s_add_u32 s12, s12, llvm.amdgcn.dynlds.offset.table@rel32@lo+4
	s_addc_u32 s13, s13, llvm.amdgcn.dynlds.offset.table@rel32@hi+12
	s_add_u32 s6, s6, s12
	s_addc_u32 s7, s7, s13
	s_load_dword s6, s[6:7], 0x0
	s_waitcnt lgkmcnt(0)
	v_lshl_add_u32 v5, v4, 2, s6
	ds_read_b32 v5, v5 offset:64
	s_waitcnt lgkmcnt(0)
	v_add_f32_e32 v15, v5, v15
	s_or_b64 exec, exec, s[4:5]
	s_and_saveexec_b64 s[4:5], s[0:1]
	s_cbranch_execz .LBB377_1260
.LBB377_1325:
	s_ashr_i32 s19, s18, 31
	s_lshl_b64 s[6:7], s[18:19], 2
	s_getpc_b64 s[12:13]
	s_add_u32 s12, s12, llvm.amdgcn.dynlds.offset.table@rel32@lo+4
	s_addc_u32 s13, s13, llvm.amdgcn.dynlds.offset.table@rel32@hi+12
	s_add_u32 s6, s6, s12
	s_addc_u32 s7, s7, s13
	s_load_dword s6, s[6:7], 0x0
	s_waitcnt lgkmcnt(0)
	v_lshl_add_u32 v5, v4, 2, s6
	ds_read_b32 v5, v5 offset:128
	s_waitcnt lgkmcnt(0)
	v_add_f32_e32 v10, v5, v10
	s_or_b64 exec, exec, s[4:5]
	s_and_saveexec_b64 s[4:5], s[0:1]
	s_cbranch_execz .LBB377_1261
.LBB377_1326:
	s_ashr_i32 s19, s18, 31
	s_lshl_b64 s[6:7], s[18:19], 2
	s_getpc_b64 s[12:13]
	s_add_u32 s12, s12, llvm.amdgcn.dynlds.offset.table@rel32@lo+4
	s_addc_u32 s13, s13, llvm.amdgcn.dynlds.offset.table@rel32@hi+12
	s_add_u32 s6, s6, s12
	s_addc_u32 s7, s7, s13
	s_load_dword s6, s[6:7], 0x0
	s_waitcnt lgkmcnt(0)
	v_lshl_add_u32 v5, v4, 2, s6
	ds_read_b32 v5, v5 offset:192
	s_waitcnt lgkmcnt(0)
	v_add_f32_e32 v11, v5, v11
	s_or_b64 exec, exec, s[4:5]
	s_and_saveexec_b64 s[4:5], s[0:1]
	s_cbranch_execz .LBB377_1262
.LBB377_1327:
	s_ashr_i32 s19, s18, 31
	s_lshl_b64 s[6:7], s[18:19], 2
	s_getpc_b64 s[12:13]
	s_add_u32 s12, s12, llvm.amdgcn.dynlds.offset.table@rel32@lo+4
	s_addc_u32 s13, s13, llvm.amdgcn.dynlds.offset.table@rel32@hi+12
	s_add_u32 s6, s6, s12
	s_addc_u32 s7, s7, s13
	s_load_dword s6, s[6:7], 0x0
	s_waitcnt lgkmcnt(0)
	v_lshl_add_u32 v5, v4, 2, s6
	ds_read_b32 v5, v5 offset:256
	s_waitcnt lgkmcnt(0)
	v_add_f32_e32 v8, v5, v8
	s_or_b64 exec, exec, s[4:5]
	s_and_saveexec_b64 s[4:5], s[0:1]
	s_cbranch_execz .LBB377_1263
.LBB377_1328:
	s_ashr_i32 s19, s18, 31
	s_lshl_b64 s[6:7], s[18:19], 2
	s_getpc_b64 s[12:13]
	s_add_u32 s12, s12, llvm.amdgcn.dynlds.offset.table@rel32@lo+4
	s_addc_u32 s13, s13, llvm.amdgcn.dynlds.offset.table@rel32@hi+12
	s_add_u32 s6, s6, s12
	s_addc_u32 s7, s7, s13
	s_load_dword s6, s[6:7], 0x0
	s_waitcnt lgkmcnt(0)
	v_lshl_add_u32 v5, v4, 2, s6
	ds_read_b32 v5, v5 offset:320
	s_waitcnt lgkmcnt(0)
	v_add_f32_e32 v9, v5, v9
	s_or_b64 exec, exec, s[4:5]
	s_and_saveexec_b64 s[4:5], s[0:1]
	s_cbranch_execz .LBB377_1264
.LBB377_1329:
	s_ashr_i32 s19, s18, 31
	s_lshl_b64 s[6:7], s[18:19], 2
	s_getpc_b64 s[12:13]
	s_add_u32 s12, s12, llvm.amdgcn.dynlds.offset.table@rel32@lo+4
	s_addc_u32 s13, s13, llvm.amdgcn.dynlds.offset.table@rel32@hi+12
	s_add_u32 s6, s6, s12
	s_addc_u32 s7, s7, s13
	s_load_dword s6, s[6:7], 0x0
	s_waitcnt lgkmcnt(0)
	v_lshl_add_u32 v5, v4, 2, s6
	ds_read_b32 v5, v5 offset:384
	s_waitcnt lgkmcnt(0)
	v_add_f32_e32 v6, v5, v6
	s_or_b64 exec, exec, s[4:5]
	s_and_saveexec_b64 s[4:5], s[0:1]
	s_cbranch_execz .LBB377_1265
.LBB377_1330:
	s_ashr_i32 s19, s18, 31
	s_lshl_b64 s[6:7], s[18:19], 2
	s_getpc_b64 s[12:13]
	s_add_u32 s12, s12, llvm.amdgcn.dynlds.offset.table@rel32@lo+4
	s_addc_u32 s13, s13, llvm.amdgcn.dynlds.offset.table@rel32@hi+12
	s_add_u32 s6, s6, s12
	s_addc_u32 s7, s7, s13
	s_load_dword s6, s[6:7], 0x0
	s_waitcnt lgkmcnt(0)
	v_lshl_add_u32 v5, v4, 2, s6
	ds_read_b32 v5, v5 offset:448
	s_waitcnt lgkmcnt(0)
	v_add_f32_e32 v7, v5, v7
	s_or_b64 exec, exec, s[4:5]
	s_and_saveexec_b64 s[4:5], s[0:1]
	s_cbranch_execz .LBB377_1266
.LBB377_1331:
	s_ashr_i32 s19, s18, 31
	s_lshl_b64 s[6:7], s[18:19], 2
	s_getpc_b64 s[12:13]
	s_add_u32 s12, s12, llvm.amdgcn.dynlds.offset.table@rel32@lo+4
	s_addc_u32 s13, s13, llvm.amdgcn.dynlds.offset.table@rel32@hi+12
	s_add_u32 s6, s6, s12
	s_addc_u32 s7, s7, s13
	s_load_dword s6, s[6:7], 0x0
	s_waitcnt lgkmcnt(0)
	v_lshl_add_u32 v5, v4, 2, s6
	ds_read_b32 v5, v5 offset:512
	s_waitcnt lgkmcnt(0)
	v_add_f32_e32 v0, v5, v0
	s_or_b64 exec, exec, s[4:5]
	s_and_saveexec_b64 s[4:5], s[0:1]
	s_cbranch_execz .LBB377_1267
.LBB377_1332:
	s_ashr_i32 s19, s18, 31
	s_lshl_b64 s[6:7], s[18:19], 2
	s_getpc_b64 s[12:13]
	s_add_u32 s12, s12, llvm.amdgcn.dynlds.offset.table@rel32@lo+4
	s_addc_u32 s13, s13, llvm.amdgcn.dynlds.offset.table@rel32@hi+12
	s_add_u32 s6, s6, s12
	s_addc_u32 s7, s7, s13
	s_load_dword s6, s[6:7], 0x0
	s_waitcnt lgkmcnt(0)
	v_lshl_add_u32 v5, v4, 2, s6
	ds_read_b32 v5, v5 offset:576
	s_waitcnt lgkmcnt(0)
	v_add_f32_e32 v1, v5, v1
	s_or_b64 exec, exec, s[4:5]
	s_and_saveexec_b64 s[4:5], s[0:1]
	s_cbranch_execz .LBB377_1268
.LBB377_1333:
	s_ashr_i32 s19, s18, 31
	s_lshl_b64 s[6:7], s[18:19], 2
	s_getpc_b64 s[12:13]
	s_add_u32 s12, s12, llvm.amdgcn.dynlds.offset.table@rel32@lo+4
	s_addc_u32 s13, s13, llvm.amdgcn.dynlds.offset.table@rel32@hi+12
	s_add_u32 s6, s6, s12
	s_addc_u32 s7, s7, s13
	s_load_dword s6, s[6:7], 0x0
	s_waitcnt lgkmcnt(0)
	v_lshl_add_u32 v5, v4, 2, s6
	ds_read_b32 v5, v5 offset:640
	s_waitcnt lgkmcnt(0)
	v_add_f32_e32 v2, v5, v2
	s_or_b64 exec, exec, s[4:5]
	s_and_saveexec_b64 s[4:5], s[0:1]
	s_cbranch_execnz .LBB377_1269
	s_branch .LBB377_1270
.Lfunc_end377:
	.size	_ZN4vllm22paged_attention_kernelI14__hip_bfloat16hLi192ELi32ELi128ELNS_18Fp8KVCacheDataTypeE1ELb0ELi512EEEvPfS3_PT_PKS4_PKT0_SA_ifPKiSC_iPKfiiiSE_SE_iiiii, .Lfunc_end377-_ZN4vllm22paged_attention_kernelI14__hip_bfloat16hLi192ELi32ELi128ELNS_18Fp8KVCacheDataTypeE1ELb0ELi512EEEvPfS3_PT_PKS4_PKT0_SA_ifPKiSC_iPKfiiiSE_SE_iiiii
                                        ; -- End function
	.section	.AMDGPU.csdata,"",@progbits
; Function info:
; codeLenInByte = 45864
; NumSgprs: 46
; NumVgprs: 64
; NumAgprs: 64
; TotalNumVgprs: 128
; ScratchSize: 664
; MemoryBound: 0
	.section	.text._ZN4vllm25paged_attention_v2_kernelI14__hip_bfloat16hLi192ELi32ELi128ELNS_18Fp8KVCacheDataTypeE1ELb0ELi512EEEvPfS3_PT_PKS4_PKT0_SA_ifPKiSC_iPKfiiiSE_SE_iiiii,"axG",@progbits,_ZN4vllm25paged_attention_v2_kernelI14__hip_bfloat16hLi192ELi32ELi128ELNS_18Fp8KVCacheDataTypeE1ELb0ELi512EEEvPfS3_PT_PKS4_PKT0_SA_ifPKiSC_iPKfiiiSE_SE_iiiii,comdat
	.protected	_ZN4vllm25paged_attention_v2_kernelI14__hip_bfloat16hLi192ELi32ELi128ELNS_18Fp8KVCacheDataTypeE1ELb0ELi512EEEvPfS3_PT_PKS4_PKT0_SA_ifPKiSC_iPKfiiiSE_SE_iiiii ; -- Begin function _ZN4vllm25paged_attention_v2_kernelI14__hip_bfloat16hLi192ELi32ELi128ELNS_18Fp8KVCacheDataTypeE1ELb0ELi512EEEvPfS3_PT_PKS4_PKT0_SA_ifPKiSC_iPKfiiiSE_SE_iiiii
	.globl	_ZN4vllm25paged_attention_v2_kernelI14__hip_bfloat16hLi192ELi32ELi128ELNS_18Fp8KVCacheDataTypeE1ELb0ELi512EEEvPfS3_PT_PKS4_PKT0_SA_ifPKiSC_iPKfiiiSE_SE_iiiii
	.p2align	8
	.type	_ZN4vllm25paged_attention_v2_kernelI14__hip_bfloat16hLi192ELi32ELi128ELNS_18Fp8KVCacheDataTypeE1ELb0ELi512EEEvPfS3_PT_PKS4_PKT0_SA_ifPKiSC_iPKfiiiSE_SE_iiiii,@function
_ZN4vllm25paged_attention_v2_kernelI14__hip_bfloat16hLi192ELi32ELi128ELNS_18Fp8KVCacheDataTypeE1ELb0ELi512EEEvPfS3_PT_PKS4_PKT0_SA_ifPKiSC_iPKfiiiSE_SE_iiiii: ; @_ZN4vllm25paged_attention_v2_kernelI14__hip_bfloat16hLi192ELi32ELi128ELNS_18Fp8KVCacheDataTypeE1ELb0ELi512EEEvPfS3_PT_PKS4_PKT0_SA_ifPKiSC_iPKfiiiSE_SE_iiiii
; %bb.0:
	s_load_dwordx8 s[24:31], s[0:1], 0x0
	s_load_dwordx8 s[16:23], s[0:1], 0x20
	s_load_dwordx2 s[6:7], s[0:1], 0x40
	s_load_dwordx2 s[10:11], s[0:1], 0x50
	s_load_dword s5, s[0:1], 0x48
	s_load_dwordx8 s[36:43], s[0:1], 0x58
	s_add_u32 s8, s0, 0x90
	s_addc_u32 s9, s1, 0
	s_mov_b32 s12, s2
	s_mov_b32 s13, s3
	;; [unrolled: 1-line block ×4, first 2 shown]
	v_mov_b32_e32 v31, v0
	s_waitcnt lgkmcnt(0)
	v_mov_b32_e32 v0, s24
	v_mov_b32_e32 v1, s25
	v_mov_b32_e32 v2, s26
	v_mov_b32_e32 v3, s27
	v_mov_b32_e32 v4, s28
	v_mov_b32_e32 v5, s29
	v_mov_b32_e32 v6, s30
	v_mov_b32_e32 v7, s31
	v_mov_b32_e32 v8, s16
	v_mov_b32_e32 v9, s17
	v_mov_b32_e32 v10, s18
	v_mov_b32_e32 v11, s19
	v_mov_b32_e32 v12, s20
	v_mov_b32_e32 v13, s21
	v_mov_b32_e32 v14, s22
	v_mov_b32_e32 v15, s23
	v_mov_b32_e32 v16, s6
	v_mov_b32_e32 v17, s7
	v_mov_b32_e32 v18, s5
	v_mov_b32_e32 v19, s10
	v_mov_b32_e32 v20, s11
	v_mov_b32_e32 v21, s36
	v_mov_b32_e32 v22, s37
	v_mov_b32_e32 v23, s38
	v_mov_b32_e32 v24, s40
	v_mov_b32_e32 v25, s41
	v_mov_b32_e32 v26, s42
	v_mov_b32_e32 v27, s43
	s_mov_b32 s32, 0
	s_getpc_b64 s[0:1]
	s_add_u32 s0, s0, _ZN4vllm22paged_attention_kernelI14__hip_bfloat16hLi192ELi32ELi128ELNS_18Fp8KVCacheDataTypeE1ELb0ELi512EEEvPfS3_PT_PKS4_PKT0_SA_ifPKiSC_iPKfiiiSE_SE_iiiii@rel32@lo+4
	s_addc_u32 s1, s1, _ZN4vllm22paged_attention_kernelI14__hip_bfloat16hLi192ELi32ELi128ELNS_18Fp8KVCacheDataTypeE1ELb0ELi512EEEvPfS3_PT_PKS4_PKT0_SA_ifPKiSC_iPKfiiiSE_SE_iiiii@rel32@hi+12
	s_swappc_b64 s[30:31], s[0:1]
	s_endpgm
	.section	.rodata,"a",@progbits
	.p2align	6, 0x0
	.amdhsa_kernel _ZN4vllm25paged_attention_v2_kernelI14__hip_bfloat16hLi192ELi32ELi128ELNS_18Fp8KVCacheDataTypeE1ELb0ELi512EEEvPfS3_PT_PKS4_PKT0_SA_ifPKiSC_iPKfiiiSE_SE_iiiii
		.amdhsa_group_segment_fixed_size 400
		.amdhsa_private_segment_fixed_size 664
		.amdhsa_kernarg_size 400
		.amdhsa_user_sgpr_count 2
		.amdhsa_user_sgpr_dispatch_ptr 0
		.amdhsa_user_sgpr_queue_ptr 0
		.amdhsa_user_sgpr_kernarg_segment_ptr 1
		.amdhsa_user_sgpr_dispatch_id 0
		.amdhsa_user_sgpr_kernarg_preload_length 0
		.amdhsa_user_sgpr_kernarg_preload_offset 0
		.amdhsa_user_sgpr_private_segment_size 0
		.amdhsa_uses_dynamic_stack 0
		.amdhsa_enable_private_segment 1
		.amdhsa_system_sgpr_workgroup_id_x 1
		.amdhsa_system_sgpr_workgroup_id_y 1
		.amdhsa_system_sgpr_workgroup_id_z 1
		.amdhsa_system_sgpr_workgroup_info 0
		.amdhsa_system_vgpr_workitem_id 0
		.amdhsa_next_free_vgpr 128
		.amdhsa_next_free_sgpr 44
		.amdhsa_accum_offset 64
		.amdhsa_reserve_vcc 1
		.amdhsa_float_round_mode_32 0
		.amdhsa_float_round_mode_16_64 0
		.amdhsa_float_denorm_mode_32 3
		.amdhsa_float_denorm_mode_16_64 3
		.amdhsa_dx10_clamp 1
		.amdhsa_ieee_mode 1
		.amdhsa_fp16_overflow 0
		.amdhsa_tg_split 0
		.amdhsa_exception_fp_ieee_invalid_op 0
		.amdhsa_exception_fp_denorm_src 0
		.amdhsa_exception_fp_ieee_div_zero 0
		.amdhsa_exception_fp_ieee_overflow 0
		.amdhsa_exception_fp_ieee_underflow 0
		.amdhsa_exception_fp_ieee_inexact 0
		.amdhsa_exception_int_div_zero 0
	.end_amdhsa_kernel
	.section	.text._ZN4vllm25paged_attention_v2_kernelI14__hip_bfloat16hLi192ELi32ELi128ELNS_18Fp8KVCacheDataTypeE1ELb0ELi512EEEvPfS3_PT_PKS4_PKT0_SA_ifPKiSC_iPKfiiiSE_SE_iiiii,"axG",@progbits,_ZN4vllm25paged_attention_v2_kernelI14__hip_bfloat16hLi192ELi32ELi128ELNS_18Fp8KVCacheDataTypeE1ELb0ELi512EEEvPfS3_PT_PKS4_PKT0_SA_ifPKiSC_iPKfiiiSE_SE_iiiii,comdat
.Lfunc_end378:
	.size	_ZN4vllm25paged_attention_v2_kernelI14__hip_bfloat16hLi192ELi32ELi128ELNS_18Fp8KVCacheDataTypeE1ELb0ELi512EEEvPfS3_PT_PKS4_PKT0_SA_ifPKiSC_iPKfiiiSE_SE_iiiii, .Lfunc_end378-_ZN4vllm25paged_attention_v2_kernelI14__hip_bfloat16hLi192ELi32ELi128ELNS_18Fp8KVCacheDataTypeE1ELb0ELi512EEEvPfS3_PT_PKS4_PKT0_SA_ifPKiSC_iPKfiiiSE_SE_iiiii
                                        ; -- End function
	.section	.AMDGPU.csdata,"",@progbits
; Kernel info:
; codeLenInByte = 228
; NumSgprs: 50
; NumVgprs: 64
; NumAgprs: 64
; TotalNumVgprs: 128
; ScratchSize: 664
; MemoryBound: 0
; FloatMode: 240
; IeeeMode: 1
; LDSByteSize: 400 bytes/workgroup (compile time only)
; SGPRBlocks: 6
; VGPRBlocks: 15
; NumSGPRsForWavesPerEU: 50
; NumVGPRsForWavesPerEU: 128
; AccumOffset: 64
; Occupancy: 4
; WaveLimiterHint : 1
; COMPUTE_PGM_RSRC2:SCRATCH_EN: 1
; COMPUTE_PGM_RSRC2:USER_SGPR: 2
; COMPUTE_PGM_RSRC2:TRAP_HANDLER: 0
; COMPUTE_PGM_RSRC2:TGID_X_EN: 1
; COMPUTE_PGM_RSRC2:TGID_Y_EN: 1
; COMPUTE_PGM_RSRC2:TGID_Z_EN: 1
; COMPUTE_PGM_RSRC2:TIDIG_COMP_CNT: 0
; COMPUTE_PGM_RSRC3_GFX90A:ACCUM_OFFSET: 15
; COMPUTE_PGM_RSRC3_GFX90A:TG_SPLIT: 0
	.text
	.p2align	2                               ; -- Begin function _ZN4vllm22paged_attention_kernelI14__hip_bfloat16hLi256ELi32ELi128ELNS_18Fp8KVCacheDataTypeE1ELb0ELi512EEEvPfS3_PT_PKS4_PKT0_SA_ifPKiSC_iPKfiiiSE_SE_iiiii
	.type	_ZN4vllm22paged_attention_kernelI14__hip_bfloat16hLi256ELi32ELi128ELNS_18Fp8KVCacheDataTypeE1ELb0ELi512EEEvPfS3_PT_PKS4_PKT0_SA_ifPKiSC_iPKfiiiSE_SE_iiiii,@function
_ZN4vllm22paged_attention_kernelI14__hip_bfloat16hLi256ELi32ELi128ELNS_18Fp8KVCacheDataTypeE1ELb0ELi512EEEvPfS3_PT_PKS4_PKT0_SA_ifPKiSC_iPKfiiiSE_SE_iiiii: ; @_ZN4vllm22paged_attention_kernelI14__hip_bfloat16hLi256ELi32ELi128ELNS_18Fp8KVCacheDataTypeE1ELb0ELi512EEEvPfS3_PT_PKS4_PKT0_SA_ifPKiSC_iPKfiiiSE_SE_iiiii
; %bb.0:
	s_waitcnt vmcnt(0) expcnt(0) lgkmcnt(0)
	s_or_saveexec_b64 s[0:1], -1
	scratch_store_dword off, v63, s32 offset:928 ; 4-byte Folded Spill
	s_mov_b64 exec, s[0:1]
	scratch_store_dword off, v40, s32 offset:184 ; 4-byte Folded Spill
	scratch_store_dword off, v41, s32 offset:180 ; 4-byte Folded Spill
	;; [unrolled: 1-line block ×46, first 2 shown]
	scratch_store_dword off, a63, s32       ; 4-byte Folded Spill
	v_writelane_b32 v63, s34, 0
	v_writelane_b32 v63, s35, 1
	;; [unrolled: 1-line block ×19, first 2 shown]
	s_nop 1
	v_writelane_b32 v63, s31, 19
	s_mov_b32 s18, s13
	s_ashr_i32 s19, s13, 31
	scratch_store_dwordx2 off, v[24:25], s32 offset:256 ; 8-byte Folded Spill
	scratch_store_dwordx2 off, v[22:23], s32 offset:200 ; 8-byte Folded Spill
	scratch_store_dword off, v13, s32 offset:832 ; 4-byte Folded Spill
	scratch_store_dwordx2 off, v[4:5], s32 offset:840 ; 8-byte Folded Spill
	v_mov_b32_e32 v25, v1
	v_mov_b32_e32 v24, v0
	v_lshl_add_u64 v[0:1], s[18:19], 2, v[16:17]
	flat_load_dword v45, v[0:1]
	s_lshl_b32 s48, s14, 9
	v_mov_b32_e32 v29, v20
	v_mov_b32_e32 v28, v19
	s_waitcnt vmcnt(0) lgkmcnt(0)
	v_cmp_lt_i32_e32 vcc, s48, v45
	s_and_saveexec_b64 s[16:17], vcc
	s_cbranch_execz .LBB379_1734
; %bb.1:
	v_sub_u32_e32 v0, 0, v12
	v_max_i32_e32 v0, v12, v0
	v_cvt_f32_u32_e32 v1, v0
	scratch_store_dwordx2 off, v[2:3], s32 offset:868 ; 8-byte Folded Spill
	s_load_dword s0, s[8:9], 0x10
	s_load_dword s2, s[8:9], 0x0
	v_sub_u32_e32 v3, 0, v0
	v_rcp_iflag_f32_e32 v1, v1
	s_mov_b32 s22, s15
	s_waitcnt lgkmcnt(0)
	s_lshr_b32 s0, s0, 16
	s_cmp_lg_u32 s0, 0
	v_mul_f32_e32 v1, 0x4f7ffffe, v1
	v_cvt_u32_f32_e32 v1, v1
	s_cselect_b64 s[0:1], -1, 0
	s_cmp_lg_u64 s[0:1], 0
	s_addc_u32 s19, s2, 0
	v_mul_lo_u32 v3, v3, v1
	v_mul_hi_u32 v3, v1, v3
	s_abs_i32 s0, s19
	v_add_u32_e32 v1, v1, v3
	v_mul_hi_u32 v1, s0, v1
	v_mul_lo_u32 v3, v1, v0
	v_sub_u32_e32 v3, s0, v3
	v_add_u32_e32 v4, 1, v1
	v_cmp_ge_u32_e32 vcc, v3, v0
	v_xor_b32_e32 v2, s19, v12
	v_ashrrev_i32_e32 v2, 31, v2
	v_cndmask_b32_e32 v1, v1, v4, vcc
	v_sub_u32_e32 v4, v3, v0
	v_cndmask_b32_e32 v3, v3, v4, vcc
	v_add_u32_e32 v4, 1, v1
	v_cmp_ge_u32_e32 vcc, v3, v0
	s_abs_i32 s6, s12
	s_nop 0
	v_cndmask_b32_e32 v0, v1, v4, vcc
	v_xor_b32_e32 v0, v0, v2
	v_sub_u32_e32 v0, v0, v2
	v_sub_u32_e32 v1, 0, v0
	v_max_i32_e32 v1, v0, v1
	v_cvt_f32_u32_e32 v2, v1
	v_sub_u32_e32 v3, 0, v1
	v_cmp_ne_u64_e32 vcc, 0, v[28:29]
	v_rcp_iflag_f32_e32 v2, v2
	s_nop 0
	v_mul_f32_e32 v2, 0x4f7ffffe, v2
	v_cvt_u32_f32_e32 v2, v2
	v_mul_lo_u32 v3, v3, v2
	v_mul_hi_u32 v3, v2, v3
	v_add_u32_e32 v2, v2, v3
	v_mad_u64_u32 v[16:17], s[0:1], s6, v2, 0
	v_mov_b32_e32 v2, 0
	scratch_store_dword off, v2, s32 offset:828 ; 4-byte Folded Spill
	s_and_saveexec_b64 s[0:1], vcc
	s_cbranch_execz .LBB379_3
; %bb.2:
	s_ashr_i32 s13, s12, 31
	v_lshl_add_u64 v[2:3], s[12:13], 2, v[28:29]
	flat_load_dword v2, v[2:3]
	s_waitcnt vmcnt(0) lgkmcnt(0)
	scratch_store_dword off, v2, s32 offset:828 ; 4-byte Folded Spill
.LBB379_3:
	s_or_b64 exec, exec, s[0:1]
	v_and_b32_e32 v22, 0x3ff, v31
	s_ashr_i32 s7, s12, 31
	v_ashrrev_i32_e32 v2, 31, v0
	v_and_b32_e32 v0, 1, v22
	s_lshl_b32 s20, s12, 8
	v_cmp_lt_u32_e64 s[2:3], 63, v22
	v_cmp_gt_u32_e64 s[0:1], 64, v22
	v_lshlrev_b32_e32 v20, 3, v22
	s_and_saveexec_b64 s[4:5], s[0:1]
	s_cbranch_execz .LBB379_5
; %bb.4:
	v_mul_lo_u32 v4, s18, v21
	v_ashrrev_i32_e32 v5, 31, v4
	v_lshl_add_u64 v[4:5], v[4:5], 1, v[6:7]
	s_ashr_i32 s21, s20, 31
	v_lshl_add_u64 v[4:5], s[20:21], 1, v[4:5]
	v_mov_b32_e32 v21, 0
	v_lshl_add_u64 v[4:5], v[4:5], 0, v[20:21]
	flat_load_dwordx2 v[4:5], v[4:5]
	v_lshlrev_b32_e32 v3, 2, v22
	v_and_b32_e32 v3, 0xff8, v3
	v_lshl_add_u32 v3, v0, 8, v3
	s_waitcnt vmcnt(0) lgkmcnt(0)
	ds_write_b64 v3, v[4:5]
.LBB379_5:
	s_or_b64 exec, exec, s[4:5]
	v_add_u32_e32 v3, 31, v45
	v_ashrrev_i32_e32 v4, 31, v3
	v_lshrrev_b32_e32 v4, 27, v4
	v_add_u32_e32 v3, v3, v4
	s_lshl_b32 s15, s14, 4
	v_ashrrev_i32_e32 v3, 5, v3
	s_add_i32 s4, s15, 16
	scratch_store_dword off, v3, s32 offset:864 ; 4-byte Folded Spill
	v_min_i32_e32 v6, s4, v3
	v_mul_lo_u32 v3, v17, v1
	v_sub_u32_e32 v3, s6, v3
	v_add_u32_e32 v4, 1, v17
	v_cmp_ge_u32_e32 vcc, v3, v1
	v_sub_u32_e32 v5, v3, v1
	v_lshrrev_b32_e32 v37, 6, v22
	v_cndmask_b32_e32 v4, v17, v4, vcc
	v_cndmask_b32_e32 v3, v3, v5, vcc
	v_add_u32_e32 v5, 1, v4
	v_cmp_ge_u32_e32 vcc, v3, v1
	v_xor_b32_e32 v2, s7, v2
	v_or_b32_e32 v12, s15, v37
	v_cndmask_b32_e32 v1, v4, v5, vcc
	v_mul_lo_u32 v4, s18, v18
	v_xor_b32_e32 v1, v1, v2
	v_ashrrev_i32_e32 v5, 31, v4
	v_sub_u32_e32 v2, v1, v2
	s_waitcnt lgkmcnt(0)
	s_barrier
	scratch_store_dwordx2 off, v[4:5], s32 offset:848 ; 8-byte Folded Spill
	v_cmp_lt_i32_e64 s[4:5], v12, v6
	v_mov_b32_e32 v4, v12
	v_cmp_ge_i32_e32 vcc, v12, v6
	v_mbcnt_lo_u32_b32 v1, -1, 0
	scratch_store_dword off, v6, s32 offset:196 ; 4-byte Folded Spill
                                        ; implicit-def: $sgpr23
                                        ; implicit-def: $vgpr12
                                        ; implicit-def: $vgpr13
	s_and_saveexec_b64 s[6:7], vcc
	s_xor_b64 s[6:7], exec, s[6:7]
	s_cbranch_execz .LBB379_7
; %bb.6:
	v_mbcnt_hi_u32_b32 v12, -1, v1
	v_and_b32_e32 v0, 64, v12
	v_add_u32_e32 v13, 64, v0
                                        ; implicit-def: $vgpr0
                                        ; kill: killed $vgpr0
                                        ; implicit-def: $vgpr0
	s_mov_b32 s23, 0xff7fffff
                                        ; kill: killed $vgpr0
                                        ; implicit-def: $vgpr0
	scratch_store_dwordx2 off, v[0:1], s32 offset:256 ; 8-byte Folded Spill
                                        ; implicit-def: $vgpr8
                                        ; implicit-def: $vgpr0
                                        ; implicit-def: $vgpr1
.LBB379_7:
	s_or_saveexec_b64 s[10:11], s[6:7]
	scratch_store_dwordx2 off, v[20:21], s32 offset:884 ; 8-byte Folded Spill
	scratch_store_dwordx2 off, v[10:11], s32 offset:876 ; 8-byte Folded Spill
	s_load_dword s21, s[8:9], 0x14
	s_load_dword s13, s[8:9], 0x8
	v_mul_lo_u32 v2, v2, v23
	v_mov_b32_e32 v6, s23
	v_ashrrev_i32_e32 v5, 31, v4
	v_ashrrev_i32_e32 v3, 31, v2
	scratch_store_dwordx2 off, v[4:5], s32 offset:188 ; 8-byte Folded Spill
	scratch_store_dwordx2 off, v[2:3], s32 offset:856 ; 8-byte Folded Spill
	scratch_store_dword off, v22, s32 offset:836 ; 4-byte Folded Spill
	s_xor_b64 exec, exec, s[10:11]
	s_cbranch_execz .LBB379_525
; %bb.8:
	scratch_store_dwordx2 off, v[24:25], s32 offset:904 ; 8-byte Folded Spill
	scratch_store_dwordx2 off, v[26:27], s32 offset:912 ; 8-byte Folded Spill
	v_lshlrev_b32_e32 v2, 8, v0
	ds_read_b128 v[4:7], v2
	ds_read_b128 v[28:31], v2 offset:16
	ds_read_b128 v[24:27], v2 offset:32
	;; [unrolled: 1-line block ×3, first 2 shown]
	v_mbcnt_hi_u32_b32 v1, -1, v1
	s_waitcnt lgkmcnt(0)
	v_lshlrev_b32_e32 v3, 16, v4
	scratch_store_dword off, v3, s32 offset:268 ; 4-byte Folded Spill
	v_and_b32_e32 v3, 0xffff0000, v4
	scratch_store_dword off, v3, s32 offset:272 ; 4-byte Folded Spill
	v_lshlrev_b32_e32 v3, 16, v5
	scratch_store_dword off, v3, s32 offset:276 ; 4-byte Folded Spill
	v_and_b32_e32 v3, 0xffff0000, v5
	scratch_store_dword off, v3, s32 offset:280 ; 4-byte Folded Spill
	;; [unrolled: 4-line block ×13, first 2 shown]
	v_lshlrev_b32_e32 v3, 16, v19
	scratch_store_dword off, v3, s32 offset:372 ; 4-byte Folded Spill
	v_and_b32_e32 v3, 0xffff0000, v19
	ds_read_b128 v[4:7], v2 offset:64
	ds_read_b128 v[16:19], v2 offset:80
	scratch_store_dword off, v3, s32 offset:376 ; 4-byte Folded Spill
	v_lshlrev_b32_e32 v3, 16, v20
	scratch_store_dword off, v3, s32 offset:380 ; 4-byte Folded Spill
	v_and_b32_e32 v3, 0xffff0000, v20
	scratch_store_dword off, v3, s32 offset:384 ; 4-byte Folded Spill
	v_lshlrev_b32_e32 v3, 16, v21
	scratch_store_dword off, v3, s32 offset:392 ; 4-byte Folded Spill
	v_and_b32_e32 v3, 0xffff0000, v21
	scratch_store_dword off, v3, s32 offset:400 ; 4-byte Folded Spill
	s_waitcnt lgkmcnt(1)
	v_lshlrev_b32_e32 v3, 16, v4
	scratch_store_dword off, v3, s32 offset:408 ; 4-byte Folded Spill
	v_and_b32_e32 v3, 0xffff0000, v4
	scratch_store_dword off, v3, s32 offset:416 ; 4-byte Folded Spill
	v_lshlrev_b32_e32 v3, 16, v5
	scratch_store_dword off, v3, s32 offset:424 ; 4-byte Folded Spill
	v_and_b32_e32 v3, 0xffff0000, v5
	scratch_store_dword off, v3, s32 offset:432 ; 4-byte Folded Spill
	;; [unrolled: 4-line block ×4, first 2 shown]
	s_waitcnt lgkmcnt(0)
	v_lshlrev_b32_e32 v3, 16, v16
	scratch_store_dword off, v3, s32 offset:464 ; 4-byte Folded Spill
	v_and_b32_e32 v3, 0xffff0000, v16
	scratch_store_dword off, v3, s32 offset:468 ; 4-byte Folded Spill
	v_lshlrev_b32_e32 v3, 16, v17
	scratch_store_dword off, v3, s32 offset:472 ; 4-byte Folded Spill
	v_and_b32_e32 v3, 0xffff0000, v17
	scratch_store_dword off, v3, s32 offset:476 ; 4-byte Folded Spill
	;; [unrolled: 4-line block ×4, first 2 shown]
	ds_read_b128 v[4:7], v2 offset:96
	ds_read_b128 v[16:19], v2 offset:112
	v_cmp_eq_u32_e64 s[6:7], 0, v0
	s_ashr_i32 s23, s22, 31
	s_lshl_b64 s[24:25], s[22:23], 2
	s_waitcnt lgkmcnt(1)
	v_lshlrev_b32_e32 v3, 16, v4
	scratch_store_dword off, v3, s32 offset:496 ; 4-byte Folded Spill
	v_and_b32_e32 v3, 0xffff0000, v4
	scratch_store_dword off, v3, s32 offset:500 ; 4-byte Folded Spill
	v_lshlrev_b32_e32 v3, 16, v5
	scratch_store_dword off, v3, s32 offset:504 ; 4-byte Folded Spill
	v_and_b32_e32 v3, 0xffff0000, v5
	scratch_store_dword off, v3, s32 offset:508 ; 4-byte Folded Spill
	;; [unrolled: 4-line block ×4, first 2 shown]
	s_waitcnt lgkmcnt(0)
	v_lshlrev_b32_e32 v3, 16, v16
	scratch_store_dword off, v3, s32 offset:528 ; 4-byte Folded Spill
	v_and_b32_e32 v3, 0xffff0000, v16
	scratch_store_dword off, v3, s32 offset:532 ; 4-byte Folded Spill
	v_lshlrev_b32_e32 v3, 16, v17
	scratch_store_dword off, v3, s32 offset:536 ; 4-byte Folded Spill
	v_and_b32_e32 v3, 0xffff0000, v17
	scratch_store_dword off, v3, s32 offset:540 ; 4-byte Folded Spill
	;; [unrolled: 4-line block ×4, first 2 shown]
	ds_read_b128 v[4:7], v2 offset:128
	ds_read_b128 v[16:19], v2 offset:144
	s_getpc_b64 s[26:27]
	s_add_u32 s26, s26, llvm.amdgcn.dynlds.offset.table@rel32@lo+4
	s_addc_u32 s27, s27, llvm.amdgcn.dynlds.offset.table@rel32@hi+12
	s_add_u32 s24, s24, s26
	s_addc_u32 s25, s25, s27
	s_waitcnt lgkmcnt(1)
	v_lshlrev_b32_e32 v3, 16, v4
	scratch_store_dword off, v3, s32 offset:560 ; 4-byte Folded Spill
	v_and_b32_e32 v3, 0xffff0000, v4
	scratch_store_dword off, v3, s32 offset:564 ; 4-byte Folded Spill
	v_lshlrev_b32_e32 v3, 16, v5
	scratch_store_dword off, v3, s32 offset:568 ; 4-byte Folded Spill
	v_and_b32_e32 v3, 0xffff0000, v5
	scratch_store_dword off, v3, s32 offset:572 ; 4-byte Folded Spill
	;; [unrolled: 4-line block ×4, first 2 shown]
	s_waitcnt lgkmcnt(0)
	v_lshlrev_b32_e32 v3, 16, v16
	scratch_store_dword off, v3, s32 offset:592 ; 4-byte Folded Spill
	v_and_b32_e32 v3, 0xffff0000, v16
	scratch_store_dword off, v3, s32 offset:596 ; 4-byte Folded Spill
	v_lshlrev_b32_e32 v3, 16, v17
	scratch_store_dword off, v3, s32 offset:600 ; 4-byte Folded Spill
	v_and_b32_e32 v3, 0xffff0000, v17
	scratch_store_dword off, v3, s32 offset:604 ; 4-byte Folded Spill
	;; [unrolled: 4-line block ×4, first 2 shown]
	ds_read_b128 v[4:7], v2 offset:160
	ds_read_b128 v[16:19], v2 offset:176
	s_mov_b64 s[26:27], 0
	s_mov_b32 s23, 0x7f800000
	s_movk_i32 s49, 0x7fff
	s_waitcnt lgkmcnt(1)
	v_lshlrev_b32_e32 v3, 16, v4
	scratch_store_dword off, v3, s32 offset:624 ; 4-byte Folded Spill
	v_and_b32_e32 v3, 0xffff0000, v4
	scratch_store_dword off, v3, s32 offset:628 ; 4-byte Folded Spill
	v_lshlrev_b32_e32 v3, 16, v5
	scratch_store_dword off, v3, s32 offset:632 ; 4-byte Folded Spill
	v_and_b32_e32 v3, 0xffff0000, v5
	scratch_store_dword off, v3, s32 offset:636 ; 4-byte Folded Spill
	v_lshlrev_b32_e32 v3, 16, v6
	scratch_store_dword off, v3, s32 offset:640 ; 4-byte Folded Spill
	v_and_b32_e32 v3, 0xffff0000, v6
	scratch_store_dword off, v3, s32 offset:644 ; 4-byte Folded Spill
	v_lshlrev_b32_e32 v3, 16, v7
	scratch_store_dword off, v3, s32 offset:648 ; 4-byte Folded Spill
	v_and_b32_e32 v3, 0xffff0000, v7
	scratch_store_dword off, v3, s32 offset:652 ; 4-byte Folded Spill
	s_waitcnt lgkmcnt(0)
	v_lshlrev_b32_e32 v3, 16, v16
	scratch_store_dword off, v3, s32 offset:656 ; 4-byte Folded Spill
	v_and_b32_e32 v3, 0xffff0000, v16
	scratch_store_dword off, v3, s32 offset:660 ; 4-byte Folded Spill
	v_lshlrev_b32_e32 v3, 16, v17
	scratch_store_dword off, v3, s32 offset:664 ; 4-byte Folded Spill
	v_and_b32_e32 v3, 0xffff0000, v17
	scratch_store_dword off, v3, s32 offset:668 ; 4-byte Folded Spill
	;; [unrolled: 4-line block ×4, first 2 shown]
	ds_read_b128 v[4:7], v2 offset:192
	ds_read_b128 v[16:19], v2 offset:208
	s_mov_b64 s[28:29], 0x1000
	s_mov_b64 s[30:31], 0x1200
	;; [unrolled: 1-line block ×3, first 2 shown]
	s_waitcnt lgkmcnt(1)
	v_lshlrev_b32_e32 v3, 16, v4
	scratch_store_dword off, v3, s32 offset:688 ; 4-byte Folded Spill
	v_and_b32_e32 v3, 0xffff0000, v4
	scratch_store_dword off, v3, s32 offset:692 ; 4-byte Folded Spill
	v_lshlrev_b32_e32 v3, 16, v5
	scratch_store_dword off, v3, s32 offset:696 ; 4-byte Folded Spill
	v_and_b32_e32 v3, 0xffff0000, v5
	scratch_store_dword off, v3, s32 offset:700 ; 4-byte Folded Spill
	v_lshlrev_b32_e32 v3, 16, v6
	scratch_store_dword off, v3, s32 offset:704 ; 4-byte Folded Spill
	v_and_b32_e32 v3, 0xffff0000, v6
	scratch_store_dword off, v3, s32 offset:708 ; 4-byte Folded Spill
	v_lshlrev_b32_e32 v3, 16, v7
	scratch_store_dword off, v3, s32 offset:712 ; 4-byte Folded Spill
	v_and_b32_e32 v3, 0xffff0000, v7
	scratch_store_dword off, v3, s32 offset:716 ; 4-byte Folded Spill
	s_waitcnt lgkmcnt(0)
	v_lshlrev_b32_e32 v3, 16, v16
	scratch_store_dword off, v3, s32 offset:720 ; 4-byte Folded Spill
	v_and_b32_e32 v3, 0xffff0000, v16
	scratch_store_dword off, v3, s32 offset:724 ; 4-byte Folded Spill
	v_lshlrev_b32_e32 v3, 16, v17
	scratch_store_dword off, v3, s32 offset:728 ; 4-byte Folded Spill
	v_and_b32_e32 v3, 0xffff0000, v17
	scratch_store_dword off, v3, s32 offset:732 ; 4-byte Folded Spill
	;; [unrolled: 4-line block ×4, first 2 shown]
	ds_read_b128 v[4:7], v2 offset:224
	ds_read_b128 v[16:19], v2 offset:240
	scratch_store_dword off, v1, s32 offset:892 ; 4-byte Folded Spill
	s_mov_b64 s[36:37], 0x1600
	s_mov_b64 s[38:39], 0x1800
	s_waitcnt lgkmcnt(1)
	v_lshlrev_b32_e32 v2, 16, v4
	scratch_store_dword off, v2, s32 offset:752 ; 4-byte Folded Spill
	v_and_b32_e32 v2, 0xffff0000, v4
	scratch_store_dword off, v2, s32 offset:756 ; 4-byte Folded Spill
	v_lshlrev_b32_e32 v2, 16, v5
	scratch_store_dword off, v2, s32 offset:760 ; 4-byte Folded Spill
	v_and_b32_e32 v2, 0xffff0000, v5
	scratch_store_dword off, v2, s32 offset:764 ; 4-byte Folded Spill
	;; [unrolled: 4-line block ×4, first 2 shown]
	s_waitcnt lgkmcnt(0)
	v_lshlrev_b32_e32 v2, 16, v16
	scratch_store_dword off, v2, s32 offset:784 ; 4-byte Folded Spill
	v_and_b32_e32 v2, 0xffff0000, v16
	scratch_store_dword off, v2, s32 offset:788 ; 4-byte Folded Spill
	v_lshlrev_b32_e32 v2, 16, v17
	scratch_store_dword off, v2, s32 offset:792 ; 4-byte Folded Spill
	v_and_b32_e32 v2, 0xffff0000, v17
	scratch_store_dword off, v2, s32 offset:796 ; 4-byte Folded Spill
	;; [unrolled: 4-line block ×4, first 2 shown]
	scratch_load_dwordx2 v[2:3], off, s32 offset:856 ; 8-byte Folded Reload
	v_bfe_u32 v4, v22, 1, 5
	scratch_load_dwordx2 v[6:7], off, s32 offset:848 ; 8-byte Folded Reload
	s_mov_b64 s[40:41], 0x1a00
	s_mov_b64 s[42:43], 0x1c00
	s_mov_b64 s[44:45], 0x1e00
	scratch_store_dwordx2 off, v[14:15], s32 offset:920 ; 8-byte Folded Spill
	s_waitcnt vmcnt(2)
	v_lshl_add_u64 v[2:3], v[8:9], 0, v[2:3]
	v_lshlrev_b32_e32 v8, 4, v4
	v_mov_b32_e32 v9, 0
	v_lshl_add_u64 v[2:3], v[2:3], 0, v[8:9]
	v_lshlrev_b32_e32 v8, 2, v0
	v_and_b32_e32 v0, 64, v1
	scratch_store_dwordx2 off, v[2:3], s32 offset:820 ; 8-byte Folded Spill
	v_add_u32_e32 v2, 64, v0
	v_xor_b32_e32 v0, 1, v1
	v_cmp_lt_i32_e32 vcc, v0, v2
	scratch_store_dword off, v2, s32 offset:900 ; 4-byte Folded Spill
	scratch_load_dwordx2 v[2:3], off, s32 offset:188 ; 8-byte Folded Reload
	v_cndmask_b32_e32 v0, v1, v0, vcc
	v_lshlrev_b32_e32 v0, 2, v0
	scratch_store_dword off, v0, s32 offset:816 ; 4-byte Folded Spill
	scratch_load_dword v0, off, s32 offset:828 ; 4-byte Folded Reload
	s_waitcnt vmcnt(2)
	v_mov_b32_e32 v27, v2
	s_waitcnt vmcnt(0)
	v_cmp_neq_f32_e64 s[8:9], 0, v0
	v_lshlrev_b64 v[0:1], 2, v[2:3]
	v_lshl_add_u64 v[0:1], v[6:7], 2, v[0:1]
	v_lshl_add_u64 v[20:21], v[14:15], 0, v[0:1]
	v_lshlrev_b32_e32 v0, 5, v37
	v_mov_b32_e32 v1, v37
	v_add3_u32 v37, s48, v0, v4
	v_lshlrev_b32_e32 v0, 2, v4
	v_lshl_or_b32 v22, v1, 7, v0
	v_mov_b32_e32 v0, 0xff7fffff
	scratch_store_dword off, v1, s32 offset:896 ; 4-byte Folded Spill
	scratch_store_dword off, v0, s32 offset:264 ; 4-byte Folded Spill
	s_branch .LBB379_10
.LBB379_9:                              ;   in Loop: Header=BB379_10 Depth=1
	s_or_b64 exec, exec, s[46:47]
	scratch_load_dword v0, off, s32 offset:196 ; 4-byte Folded Reload
	v_add_u32_e32 v27, 2, v27
	v_lshl_add_u64 v[20:21], v[20:21], 0, 8
	v_add_u32_e32 v37, 64, v37
	v_add_u32_e32 v22, 0x100, v22
	s_waitcnt vmcnt(0)
	v_cmp_ge_i32_e32 vcc, v27, v0
	s_or_b64 s[26:27], vcc, s[26:27]
	s_andn2_b64 exec, exec, s[26:27]
	s_cbranch_execz .LBB379_524
.LBB379_10:                             ; =>This Inner Loop Header: Depth=1
	flat_load_dword v0, v[20:21]
	scratch_load_dwordx2 v[2:3], off, s32 offset:200 ; 8-byte Folded Reload
	scratch_load_dwordx2 v[4:5], off, s32 offset:820 ; 8-byte Folded Reload
                                        ; implicit-def: $vgpr13
	s_waitcnt vmcnt(0) lgkmcnt(0)
	v_mad_i64_i32 v[0:1], vcc, v0, v2, v[4:5]
	v_lshl_add_u64 v[28:29], v[0:1], 0, v[8:9]
	flat_load_dword v1, v[28:29]
	scratch_load_dwordx2 v[2:3], off, s32 offset:256 ; 8-byte Folded Reload
	s_waitcnt vmcnt(0)
	flat_load_dword v0, v[2:3]
	s_waitcnt lgkmcnt(0)
	v_and_b32_e32 v2, 0xff, v1
	v_cvt_f32_fp8_sdwa v2, v2 src0_sel:BYTE_0
	s_waitcnt vmcnt(0)
	v_mul_f32_e32 v2, v0, v2
	v_and_b32_e32 v3, 0x7f800000, v2
	v_cmp_ne_u32_e32 vcc, s23, v3
	s_and_saveexec_b64 s[46:47], vcc
	s_xor_b64 vcc, exec, s[46:47]
; %bb.11:                               ;   in Loop: Header=BB379_10 Depth=1
	v_bfe_u32 v3, v2, 16, 1
	v_add3_u32 v13, v2, v3, s49
                                        ; implicit-def: $vgpr2
; %bb.12:                               ;   in Loop: Header=BB379_10 Depth=1
	s_andn2_saveexec_b64 s[46:47], vcc
; %bb.13:                               ;   in Loop: Header=BB379_10 Depth=1
	v_or_b32_e32 v3, 0x10000, v2
	v_cmp_eq_u32_sdwa vcc, v2, v9 src0_sel:WORD_0 src1_sel:DWORD
	s_nop 1
	v_cndmask_b32_e32 v13, v3, v2, vcc
; %bb.14:                               ;   in Loop: Header=BB379_10 Depth=1
	s_or_b64 exec, exec, s[46:47]
	v_bfe_u32 v2, v1, 8, 8
	v_cvt_f32_fp8_sdwa v2, v2 src0_sel:BYTE_0
	s_nop 0
	v_mul_f32_e32 v2, v0, v2
	v_and_b32_e32 v3, 0x7f800000, v2
	v_cmp_ne_u32_e32 vcc, s23, v3
                                        ; implicit-def: $vgpr3
                                        ; kill: killed $vgpr3
	s_and_saveexec_b64 s[46:47], vcc
	s_xor_b64 vcc, exec, s[46:47]
	s_cbranch_execz .LBB379_16
; %bb.15:                               ;   in Loop: Header=BB379_10 Depth=1
	v_bfe_u32 v3, v2, 16, 1
	v_add3_u32 v2, v2, v3, s49
	scratch_store_dword off, v2, s32 offset:216 ; 4-byte Folded Spill
                                        ; implicit-def: $vgpr2
.LBB379_16:                             ;   in Loop: Header=BB379_10 Depth=1
	s_andn2_saveexec_b64 s[46:47], vcc
	s_cbranch_execz .LBB379_18
; %bb.17:                               ;   in Loop: Header=BB379_10 Depth=1
	v_or_b32_e32 v3, 0x10000, v2
	v_cmp_eq_u32_sdwa vcc, v2, v9 src0_sel:WORD_0 src1_sel:DWORD
	s_nop 1
	v_cndmask_b32_e32 v2, v3, v2, vcc
	scratch_store_dword off, v2, s32 offset:216 ; 4-byte Folded Spill
.LBB379_18:                             ;   in Loop: Header=BB379_10 Depth=1
	s_or_b64 exec, exec, s[46:47]
	v_bfe_u32 v2, v1, 16, 8
	v_cvt_f32_fp8_sdwa v2, v2 src0_sel:BYTE_0
	s_nop 0
	v_mul_f32_e32 v2, v0, v2
	v_and_b32_e32 v3, 0x7f800000, v2
	v_cmp_ne_u32_e32 vcc, s23, v3
                                        ; implicit-def: $vgpr3
                                        ; kill: killed $vgpr3
	s_and_saveexec_b64 s[46:47], vcc
	s_xor_b64 vcc, exec, s[46:47]
	s_cbranch_execz .LBB379_20
; %bb.19:                               ;   in Loop: Header=BB379_10 Depth=1
	v_bfe_u32 v3, v2, 16, 1
	v_add3_u32 v2, v2, v3, s49
	scratch_store_dword off, v2, s32 offset:208 ; 4-byte Folded Spill
                                        ; implicit-def: $vgpr2
.LBB379_20:                             ;   in Loop: Header=BB379_10 Depth=1
	s_andn2_saveexec_b64 s[46:47], vcc
	s_cbranch_execz .LBB379_22
; %bb.21:                               ;   in Loop: Header=BB379_10 Depth=1
	v_or_b32_e32 v3, 0x10000, v2
	v_cmp_eq_u32_sdwa vcc, v2, v9 src0_sel:WORD_0 src1_sel:DWORD
	s_nop 1
	v_cndmask_b32_e32 v2, v3, v2, vcc
	scratch_store_dword off, v2, s32 offset:208 ; 4-byte Folded Spill
.LBB379_22:                             ;   in Loop: Header=BB379_10 Depth=1
	s_or_b64 exec, exec, s[46:47]
	v_lshrrev_b32_e32 v1, 24, v1
	v_cvt_f32_fp8_sdwa v1, v1 src0_sel:BYTE_0
	s_nop 0
	v_mul_f32_e32 v1, v0, v1
	v_and_b32_e32 v2, 0x7f800000, v1
	v_cmp_ne_u32_e32 vcc, s23, v2
                                        ; implicit-def: $vgpr2
                                        ; kill: killed $vgpr2
	s_and_saveexec_b64 s[46:47], vcc
	s_xor_b64 vcc, exec, s[46:47]
	s_cbranch_execz .LBB379_24
; %bb.23:                               ;   in Loop: Header=BB379_10 Depth=1
	v_bfe_u32 v2, v1, 16, 1
	v_add3_u32 v1, v1, v2, s49
	scratch_store_dword off, v1, s32 offset:220 ; 4-byte Folded Spill
                                        ; implicit-def: $vgpr1
.LBB379_24:                             ;   in Loop: Header=BB379_10 Depth=1
	s_andn2_saveexec_b64 s[46:47], vcc
	s_cbranch_execz .LBB379_26
; %bb.25:                               ;   in Loop: Header=BB379_10 Depth=1
	v_or_b32_e32 v2, 0x10000, v1
	v_cmp_eq_u32_sdwa vcc, v1, v9 src0_sel:WORD_0 src1_sel:DWORD
	s_nop 1
	v_cndmask_b32_e32 v1, v2, v1, vcc
	scratch_store_dword off, v1, s32 offset:220 ; 4-byte Folded Spill
.LBB379_26:                             ;   in Loop: Header=BB379_10 Depth=1
	s_or_b64 exec, exec, s[46:47]
	flat_load_dword v1, v[28:29] offset:8
                                        ; implicit-def: $vgpr54
	s_waitcnt vmcnt(0) lgkmcnt(0)
	v_and_b32_e32 v2, 0xff, v1
	v_cvt_f32_fp8_sdwa v2, v2 src0_sel:BYTE_0
	s_nop 0
	v_mul_f32_e32 v2, v0, v2
	v_and_b32_e32 v3, 0x7f800000, v2
	v_cmp_ne_u32_e32 vcc, s23, v3
	s_and_saveexec_b64 s[46:47], vcc
	s_xor_b64 vcc, exec, s[46:47]
; %bb.27:                               ;   in Loop: Header=BB379_10 Depth=1
	v_bfe_u32 v3, v2, 16, 1
	v_add3_u32 v54, v2, v3, s49
                                        ; implicit-def: $vgpr2
; %bb.28:                               ;   in Loop: Header=BB379_10 Depth=1
	s_andn2_saveexec_b64 s[46:47], vcc
; %bb.29:                               ;   in Loop: Header=BB379_10 Depth=1
	v_or_b32_e32 v3, 0x10000, v2
	v_cmp_eq_u32_sdwa vcc, v2, v9 src0_sel:WORD_0 src1_sel:DWORD
	s_nop 1
	v_cndmask_b32_e32 v54, v3, v2, vcc
; %bb.30:                               ;   in Loop: Header=BB379_10 Depth=1
	s_or_b64 exec, exec, s[46:47]
	v_bfe_u32 v2, v1, 8, 8
	v_cvt_f32_fp8_sdwa v2, v2 src0_sel:BYTE_0
                                        ; implicit-def: $vgpr55
	s_nop 0
	v_mul_f32_e32 v2, v0, v2
	v_and_b32_e32 v3, 0x7f800000, v2
	v_cmp_ne_u32_e32 vcc, s23, v3
	s_and_saveexec_b64 s[46:47], vcc
	s_xor_b64 vcc, exec, s[46:47]
; %bb.31:                               ;   in Loop: Header=BB379_10 Depth=1
	v_bfe_u32 v3, v2, 16, 1
	v_add3_u32 v55, v2, v3, s49
                                        ; implicit-def: $vgpr2
; %bb.32:                               ;   in Loop: Header=BB379_10 Depth=1
	s_andn2_saveexec_b64 s[46:47], vcc
; %bb.33:                               ;   in Loop: Header=BB379_10 Depth=1
	v_or_b32_e32 v3, 0x10000, v2
	v_cmp_eq_u32_sdwa vcc, v2, v9 src0_sel:WORD_0 src1_sel:DWORD
	s_nop 1
	v_cndmask_b32_e32 v55, v3, v2, vcc
; %bb.34:                               ;   in Loop: Header=BB379_10 Depth=1
	s_or_b64 exec, exec, s[46:47]
	v_bfe_u32 v2, v1, 16, 8
	v_cvt_f32_fp8_sdwa v2, v2 src0_sel:BYTE_0
	s_nop 0
	v_mul_f32_e32 v2, v0, v2
	v_and_b32_e32 v3, 0x7f800000, v2
	v_cmp_ne_u32_e32 vcc, s23, v3
                                        ; implicit-def: $vgpr3
                                        ; kill: killed $vgpr3
	s_and_saveexec_b64 s[46:47], vcc
	s_xor_b64 vcc, exec, s[46:47]
	s_cbranch_execz .LBB379_36
; %bb.35:                               ;   in Loop: Header=BB379_10 Depth=1
	v_bfe_u32 v3, v2, 16, 1
	v_add3_u32 v2, v2, v3, s49
	scratch_store_dword off, v2, s32 offset:224 ; 4-byte Folded Spill
                                        ; implicit-def: $vgpr2
.LBB379_36:                             ;   in Loop: Header=BB379_10 Depth=1
	s_andn2_saveexec_b64 s[46:47], vcc
	s_cbranch_execz .LBB379_38
; %bb.37:                               ;   in Loop: Header=BB379_10 Depth=1
	v_or_b32_e32 v3, 0x10000, v2
	v_cmp_eq_u32_sdwa vcc, v2, v9 src0_sel:WORD_0 src1_sel:DWORD
	s_nop 1
	v_cndmask_b32_e32 v2, v3, v2, vcc
	scratch_store_dword off, v2, s32 offset:224 ; 4-byte Folded Spill
.LBB379_38:                             ;   in Loop: Header=BB379_10 Depth=1
	s_or_b64 exec, exec, s[46:47]
	v_lshrrev_b32_e32 v1, 24, v1
	v_cvt_f32_fp8_sdwa v1, v1 src0_sel:BYTE_0
                                        ; implicit-def: $vgpr40
	s_nop 0
	v_mul_f32_e32 v1, v0, v1
	v_and_b32_e32 v2, 0x7f800000, v1
	v_cmp_ne_u32_e32 vcc, s23, v2
	s_and_saveexec_b64 s[46:47], vcc
	s_xor_b64 vcc, exec, s[46:47]
; %bb.39:                               ;   in Loop: Header=BB379_10 Depth=1
	v_bfe_u32 v2, v1, 16, 1
	v_add3_u32 v40, v1, v2, s49
                                        ; implicit-def: $vgpr1
; %bb.40:                               ;   in Loop: Header=BB379_10 Depth=1
	s_andn2_saveexec_b64 s[46:47], vcc
; %bb.41:                               ;   in Loop: Header=BB379_10 Depth=1
	v_or_b32_e32 v2, 0x10000, v1
	v_cmp_eq_u32_sdwa vcc, v1, v9 src0_sel:WORD_0 src1_sel:DWORD
	s_nop 1
	v_cndmask_b32_e32 v40, v2, v1, vcc
; %bb.42:                               ;   in Loop: Header=BB379_10 Depth=1
	s_or_b64 exec, exec, s[46:47]
	flat_load_dword v1, v[28:29] offset:512
	s_waitcnt vmcnt(0) lgkmcnt(0)
	v_and_b32_e32 v2, 0xff, v1
	v_cvt_f32_fp8_sdwa v2, v2 src0_sel:BYTE_0
	s_nop 0
	v_mul_f32_e32 v2, v0, v2
	v_and_b32_e32 v3, 0x7f800000, v2
	v_cmp_ne_u32_e32 vcc, s23, v3
                                        ; implicit-def: $vgpr3
                                        ; kill: killed $vgpr3
	s_and_saveexec_b64 s[46:47], vcc
	s_xor_b64 vcc, exec, s[46:47]
	s_cbranch_execz .LBB379_44
; %bb.43:                               ;   in Loop: Header=BB379_10 Depth=1
	v_bfe_u32 v3, v2, 16, 1
	v_add3_u32 v2, v2, v3, s49
	scratch_store_dword off, v2, s32 offset:228 ; 4-byte Folded Spill
                                        ; implicit-def: $vgpr2
.LBB379_44:                             ;   in Loop: Header=BB379_10 Depth=1
	s_andn2_saveexec_b64 s[46:47], vcc
	s_cbranch_execz .LBB379_46
; %bb.45:                               ;   in Loop: Header=BB379_10 Depth=1
	v_or_b32_e32 v3, 0x10000, v2
	v_cmp_eq_u32_sdwa vcc, v2, v9 src0_sel:WORD_0 src1_sel:DWORD
	s_nop 1
	v_cndmask_b32_e32 v2, v3, v2, vcc
	scratch_store_dword off, v2, s32 offset:228 ; 4-byte Folded Spill
.LBB379_46:                             ;   in Loop: Header=BB379_10 Depth=1
	s_or_b64 exec, exec, s[46:47]
	v_bfe_u32 v2, v1, 8, 8
	v_cvt_f32_fp8_sdwa v2, v2 src0_sel:BYTE_0
	s_nop 0
	v_mul_f32_e32 v2, v0, v2
	v_and_b32_e32 v3, 0x7f800000, v2
	v_cmp_ne_u32_e32 vcc, s23, v3
                                        ; implicit-def: $vgpr3
                                        ; kill: killed $vgpr3
	s_and_saveexec_b64 s[46:47], vcc
	s_xor_b64 vcc, exec, s[46:47]
	s_cbranch_execz .LBB379_48
; %bb.47:                               ;   in Loop: Header=BB379_10 Depth=1
	v_bfe_u32 v3, v2, 16, 1
	v_add3_u32 v2, v2, v3, s49
	scratch_store_dword off, v2, s32 offset:232 ; 4-byte Folded Spill
                                        ; implicit-def: $vgpr2
.LBB379_48:                             ;   in Loop: Header=BB379_10 Depth=1
	s_andn2_saveexec_b64 s[46:47], vcc
	s_cbranch_execz .LBB379_50
; %bb.49:                               ;   in Loop: Header=BB379_10 Depth=1
	v_or_b32_e32 v3, 0x10000, v2
	v_cmp_eq_u32_sdwa vcc, v2, v9 src0_sel:WORD_0 src1_sel:DWORD
	s_nop 1
	v_cndmask_b32_e32 v2, v3, v2, vcc
	scratch_store_dword off, v2, s32 offset:232 ; 4-byte Folded Spill
.LBB379_50:                             ;   in Loop: Header=BB379_10 Depth=1
	s_or_b64 exec, exec, s[46:47]
	v_bfe_u32 v2, v1, 16, 8
	v_cvt_f32_fp8_sdwa v2, v2 src0_sel:BYTE_0
	s_nop 0
	v_mul_f32_e32 v2, v0, v2
	v_and_b32_e32 v3, 0x7f800000, v2
	v_cmp_ne_u32_e32 vcc, s23, v3
                                        ; implicit-def: $vgpr3
                                        ; kill: killed $vgpr3
	s_and_saveexec_b64 s[46:47], vcc
	s_xor_b64 vcc, exec, s[46:47]
	s_cbranch_execz .LBB379_52
; %bb.51:                               ;   in Loop: Header=BB379_10 Depth=1
	v_bfe_u32 v3, v2, 16, 1
	v_add3_u32 v2, v2, v3, s49
	scratch_store_dword off, v2, s32 offset:236 ; 4-byte Folded Spill
                                        ; implicit-def: $vgpr2
.LBB379_52:                             ;   in Loop: Header=BB379_10 Depth=1
	s_andn2_saveexec_b64 s[46:47], vcc
	s_cbranch_execz .LBB379_54
; %bb.53:                               ;   in Loop: Header=BB379_10 Depth=1
	v_or_b32_e32 v3, 0x10000, v2
	v_cmp_eq_u32_sdwa vcc, v2, v9 src0_sel:WORD_0 src1_sel:DWORD
	s_nop 1
	v_cndmask_b32_e32 v2, v3, v2, vcc
	scratch_store_dword off, v2, s32 offset:236 ; 4-byte Folded Spill
.LBB379_54:                             ;   in Loop: Header=BB379_10 Depth=1
	s_or_b64 exec, exec, s[46:47]
	v_lshrrev_b32_e32 v1, 24, v1
	v_cvt_f32_fp8_sdwa v1, v1 src0_sel:BYTE_0
	s_nop 0
	v_mul_f32_e32 v1, v0, v1
	v_and_b32_e32 v2, 0x7f800000, v1
	v_cmp_ne_u32_e32 vcc, s23, v2
                                        ; implicit-def: $vgpr2
                                        ; kill: killed $vgpr2
	s_and_saveexec_b64 s[46:47], vcc
	s_xor_b64 vcc, exec, s[46:47]
	s_cbranch_execz .LBB379_56
; %bb.55:                               ;   in Loop: Header=BB379_10 Depth=1
	v_bfe_u32 v2, v1, 16, 1
	v_add3_u32 v1, v1, v2, s49
	scratch_store_dword off, v1, s32 offset:240 ; 4-byte Folded Spill
                                        ; implicit-def: $vgpr1
.LBB379_56:                             ;   in Loop: Header=BB379_10 Depth=1
	s_andn2_saveexec_b64 s[46:47], vcc
	s_cbranch_execz .LBB379_58
; %bb.57:                               ;   in Loop: Header=BB379_10 Depth=1
	v_or_b32_e32 v2, 0x10000, v1
	v_cmp_eq_u32_sdwa vcc, v1, v9 src0_sel:WORD_0 src1_sel:DWORD
	s_nop 1
	v_cndmask_b32_e32 v1, v2, v1, vcc
	scratch_store_dword off, v1, s32 offset:240 ; 4-byte Folded Spill
.LBB379_58:                             ;   in Loop: Header=BB379_10 Depth=1
	s_or_b64 exec, exec, s[46:47]
	flat_load_dword v1, v[28:29] offset:520
	s_waitcnt vmcnt(0) lgkmcnt(0)
	v_and_b32_e32 v2, 0xff, v1
	v_cvt_f32_fp8_sdwa v2, v2 src0_sel:BYTE_0
	s_nop 0
	v_mul_f32_e32 v2, v0, v2
	v_and_b32_e32 v3, 0x7f800000, v2
	v_cmp_ne_u32_e32 vcc, s23, v3
                                        ; implicit-def: $vgpr3
                                        ; kill: killed $vgpr3
	s_and_saveexec_b64 s[46:47], vcc
	s_xor_b64 vcc, exec, s[46:47]
	s_cbranch_execz .LBB379_60
; %bb.59:                               ;   in Loop: Header=BB379_10 Depth=1
	v_bfe_u32 v3, v2, 16, 1
	v_add3_u32 v2, v2, v3, s49
	scratch_store_dword off, v2, s32 offset:244 ; 4-byte Folded Spill
                                        ; implicit-def: $vgpr2
.LBB379_60:                             ;   in Loop: Header=BB379_10 Depth=1
	s_andn2_saveexec_b64 s[46:47], vcc
	s_cbranch_execz .LBB379_62
; %bb.61:                               ;   in Loop: Header=BB379_10 Depth=1
	v_or_b32_e32 v3, 0x10000, v2
	v_cmp_eq_u32_sdwa vcc, v2, v9 src0_sel:WORD_0 src1_sel:DWORD
	s_nop 1
	v_cndmask_b32_e32 v2, v3, v2, vcc
	scratch_store_dword off, v2, s32 offset:244 ; 4-byte Folded Spill
.LBB379_62:                             ;   in Loop: Header=BB379_10 Depth=1
	s_or_b64 exec, exec, s[46:47]
	v_bfe_u32 v2, v1, 8, 8
	v_cvt_f32_fp8_sdwa v2, v2 src0_sel:BYTE_0
	s_nop 0
	v_mul_f32_e32 v2, v0, v2
	v_and_b32_e32 v3, 0x7f800000, v2
	v_cmp_ne_u32_e32 vcc, s23, v3
                                        ; implicit-def: $vgpr3
                                        ; kill: killed $vgpr3
	s_and_saveexec_b64 s[46:47], vcc
	s_xor_b64 vcc, exec, s[46:47]
	s_cbranch_execz .LBB379_64
; %bb.63:                               ;   in Loop: Header=BB379_10 Depth=1
	v_bfe_u32 v3, v2, 16, 1
	v_add3_u32 v2, v2, v3, s49
	scratch_store_dword off, v2, s32 offset:248 ; 4-byte Folded Spill
                                        ; implicit-def: $vgpr2
.LBB379_64:                             ;   in Loop: Header=BB379_10 Depth=1
	s_andn2_saveexec_b64 s[46:47], vcc
	s_cbranch_execz .LBB379_66
; %bb.65:                               ;   in Loop: Header=BB379_10 Depth=1
	v_or_b32_e32 v3, 0x10000, v2
	v_cmp_eq_u32_sdwa vcc, v2, v9 src0_sel:WORD_0 src1_sel:DWORD
	s_nop 1
	v_cndmask_b32_e32 v2, v3, v2, vcc
	scratch_store_dword off, v2, s32 offset:248 ; 4-byte Folded Spill
.LBB379_66:                             ;   in Loop: Header=BB379_10 Depth=1
	s_or_b64 exec, exec, s[46:47]
	v_bfe_u32 v2, v1, 16, 8
	v_cvt_f32_fp8_sdwa v2, v2 src0_sel:BYTE_0
	s_nop 0
	v_mul_f32_e32 v2, v0, v2
	v_and_b32_e32 v3, 0x7f800000, v2
	v_cmp_ne_u32_e32 vcc, s23, v3
                                        ; implicit-def: $vgpr3
                                        ; kill: killed $vgpr3
	s_and_saveexec_b64 s[46:47], vcc
	s_xor_b64 vcc, exec, s[46:47]
	s_cbranch_execz .LBB379_68
; %bb.67:                               ;   in Loop: Header=BB379_10 Depth=1
	v_bfe_u32 v3, v2, 16, 1
	v_add3_u32 v2, v2, v3, s49
	scratch_store_dword off, v2, s32 offset:252 ; 4-byte Folded Spill
                                        ; implicit-def: $vgpr2
.LBB379_68:                             ;   in Loop: Header=BB379_10 Depth=1
	s_andn2_saveexec_b64 s[46:47], vcc
	s_cbranch_execz .LBB379_70
; %bb.69:                               ;   in Loop: Header=BB379_10 Depth=1
	v_or_b32_e32 v3, 0x10000, v2
	v_cmp_eq_u32_sdwa vcc, v2, v9 src0_sel:WORD_0 src1_sel:DWORD
	s_nop 1
	v_cndmask_b32_e32 v2, v3, v2, vcc
	scratch_store_dword off, v2, s32 offset:252 ; 4-byte Folded Spill
.LBB379_70:                             ;   in Loop: Header=BB379_10 Depth=1
	s_or_b64 exec, exec, s[46:47]
	v_lshrrev_b32_e32 v1, 24, v1
	v_cvt_f32_fp8_sdwa v1, v1 src0_sel:BYTE_0
                                        ; implicit-def: $agpr46
	s_nop 0
	v_mul_f32_e32 v1, v0, v1
	v_and_b32_e32 v2, 0x7f800000, v1
	v_cmp_ne_u32_e32 vcc, s23, v2
	s_and_saveexec_b64 s[46:47], vcc
	s_xor_b64 vcc, exec, s[46:47]
; %bb.71:                               ;   in Loop: Header=BB379_10 Depth=1
	v_bfe_u32 v2, v1, 16, 1
	v_add3_u32 v1, v1, v2, s49
	v_accvgpr_write_b32 a46, v1
                                        ; implicit-def: $vgpr1
; %bb.72:                               ;   in Loop: Header=BB379_10 Depth=1
	s_andn2_saveexec_b64 s[46:47], vcc
; %bb.73:                               ;   in Loop: Header=BB379_10 Depth=1
	v_or_b32_e32 v2, 0x10000, v1
	v_cmp_eq_u32_sdwa vcc, v1, v9 src0_sel:WORD_0 src1_sel:DWORD
	s_nop 1
	v_cndmask_b32_e32 v1, v2, v1, vcc
	v_accvgpr_write_b32 a46, v1
; %bb.74:                               ;   in Loop: Header=BB379_10 Depth=1
	s_or_b64 exec, exec, s[46:47]
	flat_load_dword v1, v[28:29] offset:1024
                                        ; implicit-def: $agpr47
	s_waitcnt vmcnt(0) lgkmcnt(0)
	v_and_b32_e32 v2, 0xff, v1
	v_cvt_f32_fp8_sdwa v2, v2 src0_sel:BYTE_0
	s_nop 0
	v_mul_f32_e32 v2, v0, v2
	v_and_b32_e32 v3, 0x7f800000, v2
	v_cmp_ne_u32_e32 vcc, s23, v3
	s_and_saveexec_b64 s[46:47], vcc
	s_xor_b64 vcc, exec, s[46:47]
; %bb.75:                               ;   in Loop: Header=BB379_10 Depth=1
	v_bfe_u32 v3, v2, 16, 1
	v_add3_u32 v2, v2, v3, s49
	v_accvgpr_write_b32 a47, v2
                                        ; implicit-def: $vgpr2
; %bb.76:                               ;   in Loop: Header=BB379_10 Depth=1
	s_andn2_saveexec_b64 s[46:47], vcc
; %bb.77:                               ;   in Loop: Header=BB379_10 Depth=1
	v_or_b32_e32 v3, 0x10000, v2
	v_cmp_eq_u32_sdwa vcc, v2, v9 src0_sel:WORD_0 src1_sel:DWORD
	s_nop 1
	v_cndmask_b32_e32 v2, v3, v2, vcc
	v_accvgpr_write_b32 a47, v2
; %bb.78:                               ;   in Loop: Header=BB379_10 Depth=1
	s_or_b64 exec, exec, s[46:47]
	v_bfe_u32 v2, v1, 8, 8
	v_cvt_f32_fp8_sdwa v2, v2 src0_sel:BYTE_0
                                        ; implicit-def: $agpr48
	s_nop 0
	v_mul_f32_e32 v2, v0, v2
	v_and_b32_e32 v3, 0x7f800000, v2
	v_cmp_ne_u32_e32 vcc, s23, v3
	s_and_saveexec_b64 s[46:47], vcc
	s_xor_b64 vcc, exec, s[46:47]
; %bb.79:                               ;   in Loop: Header=BB379_10 Depth=1
	v_bfe_u32 v3, v2, 16, 1
	v_add3_u32 v2, v2, v3, s49
	v_accvgpr_write_b32 a48, v2
                                        ; implicit-def: $vgpr2
; %bb.80:                               ;   in Loop: Header=BB379_10 Depth=1
	s_andn2_saveexec_b64 s[46:47], vcc
; %bb.81:                               ;   in Loop: Header=BB379_10 Depth=1
	v_or_b32_e32 v3, 0x10000, v2
	v_cmp_eq_u32_sdwa vcc, v2, v9 src0_sel:WORD_0 src1_sel:DWORD
	s_nop 1
	v_cndmask_b32_e32 v2, v3, v2, vcc
	v_accvgpr_write_b32 a48, v2
; %bb.82:                               ;   in Loop: Header=BB379_10 Depth=1
	s_or_b64 exec, exec, s[46:47]
	v_bfe_u32 v2, v1, 16, 8
	v_cvt_f32_fp8_sdwa v2, v2 src0_sel:BYTE_0
                                        ; implicit-def: $agpr49
	s_nop 0
	v_mul_f32_e32 v2, v0, v2
	v_and_b32_e32 v3, 0x7f800000, v2
	v_cmp_ne_u32_e32 vcc, s23, v3
	s_and_saveexec_b64 s[46:47], vcc
	s_xor_b64 vcc, exec, s[46:47]
; %bb.83:                               ;   in Loop: Header=BB379_10 Depth=1
	v_bfe_u32 v3, v2, 16, 1
	v_add3_u32 v2, v2, v3, s49
	v_accvgpr_write_b32 a49, v2
                                        ; implicit-def: $vgpr2
; %bb.84:                               ;   in Loop: Header=BB379_10 Depth=1
	s_andn2_saveexec_b64 s[46:47], vcc
; %bb.85:                               ;   in Loop: Header=BB379_10 Depth=1
	v_or_b32_e32 v3, 0x10000, v2
	v_cmp_eq_u32_sdwa vcc, v2, v9 src0_sel:WORD_0 src1_sel:DWORD
	s_nop 1
	v_cndmask_b32_e32 v2, v3, v2, vcc
	v_accvgpr_write_b32 a49, v2
; %bb.86:                               ;   in Loop: Header=BB379_10 Depth=1
	s_or_b64 exec, exec, s[46:47]
	v_lshrrev_b32_e32 v1, 24, v1
	v_cvt_f32_fp8_sdwa v1, v1 src0_sel:BYTE_0
                                        ; implicit-def: $agpr50
	s_nop 0
	v_mul_f32_e32 v1, v0, v1
	v_and_b32_e32 v2, 0x7f800000, v1
	v_cmp_ne_u32_e32 vcc, s23, v2
	s_and_saveexec_b64 s[46:47], vcc
	s_xor_b64 vcc, exec, s[46:47]
; %bb.87:                               ;   in Loop: Header=BB379_10 Depth=1
	v_bfe_u32 v2, v1, 16, 1
	v_add3_u32 v1, v1, v2, s49
	v_accvgpr_write_b32 a50, v1
                                        ; implicit-def: $vgpr1
; %bb.88:                               ;   in Loop: Header=BB379_10 Depth=1
	s_andn2_saveexec_b64 s[46:47], vcc
; %bb.89:                               ;   in Loop: Header=BB379_10 Depth=1
	v_or_b32_e32 v2, 0x10000, v1
	v_cmp_eq_u32_sdwa vcc, v1, v9 src0_sel:WORD_0 src1_sel:DWORD
	s_nop 1
	v_cndmask_b32_e32 v1, v2, v1, vcc
	v_accvgpr_write_b32 a50, v1
; %bb.90:                               ;   in Loop: Header=BB379_10 Depth=1
	s_or_b64 exec, exec, s[46:47]
	flat_load_dword v1, v[28:29] offset:1032
                                        ; implicit-def: $agpr51
	s_waitcnt vmcnt(0) lgkmcnt(0)
	v_and_b32_e32 v2, 0xff, v1
	v_cvt_f32_fp8_sdwa v2, v2 src0_sel:BYTE_0
	s_nop 0
	v_mul_f32_e32 v2, v0, v2
	v_and_b32_e32 v3, 0x7f800000, v2
	v_cmp_ne_u32_e32 vcc, s23, v3
	s_and_saveexec_b64 s[46:47], vcc
	s_xor_b64 vcc, exec, s[46:47]
; %bb.91:                               ;   in Loop: Header=BB379_10 Depth=1
	v_bfe_u32 v3, v2, 16, 1
	v_add3_u32 v2, v2, v3, s49
	v_accvgpr_write_b32 a51, v2
                                        ; implicit-def: $vgpr2
; %bb.92:                               ;   in Loop: Header=BB379_10 Depth=1
	s_andn2_saveexec_b64 s[46:47], vcc
; %bb.93:                               ;   in Loop: Header=BB379_10 Depth=1
	v_or_b32_e32 v3, 0x10000, v2
	v_cmp_eq_u32_sdwa vcc, v2, v9 src0_sel:WORD_0 src1_sel:DWORD
	s_nop 1
	v_cndmask_b32_e32 v2, v3, v2, vcc
	v_accvgpr_write_b32 a51, v2
; %bb.94:                               ;   in Loop: Header=BB379_10 Depth=1
	s_or_b64 exec, exec, s[46:47]
	v_bfe_u32 v2, v1, 8, 8
	v_cvt_f32_fp8_sdwa v2, v2 src0_sel:BYTE_0
                                        ; implicit-def: $agpr52
	s_nop 0
	v_mul_f32_e32 v2, v0, v2
	v_and_b32_e32 v3, 0x7f800000, v2
	v_cmp_ne_u32_e32 vcc, s23, v3
	s_and_saveexec_b64 s[46:47], vcc
	s_xor_b64 vcc, exec, s[46:47]
; %bb.95:                               ;   in Loop: Header=BB379_10 Depth=1
	v_bfe_u32 v3, v2, 16, 1
	v_add3_u32 v2, v2, v3, s49
	v_accvgpr_write_b32 a52, v2
                                        ; implicit-def: $vgpr2
; %bb.96:                               ;   in Loop: Header=BB379_10 Depth=1
	s_andn2_saveexec_b64 s[46:47], vcc
; %bb.97:                               ;   in Loop: Header=BB379_10 Depth=1
	v_or_b32_e32 v3, 0x10000, v2
	v_cmp_eq_u32_sdwa vcc, v2, v9 src0_sel:WORD_0 src1_sel:DWORD
	s_nop 1
	v_cndmask_b32_e32 v2, v3, v2, vcc
	v_accvgpr_write_b32 a52, v2
; %bb.98:                               ;   in Loop: Header=BB379_10 Depth=1
	s_or_b64 exec, exec, s[46:47]
	v_bfe_u32 v2, v1, 16, 8
	v_cvt_f32_fp8_sdwa v2, v2 src0_sel:BYTE_0
                                        ; implicit-def: $agpr53
	s_nop 0
	v_mul_f32_e32 v2, v0, v2
	v_and_b32_e32 v3, 0x7f800000, v2
	v_cmp_ne_u32_e32 vcc, s23, v3
	s_and_saveexec_b64 s[46:47], vcc
	s_xor_b64 vcc, exec, s[46:47]
; %bb.99:                               ;   in Loop: Header=BB379_10 Depth=1
	v_bfe_u32 v3, v2, 16, 1
	v_add3_u32 v2, v2, v3, s49
	v_accvgpr_write_b32 a53, v2
                                        ; implicit-def: $vgpr2
; %bb.100:                              ;   in Loop: Header=BB379_10 Depth=1
	s_andn2_saveexec_b64 s[46:47], vcc
; %bb.101:                              ;   in Loop: Header=BB379_10 Depth=1
	v_or_b32_e32 v3, 0x10000, v2
	v_cmp_eq_u32_sdwa vcc, v2, v9 src0_sel:WORD_0 src1_sel:DWORD
	s_nop 1
	v_cndmask_b32_e32 v2, v3, v2, vcc
	v_accvgpr_write_b32 a53, v2
; %bb.102:                              ;   in Loop: Header=BB379_10 Depth=1
	s_or_b64 exec, exec, s[46:47]
	v_lshrrev_b32_e32 v1, 24, v1
	v_cvt_f32_fp8_sdwa v1, v1 src0_sel:BYTE_0
                                        ; implicit-def: $agpr55
	s_nop 0
	v_mul_f32_e32 v1, v0, v1
	v_and_b32_e32 v2, 0x7f800000, v1
	v_cmp_ne_u32_e32 vcc, s23, v2
	s_and_saveexec_b64 s[46:47], vcc
	s_xor_b64 vcc, exec, s[46:47]
; %bb.103:                              ;   in Loop: Header=BB379_10 Depth=1
	v_bfe_u32 v2, v1, 16, 1
	v_add3_u32 v1, v1, v2, s49
	v_accvgpr_write_b32 a55, v1
                                        ; implicit-def: $vgpr1
; %bb.104:                              ;   in Loop: Header=BB379_10 Depth=1
	s_andn2_saveexec_b64 s[46:47], vcc
; %bb.105:                              ;   in Loop: Header=BB379_10 Depth=1
	v_or_b32_e32 v2, 0x10000, v1
	v_cmp_eq_u32_sdwa vcc, v1, v9 src0_sel:WORD_0 src1_sel:DWORD
	s_nop 1
	v_cndmask_b32_e32 v1, v2, v1, vcc
	v_accvgpr_write_b32 a55, v1
; %bb.106:                              ;   in Loop: Header=BB379_10 Depth=1
	s_or_b64 exec, exec, s[46:47]
	flat_load_dword v1, v[28:29] offset:1536
                                        ; implicit-def: $agpr56
	s_waitcnt vmcnt(0) lgkmcnt(0)
	v_and_b32_e32 v2, 0xff, v1
	v_cvt_f32_fp8_sdwa v2, v2 src0_sel:BYTE_0
	s_nop 0
	v_mul_f32_e32 v2, v0, v2
	v_and_b32_e32 v3, 0x7f800000, v2
	v_cmp_ne_u32_e32 vcc, s23, v3
	s_and_saveexec_b64 s[46:47], vcc
	s_xor_b64 vcc, exec, s[46:47]
; %bb.107:                              ;   in Loop: Header=BB379_10 Depth=1
	v_bfe_u32 v3, v2, 16, 1
	v_add3_u32 v2, v2, v3, s49
	v_accvgpr_write_b32 a56, v2
                                        ; implicit-def: $vgpr2
; %bb.108:                              ;   in Loop: Header=BB379_10 Depth=1
	s_andn2_saveexec_b64 s[46:47], vcc
; %bb.109:                              ;   in Loop: Header=BB379_10 Depth=1
	v_or_b32_e32 v3, 0x10000, v2
	v_cmp_eq_u32_sdwa vcc, v2, v9 src0_sel:WORD_0 src1_sel:DWORD
	s_nop 1
	v_cndmask_b32_e32 v2, v3, v2, vcc
	v_accvgpr_write_b32 a56, v2
; %bb.110:                              ;   in Loop: Header=BB379_10 Depth=1
	s_or_b64 exec, exec, s[46:47]
	v_bfe_u32 v2, v1, 8, 8
	v_cvt_f32_fp8_sdwa v2, v2 src0_sel:BYTE_0
                                        ; implicit-def: $agpr57
	s_nop 0
	v_mul_f32_e32 v2, v0, v2
	v_and_b32_e32 v3, 0x7f800000, v2
	v_cmp_ne_u32_e32 vcc, s23, v3
	s_and_saveexec_b64 s[46:47], vcc
	s_xor_b64 vcc, exec, s[46:47]
; %bb.111:                              ;   in Loop: Header=BB379_10 Depth=1
	v_bfe_u32 v3, v2, 16, 1
	v_add3_u32 v2, v2, v3, s49
	v_accvgpr_write_b32 a57, v2
                                        ; implicit-def: $vgpr2
; %bb.112:                              ;   in Loop: Header=BB379_10 Depth=1
	s_andn2_saveexec_b64 s[46:47], vcc
; %bb.113:                              ;   in Loop: Header=BB379_10 Depth=1
	v_or_b32_e32 v3, 0x10000, v2
	v_cmp_eq_u32_sdwa vcc, v2, v9 src0_sel:WORD_0 src1_sel:DWORD
	s_nop 1
	v_cndmask_b32_e32 v2, v3, v2, vcc
	v_accvgpr_write_b32 a57, v2
; %bb.114:                              ;   in Loop: Header=BB379_10 Depth=1
	s_or_b64 exec, exec, s[46:47]
	v_bfe_u32 v2, v1, 16, 8
	v_cvt_f32_fp8_sdwa v2, v2 src0_sel:BYTE_0
                                        ; implicit-def: $agpr58
	s_nop 0
	v_mul_f32_e32 v2, v0, v2
	v_and_b32_e32 v3, 0x7f800000, v2
	v_cmp_ne_u32_e32 vcc, s23, v3
	s_and_saveexec_b64 s[46:47], vcc
	s_xor_b64 vcc, exec, s[46:47]
; %bb.115:                              ;   in Loop: Header=BB379_10 Depth=1
	v_bfe_u32 v3, v2, 16, 1
	v_add3_u32 v2, v2, v3, s49
	v_accvgpr_write_b32 a58, v2
                                        ; implicit-def: $vgpr2
; %bb.116:                              ;   in Loop: Header=BB379_10 Depth=1
	s_andn2_saveexec_b64 s[46:47], vcc
; %bb.117:                              ;   in Loop: Header=BB379_10 Depth=1
	v_or_b32_e32 v3, 0x10000, v2
	v_cmp_eq_u32_sdwa vcc, v2, v9 src0_sel:WORD_0 src1_sel:DWORD
	s_nop 1
	v_cndmask_b32_e32 v2, v3, v2, vcc
	v_accvgpr_write_b32 a58, v2
; %bb.118:                              ;   in Loop: Header=BB379_10 Depth=1
	s_or_b64 exec, exec, s[46:47]
	v_lshrrev_b32_e32 v1, 24, v1
	v_cvt_f32_fp8_sdwa v1, v1 src0_sel:BYTE_0
                                        ; implicit-def: $agpr59
	s_nop 0
	v_mul_f32_e32 v1, v0, v1
	v_and_b32_e32 v2, 0x7f800000, v1
	v_cmp_ne_u32_e32 vcc, s23, v2
	s_and_saveexec_b64 s[46:47], vcc
	s_xor_b64 vcc, exec, s[46:47]
; %bb.119:                              ;   in Loop: Header=BB379_10 Depth=1
	v_bfe_u32 v2, v1, 16, 1
	v_add3_u32 v1, v1, v2, s49
	v_accvgpr_write_b32 a59, v1
                                        ; implicit-def: $vgpr1
; %bb.120:                              ;   in Loop: Header=BB379_10 Depth=1
	s_andn2_saveexec_b64 s[46:47], vcc
; %bb.121:                              ;   in Loop: Header=BB379_10 Depth=1
	v_or_b32_e32 v2, 0x10000, v1
	v_cmp_eq_u32_sdwa vcc, v1, v9 src0_sel:WORD_0 src1_sel:DWORD
	s_nop 1
	v_cndmask_b32_e32 v1, v2, v1, vcc
	v_accvgpr_write_b32 a59, v1
; %bb.122:                              ;   in Loop: Header=BB379_10 Depth=1
	s_or_b64 exec, exec, s[46:47]
	flat_load_dword v1, v[28:29] offset:1544
                                        ; implicit-def: $agpr60
	s_waitcnt vmcnt(0) lgkmcnt(0)
	v_and_b32_e32 v2, 0xff, v1
	v_cvt_f32_fp8_sdwa v2, v2 src0_sel:BYTE_0
	s_nop 0
	v_mul_f32_e32 v2, v0, v2
	v_and_b32_e32 v3, 0x7f800000, v2
	v_cmp_ne_u32_e32 vcc, s23, v3
	s_and_saveexec_b64 s[46:47], vcc
	s_xor_b64 vcc, exec, s[46:47]
; %bb.123:                              ;   in Loop: Header=BB379_10 Depth=1
	v_bfe_u32 v3, v2, 16, 1
	v_add3_u32 v2, v2, v3, s49
	v_accvgpr_write_b32 a60, v2
                                        ; implicit-def: $vgpr2
; %bb.124:                              ;   in Loop: Header=BB379_10 Depth=1
	s_andn2_saveexec_b64 s[46:47], vcc
; %bb.125:                              ;   in Loop: Header=BB379_10 Depth=1
	v_or_b32_e32 v3, 0x10000, v2
	v_cmp_eq_u32_sdwa vcc, v2, v9 src0_sel:WORD_0 src1_sel:DWORD
	s_nop 1
	v_cndmask_b32_e32 v2, v3, v2, vcc
	v_accvgpr_write_b32 a60, v2
; %bb.126:                              ;   in Loop: Header=BB379_10 Depth=1
	s_or_b64 exec, exec, s[46:47]
	v_bfe_u32 v2, v1, 8, 8
	v_cvt_f32_fp8_sdwa v2, v2 src0_sel:BYTE_0
                                        ; implicit-def: $agpr61
	s_nop 0
	v_mul_f32_e32 v2, v0, v2
	v_and_b32_e32 v3, 0x7f800000, v2
	v_cmp_ne_u32_e32 vcc, s23, v3
	s_and_saveexec_b64 s[46:47], vcc
	s_xor_b64 vcc, exec, s[46:47]
; %bb.127:                              ;   in Loop: Header=BB379_10 Depth=1
	v_bfe_u32 v3, v2, 16, 1
	v_add3_u32 v2, v2, v3, s49
	v_accvgpr_write_b32 a61, v2
                                        ; implicit-def: $vgpr2
; %bb.128:                              ;   in Loop: Header=BB379_10 Depth=1
	s_andn2_saveexec_b64 s[46:47], vcc
; %bb.129:                              ;   in Loop: Header=BB379_10 Depth=1
	v_or_b32_e32 v3, 0x10000, v2
	v_cmp_eq_u32_sdwa vcc, v2, v9 src0_sel:WORD_0 src1_sel:DWORD
	s_nop 1
	v_cndmask_b32_e32 v2, v3, v2, vcc
	v_accvgpr_write_b32 a61, v2
; %bb.130:                              ;   in Loop: Header=BB379_10 Depth=1
	s_or_b64 exec, exec, s[46:47]
	v_bfe_u32 v2, v1, 16, 8
	v_cvt_f32_fp8_sdwa v2, v2 src0_sel:BYTE_0
                                        ; implicit-def: $agpr62
	s_nop 0
	v_mul_f32_e32 v2, v0, v2
	v_and_b32_e32 v3, 0x7f800000, v2
	v_cmp_ne_u32_e32 vcc, s23, v3
	s_and_saveexec_b64 s[46:47], vcc
	s_xor_b64 vcc, exec, s[46:47]
; %bb.131:                              ;   in Loop: Header=BB379_10 Depth=1
	v_bfe_u32 v3, v2, 16, 1
	v_add3_u32 v2, v2, v3, s49
	v_accvgpr_write_b32 a62, v2
                                        ; implicit-def: $vgpr2
; %bb.132:                              ;   in Loop: Header=BB379_10 Depth=1
	s_andn2_saveexec_b64 s[46:47], vcc
; %bb.133:                              ;   in Loop: Header=BB379_10 Depth=1
	v_or_b32_e32 v3, 0x10000, v2
	v_cmp_eq_u32_sdwa vcc, v2, v9 src0_sel:WORD_0 src1_sel:DWORD
	s_nop 1
	v_cndmask_b32_e32 v2, v3, v2, vcc
	v_accvgpr_write_b32 a62, v2
; %bb.134:                              ;   in Loop: Header=BB379_10 Depth=1
	s_or_b64 exec, exec, s[46:47]
	v_lshrrev_b32_e32 v1, 24, v1
	v_cvt_f32_fp8_sdwa v1, v1 src0_sel:BYTE_0
                                        ; implicit-def: $agpr63
	s_nop 0
	v_mul_f32_e32 v1, v0, v1
	v_and_b32_e32 v2, 0x7f800000, v1
	v_cmp_ne_u32_e32 vcc, s23, v2
	s_and_saveexec_b64 s[46:47], vcc
	s_xor_b64 vcc, exec, s[46:47]
; %bb.135:                              ;   in Loop: Header=BB379_10 Depth=1
	v_bfe_u32 v2, v1, 16, 1
	v_add3_u32 v1, v1, v2, s49
	v_accvgpr_write_b32 a63, v1
                                        ; implicit-def: $vgpr1
; %bb.136:                              ;   in Loop: Header=BB379_10 Depth=1
	s_andn2_saveexec_b64 s[46:47], vcc
; %bb.137:                              ;   in Loop: Header=BB379_10 Depth=1
	v_or_b32_e32 v2, 0x10000, v1
	v_cmp_eq_u32_sdwa vcc, v1, v9 src0_sel:WORD_0 src1_sel:DWORD
	s_nop 1
	v_cndmask_b32_e32 v1, v2, v1, vcc
	v_accvgpr_write_b32 a63, v1
; %bb.138:                              ;   in Loop: Header=BB379_10 Depth=1
	s_or_b64 exec, exec, s[46:47]
	flat_load_dword v1, v[28:29] offset:2048
                                        ; implicit-def: $agpr54
	s_waitcnt vmcnt(0) lgkmcnt(0)
	v_and_b32_e32 v2, 0xff, v1
	v_cvt_f32_fp8_sdwa v2, v2 src0_sel:BYTE_0
	s_nop 0
	v_mul_f32_e32 v2, v0, v2
	v_and_b32_e32 v3, 0x7f800000, v2
	v_cmp_ne_u32_e32 vcc, s23, v3
	s_and_saveexec_b64 s[46:47], vcc
	s_xor_b64 vcc, exec, s[46:47]
; %bb.139:                              ;   in Loop: Header=BB379_10 Depth=1
	v_bfe_u32 v3, v2, 16, 1
	v_add3_u32 v2, v2, v3, s49
	v_accvgpr_write_b32 a54, v2
                                        ; implicit-def: $vgpr2
; %bb.140:                              ;   in Loop: Header=BB379_10 Depth=1
	s_andn2_saveexec_b64 s[46:47], vcc
; %bb.141:                              ;   in Loop: Header=BB379_10 Depth=1
	v_or_b32_e32 v3, 0x10000, v2
	v_cmp_eq_u32_sdwa vcc, v2, v9 src0_sel:WORD_0 src1_sel:DWORD
	s_nop 1
	v_cndmask_b32_e32 v2, v3, v2, vcc
	v_accvgpr_write_b32 a54, v2
; %bb.142:                              ;   in Loop: Header=BB379_10 Depth=1
	s_or_b64 exec, exec, s[46:47]
	v_bfe_u32 v2, v1, 8, 8
	v_cvt_f32_fp8_sdwa v2, v2 src0_sel:BYTE_0
                                        ; implicit-def: $agpr5
	s_nop 0
	v_mul_f32_e32 v2, v0, v2
	v_and_b32_e32 v3, 0x7f800000, v2
	v_cmp_ne_u32_e32 vcc, s23, v3
	s_and_saveexec_b64 s[46:47], vcc
	s_xor_b64 vcc, exec, s[46:47]
; %bb.143:                              ;   in Loop: Header=BB379_10 Depth=1
	v_bfe_u32 v3, v2, 16, 1
	v_add3_u32 v2, v2, v3, s49
	v_accvgpr_write_b32 a5, v2
                                        ; implicit-def: $vgpr2
; %bb.144:                              ;   in Loop: Header=BB379_10 Depth=1
	s_andn2_saveexec_b64 s[46:47], vcc
; %bb.145:                              ;   in Loop: Header=BB379_10 Depth=1
	v_or_b32_e32 v3, 0x10000, v2
	v_cmp_eq_u32_sdwa vcc, v2, v9 src0_sel:WORD_0 src1_sel:DWORD
	s_nop 1
	v_cndmask_b32_e32 v2, v3, v2, vcc
	v_accvgpr_write_b32 a5, v2
; %bb.146:                              ;   in Loop: Header=BB379_10 Depth=1
	s_or_b64 exec, exec, s[46:47]
	v_bfe_u32 v2, v1, 16, 8
	v_cvt_f32_fp8_sdwa v2, v2 src0_sel:BYTE_0
                                        ; implicit-def: $agpr15
	s_nop 0
	v_mul_f32_e32 v2, v0, v2
	v_and_b32_e32 v3, 0x7f800000, v2
	v_cmp_ne_u32_e32 vcc, s23, v3
	s_and_saveexec_b64 s[46:47], vcc
	s_xor_b64 vcc, exec, s[46:47]
; %bb.147:                              ;   in Loop: Header=BB379_10 Depth=1
	v_bfe_u32 v3, v2, 16, 1
	v_add3_u32 v2, v2, v3, s49
	v_accvgpr_write_b32 a15, v2
                                        ; implicit-def: $vgpr2
; %bb.148:                              ;   in Loop: Header=BB379_10 Depth=1
	s_andn2_saveexec_b64 s[46:47], vcc
; %bb.149:                              ;   in Loop: Header=BB379_10 Depth=1
	v_or_b32_e32 v3, 0x10000, v2
	v_cmp_eq_u32_sdwa vcc, v2, v9 src0_sel:WORD_0 src1_sel:DWORD
	s_nop 1
	v_cndmask_b32_e32 v2, v3, v2, vcc
	v_accvgpr_write_b32 a15, v2
; %bb.150:                              ;   in Loop: Header=BB379_10 Depth=1
	s_or_b64 exec, exec, s[46:47]
	v_lshrrev_b32_e32 v1, 24, v1
	v_cvt_f32_fp8_sdwa v1, v1 src0_sel:BYTE_0
                                        ; implicit-def: $agpr16
	s_nop 0
	v_mul_f32_e32 v1, v0, v1
	v_and_b32_e32 v2, 0x7f800000, v1
	v_cmp_ne_u32_e32 vcc, s23, v2
	s_and_saveexec_b64 s[46:47], vcc
	s_xor_b64 vcc, exec, s[46:47]
; %bb.151:                              ;   in Loop: Header=BB379_10 Depth=1
	v_bfe_u32 v2, v1, 16, 1
	v_add3_u32 v1, v1, v2, s49
	v_accvgpr_write_b32 a16, v1
                                        ; implicit-def: $vgpr1
; %bb.152:                              ;   in Loop: Header=BB379_10 Depth=1
	s_andn2_saveexec_b64 s[46:47], vcc
; %bb.153:                              ;   in Loop: Header=BB379_10 Depth=1
	v_or_b32_e32 v2, 0x10000, v1
	v_cmp_eq_u32_sdwa vcc, v1, v9 src0_sel:WORD_0 src1_sel:DWORD
	s_nop 1
	v_cndmask_b32_e32 v1, v2, v1, vcc
	v_accvgpr_write_b32 a16, v1
; %bb.154:                              ;   in Loop: Header=BB379_10 Depth=1
	s_or_b64 exec, exec, s[46:47]
	flat_load_dword v1, v[28:29] offset:2056
                                        ; implicit-def: $agpr17
	s_waitcnt vmcnt(0) lgkmcnt(0)
	v_and_b32_e32 v2, 0xff, v1
	v_cvt_f32_fp8_sdwa v2, v2 src0_sel:BYTE_0
	s_nop 0
	v_mul_f32_e32 v2, v0, v2
	v_and_b32_e32 v3, 0x7f800000, v2
	v_cmp_ne_u32_e32 vcc, s23, v3
	s_and_saveexec_b64 s[46:47], vcc
	s_xor_b64 vcc, exec, s[46:47]
; %bb.155:                              ;   in Loop: Header=BB379_10 Depth=1
	v_bfe_u32 v3, v2, 16, 1
	v_add3_u32 v2, v2, v3, s49
	v_accvgpr_write_b32 a17, v2
                                        ; implicit-def: $vgpr2
; %bb.156:                              ;   in Loop: Header=BB379_10 Depth=1
	s_andn2_saveexec_b64 s[46:47], vcc
; %bb.157:                              ;   in Loop: Header=BB379_10 Depth=1
	v_or_b32_e32 v3, 0x10000, v2
	v_cmp_eq_u32_sdwa vcc, v2, v9 src0_sel:WORD_0 src1_sel:DWORD
	s_nop 1
	v_cndmask_b32_e32 v2, v3, v2, vcc
	v_accvgpr_write_b32 a17, v2
; %bb.158:                              ;   in Loop: Header=BB379_10 Depth=1
	s_or_b64 exec, exec, s[46:47]
	v_bfe_u32 v2, v1, 8, 8
	v_cvt_f32_fp8_sdwa v2, v2 src0_sel:BYTE_0
                                        ; implicit-def: $agpr18
	s_nop 0
	v_mul_f32_e32 v2, v0, v2
	v_and_b32_e32 v3, 0x7f800000, v2
	v_cmp_ne_u32_e32 vcc, s23, v3
	s_and_saveexec_b64 s[46:47], vcc
	s_xor_b64 vcc, exec, s[46:47]
; %bb.159:                              ;   in Loop: Header=BB379_10 Depth=1
	v_bfe_u32 v3, v2, 16, 1
	v_add3_u32 v2, v2, v3, s49
	v_accvgpr_write_b32 a18, v2
                                        ; implicit-def: $vgpr2
; %bb.160:                              ;   in Loop: Header=BB379_10 Depth=1
	s_andn2_saveexec_b64 s[46:47], vcc
; %bb.161:                              ;   in Loop: Header=BB379_10 Depth=1
	v_or_b32_e32 v3, 0x10000, v2
	v_cmp_eq_u32_sdwa vcc, v2, v9 src0_sel:WORD_0 src1_sel:DWORD
	s_nop 1
	v_cndmask_b32_e32 v2, v3, v2, vcc
	v_accvgpr_write_b32 a18, v2
; %bb.162:                              ;   in Loop: Header=BB379_10 Depth=1
	s_or_b64 exec, exec, s[46:47]
	v_bfe_u32 v2, v1, 16, 8
	v_cvt_f32_fp8_sdwa v2, v2 src0_sel:BYTE_0
                                        ; implicit-def: $agpr19
	s_nop 0
	v_mul_f32_e32 v2, v0, v2
	v_and_b32_e32 v3, 0x7f800000, v2
	v_cmp_ne_u32_e32 vcc, s23, v3
	s_and_saveexec_b64 s[46:47], vcc
	s_xor_b64 vcc, exec, s[46:47]
; %bb.163:                              ;   in Loop: Header=BB379_10 Depth=1
	v_bfe_u32 v3, v2, 16, 1
	v_add3_u32 v2, v2, v3, s49
	v_accvgpr_write_b32 a19, v2
                                        ; implicit-def: $vgpr2
; %bb.164:                              ;   in Loop: Header=BB379_10 Depth=1
	s_andn2_saveexec_b64 s[46:47], vcc
; %bb.165:                              ;   in Loop: Header=BB379_10 Depth=1
	v_or_b32_e32 v3, 0x10000, v2
	v_cmp_eq_u32_sdwa vcc, v2, v9 src0_sel:WORD_0 src1_sel:DWORD
	s_nop 1
	v_cndmask_b32_e32 v2, v3, v2, vcc
	v_accvgpr_write_b32 a19, v2
; %bb.166:                              ;   in Loop: Header=BB379_10 Depth=1
	s_or_b64 exec, exec, s[46:47]
	v_lshrrev_b32_e32 v1, 24, v1
	v_cvt_f32_fp8_sdwa v1, v1 src0_sel:BYTE_0
                                        ; implicit-def: $agpr10
	s_nop 0
	v_mul_f32_e32 v1, v0, v1
	v_and_b32_e32 v2, 0x7f800000, v1
	v_cmp_ne_u32_e32 vcc, s23, v2
	s_and_saveexec_b64 s[46:47], vcc
	s_xor_b64 vcc, exec, s[46:47]
; %bb.167:                              ;   in Loop: Header=BB379_10 Depth=1
	v_bfe_u32 v2, v1, 16, 1
	v_add3_u32 v1, v1, v2, s49
	v_accvgpr_write_b32 a10, v1
                                        ; implicit-def: $vgpr1
; %bb.168:                              ;   in Loop: Header=BB379_10 Depth=1
	s_andn2_saveexec_b64 s[46:47], vcc
; %bb.169:                              ;   in Loop: Header=BB379_10 Depth=1
	v_or_b32_e32 v2, 0x10000, v1
	v_cmp_eq_u32_sdwa vcc, v1, v9 src0_sel:WORD_0 src1_sel:DWORD
	s_nop 1
	v_cndmask_b32_e32 v1, v2, v1, vcc
	v_accvgpr_write_b32 a10, v1
; %bb.170:                              ;   in Loop: Header=BB379_10 Depth=1
	s_or_b64 exec, exec, s[46:47]
	flat_load_dword v1, v[28:29] offset:2560
                                        ; implicit-def: $agpr11
	s_waitcnt vmcnt(0) lgkmcnt(0)
	v_and_b32_e32 v2, 0xff, v1
	v_cvt_f32_fp8_sdwa v2, v2 src0_sel:BYTE_0
	s_nop 0
	v_mul_f32_e32 v2, v0, v2
	v_and_b32_e32 v3, 0x7f800000, v2
	v_cmp_ne_u32_e32 vcc, s23, v3
	s_and_saveexec_b64 s[46:47], vcc
	s_xor_b64 vcc, exec, s[46:47]
; %bb.171:                              ;   in Loop: Header=BB379_10 Depth=1
	v_bfe_u32 v3, v2, 16, 1
	v_add3_u32 v2, v2, v3, s49
	v_accvgpr_write_b32 a11, v2
                                        ; implicit-def: $vgpr2
; %bb.172:                              ;   in Loop: Header=BB379_10 Depth=1
	s_andn2_saveexec_b64 s[46:47], vcc
; %bb.173:                              ;   in Loop: Header=BB379_10 Depth=1
	v_or_b32_e32 v3, 0x10000, v2
	v_cmp_eq_u32_sdwa vcc, v2, v9 src0_sel:WORD_0 src1_sel:DWORD
	s_nop 1
	v_cndmask_b32_e32 v2, v3, v2, vcc
	v_accvgpr_write_b32 a11, v2
; %bb.174:                              ;   in Loop: Header=BB379_10 Depth=1
	s_or_b64 exec, exec, s[46:47]
	v_bfe_u32 v2, v1, 8, 8
	v_cvt_f32_fp8_sdwa v2, v2 src0_sel:BYTE_0
                                        ; implicit-def: $agpr2
	s_nop 0
	v_mul_f32_e32 v2, v0, v2
	v_and_b32_e32 v3, 0x7f800000, v2
	v_cmp_ne_u32_e32 vcc, s23, v3
	s_and_saveexec_b64 s[46:47], vcc
	s_xor_b64 vcc, exec, s[46:47]
; %bb.175:                              ;   in Loop: Header=BB379_10 Depth=1
	v_bfe_u32 v3, v2, 16, 1
	v_add3_u32 v2, v2, v3, s49
	v_accvgpr_write_b32 a2, v2
                                        ; implicit-def: $vgpr2
; %bb.176:                              ;   in Loop: Header=BB379_10 Depth=1
	s_andn2_saveexec_b64 s[46:47], vcc
; %bb.177:                              ;   in Loop: Header=BB379_10 Depth=1
	v_or_b32_e32 v3, 0x10000, v2
	v_cmp_eq_u32_sdwa vcc, v2, v9 src0_sel:WORD_0 src1_sel:DWORD
	s_nop 1
	v_cndmask_b32_e32 v2, v3, v2, vcc
	v_accvgpr_write_b32 a2, v2
; %bb.178:                              ;   in Loop: Header=BB379_10 Depth=1
	s_or_b64 exec, exec, s[46:47]
	v_bfe_u32 v2, v1, 16, 8
	v_cvt_f32_fp8_sdwa v2, v2 src0_sel:BYTE_0
                                        ; implicit-def: $agpr3
	s_nop 0
	v_mul_f32_e32 v2, v0, v2
	v_and_b32_e32 v3, 0x7f800000, v2
	v_cmp_ne_u32_e32 vcc, s23, v3
	s_and_saveexec_b64 s[46:47], vcc
	s_xor_b64 vcc, exec, s[46:47]
; %bb.179:                              ;   in Loop: Header=BB379_10 Depth=1
	v_bfe_u32 v3, v2, 16, 1
	v_add3_u32 v2, v2, v3, s49
	v_accvgpr_write_b32 a3, v2
                                        ; implicit-def: $vgpr2
; %bb.180:                              ;   in Loop: Header=BB379_10 Depth=1
	s_andn2_saveexec_b64 s[46:47], vcc
; %bb.181:                              ;   in Loop: Header=BB379_10 Depth=1
	v_or_b32_e32 v3, 0x10000, v2
	v_cmp_eq_u32_sdwa vcc, v2, v9 src0_sel:WORD_0 src1_sel:DWORD
	s_nop 1
	v_cndmask_b32_e32 v2, v3, v2, vcc
	v_accvgpr_write_b32 a3, v2
; %bb.182:                              ;   in Loop: Header=BB379_10 Depth=1
	s_or_b64 exec, exec, s[46:47]
	v_lshrrev_b32_e32 v1, 24, v1
	v_cvt_f32_fp8_sdwa v1, v1 src0_sel:BYTE_0
                                        ; implicit-def: $agpr0
	s_nop 0
	v_mul_f32_e32 v1, v0, v1
	v_and_b32_e32 v2, 0x7f800000, v1
	v_cmp_ne_u32_e32 vcc, s23, v2
	s_and_saveexec_b64 s[46:47], vcc
	s_xor_b64 vcc, exec, s[46:47]
; %bb.183:                              ;   in Loop: Header=BB379_10 Depth=1
	v_bfe_u32 v2, v1, 16, 1
	v_add3_u32 v1, v1, v2, s49
	v_accvgpr_write_b32 a0, v1
                                        ; implicit-def: $vgpr1
; %bb.184:                              ;   in Loop: Header=BB379_10 Depth=1
	s_andn2_saveexec_b64 s[46:47], vcc
; %bb.185:                              ;   in Loop: Header=BB379_10 Depth=1
	v_or_b32_e32 v2, 0x10000, v1
	v_cmp_eq_u32_sdwa vcc, v1, v9 src0_sel:WORD_0 src1_sel:DWORD
	s_nop 1
	v_cndmask_b32_e32 v1, v2, v1, vcc
	v_accvgpr_write_b32 a0, v1
; %bb.186:                              ;   in Loop: Header=BB379_10 Depth=1
	s_or_b64 exec, exec, s[46:47]
	flat_load_dword v1, v[28:29] offset:2568
                                        ; implicit-def: $agpr1
	s_waitcnt vmcnt(0) lgkmcnt(0)
	v_and_b32_e32 v2, 0xff, v1
	v_cvt_f32_fp8_sdwa v2, v2 src0_sel:BYTE_0
	s_nop 0
	v_mul_f32_e32 v2, v0, v2
	v_and_b32_e32 v3, 0x7f800000, v2
	v_cmp_ne_u32_e32 vcc, s23, v3
	s_and_saveexec_b64 s[46:47], vcc
	s_xor_b64 vcc, exec, s[46:47]
; %bb.187:                              ;   in Loop: Header=BB379_10 Depth=1
	v_bfe_u32 v3, v2, 16, 1
	v_add3_u32 v2, v2, v3, s49
	v_accvgpr_write_b32 a1, v2
                                        ; implicit-def: $vgpr2
; %bb.188:                              ;   in Loop: Header=BB379_10 Depth=1
	s_andn2_saveexec_b64 s[46:47], vcc
; %bb.189:                              ;   in Loop: Header=BB379_10 Depth=1
	v_or_b32_e32 v3, 0x10000, v2
	v_cmp_eq_u32_sdwa vcc, v2, v9 src0_sel:WORD_0 src1_sel:DWORD
	s_nop 1
	v_cndmask_b32_e32 v2, v3, v2, vcc
	v_accvgpr_write_b32 a1, v2
; %bb.190:                              ;   in Loop: Header=BB379_10 Depth=1
	s_or_b64 exec, exec, s[46:47]
	v_bfe_u32 v2, v1, 8, 8
	v_cvt_f32_fp8_sdwa v2, v2 src0_sel:BYTE_0
                                        ; implicit-def: $agpr12
	s_nop 0
	v_mul_f32_e32 v2, v0, v2
	v_and_b32_e32 v3, 0x7f800000, v2
	v_cmp_ne_u32_e32 vcc, s23, v3
	s_and_saveexec_b64 s[46:47], vcc
	s_xor_b64 vcc, exec, s[46:47]
; %bb.191:                              ;   in Loop: Header=BB379_10 Depth=1
	v_bfe_u32 v3, v2, 16, 1
	v_add3_u32 v2, v2, v3, s49
	v_accvgpr_write_b32 a12, v2
                                        ; implicit-def: $vgpr2
; %bb.192:                              ;   in Loop: Header=BB379_10 Depth=1
	s_andn2_saveexec_b64 s[46:47], vcc
; %bb.193:                              ;   in Loop: Header=BB379_10 Depth=1
	v_or_b32_e32 v3, 0x10000, v2
	v_cmp_eq_u32_sdwa vcc, v2, v9 src0_sel:WORD_0 src1_sel:DWORD
	s_nop 1
	v_cndmask_b32_e32 v2, v3, v2, vcc
	v_accvgpr_write_b32 a12, v2
; %bb.194:                              ;   in Loop: Header=BB379_10 Depth=1
	s_or_b64 exec, exec, s[46:47]
	v_bfe_u32 v2, v1, 16, 8
	v_cvt_f32_fp8_sdwa v2, v2 src0_sel:BYTE_0
                                        ; implicit-def: $agpr13
	s_nop 0
	v_mul_f32_e32 v2, v0, v2
	v_and_b32_e32 v3, 0x7f800000, v2
	v_cmp_ne_u32_e32 vcc, s23, v3
	s_and_saveexec_b64 s[46:47], vcc
	s_xor_b64 vcc, exec, s[46:47]
; %bb.195:                              ;   in Loop: Header=BB379_10 Depth=1
	v_bfe_u32 v3, v2, 16, 1
	v_add3_u32 v2, v2, v3, s49
	v_accvgpr_write_b32 a13, v2
                                        ; implicit-def: $vgpr2
; %bb.196:                              ;   in Loop: Header=BB379_10 Depth=1
	s_andn2_saveexec_b64 s[46:47], vcc
; %bb.197:                              ;   in Loop: Header=BB379_10 Depth=1
	v_or_b32_e32 v3, 0x10000, v2
	v_cmp_eq_u32_sdwa vcc, v2, v9 src0_sel:WORD_0 src1_sel:DWORD
	s_nop 1
	v_cndmask_b32_e32 v2, v3, v2, vcc
	v_accvgpr_write_b32 a13, v2
; %bb.198:                              ;   in Loop: Header=BB379_10 Depth=1
	s_or_b64 exec, exec, s[46:47]
	v_lshrrev_b32_e32 v1, 24, v1
	v_cvt_f32_fp8_sdwa v1, v1 src0_sel:BYTE_0
                                        ; implicit-def: $agpr8
	s_nop 0
	v_mul_f32_e32 v1, v0, v1
	v_and_b32_e32 v2, 0x7f800000, v1
	v_cmp_ne_u32_e32 vcc, s23, v2
	s_and_saveexec_b64 s[46:47], vcc
	s_xor_b64 vcc, exec, s[46:47]
; %bb.199:                              ;   in Loop: Header=BB379_10 Depth=1
	v_bfe_u32 v2, v1, 16, 1
	v_add3_u32 v1, v1, v2, s49
	v_accvgpr_write_b32 a8, v1
                                        ; implicit-def: $vgpr1
; %bb.200:                              ;   in Loop: Header=BB379_10 Depth=1
	s_andn2_saveexec_b64 s[46:47], vcc
; %bb.201:                              ;   in Loop: Header=BB379_10 Depth=1
	v_or_b32_e32 v2, 0x10000, v1
	v_cmp_eq_u32_sdwa vcc, v1, v9 src0_sel:WORD_0 src1_sel:DWORD
	s_nop 1
	v_cndmask_b32_e32 v1, v2, v1, vcc
	v_accvgpr_write_b32 a8, v1
; %bb.202:                              ;   in Loop: Header=BB379_10 Depth=1
	s_or_b64 exec, exec, s[46:47]
	flat_load_dword v1, v[28:29] offset:3072
                                        ; implicit-def: $agpr9
	s_waitcnt vmcnt(0) lgkmcnt(0)
	v_and_b32_e32 v2, 0xff, v1
	v_cvt_f32_fp8_sdwa v2, v2 src0_sel:BYTE_0
	s_nop 0
	v_mul_f32_e32 v2, v0, v2
	v_and_b32_e32 v3, 0x7f800000, v2
	v_cmp_ne_u32_e32 vcc, s23, v3
	s_and_saveexec_b64 s[46:47], vcc
	s_xor_b64 vcc, exec, s[46:47]
; %bb.203:                              ;   in Loop: Header=BB379_10 Depth=1
	v_bfe_u32 v3, v2, 16, 1
	v_add3_u32 v2, v2, v3, s49
	v_accvgpr_write_b32 a9, v2
                                        ; implicit-def: $vgpr2
; %bb.204:                              ;   in Loop: Header=BB379_10 Depth=1
	s_andn2_saveexec_b64 s[46:47], vcc
; %bb.205:                              ;   in Loop: Header=BB379_10 Depth=1
	v_or_b32_e32 v3, 0x10000, v2
	v_cmp_eq_u32_sdwa vcc, v2, v9 src0_sel:WORD_0 src1_sel:DWORD
	s_nop 1
	v_cndmask_b32_e32 v2, v3, v2, vcc
	v_accvgpr_write_b32 a9, v2
; %bb.206:                              ;   in Loop: Header=BB379_10 Depth=1
	s_or_b64 exec, exec, s[46:47]
	v_bfe_u32 v2, v1, 8, 8
	v_cvt_f32_fp8_sdwa v2, v2 src0_sel:BYTE_0
                                        ; implicit-def: $agpr14
	s_nop 0
	v_mul_f32_e32 v2, v0, v2
	v_and_b32_e32 v3, 0x7f800000, v2
	v_cmp_ne_u32_e32 vcc, s23, v3
	s_and_saveexec_b64 s[46:47], vcc
	s_xor_b64 vcc, exec, s[46:47]
; %bb.207:                              ;   in Loop: Header=BB379_10 Depth=1
	v_bfe_u32 v3, v2, 16, 1
	v_add3_u32 v2, v2, v3, s49
	v_accvgpr_write_b32 a14, v2
                                        ; implicit-def: $vgpr2
; %bb.208:                              ;   in Loop: Header=BB379_10 Depth=1
	s_andn2_saveexec_b64 s[46:47], vcc
; %bb.209:                              ;   in Loop: Header=BB379_10 Depth=1
	v_or_b32_e32 v3, 0x10000, v2
	v_cmp_eq_u32_sdwa vcc, v2, v9 src0_sel:WORD_0 src1_sel:DWORD
	s_nop 1
	v_cndmask_b32_e32 v2, v3, v2, vcc
	v_accvgpr_write_b32 a14, v2
; %bb.210:                              ;   in Loop: Header=BB379_10 Depth=1
	s_or_b64 exec, exec, s[46:47]
	v_bfe_u32 v2, v1, 16, 8
	v_cvt_f32_fp8_sdwa v2, v2 src0_sel:BYTE_0
                                        ; implicit-def: $agpr22
	s_nop 0
	v_mul_f32_e32 v2, v0, v2
	v_and_b32_e32 v3, 0x7f800000, v2
	v_cmp_ne_u32_e32 vcc, s23, v3
	s_and_saveexec_b64 s[46:47], vcc
	s_xor_b64 vcc, exec, s[46:47]
; %bb.211:                              ;   in Loop: Header=BB379_10 Depth=1
	v_bfe_u32 v3, v2, 16, 1
	v_add3_u32 v2, v2, v3, s49
	v_accvgpr_write_b32 a22, v2
                                        ; implicit-def: $vgpr2
; %bb.212:                              ;   in Loop: Header=BB379_10 Depth=1
	s_andn2_saveexec_b64 s[46:47], vcc
; %bb.213:                              ;   in Loop: Header=BB379_10 Depth=1
	v_or_b32_e32 v3, 0x10000, v2
	v_cmp_eq_u32_sdwa vcc, v2, v9 src0_sel:WORD_0 src1_sel:DWORD
	s_nop 1
	v_cndmask_b32_e32 v2, v3, v2, vcc
	v_accvgpr_write_b32 a22, v2
; %bb.214:                              ;   in Loop: Header=BB379_10 Depth=1
	s_or_b64 exec, exec, s[46:47]
	v_lshrrev_b32_e32 v1, 24, v1
	v_cvt_f32_fp8_sdwa v1, v1 src0_sel:BYTE_0
                                        ; implicit-def: $agpr23
	s_nop 0
	v_mul_f32_e32 v1, v0, v1
	v_and_b32_e32 v2, 0x7f800000, v1
	v_cmp_ne_u32_e32 vcc, s23, v2
	s_and_saveexec_b64 s[46:47], vcc
	s_xor_b64 vcc, exec, s[46:47]
; %bb.215:                              ;   in Loop: Header=BB379_10 Depth=1
	v_bfe_u32 v2, v1, 16, 1
	v_add3_u32 v1, v1, v2, s49
	v_accvgpr_write_b32 a23, v1
                                        ; implicit-def: $vgpr1
; %bb.216:                              ;   in Loop: Header=BB379_10 Depth=1
	s_andn2_saveexec_b64 s[46:47], vcc
; %bb.217:                              ;   in Loop: Header=BB379_10 Depth=1
	v_or_b32_e32 v2, 0x10000, v1
	v_cmp_eq_u32_sdwa vcc, v1, v9 src0_sel:WORD_0 src1_sel:DWORD
	s_nop 1
	v_cndmask_b32_e32 v1, v2, v1, vcc
	v_accvgpr_write_b32 a23, v1
; %bb.218:                              ;   in Loop: Header=BB379_10 Depth=1
	s_or_b64 exec, exec, s[46:47]
	flat_load_dword v1, v[28:29] offset:3080
                                        ; implicit-def: $agpr24
	s_waitcnt vmcnt(0) lgkmcnt(0)
	v_and_b32_e32 v2, 0xff, v1
	v_cvt_f32_fp8_sdwa v2, v2 src0_sel:BYTE_0
	s_nop 0
	v_mul_f32_e32 v2, v0, v2
	v_and_b32_e32 v3, 0x7f800000, v2
	v_cmp_ne_u32_e32 vcc, s23, v3
	s_and_saveexec_b64 s[46:47], vcc
	s_xor_b64 vcc, exec, s[46:47]
; %bb.219:                              ;   in Loop: Header=BB379_10 Depth=1
	v_bfe_u32 v3, v2, 16, 1
	v_add3_u32 v2, v2, v3, s49
	v_accvgpr_write_b32 a24, v2
                                        ; implicit-def: $vgpr2
; %bb.220:                              ;   in Loop: Header=BB379_10 Depth=1
	s_andn2_saveexec_b64 s[46:47], vcc
; %bb.221:                              ;   in Loop: Header=BB379_10 Depth=1
	v_or_b32_e32 v3, 0x10000, v2
	v_cmp_eq_u32_sdwa vcc, v2, v9 src0_sel:WORD_0 src1_sel:DWORD
	s_nop 1
	v_cndmask_b32_e32 v2, v3, v2, vcc
	v_accvgpr_write_b32 a24, v2
; %bb.222:                              ;   in Loop: Header=BB379_10 Depth=1
	s_or_b64 exec, exec, s[46:47]
	v_bfe_u32 v2, v1, 8, 8
	v_cvt_f32_fp8_sdwa v2, v2 src0_sel:BYTE_0
                                        ; implicit-def: $agpr25
	s_nop 0
	v_mul_f32_e32 v2, v0, v2
	v_and_b32_e32 v3, 0x7f800000, v2
	v_cmp_ne_u32_e32 vcc, s23, v3
	s_and_saveexec_b64 s[46:47], vcc
	s_xor_b64 vcc, exec, s[46:47]
; %bb.223:                              ;   in Loop: Header=BB379_10 Depth=1
	v_bfe_u32 v3, v2, 16, 1
	v_add3_u32 v2, v2, v3, s49
	v_accvgpr_write_b32 a25, v2
                                        ; implicit-def: $vgpr2
; %bb.224:                              ;   in Loop: Header=BB379_10 Depth=1
	s_andn2_saveexec_b64 s[46:47], vcc
; %bb.225:                              ;   in Loop: Header=BB379_10 Depth=1
	v_or_b32_e32 v3, 0x10000, v2
	v_cmp_eq_u32_sdwa vcc, v2, v9 src0_sel:WORD_0 src1_sel:DWORD
	s_nop 1
	v_cndmask_b32_e32 v2, v3, v2, vcc
	v_accvgpr_write_b32 a25, v2
; %bb.226:                              ;   in Loop: Header=BB379_10 Depth=1
	s_or_b64 exec, exec, s[46:47]
	v_bfe_u32 v2, v1, 16, 8
	v_cvt_f32_fp8_sdwa v2, v2 src0_sel:BYTE_0
                                        ; implicit-def: $agpr26
	s_nop 0
	v_mul_f32_e32 v2, v0, v2
	v_and_b32_e32 v3, 0x7f800000, v2
	v_cmp_ne_u32_e32 vcc, s23, v3
	s_and_saveexec_b64 s[46:47], vcc
	s_xor_b64 vcc, exec, s[46:47]
; %bb.227:                              ;   in Loop: Header=BB379_10 Depth=1
	v_bfe_u32 v3, v2, 16, 1
	v_add3_u32 v2, v2, v3, s49
	v_accvgpr_write_b32 a26, v2
                                        ; implicit-def: $vgpr2
; %bb.228:                              ;   in Loop: Header=BB379_10 Depth=1
	s_andn2_saveexec_b64 s[46:47], vcc
; %bb.229:                              ;   in Loop: Header=BB379_10 Depth=1
	v_or_b32_e32 v3, 0x10000, v2
	v_cmp_eq_u32_sdwa vcc, v2, v9 src0_sel:WORD_0 src1_sel:DWORD
	s_nop 1
	v_cndmask_b32_e32 v2, v3, v2, vcc
	v_accvgpr_write_b32 a26, v2
; %bb.230:                              ;   in Loop: Header=BB379_10 Depth=1
	s_or_b64 exec, exec, s[46:47]
	v_lshrrev_b32_e32 v1, 24, v1
	v_cvt_f32_fp8_sdwa v1, v1 src0_sel:BYTE_0
                                        ; implicit-def: $agpr27
	s_nop 0
	v_mul_f32_e32 v1, v0, v1
	v_and_b32_e32 v2, 0x7f800000, v1
	v_cmp_ne_u32_e32 vcc, s23, v2
	s_and_saveexec_b64 s[46:47], vcc
	s_xor_b64 vcc, exec, s[46:47]
; %bb.231:                              ;   in Loop: Header=BB379_10 Depth=1
	v_bfe_u32 v2, v1, 16, 1
	v_add3_u32 v1, v1, v2, s49
	v_accvgpr_write_b32 a27, v1
                                        ; implicit-def: $vgpr1
; %bb.232:                              ;   in Loop: Header=BB379_10 Depth=1
	s_andn2_saveexec_b64 s[46:47], vcc
; %bb.233:                              ;   in Loop: Header=BB379_10 Depth=1
	v_or_b32_e32 v2, 0x10000, v1
	v_cmp_eq_u32_sdwa vcc, v1, v9 src0_sel:WORD_0 src1_sel:DWORD
	s_nop 1
	v_cndmask_b32_e32 v1, v2, v1, vcc
	v_accvgpr_write_b32 a27, v1
; %bb.234:                              ;   in Loop: Header=BB379_10 Depth=1
	s_or_b64 exec, exec, s[46:47]
	flat_load_dword v1, v[28:29] offset:3584
                                        ; implicit-def: $agpr28
	s_waitcnt vmcnt(0) lgkmcnt(0)
	v_and_b32_e32 v2, 0xff, v1
	v_cvt_f32_fp8_sdwa v2, v2 src0_sel:BYTE_0
	s_nop 0
	v_mul_f32_e32 v2, v0, v2
	v_and_b32_e32 v3, 0x7f800000, v2
	v_cmp_ne_u32_e32 vcc, s23, v3
	s_and_saveexec_b64 s[46:47], vcc
	s_xor_b64 vcc, exec, s[46:47]
; %bb.235:                              ;   in Loop: Header=BB379_10 Depth=1
	v_bfe_u32 v3, v2, 16, 1
	v_add3_u32 v2, v2, v3, s49
	v_accvgpr_write_b32 a28, v2
                                        ; implicit-def: $vgpr2
; %bb.236:                              ;   in Loop: Header=BB379_10 Depth=1
	s_andn2_saveexec_b64 s[46:47], vcc
; %bb.237:                              ;   in Loop: Header=BB379_10 Depth=1
	v_or_b32_e32 v3, 0x10000, v2
	v_cmp_eq_u32_sdwa vcc, v2, v9 src0_sel:WORD_0 src1_sel:DWORD
	s_nop 1
	v_cndmask_b32_e32 v2, v3, v2, vcc
	v_accvgpr_write_b32 a28, v2
; %bb.238:                              ;   in Loop: Header=BB379_10 Depth=1
	s_or_b64 exec, exec, s[46:47]
	v_bfe_u32 v2, v1, 8, 8
	v_cvt_f32_fp8_sdwa v2, v2 src0_sel:BYTE_0
                                        ; implicit-def: $agpr29
	s_nop 0
	v_mul_f32_e32 v2, v0, v2
	v_and_b32_e32 v3, 0x7f800000, v2
	v_cmp_ne_u32_e32 vcc, s23, v3
	s_and_saveexec_b64 s[46:47], vcc
	s_xor_b64 vcc, exec, s[46:47]
; %bb.239:                              ;   in Loop: Header=BB379_10 Depth=1
	v_bfe_u32 v3, v2, 16, 1
	v_add3_u32 v2, v2, v3, s49
	v_accvgpr_write_b32 a29, v2
                                        ; implicit-def: $vgpr2
; %bb.240:                              ;   in Loop: Header=BB379_10 Depth=1
	s_andn2_saveexec_b64 s[46:47], vcc
; %bb.241:                              ;   in Loop: Header=BB379_10 Depth=1
	v_or_b32_e32 v3, 0x10000, v2
	v_cmp_eq_u32_sdwa vcc, v2, v9 src0_sel:WORD_0 src1_sel:DWORD
	s_nop 1
	v_cndmask_b32_e32 v2, v3, v2, vcc
	v_accvgpr_write_b32 a29, v2
; %bb.242:                              ;   in Loop: Header=BB379_10 Depth=1
	s_or_b64 exec, exec, s[46:47]
	v_bfe_u32 v2, v1, 16, 8
	v_cvt_f32_fp8_sdwa v2, v2 src0_sel:BYTE_0
                                        ; implicit-def: $agpr30
	s_nop 0
	v_mul_f32_e32 v2, v0, v2
	v_and_b32_e32 v3, 0x7f800000, v2
	v_cmp_ne_u32_e32 vcc, s23, v3
	s_and_saveexec_b64 s[46:47], vcc
	s_xor_b64 vcc, exec, s[46:47]
; %bb.243:                              ;   in Loop: Header=BB379_10 Depth=1
	v_bfe_u32 v3, v2, 16, 1
	v_add3_u32 v2, v2, v3, s49
	v_accvgpr_write_b32 a30, v2
                                        ; implicit-def: $vgpr2
; %bb.244:                              ;   in Loop: Header=BB379_10 Depth=1
	s_andn2_saveexec_b64 s[46:47], vcc
; %bb.245:                              ;   in Loop: Header=BB379_10 Depth=1
	v_or_b32_e32 v3, 0x10000, v2
	v_cmp_eq_u32_sdwa vcc, v2, v9 src0_sel:WORD_0 src1_sel:DWORD
	s_nop 1
	v_cndmask_b32_e32 v2, v3, v2, vcc
	v_accvgpr_write_b32 a30, v2
; %bb.246:                              ;   in Loop: Header=BB379_10 Depth=1
	s_or_b64 exec, exec, s[46:47]
	v_lshrrev_b32_e32 v1, 24, v1
	v_cvt_f32_fp8_sdwa v1, v1 src0_sel:BYTE_0
                                        ; implicit-def: $agpr31
	s_nop 0
	v_mul_f32_e32 v1, v0, v1
	v_and_b32_e32 v2, 0x7f800000, v1
	v_cmp_ne_u32_e32 vcc, s23, v2
	s_and_saveexec_b64 s[46:47], vcc
	s_xor_b64 vcc, exec, s[46:47]
; %bb.247:                              ;   in Loop: Header=BB379_10 Depth=1
	v_bfe_u32 v2, v1, 16, 1
	v_add3_u32 v1, v1, v2, s49
	v_accvgpr_write_b32 a31, v1
                                        ; implicit-def: $vgpr1
; %bb.248:                              ;   in Loop: Header=BB379_10 Depth=1
	s_andn2_saveexec_b64 s[46:47], vcc
; %bb.249:                              ;   in Loop: Header=BB379_10 Depth=1
	v_or_b32_e32 v2, 0x10000, v1
	v_cmp_eq_u32_sdwa vcc, v1, v9 src0_sel:WORD_0 src1_sel:DWORD
	s_nop 1
	v_cndmask_b32_e32 v1, v2, v1, vcc
	v_accvgpr_write_b32 a31, v1
; %bb.250:                              ;   in Loop: Header=BB379_10 Depth=1
	s_or_b64 exec, exec, s[46:47]
	flat_load_dword v1, v[28:29] offset:3592
                                        ; implicit-def: $agpr34
	s_waitcnt vmcnt(0) lgkmcnt(0)
	v_and_b32_e32 v2, 0xff, v1
	v_cvt_f32_fp8_sdwa v2, v2 src0_sel:BYTE_0
	s_nop 0
	v_mul_f32_e32 v2, v0, v2
	v_and_b32_e32 v3, 0x7f800000, v2
	v_cmp_ne_u32_e32 vcc, s23, v3
	s_and_saveexec_b64 s[46:47], vcc
	s_xor_b64 vcc, exec, s[46:47]
; %bb.251:                              ;   in Loop: Header=BB379_10 Depth=1
	v_bfe_u32 v3, v2, 16, 1
	v_add3_u32 v2, v2, v3, s49
	v_accvgpr_write_b32 a34, v2
                                        ; implicit-def: $vgpr2
; %bb.252:                              ;   in Loop: Header=BB379_10 Depth=1
	s_andn2_saveexec_b64 s[46:47], vcc
; %bb.253:                              ;   in Loop: Header=BB379_10 Depth=1
	v_or_b32_e32 v3, 0x10000, v2
	v_cmp_eq_u32_sdwa vcc, v2, v9 src0_sel:WORD_0 src1_sel:DWORD
	s_nop 1
	v_cndmask_b32_e32 v2, v3, v2, vcc
	v_accvgpr_write_b32 a34, v2
; %bb.254:                              ;   in Loop: Header=BB379_10 Depth=1
	s_or_b64 exec, exec, s[46:47]
	v_bfe_u32 v2, v1, 8, 8
	v_cvt_f32_fp8_sdwa v2, v2 src0_sel:BYTE_0
                                        ; implicit-def: $agpr4
	s_nop 0
	v_mul_f32_e32 v2, v0, v2
	v_and_b32_e32 v3, 0x7f800000, v2
	v_cmp_ne_u32_e32 vcc, s23, v3
	s_and_saveexec_b64 s[46:47], vcc
	s_xor_b64 vcc, exec, s[46:47]
; %bb.255:                              ;   in Loop: Header=BB379_10 Depth=1
	v_bfe_u32 v3, v2, 16, 1
	v_add3_u32 v2, v2, v3, s49
	v_accvgpr_write_b32 a4, v2
                                        ; implicit-def: $vgpr2
; %bb.256:                              ;   in Loop: Header=BB379_10 Depth=1
	s_andn2_saveexec_b64 s[46:47], vcc
; %bb.257:                              ;   in Loop: Header=BB379_10 Depth=1
	v_or_b32_e32 v3, 0x10000, v2
	v_cmp_eq_u32_sdwa vcc, v2, v9 src0_sel:WORD_0 src1_sel:DWORD
	s_nop 1
	v_cndmask_b32_e32 v2, v3, v2, vcc
	v_accvgpr_write_b32 a4, v2
; %bb.258:                              ;   in Loop: Header=BB379_10 Depth=1
	s_or_b64 exec, exec, s[46:47]
	v_bfe_u32 v2, v1, 16, 8
	v_cvt_f32_fp8_sdwa v2, v2 src0_sel:BYTE_0
                                        ; implicit-def: $agpr20
	s_nop 0
	v_mul_f32_e32 v2, v0, v2
	v_and_b32_e32 v3, 0x7f800000, v2
	v_cmp_ne_u32_e32 vcc, s23, v3
	s_and_saveexec_b64 s[46:47], vcc
	s_xor_b64 vcc, exec, s[46:47]
; %bb.259:                              ;   in Loop: Header=BB379_10 Depth=1
	v_bfe_u32 v3, v2, 16, 1
	v_add3_u32 v2, v2, v3, s49
	v_accvgpr_write_b32 a20, v2
                                        ; implicit-def: $vgpr2
; %bb.260:                              ;   in Loop: Header=BB379_10 Depth=1
	s_andn2_saveexec_b64 s[46:47], vcc
; %bb.261:                              ;   in Loop: Header=BB379_10 Depth=1
	v_or_b32_e32 v3, 0x10000, v2
	v_cmp_eq_u32_sdwa vcc, v2, v9 src0_sel:WORD_0 src1_sel:DWORD
	s_nop 1
	v_cndmask_b32_e32 v2, v3, v2, vcc
	v_accvgpr_write_b32 a20, v2
; %bb.262:                              ;   in Loop: Header=BB379_10 Depth=1
	s_or_b64 exec, exec, s[46:47]
	v_lshrrev_b32_e32 v1, 24, v1
	v_cvt_f32_fp8_sdwa v1, v1 src0_sel:BYTE_0
                                        ; implicit-def: $agpr21
	s_nop 0
	v_mul_f32_e32 v1, v0, v1
	v_and_b32_e32 v2, 0x7f800000, v1
	v_cmp_ne_u32_e32 vcc, s23, v2
	s_and_saveexec_b64 s[46:47], vcc
	s_xor_b64 vcc, exec, s[46:47]
; %bb.263:                              ;   in Loop: Header=BB379_10 Depth=1
	v_bfe_u32 v2, v1, 16, 1
	v_add3_u32 v1, v1, v2, s49
	v_accvgpr_write_b32 a21, v1
                                        ; implicit-def: $vgpr1
; %bb.264:                              ;   in Loop: Header=BB379_10 Depth=1
	s_andn2_saveexec_b64 s[46:47], vcc
; %bb.265:                              ;   in Loop: Header=BB379_10 Depth=1
	v_or_b32_e32 v2, 0x10000, v1
	v_cmp_eq_u32_sdwa vcc, v1, v9 src0_sel:WORD_0 src1_sel:DWORD
	s_nop 1
	v_cndmask_b32_e32 v1, v2, v1, vcc
	v_accvgpr_write_b32 a21, v1
; %bb.266:                              ;   in Loop: Header=BB379_10 Depth=1
	s_or_b64 exec, exec, s[46:47]
	v_add_co_u32_e32 v2, vcc, 0x1000, v28
                                        ; implicit-def: $agpr32
	s_nop 1
	v_addc_co_u32_e32 v3, vcc, 0, v29, vcc
	flat_load_dword v1, v[2:3]
	s_waitcnt vmcnt(0) lgkmcnt(0)
	v_and_b32_e32 v2, 0xff, v1
	v_cvt_f32_fp8_sdwa v2, v2 src0_sel:BYTE_0
	s_nop 0
	v_mul_f32_e32 v2, v0, v2
	v_and_b32_e32 v3, 0x7f800000, v2
	v_cmp_ne_u32_e32 vcc, s23, v3
	s_and_saveexec_b64 s[46:47], vcc
	s_xor_b64 vcc, exec, s[46:47]
; %bb.267:                              ;   in Loop: Header=BB379_10 Depth=1
	v_bfe_u32 v3, v2, 16, 1
	v_add3_u32 v2, v2, v3, s49
	v_accvgpr_write_b32 a32, v2
                                        ; implicit-def: $vgpr2
; %bb.268:                              ;   in Loop: Header=BB379_10 Depth=1
	s_andn2_saveexec_b64 s[46:47], vcc
; %bb.269:                              ;   in Loop: Header=BB379_10 Depth=1
	v_or_b32_e32 v3, 0x10000, v2
	v_cmp_eq_u32_sdwa vcc, v2, v9 src0_sel:WORD_0 src1_sel:DWORD
	s_nop 1
	v_cndmask_b32_e32 v2, v3, v2, vcc
	v_accvgpr_write_b32 a32, v2
; %bb.270:                              ;   in Loop: Header=BB379_10 Depth=1
	s_or_b64 exec, exec, s[46:47]
	v_bfe_u32 v2, v1, 8, 8
	v_cvt_f32_fp8_sdwa v2, v2 src0_sel:BYTE_0
                                        ; implicit-def: $agpr33
	s_nop 0
	v_mul_f32_e32 v2, v0, v2
	v_and_b32_e32 v3, 0x7f800000, v2
	v_cmp_ne_u32_e32 vcc, s23, v3
	s_and_saveexec_b64 s[46:47], vcc
	s_xor_b64 vcc, exec, s[46:47]
; %bb.271:                              ;   in Loop: Header=BB379_10 Depth=1
	v_bfe_u32 v3, v2, 16, 1
	v_add3_u32 v2, v2, v3, s49
	v_accvgpr_write_b32 a33, v2
                                        ; implicit-def: $vgpr2
; %bb.272:                              ;   in Loop: Header=BB379_10 Depth=1
	s_andn2_saveexec_b64 s[46:47], vcc
; %bb.273:                              ;   in Loop: Header=BB379_10 Depth=1
	v_or_b32_e32 v3, 0x10000, v2
	v_cmp_eq_u32_sdwa vcc, v2, v9 src0_sel:WORD_0 src1_sel:DWORD
	s_nop 1
	v_cndmask_b32_e32 v2, v3, v2, vcc
	v_accvgpr_write_b32 a33, v2
; %bb.274:                              ;   in Loop: Header=BB379_10 Depth=1
	s_or_b64 exec, exec, s[46:47]
	v_bfe_u32 v2, v1, 16, 8
	v_cvt_f32_fp8_sdwa v2, v2 src0_sel:BYTE_0
                                        ; implicit-def: $agpr6
	s_nop 0
	v_mul_f32_e32 v2, v0, v2
	v_and_b32_e32 v3, 0x7f800000, v2
	v_cmp_ne_u32_e32 vcc, s23, v3
	s_and_saveexec_b64 s[46:47], vcc
	s_xor_b64 vcc, exec, s[46:47]
; %bb.275:                              ;   in Loop: Header=BB379_10 Depth=1
	v_bfe_u32 v3, v2, 16, 1
	v_add3_u32 v2, v2, v3, s49
	v_accvgpr_write_b32 a6, v2
                                        ; implicit-def: $vgpr2
; %bb.276:                              ;   in Loop: Header=BB379_10 Depth=1
	s_andn2_saveexec_b64 s[46:47], vcc
; %bb.277:                              ;   in Loop: Header=BB379_10 Depth=1
	v_or_b32_e32 v3, 0x10000, v2
	v_cmp_eq_u32_sdwa vcc, v2, v9 src0_sel:WORD_0 src1_sel:DWORD
	s_nop 1
	v_cndmask_b32_e32 v2, v3, v2, vcc
	v_accvgpr_write_b32 a6, v2
; %bb.278:                              ;   in Loop: Header=BB379_10 Depth=1
	s_or_b64 exec, exec, s[46:47]
	v_lshrrev_b32_e32 v1, 24, v1
	v_cvt_f32_fp8_sdwa v1, v1 src0_sel:BYTE_0
                                        ; implicit-def: $agpr7
	s_nop 0
	v_mul_f32_e32 v1, v0, v1
	v_and_b32_e32 v2, 0x7f800000, v1
	v_cmp_ne_u32_e32 vcc, s23, v2
	s_and_saveexec_b64 s[46:47], vcc
	s_xor_b64 vcc, exec, s[46:47]
; %bb.279:                              ;   in Loop: Header=BB379_10 Depth=1
	v_bfe_u32 v2, v1, 16, 1
	v_add3_u32 v1, v1, v2, s49
	v_accvgpr_write_b32 a7, v1
                                        ; implicit-def: $vgpr1
; %bb.280:                              ;   in Loop: Header=BB379_10 Depth=1
	s_andn2_saveexec_b64 s[46:47], vcc
; %bb.281:                              ;   in Loop: Header=BB379_10 Depth=1
	v_or_b32_e32 v2, 0x10000, v1
	v_cmp_eq_u32_sdwa vcc, v1, v9 src0_sel:WORD_0 src1_sel:DWORD
	s_nop 1
	v_cndmask_b32_e32 v1, v2, v1, vcc
	v_accvgpr_write_b32 a7, v1
; %bb.282:                              ;   in Loop: Header=BB379_10 Depth=1
	s_or_b64 exec, exec, s[46:47]
	v_lshl_add_u64 v[2:3], v[28:29], 0, s[28:29]
	flat_load_dword v1, v[2:3] offset:8
                                        ; implicit-def: $agpr35
	s_waitcnt vmcnt(0) lgkmcnt(0)
	v_and_b32_e32 v2, 0xff, v1
	v_cvt_f32_fp8_sdwa v2, v2 src0_sel:BYTE_0
	s_nop 0
	v_mul_f32_e32 v2, v0, v2
	v_and_b32_e32 v3, 0x7f800000, v2
	v_cmp_ne_u32_e32 vcc, s23, v3
	s_and_saveexec_b64 s[46:47], vcc
	s_xor_b64 vcc, exec, s[46:47]
; %bb.283:                              ;   in Loop: Header=BB379_10 Depth=1
	v_bfe_u32 v3, v2, 16, 1
	v_add3_u32 v2, v2, v3, s49
	v_accvgpr_write_b32 a35, v2
                                        ; implicit-def: $vgpr2
; %bb.284:                              ;   in Loop: Header=BB379_10 Depth=1
	s_andn2_saveexec_b64 s[46:47], vcc
; %bb.285:                              ;   in Loop: Header=BB379_10 Depth=1
	v_or_b32_e32 v3, 0x10000, v2
	v_cmp_eq_u32_sdwa vcc, v2, v9 src0_sel:WORD_0 src1_sel:DWORD
	s_nop 1
	v_cndmask_b32_e32 v2, v3, v2, vcc
	v_accvgpr_write_b32 a35, v2
; %bb.286:                              ;   in Loop: Header=BB379_10 Depth=1
	s_or_b64 exec, exec, s[46:47]
	v_bfe_u32 v2, v1, 8, 8
	v_cvt_f32_fp8_sdwa v2, v2 src0_sel:BYTE_0
                                        ; implicit-def: $agpr36
	s_nop 0
	v_mul_f32_e32 v2, v0, v2
	v_and_b32_e32 v3, 0x7f800000, v2
	v_cmp_ne_u32_e32 vcc, s23, v3
	s_and_saveexec_b64 s[46:47], vcc
	s_xor_b64 vcc, exec, s[46:47]
; %bb.287:                              ;   in Loop: Header=BB379_10 Depth=1
	v_bfe_u32 v3, v2, 16, 1
	v_add3_u32 v2, v2, v3, s49
	v_accvgpr_write_b32 a36, v2
                                        ; implicit-def: $vgpr2
; %bb.288:                              ;   in Loop: Header=BB379_10 Depth=1
	s_andn2_saveexec_b64 s[46:47], vcc
; %bb.289:                              ;   in Loop: Header=BB379_10 Depth=1
	v_or_b32_e32 v3, 0x10000, v2
	v_cmp_eq_u32_sdwa vcc, v2, v9 src0_sel:WORD_0 src1_sel:DWORD
	s_nop 1
	v_cndmask_b32_e32 v2, v3, v2, vcc
	v_accvgpr_write_b32 a36, v2
; %bb.290:                              ;   in Loop: Header=BB379_10 Depth=1
	s_or_b64 exec, exec, s[46:47]
	v_bfe_u32 v2, v1, 16, 8
	v_cvt_f32_fp8_sdwa v2, v2 src0_sel:BYTE_0
                                        ; implicit-def: $agpr37
	s_nop 0
	v_mul_f32_e32 v2, v0, v2
	v_and_b32_e32 v3, 0x7f800000, v2
	v_cmp_ne_u32_e32 vcc, s23, v3
	s_and_saveexec_b64 s[46:47], vcc
	s_xor_b64 vcc, exec, s[46:47]
; %bb.291:                              ;   in Loop: Header=BB379_10 Depth=1
	v_bfe_u32 v3, v2, 16, 1
	v_add3_u32 v2, v2, v3, s49
	v_accvgpr_write_b32 a37, v2
                                        ; implicit-def: $vgpr2
; %bb.292:                              ;   in Loop: Header=BB379_10 Depth=1
	s_andn2_saveexec_b64 s[46:47], vcc
; %bb.293:                              ;   in Loop: Header=BB379_10 Depth=1
	v_or_b32_e32 v3, 0x10000, v2
	v_cmp_eq_u32_sdwa vcc, v2, v9 src0_sel:WORD_0 src1_sel:DWORD
	s_nop 1
	v_cndmask_b32_e32 v2, v3, v2, vcc
	v_accvgpr_write_b32 a37, v2
; %bb.294:                              ;   in Loop: Header=BB379_10 Depth=1
	s_or_b64 exec, exec, s[46:47]
	v_lshrrev_b32_e32 v1, 24, v1
	v_cvt_f32_fp8_sdwa v1, v1 src0_sel:BYTE_0
                                        ; implicit-def: $agpr38
	s_nop 0
	v_mul_f32_e32 v1, v0, v1
	v_and_b32_e32 v2, 0x7f800000, v1
	v_cmp_ne_u32_e32 vcc, s23, v2
	s_and_saveexec_b64 s[46:47], vcc
	s_xor_b64 vcc, exec, s[46:47]
; %bb.295:                              ;   in Loop: Header=BB379_10 Depth=1
	v_bfe_u32 v2, v1, 16, 1
	v_add3_u32 v1, v1, v2, s49
	v_accvgpr_write_b32 a38, v1
                                        ; implicit-def: $vgpr1
; %bb.296:                              ;   in Loop: Header=BB379_10 Depth=1
	s_andn2_saveexec_b64 s[46:47], vcc
; %bb.297:                              ;   in Loop: Header=BB379_10 Depth=1
	v_or_b32_e32 v2, 0x10000, v1
	v_cmp_eq_u32_sdwa vcc, v1, v9 src0_sel:WORD_0 src1_sel:DWORD
	s_nop 1
	v_cndmask_b32_e32 v1, v2, v1, vcc
	v_accvgpr_write_b32 a38, v1
; %bb.298:                              ;   in Loop: Header=BB379_10 Depth=1
	s_or_b64 exec, exec, s[46:47]
	v_add_co_u32_e32 v2, vcc, 0x1000, v28
                                        ; implicit-def: $agpr39
	s_nop 1
	v_addc_co_u32_e32 v3, vcc, 0, v29, vcc
	flat_load_dword v1, v[2:3] offset:512
	s_waitcnt vmcnt(0) lgkmcnt(0)
	v_and_b32_e32 v2, 0xff, v1
	v_cvt_f32_fp8_sdwa v2, v2 src0_sel:BYTE_0
	s_nop 0
	v_mul_f32_e32 v2, v0, v2
	v_and_b32_e32 v3, 0x7f800000, v2
	v_cmp_ne_u32_e32 vcc, s23, v3
	s_and_saveexec_b64 s[46:47], vcc
	s_xor_b64 vcc, exec, s[46:47]
; %bb.299:                              ;   in Loop: Header=BB379_10 Depth=1
	v_bfe_u32 v3, v2, 16, 1
	v_add3_u32 v2, v2, v3, s49
	v_accvgpr_write_b32 a39, v2
                                        ; implicit-def: $vgpr2
; %bb.300:                              ;   in Loop: Header=BB379_10 Depth=1
	s_andn2_saveexec_b64 s[46:47], vcc
; %bb.301:                              ;   in Loop: Header=BB379_10 Depth=1
	v_or_b32_e32 v3, 0x10000, v2
	v_cmp_eq_u32_sdwa vcc, v2, v9 src0_sel:WORD_0 src1_sel:DWORD
	s_nop 1
	v_cndmask_b32_e32 v2, v3, v2, vcc
	v_accvgpr_write_b32 a39, v2
; %bb.302:                              ;   in Loop: Header=BB379_10 Depth=1
	s_or_b64 exec, exec, s[46:47]
	v_bfe_u32 v2, v1, 8, 8
	v_cvt_f32_fp8_sdwa v2, v2 src0_sel:BYTE_0
                                        ; implicit-def: $agpr40
	s_nop 0
	v_mul_f32_e32 v2, v0, v2
	v_and_b32_e32 v3, 0x7f800000, v2
	v_cmp_ne_u32_e32 vcc, s23, v3
	s_and_saveexec_b64 s[46:47], vcc
	s_xor_b64 vcc, exec, s[46:47]
; %bb.303:                              ;   in Loop: Header=BB379_10 Depth=1
	v_bfe_u32 v3, v2, 16, 1
	v_add3_u32 v2, v2, v3, s49
	v_accvgpr_write_b32 a40, v2
                                        ; implicit-def: $vgpr2
; %bb.304:                              ;   in Loop: Header=BB379_10 Depth=1
	s_andn2_saveexec_b64 s[46:47], vcc
; %bb.305:                              ;   in Loop: Header=BB379_10 Depth=1
	v_or_b32_e32 v3, 0x10000, v2
	v_cmp_eq_u32_sdwa vcc, v2, v9 src0_sel:WORD_0 src1_sel:DWORD
	s_nop 1
	v_cndmask_b32_e32 v2, v3, v2, vcc
	v_accvgpr_write_b32 a40, v2
; %bb.306:                              ;   in Loop: Header=BB379_10 Depth=1
	s_or_b64 exec, exec, s[46:47]
	v_bfe_u32 v2, v1, 16, 8
	v_cvt_f32_fp8_sdwa v2, v2 src0_sel:BYTE_0
                                        ; implicit-def: $agpr41
	s_nop 0
	v_mul_f32_e32 v2, v0, v2
	v_and_b32_e32 v3, 0x7f800000, v2
	v_cmp_ne_u32_e32 vcc, s23, v3
	s_and_saveexec_b64 s[46:47], vcc
	s_xor_b64 vcc, exec, s[46:47]
; %bb.307:                              ;   in Loop: Header=BB379_10 Depth=1
	v_bfe_u32 v3, v2, 16, 1
	v_add3_u32 v2, v2, v3, s49
	v_accvgpr_write_b32 a41, v2
                                        ; implicit-def: $vgpr2
; %bb.308:                              ;   in Loop: Header=BB379_10 Depth=1
	s_andn2_saveexec_b64 s[46:47], vcc
; %bb.309:                              ;   in Loop: Header=BB379_10 Depth=1
	v_or_b32_e32 v3, 0x10000, v2
	v_cmp_eq_u32_sdwa vcc, v2, v9 src0_sel:WORD_0 src1_sel:DWORD
	s_nop 1
	v_cndmask_b32_e32 v2, v3, v2, vcc
	v_accvgpr_write_b32 a41, v2
; %bb.310:                              ;   in Loop: Header=BB379_10 Depth=1
	s_or_b64 exec, exec, s[46:47]
	v_lshrrev_b32_e32 v1, 24, v1
	v_cvt_f32_fp8_sdwa v1, v1 src0_sel:BYTE_0
                                        ; implicit-def: $agpr42
	s_nop 0
	v_mul_f32_e32 v1, v0, v1
	v_and_b32_e32 v2, 0x7f800000, v1
	v_cmp_ne_u32_e32 vcc, s23, v2
	s_and_saveexec_b64 s[46:47], vcc
	s_xor_b64 vcc, exec, s[46:47]
; %bb.311:                              ;   in Loop: Header=BB379_10 Depth=1
	v_bfe_u32 v2, v1, 16, 1
	v_add3_u32 v1, v1, v2, s49
	v_accvgpr_write_b32 a42, v1
                                        ; implicit-def: $vgpr1
; %bb.312:                              ;   in Loop: Header=BB379_10 Depth=1
	s_andn2_saveexec_b64 s[46:47], vcc
; %bb.313:                              ;   in Loop: Header=BB379_10 Depth=1
	v_or_b32_e32 v2, 0x10000, v1
	v_cmp_eq_u32_sdwa vcc, v1, v9 src0_sel:WORD_0 src1_sel:DWORD
	s_nop 1
	v_cndmask_b32_e32 v1, v2, v1, vcc
	v_accvgpr_write_b32 a42, v1
; %bb.314:                              ;   in Loop: Header=BB379_10 Depth=1
	s_or_b64 exec, exec, s[46:47]
	v_lshl_add_u64 v[2:3], v[28:29], 0, s[30:31]
	flat_load_dword v1, v[2:3] offset:8
                                        ; implicit-def: $agpr43
	s_waitcnt vmcnt(0) lgkmcnt(0)
	v_and_b32_e32 v2, 0xff, v1
	v_cvt_f32_fp8_sdwa v2, v2 src0_sel:BYTE_0
	s_nop 0
	v_mul_f32_e32 v2, v0, v2
	v_and_b32_e32 v3, 0x7f800000, v2
	v_cmp_ne_u32_e32 vcc, s23, v3
	s_and_saveexec_b64 s[46:47], vcc
	s_xor_b64 vcc, exec, s[46:47]
; %bb.315:                              ;   in Loop: Header=BB379_10 Depth=1
	v_bfe_u32 v3, v2, 16, 1
	v_add3_u32 v2, v2, v3, s49
	v_accvgpr_write_b32 a43, v2
                                        ; implicit-def: $vgpr2
; %bb.316:                              ;   in Loop: Header=BB379_10 Depth=1
	s_andn2_saveexec_b64 s[46:47], vcc
; %bb.317:                              ;   in Loop: Header=BB379_10 Depth=1
	v_or_b32_e32 v3, 0x10000, v2
	v_cmp_eq_u32_sdwa vcc, v2, v9 src0_sel:WORD_0 src1_sel:DWORD
	s_nop 1
	v_cndmask_b32_e32 v2, v3, v2, vcc
	v_accvgpr_write_b32 a43, v2
; %bb.318:                              ;   in Loop: Header=BB379_10 Depth=1
	s_or_b64 exec, exec, s[46:47]
	v_bfe_u32 v2, v1, 8, 8
	v_cvt_f32_fp8_sdwa v2, v2 src0_sel:BYTE_0
                                        ; implicit-def: $agpr44
	s_nop 0
	v_mul_f32_e32 v2, v0, v2
	v_and_b32_e32 v3, 0x7f800000, v2
	v_cmp_ne_u32_e32 vcc, s23, v3
	s_and_saveexec_b64 s[46:47], vcc
	s_xor_b64 vcc, exec, s[46:47]
; %bb.319:                              ;   in Loop: Header=BB379_10 Depth=1
	v_bfe_u32 v3, v2, 16, 1
	v_add3_u32 v2, v2, v3, s49
	v_accvgpr_write_b32 a44, v2
                                        ; implicit-def: $vgpr2
; %bb.320:                              ;   in Loop: Header=BB379_10 Depth=1
	s_andn2_saveexec_b64 s[46:47], vcc
; %bb.321:                              ;   in Loop: Header=BB379_10 Depth=1
	v_or_b32_e32 v3, 0x10000, v2
	v_cmp_eq_u32_sdwa vcc, v2, v9 src0_sel:WORD_0 src1_sel:DWORD
	s_nop 1
	v_cndmask_b32_e32 v2, v3, v2, vcc
	v_accvgpr_write_b32 a44, v2
; %bb.322:                              ;   in Loop: Header=BB379_10 Depth=1
	s_or_b64 exec, exec, s[46:47]
	v_bfe_u32 v2, v1, 16, 8
	v_cvt_f32_fp8_sdwa v2, v2 src0_sel:BYTE_0
                                        ; implicit-def: $agpr45
	s_nop 0
	v_mul_f32_e32 v2, v0, v2
	v_and_b32_e32 v3, 0x7f800000, v2
	v_cmp_ne_u32_e32 vcc, s23, v3
	s_and_saveexec_b64 s[46:47], vcc
	s_xor_b64 vcc, exec, s[46:47]
; %bb.323:                              ;   in Loop: Header=BB379_10 Depth=1
	v_bfe_u32 v3, v2, 16, 1
	v_add3_u32 v2, v2, v3, s49
	v_accvgpr_write_b32 a45, v2
                                        ; implicit-def: $vgpr2
; %bb.324:                              ;   in Loop: Header=BB379_10 Depth=1
	s_andn2_saveexec_b64 s[46:47], vcc
; %bb.325:                              ;   in Loop: Header=BB379_10 Depth=1
	v_or_b32_e32 v3, 0x10000, v2
	v_cmp_eq_u32_sdwa vcc, v2, v9 src0_sel:WORD_0 src1_sel:DWORD
	s_nop 1
	v_cndmask_b32_e32 v2, v3, v2, vcc
	v_accvgpr_write_b32 a45, v2
; %bb.326:                              ;   in Loop: Header=BB379_10 Depth=1
	s_or_b64 exec, exec, s[46:47]
	v_lshrrev_b32_e32 v1, 24, v1
	v_cvt_f32_fp8_sdwa v1, v1 src0_sel:BYTE_0
                                        ; implicit-def: $vgpr43
	s_nop 0
	v_mul_f32_e32 v1, v0, v1
	v_and_b32_e32 v2, 0x7f800000, v1
	v_cmp_ne_u32_e32 vcc, s23, v2
	s_and_saveexec_b64 s[46:47], vcc
	s_xor_b64 vcc, exec, s[46:47]
; %bb.327:                              ;   in Loop: Header=BB379_10 Depth=1
	v_bfe_u32 v2, v1, 16, 1
	v_add3_u32 v43, v1, v2, s49
                                        ; implicit-def: $vgpr1
; %bb.328:                              ;   in Loop: Header=BB379_10 Depth=1
	s_andn2_saveexec_b64 s[46:47], vcc
; %bb.329:                              ;   in Loop: Header=BB379_10 Depth=1
	v_or_b32_e32 v2, 0x10000, v1
	v_cmp_eq_u32_sdwa vcc, v1, v9 src0_sel:WORD_0 src1_sel:DWORD
	s_nop 1
	v_cndmask_b32_e32 v43, v2, v1, vcc
; %bb.330:                              ;   in Loop: Header=BB379_10 Depth=1
	s_or_b64 exec, exec, s[46:47]
	v_add_co_u32_e32 v2, vcc, 0x1000, v28
                                        ; implicit-def: $vgpr44
	s_nop 1
	v_addc_co_u32_e32 v3, vcc, 0, v29, vcc
	flat_load_dword v1, v[2:3] offset:1024
	s_waitcnt vmcnt(0) lgkmcnt(0)
	v_and_b32_e32 v2, 0xff, v1
	v_cvt_f32_fp8_sdwa v2, v2 src0_sel:BYTE_0
	s_nop 0
	v_mul_f32_e32 v2, v0, v2
	v_and_b32_e32 v3, 0x7f800000, v2
	v_cmp_ne_u32_e32 vcc, s23, v3
	s_and_saveexec_b64 s[46:47], vcc
	s_xor_b64 vcc, exec, s[46:47]
; %bb.331:                              ;   in Loop: Header=BB379_10 Depth=1
	v_bfe_u32 v3, v2, 16, 1
	v_add3_u32 v44, v2, v3, s49
                                        ; implicit-def: $vgpr2
; %bb.332:                              ;   in Loop: Header=BB379_10 Depth=1
	s_andn2_saveexec_b64 s[46:47], vcc
; %bb.333:                              ;   in Loop: Header=BB379_10 Depth=1
	v_or_b32_e32 v3, 0x10000, v2
	v_cmp_eq_u32_sdwa vcc, v2, v9 src0_sel:WORD_0 src1_sel:DWORD
	s_nop 1
	v_cndmask_b32_e32 v44, v3, v2, vcc
; %bb.334:                              ;   in Loop: Header=BB379_10 Depth=1
	s_or_b64 exec, exec, s[46:47]
	v_bfe_u32 v2, v1, 8, 8
	v_cvt_f32_fp8_sdwa v2, v2 src0_sel:BYTE_0
                                        ; implicit-def: $vgpr46
	s_nop 0
	v_mul_f32_e32 v2, v0, v2
	v_and_b32_e32 v3, 0x7f800000, v2
	v_cmp_ne_u32_e32 vcc, s23, v3
	s_and_saveexec_b64 s[46:47], vcc
	s_xor_b64 vcc, exec, s[46:47]
; %bb.335:                              ;   in Loop: Header=BB379_10 Depth=1
	v_bfe_u32 v3, v2, 16, 1
	v_add3_u32 v46, v2, v3, s49
                                        ; implicit-def: $vgpr2
; %bb.336:                              ;   in Loop: Header=BB379_10 Depth=1
	s_andn2_saveexec_b64 s[46:47], vcc
; %bb.337:                              ;   in Loop: Header=BB379_10 Depth=1
	v_or_b32_e32 v3, 0x10000, v2
	v_cmp_eq_u32_sdwa vcc, v2, v9 src0_sel:WORD_0 src1_sel:DWORD
	s_nop 1
	v_cndmask_b32_e32 v46, v3, v2, vcc
; %bb.338:                              ;   in Loop: Header=BB379_10 Depth=1
	s_or_b64 exec, exec, s[46:47]
	v_bfe_u32 v2, v1, 16, 8
	v_cvt_f32_fp8_sdwa v2, v2 src0_sel:BYTE_0
                                        ; implicit-def: $vgpr47
	s_nop 0
	v_mul_f32_e32 v2, v0, v2
	v_and_b32_e32 v3, 0x7f800000, v2
	v_cmp_ne_u32_e32 vcc, s23, v3
	s_and_saveexec_b64 s[46:47], vcc
	s_xor_b64 vcc, exec, s[46:47]
; %bb.339:                              ;   in Loop: Header=BB379_10 Depth=1
	v_bfe_u32 v3, v2, 16, 1
	v_add3_u32 v47, v2, v3, s49
                                        ; implicit-def: $vgpr2
; %bb.340:                              ;   in Loop: Header=BB379_10 Depth=1
	s_andn2_saveexec_b64 s[46:47], vcc
; %bb.341:                              ;   in Loop: Header=BB379_10 Depth=1
	v_or_b32_e32 v3, 0x10000, v2
	v_cmp_eq_u32_sdwa vcc, v2, v9 src0_sel:WORD_0 src1_sel:DWORD
	s_nop 1
	v_cndmask_b32_e32 v47, v3, v2, vcc
; %bb.342:                              ;   in Loop: Header=BB379_10 Depth=1
	s_or_b64 exec, exec, s[46:47]
	v_lshrrev_b32_e32 v1, 24, v1
	v_cvt_f32_fp8_sdwa v1, v1 src0_sel:BYTE_0
                                        ; implicit-def: $vgpr56
	s_nop 0
	v_mul_f32_e32 v1, v0, v1
	v_and_b32_e32 v2, 0x7f800000, v1
	v_cmp_ne_u32_e32 vcc, s23, v2
	s_and_saveexec_b64 s[46:47], vcc
	s_xor_b64 vcc, exec, s[46:47]
; %bb.343:                              ;   in Loop: Header=BB379_10 Depth=1
	v_bfe_u32 v2, v1, 16, 1
	v_add3_u32 v56, v1, v2, s49
                                        ; implicit-def: $vgpr1
; %bb.344:                              ;   in Loop: Header=BB379_10 Depth=1
	s_andn2_saveexec_b64 s[46:47], vcc
; %bb.345:                              ;   in Loop: Header=BB379_10 Depth=1
	v_or_b32_e32 v2, 0x10000, v1
	v_cmp_eq_u32_sdwa vcc, v1, v9 src0_sel:WORD_0 src1_sel:DWORD
	s_nop 1
	v_cndmask_b32_e32 v56, v2, v1, vcc
; %bb.346:                              ;   in Loop: Header=BB379_10 Depth=1
	s_or_b64 exec, exec, s[46:47]
	v_lshl_add_u64 v[2:3], v[28:29], 0, s[34:35]
	flat_load_dword v1, v[2:3] offset:8
                                        ; implicit-def: $vgpr57
	s_waitcnt vmcnt(0) lgkmcnt(0)
	v_and_b32_e32 v2, 0xff, v1
	v_cvt_f32_fp8_sdwa v2, v2 src0_sel:BYTE_0
	s_nop 0
	v_mul_f32_e32 v2, v0, v2
	v_and_b32_e32 v3, 0x7f800000, v2
	v_cmp_ne_u32_e32 vcc, s23, v3
	s_and_saveexec_b64 s[46:47], vcc
	s_xor_b64 vcc, exec, s[46:47]
; %bb.347:                              ;   in Loop: Header=BB379_10 Depth=1
	v_bfe_u32 v3, v2, 16, 1
	v_add3_u32 v57, v2, v3, s49
                                        ; implicit-def: $vgpr2
; %bb.348:                              ;   in Loop: Header=BB379_10 Depth=1
	s_andn2_saveexec_b64 s[46:47], vcc
; %bb.349:                              ;   in Loop: Header=BB379_10 Depth=1
	v_or_b32_e32 v3, 0x10000, v2
	v_cmp_eq_u32_sdwa vcc, v2, v9 src0_sel:WORD_0 src1_sel:DWORD
	s_nop 1
	v_cndmask_b32_e32 v57, v3, v2, vcc
; %bb.350:                              ;   in Loop: Header=BB379_10 Depth=1
	s_or_b64 exec, exec, s[46:47]
	v_bfe_u32 v2, v1, 8, 8
	v_cvt_f32_fp8_sdwa v2, v2 src0_sel:BYTE_0
                                        ; implicit-def: $vgpr58
	s_nop 0
	v_mul_f32_e32 v2, v0, v2
	v_and_b32_e32 v3, 0x7f800000, v2
	v_cmp_ne_u32_e32 vcc, s23, v3
	s_and_saveexec_b64 s[46:47], vcc
	s_xor_b64 vcc, exec, s[46:47]
; %bb.351:                              ;   in Loop: Header=BB379_10 Depth=1
	v_bfe_u32 v3, v2, 16, 1
	v_add3_u32 v58, v2, v3, s49
                                        ; implicit-def: $vgpr2
; %bb.352:                              ;   in Loop: Header=BB379_10 Depth=1
	s_andn2_saveexec_b64 s[46:47], vcc
; %bb.353:                              ;   in Loop: Header=BB379_10 Depth=1
	v_or_b32_e32 v3, 0x10000, v2
	v_cmp_eq_u32_sdwa vcc, v2, v9 src0_sel:WORD_0 src1_sel:DWORD
	s_nop 1
	v_cndmask_b32_e32 v58, v3, v2, vcc
; %bb.354:                              ;   in Loop: Header=BB379_10 Depth=1
	s_or_b64 exec, exec, s[46:47]
	v_bfe_u32 v2, v1, 16, 8
	v_cvt_f32_fp8_sdwa v2, v2 src0_sel:BYTE_0
                                        ; implicit-def: $vgpr59
	s_nop 0
	v_mul_f32_e32 v2, v0, v2
	v_and_b32_e32 v3, 0x7f800000, v2
	v_cmp_ne_u32_e32 vcc, s23, v3
	s_and_saveexec_b64 s[46:47], vcc
	s_xor_b64 vcc, exec, s[46:47]
; %bb.355:                              ;   in Loop: Header=BB379_10 Depth=1
	v_bfe_u32 v3, v2, 16, 1
	v_add3_u32 v59, v2, v3, s49
                                        ; implicit-def: $vgpr2
; %bb.356:                              ;   in Loop: Header=BB379_10 Depth=1
	s_andn2_saveexec_b64 s[46:47], vcc
; %bb.357:                              ;   in Loop: Header=BB379_10 Depth=1
	v_or_b32_e32 v3, 0x10000, v2
	v_cmp_eq_u32_sdwa vcc, v2, v9 src0_sel:WORD_0 src1_sel:DWORD
	s_nop 1
	v_cndmask_b32_e32 v59, v3, v2, vcc
; %bb.358:                              ;   in Loop: Header=BB379_10 Depth=1
	s_or_b64 exec, exec, s[46:47]
	v_lshrrev_b32_e32 v1, 24, v1
	v_cvt_f32_fp8_sdwa v1, v1 src0_sel:BYTE_0
                                        ; implicit-def: $vgpr60
	s_nop 0
	v_mul_f32_e32 v1, v0, v1
	v_and_b32_e32 v2, 0x7f800000, v1
	v_cmp_ne_u32_e32 vcc, s23, v2
	s_and_saveexec_b64 s[46:47], vcc
	s_xor_b64 vcc, exec, s[46:47]
; %bb.359:                              ;   in Loop: Header=BB379_10 Depth=1
	v_bfe_u32 v2, v1, 16, 1
	v_add3_u32 v60, v1, v2, s49
                                        ; implicit-def: $vgpr1
; %bb.360:                              ;   in Loop: Header=BB379_10 Depth=1
	s_andn2_saveexec_b64 s[46:47], vcc
; %bb.361:                              ;   in Loop: Header=BB379_10 Depth=1
	v_or_b32_e32 v2, 0x10000, v1
	v_cmp_eq_u32_sdwa vcc, v1, v9 src0_sel:WORD_0 src1_sel:DWORD
	s_nop 1
	v_cndmask_b32_e32 v60, v2, v1, vcc
; %bb.362:                              ;   in Loop: Header=BB379_10 Depth=1
	s_or_b64 exec, exec, s[46:47]
	v_add_co_u32_e32 v2, vcc, 0x1000, v28
                                        ; implicit-def: $vgpr61
	s_nop 1
	v_addc_co_u32_e32 v3, vcc, 0, v29, vcc
	flat_load_dword v1, v[2:3] offset:1536
	s_waitcnt vmcnt(0) lgkmcnt(0)
	v_and_b32_e32 v2, 0xff, v1
	v_cvt_f32_fp8_sdwa v2, v2 src0_sel:BYTE_0
	s_nop 0
	v_mul_f32_e32 v2, v0, v2
	v_and_b32_e32 v3, 0x7f800000, v2
	v_cmp_ne_u32_e32 vcc, s23, v3
	s_and_saveexec_b64 s[46:47], vcc
	s_xor_b64 vcc, exec, s[46:47]
; %bb.363:                              ;   in Loop: Header=BB379_10 Depth=1
	v_bfe_u32 v3, v2, 16, 1
	v_add3_u32 v61, v2, v3, s49
                                        ; implicit-def: $vgpr2
; %bb.364:                              ;   in Loop: Header=BB379_10 Depth=1
	s_andn2_saveexec_b64 s[46:47], vcc
; %bb.365:                              ;   in Loop: Header=BB379_10 Depth=1
	v_or_b32_e32 v3, 0x10000, v2
	v_cmp_eq_u32_sdwa vcc, v2, v9 src0_sel:WORD_0 src1_sel:DWORD
	s_nop 1
	v_cndmask_b32_e32 v61, v3, v2, vcc
; %bb.366:                              ;   in Loop: Header=BB379_10 Depth=1
	s_or_b64 exec, exec, s[46:47]
	v_bfe_u32 v2, v1, 8, 8
	v_cvt_f32_fp8_sdwa v2, v2 src0_sel:BYTE_0
                                        ; implicit-def: $vgpr62
	s_nop 0
	v_mul_f32_e32 v2, v0, v2
	v_and_b32_e32 v3, 0x7f800000, v2
	v_cmp_ne_u32_e32 vcc, s23, v3
	s_and_saveexec_b64 s[46:47], vcc
	s_xor_b64 vcc, exec, s[46:47]
; %bb.367:                              ;   in Loop: Header=BB379_10 Depth=1
	v_bfe_u32 v3, v2, 16, 1
	v_add3_u32 v62, v2, v3, s49
                                        ; implicit-def: $vgpr2
; %bb.368:                              ;   in Loop: Header=BB379_10 Depth=1
	s_andn2_saveexec_b64 s[46:47], vcc
; %bb.369:                              ;   in Loop: Header=BB379_10 Depth=1
	v_or_b32_e32 v3, 0x10000, v2
	v_cmp_eq_u32_sdwa vcc, v2, v9 src0_sel:WORD_0 src1_sel:DWORD
	s_nop 1
	v_cndmask_b32_e32 v62, v3, v2, vcc
; %bb.370:                              ;   in Loop: Header=BB379_10 Depth=1
	s_or_b64 exec, exec, s[46:47]
	v_bfe_u32 v2, v1, 16, 8
	v_cvt_f32_fp8_sdwa v2, v2 src0_sel:BYTE_0
                                        ; implicit-def: $vgpr5
	s_nop 0
	v_mul_f32_e32 v2, v0, v2
	v_and_b32_e32 v3, 0x7f800000, v2
	v_cmp_ne_u32_e32 vcc, s23, v3
	s_and_saveexec_b64 s[46:47], vcc
	s_xor_b64 vcc, exec, s[46:47]
; %bb.371:                              ;   in Loop: Header=BB379_10 Depth=1
	v_bfe_u32 v3, v2, 16, 1
	v_add3_u32 v5, v2, v3, s49
                                        ; implicit-def: $vgpr2
; %bb.372:                              ;   in Loop: Header=BB379_10 Depth=1
	s_andn2_saveexec_b64 s[46:47], vcc
; %bb.373:                              ;   in Loop: Header=BB379_10 Depth=1
	v_or_b32_e32 v3, 0x10000, v2
	v_cmp_eq_u32_sdwa vcc, v2, v9 src0_sel:WORD_0 src1_sel:DWORD
	s_nop 1
	v_cndmask_b32_e32 v5, v3, v2, vcc
; %bb.374:                              ;   in Loop: Header=BB379_10 Depth=1
	s_or_b64 exec, exec, s[46:47]
	v_lshrrev_b32_e32 v1, 24, v1
	v_cvt_f32_fp8_sdwa v1, v1 src0_sel:BYTE_0
                                        ; implicit-def: $vgpr7
	s_nop 0
	v_mul_f32_e32 v1, v0, v1
	v_and_b32_e32 v2, 0x7f800000, v1
	v_cmp_ne_u32_e32 vcc, s23, v2
	s_and_saveexec_b64 s[46:47], vcc
	s_xor_b64 vcc, exec, s[46:47]
; %bb.375:                              ;   in Loop: Header=BB379_10 Depth=1
	v_bfe_u32 v2, v1, 16, 1
	v_add3_u32 v7, v1, v2, s49
                                        ; implicit-def: $vgpr1
; %bb.376:                              ;   in Loop: Header=BB379_10 Depth=1
	s_andn2_saveexec_b64 s[46:47], vcc
; %bb.377:                              ;   in Loop: Header=BB379_10 Depth=1
	v_or_b32_e32 v2, 0x10000, v1
	v_cmp_eq_u32_sdwa vcc, v1, v9 src0_sel:WORD_0 src1_sel:DWORD
	s_nop 1
	v_cndmask_b32_e32 v7, v2, v1, vcc
; %bb.378:                              ;   in Loop: Header=BB379_10 Depth=1
	s_or_b64 exec, exec, s[46:47]
	v_lshl_add_u64 v[2:3], v[28:29], 0, s[36:37]
	flat_load_dword v1, v[2:3] offset:8
                                        ; implicit-def: $vgpr4
	s_waitcnt vmcnt(0) lgkmcnt(0)
	v_and_b32_e32 v2, 0xff, v1
	v_cvt_f32_fp8_sdwa v2, v2 src0_sel:BYTE_0
	s_nop 0
	v_mul_f32_e32 v2, v0, v2
	v_and_b32_e32 v3, 0x7f800000, v2
	v_cmp_ne_u32_e32 vcc, s23, v3
	s_and_saveexec_b64 s[46:47], vcc
	s_xor_b64 vcc, exec, s[46:47]
; %bb.379:                              ;   in Loop: Header=BB379_10 Depth=1
	v_bfe_u32 v3, v2, 16, 1
	v_add3_u32 v4, v2, v3, s49
                                        ; implicit-def: $vgpr2
; %bb.380:                              ;   in Loop: Header=BB379_10 Depth=1
	s_andn2_saveexec_b64 s[46:47], vcc
; %bb.381:                              ;   in Loop: Header=BB379_10 Depth=1
	v_or_b32_e32 v3, 0x10000, v2
	v_cmp_eq_u32_sdwa vcc, v2, v9 src0_sel:WORD_0 src1_sel:DWORD
	s_nop 1
	v_cndmask_b32_e32 v4, v3, v2, vcc
; %bb.382:                              ;   in Loop: Header=BB379_10 Depth=1
	s_or_b64 exec, exec, s[46:47]
	v_bfe_u32 v2, v1, 8, 8
	v_cvt_f32_fp8_sdwa v2, v2 src0_sel:BYTE_0
                                        ; implicit-def: $vgpr36
	s_nop 0
	v_mul_f32_e32 v2, v0, v2
	v_and_b32_e32 v3, 0x7f800000, v2
	v_cmp_ne_u32_e32 vcc, s23, v3
	s_and_saveexec_b64 s[46:47], vcc
	s_xor_b64 vcc, exec, s[46:47]
; %bb.383:                              ;   in Loop: Header=BB379_10 Depth=1
	v_bfe_u32 v3, v2, 16, 1
	v_add3_u32 v36, v2, v3, s49
                                        ; implicit-def: $vgpr2
; %bb.384:                              ;   in Loop: Header=BB379_10 Depth=1
	s_andn2_saveexec_b64 s[46:47], vcc
; %bb.385:                              ;   in Loop: Header=BB379_10 Depth=1
	v_or_b32_e32 v3, 0x10000, v2
	v_cmp_eq_u32_sdwa vcc, v2, v9 src0_sel:WORD_0 src1_sel:DWORD
	s_nop 1
	v_cndmask_b32_e32 v36, v3, v2, vcc
; %bb.386:                              ;   in Loop: Header=BB379_10 Depth=1
	s_or_b64 exec, exec, s[46:47]
	v_bfe_u32 v2, v1, 16, 8
	v_cvt_f32_fp8_sdwa v2, v2 src0_sel:BYTE_0
                                        ; implicit-def: $vgpr12
	s_nop 0
	v_mul_f32_e32 v2, v0, v2
	v_and_b32_e32 v3, 0x7f800000, v2
	v_cmp_ne_u32_e32 vcc, s23, v3
	s_and_saveexec_b64 s[46:47], vcc
	s_xor_b64 vcc, exec, s[46:47]
; %bb.387:                              ;   in Loop: Header=BB379_10 Depth=1
	v_bfe_u32 v3, v2, 16, 1
	v_add3_u32 v12, v2, v3, s49
                                        ; implicit-def: $vgpr2
; %bb.388:                              ;   in Loop: Header=BB379_10 Depth=1
	s_andn2_saveexec_b64 s[46:47], vcc
; %bb.389:                              ;   in Loop: Header=BB379_10 Depth=1
	v_or_b32_e32 v3, 0x10000, v2
	v_cmp_eq_u32_sdwa vcc, v2, v9 src0_sel:WORD_0 src1_sel:DWORD
	s_nop 1
	v_cndmask_b32_e32 v12, v3, v2, vcc
; %bb.390:                              ;   in Loop: Header=BB379_10 Depth=1
	s_or_b64 exec, exec, s[46:47]
	v_lshrrev_b32_e32 v1, 24, v1
	v_cvt_f32_fp8_sdwa v1, v1 src0_sel:BYTE_0
                                        ; implicit-def: $vgpr41
	s_nop 0
	v_mul_f32_e32 v1, v0, v1
	v_and_b32_e32 v2, 0x7f800000, v1
	v_cmp_ne_u32_e32 vcc, s23, v2
	s_and_saveexec_b64 s[46:47], vcc
	s_xor_b64 vcc, exec, s[46:47]
; %bb.391:                              ;   in Loop: Header=BB379_10 Depth=1
	v_bfe_u32 v2, v1, 16, 1
	v_add3_u32 v41, v1, v2, s49
                                        ; implicit-def: $vgpr1
; %bb.392:                              ;   in Loop: Header=BB379_10 Depth=1
	s_andn2_saveexec_b64 s[46:47], vcc
; %bb.393:                              ;   in Loop: Header=BB379_10 Depth=1
	v_or_b32_e32 v2, 0x10000, v1
	v_cmp_eq_u32_sdwa vcc, v1, v9 src0_sel:WORD_0 src1_sel:DWORD
	s_nop 1
	v_cndmask_b32_e32 v41, v2, v1, vcc
; %bb.394:                              ;   in Loop: Header=BB379_10 Depth=1
	s_or_b64 exec, exec, s[46:47]
	v_add_co_u32_e32 v2, vcc, 0x1000, v28
                                        ; implicit-def: $vgpr6
	s_nop 1
	v_addc_co_u32_e32 v3, vcc, 0, v29, vcc
	flat_load_dword v1, v[2:3] offset:2048
	s_waitcnt vmcnt(0) lgkmcnt(0)
	v_and_b32_e32 v2, 0xff, v1
	v_cvt_f32_fp8_sdwa v2, v2 src0_sel:BYTE_0
	s_nop 0
	v_mul_f32_e32 v2, v0, v2
	v_and_b32_e32 v3, 0x7f800000, v2
	v_cmp_ne_u32_e32 vcc, s23, v3
	s_and_saveexec_b64 s[46:47], vcc
	s_xor_b64 vcc, exec, s[46:47]
; %bb.395:                              ;   in Loop: Header=BB379_10 Depth=1
	v_bfe_u32 v3, v2, 16, 1
	v_add3_u32 v6, v2, v3, s49
                                        ; implicit-def: $vgpr2
; %bb.396:                              ;   in Loop: Header=BB379_10 Depth=1
	s_andn2_saveexec_b64 s[46:47], vcc
; %bb.397:                              ;   in Loop: Header=BB379_10 Depth=1
	v_or_b32_e32 v3, 0x10000, v2
	v_cmp_eq_u32_sdwa vcc, v2, v9 src0_sel:WORD_0 src1_sel:DWORD
	s_nop 1
	v_cndmask_b32_e32 v6, v3, v2, vcc
; %bb.398:                              ;   in Loop: Header=BB379_10 Depth=1
	s_or_b64 exec, exec, s[46:47]
	v_bfe_u32 v2, v1, 8, 8
	v_cvt_f32_fp8_sdwa v2, v2 src0_sel:BYTE_0
                                        ; implicit-def: $vgpr18
	s_nop 0
	v_mul_f32_e32 v2, v0, v2
	v_and_b32_e32 v3, 0x7f800000, v2
	v_cmp_ne_u32_e32 vcc, s23, v3
	s_and_saveexec_b64 s[46:47], vcc
	s_xor_b64 vcc, exec, s[46:47]
; %bb.399:                              ;   in Loop: Header=BB379_10 Depth=1
	v_bfe_u32 v3, v2, 16, 1
	v_add3_u32 v18, v2, v3, s49
                                        ; implicit-def: $vgpr2
; %bb.400:                              ;   in Loop: Header=BB379_10 Depth=1
	s_andn2_saveexec_b64 s[46:47], vcc
; %bb.401:                              ;   in Loop: Header=BB379_10 Depth=1
	v_or_b32_e32 v3, 0x10000, v2
	v_cmp_eq_u32_sdwa vcc, v2, v9 src0_sel:WORD_0 src1_sel:DWORD
	s_nop 1
	v_cndmask_b32_e32 v18, v3, v2, vcc
; %bb.402:                              ;   in Loop: Header=BB379_10 Depth=1
	s_or_b64 exec, exec, s[46:47]
	v_bfe_u32 v2, v1, 16, 8
	v_cvt_f32_fp8_sdwa v2, v2 src0_sel:BYTE_0
                                        ; implicit-def: $vgpr19
	s_nop 0
	v_mul_f32_e32 v2, v0, v2
	v_and_b32_e32 v3, 0x7f800000, v2
	v_cmp_ne_u32_e32 vcc, s23, v3
	s_and_saveexec_b64 s[46:47], vcc
	s_xor_b64 vcc, exec, s[46:47]
; %bb.403:                              ;   in Loop: Header=BB379_10 Depth=1
	v_bfe_u32 v3, v2, 16, 1
	v_add3_u32 v19, v2, v3, s49
                                        ; implicit-def: $vgpr2
; %bb.404:                              ;   in Loop: Header=BB379_10 Depth=1
	s_andn2_saveexec_b64 s[46:47], vcc
; %bb.405:                              ;   in Loop: Header=BB379_10 Depth=1
	v_or_b32_e32 v3, 0x10000, v2
	v_cmp_eq_u32_sdwa vcc, v2, v9 src0_sel:WORD_0 src1_sel:DWORD
	s_nop 1
	v_cndmask_b32_e32 v19, v3, v2, vcc
; %bb.406:                              ;   in Loop: Header=BB379_10 Depth=1
	s_or_b64 exec, exec, s[46:47]
	v_lshrrev_b32_e32 v1, 24, v1
	v_cvt_f32_fp8_sdwa v1, v1 src0_sel:BYTE_0
                                        ; implicit-def: $vgpr42
	s_nop 0
	v_mul_f32_e32 v1, v0, v1
	v_and_b32_e32 v2, 0x7f800000, v1
	v_cmp_ne_u32_e32 vcc, s23, v2
	s_and_saveexec_b64 s[46:47], vcc
	s_xor_b64 vcc, exec, s[46:47]
; %bb.407:                              ;   in Loop: Header=BB379_10 Depth=1
	v_bfe_u32 v2, v1, 16, 1
	v_add3_u32 v42, v1, v2, s49
                                        ; implicit-def: $vgpr1
; %bb.408:                              ;   in Loop: Header=BB379_10 Depth=1
	s_andn2_saveexec_b64 s[46:47], vcc
; %bb.409:                              ;   in Loop: Header=BB379_10 Depth=1
	v_or_b32_e32 v2, 0x10000, v1
	v_cmp_eq_u32_sdwa vcc, v1, v9 src0_sel:WORD_0 src1_sel:DWORD
	s_nop 1
	v_cndmask_b32_e32 v42, v2, v1, vcc
; %bb.410:                              ;   in Loop: Header=BB379_10 Depth=1
	s_or_b64 exec, exec, s[46:47]
	v_lshl_add_u64 v[2:3], v[28:29], 0, s[38:39]
	flat_load_dword v1, v[2:3] offset:8
                                        ; implicit-def: $vgpr25
	s_waitcnt vmcnt(0) lgkmcnt(0)
	v_and_b32_e32 v2, 0xff, v1
	v_cvt_f32_fp8_sdwa v2, v2 src0_sel:BYTE_0
	s_nop 0
	v_mul_f32_e32 v2, v0, v2
	v_and_b32_e32 v3, 0x7f800000, v2
	v_cmp_ne_u32_e32 vcc, s23, v3
	s_and_saveexec_b64 s[46:47], vcc
	s_xor_b64 vcc, exec, s[46:47]
; %bb.411:                              ;   in Loop: Header=BB379_10 Depth=1
	v_bfe_u32 v3, v2, 16, 1
	v_add3_u32 v25, v2, v3, s49
                                        ; implicit-def: $vgpr2
; %bb.412:                              ;   in Loop: Header=BB379_10 Depth=1
	s_andn2_saveexec_b64 s[46:47], vcc
; %bb.413:                              ;   in Loop: Header=BB379_10 Depth=1
	v_or_b32_e32 v3, 0x10000, v2
	v_cmp_eq_u32_sdwa vcc, v2, v9 src0_sel:WORD_0 src1_sel:DWORD
	s_nop 1
	v_cndmask_b32_e32 v25, v3, v2, vcc
; %bb.414:                              ;   in Loop: Header=BB379_10 Depth=1
	s_or_b64 exec, exec, s[46:47]
	v_bfe_u32 v2, v1, 8, 8
	v_cvt_f32_fp8_sdwa v2, v2 src0_sel:BYTE_0
                                        ; implicit-def: $vgpr24
	s_nop 0
	v_mul_f32_e32 v2, v0, v2
	v_and_b32_e32 v3, 0x7f800000, v2
	v_cmp_ne_u32_e32 vcc, s23, v3
	s_and_saveexec_b64 s[46:47], vcc
	s_xor_b64 vcc, exec, s[46:47]
; %bb.415:                              ;   in Loop: Header=BB379_10 Depth=1
	v_bfe_u32 v3, v2, 16, 1
	v_add3_u32 v24, v2, v3, s49
                                        ; implicit-def: $vgpr2
; %bb.416:                              ;   in Loop: Header=BB379_10 Depth=1
	s_andn2_saveexec_b64 s[46:47], vcc
; %bb.417:                              ;   in Loop: Header=BB379_10 Depth=1
	v_or_b32_e32 v3, 0x10000, v2
	v_cmp_eq_u32_sdwa vcc, v2, v9 src0_sel:WORD_0 src1_sel:DWORD
	s_nop 1
	v_cndmask_b32_e32 v24, v3, v2, vcc
; %bb.418:                              ;   in Loop: Header=BB379_10 Depth=1
	s_or_b64 exec, exec, s[46:47]
	v_bfe_u32 v2, v1, 16, 8
	v_cvt_f32_fp8_sdwa v2, v2 src0_sel:BYTE_0
                                        ; implicit-def: $vgpr26
	s_nop 0
	v_mul_f32_e32 v2, v0, v2
	v_and_b32_e32 v3, 0x7f800000, v2
	v_cmp_ne_u32_e32 vcc, s23, v3
	s_and_saveexec_b64 s[46:47], vcc
	s_xor_b64 vcc, exec, s[46:47]
; %bb.419:                              ;   in Loop: Header=BB379_10 Depth=1
	v_bfe_u32 v3, v2, 16, 1
	v_add3_u32 v26, v2, v3, s49
                                        ; implicit-def: $vgpr2
; %bb.420:                              ;   in Loop: Header=BB379_10 Depth=1
	s_andn2_saveexec_b64 s[46:47], vcc
; %bb.421:                              ;   in Loop: Header=BB379_10 Depth=1
	v_or_b32_e32 v3, 0x10000, v2
	v_cmp_eq_u32_sdwa vcc, v2, v9 src0_sel:WORD_0 src1_sel:DWORD
	s_nop 1
	v_cndmask_b32_e32 v26, v3, v2, vcc
; %bb.422:                              ;   in Loop: Header=BB379_10 Depth=1
	s_or_b64 exec, exec, s[46:47]
	v_lshrrev_b32_e32 v1, 24, v1
	v_cvt_f32_fp8_sdwa v1, v1 src0_sel:BYTE_0
                                        ; implicit-def: $vgpr11
	s_nop 0
	v_mul_f32_e32 v1, v0, v1
	v_and_b32_e32 v2, 0x7f800000, v1
	v_cmp_ne_u32_e32 vcc, s23, v2
	s_and_saveexec_b64 s[46:47], vcc
	s_xor_b64 vcc, exec, s[46:47]
; %bb.423:                              ;   in Loop: Header=BB379_10 Depth=1
	v_bfe_u32 v2, v1, 16, 1
	v_add3_u32 v11, v1, v2, s49
                                        ; implicit-def: $vgpr1
; %bb.424:                              ;   in Loop: Header=BB379_10 Depth=1
	s_andn2_saveexec_b64 s[46:47], vcc
; %bb.425:                              ;   in Loop: Header=BB379_10 Depth=1
	v_or_b32_e32 v2, 0x10000, v1
	v_cmp_eq_u32_sdwa vcc, v1, v9 src0_sel:WORD_0 src1_sel:DWORD
	s_nop 1
	v_cndmask_b32_e32 v11, v2, v1, vcc
; %bb.426:                              ;   in Loop: Header=BB379_10 Depth=1
	s_or_b64 exec, exec, s[46:47]
	v_add_co_u32_e32 v2, vcc, 0x1000, v28
                                        ; implicit-def: $vgpr10
	s_nop 1
	v_addc_co_u32_e32 v3, vcc, 0, v29, vcc
	flat_load_dword v2, v[2:3] offset:2560
	s_waitcnt vmcnt(0) lgkmcnt(0)
	v_and_b32_e32 v1, 0xff, v2
	v_cvt_f32_fp8_sdwa v1, v1 src0_sel:BYTE_0
	s_nop 0
	v_mul_f32_e32 v1, v0, v1
	v_and_b32_e32 v3, 0x7f800000, v1
	v_cmp_ne_u32_e32 vcc, s23, v3
	s_and_saveexec_b64 s[46:47], vcc
	s_xor_b64 vcc, exec, s[46:47]
; %bb.427:                              ;   in Loop: Header=BB379_10 Depth=1
	v_bfe_u32 v3, v1, 16, 1
	v_add3_u32 v10, v1, v3, s49
                                        ; implicit-def: $vgpr1
; %bb.428:                              ;   in Loop: Header=BB379_10 Depth=1
	s_andn2_saveexec_b64 s[46:47], vcc
; %bb.429:                              ;   in Loop: Header=BB379_10 Depth=1
	v_or_b32_e32 v3, 0x10000, v1
	v_cmp_eq_u32_sdwa vcc, v1, v9 src0_sel:WORD_0 src1_sel:DWORD
	s_nop 1
	v_cndmask_b32_e32 v10, v3, v1, vcc
; %bb.430:                              ;   in Loop: Header=BB379_10 Depth=1
	s_or_b64 exec, exec, s[46:47]
	v_bfe_u32 v1, v2, 8, 8
	v_cvt_f32_fp8_sdwa v1, v1 src0_sel:BYTE_0
	s_nop 0
	v_mul_f32_e32 v3, v0, v1
	v_and_b32_e32 v1, 0x7f800000, v3
	v_cmp_ne_u32_e32 vcc, s23, v1
                                        ; implicit-def: $vgpr1
	s_and_saveexec_b64 s[46:47], vcc
	s_xor_b64 vcc, exec, s[46:47]
; %bb.431:                              ;   in Loop: Header=BB379_10 Depth=1
	v_bfe_u32 v1, v3, 16, 1
	v_add3_u32 v1, v3, v1, s49
                                        ; implicit-def: $vgpr3
; %bb.432:                              ;   in Loop: Header=BB379_10 Depth=1
	s_andn2_saveexec_b64 s[46:47], vcc
; %bb.433:                              ;   in Loop: Header=BB379_10 Depth=1
	v_or_b32_e32 v1, 0x10000, v3
	v_cmp_eq_u32_sdwa vcc, v3, v9 src0_sel:WORD_0 src1_sel:DWORD
	s_nop 1
	v_cndmask_b32_e32 v1, v1, v3, vcc
; %bb.434:                              ;   in Loop: Header=BB379_10 Depth=1
	s_or_b64 exec, exec, s[46:47]
	v_bfe_u32 v3, v2, 16, 8
	v_cvt_f32_fp8_sdwa v3, v3 src0_sel:BYTE_0
	s_nop 0
	v_mul_f32_e32 v14, v0, v3
	v_and_b32_e32 v3, 0x7f800000, v14
	v_cmp_ne_u32_e32 vcc, s23, v3
                                        ; implicit-def: $vgpr3
	s_and_saveexec_b64 s[46:47], vcc
	s_xor_b64 vcc, exec, s[46:47]
; %bb.435:                              ;   in Loop: Header=BB379_10 Depth=1
	v_bfe_u32 v3, v14, 16, 1
	v_add3_u32 v3, v14, v3, s49
                                        ; implicit-def: $vgpr14
; %bb.436:                              ;   in Loop: Header=BB379_10 Depth=1
	s_andn2_saveexec_b64 s[46:47], vcc
; %bb.437:                              ;   in Loop: Header=BB379_10 Depth=1
	v_or_b32_e32 v3, 0x10000, v14
	v_cmp_eq_u32_sdwa vcc, v14, v9 src0_sel:WORD_0 src1_sel:DWORD
	s_nop 1
	v_cndmask_b32_e32 v3, v3, v14, vcc
; %bb.438:                              ;   in Loop: Header=BB379_10 Depth=1
	s_or_b64 exec, exec, s[46:47]
	v_lshrrev_b32_e32 v2, 24, v2
	v_cvt_f32_fp8_sdwa v2, v2 src0_sel:BYTE_0
                                        ; implicit-def: $vgpr15
	s_nop 0
	v_mul_f32_e32 v2, v0, v2
	v_and_b32_e32 v14, 0x7f800000, v2
	v_cmp_ne_u32_e32 vcc, s23, v14
	s_and_saveexec_b64 s[46:47], vcc
	s_xor_b64 vcc, exec, s[46:47]
; %bb.439:                              ;   in Loop: Header=BB379_10 Depth=1
	v_bfe_u32 v14, v2, 16, 1
	v_add3_u32 v15, v2, v14, s49
                                        ; implicit-def: $vgpr2
; %bb.440:                              ;   in Loop: Header=BB379_10 Depth=1
	s_andn2_saveexec_b64 s[46:47], vcc
; %bb.441:                              ;   in Loop: Header=BB379_10 Depth=1
	v_or_b32_e32 v14, 0x10000, v2
	v_cmp_eq_u32_sdwa vcc, v2, v9 src0_sel:WORD_0 src1_sel:DWORD
	s_nop 1
	v_cndmask_b32_e32 v15, v14, v2, vcc
; %bb.442:                              ;   in Loop: Header=BB379_10 Depth=1
	s_or_b64 exec, exec, s[46:47]
	v_lshl_add_u64 v[16:17], v[28:29], 0, s[40:41]
	flat_load_dword v16, v[16:17] offset:8
	s_waitcnt vmcnt(0) lgkmcnt(0)
	v_and_b32_e32 v2, 0xff, v16
	v_cvt_f32_fp8_sdwa v2, v2 src0_sel:BYTE_0
	s_nop 0
	v_mul_f32_e32 v2, v0, v2
	v_and_b32_e32 v14, 0x7f800000, v2
	v_cmp_ne_u32_e32 vcc, s23, v14
                                        ; implicit-def: $vgpr14
	s_and_saveexec_b64 s[46:47], vcc
	s_xor_b64 vcc, exec, s[46:47]
; %bb.443:                              ;   in Loop: Header=BB379_10 Depth=1
	v_bfe_u32 v14, v2, 16, 1
	v_add3_u32 v14, v2, v14, s49
                                        ; implicit-def: $vgpr2
; %bb.444:                              ;   in Loop: Header=BB379_10 Depth=1
	s_andn2_saveexec_b64 s[46:47], vcc
; %bb.445:                              ;   in Loop: Header=BB379_10 Depth=1
	v_or_b32_e32 v14, 0x10000, v2
	v_cmp_eq_u32_sdwa vcc, v2, v9 src0_sel:WORD_0 src1_sel:DWORD
	s_nop 1
	v_cndmask_b32_e32 v14, v14, v2, vcc
; %bb.446:                              ;   in Loop: Header=BB379_10 Depth=1
	s_or_b64 exec, exec, s[46:47]
	v_bfe_u32 v2, v16, 8, 8
	v_cvt_f32_fp8_sdwa v2, v2 src0_sel:BYTE_0
	s_nop 0
	v_mul_f32_e32 v17, v0, v2
	v_and_b32_e32 v2, 0x7f800000, v17
	v_cmp_ne_u32_e32 vcc, s23, v2
                                        ; implicit-def: $vgpr2
	s_and_saveexec_b64 s[46:47], vcc
	s_xor_b64 vcc, exec, s[46:47]
; %bb.447:                              ;   in Loop: Header=BB379_10 Depth=1
	v_bfe_u32 v2, v17, 16, 1
	v_add3_u32 v2, v17, v2, s49
                                        ; implicit-def: $vgpr17
; %bb.448:                              ;   in Loop: Header=BB379_10 Depth=1
	s_andn2_saveexec_b64 s[46:47], vcc
; %bb.449:                              ;   in Loop: Header=BB379_10 Depth=1
	v_or_b32_e32 v2, 0x10000, v17
	v_cmp_eq_u32_sdwa vcc, v17, v9 src0_sel:WORD_0 src1_sel:DWORD
	s_nop 1
	v_cndmask_b32_e32 v2, v2, v17, vcc
; %bb.450:                              ;   in Loop: Header=BB379_10 Depth=1
	s_or_b64 exec, exec, s[46:47]
	v_bfe_u32 v17, v16, 16, 8
	v_cvt_f32_fp8_sdwa v17, v17 src0_sel:BYTE_0
	s_nop 0
	v_mul_f32_e32 v17, v0, v17
	v_and_b32_e32 v23, 0x7f800000, v17
	v_cmp_ne_u32_e32 vcc, s23, v23
                                        ; implicit-def: $vgpr23
	s_and_saveexec_b64 s[46:47], vcc
	s_xor_b64 vcc, exec, s[46:47]
; %bb.451:                              ;   in Loop: Header=BB379_10 Depth=1
	v_bfe_u32 v23, v17, 16, 1
	v_add3_u32 v23, v17, v23, s49
                                        ; implicit-def: $vgpr17
; %bb.452:                              ;   in Loop: Header=BB379_10 Depth=1
	s_andn2_saveexec_b64 s[46:47], vcc
; %bb.453:                              ;   in Loop: Header=BB379_10 Depth=1
	v_or_b32_e32 v23, 0x10000, v17
	v_cmp_eq_u32_sdwa vcc, v17, v9 src0_sel:WORD_0 src1_sel:DWORD
	s_nop 1
	v_cndmask_b32_e32 v23, v23, v17, vcc
; %bb.454:                              ;   in Loop: Header=BB379_10 Depth=1
	s_or_b64 exec, exec, s[46:47]
	v_lshrrev_b32_e32 v16, 24, v16
	v_cvt_f32_fp8_sdwa v16, v16 src0_sel:BYTE_0
                                        ; implicit-def: $vgpr30
	s_nop 0
	v_mul_f32_e32 v16, v0, v16
	v_and_b32_e32 v17, 0x7f800000, v16
	v_cmp_ne_u32_e32 vcc, s23, v17
	s_and_saveexec_b64 s[46:47], vcc
	s_xor_b64 vcc, exec, s[46:47]
; %bb.455:                              ;   in Loop: Header=BB379_10 Depth=1
	v_bfe_u32 v17, v16, 16, 1
	v_add3_u32 v30, v16, v17, s49
                                        ; implicit-def: $vgpr16
; %bb.456:                              ;   in Loop: Header=BB379_10 Depth=1
	s_andn2_saveexec_b64 s[46:47], vcc
; %bb.457:                              ;   in Loop: Header=BB379_10 Depth=1
	v_or_b32_e32 v17, 0x10000, v16
	v_cmp_eq_u32_sdwa vcc, v16, v9 src0_sel:WORD_0 src1_sel:DWORD
	s_nop 1
	v_cndmask_b32_e32 v30, v17, v16, vcc
; %bb.458:                              ;   in Loop: Header=BB379_10 Depth=1
	s_or_b64 exec, exec, s[46:47]
	v_add_co_u32_e32 v16, vcc, 0x1000, v28
	s_nop 1
	v_addc_co_u32_e32 v17, vcc, 0, v29, vcc
	flat_load_dword v16, v[16:17] offset:3072
	s_waitcnt vmcnt(0) lgkmcnt(0)
	v_and_b32_e32 v17, 0xff, v16
	v_cvt_f32_fp8_sdwa v17, v17 src0_sel:BYTE_0
	s_nop 0
	v_mul_f32_e32 v17, v0, v17
	v_and_b32_e32 v31, 0x7f800000, v17
	v_cmp_ne_u32_e32 vcc, s23, v31
                                        ; implicit-def: $vgpr31
	s_and_saveexec_b64 s[46:47], vcc
	s_xor_b64 vcc, exec, s[46:47]
; %bb.459:                              ;   in Loop: Header=BB379_10 Depth=1
	v_bfe_u32 v31, v17, 16, 1
	v_add3_u32 v31, v17, v31, s49
                                        ; implicit-def: $vgpr17
; %bb.460:                              ;   in Loop: Header=BB379_10 Depth=1
	s_andn2_saveexec_b64 s[46:47], vcc
; %bb.461:                              ;   in Loop: Header=BB379_10 Depth=1
	v_or_b32_e32 v31, 0x10000, v17
	v_cmp_eq_u32_sdwa vcc, v17, v9 src0_sel:WORD_0 src1_sel:DWORD
	s_nop 1
	v_cndmask_b32_e32 v31, v31, v17, vcc
; %bb.462:                              ;   in Loop: Header=BB379_10 Depth=1
	s_or_b64 exec, exec, s[46:47]
	v_bfe_u32 v17, v16, 8, 8
	v_cvt_f32_fp8_sdwa v17, v17 src0_sel:BYTE_0
	s_nop 0
	v_mul_f32_e32 v17, v0, v17
	v_and_b32_e32 v32, 0x7f800000, v17
	v_cmp_ne_u32_e32 vcc, s23, v32
                                        ; implicit-def: $vgpr32
	s_and_saveexec_b64 s[46:47], vcc
	s_xor_b64 vcc, exec, s[46:47]
; %bb.463:                              ;   in Loop: Header=BB379_10 Depth=1
	v_bfe_u32 v32, v17, 16, 1
	v_add3_u32 v32, v17, v32, s49
                                        ; implicit-def: $vgpr17
; %bb.464:                              ;   in Loop: Header=BB379_10 Depth=1
	s_andn2_saveexec_b64 s[46:47], vcc
; %bb.465:                              ;   in Loop: Header=BB379_10 Depth=1
	v_or_b32_e32 v32, 0x10000, v17
	v_cmp_eq_u32_sdwa vcc, v17, v9 src0_sel:WORD_0 src1_sel:DWORD
	s_nop 1
	v_cndmask_b32_e32 v32, v32, v17, vcc
; %bb.466:                              ;   in Loop: Header=BB379_10 Depth=1
	s_or_b64 exec, exec, s[46:47]
	v_bfe_u32 v17, v16, 16, 8
	v_cvt_f32_fp8_sdwa v17, v17 src0_sel:BYTE_0
	s_nop 0
	v_mul_f32_e32 v17, v0, v17
	v_and_b32_e32 v33, 0x7f800000, v17
	v_cmp_ne_u32_e32 vcc, s23, v33
                                        ; implicit-def: $vgpr33
	s_and_saveexec_b64 s[46:47], vcc
	s_xor_b64 vcc, exec, s[46:47]
; %bb.467:                              ;   in Loop: Header=BB379_10 Depth=1
	v_bfe_u32 v33, v17, 16, 1
	v_add3_u32 v33, v17, v33, s49
                                        ; implicit-def: $vgpr17
; %bb.468:                              ;   in Loop: Header=BB379_10 Depth=1
	s_andn2_saveexec_b64 s[46:47], vcc
; %bb.469:                              ;   in Loop: Header=BB379_10 Depth=1
	v_or_b32_e32 v33, 0x10000, v17
	v_cmp_eq_u32_sdwa vcc, v17, v9 src0_sel:WORD_0 src1_sel:DWORD
	s_nop 1
	v_cndmask_b32_e32 v33, v33, v17, vcc
; %bb.470:                              ;   in Loop: Header=BB379_10 Depth=1
	s_or_b64 exec, exec, s[46:47]
	v_lshrrev_b32_e32 v16, 24, v16
	v_cvt_f32_fp8_sdwa v16, v16 src0_sel:BYTE_0
                                        ; implicit-def: $vgpr34
	s_nop 0
	v_mul_f32_e32 v16, v0, v16
	v_and_b32_e32 v17, 0x7f800000, v16
	v_cmp_ne_u32_e32 vcc, s23, v17
	s_and_saveexec_b64 s[46:47], vcc
	s_xor_b64 vcc, exec, s[46:47]
; %bb.471:                              ;   in Loop: Header=BB379_10 Depth=1
	v_bfe_u32 v17, v16, 16, 1
	v_add3_u32 v34, v16, v17, s49
                                        ; implicit-def: $vgpr16
; %bb.472:                              ;   in Loop: Header=BB379_10 Depth=1
	s_andn2_saveexec_b64 s[46:47], vcc
; %bb.473:                              ;   in Loop: Header=BB379_10 Depth=1
	v_or_b32_e32 v17, 0x10000, v16
	v_cmp_eq_u32_sdwa vcc, v16, v9 src0_sel:WORD_0 src1_sel:DWORD
	s_nop 1
	v_cndmask_b32_e32 v34, v17, v16, vcc
; %bb.474:                              ;   in Loop: Header=BB379_10 Depth=1
	s_or_b64 exec, exec, s[46:47]
	v_lshl_add_u64 v[16:17], v[28:29], 0, s[42:43]
	flat_load_dword v16, v[16:17] offset:8
	s_waitcnt vmcnt(0) lgkmcnt(0)
	v_and_b32_e32 v17, 0xff, v16
	v_cvt_f32_fp8_sdwa v17, v17 src0_sel:BYTE_0
	s_nop 0
	v_mul_f32_e32 v17, v0, v17
	v_and_b32_e32 v35, 0x7f800000, v17
	v_cmp_ne_u32_e32 vcc, s23, v35
                                        ; implicit-def: $vgpr35
	s_and_saveexec_b64 s[46:47], vcc
	s_xor_b64 vcc, exec, s[46:47]
; %bb.475:                              ;   in Loop: Header=BB379_10 Depth=1
	v_bfe_u32 v35, v17, 16, 1
	v_add3_u32 v35, v17, v35, s49
                                        ; implicit-def: $vgpr17
; %bb.476:                              ;   in Loop: Header=BB379_10 Depth=1
	s_andn2_saveexec_b64 s[46:47], vcc
; %bb.477:                              ;   in Loop: Header=BB379_10 Depth=1
	v_or_b32_e32 v35, 0x10000, v17
	v_cmp_eq_u32_sdwa vcc, v17, v9 src0_sel:WORD_0 src1_sel:DWORD
	s_nop 1
	v_cndmask_b32_e32 v35, v35, v17, vcc
; %bb.478:                              ;   in Loop: Header=BB379_10 Depth=1
	s_or_b64 exec, exec, s[46:47]
	v_bfe_u32 v17, v16, 8, 8
	v_cvt_f32_fp8_sdwa v17, v17 src0_sel:BYTE_0
	s_nop 0
	v_mul_f32_e32 v17, v0, v17
	v_and_b32_e32 v38, 0x7f800000, v17
	v_cmp_ne_u32_e32 vcc, s23, v38
                                        ; implicit-def: $vgpr38
	s_and_saveexec_b64 s[46:47], vcc
	s_xor_b64 vcc, exec, s[46:47]
; %bb.479:                              ;   in Loop: Header=BB379_10 Depth=1
	v_bfe_u32 v38, v17, 16, 1
	v_add3_u32 v38, v17, v38, s49
                                        ; implicit-def: $vgpr17
; %bb.480:                              ;   in Loop: Header=BB379_10 Depth=1
	s_andn2_saveexec_b64 s[46:47], vcc
; %bb.481:                              ;   in Loop: Header=BB379_10 Depth=1
	v_or_b32_e32 v38, 0x10000, v17
	v_cmp_eq_u32_sdwa vcc, v17, v9 src0_sel:WORD_0 src1_sel:DWORD
	s_nop 1
	v_cndmask_b32_e32 v38, v38, v17, vcc
; %bb.482:                              ;   in Loop: Header=BB379_10 Depth=1
	s_or_b64 exec, exec, s[46:47]
	v_bfe_u32 v17, v16, 16, 8
	v_cvt_f32_fp8_sdwa v17, v17 src0_sel:BYTE_0
	s_nop 0
	v_mul_f32_e32 v17, v0, v17
	v_and_b32_e32 v39, 0x7f800000, v17
	v_cmp_ne_u32_e32 vcc, s23, v39
                                        ; implicit-def: $vgpr39
	s_and_saveexec_b64 s[46:47], vcc
	s_xor_b64 vcc, exec, s[46:47]
; %bb.483:                              ;   in Loop: Header=BB379_10 Depth=1
	v_bfe_u32 v39, v17, 16, 1
	v_add3_u32 v39, v17, v39, s49
                                        ; implicit-def: $vgpr17
; %bb.484:                              ;   in Loop: Header=BB379_10 Depth=1
	s_andn2_saveexec_b64 s[46:47], vcc
; %bb.485:                              ;   in Loop: Header=BB379_10 Depth=1
	v_or_b32_e32 v39, 0x10000, v17
	v_cmp_eq_u32_sdwa vcc, v17, v9 src0_sel:WORD_0 src1_sel:DWORD
	s_nop 1
	v_cndmask_b32_e32 v39, v39, v17, vcc
; %bb.486:                              ;   in Loop: Header=BB379_10 Depth=1
	s_or_b64 exec, exec, s[46:47]
	v_lshrrev_b32_e32 v16, 24, v16
	v_cvt_f32_fp8_sdwa v16, v16 src0_sel:BYTE_0
                                        ; implicit-def: $vgpr48
	s_nop 0
	v_mul_f32_e32 v16, v0, v16
	v_and_b32_e32 v17, 0x7f800000, v16
	v_cmp_ne_u32_e32 vcc, s23, v17
	s_and_saveexec_b64 s[46:47], vcc
	s_xor_b64 vcc, exec, s[46:47]
; %bb.487:                              ;   in Loop: Header=BB379_10 Depth=1
	v_bfe_u32 v17, v16, 16, 1
	v_add3_u32 v48, v16, v17, s49
                                        ; implicit-def: $vgpr16
; %bb.488:                              ;   in Loop: Header=BB379_10 Depth=1
	s_andn2_saveexec_b64 s[46:47], vcc
; %bb.489:                              ;   in Loop: Header=BB379_10 Depth=1
	v_or_b32_e32 v17, 0x10000, v16
	v_cmp_eq_u32_sdwa vcc, v16, v9 src0_sel:WORD_0 src1_sel:DWORD
	s_nop 1
	v_cndmask_b32_e32 v48, v17, v16, vcc
; %bb.490:                              ;   in Loop: Header=BB379_10 Depth=1
	s_or_b64 exec, exec, s[46:47]
	v_add_co_u32_e32 v16, vcc, 0x1000, v28
	s_nop 1
	v_addc_co_u32_e32 v17, vcc, 0, v29, vcc
	flat_load_dword v16, v[16:17] offset:3584
	s_waitcnt vmcnt(0) lgkmcnt(0)
	v_and_b32_e32 v17, 0xff, v16
	v_cvt_f32_fp8_sdwa v17, v17 src0_sel:BYTE_0
	s_nop 0
	v_mul_f32_e32 v17, v0, v17
	v_and_b32_e32 v49, 0x7f800000, v17
	v_cmp_ne_u32_e32 vcc, s23, v49
                                        ; implicit-def: $vgpr49
	s_and_saveexec_b64 s[46:47], vcc
	s_xor_b64 vcc, exec, s[46:47]
; %bb.491:                              ;   in Loop: Header=BB379_10 Depth=1
	v_bfe_u32 v49, v17, 16, 1
	v_add3_u32 v49, v17, v49, s49
                                        ; implicit-def: $vgpr17
; %bb.492:                              ;   in Loop: Header=BB379_10 Depth=1
	s_andn2_saveexec_b64 s[46:47], vcc
; %bb.493:                              ;   in Loop: Header=BB379_10 Depth=1
	v_or_b32_e32 v49, 0x10000, v17
	v_cmp_eq_u32_sdwa vcc, v17, v9 src0_sel:WORD_0 src1_sel:DWORD
	s_nop 1
	v_cndmask_b32_e32 v49, v49, v17, vcc
; %bb.494:                              ;   in Loop: Header=BB379_10 Depth=1
	s_or_b64 exec, exec, s[46:47]
	v_bfe_u32 v17, v16, 8, 8
	v_cvt_f32_fp8_sdwa v17, v17 src0_sel:BYTE_0
	s_nop 0
	v_mul_f32_e32 v17, v0, v17
	v_and_b32_e32 v50, 0x7f800000, v17
	v_cmp_ne_u32_e32 vcc, s23, v50
                                        ; implicit-def: $vgpr50
	s_and_saveexec_b64 s[46:47], vcc
	s_xor_b64 vcc, exec, s[46:47]
; %bb.495:                              ;   in Loop: Header=BB379_10 Depth=1
	v_bfe_u32 v50, v17, 16, 1
	v_add3_u32 v50, v17, v50, s49
                                        ; implicit-def: $vgpr17
; %bb.496:                              ;   in Loop: Header=BB379_10 Depth=1
	s_andn2_saveexec_b64 s[46:47], vcc
; %bb.497:                              ;   in Loop: Header=BB379_10 Depth=1
	v_or_b32_e32 v50, 0x10000, v17
	v_cmp_eq_u32_sdwa vcc, v17, v9 src0_sel:WORD_0 src1_sel:DWORD
	s_nop 1
	v_cndmask_b32_e32 v50, v50, v17, vcc
; %bb.498:                              ;   in Loop: Header=BB379_10 Depth=1
	s_or_b64 exec, exec, s[46:47]
	v_bfe_u32 v17, v16, 16, 8
	v_cvt_f32_fp8_sdwa v17, v17 src0_sel:BYTE_0
	s_nop 0
	v_mul_f32_e32 v17, v0, v17
	v_and_b32_e32 v51, 0x7f800000, v17
	v_cmp_ne_u32_e32 vcc, s23, v51
                                        ; implicit-def: $vgpr51
	s_and_saveexec_b64 s[46:47], vcc
	s_xor_b64 vcc, exec, s[46:47]
; %bb.499:                              ;   in Loop: Header=BB379_10 Depth=1
	v_bfe_u32 v51, v17, 16, 1
	v_add3_u32 v51, v17, v51, s49
                                        ; implicit-def: $vgpr17
; %bb.500:                              ;   in Loop: Header=BB379_10 Depth=1
	s_andn2_saveexec_b64 s[46:47], vcc
; %bb.501:                              ;   in Loop: Header=BB379_10 Depth=1
	v_or_b32_e32 v51, 0x10000, v17
	v_cmp_eq_u32_sdwa vcc, v17, v9 src0_sel:WORD_0 src1_sel:DWORD
	s_nop 1
	v_cndmask_b32_e32 v51, v51, v17, vcc
; %bb.502:                              ;   in Loop: Header=BB379_10 Depth=1
	s_or_b64 exec, exec, s[46:47]
	v_lshrrev_b32_e32 v16, 24, v16
	v_cvt_f32_fp8_sdwa v16, v16 src0_sel:BYTE_0
                                        ; implicit-def: $vgpr52
	s_nop 0
	v_mul_f32_e32 v16, v0, v16
	v_and_b32_e32 v17, 0x7f800000, v16
	v_cmp_ne_u32_e32 vcc, s23, v17
	s_and_saveexec_b64 s[46:47], vcc
	s_xor_b64 vcc, exec, s[46:47]
; %bb.503:                              ;   in Loop: Header=BB379_10 Depth=1
	v_bfe_u32 v17, v16, 16, 1
	v_add3_u32 v52, v16, v17, s49
                                        ; implicit-def: $vgpr16
; %bb.504:                              ;   in Loop: Header=BB379_10 Depth=1
	s_andn2_saveexec_b64 s[46:47], vcc
; %bb.505:                              ;   in Loop: Header=BB379_10 Depth=1
	v_or_b32_e32 v17, 0x10000, v16
	v_cmp_eq_u32_sdwa vcc, v16, v9 src0_sel:WORD_0 src1_sel:DWORD
	s_nop 1
	v_cndmask_b32_e32 v52, v17, v16, vcc
; %bb.506:                              ;   in Loop: Header=BB379_10 Depth=1
	s_or_b64 exec, exec, s[46:47]
	v_lshl_add_u64 v[16:17], v[28:29], 0, s[44:45]
	flat_load_dword v16, v[16:17] offset:8
	s_waitcnt vmcnt(0) lgkmcnt(0)
	v_and_b32_e32 v17, 0xff, v16
	v_cvt_f32_fp8_sdwa v17, v17 src0_sel:BYTE_0
	s_nop 0
	v_mul_f32_e32 v17, v0, v17
	v_and_b32_e32 v28, 0x7f800000, v17
	v_cmp_ne_u32_e32 vcc, s23, v28
                                        ; implicit-def: $vgpr28
	s_and_saveexec_b64 s[46:47], vcc
	s_xor_b64 vcc, exec, s[46:47]
; %bb.507:                              ;   in Loop: Header=BB379_10 Depth=1
	v_bfe_u32 v28, v17, 16, 1
	v_add3_u32 v28, v17, v28, s49
                                        ; implicit-def: $vgpr17
; %bb.508:                              ;   in Loop: Header=BB379_10 Depth=1
	s_andn2_saveexec_b64 s[46:47], vcc
; %bb.509:                              ;   in Loop: Header=BB379_10 Depth=1
	v_or_b32_e32 v28, 0x10000, v17
	v_cmp_eq_u32_sdwa vcc, v17, v9 src0_sel:WORD_0 src1_sel:DWORD
	s_nop 1
	v_cndmask_b32_e32 v28, v28, v17, vcc
; %bb.510:                              ;   in Loop: Header=BB379_10 Depth=1
	s_or_b64 exec, exec, s[46:47]
	v_bfe_u32 v17, v16, 8, 8
	v_cvt_f32_fp8_sdwa v17, v17 src0_sel:BYTE_0
	s_nop 0
	v_mul_f32_e32 v17, v0, v17
	v_and_b32_e32 v29, 0x7f800000, v17
	v_cmp_ne_u32_e32 vcc, s23, v29
                                        ; implicit-def: $vgpr29
	s_and_saveexec_b64 s[46:47], vcc
	s_xor_b64 vcc, exec, s[46:47]
; %bb.511:                              ;   in Loop: Header=BB379_10 Depth=1
	v_bfe_u32 v29, v17, 16, 1
	v_add3_u32 v29, v17, v29, s49
                                        ; implicit-def: $vgpr17
; %bb.512:                              ;   in Loop: Header=BB379_10 Depth=1
	s_andn2_saveexec_b64 s[46:47], vcc
; %bb.513:                              ;   in Loop: Header=BB379_10 Depth=1
	v_or_b32_e32 v29, 0x10000, v17
	v_cmp_eq_u32_sdwa vcc, v17, v9 src0_sel:WORD_0 src1_sel:DWORD
	s_nop 1
	v_cndmask_b32_e32 v29, v29, v17, vcc
; %bb.514:                              ;   in Loop: Header=BB379_10 Depth=1
	s_or_b64 exec, exec, s[46:47]
	v_bfe_u32 v17, v16, 16, 8
	v_cvt_f32_fp8_sdwa v17, v17 src0_sel:BYTE_0
	s_nop 0
	v_mul_f32_e32 v17, v0, v17
	v_and_b32_e32 v53, 0x7f800000, v17
	v_cmp_ne_u32_e32 vcc, s23, v53
                                        ; implicit-def: $vgpr53
	s_and_saveexec_b64 s[46:47], vcc
	s_xor_b64 vcc, exec, s[46:47]
; %bb.515:                              ;   in Loop: Header=BB379_10 Depth=1
	v_bfe_u32 v53, v17, 16, 1
	v_add3_u32 v53, v17, v53, s49
                                        ; implicit-def: $vgpr17
; %bb.516:                              ;   in Loop: Header=BB379_10 Depth=1
	s_andn2_saveexec_b64 s[46:47], vcc
; %bb.517:                              ;   in Loop: Header=BB379_10 Depth=1
	v_or_b32_e32 v53, 0x10000, v17
	v_cmp_eq_u32_sdwa vcc, v17, v9 src0_sel:WORD_0 src1_sel:DWORD
	s_nop 1
	v_cndmask_b32_e32 v53, v53, v17, vcc
; %bb.518:                              ;   in Loop: Header=BB379_10 Depth=1
	s_or_b64 exec, exec, s[46:47]
	v_lshrrev_b32_e32 v16, 24, v16
	v_cvt_f32_fp8_sdwa v16, v16 src0_sel:BYTE_0
	s_nop 0
	v_mul_f32_e32 v16, v0, v16
	v_and_b32_e32 v0, 0x7f800000, v16
	v_cmp_ne_u32_e32 vcc, s23, v0
                                        ; implicit-def: $vgpr0
	s_and_saveexec_b64 s[46:47], vcc
	s_xor_b64 vcc, exec, s[46:47]
; %bb.519:                              ;   in Loop: Header=BB379_10 Depth=1
	v_bfe_u32 v0, v16, 16, 1
	v_add3_u32 v0, v16, v0, s49
                                        ; implicit-def: $vgpr16
; %bb.520:                              ;   in Loop: Header=BB379_10 Depth=1
	s_andn2_saveexec_b64 s[46:47], vcc
; %bb.521:                              ;   in Loop: Header=BB379_10 Depth=1
	v_or_b32_e32 v0, 0x10000, v16
	v_cmp_eq_u32_sdwa vcc, v16, v9 src0_sel:WORD_0 src1_sel:DWORD
	s_nop 1
	v_cndmask_b32_e32 v0, v0, v16, vcc
; %bb.522:                              ;   in Loop: Header=BB379_10 Depth=1
	s_or_b64 exec, exec, s[46:47]
	v_and_b32_e32 v17, 0xffff0000, v13
	scratch_load_dword v13, off, s32 offset:284 ; 4-byte Folded Reload
	v_and_b32_e32 v16, 0xffff0000, v54
	v_and_b32_e32 v5, 0xffff0000, v5
	;; [unrolled: 1-line block ×5, first 2 shown]
	s_waitcnt vmcnt(0)
	v_mul_f32_e32 v54, v13, v16
	scratch_load_dword v13, off, s32 offset:268 ; 4-byte Folded Reload
	v_and_b32_e32 v16, 0xffff0000, v55
	s_waitcnt vmcnt(0)
	v_fmac_f32_e32 v54, v13, v17
	scratch_load_dword v13, off, s32 offset:216 ; 4-byte Folded Reload
	s_waitcnt vmcnt(0)
	v_and_b32_e32 v17, 0xffff0000, v13
	scratch_load_dword v13, off, s32 offset:288 ; 4-byte Folded Reload
	s_waitcnt vmcnt(0)
	v_mul_f32_e32 v55, v13, v16
	scratch_load_dword v13, off, s32 offset:272 ; 4-byte Folded Reload
	s_waitcnt vmcnt(0)
	v_fmac_f32_e32 v55, v13, v17
	scratch_load_dword v13, off, s32 offset:224 ; 4-byte Folded Reload
	s_waitcnt vmcnt(0)
	v_and_b32_e32 v16, 0xffff0000, v13
	scratch_load_dword v13, off, s32 offset:208 ; 4-byte Folded Reload
	s_waitcnt vmcnt(0)
	v_and_b32_e32 v17, 0xffff0000, v13
	scratch_load_dword v13, off, s32 offset:292 ; 4-byte Folded Reload
	s_waitcnt vmcnt(0)
	v_mul_f32_e32 v16, v13, v16
	scratch_load_dword v13, off, s32 offset:276 ; 4-byte Folded Reload
	s_waitcnt vmcnt(0)
	v_fmac_f32_e32 v16, v13, v17
	scratch_load_dword v13, off, s32 offset:220 ; 4-byte Folded Reload
	v_and_b32_e32 v17, 0xffff0000, v40
	s_waitcnt vmcnt(0)
	v_and_b32_e32 v40, 0xffff0000, v13
	scratch_load_dword v13, off, s32 offset:296 ; 4-byte Folded Reload
	s_waitcnt vmcnt(0)
	v_mul_f32_e32 v17, v13, v17
	scratch_load_dword v13, off, s32 offset:280 ; 4-byte Folded Reload
	s_waitcnt vmcnt(0)
	v_fmac_f32_e32 v17, v13, v40
	scratch_load_dword v13, off, s32 offset:228 ; 4-byte Folded Reload
	s_waitcnt vmcnt(0)
	v_and_b32_e32 v40, 0xffff0000, v13
	scratch_load_dword v13, off, s32 offset:300 ; 4-byte Folded Reload
	s_waitcnt vmcnt(0)
	v_fmac_f32_e32 v54, v13, v40
	scratch_load_dword v13, off, s32 offset:232 ; 4-byte Folded Reload
	s_waitcnt vmcnt(0)
	v_and_b32_e32 v40, 0xffff0000, v13
	;; [unrolled: 6-line block ×7, first 2 shown]
	scratch_load_dword v13, off, s32 offset:324 ; 4-byte Folded Reload
	s_waitcnt vmcnt(0)
	v_fmac_f32_e32 v16, v13, v40
	v_accvgpr_read_b32 v13, a46
	v_and_b32_e32 v40, 0xffff0000, v13
	scratch_load_dword v13, off, s32 offset:328 ; 4-byte Folded Reload
	s_waitcnt vmcnt(0)
	v_fmac_f32_e32 v17, v13, v40
	v_accvgpr_read_b32 v13, a47
	v_and_b32_e32 v40, 0xffff0000, v13
	;; [unrolled: 5-line block ×64, first 2 shown]
	scratch_load_dword v13, off, s32 offset:616 ; 4-byte Folded Reload
	s_waitcnt vmcnt(0)
	v_fmac_f32_e32 v16, v13, v40
	scratch_load_dword v13, off, s32 offset:620 ; 4-byte Folded Reload
	v_and_b32_e32 v40, 0xffff0000, v43
	s_waitcnt vmcnt(0)
	v_fmac_f32_e32 v17, v13, v40
	scratch_load_dword v13, off, s32 offset:624 ; 4-byte Folded Reload
	v_and_b32_e32 v40, 0xffff0000, v44
	;; [unrolled: 4-line block ×11, first 2 shown]
	s_waitcnt vmcnt(0)
	v_fmac_f32_e32 v55, v13, v40
	scratch_load_dword v13, off, s32 offset:664 ; 4-byte Folded Reload
	s_waitcnt vmcnt(0)
	v_fmac_f32_e32 v16, v13, v5
	v_and_b32_e32 v5, 0xffff0000, v7
	scratch_load_dword v7, off, s32 offset:668 ; 4-byte Folded Reload
	s_waitcnt vmcnt(0)
	v_fmac_f32_e32 v17, v7, v5
	scratch_load_dword v5, off, s32 offset:672 ; 4-byte Folded Reload
	s_waitcnt vmcnt(0)
	v_fmac_f32_e32 v54, v5, v4
	scratch_load_dword v5, off, s32 offset:676 ; 4-byte Folded Reload
	v_and_b32_e32 v4, 0xffff0000, v36
	s_waitcnt vmcnt(0)
	v_fmac_f32_e32 v55, v5, v4
	scratch_load_dword v5, off, s32 offset:680 ; 4-byte Folded Reload
	v_and_b32_e32 v4, 0xffff0000, v12
	;; [unrolled: 4-line block ×12, first 2 shown]
	s_waitcnt vmcnt(0)
	v_fmac_f32_e32 v54, v5, v4
	scratch_load_dword v4, off, s32 offset:724 ; 4-byte Folded Reload
	s_waitcnt vmcnt(0)
	v_fmac_f32_e32 v55, v4, v1
	v_and_b32_e32 v1, 0xffff0000, v3
	scratch_load_dword v3, off, s32 offset:728 ; 4-byte Folded Reload
	s_waitcnt vmcnt(0)
	v_fmac_f32_e32 v16, v3, v1
	scratch_load_dword v3, off, s32 offset:732 ; 4-byte Folded Reload
	v_and_b32_e32 v1, 0xffff0000, v15
	s_waitcnt vmcnt(0)
	v_fmac_f32_e32 v17, v3, v1
	scratch_load_dword v3, off, s32 offset:736 ; 4-byte Folded Reload
	v_and_b32_e32 v1, 0xffff0000, v14
	s_waitcnt vmcnt(0)
	v_fmac_f32_e32 v54, v3, v1
	v_and_b32_e32 v1, 0xffff0000, v2
	scratch_load_dword v2, off, s32 offset:740 ; 4-byte Folded Reload
	s_waitcnt vmcnt(0)
	v_fmac_f32_e32 v55, v2, v1
	scratch_load_dword v2, off, s32 offset:744 ; 4-byte Folded Reload
	v_and_b32_e32 v1, 0xffff0000, v23
	s_waitcnt vmcnt(0)
	v_fmac_f32_e32 v16, v2, v1
	scratch_load_dword v2, off, s32 offset:748 ; 4-byte Folded Reload
	v_and_b32_e32 v1, 0xffff0000, v30
	;; [unrolled: 4-line block ×17, first 2 shown]
	s_waitcnt vmcnt(0)
	v_fmac_f32_e32 v16, v2, v1
	scratch_load_dword v1, off, s32 offset:812 ; 4-byte Folded Reload
	s_waitcnt vmcnt(0)
	v_fmac_f32_e32 v17, v1, v0
	scratch_load_dword v1, off, s32 offset:816 ; 4-byte Folded Reload
	v_add_f32_e32 v0, v54, v55
	v_add_f32_e32 v0, v0, v16
	;; [unrolled: 1-line block ×3, first 2 shown]
	s_waitcnt vmcnt(0)
	ds_bpermute_b32 v1, v1, v0
	s_and_saveexec_b64 s[46:47], s[6:7]
	s_cbranch_execz .LBB379_9
; %bb.523:                              ;   in Loop: Header=BB379_10 Depth=1
	s_waitcnt lgkmcnt(0)
	v_add_f32_e32 v0, v0, v1
	scratch_load_dword v1, off, s32 offset:828 ; 4-byte Folded Reload
	scratch_load_dword v3, off, s32 offset:832 ; 4-byte Folded Reload
	v_sub_u32_e32 v2, 1, v45
	v_add_u32_e32 v2, v2, v37
	v_cvt_f32_i32_e32 v2, v2
	s_load_dword vcc_lo, s[24:25], 0x0
	s_waitcnt vmcnt(1)
	v_mul_f32_e32 v1, v1, v2
	v_cndmask_b32_e64 v1, 0, v1, s[8:9]
	s_waitcnt lgkmcnt(0)
	v_add_u32_e32 v2, vcc_lo, v22
	s_waitcnt vmcnt(0)
	v_fmac_f32_e32 v1, v0, v3
	v_cmp_lt_i32_e32 vcc, v37, v45
	s_nop 1
	v_cndmask_b32_e32 v0, 0, v1, vcc
	ds_write_b32 v2, v0
	scratch_load_dword v2, off, s32 offset:264 ; 4-byte Folded Reload
	s_waitcnt vmcnt(0)
	v_max_f32_e32 v0, v2, v2
	v_max_f32_e32 v0, v0, v1
	v_cndmask_b32_e32 v2, v2, v0, vcc
	scratch_store_dword off, v2, s32 offset:264 ; 4-byte Folded Spill
	s_branch .LBB379_9
.LBB379_524:
	s_or_b64 exec, exec, s[26:27]
	scratch_load_dword v22, off, s32 offset:836 ; 4-byte Folded Reload
	scratch_load_dwordx2 v[14:15], off, s32 offset:920 ; 8-byte Folded Reload
	scratch_load_dwordx2 v[26:27], off, s32 offset:912 ; 8-byte Folded Reload
	;; [unrolled: 1-line block ×3, first 2 shown]
	scratch_load_dword v37, off, s32 offset:896 ; 4-byte Folded Reload
	scratch_load_dword v12, off, s32 offset:892 ; 4-byte Folded Reload
	;; [unrolled: 1-line block ×4, first 2 shown]
.LBB379_525:
	s_or_b64 exec, exec, s[10:11]
	s_waitcnt vmcnt(2)
	v_xor_b32_e32 v0, 32, v12
	s_waitcnt vmcnt(1)
	v_cmp_lt_i32_e32 vcc, v0, v13
	v_xor_b32_e32 v3, 16, v12
	s_waitcnt vmcnt(0) lgkmcnt(0)
	v_max_f32_e32 v1, v6, v6
	v_cndmask_b32_e32 v0, v12, v0, vcc
	v_lshlrev_b32_e32 v2, 2, v0
	ds_bpermute_b32 v0, v2, v6
	v_cmp_lt_i32_e32 vcc, v3, v13
	v_xor_b32_e32 v4, 8, v12
	v_xor_b32_e32 v5, 4, v12
	v_xor_b32_e32 v6, 2, v12
	s_waitcnt lgkmcnt(0)
	v_max_f32_e32 v0, v0, v0
	v_max_f32_e32 v0, v1, v0
	v_cndmask_b32_e32 v1, v12, v3, vcc
	v_lshlrev_b32_e32 v3, 2, v1
	ds_bpermute_b32 v1, v3, v0
	v_cmp_lt_i32_e32 vcc, v4, v13
	v_and_b32_e32 v7, 63, v22
	s_lshr_b32 s21, s21, 16
	s_waitcnt lgkmcnt(0)
	v_max_f32_e32 v1, v1, v1
	v_max_f32_e32 v0, v0, v1
	v_cndmask_b32_e32 v1, v12, v4, vcc
	v_lshlrev_b32_e32 v4, 2, v1
	ds_bpermute_b32 v1, v4, v0
	v_cmp_lt_i32_e32 vcc, v5, v13
	s_waitcnt lgkmcnt(0)
	v_max_f32_e32 v1, v1, v1
	v_max_f32_e32 v0, v0, v1
	v_cndmask_b32_e32 v1, v12, v5, vcc
	v_lshlrev_b32_e32 v5, 2, v1
	ds_bpermute_b32 v1, v5, v0
	v_cmp_lt_i32_e32 vcc, v6, v13
	s_waitcnt lgkmcnt(0)
	v_max_f32_e32 v1, v1, v1
	v_max_f32_e32 v0, v0, v1
	v_cndmask_b32_e32 v1, v12, v6, vcc
	v_lshlrev_b32_e32 v36, 2, v1
	ds_bpermute_b32 v1, v36, v0
	v_cmp_eq_u32_e32 vcc, 0, v7
	v_lshlrev_b32_e32 v6, 2, v37
	s_and_saveexec_b64 s[6:7], vcc
	s_cbranch_execz .LBB379_527
; %bb.526:
	s_waitcnt lgkmcnt(0)
	v_max_f32_e32 v1, v1, v1
	v_max_f32_e32 v0, v0, v0
	;; [unrolled: 1-line block ×3, first 2 shown]
	ds_write_b32 v6, v0 offset:512
.LBB379_527:
	s_or_b64 exec, exec, s[6:7]
	s_waitcnt lgkmcnt(0)
	s_barrier
	v_cmp_gt_u32_e64 s[6:7], 2, v7
	v_mov_b32_e32 v0, 0xff7fffff
	scratch_store_dword off, v7, s32 offset:460 ; 4-byte Folded Spill
	v_lshlrev_b32_e32 v7, 2, v7
	s_and_saveexec_b64 s[8:9], s[6:7]
	s_cbranch_execz .LBB379_529
; %bb.528:
	ds_read_b32 v0, v7 offset:512
.LBB379_529:
	s_or_b64 exec, exec, s[8:9]
	scratch_load_dword v8, off, s32 offset:196 ; 4-byte Folded Reload
	v_xor_b32_e32 v1, 1, v12
	v_cmp_lt_i32_e64 s[8:9], v1, v13
	v_mov_b32_e32 v10, 0
	s_waitcnt vmcnt(0)
	v_subrev_u32_e32 v8, s15, v8
	v_cndmask_b32_e64 v1, v12, v1, s[8:9]
	v_lshlrev_b32_e32 v23, 2, v1
	s_waitcnt lgkmcnt(0)
	ds_bpermute_b32 v1, v23, v0
	v_max_f32_e32 v0, v0, v0
	v_lshl_add_u32 v9, v8, 5, s48
	v_min_i32_e32 v9, v9, v45
	s_waitcnt lgkmcnt(0)
	v_max_f32_e32 v1, v1, v1
	v_max_f32_e32 v0, v0, v1
	v_lshlrev_b32_e32 v1, 2, v12
	v_and_b32_e32 v8, 0xffffff00, v1
	ds_bpermute_b32 v0, v8, v0
	v_subrev_u32_e32 v1, s48, v9
	v_cmp_lt_i32_e64 s[8:9], v22, v1
	s_and_saveexec_b64 s[24:25], s[8:9]
	s_cbranch_execz .LBB379_533
; %bb.530:
	s_ashr_i32 s23, s22, 31
	s_lshl_b64 s[10:11], s[22:23], 2
	s_getpc_b64 s[26:27]
	s_add_u32 s26, s26, llvm.amdgcn.dynlds.offset.table@rel32@lo+4
	s_addc_u32 s27, s27, llvm.amdgcn.dynlds.offset.table@rel32@hi+12
	s_add_u32 s10, s10, s26
	s_addc_u32 s11, s11, s27
	s_load_dword s10, s[10:11], 0x0
	s_mov_b64 s[26:27], 0
	v_mov_b32_e32 v10, 0
	v_mov_b32_e32 v12, v22
	s_waitcnt lgkmcnt(0)
	v_lshl_add_u32 v11, v22, 2, s10
.LBB379_531:                            ; =>This Inner Loop Header: Depth=1
	ds_read_b32 v13, v11
	v_add_u32_e32 v12, 0x80, v12
	v_cmp_ge_i32_e64 s[10:11], v12, v1
	s_or_b64 s[26:27], s[10:11], s[26:27]
	s_waitcnt lgkmcnt(0)
	v_sub_f32_e32 v13, v13, v0
	v_mul_f32_e32 v13, 0x3fb8aa3b, v13
	v_exp_f32_e32 v13, v13
	ds_write_b32 v11, v13
	v_add_f32_e32 v10, v10, v13
	v_add_u32_e32 v11, 0x200, v11
	s_andn2_b64 exec, exec, s[26:27]
	s_cbranch_execnz .LBB379_531
; %bb.532:
	s_or_b64 exec, exec, s[26:27]
.LBB379_533:
	s_or_b64 exec, exec, s[24:25]
	ds_bpermute_b32 v2, v2, v10
	s_waitcnt lgkmcnt(0)
	v_add_f32_e32 v2, v10, v2
	ds_bpermute_b32 v3, v3, v2
	s_waitcnt lgkmcnt(0)
	v_add_f32_e32 v2, v2, v3
	;; [unrolled: 3-line block ×6, first 2 shown]
	s_and_saveexec_b64 s[10:11], vcc
	s_cbranch_execz .LBB379_535
; %bb.534:
	ds_write_b32 v6, v2 offset:520
.LBB379_535:
	s_or_b64 exec, exec, s[10:11]
	s_waitcnt lgkmcnt(0)
	s_barrier
	s_and_saveexec_b64 s[10:11], s[6:7]
	s_cbranch_execz .LBB379_537
; %bb.536:
	ds_read_b32 v2, v7 offset:520
.LBB379_537:
	s_or_b64 exec, exec, s[10:11]
	s_waitcnt lgkmcnt(0)
	ds_bpermute_b32 v3, v23, v2
	s_waitcnt lgkmcnt(0)
	v_add_f32_e32 v2, v2, v3
	ds_bpermute_b32 v2, v8, v2
	s_and_saveexec_b64 s[6:7], s[8:9]
	s_cbranch_execz .LBB379_550
; %bb.538:
	s_waitcnt lgkmcnt(0)
	v_add_f32_e32 v3, 0x358637bd, v2
	v_div_scale_f32 v4, s[8:9], v3, v3, 1.0
	v_rcp_f32_e32 v5, v4
	v_div_scale_f32 v6, vcc, 1.0, v3, 1.0
	s_movk_i32 s8, 0x7f
	v_fma_f32 v7, -v4, v5, 1.0
	v_fmac_f32_e32 v5, v7, v5
	v_mul_f32_e32 v7, v6, v5
	v_fma_f32 v8, -v4, v7, v6
	v_fmac_f32_e32 v7, v8, v5
	v_fma_f32 v4, -v4, v7, v6
	v_div_fmas_f32 v4, v4, v5, v7
	v_div_fixup_f32 v8, v4, v3, 1.0
	v_xad_u32 v3, v22, -1, v9
	v_subrev_u32_e32 v4, s48, v3
	v_cmp_lt_u32_e32 vcc, s8, v4
	s_mov_b64 s[10:11], -1
	v_mov_b32_e32 v3, v22
	s_and_saveexec_b64 s[8:9], vcc
	s_cbranch_execz .LBB379_547
; %bb.539:
	v_lshrrev_b32_e32 v3, 7, v4
	v_add_u32_e32 v5, -1, v3
	v_lshrrev_b32_e32 v4, 1, v5
	v_mov_b32_e32 v9, v8
	v_add_u32_e32 v4, 1, v4
	v_cmp_lt_u32_e32 vcc, 13, v5
	v_mov_b32_e32 v7, 0
	s_and_saveexec_b64 s[10:11], vcc
	s_cbranch_execz .LBB379_543
; %bb.540:
	s_ashr_i32 s23, s22, 31
	s_lshl_b64 s[24:25], s[22:23], 2
	s_getpc_b64 s[26:27]
	s_add_u32 s26, s26, llvm.amdgcn.dynlds.offset.table@rel32@lo+4
	s_addc_u32 s27, s27, llvm.amdgcn.dynlds.offset.table@rel32@hi+12
	s_add_u32 s24, s24, s26
	s_addc_u32 s25, s25, s27
	s_load_dword s23, s[24:25], 0x0
	v_and_b32_e32 v5, -8, v4
	s_mov_b32 s15, 0
	s_mov_b64 s[24:25], 0
	s_waitcnt lgkmcnt(0)
	v_lshl_add_u32 v6, v22, 2, s23
.LBB379_541:                            ; =>This Inner Loop Header: Depth=1
	ds_read2st64_b32 v[10:11], v6 offset1:2
	ds_read2st64_b32 v[12:13], v6 offset0:4 offset1:6
	ds_read2st64_b32 v[18:19], v6 offset0:8 offset1:10
	;; [unrolled: 1-line block ×3, first 2 shown]
	v_add_u32_e32 v5, -8, v5
	s_waitcnt lgkmcnt(3)
	v_pk_mul_f32 v[10:11], v[8:9], v[10:11]
	s_waitcnt lgkmcnt(2)
	v_pk_mul_f32 v[12:13], v[8:9], v[12:13]
	ds_write2st64_b32 v6, v10, v11 offset1:2
	ds_write2st64_b32 v6, v12, v13 offset0:4 offset1:6
	ds_read2st64_b32 v[12:13], v6 offset0:16 offset1:18
	s_waitcnt lgkmcnt(4)
	v_pk_mul_f32 v[10:11], v[8:9], v[18:19]
	ds_write2st64_b32 v6, v10, v11 offset0:8 offset1:10
	s_waitcnt lgkmcnt(4)
	v_pk_mul_f32 v[10:11], v[8:9], v[16:17]
	ds_write2st64_b32 v6, v10, v11 offset0:12 offset1:14
	ds_read2st64_b32 v[10:11], v6 offset0:20 offset1:22
	s_waitcnt lgkmcnt(3)
	v_pk_mul_f32 v[12:13], v[8:9], v[12:13]
	ds_read2st64_b32 v[16:17], v6 offset0:24 offset1:26
	ds_write2st64_b32 v6, v12, v13 offset0:16 offset1:18
	ds_read2st64_b32 v[12:13], v6 offset0:28 offset1:30
	s_waitcnt lgkmcnt(3)
	v_pk_mul_f32 v[10:11], v[8:9], v[10:11]
	ds_write2st64_b32 v6, v10, v11 offset0:20 offset1:22
	s_waitcnt lgkmcnt(3)
	v_pk_mul_f32 v[10:11], v[8:9], v[16:17]
	ds_write2st64_b32 v6, v10, v11 offset0:24 offset1:26
	s_waitcnt lgkmcnt(2)
	v_pk_mul_f32 v[10:11], v[8:9], v[12:13]
	s_add_i32 s15, s15, 16
	v_cmp_eq_u32_e32 vcc, 0, v5
	ds_write2st64_b32 v6, v10, v11 offset0:28 offset1:30
	v_add_u32_e32 v6, 0x2000, v6
	s_or_b64 s[24:25], vcc, s[24:25]
	v_mov_b32_e32 v7, s15
	s_andn2_b64 exec, exec, s[24:25]
	s_cbranch_execnz .LBB379_541
; %bb.542:
	s_or_b64 exec, exec, s[24:25]
.LBB379_543:
	s_or_b64 exec, exec, s[10:11]
	v_and_b32_e32 v4, 7, v4
	v_cmp_ne_u32_e32 vcc, 0, v4
	s_and_saveexec_b64 s[10:11], vcc
	s_cbranch_execz .LBB379_546
; %bb.544:
	s_ashr_i32 s23, s22, 31
	s_lshl_b64 s[24:25], s[22:23], 2
	s_getpc_b64 s[26:27]
	s_add_u32 s26, s26, llvm.amdgcn.dynlds.offset.table@rel32@lo+4
	s_addc_u32 s27, s27, llvm.amdgcn.dynlds.offset.table@rel32@hi+12
	s_add_u32 s24, s24, s26
	s_addc_u32 s25, s25, s27
	s_load_dword s15, s[24:25], 0x0
	v_lshlrev_b32_e32 v5, 9, v7
	v_lshlrev_b32_e32 v6, 2, v22
	s_mov_b64 s[24:25], 0
	s_waitcnt lgkmcnt(0)
	v_add3_u32 v5, v5, v6, s15
.LBB379_545:                            ; =>This Inner Loop Header: Depth=1
	ds_read2st64_b32 v[6:7], v5 offset1:2
	v_add_u32_e32 v4, -1, v4
	v_cmp_eq_u32_e32 vcc, 0, v4
	s_or_b64 s[24:25], vcc, s[24:25]
	s_waitcnt lgkmcnt(0)
	v_pk_mul_f32 v[6:7], v[8:9], v[6:7]
	ds_write2st64_b32 v5, v6, v7 offset1:2
	v_add_u32_e32 v5, 0x400, v5
	s_andn2_b64 exec, exec, s[24:25]
	s_cbranch_execnz .LBB379_545
.LBB379_546:
	s_or_b64 exec, exec, s[10:11]
	v_add_u32_e32 v4, 1, v3
	v_and_b32_e32 v5, 0x3fffffe, v4
	v_cmp_ne_u32_e32 vcc, v4, v5
	v_lshl_add_u32 v3, v5, 7, v22
	s_orn2_b64 s[10:11], vcc, exec
.LBB379_547:
	s_or_b64 exec, exec, s[8:9]
	s_and_b64 exec, exec, s[10:11]
	s_cbranch_execz .LBB379_550
; %bb.548:
	s_ashr_i32 s23, s22, 31
	s_lshl_b64 s[8:9], s[22:23], 2
	s_getpc_b64 s[10:11]
	s_add_u32 s10, s10, llvm.amdgcn.dynlds.offset.table@rel32@lo+4
	s_addc_u32 s11, s11, llvm.amdgcn.dynlds.offset.table@rel32@hi+12
	s_add_u32 s8, s8, s10
	s_addc_u32 s9, s9, s11
	s_load_dword s8, s[8:9], 0x0
	s_waitcnt lgkmcnt(0)
	v_lshl_add_u32 v4, v3, 2, s8
	s_mov_b64 s[8:9], 0
.LBB379_549:                            ; =>This Inner Loop Header: Depth=1
	ds_read_b32 v5, v4
	v_add_u32_e32 v3, 0x80, v3
	v_cmp_ge_i32_e32 vcc, v3, v1
	s_or_b64 s[8:9], vcc, s[8:9]
	s_waitcnt lgkmcnt(0)
	v_mul_f32_e32 v5, v8, v5
	ds_write_b32 v4, v5
	v_add_u32_e32 v4, 0x200, v4
	s_andn2_b64 exec, exec, s[8:9]
	s_cbranch_execnz .LBB379_549
.LBB379_550:
	s_or_b64 exec, exec, s[6:7]
	v_cmp_ne_u16_e64 s[6:7], s21, 0
	s_cmp_lg_u64 s[6:7], 0
	s_addc_u32 s13, s13, 0
	v_cmp_eq_u32_e32 vcc, 0, v22
	s_waitcnt lgkmcnt(0)
	s_barrier
	s_and_saveexec_b64 s[6:7], vcc
	s_cbranch_execz .LBB379_552
; %bb.551:
	scratch_load_dwordx2 v[4:5], off, s32 offset:868 ; 8-byte Folded Reload
	s_mul_i32 s8, s13, s18
	s_mul_i32 s8, s8, s19
	;; [unrolled: 1-line block ×3, first 2 shown]
	s_ashr_i32 s9, s8, 31
	s_ashr_i32 s11, s10, 31
	;; [unrolled: 1-line block ×3, first 2 shown]
	s_lshl_b64 s[8:9], s[8:9], 2
	s_lshl_b64 s[10:11], s[10:11], 2
	s_lshl_b64 s[24:25], s[14:15], 2
	s_add_u32 s10, s24, s10
	s_addc_u32 s11, s25, s11
	s_add_u32 s8, s10, s8
	s_addc_u32 s9, s11, s9
	s_waitcnt vmcnt(0)
	v_lshl_add_u64 v[4:5], s[8:9], 0, v[4:5]
	flat_store_dword v[4:5], v0
	v_lshl_add_u64 v[0:1], s[8:9], 0, v[24:25]
	flat_store_dword v[0:1], v2
.LBB379_552:
	s_or_b64 exec, exec, s[6:7]
	v_mov_b32_e32 v34, 0
	v_and_b32_e32 v0, 3, v22
	v_mov_b32_e32 v35, 0
	v_mov_b32_e32 v32, 0
	;; [unrolled: 1-line block ×15, first 2 shown]
	scratch_store_dword off, v0, s32 offset:456 ; 4-byte Folded Spill
	s_and_saveexec_b64 s[6:7], s[4:5]
	s_cbranch_execz .LBB379_1644
; %bb.553:
	s_ashr_i32 s23, s22, 31
	s_lshl_b64 s[4:5], s[22:23], 2
	s_getpc_b64 s[8:9]
	s_add_u32 s8, s8, llvm.amdgcn.dynlds.offset.table@rel32@lo+4
	s_addc_u32 s9, s9, llvm.amdgcn.dynlds.offset.table@rel32@hi+12
	s_add_u32 s4, s4, s8
	scratch_store_dword off, v23, s32 offset:464 ; 4-byte Folded Spill
	scratch_store_dword off, v36, s32 offset:468 ; 4-byte Folded Spill
	s_addc_u32 s5, s5, s9
	flat_load_dword v23, v[26:27]
	scratch_load_dwordx2 v[4:5], off, s32 offset:884 ; 8-byte Folded Reload
	s_load_dword s4, s[4:5], 0x0
	scratch_load_dwordx2 v[6:7], off, s32 offset:856 ; 8-byte Folded Reload
	scratch_load_dwordx2 v[0:1], off, s32 offset:876 ; 8-byte Folded Reload
	v_mov_b32_e32 v27, 0
	s_mov_b64 s[8:9], 0
	s_mov_b32 s12, 0x7f800000
	s_movk_i32 s15, 0x7fff
	v_mov_b32_e32 v13, v27
	v_mov_b32_e32 v12, v27
	;; [unrolled: 1-line block ×16, first 2 shown]
	s_waitcnt vmcnt(0)
	v_and_b32_e32 v26, 0x1f8, v4
	v_and_b32_e32 v2, 24, v4
	v_lshl_add_u64 v[0:1], v[0:1], 0, v[6:7]
	scratch_store_dwordx2 off, v[0:1], s32 offset:384 ; 8-byte Folded Spill
	scratch_load_dword v0, off, s32 offset:864 ; 4-byte Folded Reload
	v_mov_b32_e32 v1, v27
	s_waitcnt vmcnt(0)
	v_add_u32_e32 v0, -1, v0
	scratch_store_dword off, v0, s32 offset:380 ; 4-byte Folded Spill
	v_or_b32_e32 v0, 0x1000, v26
	scratch_store_dwordx2 off, v[0:1], s32 offset:392 ; 8-byte Folded Spill
	v_or_b32_e32 v0, 0x1200, v26
	scratch_store_dwordx2 off, v[0:1], s32 offset:400 ; 8-byte Folded Spill
	v_or_b32_e32 v0, 0x1400, v26
	scratch_store_dwordx2 off, v[0:1], s32 offset:408 ; 8-byte Folded Spill
	v_or_b32_e32 v0, 0x1600, v26
	scratch_store_dwordx2 off, v[0:1], s32 offset:416 ; 8-byte Folded Spill
	v_or_b32_e32 v0, 0x1800, v26
	scratch_store_dwordx2 off, v[0:1], s32 offset:424 ; 8-byte Folded Spill
	v_or_b32_e32 v0, 0x1a00, v26
	scratch_store_dwordx2 off, v[0:1], s32 offset:432 ; 8-byte Folded Spill
	v_or_b32_e32 v0, 0x1c00, v26
	scratch_store_dwordx2 off, v[0:1], s32 offset:440 ; 8-byte Folded Spill
	v_or_b32_e32 v0, 0x1e00, v4
	scratch_store_dwordx2 off, v[0:1], s32 offset:448 ; 8-byte Folded Spill
	scratch_load_dwordx2 v[0:1], off, s32 offset:188 ; 8-byte Folded Reload
	s_nop 0
	scratch_load_dwordx2 v[4:5], off, s32 offset:848 ; 8-byte Folded Reload
	s_waitcnt vmcnt(0)
	v_lshlrev_b64 v[0:1], 2, v[0:1]
	v_lshl_add_u64 v[0:1], v[4:5], 2, v[0:1]
	v_lshl_add_u64 v[4:5], v[14:15], 0, v[0:1]
	v_lshl_add_u32 v0, v37, 5, s48
	v_add3_u32 v17, v0, v2, 7
	scratch_load_dword v0, off, s32 offset:456 ; 4-byte Folded Reload
	s_waitcnt vmcnt(0)
	v_lshlrev_b32_e32 v0, 5, v0
	v_lshl_or_b32 v0, v37, 7, v0
	s_waitcnt lgkmcnt(0)
	v_add_u32_e32 v0, s4, v0
	s_branch .LBB379_555
.LBB379_554:                            ;   in Loop: Header=BB379_555 Depth=1
	s_or_b64 exec, exec, s[4:5]
	v_and_b32_e32 v3, 0xffff0000, v3
	v_and_b32_e32 v2, 0xffff0000, v2
	v_add_f32_e32 v2, v2, v3
	v_and_b32_e32 v3, 0xffff0000, v6
	v_and_b32_e32 v6, 0xffff0000, v41
	v_add_f32_e32 v3, v6, v3
	v_add_f32_e32 v2, v2, v3
	v_and_b32_e32 v3, 0xffff0000, v14
	v_and_b32_e32 v6, 0xffff0000, v7
	v_add_f32_e32 v3, v6, v3
	v_add_f32_e32 v2, v2, v3
	v_and_b32_e32 v3, 0xffff0000, v15
	v_and_b32_e32 v6, 0xffff0000, v42
	v_add_f32_e32 v3, v3, v6
	v_add_f32_e32 v2, v2, v3
	v_add_f32_e32 v12, v12, v2
	v_and_b32_e32 v2, 0xffff0000, v5
	v_and_b32_e32 v3, 0xffff0000, v56
	v_add_f32_e32 v2, v3, v2
	v_and_b32_e32 v3, 0xffff0000, v52
	v_and_b32_e32 v4, 0xffff0000, v4
	v_add_f32_e32 v3, v4, v3
	v_add_f32_e32 v2, v2, v3
	v_and_b32_e32 v3, 0xffff0000, v54
	v_and_b32_e32 v4, 0xffff0000, v53
	v_add_f32_e32 v3, v4, v3
	v_add_f32_e32 v2, v2, v3
	v_and_b32_e32 v3, 0xffff0000, v55
	v_and_b32_e32 v4, 0xffff0000, v40
	v_add_f32_e32 v3, v3, v4
	v_add_f32_e32 v2, v2, v3
	v_add_f32_e32 v19, v19, v2
	v_and_b32_e32 v2, 0xffff0000, v10
	v_and_b32_e32 v3, 0xffff0000, v16
	v_add_f32_e32 v2, v3, v2
	v_and_b32_e32 v3, 0xffff0000, v22
	v_and_b32_e32 v4, 0xffff0000, v11
	v_add_f32_e32 v3, v4, v3
	v_add_f32_e32 v2, v2, v3
	v_and_b32_e32 v3, 0xffff0000, v61
	v_and_b32_e32 v4, 0xffff0000, v9
	v_add_f32_e32 v3, v4, v3
	v_add_f32_e32 v2, v2, v3
	v_and_b32_e32 v3, 0xffff0000, v62
	v_and_b32_e32 v4, 0xffff0000, v47
	v_add_f32_e32 v3, v3, v4
	v_add_f32_e32 v2, v2, v3
	v_add_f32_e32 v18, v18, v2
	v_accvgpr_read_b32 v2, a3
	v_accvgpr_read_b32 v3, a11
	v_and_b32_e32 v2, 0xffff0000, v2
	v_and_b32_e32 v3, 0xffff0000, v3
	v_add_f32_e32 v2, v3, v2
	v_accvgpr_read_b32 v3, a13
	v_accvgpr_read_b32 v4, a12
	v_and_b32_e32 v3, 0xffff0000, v3
	v_and_b32_e32 v4, 0xffff0000, v4
	v_add_f32_e32 v3, v4, v3
	v_add_f32_e32 v2, v2, v3
	v_accvgpr_read_b32 v3, a15
	v_accvgpr_read_b32 v4, a14
	v_and_b32_e32 v3, 0xffff0000, v3
	v_and_b32_e32 v4, 0xffff0000, v4
	v_add_f32_e32 v3, v4, v3
	v_add_f32_e32 v2, v2, v3
	v_accvgpr_read_b32 v3, a16
	v_accvgpr_read_b32 v4, a6
	v_and_b32_e32 v3, 0xffff0000, v3
	v_and_b32_e32 v4, 0xffff0000, v4
	v_add_f32_e32 v3, v3, v4
	v_add_f32_e32 v2, v2, v3
	v_add_f32_e32 v21, v21, v2
	v_accvgpr_read_b32 v2, a10
	v_accvgpr_read_b32 v3, a63
	v_and_b32_e32 v2, 0xffff0000, v2
	v_and_b32_e32 v3, 0xffff0000, v3
	v_add_f32_e32 v2, v3, v2
	v_accvgpr_read_b32 v3, a2
	v_accvgpr_read_b32 v4, a9
	v_and_b32_e32 v3, 0xffff0000, v3
	v_and_b32_e32 v4, 0xffff0000, v4
	v_add_f32_e32 v3, v4, v3
	v_add_f32_e32 v2, v2, v3
	v_accvgpr_read_b32 v3, a0
	v_accvgpr_read_b32 v4, a5
	v_and_b32_e32 v3, 0xffff0000, v3
	v_and_b32_e32 v4, 0xffff0000, v4
	v_add_f32_e32 v3, v4, v3
	v_add_f32_e32 v2, v2, v3
	v_accvgpr_read_b32 v3, a1
	v_accvgpr_read_b32 v4, a8
	v_and_b32_e32 v3, 0xffff0000, v3
	v_and_b32_e32 v4, 0xffff0000, v4
	v_add_f32_e32 v3, v3, v4
	v_add_f32_e32 v2, v2, v3
	v_add_f32_e32 v20, v20, v2
	;; [unrolled: 24-line block ×7, first 2 shown]
	scratch_load_dword v2, off, s32 offset:356 ; 4-byte Folded Reload
	scratch_load_dword v4, off, s32 offset:360 ; 4-byte Folded Reload
	;; [unrolled: 1-line block ×3, first 2 shown]
	v_and_b32_e32 v0, 0xffff0000, v0
	v_add_u32_e32 v17, 64, v17
	scratch_load_dword v5, off, s32 offset:344 ; 4-byte Folded Reload
	scratch_load_dword v6, off, s32 offset:348 ; 4-byte Folded Reload
	;; [unrolled: 1-line block ×5, first 2 shown]
	s_waitcnt vmcnt(7)
	v_and_b32_e32 v2, 0xffff0000, v2
	s_waitcnt vmcnt(6)
	v_and_b32_e32 v4, 0xffff0000, v4
	;; [unrolled: 2-line block ×3, first 2 shown]
	v_add_f32_e32 v2, v3, v2
	scratch_load_dword v3, off, s32 offset:364 ; 4-byte Folded Reload
	s_waitcnt vmcnt(5)
	v_and_b32_e32 v5, 0xffff0000, v5
	s_waitcnt vmcnt(4)
	v_and_b32_e32 v6, 0xffff0000, v6
	s_waitcnt vmcnt(3)
	v_and_b32_e32 v7, 0xffff0000, v7
	s_waitcnt vmcnt(2)
	v_and_b32_e32 v8, 0xffff0000, v8
	s_waitcnt vmcnt(1)
	v_and_b32_e32 v9, 0xffff0000, v9
	s_waitcnt vmcnt(0)
	v_and_b32_e32 v3, 0xffff0000, v3
	v_add_f32_e32 v3, v4, v3
	v_add_f32_e32 v2, v2, v3
	scratch_load_dword v3, off, s32 offset:372 ; 4-byte Folded Reload
	scratch_load_dword v4, off, s32 offset:368 ; 4-byte Folded Reload
	s_waitcnt vmcnt(1)
	v_and_b32_e32 v3, 0xffff0000, v3
	s_waitcnt vmcnt(0)
	v_and_b32_e32 v4, 0xffff0000, v4
	v_add_f32_e32 v3, v4, v3
	v_add_f32_e32 v2, v2, v3
	scratch_load_dword v3, off, s32 offset:376 ; 4-byte Folded Reload
	v_accvgpr_read_b32 v4, a17
	v_and_b32_e32 v4, 0xffff0000, v4
	s_waitcnt vmcnt(0)
	v_and_b32_e32 v3, 0xffff0000, v3
	v_add_f32_e32 v3, v3, v4
	v_add_f32_e32 v2, v2, v3
	;; [unrolled: 1-line block ×3, first 2 shown]
	scratch_load_dword v2, off, s32 offset:324 ; 4-byte Folded Reload
	scratch_load_dword v4, off, s32 offset:328 ; 4-byte Folded Reload
	;; [unrolled: 1-line block ×3, first 2 shown]
	s_waitcnt vmcnt(2)
	v_and_b32_e32 v2, 0xffff0000, v2
	s_waitcnt vmcnt(1)
	v_and_b32_e32 v4, 0xffff0000, v4
	s_waitcnt vmcnt(0)
	v_and_b32_e32 v3, 0xffff0000, v3
	v_add_f32_e32 v2, v3, v2
	scratch_load_dword v3, off, s32 offset:332 ; 4-byte Folded Reload
	s_waitcnt vmcnt(0)
	v_and_b32_e32 v3, 0xffff0000, v3
	v_add_f32_e32 v3, v4, v3
	v_add_f32_e32 v2, v2, v3
	scratch_load_dword v3, off, s32 offset:340 ; 4-byte Folded Reload
	scratch_load_dword v4, off, s32 offset:336 ; 4-byte Folded Reload
	s_waitcnt vmcnt(1)
	v_and_b32_e32 v3, 0xffff0000, v3
	s_waitcnt vmcnt(0)
	v_and_b32_e32 v4, 0xffff0000, v4
	v_add_f32_e32 v3, v4, v3
	v_add_f32_e32 v2, v2, v3
	;; [unrolled: 1-line block ×5, first 2 shown]
	scratch_load_dword v2, off, s32 offset:308 ; 4-byte Folded Reload
	scratch_load_dword v3, off, s32 offset:304 ; 4-byte Folded Reload
	;; [unrolled: 1-line block ×5, first 2 shown]
	s_waitcnt vmcnt(4)
	v_and_b32_e32 v2, 0xffff0000, v2
	s_waitcnt vmcnt(3)
	v_and_b32_e32 v3, 0xffff0000, v3
	;; [unrolled: 2-line block ×5, first 2 shown]
	v_add_f32_e32 v6, v7, v6
	v_add_f32_e32 v4, v5, v4
	;; [unrolled: 1-line block ×8, first 2 shown]
	scratch_load_dword v2, off, s32 offset:276 ; 4-byte Folded Reload
	scratch_load_dword v8, off, s32 offset:280 ; 4-byte Folded Reload
	;; [unrolled: 1-line block ×8, first 2 shown]
	s_waitcnt vmcnt(7)
	v_and_b32_e32 v2, 0xffff0000, v2
	s_waitcnt vmcnt(6)
	v_and_b32_e32 v8, 0xffff0000, v8
	;; [unrolled: 2-line block ×8, first 2 shown]
	v_add_f32_e32 v6, v7, v6
	v_add_f32_e32 v4, v5, v4
	;; [unrolled: 1-line block ×8, first 2 shown]
	scratch_load_dword v2, off, s32 offset:240 ; 4-byte Folded Reload
	scratch_load_dword v8, off, s32 offset:244 ; 4-byte Folded Reload
	;; [unrolled: 1-line block ×8, first 2 shown]
	s_waitcnt vmcnt(7)
	v_and_b32_e32 v2, 0xffff0000, v2
	s_waitcnt vmcnt(6)
	v_and_b32_e32 v8, 0xffff0000, v8
	;; [unrolled: 2-line block ×8, first 2 shown]
	v_add_f32_e32 v6, v7, v6
	v_add_f32_e32 v4, v5, v4
	;; [unrolled: 1-line block ×7, first 2 shown]
	v_and_b32_e32 v7, 0xffff0000, v37
	v_and_b32_e32 v6, 0xffff0000, v1
	;; [unrolled: 1-line block ×3, first 2 shown]
	v_add_f32_e32 v34, v34, v2
	v_and_b32_e32 v3, 0xffff0000, v49
	v_and_b32_e32 v2, 0xffff0000, v39
	;; [unrolled: 1-line block ×4, first 2 shown]
	v_pk_add_f32 v[0:1], v[0:1], v[6:7]
	v_pk_add_f32 v[2:3], v[4:5], v[2:3]
	v_add_f32_e32 v0, v0, v1
	v_add_f32_e32 v0, v0, v2
	;; [unrolled: 1-line block ×3, first 2 shown]
	scratch_load_dwordx2 v[2:3], off, s32 offset:188 ; 8-byte Folded Reload
	scratch_load_dwordx2 v[4:5], off, s32 offset:208 ; 8-byte Folded Reload
	v_add_f32_e32 v13, v13, v0
	s_waitcnt vmcnt(1)
	v_add_u32_e32 v2, 2, v2
	v_mov_b32_e32 v0, v2
	scratch_store_dwordx2 off, v[0:1], s32 offset:188 ; 8-byte Folded Spill
	scratch_load_dword v0, off, s32 offset:196 ; 4-byte Folded Reload
	s_waitcnt vmcnt(2)
	v_lshl_add_u64 v[4:5], v[4:5], 0, 8
	s_waitcnt vmcnt(0)
	v_cmp_ge_i32_e32 vcc, v2, v0
	scratch_load_dword v0, off, s32 offset:216 ; 4-byte Folded Reload
	s_or_b64 s[8:9], vcc, s[8:9]
	s_waitcnt vmcnt(0)
	v_add_u32_e32 v0, 0x100, v0
	s_andn2_b64 exec, exec, s[8:9]
	s_cbranch_execz .LBB379_1643
.LBB379_555:                            ; =>This Inner Loop Header: Depth=1
	flat_load_dword v16, v[4:5]
	ds_read2_b64 v[6:9], v0 offset1:1
	scratch_store_dword off, v0, s32 offset:216 ; 4-byte Folded Spill
	ds_read2_b64 v[0:3], v0 offset0:2 offset1:3
	scratch_store_dwordx2 off, v[4:5], s32 offset:208 ; 8-byte Folded Spill
                                        ; implicit-def: $vgpr15
	s_waitcnt lgkmcnt(0)
	v_and_b32_e32 v4, 0x7f800000, v6
	v_cmp_ne_u32_e32 vcc, s12, v4
	s_and_saveexec_b64 s[4:5], vcc
	s_xor_b64 s[4:5], exec, s[4:5]
; %bb.556:                              ;   in Loop: Header=BB379_555 Depth=1
	v_bfe_u32 v4, v6, 16, 1
	v_add3_u32 v15, v6, v4, s15
; %bb.557:                              ;   in Loop: Header=BB379_555 Depth=1
	s_andn2_saveexec_b64 s[4:5], s[4:5]
; %bb.558:                              ;   in Loop: Header=BB379_555 Depth=1
	v_or_b32_e32 v4, 0x10000, v6
	v_cmp_eq_u32_sdwa vcc, v6, v27 src0_sel:WORD_0 src1_sel:DWORD
	s_nop 1
	v_cndmask_b32_e32 v15, v4, v6, vcc
; %bb.559:                              ;   in Loop: Header=BB379_555 Depth=1
	s_or_b64 exec, exec, s[4:5]
	v_and_b32_e32 v4, 0x7f800000, v7
	v_cmp_ne_u32_e32 vcc, s12, v4
                                        ; implicit-def: $vgpr14
	s_and_saveexec_b64 s[4:5], vcc
	s_xor_b64 s[4:5], exec, s[4:5]
; %bb.560:                              ;   in Loop: Header=BB379_555 Depth=1
	v_bfe_u32 v4, v7, 16, 1
	v_add3_u32 v14, v7, v4, s15
; %bb.561:                              ;   in Loop: Header=BB379_555 Depth=1
	s_andn2_saveexec_b64 s[4:5], s[4:5]
; %bb.562:                              ;   in Loop: Header=BB379_555 Depth=1
	v_or_b32_e32 v4, 0x10000, v7
	v_cmp_eq_u32_sdwa vcc, v7, v27 src0_sel:WORD_0 src1_sel:DWORD
	s_nop 1
	v_cndmask_b32_e32 v14, v4, v7, vcc
; %bb.563:                              ;   in Loop: Header=BB379_555 Depth=1
	s_or_b64 exec, exec, s[4:5]
	v_and_b32_e32 v4, 0x7f800000, v8
	v_cmp_ne_u32_e32 vcc, s12, v4
                                        ; implicit-def: $vgpr11
	s_and_saveexec_b64 s[4:5], vcc
	s_xor_b64 s[4:5], exec, s[4:5]
; %bb.564:                              ;   in Loop: Header=BB379_555 Depth=1
	v_bfe_u32 v4, v8, 16, 1
	v_add3_u32 v11, v8, v4, s15
; %bb.565:                              ;   in Loop: Header=BB379_555 Depth=1
	s_andn2_saveexec_b64 s[4:5], s[4:5]
; %bb.566:                              ;   in Loop: Header=BB379_555 Depth=1
	v_or_b32_e32 v4, 0x10000, v8
	v_cmp_eq_u32_sdwa vcc, v8, v27 src0_sel:WORD_0 src1_sel:DWORD
	s_nop 1
	v_cndmask_b32_e32 v11, v4, v8, vcc
; %bb.567:                              ;   in Loop: Header=BB379_555 Depth=1
	s_or_b64 exec, exec, s[4:5]
	v_and_b32_e32 v4, 0x7f800000, v9
	v_cmp_ne_u32_e32 vcc, s12, v4
                                        ; implicit-def: $vgpr10
	s_and_saveexec_b64 s[4:5], vcc
	s_xor_b64 s[4:5], exec, s[4:5]
; %bb.568:                              ;   in Loop: Header=BB379_555 Depth=1
	v_bfe_u32 v4, v9, 16, 1
	v_add3_u32 v10, v9, v4, s15
                                        ; implicit-def: $vgpr6_vgpr7_vgpr8_vgpr9
; %bb.569:                              ;   in Loop: Header=BB379_555 Depth=1
	s_andn2_saveexec_b64 s[4:5], s[4:5]
; %bb.570:                              ;   in Loop: Header=BB379_555 Depth=1
	v_or_b32_e32 v4, 0x10000, v9
	v_cmp_eq_u32_sdwa vcc, v9, v27 src0_sel:WORD_0 src1_sel:DWORD
	s_nop 1
	v_cndmask_b32_e32 v10, v4, v9, vcc
; %bb.571:                              ;   in Loop: Header=BB379_555 Depth=1
	s_or_b64 exec, exec, s[4:5]
	v_and_b32_e32 v4, 0x7f800000, v0
	v_cmp_ne_u32_e32 vcc, s12, v4
                                        ; implicit-def: $vgpr9
	s_and_saveexec_b64 s[4:5], vcc
	s_xor_b64 s[4:5], exec, s[4:5]
; %bb.572:                              ;   in Loop: Header=BB379_555 Depth=1
	v_bfe_u32 v4, v0, 16, 1
	v_add3_u32 v9, v0, v4, s15
; %bb.573:                              ;   in Loop: Header=BB379_555 Depth=1
	s_andn2_saveexec_b64 s[4:5], s[4:5]
; %bb.574:                              ;   in Loop: Header=BB379_555 Depth=1
	v_or_b32_e32 v4, 0x10000, v0
	v_cmp_eq_u32_sdwa vcc, v0, v27 src0_sel:WORD_0 src1_sel:DWORD
	s_nop 1
	v_cndmask_b32_e32 v9, v4, v0, vcc
; %bb.575:                              ;   in Loop: Header=BB379_555 Depth=1
	s_or_b64 exec, exec, s[4:5]
	v_and_b32_e32 v0, 0x7f800000, v1
	v_cmp_ne_u32_e32 vcc, s12, v0
                                        ; implicit-def: $vgpr8
	s_and_saveexec_b64 s[4:5], vcc
	s_xor_b64 s[4:5], exec, s[4:5]
; %bb.576:                              ;   in Loop: Header=BB379_555 Depth=1
	v_bfe_u32 v0, v1, 16, 1
	v_add3_u32 v8, v1, v0, s15
; %bb.577:                              ;   in Loop: Header=BB379_555 Depth=1
	s_andn2_saveexec_b64 s[4:5], s[4:5]
; %bb.578:                              ;   in Loop: Header=BB379_555 Depth=1
	v_or_b32_e32 v0, 0x10000, v1
	v_cmp_eq_u32_sdwa vcc, v1, v27 src0_sel:WORD_0 src1_sel:DWORD
	s_nop 1
	v_cndmask_b32_e32 v8, v0, v1, vcc
; %bb.579:                              ;   in Loop: Header=BB379_555 Depth=1
	s_or_b64 exec, exec, s[4:5]
	v_and_b32_e32 v0, 0x7f800000, v2
	v_cmp_ne_u32_e32 vcc, s12, v0
                                        ; implicit-def: $vgpr5
	s_and_saveexec_b64 s[4:5], vcc
	s_xor_b64 s[4:5], exec, s[4:5]
; %bb.580:                              ;   in Loop: Header=BB379_555 Depth=1
	v_bfe_u32 v0, v2, 16, 1
	v_add3_u32 v5, v2, v0, s15
; %bb.581:                              ;   in Loop: Header=BB379_555 Depth=1
	s_andn2_saveexec_b64 s[4:5], s[4:5]
; %bb.582:                              ;   in Loop: Header=BB379_555 Depth=1
	v_or_b32_e32 v0, 0x10000, v2
	v_cmp_eq_u32_sdwa vcc, v2, v27 src0_sel:WORD_0 src1_sel:DWORD
	s_nop 1
	v_cndmask_b32_e32 v5, v0, v2, vcc
; %bb.583:                              ;   in Loop: Header=BB379_555 Depth=1
	s_or_b64 exec, exec, s[4:5]
	v_and_b32_e32 v0, 0x7f800000, v3
	v_cmp_ne_u32_e32 vcc, s12, v0
                                        ; implicit-def: $vgpr4
	s_and_saveexec_b64 s[4:5], vcc
	s_xor_b64 s[4:5], exec, s[4:5]
; %bb.584:                              ;   in Loop: Header=BB379_555 Depth=1
	v_bfe_u32 v0, v3, 16, 1
	v_add3_u32 v4, v3, v0, s15
                                        ; implicit-def: $vgpr0_vgpr1_vgpr2_vgpr3
; %bb.585:                              ;   in Loop: Header=BB379_555 Depth=1
	s_andn2_saveexec_b64 s[4:5], s[4:5]
; %bb.586:                              ;   in Loop: Header=BB379_555 Depth=1
	v_or_b32_e32 v0, 0x10000, v3
	v_cmp_eq_u32_sdwa vcc, v3, v27 src0_sel:WORD_0 src1_sel:DWORD
	s_nop 1
	v_cndmask_b32_e32 v4, v0, v3, vcc
; %bb.587:                              ;   in Loop: Header=BB379_555 Depth=1
	s_or_b64 exec, exec, s[4:5]
	scratch_load_dwordx2 v[2:3], off, s32 offset:384 ; 8-byte Folded Reload
	scratch_load_dwordx2 v[0:1], off, s32 offset:200 ; 8-byte Folded Reload
	s_waitcnt vmcnt(0)
	v_mad_i64_i32 v[0:1], s[4:5], v16, v0, v[2:3]
	v_lshl_add_u64 v[2:3], v[0:1], 0, v[26:27]
	flat_load_dwordx2 v[6:7], v[2:3]
	s_waitcnt vmcnt(0) lgkmcnt(0)
	v_and_b32_e32 v16, 0xff, v6
	v_cvt_f32_fp8_sdwa v16, v16 src0_sel:BYTE_0
	s_nop 0
	v_mul_f32_e32 v22, v23, v16
	v_and_b32_e32 v16, 0x7f800000, v22
	v_cmp_ne_u32_e32 vcc, s12, v16
                                        ; implicit-def: $vgpr16
	s_and_saveexec_b64 s[4:5], vcc
	s_xor_b64 s[4:5], exec, s[4:5]
; %bb.588:                              ;   in Loop: Header=BB379_555 Depth=1
	v_bfe_u32 v16, v22, 16, 1
	v_add3_u32 v16, v22, v16, s15
                                        ; implicit-def: $vgpr22
; %bb.589:                              ;   in Loop: Header=BB379_555 Depth=1
	s_andn2_saveexec_b64 s[4:5], s[4:5]
; %bb.590:                              ;   in Loop: Header=BB379_555 Depth=1
	v_or_b32_e32 v16, 0x10000, v22
	v_cmp_eq_u32_sdwa vcc, v22, v27 src0_sel:WORD_0 src1_sel:DWORD
	s_nop 1
	v_cndmask_b32_e32 v16, v16, v22, vcc
; %bb.591:                              ;   in Loop: Header=BB379_555 Depth=1
	s_or_b64 exec, exec, s[4:5]
	v_bfe_u32 v22, v6, 8, 8
	v_cvt_f32_fp8_sdwa v22, v22 src0_sel:BYTE_0
	s_nop 0
	v_mul_f32_e32 v36, v23, v22
	v_and_b32_e32 v22, 0x7f800000, v36
	v_cmp_ne_u32_e32 vcc, s12, v22
                                        ; implicit-def: $vgpr22
	s_and_saveexec_b64 s[4:5], vcc
	s_xor_b64 s[4:5], exec, s[4:5]
; %bb.592:                              ;   in Loop: Header=BB379_555 Depth=1
	v_bfe_u32 v22, v36, 16, 1
	v_add3_u32 v22, v36, v22, s15
                                        ; implicit-def: $vgpr36
; %bb.593:                              ;   in Loop: Header=BB379_555 Depth=1
	s_andn2_saveexec_b64 s[4:5], s[4:5]
; %bb.594:                              ;   in Loop: Header=BB379_555 Depth=1
	v_or_b32_e32 v22, 0x10000, v36
	v_cmp_eq_u32_sdwa vcc, v36, v27 src0_sel:WORD_0 src1_sel:DWORD
	s_nop 1
	v_cndmask_b32_e32 v22, v22, v36, vcc
; %bb.595:                              ;   in Loop: Header=BB379_555 Depth=1
	s_or_b64 exec, exec, s[4:5]
	v_bfe_u32 v36, v6, 16, 8
	v_cvt_f32_fp8_sdwa v36, v36 src0_sel:BYTE_0
	s_nop 0
	v_mul_f32_e32 v37, v23, v36
	v_and_b32_e32 v36, 0x7f800000, v37
	v_cmp_ne_u32_e32 vcc, s12, v36
                                        ; implicit-def: $vgpr36
	s_and_saveexec_b64 s[4:5], vcc
	s_xor_b64 s[4:5], exec, s[4:5]
; %bb.596:                              ;   in Loop: Header=BB379_555 Depth=1
	v_bfe_u32 v36, v37, 16, 1
	v_add3_u32 v36, v37, v36, s15
                                        ; implicit-def: $vgpr37
; %bb.597:                              ;   in Loop: Header=BB379_555 Depth=1
	s_andn2_saveexec_b64 s[4:5], s[4:5]
; %bb.598:                              ;   in Loop: Header=BB379_555 Depth=1
	v_or_b32_e32 v36, 0x10000, v37
	v_cmp_eq_u32_sdwa vcc, v37, v27 src0_sel:WORD_0 src1_sel:DWORD
	s_nop 1
	v_cndmask_b32_e32 v36, v36, v37, vcc
; %bb.599:                              ;   in Loop: Header=BB379_555 Depth=1
	s_or_b64 exec, exec, s[4:5]
	v_lshrrev_b32_e32 v6, 24, v6
	v_cvt_f32_fp8_sdwa v6, v6 src0_sel:BYTE_0
	s_nop 0
	v_mul_f32_e32 v37, v23, v6
	v_and_b32_e32 v6, 0x7f800000, v37
	v_cmp_ne_u32_e32 vcc, s12, v6
                                        ; implicit-def: $vgpr6
	s_and_saveexec_b64 s[4:5], vcc
	s_xor_b64 s[4:5], exec, s[4:5]
; %bb.600:                              ;   in Loop: Header=BB379_555 Depth=1
	v_bfe_u32 v6, v37, 16, 1
	v_add3_u32 v6, v37, v6, s15
                                        ; implicit-def: $vgpr37
; %bb.601:                              ;   in Loop: Header=BB379_555 Depth=1
	s_andn2_saveexec_b64 s[4:5], s[4:5]
; %bb.602:                              ;   in Loop: Header=BB379_555 Depth=1
	v_or_b32_e32 v6, 0x10000, v37
	v_cmp_eq_u32_sdwa vcc, v37, v27 src0_sel:WORD_0 src1_sel:DWORD
	s_nop 1
	v_cndmask_b32_e32 v6, v6, v37, vcc
; %bb.603:                              ;   in Loop: Header=BB379_555 Depth=1
	s_or_b64 exec, exec, s[4:5]
	v_and_b32_e32 v37, 0xff, v7
	v_cvt_f32_fp8_sdwa v37, v37 src0_sel:BYTE_0
	s_nop 0
	v_mul_f32_e32 v38, v23, v37
	v_and_b32_e32 v37, 0x7f800000, v38
	v_cmp_ne_u32_e32 vcc, s12, v37
                                        ; implicit-def: $vgpr37
	s_and_saveexec_b64 s[4:5], vcc
	s_xor_b64 s[4:5], exec, s[4:5]
; %bb.604:                              ;   in Loop: Header=BB379_555 Depth=1
	v_bfe_u32 v37, v38, 16, 1
	v_add3_u32 v37, v38, v37, s15
                                        ; implicit-def: $vgpr38
; %bb.605:                              ;   in Loop: Header=BB379_555 Depth=1
	s_andn2_saveexec_b64 s[4:5], s[4:5]
; %bb.606:                              ;   in Loop: Header=BB379_555 Depth=1
	v_or_b32_e32 v37, 0x10000, v38
	v_cmp_eq_u32_sdwa vcc, v38, v27 src0_sel:WORD_0 src1_sel:DWORD
	s_nop 1
	v_cndmask_b32_e32 v37, v37, v38, vcc
; %bb.607:                              ;   in Loop: Header=BB379_555 Depth=1
	s_or_b64 exec, exec, s[4:5]
	v_bfe_u32 v38, v7, 8, 8
	v_cvt_f32_fp8_sdwa v38, v38 src0_sel:BYTE_0
	s_nop 0
	v_mul_f32_e32 v39, v23, v38
	v_and_b32_e32 v38, 0x7f800000, v39
	v_cmp_ne_u32_e32 vcc, s12, v38
                                        ; implicit-def: $vgpr38
	s_and_saveexec_b64 s[4:5], vcc
	s_xor_b64 s[4:5], exec, s[4:5]
; %bb.608:                              ;   in Loop: Header=BB379_555 Depth=1
	v_bfe_u32 v38, v39, 16, 1
	v_add3_u32 v38, v39, v38, s15
                                        ; implicit-def: $vgpr39
; %bb.609:                              ;   in Loop: Header=BB379_555 Depth=1
	s_andn2_saveexec_b64 s[4:5], s[4:5]
; %bb.610:                              ;   in Loop: Header=BB379_555 Depth=1
	v_or_b32_e32 v38, 0x10000, v39
	v_cmp_eq_u32_sdwa vcc, v39, v27 src0_sel:WORD_0 src1_sel:DWORD
	s_nop 1
	v_cndmask_b32_e32 v38, v38, v39, vcc
; %bb.611:                              ;   in Loop: Header=BB379_555 Depth=1
	s_or_b64 exec, exec, s[4:5]
	v_bfe_u32 v39, v7, 16, 8
	v_cvt_f32_fp8_sdwa v39, v39 src0_sel:BYTE_0
                                        ; implicit-def: $vgpr51
	s_nop 0
	v_mul_f32_e32 v39, v23, v39
	v_and_b32_e32 v48, 0x7f800000, v39
	v_cmp_ne_u32_e32 vcc, s12, v48
	s_and_saveexec_b64 s[4:5], vcc
	s_xor_b64 s[4:5], exec, s[4:5]
; %bb.612:                              ;   in Loop: Header=BB379_555 Depth=1
	v_bfe_u32 v48, v39, 16, 1
	v_add3_u32 v51, v39, v48, s15
                                        ; implicit-def: $vgpr39
; %bb.613:                              ;   in Loop: Header=BB379_555 Depth=1
	s_andn2_saveexec_b64 s[4:5], s[4:5]
; %bb.614:                              ;   in Loop: Header=BB379_555 Depth=1
	v_or_b32_e32 v48, 0x10000, v39
	v_cmp_eq_u32_sdwa vcc, v39, v27 src0_sel:WORD_0 src1_sel:DWORD
	s_nop 1
	v_cndmask_b32_e32 v51, v48, v39, vcc
; %bb.615:                              ;   in Loop: Header=BB379_555 Depth=1
	s_or_b64 exec, exec, s[4:5]
	v_lshrrev_b32_e32 v7, 24, v7
	v_cvt_f32_fp8_sdwa v7, v7 src0_sel:BYTE_0
                                        ; implicit-def: $vgpr52
	s_nop 0
	v_mul_f32_e32 v7, v23, v7
	v_and_b32_e32 v39, 0x7f800000, v7
	v_cmp_ne_u32_e32 vcc, s12, v39
	s_and_saveexec_b64 s[4:5], vcc
	s_xor_b64 s[4:5], exec, s[4:5]
; %bb.616:                              ;   in Loop: Header=BB379_555 Depth=1
	v_bfe_u32 v39, v7, 16, 1
	v_add3_u32 v52, v7, v39, s15
                                        ; implicit-def: $vgpr7
; %bb.617:                              ;   in Loop: Header=BB379_555 Depth=1
	s_andn2_saveexec_b64 s[4:5], s[4:5]
; %bb.618:                              ;   in Loop: Header=BB379_555 Depth=1
	v_or_b32_e32 v39, 0x10000, v7
	v_cmp_eq_u32_sdwa vcc, v7, v27 src0_sel:WORD_0 src1_sel:DWORD
	s_nop 1
	v_cndmask_b32_e32 v52, v39, v7, vcc
; %bb.619:                              ;   in Loop: Header=BB379_555 Depth=1
	s_or_b64 exec, exec, s[4:5]
	scratch_load_dword v7, off, s32 offset:380 ; 4-byte Folded Reload
	scratch_load_dwordx2 v[48:49], off, s32 offset:188 ; 8-byte Folded Reload
	v_lshrrev_b32_e32 v39, 16, v36
	v_add_u32_e32 v36, -6, v17
	v_accvgpr_write_b32 a46, v36
	v_add_u32_e32 v36, -5, v17
	v_accvgpr_write_b32 a45, v36
	;; [unrolled: 2-line block ×5, first 2 shown]
	v_add_u32_e32 v36, -1, v17
	v_lshrrev_b32_e32 v50, 16, v38
	s_waitcnt vmcnt(0)
	v_lshrrev_b32_e32 v49, 16, v37
	v_lshrrev_b32_e32 v22, 16, v22
	;; [unrolled: 1-line block ×3, first 2 shown]
	v_accvgpr_write_b32 a41, v36
	v_cmp_eq_u32_e32 vcc, v7, v48
	v_add_u32_e32 v7, -7, v17
	v_accvgpr_write_b32 a40, v7
	v_lshrrev_b32_e32 v48, 16, v6
	v_lshrrev_b32_e32 v7, 16, v51
	;; [unrolled: 1-line block ×3, first 2 shown]
	s_and_saveexec_b64 s[10:11], vcc
	s_cbranch_execz .LBB379_621
; %bb.620:                              ;   in Loop: Header=BB379_555 Depth=1
	v_accvgpr_read_b32 v36, a40
	v_cmp_lt_i32_e64 s[4:5], v36, v45
	v_accvgpr_read_b32 v36, a46
	s_nop 0
	v_cndmask_b32_e64 v16, 0, v16, s[4:5]
	v_cmp_lt_i32_e64 s[4:5], v36, v45
	v_accvgpr_read_b32 v36, a45
	s_nop 0
	v_cndmask_b32_e64 v22, 0, v22, s[4:5]
	;; [unrolled: 4-line block ×6, first 2 shown]
	v_cmp_lt_i32_e64 s[4:5], v36, v45
	s_nop 1
	v_cndmask_b32_e64 v7, 0, v7, s[4:5]
	v_cmp_lt_i32_e64 s[4:5], v17, v45
	s_nop 1
	v_cndmask_b32_e64 v6, 0, v6, s[4:5]
.LBB379_621:                            ;   in Loop: Header=BB379_555 Depth=1
	s_or_b64 exec, exec, s[10:11]
	v_and_b32_e32 v36, 0xffff0000, v15
	v_lshlrev_b32_e32 v15, 16, v16
	v_mul_f32_e32 v15, v36, v15
	v_and_b32_e32 v16, 0x7f800000, v15
	v_cmp_ne_u32_e64 s[4:5], s12, v16
                                        ; implicit-def: $vgpr16
                                        ; kill: killed $vgpr16
	s_and_saveexec_b64 s[10:11], s[4:5]
	s_xor_b64 s[4:5], exec, s[10:11]
	s_cbranch_execz .LBB379_623
; %bb.622:                              ;   in Loop: Header=BB379_555 Depth=1
	v_bfe_u32 v16, v15, 16, 1
	v_add3_u32 v15, v15, v16, s15
	scratch_store_dword off, v15, s32 offset:220 ; 4-byte Folded Spill
                                        ; implicit-def: $vgpr15
.LBB379_623:                            ;   in Loop: Header=BB379_555 Depth=1
	s_andn2_saveexec_b64 s[10:11], s[4:5]
	s_cbranch_execz .LBB379_625
; %bb.624:                              ;   in Loop: Header=BB379_555 Depth=1
	v_or_b32_e32 v16, 0x10000, v15
	v_cmp_eq_u32_sdwa s[4:5], v15, v27 src0_sel:WORD_0 src1_sel:DWORD
	s_nop 1
	v_cndmask_b32_e64 v15, v16, v15, s[4:5]
	scratch_store_dword off, v15, s32 offset:220 ; 4-byte Folded Spill
.LBB379_625:                            ;   in Loop: Header=BB379_555 Depth=1
	s_or_b64 exec, exec, s[10:11]
	v_and_b32_e32 v37, 0xffff0000, v14
	v_lshlrev_b32_e32 v14, 16, v22
	v_mul_f32_e32 v14, v37, v14
	v_and_b32_e32 v15, 0x7f800000, v14
	v_cmp_ne_u32_e64 s[4:5], s12, v15
                                        ; implicit-def: $vgpr15
                                        ; kill: killed $vgpr15
	s_and_saveexec_b64 s[10:11], s[4:5]
	s_xor_b64 s[4:5], exec, s[10:11]
	s_cbranch_execz .LBB379_627
; %bb.626:                              ;   in Loop: Header=BB379_555 Depth=1
	v_bfe_u32 v15, v14, 16, 1
	v_add3_u32 v14, v14, v15, s15
	scratch_store_dword off, v14, s32 offset:224 ; 4-byte Folded Spill
                                        ; implicit-def: $vgpr14
.LBB379_627:                            ;   in Loop: Header=BB379_555 Depth=1
	s_andn2_saveexec_b64 s[10:11], s[4:5]
	s_cbranch_execz .LBB379_629
; %bb.628:                              ;   in Loop: Header=BB379_555 Depth=1
	v_or_b32_e32 v15, 0x10000, v14
	v_cmp_eq_u32_sdwa s[4:5], v14, v27 src0_sel:WORD_0 src1_sel:DWORD
	s_nop 1
	v_cndmask_b32_e64 v14, v15, v14, s[4:5]
	scratch_store_dword off, v14, s32 offset:224 ; 4-byte Folded Spill
.LBB379_629:                            ;   in Loop: Header=BB379_555 Depth=1
	s_or_b64 exec, exec, s[10:11]
	v_and_b32_e32 v38, 0xffff0000, v11
	v_lshlrev_b32_e32 v11, 16, v39
	v_mul_f32_e32 v11, v38, v11
	v_and_b32_e32 v14, 0x7f800000, v11
	v_cmp_ne_u32_e64 s[4:5], s12, v14
                                        ; implicit-def: $vgpr14
                                        ; kill: killed $vgpr14
	s_and_saveexec_b64 s[10:11], s[4:5]
	s_xor_b64 s[4:5], exec, s[10:11]
	s_cbranch_execz .LBB379_631
; %bb.630:                              ;   in Loop: Header=BB379_555 Depth=1
	v_bfe_u32 v14, v11, 16, 1
	v_add3_u32 v11, v11, v14, s15
	scratch_store_dword off, v11, s32 offset:228 ; 4-byte Folded Spill
                                        ; implicit-def: $vgpr11
.LBB379_631:                            ;   in Loop: Header=BB379_555 Depth=1
	s_andn2_saveexec_b64 s[10:11], s[4:5]
	s_cbranch_execz .LBB379_633
; %bb.632:                              ;   in Loop: Header=BB379_555 Depth=1
	v_or_b32_e32 v14, 0x10000, v11
	v_cmp_eq_u32_sdwa s[4:5], v11, v27 src0_sel:WORD_0 src1_sel:DWORD
	s_nop 1
	v_cndmask_b32_e64 v11, v14, v11, s[4:5]
	scratch_store_dword off, v11, s32 offset:228 ; 4-byte Folded Spill
.LBB379_633:                            ;   in Loop: Header=BB379_555 Depth=1
	s_or_b64 exec, exec, s[10:11]
	v_and_b32_e32 v39, 0xffff0000, v10
	v_lshlrev_b32_e32 v10, 16, v48
	v_mul_f32_e32 v10, v39, v10
	v_and_b32_e32 v11, 0x7f800000, v10
	v_cmp_ne_u32_e64 s[4:5], s12, v11
                                        ; implicit-def: $vgpr11
                                        ; kill: killed $vgpr11
	s_and_saveexec_b64 s[10:11], s[4:5]
	s_xor_b64 s[4:5], exec, s[10:11]
	s_cbranch_execz .LBB379_635
; %bb.634:                              ;   in Loop: Header=BB379_555 Depth=1
	v_bfe_u32 v11, v10, 16, 1
	v_add3_u32 v10, v10, v11, s15
	scratch_store_dword off, v10, s32 offset:232 ; 4-byte Folded Spill
                                        ; implicit-def: $vgpr10
.LBB379_635:                            ;   in Loop: Header=BB379_555 Depth=1
	s_andn2_saveexec_b64 s[10:11], s[4:5]
	s_cbranch_execz .LBB379_637
; %bb.636:                              ;   in Loop: Header=BB379_555 Depth=1
	v_or_b32_e32 v11, 0x10000, v10
	v_cmp_eq_u32_sdwa s[4:5], v10, v27 src0_sel:WORD_0 src1_sel:DWORD
	s_nop 1
	v_cndmask_b32_e64 v10, v11, v10, s[4:5]
	scratch_store_dword off, v10, s32 offset:232 ; 4-byte Folded Spill
.LBB379_637:                            ;   in Loop: Header=BB379_555 Depth=1
	s_or_b64 exec, exec, s[10:11]
	v_and_b32_e32 v48, 0xffff0000, v9
	v_lshlrev_b32_e32 v9, 16, v49
	v_mul_f32_e32 v9, v48, v9
	v_and_b32_e32 v10, 0x7f800000, v9
	v_cmp_ne_u32_e64 s[4:5], s12, v10
                                        ; implicit-def: $vgpr10
                                        ; kill: killed $vgpr10
	s_and_saveexec_b64 s[10:11], s[4:5]
	s_xor_b64 s[4:5], exec, s[10:11]
	s_cbranch_execz .LBB379_639
; %bb.638:                              ;   in Loop: Header=BB379_555 Depth=1
	v_bfe_u32 v10, v9, 16, 1
	v_add3_u32 v9, v9, v10, s15
	scratch_store_dword off, v9, s32 offset:236 ; 4-byte Folded Spill
                                        ; implicit-def: $vgpr9
.LBB379_639:                            ;   in Loop: Header=BB379_555 Depth=1
	s_andn2_saveexec_b64 s[10:11], s[4:5]
	s_cbranch_execz .LBB379_641
; %bb.640:                              ;   in Loop: Header=BB379_555 Depth=1
	v_or_b32_e32 v10, 0x10000, v9
	v_cmp_eq_u32_sdwa s[4:5], v9, v27 src0_sel:WORD_0 src1_sel:DWORD
	s_nop 1
	v_cndmask_b32_e64 v9, v10, v9, s[4:5]
	scratch_store_dword off, v9, s32 offset:236 ; 4-byte Folded Spill
.LBB379_641:                            ;   in Loop: Header=BB379_555 Depth=1
	s_or_b64 exec, exec, s[10:11]
	v_and_b32_e32 v49, 0xffff0000, v8
	v_lshlrev_b32_e32 v8, 16, v50
	v_mul_f32_e32 v8, v49, v8
	v_and_b32_e32 v9, 0x7f800000, v8
	v_cmp_ne_u32_e64 s[4:5], s12, v9
                                        ; implicit-def: $vgpr9
                                        ; kill: killed $vgpr9
	s_and_saveexec_b64 s[10:11], s[4:5]
	s_xor_b64 s[4:5], exec, s[10:11]
	s_cbranch_execz .LBB379_643
; %bb.642:                              ;   in Loop: Header=BB379_555 Depth=1
	v_bfe_u32 v9, v8, 16, 1
	v_add3_u32 v8, v8, v9, s15
	scratch_store_dword off, v8, s32 offset:240 ; 4-byte Folded Spill
                                        ; implicit-def: $vgpr8
.LBB379_643:                            ;   in Loop: Header=BB379_555 Depth=1
	s_andn2_saveexec_b64 s[10:11], s[4:5]
	s_cbranch_execz .LBB379_645
; %bb.644:                              ;   in Loop: Header=BB379_555 Depth=1
	v_or_b32_e32 v9, 0x10000, v8
	v_cmp_eq_u32_sdwa s[4:5], v8, v27 src0_sel:WORD_0 src1_sel:DWORD
	s_nop 1
	v_cndmask_b32_e64 v8, v9, v8, s[4:5]
	scratch_store_dword off, v8, s32 offset:240 ; 4-byte Folded Spill
.LBB379_645:                            ;   in Loop: Header=BB379_555 Depth=1
	s_or_b64 exec, exec, s[10:11]
	v_and_b32_e32 v50, 0xffff0000, v5
	v_lshlrev_b32_e32 v5, 16, v7
	v_mul_f32_e32 v5, v50, v5
	v_and_b32_e32 v7, 0x7f800000, v5
	v_cmp_ne_u32_e64 s[4:5], s12, v7
                                        ; implicit-def: $vgpr7
                                        ; kill: killed $vgpr7
	s_and_saveexec_b64 s[10:11], s[4:5]
	s_xor_b64 s[4:5], exec, s[10:11]
	s_cbranch_execz .LBB379_647
; %bb.646:                              ;   in Loop: Header=BB379_555 Depth=1
	v_bfe_u32 v7, v5, 16, 1
	v_add3_u32 v5, v5, v7, s15
	scratch_store_dword off, v5, s32 offset:244 ; 4-byte Folded Spill
                                        ; implicit-def: $vgpr5
.LBB379_647:                            ;   in Loop: Header=BB379_555 Depth=1
	s_andn2_saveexec_b64 s[10:11], s[4:5]
	s_cbranch_execz .LBB379_649
; %bb.648:                              ;   in Loop: Header=BB379_555 Depth=1
	v_or_b32_e32 v7, 0x10000, v5
	v_cmp_eq_u32_sdwa s[4:5], v5, v27 src0_sel:WORD_0 src1_sel:DWORD
	s_nop 1
	v_cndmask_b32_e64 v5, v7, v5, s[4:5]
	scratch_store_dword off, v5, s32 offset:244 ; 4-byte Folded Spill
.LBB379_649:                            ;   in Loop: Header=BB379_555 Depth=1
	s_or_b64 exec, exec, s[10:11]
	v_and_b32_e32 v51, 0xffff0000, v4
	v_lshlrev_b32_e32 v4, 16, v6
	v_mul_f32_e32 v4, v51, v4
	v_and_b32_e32 v5, 0x7f800000, v4
	v_cmp_ne_u32_e64 s[4:5], s12, v5
                                        ; implicit-def: $vgpr5
                                        ; kill: killed $vgpr5
	s_and_saveexec_b64 s[10:11], s[4:5]
	s_xor_b64 s[4:5], exec, s[10:11]
	s_cbranch_execz .LBB379_651
; %bb.650:                              ;   in Loop: Header=BB379_555 Depth=1
	v_bfe_u32 v5, v4, 16, 1
	v_add3_u32 v4, v4, v5, s15
	scratch_store_dword off, v4, s32 offset:248 ; 4-byte Folded Spill
                                        ; implicit-def: $vgpr4
.LBB379_651:                            ;   in Loop: Header=BB379_555 Depth=1
	s_andn2_saveexec_b64 s[10:11], s[4:5]
	s_cbranch_execz .LBB379_653
; %bb.652:                              ;   in Loop: Header=BB379_555 Depth=1
	v_or_b32_e32 v5, 0x10000, v4
	v_cmp_eq_u32_sdwa s[4:5], v4, v27 src0_sel:WORD_0 src1_sel:DWORD
	s_nop 1
	v_cndmask_b32_e64 v4, v5, v4, s[4:5]
	scratch_store_dword off, v4, s32 offset:248 ; 4-byte Folded Spill
.LBB379_653:                            ;   in Loop: Header=BB379_555 Depth=1
	s_or_b64 exec, exec, s[10:11]
	flat_load_dwordx2 v[6:7], v[2:3] offset:512
	s_waitcnt vmcnt(0) lgkmcnt(0)
	v_and_b32_e32 v4, 0xff, v6
	v_cvt_f32_fp8_sdwa v4, v4 src0_sel:BYTE_0
	s_nop 0
	v_mul_f32_e32 v5, v23, v4
	v_and_b32_e32 v4, 0x7f800000, v5
	v_cmp_ne_u32_e64 s[4:5], s12, v4
                                        ; implicit-def: $vgpr4
	s_and_saveexec_b64 s[10:11], s[4:5]
	s_xor_b64 s[4:5], exec, s[10:11]
; %bb.654:                              ;   in Loop: Header=BB379_555 Depth=1
	v_bfe_u32 v4, v5, 16, 1
	v_add3_u32 v4, v5, v4, s15
                                        ; implicit-def: $vgpr5
; %bb.655:                              ;   in Loop: Header=BB379_555 Depth=1
	s_andn2_saveexec_b64 s[10:11], s[4:5]
; %bb.656:                              ;   in Loop: Header=BB379_555 Depth=1
	v_or_b32_e32 v4, 0x10000, v5
	v_cmp_eq_u32_sdwa s[4:5], v5, v27 src0_sel:WORD_0 src1_sel:DWORD
	s_nop 1
	v_cndmask_b32_e64 v4, v4, v5, s[4:5]
; %bb.657:                              ;   in Loop: Header=BB379_555 Depth=1
	s_or_b64 exec, exec, s[10:11]
	v_bfe_u32 v5, v6, 8, 8
	v_cvt_f32_fp8_sdwa v5, v5 src0_sel:BYTE_0
	s_nop 0
	v_mul_f32_e32 v8, v23, v5
	v_and_b32_e32 v5, 0x7f800000, v8
	v_cmp_ne_u32_e64 s[4:5], s12, v5
                                        ; implicit-def: $vgpr5
	s_and_saveexec_b64 s[10:11], s[4:5]
	s_xor_b64 s[4:5], exec, s[10:11]
; %bb.658:                              ;   in Loop: Header=BB379_555 Depth=1
	v_bfe_u32 v5, v8, 16, 1
	v_add3_u32 v5, v8, v5, s15
                                        ; implicit-def: $vgpr8
; %bb.659:                              ;   in Loop: Header=BB379_555 Depth=1
	s_andn2_saveexec_b64 s[10:11], s[4:5]
; %bb.660:                              ;   in Loop: Header=BB379_555 Depth=1
	v_or_b32_e32 v5, 0x10000, v8
	v_cmp_eq_u32_sdwa s[4:5], v8, v27 src0_sel:WORD_0 src1_sel:DWORD
	s_nop 1
	v_cndmask_b32_e64 v5, v5, v8, s[4:5]
; %bb.661:                              ;   in Loop: Header=BB379_555 Depth=1
	s_or_b64 exec, exec, s[10:11]
	v_bfe_u32 v8, v6, 16, 8
	v_cvt_f32_fp8_sdwa v8, v8 src0_sel:BYTE_0
	s_nop 0
	v_mul_f32_e32 v9, v23, v8
	v_and_b32_e32 v8, 0x7f800000, v9
	v_cmp_ne_u32_e64 s[4:5], s12, v8
                                        ; implicit-def: $vgpr8
	s_and_saveexec_b64 s[10:11], s[4:5]
	s_xor_b64 s[4:5], exec, s[10:11]
; %bb.662:                              ;   in Loop: Header=BB379_555 Depth=1
	v_bfe_u32 v8, v9, 16, 1
	v_add3_u32 v8, v9, v8, s15
                                        ; implicit-def: $vgpr9
; %bb.663:                              ;   in Loop: Header=BB379_555 Depth=1
	s_andn2_saveexec_b64 s[10:11], s[4:5]
; %bb.664:                              ;   in Loop: Header=BB379_555 Depth=1
	v_or_b32_e32 v8, 0x10000, v9
	v_cmp_eq_u32_sdwa s[4:5], v9, v27 src0_sel:WORD_0 src1_sel:DWORD
	s_nop 1
	v_cndmask_b32_e64 v8, v8, v9, s[4:5]
; %bb.665:                              ;   in Loop: Header=BB379_555 Depth=1
	s_or_b64 exec, exec, s[10:11]
	v_lshrrev_b32_e32 v6, 24, v6
	v_cvt_f32_fp8_sdwa v6, v6 src0_sel:BYTE_0
	s_nop 0
	v_mul_f32_e32 v6, v23, v6
	v_and_b32_e32 v9, 0x7f800000, v6
	v_cmp_ne_u32_e64 s[4:5], s12, v9
                                        ; implicit-def: $vgpr9
	s_and_saveexec_b64 s[10:11], s[4:5]
	s_xor_b64 s[4:5], exec, s[10:11]
; %bb.666:                              ;   in Loop: Header=BB379_555 Depth=1
	v_bfe_u32 v9, v6, 16, 1
	v_add3_u32 v9, v6, v9, s15
                                        ; implicit-def: $vgpr6
; %bb.667:                              ;   in Loop: Header=BB379_555 Depth=1
	s_andn2_saveexec_b64 s[10:11], s[4:5]
; %bb.668:                              ;   in Loop: Header=BB379_555 Depth=1
	v_or_b32_e32 v9, 0x10000, v6
	v_cmp_eq_u32_sdwa s[4:5], v6, v27 src0_sel:WORD_0 src1_sel:DWORD
	s_nop 1
	v_cndmask_b32_e64 v9, v9, v6, s[4:5]
; %bb.669:                              ;   in Loop: Header=BB379_555 Depth=1
	s_or_b64 exec, exec, s[10:11]
	v_and_b32_e32 v6, 0xff, v7
	v_cvt_f32_fp8_sdwa v6, v6 src0_sel:BYTE_0
	s_nop 0
	v_mul_f32_e32 v6, v23, v6
	v_and_b32_e32 v10, 0x7f800000, v6
	v_cmp_ne_u32_e64 s[4:5], s12, v10
                                        ; implicit-def: $vgpr10
	s_and_saveexec_b64 s[10:11], s[4:5]
	s_xor_b64 s[4:5], exec, s[10:11]
; %bb.670:                              ;   in Loop: Header=BB379_555 Depth=1
	v_bfe_u32 v10, v6, 16, 1
	v_add3_u32 v10, v6, v10, s15
                                        ; implicit-def: $vgpr6
; %bb.671:                              ;   in Loop: Header=BB379_555 Depth=1
	s_andn2_saveexec_b64 s[10:11], s[4:5]
; %bb.672:                              ;   in Loop: Header=BB379_555 Depth=1
	v_or_b32_e32 v10, 0x10000, v6
	v_cmp_eq_u32_sdwa s[4:5], v6, v27 src0_sel:WORD_0 src1_sel:DWORD
	s_nop 1
	v_cndmask_b32_e64 v10, v10, v6, s[4:5]
; %bb.673:                              ;   in Loop: Header=BB379_555 Depth=1
	s_or_b64 exec, exec, s[10:11]
	v_bfe_u32 v6, v7, 8, 8
	v_cvt_f32_fp8_sdwa v6, v6 src0_sel:BYTE_0
	s_nop 0
	v_mul_f32_e32 v11, v23, v6
	v_and_b32_e32 v6, 0x7f800000, v11
	v_cmp_ne_u32_e64 s[4:5], s12, v6
                                        ; implicit-def: $vgpr6
	s_and_saveexec_b64 s[10:11], s[4:5]
	s_xor_b64 s[4:5], exec, s[10:11]
; %bb.674:                              ;   in Loop: Header=BB379_555 Depth=1
	v_bfe_u32 v6, v11, 16, 1
	v_add3_u32 v6, v11, v6, s15
                                        ; implicit-def: $vgpr11
; %bb.675:                              ;   in Loop: Header=BB379_555 Depth=1
	s_andn2_saveexec_b64 s[10:11], s[4:5]
; %bb.676:                              ;   in Loop: Header=BB379_555 Depth=1
	v_or_b32_e32 v6, 0x10000, v11
	v_cmp_eq_u32_sdwa s[4:5], v11, v27 src0_sel:WORD_0 src1_sel:DWORD
	s_nop 1
	v_cndmask_b32_e64 v6, v6, v11, s[4:5]
; %bb.677:                              ;   in Loop: Header=BB379_555 Depth=1
	s_or_b64 exec, exec, s[10:11]
	v_bfe_u32 v11, v7, 16, 8
	v_cvt_f32_fp8_sdwa v11, v11 src0_sel:BYTE_0
	s_nop 0
	v_mul_f32_e32 v14, v23, v11
	v_and_b32_e32 v11, 0x7f800000, v14
	v_cmp_ne_u32_e64 s[4:5], s12, v11
                                        ; implicit-def: $vgpr11
	s_and_saveexec_b64 s[10:11], s[4:5]
	s_xor_b64 s[4:5], exec, s[10:11]
; %bb.678:                              ;   in Loop: Header=BB379_555 Depth=1
	v_bfe_u32 v11, v14, 16, 1
	v_add3_u32 v11, v14, v11, s15
                                        ; implicit-def: $vgpr14
; %bb.679:                              ;   in Loop: Header=BB379_555 Depth=1
	s_andn2_saveexec_b64 s[10:11], s[4:5]
; %bb.680:                              ;   in Loop: Header=BB379_555 Depth=1
	v_or_b32_e32 v11, 0x10000, v14
	v_cmp_eq_u32_sdwa s[4:5], v14, v27 src0_sel:WORD_0 src1_sel:DWORD
	s_nop 1
	v_cndmask_b32_e64 v11, v11, v14, s[4:5]
; %bb.681:                              ;   in Loop: Header=BB379_555 Depth=1
	s_or_b64 exec, exec, s[10:11]
	v_lshrrev_b32_e32 v7, 24, v7
	v_cvt_f32_fp8_sdwa v7, v7 src0_sel:BYTE_0
                                        ; implicit-def: $vgpr15
	s_nop 0
	v_mul_f32_e32 v7, v23, v7
	v_and_b32_e32 v14, 0x7f800000, v7
	v_cmp_ne_u32_e64 s[4:5], s12, v14
	s_and_saveexec_b64 s[10:11], s[4:5]
	s_xor_b64 s[4:5], exec, s[10:11]
; %bb.682:                              ;   in Loop: Header=BB379_555 Depth=1
	v_bfe_u32 v14, v7, 16, 1
	v_add3_u32 v15, v7, v14, s15
                                        ; implicit-def: $vgpr7
; %bb.683:                              ;   in Loop: Header=BB379_555 Depth=1
	s_andn2_saveexec_b64 s[10:11], s[4:5]
; %bb.684:                              ;   in Loop: Header=BB379_555 Depth=1
	v_or_b32_e32 v14, 0x10000, v7
	v_cmp_eq_u32_sdwa s[4:5], v7, v27 src0_sel:WORD_0 src1_sel:DWORD
	s_nop 1
	v_cndmask_b32_e64 v15, v14, v7, s[4:5]
; %bb.685:                              ;   in Loop: Header=BB379_555 Depth=1
	s_or_b64 exec, exec, s[10:11]
	v_lshrrev_b32_e32 v6, 16, v6
	v_lshrrev_b32_e32 v7, 16, v10
	v_lshrrev_b32_e32 v9, 16, v9
	v_lshrrev_b32_e32 v8, 16, v8
	v_lshrrev_b32_e32 v10, 16, v5
	v_lshrrev_b32_e32 v14, 16, v4
	v_lshrrev_b32_e32 v5, 16, v11
	v_lshrrev_b32_e32 v4, 16, v15
	s_and_saveexec_b64 s[10:11], vcc
	s_cbranch_execz .LBB379_687
; %bb.686:                              ;   in Loop: Header=BB379_555 Depth=1
	v_accvgpr_read_b32 v11, a40
	v_cmp_lt_i32_e64 s[4:5], v11, v45
	v_accvgpr_read_b32 v11, a46
	s_nop 0
	v_cndmask_b32_e64 v14, 0, v14, s[4:5]
	v_cmp_lt_i32_e64 s[4:5], v11, v45
	v_accvgpr_read_b32 v11, a45
	s_nop 0
	v_cndmask_b32_e64 v10, 0, v10, s[4:5]
	;; [unrolled: 4-line block ×6, first 2 shown]
	v_cmp_lt_i32_e64 s[4:5], v11, v45
	s_nop 1
	v_cndmask_b32_e64 v5, 0, v5, s[4:5]
	v_cmp_lt_i32_e64 s[4:5], v17, v45
	s_nop 1
	v_cndmask_b32_e64 v4, 0, v4, s[4:5]
.LBB379_687:                            ;   in Loop: Header=BB379_555 Depth=1
	s_or_b64 exec, exec, s[10:11]
	v_lshlrev_b32_e32 v11, 16, v14
	v_mul_f32_e32 v11, v36, v11
	v_and_b32_e32 v14, 0x7f800000, v11
	v_cmp_ne_u32_e64 s[4:5], s12, v14
                                        ; implicit-def: $vgpr14
                                        ; kill: killed $vgpr14
	s_and_saveexec_b64 s[10:11], s[4:5]
	s_xor_b64 s[4:5], exec, s[10:11]
	s_cbranch_execz .LBB379_689
; %bb.688:                              ;   in Loop: Header=BB379_555 Depth=1
	v_bfe_u32 v14, v11, 16, 1
	v_add3_u32 v11, v11, v14, s15
	scratch_store_dword off, v11, s32 offset:252 ; 4-byte Folded Spill
                                        ; implicit-def: $vgpr11
.LBB379_689:                            ;   in Loop: Header=BB379_555 Depth=1
	s_andn2_saveexec_b64 s[10:11], s[4:5]
	s_cbranch_execz .LBB379_691
; %bb.690:                              ;   in Loop: Header=BB379_555 Depth=1
	v_or_b32_e32 v14, 0x10000, v11
	v_cmp_eq_u32_sdwa s[4:5], v11, v27 src0_sel:WORD_0 src1_sel:DWORD
	s_nop 1
	v_cndmask_b32_e64 v11, v14, v11, s[4:5]
	scratch_store_dword off, v11, s32 offset:252 ; 4-byte Folded Spill
.LBB379_691:                            ;   in Loop: Header=BB379_555 Depth=1
	s_or_b64 exec, exec, s[10:11]
	v_lshlrev_b32_e32 v10, 16, v10
	v_mul_f32_e32 v10, v37, v10
	v_and_b32_e32 v11, 0x7f800000, v10
	v_cmp_ne_u32_e64 s[4:5], s12, v11
                                        ; implicit-def: $vgpr11
                                        ; kill: killed $vgpr11
	s_and_saveexec_b64 s[10:11], s[4:5]
	s_xor_b64 s[4:5], exec, s[10:11]
	s_cbranch_execz .LBB379_693
; %bb.692:                              ;   in Loop: Header=BB379_555 Depth=1
	v_bfe_u32 v11, v10, 16, 1
	v_add3_u32 v10, v10, v11, s15
	scratch_store_dword off, v10, s32 offset:256 ; 4-byte Folded Spill
                                        ; implicit-def: $vgpr10
.LBB379_693:                            ;   in Loop: Header=BB379_555 Depth=1
	s_andn2_saveexec_b64 s[10:11], s[4:5]
	s_cbranch_execz .LBB379_695
; %bb.694:                              ;   in Loop: Header=BB379_555 Depth=1
	v_or_b32_e32 v11, 0x10000, v10
	v_cmp_eq_u32_sdwa s[4:5], v10, v27 src0_sel:WORD_0 src1_sel:DWORD
	s_nop 1
	v_cndmask_b32_e64 v10, v11, v10, s[4:5]
	scratch_store_dword off, v10, s32 offset:256 ; 4-byte Folded Spill
.LBB379_695:                            ;   in Loop: Header=BB379_555 Depth=1
	s_or_b64 exec, exec, s[10:11]
	v_lshlrev_b32_e32 v8, 16, v8
	v_mul_f32_e32 v8, v38, v8
	v_and_b32_e32 v10, 0x7f800000, v8
	v_cmp_ne_u32_e64 s[4:5], s12, v10
                                        ; implicit-def: $vgpr10
                                        ; kill: killed $vgpr10
	s_and_saveexec_b64 s[10:11], s[4:5]
	s_xor_b64 s[4:5], exec, s[10:11]
	s_cbranch_execz .LBB379_697
; %bb.696:                              ;   in Loop: Header=BB379_555 Depth=1
	v_bfe_u32 v10, v8, 16, 1
	v_add3_u32 v8, v8, v10, s15
	scratch_store_dword off, v8, s32 offset:264 ; 4-byte Folded Spill
                                        ; implicit-def: $vgpr8
.LBB379_697:                            ;   in Loop: Header=BB379_555 Depth=1
	s_andn2_saveexec_b64 s[10:11], s[4:5]
	s_cbranch_execz .LBB379_699
; %bb.698:                              ;   in Loop: Header=BB379_555 Depth=1
	v_or_b32_e32 v10, 0x10000, v8
	v_cmp_eq_u32_sdwa s[4:5], v8, v27 src0_sel:WORD_0 src1_sel:DWORD
	s_nop 1
	v_cndmask_b32_e64 v8, v10, v8, s[4:5]
	scratch_store_dword off, v8, s32 offset:264 ; 4-byte Folded Spill
.LBB379_699:                            ;   in Loop: Header=BB379_555 Depth=1
	s_or_b64 exec, exec, s[10:11]
	v_lshlrev_b32_e32 v8, 16, v9
	v_mul_f32_e32 v8, v39, v8
	v_and_b32_e32 v9, 0x7f800000, v8
	v_cmp_ne_u32_e64 s[4:5], s12, v9
                                        ; implicit-def: $vgpr9
                                        ; kill: killed $vgpr9
	s_and_saveexec_b64 s[10:11], s[4:5]
	s_xor_b64 s[4:5], exec, s[10:11]
	s_cbranch_execz .LBB379_701
; %bb.700:                              ;   in Loop: Header=BB379_555 Depth=1
	v_bfe_u32 v9, v8, 16, 1
	v_add3_u32 v8, v8, v9, s15
	scratch_store_dword off, v8, s32 offset:268 ; 4-byte Folded Spill
                                        ; implicit-def: $vgpr8
.LBB379_701:                            ;   in Loop: Header=BB379_555 Depth=1
	s_andn2_saveexec_b64 s[10:11], s[4:5]
	s_cbranch_execz .LBB379_703
; %bb.702:                              ;   in Loop: Header=BB379_555 Depth=1
	v_or_b32_e32 v9, 0x10000, v8
	v_cmp_eq_u32_sdwa s[4:5], v8, v27 src0_sel:WORD_0 src1_sel:DWORD
	s_nop 1
	v_cndmask_b32_e64 v8, v9, v8, s[4:5]
	scratch_store_dword off, v8, s32 offset:268 ; 4-byte Folded Spill
.LBB379_703:                            ;   in Loop: Header=BB379_555 Depth=1
	s_or_b64 exec, exec, s[10:11]
	v_lshlrev_b32_e32 v7, 16, v7
	v_mul_f32_e32 v7, v48, v7
	v_and_b32_e32 v8, 0x7f800000, v7
	v_cmp_ne_u32_e64 s[4:5], s12, v8
                                        ; implicit-def: $vgpr8
                                        ; kill: killed $vgpr8
	s_and_saveexec_b64 s[10:11], s[4:5]
	s_xor_b64 s[4:5], exec, s[10:11]
	s_cbranch_execz .LBB379_705
; %bb.704:                              ;   in Loop: Header=BB379_555 Depth=1
	v_bfe_u32 v8, v7, 16, 1
	v_add3_u32 v7, v7, v8, s15
	scratch_store_dword off, v7, s32 offset:272 ; 4-byte Folded Spill
                                        ; implicit-def: $vgpr7
.LBB379_705:                            ;   in Loop: Header=BB379_555 Depth=1
	s_andn2_saveexec_b64 s[10:11], s[4:5]
	s_cbranch_execz .LBB379_707
; %bb.706:                              ;   in Loop: Header=BB379_555 Depth=1
	v_or_b32_e32 v8, 0x10000, v7
	v_cmp_eq_u32_sdwa s[4:5], v7, v27 src0_sel:WORD_0 src1_sel:DWORD
	s_nop 1
	v_cndmask_b32_e64 v7, v8, v7, s[4:5]
	scratch_store_dword off, v7, s32 offset:272 ; 4-byte Folded Spill
.LBB379_707:                            ;   in Loop: Header=BB379_555 Depth=1
	s_or_b64 exec, exec, s[10:11]
	v_lshlrev_b32_e32 v6, 16, v6
	v_mul_f32_e32 v6, v49, v6
	v_and_b32_e32 v7, 0x7f800000, v6
	v_cmp_ne_u32_e64 s[4:5], s12, v7
                                        ; implicit-def: $vgpr7
                                        ; kill: killed $vgpr7
	s_and_saveexec_b64 s[10:11], s[4:5]
	s_xor_b64 s[4:5], exec, s[10:11]
	s_cbranch_execz .LBB379_709
; %bb.708:                              ;   in Loop: Header=BB379_555 Depth=1
	v_bfe_u32 v7, v6, 16, 1
	v_add3_u32 v6, v6, v7, s15
	scratch_store_dword off, v6, s32 offset:276 ; 4-byte Folded Spill
                                        ; implicit-def: $vgpr6
.LBB379_709:                            ;   in Loop: Header=BB379_555 Depth=1
	s_andn2_saveexec_b64 s[10:11], s[4:5]
	s_cbranch_execz .LBB379_711
; %bb.710:                              ;   in Loop: Header=BB379_555 Depth=1
	v_or_b32_e32 v7, 0x10000, v6
	v_cmp_eq_u32_sdwa s[4:5], v6, v27 src0_sel:WORD_0 src1_sel:DWORD
	s_nop 1
	v_cndmask_b32_e64 v6, v7, v6, s[4:5]
	scratch_store_dword off, v6, s32 offset:276 ; 4-byte Folded Spill
.LBB379_711:                            ;   in Loop: Header=BB379_555 Depth=1
	s_or_b64 exec, exec, s[10:11]
	v_lshlrev_b32_e32 v5, 16, v5
	v_mul_f32_e32 v5, v50, v5
	v_and_b32_e32 v6, 0x7f800000, v5
	v_cmp_ne_u32_e64 s[4:5], s12, v6
                                        ; implicit-def: $vgpr6
                                        ; kill: killed $vgpr6
	s_and_saveexec_b64 s[10:11], s[4:5]
	s_xor_b64 s[4:5], exec, s[10:11]
	s_cbranch_execz .LBB379_713
; %bb.712:                              ;   in Loop: Header=BB379_555 Depth=1
	v_bfe_u32 v6, v5, 16, 1
	v_add3_u32 v5, v5, v6, s15
	scratch_store_dword off, v5, s32 offset:280 ; 4-byte Folded Spill
                                        ; implicit-def: $vgpr5
.LBB379_713:                            ;   in Loop: Header=BB379_555 Depth=1
	s_andn2_saveexec_b64 s[10:11], s[4:5]
	s_cbranch_execz .LBB379_715
; %bb.714:                              ;   in Loop: Header=BB379_555 Depth=1
	v_or_b32_e32 v6, 0x10000, v5
	v_cmp_eq_u32_sdwa s[4:5], v5, v27 src0_sel:WORD_0 src1_sel:DWORD
	s_nop 1
	v_cndmask_b32_e64 v5, v6, v5, s[4:5]
	scratch_store_dword off, v5, s32 offset:280 ; 4-byte Folded Spill
.LBB379_715:                            ;   in Loop: Header=BB379_555 Depth=1
	s_or_b64 exec, exec, s[10:11]
	v_lshlrev_b32_e32 v4, 16, v4
	v_mul_f32_e32 v4, v51, v4
	v_and_b32_e32 v5, 0x7f800000, v4
	v_cmp_ne_u32_e64 s[4:5], s12, v5
                                        ; implicit-def: $vgpr5
                                        ; kill: killed $vgpr5
	s_and_saveexec_b64 s[10:11], s[4:5]
	s_xor_b64 s[4:5], exec, s[10:11]
	s_cbranch_execz .LBB379_717
; %bb.716:                              ;   in Loop: Header=BB379_555 Depth=1
	v_bfe_u32 v5, v4, 16, 1
	v_add3_u32 v4, v4, v5, s15
	scratch_store_dword off, v4, s32 offset:284 ; 4-byte Folded Spill
                                        ; implicit-def: $vgpr4
.LBB379_717:                            ;   in Loop: Header=BB379_555 Depth=1
	s_andn2_saveexec_b64 s[10:11], s[4:5]
	s_cbranch_execz .LBB379_719
; %bb.718:                              ;   in Loop: Header=BB379_555 Depth=1
	v_or_b32_e32 v5, 0x10000, v4
	v_cmp_eq_u32_sdwa s[4:5], v4, v27 src0_sel:WORD_0 src1_sel:DWORD
	s_nop 1
	v_cndmask_b32_e64 v4, v5, v4, s[4:5]
	scratch_store_dword off, v4, s32 offset:284 ; 4-byte Folded Spill
.LBB379_719:                            ;   in Loop: Header=BB379_555 Depth=1
	s_or_b64 exec, exec, s[10:11]
	flat_load_dwordx2 v[6:7], v[2:3] offset:1024
	s_waitcnt vmcnt(0) lgkmcnt(0)
	v_and_b32_e32 v4, 0xff, v6
	v_cvt_f32_fp8_sdwa v4, v4 src0_sel:BYTE_0
	s_nop 0
	v_mul_f32_e32 v5, v23, v4
	v_and_b32_e32 v4, 0x7f800000, v5
	v_cmp_ne_u32_e64 s[4:5], s12, v4
                                        ; implicit-def: $vgpr4
	s_and_saveexec_b64 s[10:11], s[4:5]
	s_xor_b64 s[4:5], exec, s[10:11]
; %bb.720:                              ;   in Loop: Header=BB379_555 Depth=1
	v_bfe_u32 v4, v5, 16, 1
	v_add3_u32 v4, v5, v4, s15
                                        ; implicit-def: $vgpr5
; %bb.721:                              ;   in Loop: Header=BB379_555 Depth=1
	s_andn2_saveexec_b64 s[10:11], s[4:5]
; %bb.722:                              ;   in Loop: Header=BB379_555 Depth=1
	v_or_b32_e32 v4, 0x10000, v5
	v_cmp_eq_u32_sdwa s[4:5], v5, v27 src0_sel:WORD_0 src1_sel:DWORD
	s_nop 1
	v_cndmask_b32_e64 v4, v4, v5, s[4:5]
; %bb.723:                              ;   in Loop: Header=BB379_555 Depth=1
	s_or_b64 exec, exec, s[10:11]
	v_bfe_u32 v5, v6, 8, 8
	v_cvt_f32_fp8_sdwa v5, v5 src0_sel:BYTE_0
	s_nop 0
	v_mul_f32_e32 v8, v23, v5
	v_and_b32_e32 v5, 0x7f800000, v8
	v_cmp_ne_u32_e64 s[4:5], s12, v5
                                        ; implicit-def: $vgpr5
	s_and_saveexec_b64 s[10:11], s[4:5]
	s_xor_b64 s[4:5], exec, s[10:11]
; %bb.724:                              ;   in Loop: Header=BB379_555 Depth=1
	v_bfe_u32 v5, v8, 16, 1
	v_add3_u32 v5, v8, v5, s15
                                        ; implicit-def: $vgpr8
; %bb.725:                              ;   in Loop: Header=BB379_555 Depth=1
	s_andn2_saveexec_b64 s[10:11], s[4:5]
; %bb.726:                              ;   in Loop: Header=BB379_555 Depth=1
	v_or_b32_e32 v5, 0x10000, v8
	v_cmp_eq_u32_sdwa s[4:5], v8, v27 src0_sel:WORD_0 src1_sel:DWORD
	s_nop 1
	v_cndmask_b32_e64 v5, v5, v8, s[4:5]
; %bb.727:                              ;   in Loop: Header=BB379_555 Depth=1
	s_or_b64 exec, exec, s[10:11]
	v_bfe_u32 v8, v6, 16, 8
	v_cvt_f32_fp8_sdwa v8, v8 src0_sel:BYTE_0
	s_nop 0
	v_mul_f32_e32 v9, v23, v8
	v_and_b32_e32 v8, 0x7f800000, v9
	v_cmp_ne_u32_e64 s[4:5], s12, v8
                                        ; implicit-def: $vgpr8
	s_and_saveexec_b64 s[10:11], s[4:5]
	s_xor_b64 s[4:5], exec, s[10:11]
; %bb.728:                              ;   in Loop: Header=BB379_555 Depth=1
	v_bfe_u32 v8, v9, 16, 1
	v_add3_u32 v8, v9, v8, s15
                                        ; implicit-def: $vgpr9
; %bb.729:                              ;   in Loop: Header=BB379_555 Depth=1
	s_andn2_saveexec_b64 s[10:11], s[4:5]
; %bb.730:                              ;   in Loop: Header=BB379_555 Depth=1
	v_or_b32_e32 v8, 0x10000, v9
	v_cmp_eq_u32_sdwa s[4:5], v9, v27 src0_sel:WORD_0 src1_sel:DWORD
	s_nop 1
	v_cndmask_b32_e64 v8, v8, v9, s[4:5]
; %bb.731:                              ;   in Loop: Header=BB379_555 Depth=1
	s_or_b64 exec, exec, s[10:11]
	v_lshrrev_b32_e32 v6, 24, v6
	v_cvt_f32_fp8_sdwa v6, v6 src0_sel:BYTE_0
	s_nop 0
	v_mul_f32_e32 v6, v23, v6
	v_and_b32_e32 v9, 0x7f800000, v6
	v_cmp_ne_u32_e64 s[4:5], s12, v9
                                        ; implicit-def: $vgpr9
	s_and_saveexec_b64 s[10:11], s[4:5]
	s_xor_b64 s[4:5], exec, s[10:11]
; %bb.732:                              ;   in Loop: Header=BB379_555 Depth=1
	v_bfe_u32 v9, v6, 16, 1
	v_add3_u32 v9, v6, v9, s15
                                        ; implicit-def: $vgpr6
; %bb.733:                              ;   in Loop: Header=BB379_555 Depth=1
	s_andn2_saveexec_b64 s[10:11], s[4:5]
; %bb.734:                              ;   in Loop: Header=BB379_555 Depth=1
	v_or_b32_e32 v9, 0x10000, v6
	v_cmp_eq_u32_sdwa s[4:5], v6, v27 src0_sel:WORD_0 src1_sel:DWORD
	s_nop 1
	v_cndmask_b32_e64 v9, v9, v6, s[4:5]
; %bb.735:                              ;   in Loop: Header=BB379_555 Depth=1
	s_or_b64 exec, exec, s[10:11]
	v_and_b32_e32 v6, 0xff, v7
	v_cvt_f32_fp8_sdwa v6, v6 src0_sel:BYTE_0
	s_nop 0
	v_mul_f32_e32 v6, v23, v6
	v_and_b32_e32 v10, 0x7f800000, v6
	v_cmp_ne_u32_e64 s[4:5], s12, v10
                                        ; implicit-def: $vgpr10
	s_and_saveexec_b64 s[10:11], s[4:5]
	s_xor_b64 s[4:5], exec, s[10:11]
; %bb.736:                              ;   in Loop: Header=BB379_555 Depth=1
	v_bfe_u32 v10, v6, 16, 1
	v_add3_u32 v10, v6, v10, s15
                                        ; implicit-def: $vgpr6
; %bb.737:                              ;   in Loop: Header=BB379_555 Depth=1
	s_andn2_saveexec_b64 s[10:11], s[4:5]
; %bb.738:                              ;   in Loop: Header=BB379_555 Depth=1
	v_or_b32_e32 v10, 0x10000, v6
	v_cmp_eq_u32_sdwa s[4:5], v6, v27 src0_sel:WORD_0 src1_sel:DWORD
	s_nop 1
	v_cndmask_b32_e64 v10, v10, v6, s[4:5]
; %bb.739:                              ;   in Loop: Header=BB379_555 Depth=1
	s_or_b64 exec, exec, s[10:11]
	v_bfe_u32 v6, v7, 8, 8
	v_cvt_f32_fp8_sdwa v6, v6 src0_sel:BYTE_0
	s_nop 0
	v_mul_f32_e32 v11, v23, v6
	v_and_b32_e32 v6, 0x7f800000, v11
	v_cmp_ne_u32_e64 s[4:5], s12, v6
                                        ; implicit-def: $vgpr6
	s_and_saveexec_b64 s[10:11], s[4:5]
	s_xor_b64 s[4:5], exec, s[10:11]
; %bb.740:                              ;   in Loop: Header=BB379_555 Depth=1
	v_bfe_u32 v6, v11, 16, 1
	v_add3_u32 v6, v11, v6, s15
                                        ; implicit-def: $vgpr11
; %bb.741:                              ;   in Loop: Header=BB379_555 Depth=1
	s_andn2_saveexec_b64 s[10:11], s[4:5]
; %bb.742:                              ;   in Loop: Header=BB379_555 Depth=1
	v_or_b32_e32 v6, 0x10000, v11
	v_cmp_eq_u32_sdwa s[4:5], v11, v27 src0_sel:WORD_0 src1_sel:DWORD
	s_nop 1
	v_cndmask_b32_e64 v6, v6, v11, s[4:5]
; %bb.743:                              ;   in Loop: Header=BB379_555 Depth=1
	s_or_b64 exec, exec, s[10:11]
	v_bfe_u32 v11, v7, 16, 8
	v_cvt_f32_fp8_sdwa v11, v11 src0_sel:BYTE_0
	s_nop 0
	v_mul_f32_e32 v14, v23, v11
	v_and_b32_e32 v11, 0x7f800000, v14
	v_cmp_ne_u32_e64 s[4:5], s12, v11
                                        ; implicit-def: $vgpr11
	s_and_saveexec_b64 s[10:11], s[4:5]
	s_xor_b64 s[4:5], exec, s[10:11]
; %bb.744:                              ;   in Loop: Header=BB379_555 Depth=1
	v_bfe_u32 v11, v14, 16, 1
	v_add3_u32 v11, v14, v11, s15
                                        ; implicit-def: $vgpr14
; %bb.745:                              ;   in Loop: Header=BB379_555 Depth=1
	s_andn2_saveexec_b64 s[10:11], s[4:5]
; %bb.746:                              ;   in Loop: Header=BB379_555 Depth=1
	v_or_b32_e32 v11, 0x10000, v14
	v_cmp_eq_u32_sdwa s[4:5], v14, v27 src0_sel:WORD_0 src1_sel:DWORD
	s_nop 1
	v_cndmask_b32_e64 v11, v11, v14, s[4:5]
; %bb.747:                              ;   in Loop: Header=BB379_555 Depth=1
	s_or_b64 exec, exec, s[10:11]
	v_lshrrev_b32_e32 v7, 24, v7
	v_cvt_f32_fp8_sdwa v7, v7 src0_sel:BYTE_0
                                        ; implicit-def: $vgpr15
	s_nop 0
	v_mul_f32_e32 v7, v23, v7
	v_and_b32_e32 v14, 0x7f800000, v7
	v_cmp_ne_u32_e64 s[4:5], s12, v14
	s_and_saveexec_b64 s[10:11], s[4:5]
	s_xor_b64 s[4:5], exec, s[10:11]
; %bb.748:                              ;   in Loop: Header=BB379_555 Depth=1
	v_bfe_u32 v14, v7, 16, 1
	v_add3_u32 v15, v7, v14, s15
                                        ; implicit-def: $vgpr7
; %bb.749:                              ;   in Loop: Header=BB379_555 Depth=1
	s_andn2_saveexec_b64 s[10:11], s[4:5]
; %bb.750:                              ;   in Loop: Header=BB379_555 Depth=1
	v_or_b32_e32 v14, 0x10000, v7
	v_cmp_eq_u32_sdwa s[4:5], v7, v27 src0_sel:WORD_0 src1_sel:DWORD
	s_nop 1
	v_cndmask_b32_e64 v15, v14, v7, s[4:5]
; %bb.751:                              ;   in Loop: Header=BB379_555 Depth=1
	s_or_b64 exec, exec, s[10:11]
	v_lshrrev_b32_e32 v6, 16, v6
	v_lshrrev_b32_e32 v7, 16, v10
	;; [unrolled: 1-line block ×8, first 2 shown]
	s_and_saveexec_b64 s[10:11], vcc
	s_cbranch_execz .LBB379_753
; %bb.752:                              ;   in Loop: Header=BB379_555 Depth=1
	v_accvgpr_read_b32 v11, a40
	v_cmp_lt_i32_e64 s[4:5], v11, v45
	v_accvgpr_read_b32 v11, a46
	s_nop 0
	v_cndmask_b32_e64 v14, 0, v14, s[4:5]
	v_cmp_lt_i32_e64 s[4:5], v11, v45
	v_accvgpr_read_b32 v11, a45
	s_nop 0
	v_cndmask_b32_e64 v10, 0, v10, s[4:5]
	;; [unrolled: 4-line block ×6, first 2 shown]
	v_cmp_lt_i32_e64 s[4:5], v11, v45
	s_nop 1
	v_cndmask_b32_e64 v5, 0, v5, s[4:5]
	v_cmp_lt_i32_e64 s[4:5], v17, v45
	s_nop 1
	v_cndmask_b32_e64 v4, 0, v4, s[4:5]
.LBB379_753:                            ;   in Loop: Header=BB379_555 Depth=1
	s_or_b64 exec, exec, s[10:11]
	v_lshlrev_b32_e32 v11, 16, v14
	v_mul_f32_e32 v11, v36, v11
	v_and_b32_e32 v14, 0x7f800000, v11
	v_cmp_ne_u32_e64 s[4:5], s12, v14
                                        ; implicit-def: $vgpr14
                                        ; kill: killed $vgpr14
	s_and_saveexec_b64 s[10:11], s[4:5]
	s_xor_b64 s[4:5], exec, s[10:11]
	s_cbranch_execz .LBB379_755
; %bb.754:                              ;   in Loop: Header=BB379_555 Depth=1
	v_bfe_u32 v14, v11, 16, 1
	v_add3_u32 v11, v11, v14, s15
	scratch_store_dword off, v11, s32 offset:288 ; 4-byte Folded Spill
                                        ; implicit-def: $vgpr11
.LBB379_755:                            ;   in Loop: Header=BB379_555 Depth=1
	s_andn2_saveexec_b64 s[10:11], s[4:5]
	s_cbranch_execz .LBB379_757
; %bb.756:                              ;   in Loop: Header=BB379_555 Depth=1
	v_or_b32_e32 v14, 0x10000, v11
	v_cmp_eq_u32_sdwa s[4:5], v11, v27 src0_sel:WORD_0 src1_sel:DWORD
	s_nop 1
	v_cndmask_b32_e64 v11, v14, v11, s[4:5]
	scratch_store_dword off, v11, s32 offset:288 ; 4-byte Folded Spill
.LBB379_757:                            ;   in Loop: Header=BB379_555 Depth=1
	s_or_b64 exec, exec, s[10:11]
	v_lshlrev_b32_e32 v10, 16, v10
	v_mul_f32_e32 v10, v37, v10
	v_and_b32_e32 v11, 0x7f800000, v10
	v_cmp_ne_u32_e64 s[4:5], s12, v11
                                        ; implicit-def: $vgpr11
                                        ; kill: killed $vgpr11
	s_and_saveexec_b64 s[10:11], s[4:5]
	s_xor_b64 s[4:5], exec, s[10:11]
	s_cbranch_execz .LBB379_759
; %bb.758:                              ;   in Loop: Header=BB379_555 Depth=1
	v_bfe_u32 v11, v10, 16, 1
	v_add3_u32 v10, v10, v11, s15
	scratch_store_dword off, v10, s32 offset:292 ; 4-byte Folded Spill
                                        ; implicit-def: $vgpr10
.LBB379_759:                            ;   in Loop: Header=BB379_555 Depth=1
	s_andn2_saveexec_b64 s[10:11], s[4:5]
	s_cbranch_execz .LBB379_761
; %bb.760:                              ;   in Loop: Header=BB379_555 Depth=1
	v_or_b32_e32 v11, 0x10000, v10
	v_cmp_eq_u32_sdwa s[4:5], v10, v27 src0_sel:WORD_0 src1_sel:DWORD
	s_nop 1
	v_cndmask_b32_e64 v10, v11, v10, s[4:5]
	scratch_store_dword off, v10, s32 offset:292 ; 4-byte Folded Spill
.LBB379_761:                            ;   in Loop: Header=BB379_555 Depth=1
	s_or_b64 exec, exec, s[10:11]
	v_lshlrev_b32_e32 v8, 16, v8
	v_mul_f32_e32 v8, v38, v8
	v_and_b32_e32 v10, 0x7f800000, v8
	v_cmp_ne_u32_e64 s[4:5], s12, v10
                                        ; implicit-def: $vgpr10
                                        ; kill: killed $vgpr10
	s_and_saveexec_b64 s[10:11], s[4:5]
	s_xor_b64 s[4:5], exec, s[10:11]
	s_cbranch_execz .LBB379_763
; %bb.762:                              ;   in Loop: Header=BB379_555 Depth=1
	v_bfe_u32 v10, v8, 16, 1
	v_add3_u32 v8, v8, v10, s15
	scratch_store_dword off, v8, s32 offset:296 ; 4-byte Folded Spill
                                        ; implicit-def: $vgpr8
.LBB379_763:                            ;   in Loop: Header=BB379_555 Depth=1
	s_andn2_saveexec_b64 s[10:11], s[4:5]
	s_cbranch_execz .LBB379_765
; %bb.764:                              ;   in Loop: Header=BB379_555 Depth=1
	v_or_b32_e32 v10, 0x10000, v8
	v_cmp_eq_u32_sdwa s[4:5], v8, v27 src0_sel:WORD_0 src1_sel:DWORD
	s_nop 1
	v_cndmask_b32_e64 v8, v10, v8, s[4:5]
	scratch_store_dword off, v8, s32 offset:296 ; 4-byte Folded Spill
.LBB379_765:                            ;   in Loop: Header=BB379_555 Depth=1
	s_or_b64 exec, exec, s[10:11]
	v_lshlrev_b32_e32 v8, 16, v9
	v_mul_f32_e32 v8, v39, v8
	v_and_b32_e32 v9, 0x7f800000, v8
	v_cmp_ne_u32_e64 s[4:5], s12, v9
                                        ; implicit-def: $vgpr9
                                        ; kill: killed $vgpr9
	s_and_saveexec_b64 s[10:11], s[4:5]
	s_xor_b64 s[4:5], exec, s[10:11]
	s_cbranch_execz .LBB379_767
; %bb.766:                              ;   in Loop: Header=BB379_555 Depth=1
	v_bfe_u32 v9, v8, 16, 1
	v_add3_u32 v8, v8, v9, s15
	scratch_store_dword off, v8, s32 offset:300 ; 4-byte Folded Spill
                                        ; implicit-def: $vgpr8
.LBB379_767:                            ;   in Loop: Header=BB379_555 Depth=1
	s_andn2_saveexec_b64 s[10:11], s[4:5]
	s_cbranch_execz .LBB379_769
; %bb.768:                              ;   in Loop: Header=BB379_555 Depth=1
	v_or_b32_e32 v9, 0x10000, v8
	v_cmp_eq_u32_sdwa s[4:5], v8, v27 src0_sel:WORD_0 src1_sel:DWORD
	s_nop 1
	v_cndmask_b32_e64 v8, v9, v8, s[4:5]
	scratch_store_dword off, v8, s32 offset:300 ; 4-byte Folded Spill
.LBB379_769:                            ;   in Loop: Header=BB379_555 Depth=1
	s_or_b64 exec, exec, s[10:11]
	v_lshlrev_b32_e32 v7, 16, v7
	v_mul_f32_e32 v7, v48, v7
	v_and_b32_e32 v8, 0x7f800000, v7
	v_cmp_ne_u32_e64 s[4:5], s12, v8
                                        ; implicit-def: $vgpr8
                                        ; kill: killed $vgpr8
	s_and_saveexec_b64 s[10:11], s[4:5]
	s_xor_b64 s[4:5], exec, s[10:11]
	s_cbranch_execz .LBB379_771
; %bb.770:                              ;   in Loop: Header=BB379_555 Depth=1
	v_bfe_u32 v8, v7, 16, 1
	v_add3_u32 v7, v7, v8, s15
	scratch_store_dword off, v7, s32 offset:304 ; 4-byte Folded Spill
                                        ; implicit-def: $vgpr7
.LBB379_771:                            ;   in Loop: Header=BB379_555 Depth=1
	s_andn2_saveexec_b64 s[10:11], s[4:5]
	s_cbranch_execz .LBB379_773
; %bb.772:                              ;   in Loop: Header=BB379_555 Depth=1
	v_or_b32_e32 v8, 0x10000, v7
	v_cmp_eq_u32_sdwa s[4:5], v7, v27 src0_sel:WORD_0 src1_sel:DWORD
	s_nop 1
	v_cndmask_b32_e64 v7, v8, v7, s[4:5]
	scratch_store_dword off, v7, s32 offset:304 ; 4-byte Folded Spill
.LBB379_773:                            ;   in Loop: Header=BB379_555 Depth=1
	s_or_b64 exec, exec, s[10:11]
	v_lshlrev_b32_e32 v6, 16, v6
	v_mul_f32_e32 v6, v49, v6
	v_and_b32_e32 v7, 0x7f800000, v6
	v_cmp_ne_u32_e64 s[4:5], s12, v7
                                        ; implicit-def: $vgpr7
                                        ; kill: killed $vgpr7
	s_and_saveexec_b64 s[10:11], s[4:5]
	s_xor_b64 s[4:5], exec, s[10:11]
	s_cbranch_execz .LBB379_775
; %bb.774:                              ;   in Loop: Header=BB379_555 Depth=1
	v_bfe_u32 v7, v6, 16, 1
	v_add3_u32 v6, v6, v7, s15
	scratch_store_dword off, v6, s32 offset:308 ; 4-byte Folded Spill
                                        ; implicit-def: $vgpr6
.LBB379_775:                            ;   in Loop: Header=BB379_555 Depth=1
	s_andn2_saveexec_b64 s[10:11], s[4:5]
	s_cbranch_execz .LBB379_777
; %bb.776:                              ;   in Loop: Header=BB379_555 Depth=1
	v_or_b32_e32 v7, 0x10000, v6
	v_cmp_eq_u32_sdwa s[4:5], v6, v27 src0_sel:WORD_0 src1_sel:DWORD
	s_nop 1
	v_cndmask_b32_e64 v6, v7, v6, s[4:5]
	scratch_store_dword off, v6, s32 offset:308 ; 4-byte Folded Spill
.LBB379_777:                            ;   in Loop: Header=BB379_555 Depth=1
	s_or_b64 exec, exec, s[10:11]
	v_lshlrev_b32_e32 v5, 16, v5
	v_mul_f32_e32 v5, v50, v5
	v_and_b32_e32 v6, 0x7f800000, v5
	v_cmp_ne_u32_e64 s[4:5], s12, v6
                                        ; implicit-def: $vgpr6
                                        ; kill: killed $vgpr6
	s_and_saveexec_b64 s[10:11], s[4:5]
	s_xor_b64 s[4:5], exec, s[10:11]
	s_cbranch_execz .LBB379_779
; %bb.778:                              ;   in Loop: Header=BB379_555 Depth=1
	v_bfe_u32 v6, v5, 16, 1
	v_add3_u32 v5, v5, v6, s15
	scratch_store_dword off, v5, s32 offset:312 ; 4-byte Folded Spill
                                        ; implicit-def: $vgpr5
.LBB379_779:                            ;   in Loop: Header=BB379_555 Depth=1
	s_andn2_saveexec_b64 s[10:11], s[4:5]
	s_cbranch_execz .LBB379_781
; %bb.780:                              ;   in Loop: Header=BB379_555 Depth=1
	v_or_b32_e32 v6, 0x10000, v5
	v_cmp_eq_u32_sdwa s[4:5], v5, v27 src0_sel:WORD_0 src1_sel:DWORD
	s_nop 1
	v_cndmask_b32_e64 v5, v6, v5, s[4:5]
	scratch_store_dword off, v5, s32 offset:312 ; 4-byte Folded Spill
.LBB379_781:                            ;   in Loop: Header=BB379_555 Depth=1
	s_or_b64 exec, exec, s[10:11]
	v_lshlrev_b32_e32 v4, 16, v4
	v_mul_f32_e32 v4, v51, v4
	v_and_b32_e32 v5, 0x7f800000, v4
	v_cmp_ne_u32_e64 s[4:5], s12, v5
                                        ; implicit-def: $vgpr5
                                        ; kill: killed $vgpr5
	s_and_saveexec_b64 s[10:11], s[4:5]
	s_xor_b64 s[4:5], exec, s[10:11]
	s_cbranch_execz .LBB379_783
; %bb.782:                              ;   in Loop: Header=BB379_555 Depth=1
	v_bfe_u32 v5, v4, 16, 1
	v_add3_u32 v4, v4, v5, s15
	scratch_store_dword off, v4, s32 offset:316 ; 4-byte Folded Spill
                                        ; implicit-def: $vgpr4
.LBB379_783:                            ;   in Loop: Header=BB379_555 Depth=1
	s_andn2_saveexec_b64 s[10:11], s[4:5]
	s_cbranch_execz .LBB379_785
; %bb.784:                              ;   in Loop: Header=BB379_555 Depth=1
	v_or_b32_e32 v5, 0x10000, v4
	v_cmp_eq_u32_sdwa s[4:5], v4, v27 src0_sel:WORD_0 src1_sel:DWORD
	s_nop 1
	v_cndmask_b32_e64 v4, v5, v4, s[4:5]
	scratch_store_dword off, v4, s32 offset:316 ; 4-byte Folded Spill
.LBB379_785:                            ;   in Loop: Header=BB379_555 Depth=1
	s_or_b64 exec, exec, s[10:11]
	flat_load_dwordx2 v[6:7], v[2:3] offset:1536
	s_waitcnt vmcnt(0) lgkmcnt(0)
	v_and_b32_e32 v4, 0xff, v6
	v_cvt_f32_fp8_sdwa v4, v4 src0_sel:BYTE_0
	s_nop 0
	v_mul_f32_e32 v5, v23, v4
	v_and_b32_e32 v4, 0x7f800000, v5
	v_cmp_ne_u32_e64 s[4:5], s12, v4
                                        ; implicit-def: $vgpr4
	s_and_saveexec_b64 s[10:11], s[4:5]
	s_xor_b64 s[4:5], exec, s[10:11]
; %bb.786:                              ;   in Loop: Header=BB379_555 Depth=1
	v_bfe_u32 v4, v5, 16, 1
	v_add3_u32 v4, v5, v4, s15
                                        ; implicit-def: $vgpr5
; %bb.787:                              ;   in Loop: Header=BB379_555 Depth=1
	s_andn2_saveexec_b64 s[10:11], s[4:5]
; %bb.788:                              ;   in Loop: Header=BB379_555 Depth=1
	v_or_b32_e32 v4, 0x10000, v5
	v_cmp_eq_u32_sdwa s[4:5], v5, v27 src0_sel:WORD_0 src1_sel:DWORD
	s_nop 1
	v_cndmask_b32_e64 v4, v4, v5, s[4:5]
; %bb.789:                              ;   in Loop: Header=BB379_555 Depth=1
	s_or_b64 exec, exec, s[10:11]
	v_bfe_u32 v5, v6, 8, 8
	v_cvt_f32_fp8_sdwa v5, v5 src0_sel:BYTE_0
	s_nop 0
	v_mul_f32_e32 v8, v23, v5
	v_and_b32_e32 v5, 0x7f800000, v8
	v_cmp_ne_u32_e64 s[4:5], s12, v5
                                        ; implicit-def: $vgpr5
	s_and_saveexec_b64 s[10:11], s[4:5]
	s_xor_b64 s[4:5], exec, s[10:11]
; %bb.790:                              ;   in Loop: Header=BB379_555 Depth=1
	v_bfe_u32 v5, v8, 16, 1
	v_add3_u32 v5, v8, v5, s15
                                        ; implicit-def: $vgpr8
; %bb.791:                              ;   in Loop: Header=BB379_555 Depth=1
	s_andn2_saveexec_b64 s[10:11], s[4:5]
; %bb.792:                              ;   in Loop: Header=BB379_555 Depth=1
	v_or_b32_e32 v5, 0x10000, v8
	v_cmp_eq_u32_sdwa s[4:5], v8, v27 src0_sel:WORD_0 src1_sel:DWORD
	s_nop 1
	v_cndmask_b32_e64 v5, v5, v8, s[4:5]
; %bb.793:                              ;   in Loop: Header=BB379_555 Depth=1
	s_or_b64 exec, exec, s[10:11]
	v_bfe_u32 v8, v6, 16, 8
	v_cvt_f32_fp8_sdwa v8, v8 src0_sel:BYTE_0
	s_nop 0
	v_mul_f32_e32 v9, v23, v8
	v_and_b32_e32 v8, 0x7f800000, v9
	v_cmp_ne_u32_e64 s[4:5], s12, v8
                                        ; implicit-def: $vgpr8
	s_and_saveexec_b64 s[10:11], s[4:5]
	s_xor_b64 s[4:5], exec, s[10:11]
; %bb.794:                              ;   in Loop: Header=BB379_555 Depth=1
	v_bfe_u32 v8, v9, 16, 1
	v_add3_u32 v8, v9, v8, s15
                                        ; implicit-def: $vgpr9
; %bb.795:                              ;   in Loop: Header=BB379_555 Depth=1
	s_andn2_saveexec_b64 s[10:11], s[4:5]
; %bb.796:                              ;   in Loop: Header=BB379_555 Depth=1
	v_or_b32_e32 v8, 0x10000, v9
	v_cmp_eq_u32_sdwa s[4:5], v9, v27 src0_sel:WORD_0 src1_sel:DWORD
	s_nop 1
	v_cndmask_b32_e64 v8, v8, v9, s[4:5]
; %bb.797:                              ;   in Loop: Header=BB379_555 Depth=1
	s_or_b64 exec, exec, s[10:11]
	v_lshrrev_b32_e32 v6, 24, v6
	v_cvt_f32_fp8_sdwa v6, v6 src0_sel:BYTE_0
	s_nop 0
	v_mul_f32_e32 v6, v23, v6
	v_and_b32_e32 v9, 0x7f800000, v6
	v_cmp_ne_u32_e64 s[4:5], s12, v9
                                        ; implicit-def: $vgpr9
	s_and_saveexec_b64 s[10:11], s[4:5]
	s_xor_b64 s[4:5], exec, s[10:11]
; %bb.798:                              ;   in Loop: Header=BB379_555 Depth=1
	v_bfe_u32 v9, v6, 16, 1
	v_add3_u32 v9, v6, v9, s15
                                        ; implicit-def: $vgpr6
; %bb.799:                              ;   in Loop: Header=BB379_555 Depth=1
	s_andn2_saveexec_b64 s[10:11], s[4:5]
; %bb.800:                              ;   in Loop: Header=BB379_555 Depth=1
	v_or_b32_e32 v9, 0x10000, v6
	v_cmp_eq_u32_sdwa s[4:5], v6, v27 src0_sel:WORD_0 src1_sel:DWORD
	s_nop 1
	v_cndmask_b32_e64 v9, v9, v6, s[4:5]
; %bb.801:                              ;   in Loop: Header=BB379_555 Depth=1
	s_or_b64 exec, exec, s[10:11]
	v_and_b32_e32 v6, 0xff, v7
	v_cvt_f32_fp8_sdwa v6, v6 src0_sel:BYTE_0
	s_nop 0
	v_mul_f32_e32 v6, v23, v6
	v_and_b32_e32 v10, 0x7f800000, v6
	v_cmp_ne_u32_e64 s[4:5], s12, v10
                                        ; implicit-def: $vgpr10
	s_and_saveexec_b64 s[10:11], s[4:5]
	s_xor_b64 s[4:5], exec, s[10:11]
; %bb.802:                              ;   in Loop: Header=BB379_555 Depth=1
	v_bfe_u32 v10, v6, 16, 1
	v_add3_u32 v10, v6, v10, s15
                                        ; implicit-def: $vgpr6
; %bb.803:                              ;   in Loop: Header=BB379_555 Depth=1
	s_andn2_saveexec_b64 s[10:11], s[4:5]
; %bb.804:                              ;   in Loop: Header=BB379_555 Depth=1
	v_or_b32_e32 v10, 0x10000, v6
	v_cmp_eq_u32_sdwa s[4:5], v6, v27 src0_sel:WORD_0 src1_sel:DWORD
	s_nop 1
	v_cndmask_b32_e64 v10, v10, v6, s[4:5]
; %bb.805:                              ;   in Loop: Header=BB379_555 Depth=1
	s_or_b64 exec, exec, s[10:11]
	v_bfe_u32 v6, v7, 8, 8
	v_cvt_f32_fp8_sdwa v6, v6 src0_sel:BYTE_0
	s_nop 0
	v_mul_f32_e32 v11, v23, v6
	v_and_b32_e32 v6, 0x7f800000, v11
	v_cmp_ne_u32_e64 s[4:5], s12, v6
                                        ; implicit-def: $vgpr6
	s_and_saveexec_b64 s[10:11], s[4:5]
	s_xor_b64 s[4:5], exec, s[10:11]
; %bb.806:                              ;   in Loop: Header=BB379_555 Depth=1
	v_bfe_u32 v6, v11, 16, 1
	v_add3_u32 v6, v11, v6, s15
                                        ; implicit-def: $vgpr11
; %bb.807:                              ;   in Loop: Header=BB379_555 Depth=1
	s_andn2_saveexec_b64 s[10:11], s[4:5]
; %bb.808:                              ;   in Loop: Header=BB379_555 Depth=1
	v_or_b32_e32 v6, 0x10000, v11
	v_cmp_eq_u32_sdwa s[4:5], v11, v27 src0_sel:WORD_0 src1_sel:DWORD
	s_nop 1
	v_cndmask_b32_e64 v6, v6, v11, s[4:5]
; %bb.809:                              ;   in Loop: Header=BB379_555 Depth=1
	s_or_b64 exec, exec, s[10:11]
	v_bfe_u32 v11, v7, 16, 8
	v_cvt_f32_fp8_sdwa v11, v11 src0_sel:BYTE_0
	s_nop 0
	v_mul_f32_e32 v14, v23, v11
	v_and_b32_e32 v11, 0x7f800000, v14
	v_cmp_ne_u32_e64 s[4:5], s12, v11
                                        ; implicit-def: $vgpr11
	s_and_saveexec_b64 s[10:11], s[4:5]
	s_xor_b64 s[4:5], exec, s[10:11]
; %bb.810:                              ;   in Loop: Header=BB379_555 Depth=1
	v_bfe_u32 v11, v14, 16, 1
	v_add3_u32 v11, v14, v11, s15
                                        ; implicit-def: $vgpr14
; %bb.811:                              ;   in Loop: Header=BB379_555 Depth=1
	s_andn2_saveexec_b64 s[10:11], s[4:5]
; %bb.812:                              ;   in Loop: Header=BB379_555 Depth=1
	v_or_b32_e32 v11, 0x10000, v14
	v_cmp_eq_u32_sdwa s[4:5], v14, v27 src0_sel:WORD_0 src1_sel:DWORD
	s_nop 1
	v_cndmask_b32_e64 v11, v11, v14, s[4:5]
; %bb.813:                              ;   in Loop: Header=BB379_555 Depth=1
	s_or_b64 exec, exec, s[10:11]
	v_lshrrev_b32_e32 v7, 24, v7
	v_cvt_f32_fp8_sdwa v7, v7 src0_sel:BYTE_0
                                        ; implicit-def: $vgpr15
	s_nop 0
	v_mul_f32_e32 v7, v23, v7
	v_and_b32_e32 v14, 0x7f800000, v7
	v_cmp_ne_u32_e64 s[4:5], s12, v14
	s_and_saveexec_b64 s[10:11], s[4:5]
	s_xor_b64 s[4:5], exec, s[10:11]
; %bb.814:                              ;   in Loop: Header=BB379_555 Depth=1
	v_bfe_u32 v14, v7, 16, 1
	v_add3_u32 v15, v7, v14, s15
                                        ; implicit-def: $vgpr7
; %bb.815:                              ;   in Loop: Header=BB379_555 Depth=1
	s_andn2_saveexec_b64 s[10:11], s[4:5]
; %bb.816:                              ;   in Loop: Header=BB379_555 Depth=1
	v_or_b32_e32 v14, 0x10000, v7
	v_cmp_eq_u32_sdwa s[4:5], v7, v27 src0_sel:WORD_0 src1_sel:DWORD
	s_nop 1
	v_cndmask_b32_e64 v15, v14, v7, s[4:5]
; %bb.817:                              ;   in Loop: Header=BB379_555 Depth=1
	s_or_b64 exec, exec, s[10:11]
	v_lshrrev_b32_e32 v6, 16, v6
	v_lshrrev_b32_e32 v7, 16, v10
	;; [unrolled: 1-line block ×8, first 2 shown]
	s_and_saveexec_b64 s[10:11], vcc
	s_cbranch_execz .LBB379_819
; %bb.818:                              ;   in Loop: Header=BB379_555 Depth=1
	v_accvgpr_read_b32 v11, a40
	v_cmp_lt_i32_e64 s[4:5], v11, v45
	v_accvgpr_read_b32 v11, a46
	s_nop 0
	v_cndmask_b32_e64 v14, 0, v14, s[4:5]
	v_cmp_lt_i32_e64 s[4:5], v11, v45
	v_accvgpr_read_b32 v11, a45
	s_nop 0
	v_cndmask_b32_e64 v10, 0, v10, s[4:5]
	;; [unrolled: 4-line block ×6, first 2 shown]
	v_cmp_lt_i32_e64 s[4:5], v11, v45
	s_nop 1
	v_cndmask_b32_e64 v5, 0, v5, s[4:5]
	v_cmp_lt_i32_e64 s[4:5], v17, v45
	s_nop 1
	v_cndmask_b32_e64 v4, 0, v4, s[4:5]
.LBB379_819:                            ;   in Loop: Header=BB379_555 Depth=1
	s_or_b64 exec, exec, s[10:11]
	v_lshlrev_b32_e32 v11, 16, v14
	v_mul_f32_e32 v11, v36, v11
	v_and_b32_e32 v14, 0x7f800000, v11
	v_cmp_ne_u32_e64 s[4:5], s12, v14
                                        ; implicit-def: $vgpr14
                                        ; kill: killed $vgpr14
	s_and_saveexec_b64 s[10:11], s[4:5]
	s_xor_b64 s[4:5], exec, s[10:11]
	s_cbranch_execz .LBB379_821
; %bb.820:                              ;   in Loop: Header=BB379_555 Depth=1
	v_bfe_u32 v14, v11, 16, 1
	v_add3_u32 v11, v11, v14, s15
	scratch_store_dword off, v11, s32 offset:320 ; 4-byte Folded Spill
                                        ; implicit-def: $vgpr11
.LBB379_821:                            ;   in Loop: Header=BB379_555 Depth=1
	s_andn2_saveexec_b64 s[10:11], s[4:5]
	s_cbranch_execz .LBB379_823
; %bb.822:                              ;   in Loop: Header=BB379_555 Depth=1
	v_or_b32_e32 v14, 0x10000, v11
	v_cmp_eq_u32_sdwa s[4:5], v11, v27 src0_sel:WORD_0 src1_sel:DWORD
	s_nop 1
	v_cndmask_b32_e64 v11, v14, v11, s[4:5]
	scratch_store_dword off, v11, s32 offset:320 ; 4-byte Folded Spill
.LBB379_823:                            ;   in Loop: Header=BB379_555 Depth=1
	s_or_b64 exec, exec, s[10:11]
	v_lshlrev_b32_e32 v10, 16, v10
	v_mul_f32_e32 v10, v37, v10
	v_and_b32_e32 v11, 0x7f800000, v10
	v_cmp_ne_u32_e64 s[4:5], s12, v11
                                        ; implicit-def: $vgpr11
                                        ; kill: killed $vgpr11
	s_and_saveexec_b64 s[10:11], s[4:5]
	s_xor_b64 s[4:5], exec, s[10:11]
	s_cbranch_execz .LBB379_825
; %bb.824:                              ;   in Loop: Header=BB379_555 Depth=1
	v_bfe_u32 v11, v10, 16, 1
	v_add3_u32 v10, v10, v11, s15
	scratch_store_dword off, v10, s32 offset:324 ; 4-byte Folded Spill
                                        ; implicit-def: $vgpr10
.LBB379_825:                            ;   in Loop: Header=BB379_555 Depth=1
	s_andn2_saveexec_b64 s[10:11], s[4:5]
	s_cbranch_execz .LBB379_827
; %bb.826:                              ;   in Loop: Header=BB379_555 Depth=1
	v_or_b32_e32 v11, 0x10000, v10
	v_cmp_eq_u32_sdwa s[4:5], v10, v27 src0_sel:WORD_0 src1_sel:DWORD
	s_nop 1
	v_cndmask_b32_e64 v10, v11, v10, s[4:5]
	scratch_store_dword off, v10, s32 offset:324 ; 4-byte Folded Spill
.LBB379_827:                            ;   in Loop: Header=BB379_555 Depth=1
	s_or_b64 exec, exec, s[10:11]
	v_lshlrev_b32_e32 v8, 16, v8
	v_mul_f32_e32 v8, v38, v8
	v_and_b32_e32 v10, 0x7f800000, v8
	v_cmp_ne_u32_e64 s[4:5], s12, v10
                                        ; implicit-def: $vgpr10
                                        ; kill: killed $vgpr10
	s_and_saveexec_b64 s[10:11], s[4:5]
	s_xor_b64 s[4:5], exec, s[10:11]
	s_cbranch_execz .LBB379_829
; %bb.828:                              ;   in Loop: Header=BB379_555 Depth=1
	v_bfe_u32 v10, v8, 16, 1
	v_add3_u32 v8, v8, v10, s15
	scratch_store_dword off, v8, s32 offset:328 ; 4-byte Folded Spill
                                        ; implicit-def: $vgpr8
.LBB379_829:                            ;   in Loop: Header=BB379_555 Depth=1
	s_andn2_saveexec_b64 s[10:11], s[4:5]
	s_cbranch_execz .LBB379_831
; %bb.830:                              ;   in Loop: Header=BB379_555 Depth=1
	v_or_b32_e32 v10, 0x10000, v8
	v_cmp_eq_u32_sdwa s[4:5], v8, v27 src0_sel:WORD_0 src1_sel:DWORD
	s_nop 1
	v_cndmask_b32_e64 v8, v10, v8, s[4:5]
	scratch_store_dword off, v8, s32 offset:328 ; 4-byte Folded Spill
.LBB379_831:                            ;   in Loop: Header=BB379_555 Depth=1
	s_or_b64 exec, exec, s[10:11]
	v_lshlrev_b32_e32 v8, 16, v9
	v_mul_f32_e32 v8, v39, v8
	v_and_b32_e32 v9, 0x7f800000, v8
	v_cmp_ne_u32_e64 s[4:5], s12, v9
                                        ; implicit-def: $vgpr9
                                        ; kill: killed $vgpr9
	s_and_saveexec_b64 s[10:11], s[4:5]
	s_xor_b64 s[4:5], exec, s[10:11]
	s_cbranch_execz .LBB379_833
; %bb.832:                              ;   in Loop: Header=BB379_555 Depth=1
	v_bfe_u32 v9, v8, 16, 1
	v_add3_u32 v8, v8, v9, s15
	scratch_store_dword off, v8, s32 offset:332 ; 4-byte Folded Spill
                                        ; implicit-def: $vgpr8
.LBB379_833:                            ;   in Loop: Header=BB379_555 Depth=1
	s_andn2_saveexec_b64 s[10:11], s[4:5]
	s_cbranch_execz .LBB379_835
; %bb.834:                              ;   in Loop: Header=BB379_555 Depth=1
	v_or_b32_e32 v9, 0x10000, v8
	v_cmp_eq_u32_sdwa s[4:5], v8, v27 src0_sel:WORD_0 src1_sel:DWORD
	s_nop 1
	v_cndmask_b32_e64 v8, v9, v8, s[4:5]
	scratch_store_dword off, v8, s32 offset:332 ; 4-byte Folded Spill
.LBB379_835:                            ;   in Loop: Header=BB379_555 Depth=1
	s_or_b64 exec, exec, s[10:11]
	v_lshlrev_b32_e32 v7, 16, v7
	v_mul_f32_e32 v7, v48, v7
	v_and_b32_e32 v8, 0x7f800000, v7
	v_cmp_ne_u32_e64 s[4:5], s12, v8
                                        ; implicit-def: $vgpr8
                                        ; kill: killed $vgpr8
	s_and_saveexec_b64 s[10:11], s[4:5]
	s_xor_b64 s[4:5], exec, s[10:11]
	s_cbranch_execz .LBB379_837
; %bb.836:                              ;   in Loop: Header=BB379_555 Depth=1
	v_bfe_u32 v8, v7, 16, 1
	v_add3_u32 v7, v7, v8, s15
	scratch_store_dword off, v7, s32 offset:336 ; 4-byte Folded Spill
                                        ; implicit-def: $vgpr7
.LBB379_837:                            ;   in Loop: Header=BB379_555 Depth=1
	s_andn2_saveexec_b64 s[10:11], s[4:5]
	s_cbranch_execz .LBB379_839
; %bb.838:                              ;   in Loop: Header=BB379_555 Depth=1
	v_or_b32_e32 v8, 0x10000, v7
	v_cmp_eq_u32_sdwa s[4:5], v7, v27 src0_sel:WORD_0 src1_sel:DWORD
	s_nop 1
	v_cndmask_b32_e64 v7, v8, v7, s[4:5]
	scratch_store_dword off, v7, s32 offset:336 ; 4-byte Folded Spill
.LBB379_839:                            ;   in Loop: Header=BB379_555 Depth=1
	s_or_b64 exec, exec, s[10:11]
	v_lshlrev_b32_e32 v6, 16, v6
	v_mul_f32_e32 v6, v49, v6
	v_and_b32_e32 v7, 0x7f800000, v6
	v_cmp_ne_u32_e64 s[4:5], s12, v7
                                        ; implicit-def: $vgpr7
                                        ; kill: killed $vgpr7
	s_and_saveexec_b64 s[10:11], s[4:5]
	s_xor_b64 s[4:5], exec, s[10:11]
	s_cbranch_execz .LBB379_841
; %bb.840:                              ;   in Loop: Header=BB379_555 Depth=1
	v_bfe_u32 v7, v6, 16, 1
	v_add3_u32 v6, v6, v7, s15
	scratch_store_dword off, v6, s32 offset:340 ; 4-byte Folded Spill
                                        ; implicit-def: $vgpr6
.LBB379_841:                            ;   in Loop: Header=BB379_555 Depth=1
	s_andn2_saveexec_b64 s[10:11], s[4:5]
	s_cbranch_execz .LBB379_843
; %bb.842:                              ;   in Loop: Header=BB379_555 Depth=1
	v_or_b32_e32 v7, 0x10000, v6
	v_cmp_eq_u32_sdwa s[4:5], v6, v27 src0_sel:WORD_0 src1_sel:DWORD
	s_nop 1
	v_cndmask_b32_e64 v6, v7, v6, s[4:5]
	scratch_store_dword off, v6, s32 offset:340 ; 4-byte Folded Spill
.LBB379_843:                            ;   in Loop: Header=BB379_555 Depth=1
	s_or_b64 exec, exec, s[10:11]
	v_lshlrev_b32_e32 v5, 16, v5
	v_mul_f32_e32 v5, v50, v5
	v_and_b32_e32 v6, 0x7f800000, v5
	v_cmp_ne_u32_e64 s[4:5], s12, v6
                                        ; implicit-def: $vgpr6
                                        ; kill: killed $vgpr6
	s_and_saveexec_b64 s[10:11], s[4:5]
	s_xor_b64 s[4:5], exec, s[10:11]
	s_cbranch_execz .LBB379_845
; %bb.844:                              ;   in Loop: Header=BB379_555 Depth=1
	v_bfe_u32 v6, v5, 16, 1
	v_add3_u32 v5, v5, v6, s15
	scratch_store_dword off, v5, s32 offset:344 ; 4-byte Folded Spill
                                        ; implicit-def: $vgpr5
.LBB379_845:                            ;   in Loop: Header=BB379_555 Depth=1
	s_andn2_saveexec_b64 s[10:11], s[4:5]
	s_cbranch_execz .LBB379_847
; %bb.846:                              ;   in Loop: Header=BB379_555 Depth=1
	v_or_b32_e32 v6, 0x10000, v5
	v_cmp_eq_u32_sdwa s[4:5], v5, v27 src0_sel:WORD_0 src1_sel:DWORD
	s_nop 1
	v_cndmask_b32_e64 v5, v6, v5, s[4:5]
	scratch_store_dword off, v5, s32 offset:344 ; 4-byte Folded Spill
.LBB379_847:                            ;   in Loop: Header=BB379_555 Depth=1
	s_or_b64 exec, exec, s[10:11]
	v_lshlrev_b32_e32 v4, 16, v4
	v_mul_f32_e32 v4, v51, v4
	v_and_b32_e32 v5, 0x7f800000, v4
	v_cmp_ne_u32_e64 s[4:5], s12, v5
                                        ; implicit-def: $vgpr5
                                        ; kill: killed $vgpr5
	s_and_saveexec_b64 s[10:11], s[4:5]
	s_xor_b64 s[4:5], exec, s[10:11]
	s_cbranch_execz .LBB379_849
; %bb.848:                              ;   in Loop: Header=BB379_555 Depth=1
	v_bfe_u32 v5, v4, 16, 1
	v_add3_u32 v4, v4, v5, s15
	scratch_store_dword off, v4, s32 offset:348 ; 4-byte Folded Spill
                                        ; implicit-def: $vgpr4
.LBB379_849:                            ;   in Loop: Header=BB379_555 Depth=1
	s_andn2_saveexec_b64 s[10:11], s[4:5]
	s_cbranch_execz .LBB379_851
; %bb.850:                              ;   in Loop: Header=BB379_555 Depth=1
	v_or_b32_e32 v5, 0x10000, v4
	v_cmp_eq_u32_sdwa s[4:5], v4, v27 src0_sel:WORD_0 src1_sel:DWORD
	s_nop 1
	v_cndmask_b32_e64 v4, v5, v4, s[4:5]
	scratch_store_dword off, v4, s32 offset:348 ; 4-byte Folded Spill
.LBB379_851:                            ;   in Loop: Header=BB379_555 Depth=1
	s_or_b64 exec, exec, s[10:11]
	flat_load_dwordx2 v[6:7], v[2:3] offset:2048
	s_waitcnt vmcnt(0) lgkmcnt(0)
	v_and_b32_e32 v4, 0xff, v6
	v_cvt_f32_fp8_sdwa v4, v4 src0_sel:BYTE_0
	s_nop 0
	v_mul_f32_e32 v5, v23, v4
	v_and_b32_e32 v4, 0x7f800000, v5
	v_cmp_ne_u32_e64 s[4:5], s12, v4
                                        ; implicit-def: $vgpr4
	s_and_saveexec_b64 s[10:11], s[4:5]
	s_xor_b64 s[4:5], exec, s[10:11]
; %bb.852:                              ;   in Loop: Header=BB379_555 Depth=1
	v_bfe_u32 v4, v5, 16, 1
	v_add3_u32 v4, v5, v4, s15
                                        ; implicit-def: $vgpr5
; %bb.853:                              ;   in Loop: Header=BB379_555 Depth=1
	s_andn2_saveexec_b64 s[10:11], s[4:5]
; %bb.854:                              ;   in Loop: Header=BB379_555 Depth=1
	v_or_b32_e32 v4, 0x10000, v5
	v_cmp_eq_u32_sdwa s[4:5], v5, v27 src0_sel:WORD_0 src1_sel:DWORD
	s_nop 1
	v_cndmask_b32_e64 v4, v4, v5, s[4:5]
; %bb.855:                              ;   in Loop: Header=BB379_555 Depth=1
	s_or_b64 exec, exec, s[10:11]
	v_bfe_u32 v5, v6, 8, 8
	v_cvt_f32_fp8_sdwa v5, v5 src0_sel:BYTE_0
	s_nop 0
	v_mul_f32_e32 v8, v23, v5
	v_and_b32_e32 v5, 0x7f800000, v8
	v_cmp_ne_u32_e64 s[4:5], s12, v5
                                        ; implicit-def: $vgpr5
	s_and_saveexec_b64 s[10:11], s[4:5]
	s_xor_b64 s[4:5], exec, s[10:11]
; %bb.856:                              ;   in Loop: Header=BB379_555 Depth=1
	v_bfe_u32 v5, v8, 16, 1
	v_add3_u32 v5, v8, v5, s15
                                        ; implicit-def: $vgpr8
; %bb.857:                              ;   in Loop: Header=BB379_555 Depth=1
	s_andn2_saveexec_b64 s[10:11], s[4:5]
; %bb.858:                              ;   in Loop: Header=BB379_555 Depth=1
	v_or_b32_e32 v5, 0x10000, v8
	v_cmp_eq_u32_sdwa s[4:5], v8, v27 src0_sel:WORD_0 src1_sel:DWORD
	s_nop 1
	v_cndmask_b32_e64 v5, v5, v8, s[4:5]
; %bb.859:                              ;   in Loop: Header=BB379_555 Depth=1
	s_or_b64 exec, exec, s[10:11]
	v_bfe_u32 v8, v6, 16, 8
	v_cvt_f32_fp8_sdwa v8, v8 src0_sel:BYTE_0
	s_nop 0
	v_mul_f32_e32 v9, v23, v8
	v_and_b32_e32 v8, 0x7f800000, v9
	v_cmp_ne_u32_e64 s[4:5], s12, v8
                                        ; implicit-def: $vgpr8
	s_and_saveexec_b64 s[10:11], s[4:5]
	s_xor_b64 s[4:5], exec, s[10:11]
; %bb.860:                              ;   in Loop: Header=BB379_555 Depth=1
	v_bfe_u32 v8, v9, 16, 1
	v_add3_u32 v8, v9, v8, s15
                                        ; implicit-def: $vgpr9
; %bb.861:                              ;   in Loop: Header=BB379_555 Depth=1
	s_andn2_saveexec_b64 s[10:11], s[4:5]
; %bb.862:                              ;   in Loop: Header=BB379_555 Depth=1
	v_or_b32_e32 v8, 0x10000, v9
	v_cmp_eq_u32_sdwa s[4:5], v9, v27 src0_sel:WORD_0 src1_sel:DWORD
	s_nop 1
	v_cndmask_b32_e64 v8, v8, v9, s[4:5]
; %bb.863:                              ;   in Loop: Header=BB379_555 Depth=1
	s_or_b64 exec, exec, s[10:11]
	v_lshrrev_b32_e32 v6, 24, v6
	v_cvt_f32_fp8_sdwa v6, v6 src0_sel:BYTE_0
	s_nop 0
	v_mul_f32_e32 v6, v23, v6
	v_and_b32_e32 v9, 0x7f800000, v6
	v_cmp_ne_u32_e64 s[4:5], s12, v9
                                        ; implicit-def: $vgpr9
	s_and_saveexec_b64 s[10:11], s[4:5]
	s_xor_b64 s[4:5], exec, s[10:11]
; %bb.864:                              ;   in Loop: Header=BB379_555 Depth=1
	v_bfe_u32 v9, v6, 16, 1
	v_add3_u32 v9, v6, v9, s15
                                        ; implicit-def: $vgpr6
; %bb.865:                              ;   in Loop: Header=BB379_555 Depth=1
	s_andn2_saveexec_b64 s[10:11], s[4:5]
; %bb.866:                              ;   in Loop: Header=BB379_555 Depth=1
	v_or_b32_e32 v9, 0x10000, v6
	v_cmp_eq_u32_sdwa s[4:5], v6, v27 src0_sel:WORD_0 src1_sel:DWORD
	s_nop 1
	v_cndmask_b32_e64 v9, v9, v6, s[4:5]
; %bb.867:                              ;   in Loop: Header=BB379_555 Depth=1
	s_or_b64 exec, exec, s[10:11]
	v_and_b32_e32 v6, 0xff, v7
	v_cvt_f32_fp8_sdwa v6, v6 src0_sel:BYTE_0
	s_nop 0
	v_mul_f32_e32 v6, v23, v6
	v_and_b32_e32 v10, 0x7f800000, v6
	v_cmp_ne_u32_e64 s[4:5], s12, v10
                                        ; implicit-def: $vgpr10
	s_and_saveexec_b64 s[10:11], s[4:5]
	s_xor_b64 s[4:5], exec, s[10:11]
; %bb.868:                              ;   in Loop: Header=BB379_555 Depth=1
	v_bfe_u32 v10, v6, 16, 1
	v_add3_u32 v10, v6, v10, s15
                                        ; implicit-def: $vgpr6
; %bb.869:                              ;   in Loop: Header=BB379_555 Depth=1
	s_andn2_saveexec_b64 s[10:11], s[4:5]
; %bb.870:                              ;   in Loop: Header=BB379_555 Depth=1
	v_or_b32_e32 v10, 0x10000, v6
	v_cmp_eq_u32_sdwa s[4:5], v6, v27 src0_sel:WORD_0 src1_sel:DWORD
	s_nop 1
	v_cndmask_b32_e64 v10, v10, v6, s[4:5]
; %bb.871:                              ;   in Loop: Header=BB379_555 Depth=1
	s_or_b64 exec, exec, s[10:11]
	v_bfe_u32 v6, v7, 8, 8
	v_cvt_f32_fp8_sdwa v6, v6 src0_sel:BYTE_0
	s_nop 0
	v_mul_f32_e32 v11, v23, v6
	v_and_b32_e32 v6, 0x7f800000, v11
	v_cmp_ne_u32_e64 s[4:5], s12, v6
                                        ; implicit-def: $vgpr6
	s_and_saveexec_b64 s[10:11], s[4:5]
	s_xor_b64 s[4:5], exec, s[10:11]
; %bb.872:                              ;   in Loop: Header=BB379_555 Depth=1
	v_bfe_u32 v6, v11, 16, 1
	v_add3_u32 v6, v11, v6, s15
                                        ; implicit-def: $vgpr11
; %bb.873:                              ;   in Loop: Header=BB379_555 Depth=1
	s_andn2_saveexec_b64 s[10:11], s[4:5]
; %bb.874:                              ;   in Loop: Header=BB379_555 Depth=1
	v_or_b32_e32 v6, 0x10000, v11
	v_cmp_eq_u32_sdwa s[4:5], v11, v27 src0_sel:WORD_0 src1_sel:DWORD
	s_nop 1
	v_cndmask_b32_e64 v6, v6, v11, s[4:5]
; %bb.875:                              ;   in Loop: Header=BB379_555 Depth=1
	s_or_b64 exec, exec, s[10:11]
	v_bfe_u32 v11, v7, 16, 8
	v_cvt_f32_fp8_sdwa v11, v11 src0_sel:BYTE_0
	s_nop 0
	v_mul_f32_e32 v14, v23, v11
	v_and_b32_e32 v11, 0x7f800000, v14
	v_cmp_ne_u32_e64 s[4:5], s12, v11
                                        ; implicit-def: $vgpr11
	s_and_saveexec_b64 s[10:11], s[4:5]
	s_xor_b64 s[4:5], exec, s[10:11]
; %bb.876:                              ;   in Loop: Header=BB379_555 Depth=1
	v_bfe_u32 v11, v14, 16, 1
	v_add3_u32 v11, v14, v11, s15
                                        ; implicit-def: $vgpr14
; %bb.877:                              ;   in Loop: Header=BB379_555 Depth=1
	s_andn2_saveexec_b64 s[10:11], s[4:5]
; %bb.878:                              ;   in Loop: Header=BB379_555 Depth=1
	v_or_b32_e32 v11, 0x10000, v14
	v_cmp_eq_u32_sdwa s[4:5], v14, v27 src0_sel:WORD_0 src1_sel:DWORD
	s_nop 1
	v_cndmask_b32_e64 v11, v11, v14, s[4:5]
; %bb.879:                              ;   in Loop: Header=BB379_555 Depth=1
	s_or_b64 exec, exec, s[10:11]
	v_lshrrev_b32_e32 v7, 24, v7
	v_cvt_f32_fp8_sdwa v7, v7 src0_sel:BYTE_0
                                        ; implicit-def: $vgpr15
	s_nop 0
	v_mul_f32_e32 v7, v23, v7
	v_and_b32_e32 v14, 0x7f800000, v7
	v_cmp_ne_u32_e64 s[4:5], s12, v14
	s_and_saveexec_b64 s[10:11], s[4:5]
	s_xor_b64 s[4:5], exec, s[10:11]
; %bb.880:                              ;   in Loop: Header=BB379_555 Depth=1
	v_bfe_u32 v14, v7, 16, 1
	v_add3_u32 v15, v7, v14, s15
                                        ; implicit-def: $vgpr7
; %bb.881:                              ;   in Loop: Header=BB379_555 Depth=1
	s_andn2_saveexec_b64 s[10:11], s[4:5]
; %bb.882:                              ;   in Loop: Header=BB379_555 Depth=1
	v_or_b32_e32 v14, 0x10000, v7
	v_cmp_eq_u32_sdwa s[4:5], v7, v27 src0_sel:WORD_0 src1_sel:DWORD
	s_nop 1
	v_cndmask_b32_e64 v15, v14, v7, s[4:5]
; %bb.883:                              ;   in Loop: Header=BB379_555 Depth=1
	s_or_b64 exec, exec, s[10:11]
	v_lshrrev_b32_e32 v6, 16, v6
	v_lshrrev_b32_e32 v7, 16, v10
	;; [unrolled: 1-line block ×8, first 2 shown]
	s_and_saveexec_b64 s[10:11], vcc
	s_cbranch_execz .LBB379_885
; %bb.884:                              ;   in Loop: Header=BB379_555 Depth=1
	v_accvgpr_read_b32 v11, a40
	v_cmp_lt_i32_e64 s[4:5], v11, v45
	v_accvgpr_read_b32 v11, a46
	s_nop 0
	v_cndmask_b32_e64 v14, 0, v14, s[4:5]
	v_cmp_lt_i32_e64 s[4:5], v11, v45
	v_accvgpr_read_b32 v11, a45
	s_nop 0
	v_cndmask_b32_e64 v10, 0, v10, s[4:5]
	;; [unrolled: 4-line block ×6, first 2 shown]
	v_cmp_lt_i32_e64 s[4:5], v11, v45
	s_nop 1
	v_cndmask_b32_e64 v5, 0, v5, s[4:5]
	v_cmp_lt_i32_e64 s[4:5], v17, v45
	s_nop 1
	v_cndmask_b32_e64 v4, 0, v4, s[4:5]
.LBB379_885:                            ;   in Loop: Header=BB379_555 Depth=1
	s_or_b64 exec, exec, s[10:11]
	v_lshlrev_b32_e32 v11, 16, v14
	v_mul_f32_e32 v11, v36, v11
	v_and_b32_e32 v14, 0x7f800000, v11
	v_cmp_ne_u32_e64 s[4:5], s12, v14
                                        ; implicit-def: $vgpr14
                                        ; kill: killed $vgpr14
	s_and_saveexec_b64 s[10:11], s[4:5]
	s_xor_b64 s[4:5], exec, s[10:11]
	s_cbranch_execz .LBB379_887
; %bb.886:                              ;   in Loop: Header=BB379_555 Depth=1
	v_bfe_u32 v14, v11, 16, 1
	v_add3_u32 v11, v11, v14, s15
	scratch_store_dword off, v11, s32 offset:352 ; 4-byte Folded Spill
                                        ; implicit-def: $vgpr11
.LBB379_887:                            ;   in Loop: Header=BB379_555 Depth=1
	s_andn2_saveexec_b64 s[10:11], s[4:5]
	s_cbranch_execz .LBB379_889
; %bb.888:                              ;   in Loop: Header=BB379_555 Depth=1
	v_or_b32_e32 v14, 0x10000, v11
	v_cmp_eq_u32_sdwa s[4:5], v11, v27 src0_sel:WORD_0 src1_sel:DWORD
	s_nop 1
	v_cndmask_b32_e64 v11, v14, v11, s[4:5]
	scratch_store_dword off, v11, s32 offset:352 ; 4-byte Folded Spill
.LBB379_889:                            ;   in Loop: Header=BB379_555 Depth=1
	s_or_b64 exec, exec, s[10:11]
	v_lshlrev_b32_e32 v10, 16, v10
	v_mul_f32_e32 v10, v37, v10
	v_and_b32_e32 v11, 0x7f800000, v10
	v_cmp_ne_u32_e64 s[4:5], s12, v11
                                        ; implicit-def: $vgpr11
                                        ; kill: killed $vgpr11
	s_and_saveexec_b64 s[10:11], s[4:5]
	s_xor_b64 s[4:5], exec, s[10:11]
	s_cbranch_execz .LBB379_891
; %bb.890:                              ;   in Loop: Header=BB379_555 Depth=1
	v_bfe_u32 v11, v10, 16, 1
	v_add3_u32 v10, v10, v11, s15
	scratch_store_dword off, v10, s32 offset:356 ; 4-byte Folded Spill
                                        ; implicit-def: $vgpr10
.LBB379_891:                            ;   in Loop: Header=BB379_555 Depth=1
	s_andn2_saveexec_b64 s[10:11], s[4:5]
	s_cbranch_execz .LBB379_893
; %bb.892:                              ;   in Loop: Header=BB379_555 Depth=1
	v_or_b32_e32 v11, 0x10000, v10
	v_cmp_eq_u32_sdwa s[4:5], v10, v27 src0_sel:WORD_0 src1_sel:DWORD
	s_nop 1
	v_cndmask_b32_e64 v10, v11, v10, s[4:5]
	scratch_store_dword off, v10, s32 offset:356 ; 4-byte Folded Spill
.LBB379_893:                            ;   in Loop: Header=BB379_555 Depth=1
	s_or_b64 exec, exec, s[10:11]
	v_lshlrev_b32_e32 v8, 16, v8
	v_mul_f32_e32 v8, v38, v8
	v_and_b32_e32 v10, 0x7f800000, v8
	v_cmp_ne_u32_e64 s[4:5], s12, v10
                                        ; implicit-def: $vgpr10
                                        ; kill: killed $vgpr10
	s_and_saveexec_b64 s[10:11], s[4:5]
	s_xor_b64 s[4:5], exec, s[10:11]
	s_cbranch_execz .LBB379_895
; %bb.894:                              ;   in Loop: Header=BB379_555 Depth=1
	v_bfe_u32 v10, v8, 16, 1
	v_add3_u32 v8, v8, v10, s15
	scratch_store_dword off, v8, s32 offset:360 ; 4-byte Folded Spill
                                        ; implicit-def: $vgpr8
.LBB379_895:                            ;   in Loop: Header=BB379_555 Depth=1
	s_andn2_saveexec_b64 s[10:11], s[4:5]
	s_cbranch_execz .LBB379_897
; %bb.896:                              ;   in Loop: Header=BB379_555 Depth=1
	v_or_b32_e32 v10, 0x10000, v8
	v_cmp_eq_u32_sdwa s[4:5], v8, v27 src0_sel:WORD_0 src1_sel:DWORD
	s_nop 1
	v_cndmask_b32_e64 v8, v10, v8, s[4:5]
	scratch_store_dword off, v8, s32 offset:360 ; 4-byte Folded Spill
.LBB379_897:                            ;   in Loop: Header=BB379_555 Depth=1
	s_or_b64 exec, exec, s[10:11]
	v_lshlrev_b32_e32 v8, 16, v9
	v_mul_f32_e32 v8, v39, v8
	v_and_b32_e32 v9, 0x7f800000, v8
	v_cmp_ne_u32_e64 s[4:5], s12, v9
                                        ; implicit-def: $vgpr9
                                        ; kill: killed $vgpr9
	s_and_saveexec_b64 s[10:11], s[4:5]
	s_xor_b64 s[4:5], exec, s[10:11]
	s_cbranch_execz .LBB379_899
; %bb.898:                              ;   in Loop: Header=BB379_555 Depth=1
	v_bfe_u32 v9, v8, 16, 1
	v_add3_u32 v8, v8, v9, s15
	scratch_store_dword off, v8, s32 offset:364 ; 4-byte Folded Spill
                                        ; implicit-def: $vgpr8
.LBB379_899:                            ;   in Loop: Header=BB379_555 Depth=1
	s_andn2_saveexec_b64 s[10:11], s[4:5]
	s_cbranch_execz .LBB379_901
; %bb.900:                              ;   in Loop: Header=BB379_555 Depth=1
	v_or_b32_e32 v9, 0x10000, v8
	v_cmp_eq_u32_sdwa s[4:5], v8, v27 src0_sel:WORD_0 src1_sel:DWORD
	s_nop 1
	v_cndmask_b32_e64 v8, v9, v8, s[4:5]
	scratch_store_dword off, v8, s32 offset:364 ; 4-byte Folded Spill
.LBB379_901:                            ;   in Loop: Header=BB379_555 Depth=1
	s_or_b64 exec, exec, s[10:11]
	v_lshlrev_b32_e32 v7, 16, v7
	v_mul_f32_e32 v7, v48, v7
	v_and_b32_e32 v8, 0x7f800000, v7
	v_cmp_ne_u32_e64 s[4:5], s12, v8
                                        ; implicit-def: $vgpr8
                                        ; kill: killed $vgpr8
	s_and_saveexec_b64 s[10:11], s[4:5]
	s_xor_b64 s[4:5], exec, s[10:11]
	s_cbranch_execz .LBB379_903
; %bb.902:                              ;   in Loop: Header=BB379_555 Depth=1
	v_bfe_u32 v8, v7, 16, 1
	v_add3_u32 v7, v7, v8, s15
	scratch_store_dword off, v7, s32 offset:368 ; 4-byte Folded Spill
                                        ; implicit-def: $vgpr7
.LBB379_903:                            ;   in Loop: Header=BB379_555 Depth=1
	s_andn2_saveexec_b64 s[10:11], s[4:5]
	s_cbranch_execz .LBB379_905
; %bb.904:                              ;   in Loop: Header=BB379_555 Depth=1
	v_or_b32_e32 v8, 0x10000, v7
	v_cmp_eq_u32_sdwa s[4:5], v7, v27 src0_sel:WORD_0 src1_sel:DWORD
	s_nop 1
	v_cndmask_b32_e64 v7, v8, v7, s[4:5]
	scratch_store_dword off, v7, s32 offset:368 ; 4-byte Folded Spill
.LBB379_905:                            ;   in Loop: Header=BB379_555 Depth=1
	s_or_b64 exec, exec, s[10:11]
	v_lshlrev_b32_e32 v6, 16, v6
	v_mul_f32_e32 v6, v49, v6
	v_and_b32_e32 v7, 0x7f800000, v6
	v_cmp_ne_u32_e64 s[4:5], s12, v7
                                        ; implicit-def: $vgpr7
                                        ; kill: killed $vgpr7
	s_and_saveexec_b64 s[10:11], s[4:5]
	s_xor_b64 s[4:5], exec, s[10:11]
	s_cbranch_execz .LBB379_907
; %bb.906:                              ;   in Loop: Header=BB379_555 Depth=1
	v_bfe_u32 v7, v6, 16, 1
	v_add3_u32 v6, v6, v7, s15
	scratch_store_dword off, v6, s32 offset:372 ; 4-byte Folded Spill
                                        ; implicit-def: $vgpr6
.LBB379_907:                            ;   in Loop: Header=BB379_555 Depth=1
	s_andn2_saveexec_b64 s[10:11], s[4:5]
	s_cbranch_execz .LBB379_909
; %bb.908:                              ;   in Loop: Header=BB379_555 Depth=1
	v_or_b32_e32 v7, 0x10000, v6
	v_cmp_eq_u32_sdwa s[4:5], v6, v27 src0_sel:WORD_0 src1_sel:DWORD
	s_nop 1
	v_cndmask_b32_e64 v6, v7, v6, s[4:5]
	scratch_store_dword off, v6, s32 offset:372 ; 4-byte Folded Spill
.LBB379_909:                            ;   in Loop: Header=BB379_555 Depth=1
	s_or_b64 exec, exec, s[10:11]
	v_lshlrev_b32_e32 v5, 16, v5
	v_mul_f32_e32 v5, v50, v5
	v_and_b32_e32 v6, 0x7f800000, v5
	v_cmp_ne_u32_e64 s[4:5], s12, v6
                                        ; implicit-def: $vgpr6
                                        ; kill: killed $vgpr6
	s_and_saveexec_b64 s[10:11], s[4:5]
	s_xor_b64 s[4:5], exec, s[10:11]
	s_cbranch_execz .LBB379_911
; %bb.910:                              ;   in Loop: Header=BB379_555 Depth=1
	v_bfe_u32 v6, v5, 16, 1
	v_add3_u32 v5, v5, v6, s15
	scratch_store_dword off, v5, s32 offset:376 ; 4-byte Folded Spill
                                        ; implicit-def: $vgpr5
.LBB379_911:                            ;   in Loop: Header=BB379_555 Depth=1
	s_andn2_saveexec_b64 s[10:11], s[4:5]
	s_cbranch_execz .LBB379_913
; %bb.912:                              ;   in Loop: Header=BB379_555 Depth=1
	v_or_b32_e32 v6, 0x10000, v5
	v_cmp_eq_u32_sdwa s[4:5], v5, v27 src0_sel:WORD_0 src1_sel:DWORD
	s_nop 1
	v_cndmask_b32_e64 v5, v6, v5, s[4:5]
	scratch_store_dword off, v5, s32 offset:376 ; 4-byte Folded Spill
.LBB379_913:                            ;   in Loop: Header=BB379_555 Depth=1
	s_or_b64 exec, exec, s[10:11]
	v_lshlrev_b32_e32 v4, 16, v4
	v_mul_f32_e32 v4, v51, v4
	v_and_b32_e32 v5, 0x7f800000, v4
	v_cmp_ne_u32_e64 s[4:5], s12, v5
                                        ; implicit-def: $agpr17
	s_and_saveexec_b64 s[10:11], s[4:5]
	s_xor_b64 s[4:5], exec, s[10:11]
; %bb.914:                              ;   in Loop: Header=BB379_555 Depth=1
	v_bfe_u32 v5, v4, 16, 1
	v_add3_u32 v4, v4, v5, s15
	v_accvgpr_write_b32 a17, v4
                                        ; implicit-def: $vgpr4
; %bb.915:                              ;   in Loop: Header=BB379_555 Depth=1
	s_andn2_saveexec_b64 s[10:11], s[4:5]
; %bb.916:                              ;   in Loop: Header=BB379_555 Depth=1
	v_or_b32_e32 v5, 0x10000, v4
	v_cmp_eq_u32_sdwa s[4:5], v4, v27 src0_sel:WORD_0 src1_sel:DWORD
	s_nop 1
	v_cndmask_b32_e64 v4, v5, v4, s[4:5]
	v_accvgpr_write_b32 a17, v4
; %bb.917:                              ;   in Loop: Header=BB379_555 Depth=1
	s_or_b64 exec, exec, s[10:11]
	flat_load_dwordx2 v[6:7], v[2:3] offset:2560
	s_waitcnt vmcnt(0) lgkmcnt(0)
	v_and_b32_e32 v4, 0xff, v6
	v_cvt_f32_fp8_sdwa v4, v4 src0_sel:BYTE_0
	s_nop 0
	v_mul_f32_e32 v5, v23, v4
	v_and_b32_e32 v4, 0x7f800000, v5
	v_cmp_ne_u32_e64 s[4:5], s12, v4
                                        ; implicit-def: $vgpr4
	s_and_saveexec_b64 s[10:11], s[4:5]
	s_xor_b64 s[4:5], exec, s[10:11]
; %bb.918:                              ;   in Loop: Header=BB379_555 Depth=1
	v_bfe_u32 v4, v5, 16, 1
	v_add3_u32 v4, v5, v4, s15
                                        ; implicit-def: $vgpr5
; %bb.919:                              ;   in Loop: Header=BB379_555 Depth=1
	s_andn2_saveexec_b64 s[10:11], s[4:5]
; %bb.920:                              ;   in Loop: Header=BB379_555 Depth=1
	v_or_b32_e32 v4, 0x10000, v5
	v_cmp_eq_u32_sdwa s[4:5], v5, v27 src0_sel:WORD_0 src1_sel:DWORD
	s_nop 1
	v_cndmask_b32_e64 v4, v4, v5, s[4:5]
; %bb.921:                              ;   in Loop: Header=BB379_555 Depth=1
	s_or_b64 exec, exec, s[10:11]
	v_bfe_u32 v5, v6, 8, 8
	v_cvt_f32_fp8_sdwa v5, v5 src0_sel:BYTE_0
	s_nop 0
	v_mul_f32_e32 v8, v23, v5
	v_and_b32_e32 v5, 0x7f800000, v8
	v_cmp_ne_u32_e64 s[4:5], s12, v5
                                        ; implicit-def: $vgpr5
	s_and_saveexec_b64 s[10:11], s[4:5]
	s_xor_b64 s[4:5], exec, s[10:11]
; %bb.922:                              ;   in Loop: Header=BB379_555 Depth=1
	v_bfe_u32 v5, v8, 16, 1
	v_add3_u32 v5, v8, v5, s15
                                        ; implicit-def: $vgpr8
; %bb.923:                              ;   in Loop: Header=BB379_555 Depth=1
	s_andn2_saveexec_b64 s[10:11], s[4:5]
; %bb.924:                              ;   in Loop: Header=BB379_555 Depth=1
	v_or_b32_e32 v5, 0x10000, v8
	v_cmp_eq_u32_sdwa s[4:5], v8, v27 src0_sel:WORD_0 src1_sel:DWORD
	s_nop 1
	v_cndmask_b32_e64 v5, v5, v8, s[4:5]
; %bb.925:                              ;   in Loop: Header=BB379_555 Depth=1
	s_or_b64 exec, exec, s[10:11]
	v_bfe_u32 v8, v6, 16, 8
	v_cvt_f32_fp8_sdwa v8, v8 src0_sel:BYTE_0
	s_nop 0
	v_mul_f32_e32 v9, v23, v8
	v_and_b32_e32 v8, 0x7f800000, v9
	v_cmp_ne_u32_e64 s[4:5], s12, v8
                                        ; implicit-def: $vgpr8
	s_and_saveexec_b64 s[10:11], s[4:5]
	s_xor_b64 s[4:5], exec, s[10:11]
; %bb.926:                              ;   in Loop: Header=BB379_555 Depth=1
	v_bfe_u32 v8, v9, 16, 1
	v_add3_u32 v8, v9, v8, s15
                                        ; implicit-def: $vgpr9
; %bb.927:                              ;   in Loop: Header=BB379_555 Depth=1
	s_andn2_saveexec_b64 s[10:11], s[4:5]
; %bb.928:                              ;   in Loop: Header=BB379_555 Depth=1
	v_or_b32_e32 v8, 0x10000, v9
	v_cmp_eq_u32_sdwa s[4:5], v9, v27 src0_sel:WORD_0 src1_sel:DWORD
	s_nop 1
	v_cndmask_b32_e64 v8, v8, v9, s[4:5]
; %bb.929:                              ;   in Loop: Header=BB379_555 Depth=1
	s_or_b64 exec, exec, s[10:11]
	v_lshrrev_b32_e32 v6, 24, v6
	v_cvt_f32_fp8_sdwa v6, v6 src0_sel:BYTE_0
	s_nop 0
	v_mul_f32_e32 v6, v23, v6
	v_and_b32_e32 v9, 0x7f800000, v6
	v_cmp_ne_u32_e64 s[4:5], s12, v9
                                        ; implicit-def: $vgpr9
	s_and_saveexec_b64 s[10:11], s[4:5]
	s_xor_b64 s[4:5], exec, s[10:11]
; %bb.930:                              ;   in Loop: Header=BB379_555 Depth=1
	v_bfe_u32 v9, v6, 16, 1
	v_add3_u32 v9, v6, v9, s15
                                        ; implicit-def: $vgpr6
; %bb.931:                              ;   in Loop: Header=BB379_555 Depth=1
	s_andn2_saveexec_b64 s[10:11], s[4:5]
; %bb.932:                              ;   in Loop: Header=BB379_555 Depth=1
	v_or_b32_e32 v9, 0x10000, v6
	v_cmp_eq_u32_sdwa s[4:5], v6, v27 src0_sel:WORD_0 src1_sel:DWORD
	s_nop 1
	v_cndmask_b32_e64 v9, v9, v6, s[4:5]
; %bb.933:                              ;   in Loop: Header=BB379_555 Depth=1
	s_or_b64 exec, exec, s[10:11]
	v_and_b32_e32 v6, 0xff, v7
	v_cvt_f32_fp8_sdwa v6, v6 src0_sel:BYTE_0
	s_nop 0
	v_mul_f32_e32 v6, v23, v6
	v_and_b32_e32 v10, 0x7f800000, v6
	v_cmp_ne_u32_e64 s[4:5], s12, v10
                                        ; implicit-def: $vgpr10
	s_and_saveexec_b64 s[10:11], s[4:5]
	s_xor_b64 s[4:5], exec, s[10:11]
; %bb.934:                              ;   in Loop: Header=BB379_555 Depth=1
	v_bfe_u32 v10, v6, 16, 1
	v_add3_u32 v10, v6, v10, s15
                                        ; implicit-def: $vgpr6
; %bb.935:                              ;   in Loop: Header=BB379_555 Depth=1
	s_andn2_saveexec_b64 s[10:11], s[4:5]
; %bb.936:                              ;   in Loop: Header=BB379_555 Depth=1
	v_or_b32_e32 v10, 0x10000, v6
	v_cmp_eq_u32_sdwa s[4:5], v6, v27 src0_sel:WORD_0 src1_sel:DWORD
	s_nop 1
	v_cndmask_b32_e64 v10, v10, v6, s[4:5]
; %bb.937:                              ;   in Loop: Header=BB379_555 Depth=1
	s_or_b64 exec, exec, s[10:11]
	v_bfe_u32 v6, v7, 8, 8
	v_cvt_f32_fp8_sdwa v6, v6 src0_sel:BYTE_0
	s_nop 0
	v_mul_f32_e32 v11, v23, v6
	v_and_b32_e32 v6, 0x7f800000, v11
	v_cmp_ne_u32_e64 s[4:5], s12, v6
                                        ; implicit-def: $vgpr6
	s_and_saveexec_b64 s[10:11], s[4:5]
	s_xor_b64 s[4:5], exec, s[10:11]
; %bb.938:                              ;   in Loop: Header=BB379_555 Depth=1
	v_bfe_u32 v6, v11, 16, 1
	v_add3_u32 v6, v11, v6, s15
                                        ; implicit-def: $vgpr11
; %bb.939:                              ;   in Loop: Header=BB379_555 Depth=1
	s_andn2_saveexec_b64 s[10:11], s[4:5]
; %bb.940:                              ;   in Loop: Header=BB379_555 Depth=1
	v_or_b32_e32 v6, 0x10000, v11
	v_cmp_eq_u32_sdwa s[4:5], v11, v27 src0_sel:WORD_0 src1_sel:DWORD
	s_nop 1
	v_cndmask_b32_e64 v6, v6, v11, s[4:5]
; %bb.941:                              ;   in Loop: Header=BB379_555 Depth=1
	s_or_b64 exec, exec, s[10:11]
	v_bfe_u32 v11, v7, 16, 8
	v_cvt_f32_fp8_sdwa v11, v11 src0_sel:BYTE_0
	s_nop 0
	v_mul_f32_e32 v14, v23, v11
	v_and_b32_e32 v11, 0x7f800000, v14
	v_cmp_ne_u32_e64 s[4:5], s12, v11
                                        ; implicit-def: $vgpr11
	s_and_saveexec_b64 s[10:11], s[4:5]
	s_xor_b64 s[4:5], exec, s[10:11]
; %bb.942:                              ;   in Loop: Header=BB379_555 Depth=1
	v_bfe_u32 v11, v14, 16, 1
	v_add3_u32 v11, v14, v11, s15
                                        ; implicit-def: $vgpr14
; %bb.943:                              ;   in Loop: Header=BB379_555 Depth=1
	s_andn2_saveexec_b64 s[10:11], s[4:5]
; %bb.944:                              ;   in Loop: Header=BB379_555 Depth=1
	v_or_b32_e32 v11, 0x10000, v14
	v_cmp_eq_u32_sdwa s[4:5], v14, v27 src0_sel:WORD_0 src1_sel:DWORD
	s_nop 1
	v_cndmask_b32_e64 v11, v11, v14, s[4:5]
; %bb.945:                              ;   in Loop: Header=BB379_555 Depth=1
	s_or_b64 exec, exec, s[10:11]
	v_lshrrev_b32_e32 v7, 24, v7
	v_cvt_f32_fp8_sdwa v7, v7 src0_sel:BYTE_0
                                        ; implicit-def: $vgpr15
	s_nop 0
	v_mul_f32_e32 v7, v23, v7
	v_and_b32_e32 v14, 0x7f800000, v7
	v_cmp_ne_u32_e64 s[4:5], s12, v14
	s_and_saveexec_b64 s[10:11], s[4:5]
	s_xor_b64 s[4:5], exec, s[10:11]
; %bb.946:                              ;   in Loop: Header=BB379_555 Depth=1
	v_bfe_u32 v14, v7, 16, 1
	v_add3_u32 v15, v7, v14, s15
                                        ; implicit-def: $vgpr7
; %bb.947:                              ;   in Loop: Header=BB379_555 Depth=1
	s_andn2_saveexec_b64 s[10:11], s[4:5]
; %bb.948:                              ;   in Loop: Header=BB379_555 Depth=1
	v_or_b32_e32 v14, 0x10000, v7
	v_cmp_eq_u32_sdwa s[4:5], v7, v27 src0_sel:WORD_0 src1_sel:DWORD
	s_nop 1
	v_cndmask_b32_e64 v15, v14, v7, s[4:5]
; %bb.949:                              ;   in Loop: Header=BB379_555 Depth=1
	s_or_b64 exec, exec, s[10:11]
	v_lshrrev_b32_e32 v6, 16, v6
	v_lshrrev_b32_e32 v7, 16, v10
	;; [unrolled: 1-line block ×8, first 2 shown]
	s_and_saveexec_b64 s[10:11], vcc
	s_cbranch_execz .LBB379_951
; %bb.950:                              ;   in Loop: Header=BB379_555 Depth=1
	v_accvgpr_read_b32 v11, a40
	v_cmp_lt_i32_e64 s[4:5], v11, v45
	v_accvgpr_read_b32 v11, a46
	s_nop 0
	v_cndmask_b32_e64 v14, 0, v14, s[4:5]
	v_cmp_lt_i32_e64 s[4:5], v11, v45
	v_accvgpr_read_b32 v11, a45
	s_nop 0
	v_cndmask_b32_e64 v10, 0, v10, s[4:5]
	;; [unrolled: 4-line block ×6, first 2 shown]
	v_cmp_lt_i32_e64 s[4:5], v11, v45
	s_nop 1
	v_cndmask_b32_e64 v5, 0, v5, s[4:5]
	v_cmp_lt_i32_e64 s[4:5], v17, v45
	s_nop 1
	v_cndmask_b32_e64 v4, 0, v4, s[4:5]
.LBB379_951:                            ;   in Loop: Header=BB379_555 Depth=1
	s_or_b64 exec, exec, s[10:11]
	v_lshlrev_b32_e32 v11, 16, v14
	v_mul_f32_e32 v11, v36, v11
	v_and_b32_e32 v14, 0x7f800000, v11
	v_cmp_ne_u32_e64 s[4:5], s12, v14
                                        ; implicit-def: $agpr18
	s_and_saveexec_b64 s[10:11], s[4:5]
	s_xor_b64 s[4:5], exec, s[10:11]
; %bb.952:                              ;   in Loop: Header=BB379_555 Depth=1
	v_bfe_u32 v14, v11, 16, 1
	v_add3_u32 v11, v11, v14, s15
	v_accvgpr_write_b32 a18, v11
                                        ; implicit-def: $vgpr11
; %bb.953:                              ;   in Loop: Header=BB379_555 Depth=1
	s_andn2_saveexec_b64 s[10:11], s[4:5]
; %bb.954:                              ;   in Loop: Header=BB379_555 Depth=1
	v_or_b32_e32 v14, 0x10000, v11
	v_cmp_eq_u32_sdwa s[4:5], v11, v27 src0_sel:WORD_0 src1_sel:DWORD
	s_nop 1
	v_cndmask_b32_e64 v11, v14, v11, s[4:5]
	v_accvgpr_write_b32 a18, v11
; %bb.955:                              ;   in Loop: Header=BB379_555 Depth=1
	s_or_b64 exec, exec, s[10:11]
	v_lshlrev_b32_e32 v10, 16, v10
	v_mul_f32_e32 v10, v37, v10
	v_and_b32_e32 v11, 0x7f800000, v10
	v_cmp_ne_u32_e64 s[4:5], s12, v11
                                        ; implicit-def: $agpr19
	s_and_saveexec_b64 s[10:11], s[4:5]
	s_xor_b64 s[4:5], exec, s[10:11]
; %bb.956:                              ;   in Loop: Header=BB379_555 Depth=1
	v_bfe_u32 v11, v10, 16, 1
	v_add3_u32 v10, v10, v11, s15
	v_accvgpr_write_b32 a19, v10
                                        ; implicit-def: $vgpr10
; %bb.957:                              ;   in Loop: Header=BB379_555 Depth=1
	s_andn2_saveexec_b64 s[10:11], s[4:5]
; %bb.958:                              ;   in Loop: Header=BB379_555 Depth=1
	v_or_b32_e32 v11, 0x10000, v10
	v_cmp_eq_u32_sdwa s[4:5], v10, v27 src0_sel:WORD_0 src1_sel:DWORD
	s_nop 1
	v_cndmask_b32_e64 v10, v11, v10, s[4:5]
	v_accvgpr_write_b32 a19, v10
; %bb.959:                              ;   in Loop: Header=BB379_555 Depth=1
	s_or_b64 exec, exec, s[10:11]
	v_lshlrev_b32_e32 v8, 16, v8
	v_mul_f32_e32 v8, v38, v8
	v_and_b32_e32 v10, 0x7f800000, v8
	v_cmp_ne_u32_e64 s[4:5], s12, v10
                                        ; implicit-def: $agpr20
	s_and_saveexec_b64 s[10:11], s[4:5]
	s_xor_b64 s[4:5], exec, s[10:11]
; %bb.960:                              ;   in Loop: Header=BB379_555 Depth=1
	v_bfe_u32 v10, v8, 16, 1
	v_add3_u32 v8, v8, v10, s15
	v_accvgpr_write_b32 a20, v8
                                        ; implicit-def: $vgpr8
; %bb.961:                              ;   in Loop: Header=BB379_555 Depth=1
	s_andn2_saveexec_b64 s[10:11], s[4:5]
; %bb.962:                              ;   in Loop: Header=BB379_555 Depth=1
	v_or_b32_e32 v10, 0x10000, v8
	v_cmp_eq_u32_sdwa s[4:5], v8, v27 src0_sel:WORD_0 src1_sel:DWORD
	s_nop 1
	v_cndmask_b32_e64 v8, v10, v8, s[4:5]
	v_accvgpr_write_b32 a20, v8
; %bb.963:                              ;   in Loop: Header=BB379_555 Depth=1
	s_or_b64 exec, exec, s[10:11]
	v_lshlrev_b32_e32 v8, 16, v9
	v_mul_f32_e32 v8, v39, v8
	v_and_b32_e32 v9, 0x7f800000, v8
	v_cmp_ne_u32_e64 s[4:5], s12, v9
                                        ; implicit-def: $agpr21
	s_and_saveexec_b64 s[10:11], s[4:5]
	s_xor_b64 s[4:5], exec, s[10:11]
; %bb.964:                              ;   in Loop: Header=BB379_555 Depth=1
	v_bfe_u32 v9, v8, 16, 1
	v_add3_u32 v8, v8, v9, s15
	v_accvgpr_write_b32 a21, v8
                                        ; implicit-def: $vgpr8
; %bb.965:                              ;   in Loop: Header=BB379_555 Depth=1
	s_andn2_saveexec_b64 s[10:11], s[4:5]
; %bb.966:                              ;   in Loop: Header=BB379_555 Depth=1
	v_or_b32_e32 v9, 0x10000, v8
	v_cmp_eq_u32_sdwa s[4:5], v8, v27 src0_sel:WORD_0 src1_sel:DWORD
	s_nop 1
	v_cndmask_b32_e64 v8, v9, v8, s[4:5]
	v_accvgpr_write_b32 a21, v8
; %bb.967:                              ;   in Loop: Header=BB379_555 Depth=1
	s_or_b64 exec, exec, s[10:11]
	v_lshlrev_b32_e32 v7, 16, v7
	v_mul_f32_e32 v7, v48, v7
	v_and_b32_e32 v8, 0x7f800000, v7
	v_cmp_ne_u32_e64 s[4:5], s12, v8
                                        ; implicit-def: $agpr22
	s_and_saveexec_b64 s[10:11], s[4:5]
	s_xor_b64 s[4:5], exec, s[10:11]
; %bb.968:                              ;   in Loop: Header=BB379_555 Depth=1
	v_bfe_u32 v8, v7, 16, 1
	v_add3_u32 v7, v7, v8, s15
	v_accvgpr_write_b32 a22, v7
                                        ; implicit-def: $vgpr7
; %bb.969:                              ;   in Loop: Header=BB379_555 Depth=1
	s_andn2_saveexec_b64 s[10:11], s[4:5]
; %bb.970:                              ;   in Loop: Header=BB379_555 Depth=1
	v_or_b32_e32 v8, 0x10000, v7
	v_cmp_eq_u32_sdwa s[4:5], v7, v27 src0_sel:WORD_0 src1_sel:DWORD
	s_nop 1
	v_cndmask_b32_e64 v7, v8, v7, s[4:5]
	v_accvgpr_write_b32 a22, v7
; %bb.971:                              ;   in Loop: Header=BB379_555 Depth=1
	s_or_b64 exec, exec, s[10:11]
	v_lshlrev_b32_e32 v6, 16, v6
	v_mul_f32_e32 v6, v49, v6
	v_and_b32_e32 v7, 0x7f800000, v6
	v_cmp_ne_u32_e64 s[4:5], s12, v7
                                        ; implicit-def: $agpr23
	s_and_saveexec_b64 s[10:11], s[4:5]
	s_xor_b64 s[4:5], exec, s[10:11]
; %bb.972:                              ;   in Loop: Header=BB379_555 Depth=1
	v_bfe_u32 v7, v6, 16, 1
	v_add3_u32 v6, v6, v7, s15
	v_accvgpr_write_b32 a23, v6
                                        ; implicit-def: $vgpr6
; %bb.973:                              ;   in Loop: Header=BB379_555 Depth=1
	s_andn2_saveexec_b64 s[10:11], s[4:5]
; %bb.974:                              ;   in Loop: Header=BB379_555 Depth=1
	v_or_b32_e32 v7, 0x10000, v6
	v_cmp_eq_u32_sdwa s[4:5], v6, v27 src0_sel:WORD_0 src1_sel:DWORD
	s_nop 1
	v_cndmask_b32_e64 v6, v7, v6, s[4:5]
	v_accvgpr_write_b32 a23, v6
; %bb.975:                              ;   in Loop: Header=BB379_555 Depth=1
	s_or_b64 exec, exec, s[10:11]
	v_lshlrev_b32_e32 v5, 16, v5
	v_mul_f32_e32 v5, v50, v5
	v_and_b32_e32 v6, 0x7f800000, v5
	v_cmp_ne_u32_e64 s[4:5], s12, v6
                                        ; implicit-def: $agpr24
	s_and_saveexec_b64 s[10:11], s[4:5]
	s_xor_b64 s[4:5], exec, s[10:11]
; %bb.976:                              ;   in Loop: Header=BB379_555 Depth=1
	v_bfe_u32 v6, v5, 16, 1
	v_add3_u32 v5, v5, v6, s15
	v_accvgpr_write_b32 a24, v5
                                        ; implicit-def: $vgpr5
; %bb.977:                              ;   in Loop: Header=BB379_555 Depth=1
	s_andn2_saveexec_b64 s[10:11], s[4:5]
; %bb.978:                              ;   in Loop: Header=BB379_555 Depth=1
	v_or_b32_e32 v6, 0x10000, v5
	v_cmp_eq_u32_sdwa s[4:5], v5, v27 src0_sel:WORD_0 src1_sel:DWORD
	s_nop 1
	v_cndmask_b32_e64 v5, v6, v5, s[4:5]
	v_accvgpr_write_b32 a24, v5
; %bb.979:                              ;   in Loop: Header=BB379_555 Depth=1
	s_or_b64 exec, exec, s[10:11]
	v_lshlrev_b32_e32 v4, 16, v4
	v_mul_f32_e32 v4, v51, v4
	v_and_b32_e32 v5, 0x7f800000, v4
	v_cmp_ne_u32_e64 s[4:5], s12, v5
                                        ; implicit-def: $agpr25
	s_and_saveexec_b64 s[10:11], s[4:5]
	s_xor_b64 s[4:5], exec, s[10:11]
; %bb.980:                              ;   in Loop: Header=BB379_555 Depth=1
	v_bfe_u32 v5, v4, 16, 1
	v_add3_u32 v4, v4, v5, s15
	v_accvgpr_write_b32 a25, v4
                                        ; implicit-def: $vgpr4
; %bb.981:                              ;   in Loop: Header=BB379_555 Depth=1
	s_andn2_saveexec_b64 s[10:11], s[4:5]
; %bb.982:                              ;   in Loop: Header=BB379_555 Depth=1
	v_or_b32_e32 v5, 0x10000, v4
	v_cmp_eq_u32_sdwa s[4:5], v4, v27 src0_sel:WORD_0 src1_sel:DWORD
	s_nop 1
	v_cndmask_b32_e64 v4, v5, v4, s[4:5]
	v_accvgpr_write_b32 a25, v4
; %bb.983:                              ;   in Loop: Header=BB379_555 Depth=1
	s_or_b64 exec, exec, s[10:11]
	flat_load_dwordx2 v[6:7], v[2:3] offset:3072
	s_waitcnt vmcnt(0) lgkmcnt(0)
	v_and_b32_e32 v4, 0xff, v6
	v_cvt_f32_fp8_sdwa v4, v4 src0_sel:BYTE_0
	s_nop 0
	v_mul_f32_e32 v5, v23, v4
	v_and_b32_e32 v4, 0x7f800000, v5
	v_cmp_ne_u32_e64 s[4:5], s12, v4
                                        ; implicit-def: $vgpr4
	s_and_saveexec_b64 s[10:11], s[4:5]
	s_xor_b64 s[4:5], exec, s[10:11]
; %bb.984:                              ;   in Loop: Header=BB379_555 Depth=1
	v_bfe_u32 v4, v5, 16, 1
	v_add3_u32 v4, v5, v4, s15
                                        ; implicit-def: $vgpr5
; %bb.985:                              ;   in Loop: Header=BB379_555 Depth=1
	s_andn2_saveexec_b64 s[10:11], s[4:5]
; %bb.986:                              ;   in Loop: Header=BB379_555 Depth=1
	v_or_b32_e32 v4, 0x10000, v5
	v_cmp_eq_u32_sdwa s[4:5], v5, v27 src0_sel:WORD_0 src1_sel:DWORD
	s_nop 1
	v_cndmask_b32_e64 v4, v4, v5, s[4:5]
; %bb.987:                              ;   in Loop: Header=BB379_555 Depth=1
	s_or_b64 exec, exec, s[10:11]
	v_bfe_u32 v5, v6, 8, 8
	v_cvt_f32_fp8_sdwa v5, v5 src0_sel:BYTE_0
	s_nop 0
	v_mul_f32_e32 v8, v23, v5
	v_and_b32_e32 v5, 0x7f800000, v8
	v_cmp_ne_u32_e64 s[4:5], s12, v5
                                        ; implicit-def: $vgpr5
	s_and_saveexec_b64 s[10:11], s[4:5]
	s_xor_b64 s[4:5], exec, s[10:11]
; %bb.988:                              ;   in Loop: Header=BB379_555 Depth=1
	v_bfe_u32 v5, v8, 16, 1
	v_add3_u32 v5, v8, v5, s15
                                        ; implicit-def: $vgpr8
; %bb.989:                              ;   in Loop: Header=BB379_555 Depth=1
	s_andn2_saveexec_b64 s[10:11], s[4:5]
; %bb.990:                              ;   in Loop: Header=BB379_555 Depth=1
	v_or_b32_e32 v5, 0x10000, v8
	v_cmp_eq_u32_sdwa s[4:5], v8, v27 src0_sel:WORD_0 src1_sel:DWORD
	s_nop 1
	v_cndmask_b32_e64 v5, v5, v8, s[4:5]
; %bb.991:                              ;   in Loop: Header=BB379_555 Depth=1
	s_or_b64 exec, exec, s[10:11]
	v_bfe_u32 v8, v6, 16, 8
	v_cvt_f32_fp8_sdwa v8, v8 src0_sel:BYTE_0
	s_nop 0
	v_mul_f32_e32 v9, v23, v8
	v_and_b32_e32 v8, 0x7f800000, v9
	v_cmp_ne_u32_e64 s[4:5], s12, v8
                                        ; implicit-def: $vgpr8
	s_and_saveexec_b64 s[10:11], s[4:5]
	s_xor_b64 s[4:5], exec, s[10:11]
; %bb.992:                              ;   in Loop: Header=BB379_555 Depth=1
	v_bfe_u32 v8, v9, 16, 1
	v_add3_u32 v8, v9, v8, s15
                                        ; implicit-def: $vgpr9
; %bb.993:                              ;   in Loop: Header=BB379_555 Depth=1
	s_andn2_saveexec_b64 s[10:11], s[4:5]
; %bb.994:                              ;   in Loop: Header=BB379_555 Depth=1
	v_or_b32_e32 v8, 0x10000, v9
	v_cmp_eq_u32_sdwa s[4:5], v9, v27 src0_sel:WORD_0 src1_sel:DWORD
	s_nop 1
	v_cndmask_b32_e64 v8, v8, v9, s[4:5]
; %bb.995:                              ;   in Loop: Header=BB379_555 Depth=1
	s_or_b64 exec, exec, s[10:11]
	v_lshrrev_b32_e32 v6, 24, v6
	v_cvt_f32_fp8_sdwa v6, v6 src0_sel:BYTE_0
	s_nop 0
	v_mul_f32_e32 v6, v23, v6
	v_and_b32_e32 v9, 0x7f800000, v6
	v_cmp_ne_u32_e64 s[4:5], s12, v9
                                        ; implicit-def: $vgpr9
	s_and_saveexec_b64 s[10:11], s[4:5]
	s_xor_b64 s[4:5], exec, s[10:11]
; %bb.996:                              ;   in Loop: Header=BB379_555 Depth=1
	v_bfe_u32 v9, v6, 16, 1
	v_add3_u32 v9, v6, v9, s15
                                        ; implicit-def: $vgpr6
; %bb.997:                              ;   in Loop: Header=BB379_555 Depth=1
	s_andn2_saveexec_b64 s[10:11], s[4:5]
; %bb.998:                              ;   in Loop: Header=BB379_555 Depth=1
	v_or_b32_e32 v9, 0x10000, v6
	v_cmp_eq_u32_sdwa s[4:5], v6, v27 src0_sel:WORD_0 src1_sel:DWORD
	s_nop 1
	v_cndmask_b32_e64 v9, v9, v6, s[4:5]
; %bb.999:                              ;   in Loop: Header=BB379_555 Depth=1
	s_or_b64 exec, exec, s[10:11]
	v_and_b32_e32 v6, 0xff, v7
	v_cvt_f32_fp8_sdwa v6, v6 src0_sel:BYTE_0
	s_nop 0
	v_mul_f32_e32 v6, v23, v6
	v_and_b32_e32 v10, 0x7f800000, v6
	v_cmp_ne_u32_e64 s[4:5], s12, v10
                                        ; implicit-def: $vgpr10
	s_and_saveexec_b64 s[10:11], s[4:5]
	s_xor_b64 s[4:5], exec, s[10:11]
; %bb.1000:                             ;   in Loop: Header=BB379_555 Depth=1
	v_bfe_u32 v10, v6, 16, 1
	v_add3_u32 v10, v6, v10, s15
                                        ; implicit-def: $vgpr6
; %bb.1001:                             ;   in Loop: Header=BB379_555 Depth=1
	s_andn2_saveexec_b64 s[10:11], s[4:5]
; %bb.1002:                             ;   in Loop: Header=BB379_555 Depth=1
	v_or_b32_e32 v10, 0x10000, v6
	v_cmp_eq_u32_sdwa s[4:5], v6, v27 src0_sel:WORD_0 src1_sel:DWORD
	s_nop 1
	v_cndmask_b32_e64 v10, v10, v6, s[4:5]
; %bb.1003:                             ;   in Loop: Header=BB379_555 Depth=1
	s_or_b64 exec, exec, s[10:11]
	v_bfe_u32 v6, v7, 8, 8
	v_cvt_f32_fp8_sdwa v6, v6 src0_sel:BYTE_0
	s_nop 0
	v_mul_f32_e32 v11, v23, v6
	v_and_b32_e32 v6, 0x7f800000, v11
	v_cmp_ne_u32_e64 s[4:5], s12, v6
                                        ; implicit-def: $vgpr6
	s_and_saveexec_b64 s[10:11], s[4:5]
	s_xor_b64 s[4:5], exec, s[10:11]
; %bb.1004:                             ;   in Loop: Header=BB379_555 Depth=1
	v_bfe_u32 v6, v11, 16, 1
	v_add3_u32 v6, v11, v6, s15
                                        ; implicit-def: $vgpr11
; %bb.1005:                             ;   in Loop: Header=BB379_555 Depth=1
	s_andn2_saveexec_b64 s[10:11], s[4:5]
; %bb.1006:                             ;   in Loop: Header=BB379_555 Depth=1
	v_or_b32_e32 v6, 0x10000, v11
	v_cmp_eq_u32_sdwa s[4:5], v11, v27 src0_sel:WORD_0 src1_sel:DWORD
	s_nop 1
	v_cndmask_b32_e64 v6, v6, v11, s[4:5]
; %bb.1007:                             ;   in Loop: Header=BB379_555 Depth=1
	s_or_b64 exec, exec, s[10:11]
	v_bfe_u32 v11, v7, 16, 8
	v_cvt_f32_fp8_sdwa v11, v11 src0_sel:BYTE_0
	s_nop 0
	v_mul_f32_e32 v14, v23, v11
	v_and_b32_e32 v11, 0x7f800000, v14
	v_cmp_ne_u32_e64 s[4:5], s12, v11
                                        ; implicit-def: $vgpr11
	s_and_saveexec_b64 s[10:11], s[4:5]
	s_xor_b64 s[4:5], exec, s[10:11]
; %bb.1008:                             ;   in Loop: Header=BB379_555 Depth=1
	v_bfe_u32 v11, v14, 16, 1
	v_add3_u32 v11, v14, v11, s15
                                        ; implicit-def: $vgpr14
; %bb.1009:                             ;   in Loop: Header=BB379_555 Depth=1
	s_andn2_saveexec_b64 s[10:11], s[4:5]
; %bb.1010:                             ;   in Loop: Header=BB379_555 Depth=1
	v_or_b32_e32 v11, 0x10000, v14
	v_cmp_eq_u32_sdwa s[4:5], v14, v27 src0_sel:WORD_0 src1_sel:DWORD
	s_nop 1
	v_cndmask_b32_e64 v11, v11, v14, s[4:5]
; %bb.1011:                             ;   in Loop: Header=BB379_555 Depth=1
	s_or_b64 exec, exec, s[10:11]
	v_lshrrev_b32_e32 v7, 24, v7
	v_cvt_f32_fp8_sdwa v7, v7 src0_sel:BYTE_0
                                        ; implicit-def: $vgpr15
	s_nop 0
	v_mul_f32_e32 v7, v23, v7
	v_and_b32_e32 v14, 0x7f800000, v7
	v_cmp_ne_u32_e64 s[4:5], s12, v14
	s_and_saveexec_b64 s[10:11], s[4:5]
	s_xor_b64 s[4:5], exec, s[10:11]
; %bb.1012:                             ;   in Loop: Header=BB379_555 Depth=1
	v_bfe_u32 v14, v7, 16, 1
	v_add3_u32 v15, v7, v14, s15
                                        ; implicit-def: $vgpr7
; %bb.1013:                             ;   in Loop: Header=BB379_555 Depth=1
	s_andn2_saveexec_b64 s[10:11], s[4:5]
; %bb.1014:                             ;   in Loop: Header=BB379_555 Depth=1
	v_or_b32_e32 v14, 0x10000, v7
	v_cmp_eq_u32_sdwa s[4:5], v7, v27 src0_sel:WORD_0 src1_sel:DWORD
	s_nop 1
	v_cndmask_b32_e64 v15, v14, v7, s[4:5]
; %bb.1015:                             ;   in Loop: Header=BB379_555 Depth=1
	s_or_b64 exec, exec, s[10:11]
	v_lshrrev_b32_e32 v6, 16, v6
	v_lshrrev_b32_e32 v7, 16, v10
	;; [unrolled: 1-line block ×8, first 2 shown]
	s_and_saveexec_b64 s[10:11], vcc
	s_cbranch_execz .LBB379_1017
; %bb.1016:                             ;   in Loop: Header=BB379_555 Depth=1
	v_accvgpr_read_b32 v11, a40
	v_cmp_lt_i32_e64 s[4:5], v11, v45
	v_accvgpr_read_b32 v11, a46
	s_nop 0
	v_cndmask_b32_e64 v14, 0, v14, s[4:5]
	v_cmp_lt_i32_e64 s[4:5], v11, v45
	v_accvgpr_read_b32 v11, a45
	s_nop 0
	v_cndmask_b32_e64 v10, 0, v10, s[4:5]
	;; [unrolled: 4-line block ×6, first 2 shown]
	v_cmp_lt_i32_e64 s[4:5], v11, v45
	s_nop 1
	v_cndmask_b32_e64 v5, 0, v5, s[4:5]
	v_cmp_lt_i32_e64 s[4:5], v17, v45
	s_nop 1
	v_cndmask_b32_e64 v4, 0, v4, s[4:5]
.LBB379_1017:                           ;   in Loop: Header=BB379_555 Depth=1
	s_or_b64 exec, exec, s[10:11]
	v_lshlrev_b32_e32 v11, 16, v14
	v_mul_f32_e32 v11, v36, v11
	v_and_b32_e32 v14, 0x7f800000, v11
	v_cmp_ne_u32_e64 s[4:5], s12, v14
                                        ; implicit-def: $agpr26
	s_and_saveexec_b64 s[10:11], s[4:5]
	s_xor_b64 s[4:5], exec, s[10:11]
; %bb.1018:                             ;   in Loop: Header=BB379_555 Depth=1
	v_bfe_u32 v14, v11, 16, 1
	v_add3_u32 v11, v11, v14, s15
	v_accvgpr_write_b32 a26, v11
                                        ; implicit-def: $vgpr11
; %bb.1019:                             ;   in Loop: Header=BB379_555 Depth=1
	s_andn2_saveexec_b64 s[10:11], s[4:5]
; %bb.1020:                             ;   in Loop: Header=BB379_555 Depth=1
	v_or_b32_e32 v14, 0x10000, v11
	v_cmp_eq_u32_sdwa s[4:5], v11, v27 src0_sel:WORD_0 src1_sel:DWORD
	s_nop 1
	v_cndmask_b32_e64 v11, v14, v11, s[4:5]
	v_accvgpr_write_b32 a26, v11
; %bb.1021:                             ;   in Loop: Header=BB379_555 Depth=1
	s_or_b64 exec, exec, s[10:11]
	v_lshlrev_b32_e32 v10, 16, v10
	v_mul_f32_e32 v10, v37, v10
	v_and_b32_e32 v11, 0x7f800000, v10
	v_cmp_ne_u32_e64 s[4:5], s12, v11
                                        ; implicit-def: $agpr27
	s_and_saveexec_b64 s[10:11], s[4:5]
	s_xor_b64 s[4:5], exec, s[10:11]
; %bb.1022:                             ;   in Loop: Header=BB379_555 Depth=1
	v_bfe_u32 v11, v10, 16, 1
	v_add3_u32 v10, v10, v11, s15
	v_accvgpr_write_b32 a27, v10
                                        ; implicit-def: $vgpr10
; %bb.1023:                             ;   in Loop: Header=BB379_555 Depth=1
	s_andn2_saveexec_b64 s[10:11], s[4:5]
; %bb.1024:                             ;   in Loop: Header=BB379_555 Depth=1
	v_or_b32_e32 v11, 0x10000, v10
	v_cmp_eq_u32_sdwa s[4:5], v10, v27 src0_sel:WORD_0 src1_sel:DWORD
	s_nop 1
	v_cndmask_b32_e64 v10, v11, v10, s[4:5]
	v_accvgpr_write_b32 a27, v10
; %bb.1025:                             ;   in Loop: Header=BB379_555 Depth=1
	s_or_b64 exec, exec, s[10:11]
	v_lshlrev_b32_e32 v8, 16, v8
	v_mul_f32_e32 v8, v38, v8
	v_and_b32_e32 v10, 0x7f800000, v8
	v_cmp_ne_u32_e64 s[4:5], s12, v10
                                        ; implicit-def: $agpr28
	s_and_saveexec_b64 s[10:11], s[4:5]
	s_xor_b64 s[4:5], exec, s[10:11]
; %bb.1026:                             ;   in Loop: Header=BB379_555 Depth=1
	v_bfe_u32 v10, v8, 16, 1
	v_add3_u32 v8, v8, v10, s15
	v_accvgpr_write_b32 a28, v8
                                        ; implicit-def: $vgpr8
; %bb.1027:                             ;   in Loop: Header=BB379_555 Depth=1
	s_andn2_saveexec_b64 s[10:11], s[4:5]
; %bb.1028:                             ;   in Loop: Header=BB379_555 Depth=1
	v_or_b32_e32 v10, 0x10000, v8
	v_cmp_eq_u32_sdwa s[4:5], v8, v27 src0_sel:WORD_0 src1_sel:DWORD
	s_nop 1
	v_cndmask_b32_e64 v8, v10, v8, s[4:5]
	v_accvgpr_write_b32 a28, v8
; %bb.1029:                             ;   in Loop: Header=BB379_555 Depth=1
	s_or_b64 exec, exec, s[10:11]
	v_lshlrev_b32_e32 v8, 16, v9
	v_mul_f32_e32 v8, v39, v8
	v_and_b32_e32 v9, 0x7f800000, v8
	v_cmp_ne_u32_e64 s[4:5], s12, v9
                                        ; implicit-def: $agpr29
	s_and_saveexec_b64 s[10:11], s[4:5]
	s_xor_b64 s[4:5], exec, s[10:11]
; %bb.1030:                             ;   in Loop: Header=BB379_555 Depth=1
	v_bfe_u32 v9, v8, 16, 1
	v_add3_u32 v8, v8, v9, s15
	v_accvgpr_write_b32 a29, v8
                                        ; implicit-def: $vgpr8
; %bb.1031:                             ;   in Loop: Header=BB379_555 Depth=1
	s_andn2_saveexec_b64 s[10:11], s[4:5]
; %bb.1032:                             ;   in Loop: Header=BB379_555 Depth=1
	v_or_b32_e32 v9, 0x10000, v8
	v_cmp_eq_u32_sdwa s[4:5], v8, v27 src0_sel:WORD_0 src1_sel:DWORD
	s_nop 1
	v_cndmask_b32_e64 v8, v9, v8, s[4:5]
	v_accvgpr_write_b32 a29, v8
; %bb.1033:                             ;   in Loop: Header=BB379_555 Depth=1
	s_or_b64 exec, exec, s[10:11]
	v_lshlrev_b32_e32 v7, 16, v7
	v_mul_f32_e32 v7, v48, v7
	v_and_b32_e32 v8, 0x7f800000, v7
	v_cmp_ne_u32_e64 s[4:5], s12, v8
                                        ; implicit-def: $agpr4
	s_and_saveexec_b64 s[10:11], s[4:5]
	s_xor_b64 s[4:5], exec, s[10:11]
; %bb.1034:                             ;   in Loop: Header=BB379_555 Depth=1
	v_bfe_u32 v8, v7, 16, 1
	v_add3_u32 v7, v7, v8, s15
	v_accvgpr_write_b32 a4, v7
                                        ; implicit-def: $vgpr7
; %bb.1035:                             ;   in Loop: Header=BB379_555 Depth=1
	s_andn2_saveexec_b64 s[10:11], s[4:5]
; %bb.1036:                             ;   in Loop: Header=BB379_555 Depth=1
	v_or_b32_e32 v8, 0x10000, v7
	v_cmp_eq_u32_sdwa s[4:5], v7, v27 src0_sel:WORD_0 src1_sel:DWORD
	s_nop 1
	v_cndmask_b32_e64 v7, v8, v7, s[4:5]
	v_accvgpr_write_b32 a4, v7
; %bb.1037:                             ;   in Loop: Header=BB379_555 Depth=1
	s_or_b64 exec, exec, s[10:11]
	v_lshlrev_b32_e32 v6, 16, v6
	v_mul_f32_e32 v6, v49, v6
	v_and_b32_e32 v7, 0x7f800000, v6
	v_cmp_ne_u32_e64 s[4:5], s12, v7
                                        ; implicit-def: $agpr30
	s_and_saveexec_b64 s[10:11], s[4:5]
	s_xor_b64 s[4:5], exec, s[10:11]
; %bb.1038:                             ;   in Loop: Header=BB379_555 Depth=1
	v_bfe_u32 v7, v6, 16, 1
	v_add3_u32 v6, v6, v7, s15
	v_accvgpr_write_b32 a30, v6
                                        ; implicit-def: $vgpr6
; %bb.1039:                             ;   in Loop: Header=BB379_555 Depth=1
	s_andn2_saveexec_b64 s[10:11], s[4:5]
; %bb.1040:                             ;   in Loop: Header=BB379_555 Depth=1
	v_or_b32_e32 v7, 0x10000, v6
	v_cmp_eq_u32_sdwa s[4:5], v6, v27 src0_sel:WORD_0 src1_sel:DWORD
	s_nop 1
	v_cndmask_b32_e64 v6, v7, v6, s[4:5]
	v_accvgpr_write_b32 a30, v6
; %bb.1041:                             ;   in Loop: Header=BB379_555 Depth=1
	s_or_b64 exec, exec, s[10:11]
	v_lshlrev_b32_e32 v5, 16, v5
	v_mul_f32_e32 v5, v50, v5
	v_and_b32_e32 v6, 0x7f800000, v5
	v_cmp_ne_u32_e64 s[4:5], s12, v6
                                        ; implicit-def: $agpr31
	s_and_saveexec_b64 s[10:11], s[4:5]
	s_xor_b64 s[4:5], exec, s[10:11]
; %bb.1042:                             ;   in Loop: Header=BB379_555 Depth=1
	v_bfe_u32 v6, v5, 16, 1
	v_add3_u32 v5, v5, v6, s15
	v_accvgpr_write_b32 a31, v5
                                        ; implicit-def: $vgpr5
; %bb.1043:                             ;   in Loop: Header=BB379_555 Depth=1
	s_andn2_saveexec_b64 s[10:11], s[4:5]
; %bb.1044:                             ;   in Loop: Header=BB379_555 Depth=1
	v_or_b32_e32 v6, 0x10000, v5
	v_cmp_eq_u32_sdwa s[4:5], v5, v27 src0_sel:WORD_0 src1_sel:DWORD
	s_nop 1
	v_cndmask_b32_e64 v5, v6, v5, s[4:5]
	v_accvgpr_write_b32 a31, v5
; %bb.1045:                             ;   in Loop: Header=BB379_555 Depth=1
	s_or_b64 exec, exec, s[10:11]
	v_lshlrev_b32_e32 v4, 16, v4
	v_mul_f32_e32 v4, v51, v4
	v_and_b32_e32 v5, 0x7f800000, v4
	v_cmp_ne_u32_e64 s[4:5], s12, v5
                                        ; implicit-def: $agpr7
	s_and_saveexec_b64 s[10:11], s[4:5]
	s_xor_b64 s[4:5], exec, s[10:11]
; %bb.1046:                             ;   in Loop: Header=BB379_555 Depth=1
	v_bfe_u32 v5, v4, 16, 1
	v_add3_u32 v4, v4, v5, s15
	v_accvgpr_write_b32 a7, v4
                                        ; implicit-def: $vgpr4
; %bb.1047:                             ;   in Loop: Header=BB379_555 Depth=1
	s_andn2_saveexec_b64 s[10:11], s[4:5]
; %bb.1048:                             ;   in Loop: Header=BB379_555 Depth=1
	v_or_b32_e32 v5, 0x10000, v4
	v_cmp_eq_u32_sdwa s[4:5], v4, v27 src0_sel:WORD_0 src1_sel:DWORD
	s_nop 1
	v_cndmask_b32_e64 v4, v5, v4, s[4:5]
	v_accvgpr_write_b32 a7, v4
; %bb.1049:                             ;   in Loop: Header=BB379_555 Depth=1
	s_or_b64 exec, exec, s[10:11]
	flat_load_dwordx2 v[2:3], v[2:3] offset:3584
	s_waitcnt vmcnt(0) lgkmcnt(0)
	v_and_b32_e32 v4, 0xff, v2
	v_cvt_f32_fp8_sdwa v4, v4 src0_sel:BYTE_0
	s_nop 0
	v_mul_f32_e32 v5, v23, v4
	v_and_b32_e32 v4, 0x7f800000, v5
	v_cmp_ne_u32_e64 s[4:5], s12, v4
                                        ; implicit-def: $vgpr4
	s_and_saveexec_b64 s[10:11], s[4:5]
	s_xor_b64 s[4:5], exec, s[10:11]
; %bb.1050:                             ;   in Loop: Header=BB379_555 Depth=1
	v_bfe_u32 v4, v5, 16, 1
	v_add3_u32 v4, v5, v4, s15
                                        ; implicit-def: $vgpr5
; %bb.1051:                             ;   in Loop: Header=BB379_555 Depth=1
	s_andn2_saveexec_b64 s[10:11], s[4:5]
; %bb.1052:                             ;   in Loop: Header=BB379_555 Depth=1
	v_or_b32_e32 v4, 0x10000, v5
	v_cmp_eq_u32_sdwa s[4:5], v5, v27 src0_sel:WORD_0 src1_sel:DWORD
	s_nop 1
	v_cndmask_b32_e64 v4, v4, v5, s[4:5]
; %bb.1053:                             ;   in Loop: Header=BB379_555 Depth=1
	s_or_b64 exec, exec, s[10:11]
	v_bfe_u32 v5, v2, 8, 8
	v_cvt_f32_fp8_sdwa v5, v5 src0_sel:BYTE_0
	s_nop 0
	v_mul_f32_e32 v6, v23, v5
	v_and_b32_e32 v5, 0x7f800000, v6
	v_cmp_ne_u32_e64 s[4:5], s12, v5
                                        ; implicit-def: $vgpr5
	s_and_saveexec_b64 s[10:11], s[4:5]
	s_xor_b64 s[4:5], exec, s[10:11]
; %bb.1054:                             ;   in Loop: Header=BB379_555 Depth=1
	v_bfe_u32 v5, v6, 16, 1
	v_add3_u32 v5, v6, v5, s15
                                        ; implicit-def: $vgpr6
; %bb.1055:                             ;   in Loop: Header=BB379_555 Depth=1
	s_andn2_saveexec_b64 s[10:11], s[4:5]
; %bb.1056:                             ;   in Loop: Header=BB379_555 Depth=1
	v_or_b32_e32 v5, 0x10000, v6
	v_cmp_eq_u32_sdwa s[4:5], v6, v27 src0_sel:WORD_0 src1_sel:DWORD
	s_nop 1
	v_cndmask_b32_e64 v5, v5, v6, s[4:5]
; %bb.1057:                             ;   in Loop: Header=BB379_555 Depth=1
	s_or_b64 exec, exec, s[10:11]
	v_bfe_u32 v6, v2, 16, 8
	v_cvt_f32_fp8_sdwa v6, v6 src0_sel:BYTE_0
	s_nop 0
	v_mul_f32_e32 v6, v23, v6
	v_and_b32_e32 v7, 0x7f800000, v6
	v_cmp_ne_u32_e64 s[4:5], s12, v7
                                        ; implicit-def: $vgpr7
	s_and_saveexec_b64 s[10:11], s[4:5]
	s_xor_b64 s[4:5], exec, s[10:11]
; %bb.1058:                             ;   in Loop: Header=BB379_555 Depth=1
	v_bfe_u32 v7, v6, 16, 1
	v_add3_u32 v7, v6, v7, s15
                                        ; implicit-def: $vgpr6
; %bb.1059:                             ;   in Loop: Header=BB379_555 Depth=1
	s_andn2_saveexec_b64 s[10:11], s[4:5]
; %bb.1060:                             ;   in Loop: Header=BB379_555 Depth=1
	v_or_b32_e32 v7, 0x10000, v6
	v_cmp_eq_u32_sdwa s[4:5], v6, v27 src0_sel:WORD_0 src1_sel:DWORD
	s_nop 1
	v_cndmask_b32_e64 v7, v7, v6, s[4:5]
; %bb.1061:                             ;   in Loop: Header=BB379_555 Depth=1
	s_or_b64 exec, exec, s[10:11]
	v_lshrrev_b32_e32 v2, 24, v2
	v_cvt_f32_fp8_sdwa v2, v2 src0_sel:BYTE_0
	s_nop 0
	v_mul_f32_e32 v6, v23, v2
	v_and_b32_e32 v2, 0x7f800000, v6
	v_cmp_ne_u32_e64 s[4:5], s12, v2
                                        ; implicit-def: $vgpr2
	s_and_saveexec_b64 s[10:11], s[4:5]
	s_xor_b64 s[4:5], exec, s[10:11]
; %bb.1062:                             ;   in Loop: Header=BB379_555 Depth=1
	v_bfe_u32 v2, v6, 16, 1
	v_add3_u32 v2, v6, v2, s15
                                        ; implicit-def: $vgpr6
; %bb.1063:                             ;   in Loop: Header=BB379_555 Depth=1
	s_andn2_saveexec_b64 s[10:11], s[4:5]
; %bb.1064:                             ;   in Loop: Header=BB379_555 Depth=1
	v_or_b32_e32 v2, 0x10000, v6
	v_cmp_eq_u32_sdwa s[4:5], v6, v27 src0_sel:WORD_0 src1_sel:DWORD
	s_nop 1
	v_cndmask_b32_e64 v2, v2, v6, s[4:5]
; %bb.1065:                             ;   in Loop: Header=BB379_555 Depth=1
	s_or_b64 exec, exec, s[10:11]
	v_and_b32_e32 v6, 0xff, v3
	v_cvt_f32_fp8_sdwa v6, v6 src0_sel:BYTE_0
	s_nop 0
	v_mul_f32_e32 v6, v23, v6
	v_and_b32_e32 v8, 0x7f800000, v6
	v_cmp_ne_u32_e64 s[4:5], s12, v8
                                        ; implicit-def: $vgpr8
	s_and_saveexec_b64 s[10:11], s[4:5]
	s_xor_b64 s[4:5], exec, s[10:11]
; %bb.1066:                             ;   in Loop: Header=BB379_555 Depth=1
	v_bfe_u32 v8, v6, 16, 1
	v_add3_u32 v8, v6, v8, s15
                                        ; implicit-def: $vgpr6
; %bb.1067:                             ;   in Loop: Header=BB379_555 Depth=1
	s_andn2_saveexec_b64 s[10:11], s[4:5]
; %bb.1068:                             ;   in Loop: Header=BB379_555 Depth=1
	v_or_b32_e32 v8, 0x10000, v6
	v_cmp_eq_u32_sdwa s[4:5], v6, v27 src0_sel:WORD_0 src1_sel:DWORD
	s_nop 1
	v_cndmask_b32_e64 v8, v8, v6, s[4:5]
; %bb.1069:                             ;   in Loop: Header=BB379_555 Depth=1
	s_or_b64 exec, exec, s[10:11]
	v_bfe_u32 v6, v3, 8, 8
	v_cvt_f32_fp8_sdwa v6, v6 src0_sel:BYTE_0
	s_nop 0
	v_mul_f32_e32 v9, v23, v6
	v_and_b32_e32 v6, 0x7f800000, v9
	v_cmp_ne_u32_e64 s[4:5], s12, v6
                                        ; implicit-def: $vgpr6
	s_and_saveexec_b64 s[10:11], s[4:5]
	s_xor_b64 s[4:5], exec, s[10:11]
; %bb.1070:                             ;   in Loop: Header=BB379_555 Depth=1
	v_bfe_u32 v6, v9, 16, 1
	v_add3_u32 v6, v9, v6, s15
                                        ; implicit-def: $vgpr9
; %bb.1071:                             ;   in Loop: Header=BB379_555 Depth=1
	s_andn2_saveexec_b64 s[10:11], s[4:5]
; %bb.1072:                             ;   in Loop: Header=BB379_555 Depth=1
	v_or_b32_e32 v6, 0x10000, v9
	v_cmp_eq_u32_sdwa s[4:5], v9, v27 src0_sel:WORD_0 src1_sel:DWORD
	s_nop 1
	v_cndmask_b32_e64 v6, v6, v9, s[4:5]
; %bb.1073:                             ;   in Loop: Header=BB379_555 Depth=1
	s_or_b64 exec, exec, s[10:11]
	v_bfe_u32 v9, v3, 16, 8
	v_cvt_f32_fp8_sdwa v9, v9 src0_sel:BYTE_0
	s_nop 0
	v_mul_f32_e32 v9, v23, v9
	v_and_b32_e32 v10, 0x7f800000, v9
	v_cmp_ne_u32_e64 s[4:5], s12, v10
                                        ; implicit-def: $vgpr10
	s_and_saveexec_b64 s[10:11], s[4:5]
	s_xor_b64 s[4:5], exec, s[10:11]
; %bb.1074:                             ;   in Loop: Header=BB379_555 Depth=1
	v_bfe_u32 v10, v9, 16, 1
	v_add3_u32 v10, v9, v10, s15
                                        ; implicit-def: $vgpr9
; %bb.1075:                             ;   in Loop: Header=BB379_555 Depth=1
	s_andn2_saveexec_b64 s[10:11], s[4:5]
; %bb.1076:                             ;   in Loop: Header=BB379_555 Depth=1
	v_or_b32_e32 v10, 0x10000, v9
	v_cmp_eq_u32_sdwa s[4:5], v9, v27 src0_sel:WORD_0 src1_sel:DWORD
	s_nop 1
	v_cndmask_b32_e64 v10, v10, v9, s[4:5]
; %bb.1077:                             ;   in Loop: Header=BB379_555 Depth=1
	s_or_b64 exec, exec, s[10:11]
	v_lshrrev_b32_e32 v3, 24, v3
	v_cvt_f32_fp8_sdwa v3, v3 src0_sel:BYTE_0
                                        ; implicit-def: $vgpr11
	s_nop 0
	v_mul_f32_e32 v3, v23, v3
	v_and_b32_e32 v9, 0x7f800000, v3
	v_cmp_ne_u32_e64 s[4:5], s12, v9
	s_and_saveexec_b64 s[10:11], s[4:5]
	s_xor_b64 s[4:5], exec, s[10:11]
; %bb.1078:                             ;   in Loop: Header=BB379_555 Depth=1
	v_bfe_u32 v9, v3, 16, 1
	v_add3_u32 v11, v3, v9, s15
                                        ; implicit-def: $vgpr3
; %bb.1079:                             ;   in Loop: Header=BB379_555 Depth=1
	s_andn2_saveexec_b64 s[10:11], s[4:5]
; %bb.1080:                             ;   in Loop: Header=BB379_555 Depth=1
	v_or_b32_e32 v9, 0x10000, v3
	v_cmp_eq_u32_sdwa s[4:5], v3, v27 src0_sel:WORD_0 src1_sel:DWORD
	s_nop 1
	v_cndmask_b32_e64 v11, v9, v3, s[4:5]
; %bb.1081:                             ;   in Loop: Header=BB379_555 Depth=1
	s_or_b64 exec, exec, s[10:11]
	v_lshrrev_b32_e32 v6, 16, v6
	v_lshrrev_b32_e32 v8, 16, v8
	;; [unrolled: 1-line block ×8, first 2 shown]
	s_and_saveexec_b64 s[10:11], vcc
	s_cbranch_execz .LBB379_1083
; %bb.1082:                             ;   in Loop: Header=BB379_555 Depth=1
	v_accvgpr_read_b32 v10, a40
	v_cmp_lt_i32_e64 s[4:5], v10, v45
	v_accvgpr_read_b32 v10, a46
	s_nop 0
	v_cndmask_b32_e64 v4, 0, v4, s[4:5]
	v_cmp_lt_i32_e64 s[4:5], v10, v45
	v_accvgpr_read_b32 v10, a45
	s_nop 0
	v_cndmask_b32_e64 v5, 0, v5, s[4:5]
	v_cmp_lt_i32_e64 s[4:5], v10, v45
	v_accvgpr_read_b32 v10, a44
	s_nop 0
	v_cndmask_b32_e64 v7, 0, v7, s[4:5]
	v_cmp_lt_i32_e64 s[4:5], v10, v45
	v_accvgpr_read_b32 v10, a43
	s_nop 0
	v_cndmask_b32_e64 v9, 0, v9, s[4:5]
	v_cmp_lt_i32_e64 s[4:5], v10, v45
	v_accvgpr_read_b32 v10, a42
	s_nop 0
	v_cndmask_b32_e64 v8, 0, v8, s[4:5]
	v_cmp_lt_i32_e64 s[4:5], v10, v45
	v_accvgpr_read_b32 v10, a41
	s_nop 0
	v_cndmask_b32_e64 v6, 0, v6, s[4:5]
	v_cmp_lt_i32_e64 s[4:5], v10, v45
	s_nop 1
	v_cndmask_b32_e64 v3, 0, v3, s[4:5]
	v_cmp_lt_i32_e64 s[4:5], v17, v45
	s_nop 1
	v_cndmask_b32_e64 v2, 0, v2, s[4:5]
.LBB379_1083:                           ;   in Loop: Header=BB379_555 Depth=1
	s_or_b64 exec, exec, s[10:11]
	v_lshlrev_b32_e32 v4, 16, v4
	v_mul_f32_e32 v4, v36, v4
	v_and_b32_e32 v10, 0x7f800000, v4
	v_cmp_ne_u32_e64 s[4:5], s12, v10
                                        ; implicit-def: $agpr32
	s_and_saveexec_b64 s[10:11], s[4:5]
	s_xor_b64 s[4:5], exec, s[10:11]
; %bb.1084:                             ;   in Loop: Header=BB379_555 Depth=1
	v_bfe_u32 v10, v4, 16, 1
	v_add3_u32 v4, v4, v10, s15
	v_accvgpr_write_b32 a32, v4
                                        ; implicit-def: $vgpr4
; %bb.1085:                             ;   in Loop: Header=BB379_555 Depth=1
	s_andn2_saveexec_b64 s[10:11], s[4:5]
; %bb.1086:                             ;   in Loop: Header=BB379_555 Depth=1
	v_or_b32_e32 v10, 0x10000, v4
	v_cmp_eq_u32_sdwa s[4:5], v4, v27 src0_sel:WORD_0 src1_sel:DWORD
	s_nop 1
	v_cndmask_b32_e64 v4, v10, v4, s[4:5]
	v_accvgpr_write_b32 a32, v4
; %bb.1087:                             ;   in Loop: Header=BB379_555 Depth=1
	s_or_b64 exec, exec, s[10:11]
	v_lshlrev_b32_e32 v4, 16, v5
	v_mul_f32_e32 v4, v37, v4
	v_and_b32_e32 v5, 0x7f800000, v4
	v_cmp_ne_u32_e64 s[4:5], s12, v5
                                        ; implicit-def: $agpr33
	s_and_saveexec_b64 s[10:11], s[4:5]
	s_xor_b64 s[4:5], exec, s[10:11]
; %bb.1088:                             ;   in Loop: Header=BB379_555 Depth=1
	v_bfe_u32 v5, v4, 16, 1
	v_add3_u32 v4, v4, v5, s15
	v_accvgpr_write_b32 a33, v4
                                        ; implicit-def: $vgpr4
; %bb.1089:                             ;   in Loop: Header=BB379_555 Depth=1
	s_andn2_saveexec_b64 s[10:11], s[4:5]
; %bb.1090:                             ;   in Loop: Header=BB379_555 Depth=1
	v_or_b32_e32 v5, 0x10000, v4
	v_cmp_eq_u32_sdwa s[4:5], v4, v27 src0_sel:WORD_0 src1_sel:DWORD
	s_nop 1
	v_cndmask_b32_e64 v4, v5, v4, s[4:5]
	v_accvgpr_write_b32 a33, v4
; %bb.1091:                             ;   in Loop: Header=BB379_555 Depth=1
	s_or_b64 exec, exec, s[10:11]
	v_lshlrev_b32_e32 v4, 16, v7
	v_mul_f32_e32 v4, v38, v4
	v_and_b32_e32 v5, 0x7f800000, v4
	v_cmp_ne_u32_e64 s[4:5], s12, v5
                                        ; implicit-def: $agpr34
	s_and_saveexec_b64 s[10:11], s[4:5]
	s_xor_b64 s[4:5], exec, s[10:11]
; %bb.1092:                             ;   in Loop: Header=BB379_555 Depth=1
	v_bfe_u32 v5, v4, 16, 1
	v_add3_u32 v4, v4, v5, s15
	v_accvgpr_write_b32 a34, v4
                                        ; implicit-def: $vgpr4
; %bb.1093:                             ;   in Loop: Header=BB379_555 Depth=1
	s_andn2_saveexec_b64 s[10:11], s[4:5]
; %bb.1094:                             ;   in Loop: Header=BB379_555 Depth=1
	v_or_b32_e32 v5, 0x10000, v4
	v_cmp_eq_u32_sdwa s[4:5], v4, v27 src0_sel:WORD_0 src1_sel:DWORD
	s_nop 1
	v_cndmask_b32_e64 v4, v5, v4, s[4:5]
	v_accvgpr_write_b32 a34, v4
; %bb.1095:                             ;   in Loop: Header=BB379_555 Depth=1
	s_or_b64 exec, exec, s[10:11]
	v_lshlrev_b32_e32 v4, 16, v9
	v_mul_f32_e32 v4, v39, v4
	v_and_b32_e32 v5, 0x7f800000, v4
	v_cmp_ne_u32_e64 s[4:5], s12, v5
                                        ; implicit-def: $agpr35
	s_and_saveexec_b64 s[10:11], s[4:5]
	s_xor_b64 s[4:5], exec, s[10:11]
; %bb.1096:                             ;   in Loop: Header=BB379_555 Depth=1
	v_bfe_u32 v5, v4, 16, 1
	v_add3_u32 v4, v4, v5, s15
	v_accvgpr_write_b32 a35, v4
                                        ; implicit-def: $vgpr4
; %bb.1097:                             ;   in Loop: Header=BB379_555 Depth=1
	s_andn2_saveexec_b64 s[10:11], s[4:5]
; %bb.1098:                             ;   in Loop: Header=BB379_555 Depth=1
	v_or_b32_e32 v5, 0x10000, v4
	v_cmp_eq_u32_sdwa s[4:5], v4, v27 src0_sel:WORD_0 src1_sel:DWORD
	s_nop 1
	v_cndmask_b32_e64 v4, v5, v4, s[4:5]
	v_accvgpr_write_b32 a35, v4
; %bb.1099:                             ;   in Loop: Header=BB379_555 Depth=1
	s_or_b64 exec, exec, s[10:11]
	v_lshlrev_b32_e32 v4, 16, v8
	v_mul_f32_e32 v4, v48, v4
	v_and_b32_e32 v5, 0x7f800000, v4
	v_cmp_ne_u32_e64 s[4:5], s12, v5
                                        ; implicit-def: $agpr36
	s_and_saveexec_b64 s[10:11], s[4:5]
	s_xor_b64 s[4:5], exec, s[10:11]
; %bb.1100:                             ;   in Loop: Header=BB379_555 Depth=1
	v_bfe_u32 v5, v4, 16, 1
	v_add3_u32 v4, v4, v5, s15
	v_accvgpr_write_b32 a36, v4
                                        ; implicit-def: $vgpr4
; %bb.1101:                             ;   in Loop: Header=BB379_555 Depth=1
	s_andn2_saveexec_b64 s[10:11], s[4:5]
; %bb.1102:                             ;   in Loop: Header=BB379_555 Depth=1
	v_or_b32_e32 v5, 0x10000, v4
	v_cmp_eq_u32_sdwa s[4:5], v4, v27 src0_sel:WORD_0 src1_sel:DWORD
	s_nop 1
	v_cndmask_b32_e64 v4, v5, v4, s[4:5]
	v_accvgpr_write_b32 a36, v4
; %bb.1103:                             ;   in Loop: Header=BB379_555 Depth=1
	s_or_b64 exec, exec, s[10:11]
	v_lshlrev_b32_e32 v4, 16, v6
	v_mul_f32_e32 v4, v49, v4
	v_and_b32_e32 v5, 0x7f800000, v4
	v_cmp_ne_u32_e64 s[4:5], s12, v5
                                        ; implicit-def: $agpr37
	s_and_saveexec_b64 s[10:11], s[4:5]
	s_xor_b64 s[4:5], exec, s[10:11]
; %bb.1104:                             ;   in Loop: Header=BB379_555 Depth=1
	v_bfe_u32 v5, v4, 16, 1
	v_add3_u32 v4, v4, v5, s15
	v_accvgpr_write_b32 a37, v4
                                        ; implicit-def: $vgpr4
; %bb.1105:                             ;   in Loop: Header=BB379_555 Depth=1
	s_andn2_saveexec_b64 s[10:11], s[4:5]
; %bb.1106:                             ;   in Loop: Header=BB379_555 Depth=1
	v_or_b32_e32 v5, 0x10000, v4
	v_cmp_eq_u32_sdwa s[4:5], v4, v27 src0_sel:WORD_0 src1_sel:DWORD
	s_nop 1
	v_cndmask_b32_e64 v4, v5, v4, s[4:5]
	v_accvgpr_write_b32 a37, v4
; %bb.1107:                             ;   in Loop: Header=BB379_555 Depth=1
	s_or_b64 exec, exec, s[10:11]
	v_lshlrev_b32_e32 v3, 16, v3
	v_mul_f32_e32 v3, v50, v3
	v_and_b32_e32 v4, 0x7f800000, v3
	v_cmp_ne_u32_e64 s[4:5], s12, v4
                                        ; implicit-def: $agpr38
	s_and_saveexec_b64 s[10:11], s[4:5]
	s_xor_b64 s[4:5], exec, s[10:11]
; %bb.1108:                             ;   in Loop: Header=BB379_555 Depth=1
	v_bfe_u32 v4, v3, 16, 1
	v_add3_u32 v3, v3, v4, s15
	v_accvgpr_write_b32 a38, v3
                                        ; implicit-def: $vgpr3
; %bb.1109:                             ;   in Loop: Header=BB379_555 Depth=1
	s_andn2_saveexec_b64 s[10:11], s[4:5]
; %bb.1110:                             ;   in Loop: Header=BB379_555 Depth=1
	v_or_b32_e32 v4, 0x10000, v3
	v_cmp_eq_u32_sdwa s[4:5], v3, v27 src0_sel:WORD_0 src1_sel:DWORD
	s_nop 1
	v_cndmask_b32_e64 v3, v4, v3, s[4:5]
	v_accvgpr_write_b32 a38, v3
; %bb.1111:                             ;   in Loop: Header=BB379_555 Depth=1
	s_or_b64 exec, exec, s[10:11]
	v_lshlrev_b32_e32 v2, 16, v2
	v_mul_f32_e32 v2, v51, v2
	v_and_b32_e32 v3, 0x7f800000, v2
	v_cmp_ne_u32_e64 s[4:5], s12, v3
                                        ; implicit-def: $agpr39
	s_and_saveexec_b64 s[10:11], s[4:5]
	s_xor_b64 s[4:5], exec, s[10:11]
; %bb.1112:                             ;   in Loop: Header=BB379_555 Depth=1
	v_bfe_u32 v3, v2, 16, 1
	v_add3_u32 v2, v2, v3, s15
	v_accvgpr_write_b32 a39, v2
                                        ; implicit-def: $vgpr2
; %bb.1113:                             ;   in Loop: Header=BB379_555 Depth=1
	s_andn2_saveexec_b64 s[10:11], s[4:5]
; %bb.1114:                             ;   in Loop: Header=BB379_555 Depth=1
	v_or_b32_e32 v3, 0x10000, v2
	v_cmp_eq_u32_sdwa s[4:5], v2, v27 src0_sel:WORD_0 src1_sel:DWORD
	s_nop 1
	v_cndmask_b32_e64 v2, v3, v2, s[4:5]
	v_accvgpr_write_b32 a39, v2
; %bb.1115:                             ;   in Loop: Header=BB379_555 Depth=1
	s_or_b64 exec, exec, s[10:11]
	scratch_load_dwordx2 v[2:3], off, s32 offset:392 ; 8-byte Folded Reload
	s_waitcnt vmcnt(0)
	v_lshl_add_u64 v[2:3], v[0:1], 0, v[2:3]
	flat_load_dwordx2 v[2:3], v[2:3]
	s_waitcnt vmcnt(0) lgkmcnt(0)
	v_and_b32_e32 v4, 0xff, v2
	v_cvt_f32_fp8_sdwa v4, v4 src0_sel:BYTE_0
	s_nop 0
	v_mul_f32_e32 v5, v23, v4
	v_and_b32_e32 v4, 0x7f800000, v5
	v_cmp_ne_u32_e64 s[4:5], s12, v4
                                        ; implicit-def: $vgpr4
	s_and_saveexec_b64 s[10:11], s[4:5]
	s_xor_b64 s[4:5], exec, s[10:11]
; %bb.1116:                             ;   in Loop: Header=BB379_555 Depth=1
	v_bfe_u32 v4, v5, 16, 1
	v_add3_u32 v4, v5, v4, s15
                                        ; implicit-def: $vgpr5
; %bb.1117:                             ;   in Loop: Header=BB379_555 Depth=1
	s_andn2_saveexec_b64 s[10:11], s[4:5]
; %bb.1118:                             ;   in Loop: Header=BB379_555 Depth=1
	v_or_b32_e32 v4, 0x10000, v5
	v_cmp_eq_u32_sdwa s[4:5], v5, v27 src0_sel:WORD_0 src1_sel:DWORD
	s_nop 1
	v_cndmask_b32_e64 v4, v4, v5, s[4:5]
; %bb.1119:                             ;   in Loop: Header=BB379_555 Depth=1
	s_or_b64 exec, exec, s[10:11]
	v_bfe_u32 v5, v2, 8, 8
	v_cvt_f32_fp8_sdwa v5, v5 src0_sel:BYTE_0
	s_nop 0
	v_mul_f32_e32 v6, v23, v5
	v_and_b32_e32 v5, 0x7f800000, v6
	v_cmp_ne_u32_e64 s[4:5], s12, v5
                                        ; implicit-def: $vgpr5
	s_and_saveexec_b64 s[10:11], s[4:5]
	s_xor_b64 s[4:5], exec, s[10:11]
; %bb.1120:                             ;   in Loop: Header=BB379_555 Depth=1
	v_bfe_u32 v5, v6, 16, 1
	v_add3_u32 v5, v6, v5, s15
                                        ; implicit-def: $vgpr6
; %bb.1121:                             ;   in Loop: Header=BB379_555 Depth=1
	s_andn2_saveexec_b64 s[10:11], s[4:5]
; %bb.1122:                             ;   in Loop: Header=BB379_555 Depth=1
	v_or_b32_e32 v5, 0x10000, v6
	v_cmp_eq_u32_sdwa s[4:5], v6, v27 src0_sel:WORD_0 src1_sel:DWORD
	s_nop 1
	v_cndmask_b32_e64 v5, v5, v6, s[4:5]
; %bb.1123:                             ;   in Loop: Header=BB379_555 Depth=1
	s_or_b64 exec, exec, s[10:11]
	v_bfe_u32 v6, v2, 16, 8
	v_cvt_f32_fp8_sdwa v6, v6 src0_sel:BYTE_0
	s_nop 0
	v_mul_f32_e32 v6, v23, v6
	v_and_b32_e32 v7, 0x7f800000, v6
	v_cmp_ne_u32_e64 s[4:5], s12, v7
                                        ; implicit-def: $vgpr7
	s_and_saveexec_b64 s[10:11], s[4:5]
	s_xor_b64 s[4:5], exec, s[10:11]
; %bb.1124:                             ;   in Loop: Header=BB379_555 Depth=1
	v_bfe_u32 v7, v6, 16, 1
	v_add3_u32 v7, v6, v7, s15
                                        ; implicit-def: $vgpr6
; %bb.1125:                             ;   in Loop: Header=BB379_555 Depth=1
	s_andn2_saveexec_b64 s[10:11], s[4:5]
; %bb.1126:                             ;   in Loop: Header=BB379_555 Depth=1
	v_or_b32_e32 v7, 0x10000, v6
	v_cmp_eq_u32_sdwa s[4:5], v6, v27 src0_sel:WORD_0 src1_sel:DWORD
	s_nop 1
	v_cndmask_b32_e64 v7, v7, v6, s[4:5]
; %bb.1127:                             ;   in Loop: Header=BB379_555 Depth=1
	s_or_b64 exec, exec, s[10:11]
	v_lshrrev_b32_e32 v2, 24, v2
	v_cvt_f32_fp8_sdwa v2, v2 src0_sel:BYTE_0
	s_nop 0
	v_mul_f32_e32 v6, v23, v2
	v_and_b32_e32 v2, 0x7f800000, v6
	v_cmp_ne_u32_e64 s[4:5], s12, v2
                                        ; implicit-def: $vgpr2
	s_and_saveexec_b64 s[10:11], s[4:5]
	s_xor_b64 s[4:5], exec, s[10:11]
; %bb.1128:                             ;   in Loop: Header=BB379_555 Depth=1
	v_bfe_u32 v2, v6, 16, 1
	v_add3_u32 v2, v6, v2, s15
                                        ; implicit-def: $vgpr6
; %bb.1129:                             ;   in Loop: Header=BB379_555 Depth=1
	s_andn2_saveexec_b64 s[10:11], s[4:5]
; %bb.1130:                             ;   in Loop: Header=BB379_555 Depth=1
	v_or_b32_e32 v2, 0x10000, v6
	v_cmp_eq_u32_sdwa s[4:5], v6, v27 src0_sel:WORD_0 src1_sel:DWORD
	s_nop 1
	v_cndmask_b32_e64 v2, v2, v6, s[4:5]
; %bb.1131:                             ;   in Loop: Header=BB379_555 Depth=1
	s_or_b64 exec, exec, s[10:11]
	v_and_b32_e32 v6, 0xff, v3
	v_cvt_f32_fp8_sdwa v6, v6 src0_sel:BYTE_0
	s_nop 0
	v_mul_f32_e32 v6, v23, v6
	v_and_b32_e32 v8, 0x7f800000, v6
	v_cmp_ne_u32_e64 s[4:5], s12, v8
                                        ; implicit-def: $vgpr8
	s_and_saveexec_b64 s[10:11], s[4:5]
	s_xor_b64 s[4:5], exec, s[10:11]
; %bb.1132:                             ;   in Loop: Header=BB379_555 Depth=1
	v_bfe_u32 v8, v6, 16, 1
	v_add3_u32 v8, v6, v8, s15
                                        ; implicit-def: $vgpr6
; %bb.1133:                             ;   in Loop: Header=BB379_555 Depth=1
	s_andn2_saveexec_b64 s[10:11], s[4:5]
; %bb.1134:                             ;   in Loop: Header=BB379_555 Depth=1
	v_or_b32_e32 v8, 0x10000, v6
	v_cmp_eq_u32_sdwa s[4:5], v6, v27 src0_sel:WORD_0 src1_sel:DWORD
	s_nop 1
	v_cndmask_b32_e64 v8, v8, v6, s[4:5]
; %bb.1135:                             ;   in Loop: Header=BB379_555 Depth=1
	s_or_b64 exec, exec, s[10:11]
	v_bfe_u32 v6, v3, 8, 8
	v_cvt_f32_fp8_sdwa v6, v6 src0_sel:BYTE_0
	s_nop 0
	v_mul_f32_e32 v9, v23, v6
	v_and_b32_e32 v6, 0x7f800000, v9
	v_cmp_ne_u32_e64 s[4:5], s12, v6
                                        ; implicit-def: $vgpr6
	s_and_saveexec_b64 s[10:11], s[4:5]
	s_xor_b64 s[4:5], exec, s[10:11]
; %bb.1136:                             ;   in Loop: Header=BB379_555 Depth=1
	v_bfe_u32 v6, v9, 16, 1
	v_add3_u32 v6, v9, v6, s15
                                        ; implicit-def: $vgpr9
; %bb.1137:                             ;   in Loop: Header=BB379_555 Depth=1
	s_andn2_saveexec_b64 s[10:11], s[4:5]
; %bb.1138:                             ;   in Loop: Header=BB379_555 Depth=1
	v_or_b32_e32 v6, 0x10000, v9
	v_cmp_eq_u32_sdwa s[4:5], v9, v27 src0_sel:WORD_0 src1_sel:DWORD
	s_nop 1
	v_cndmask_b32_e64 v6, v6, v9, s[4:5]
; %bb.1139:                             ;   in Loop: Header=BB379_555 Depth=1
	s_or_b64 exec, exec, s[10:11]
	v_bfe_u32 v9, v3, 16, 8
	v_cvt_f32_fp8_sdwa v9, v9 src0_sel:BYTE_0
	s_nop 0
	v_mul_f32_e32 v9, v23, v9
	v_and_b32_e32 v10, 0x7f800000, v9
	v_cmp_ne_u32_e64 s[4:5], s12, v10
                                        ; implicit-def: $vgpr10
	s_and_saveexec_b64 s[10:11], s[4:5]
	s_xor_b64 s[4:5], exec, s[10:11]
; %bb.1140:                             ;   in Loop: Header=BB379_555 Depth=1
	v_bfe_u32 v10, v9, 16, 1
	v_add3_u32 v10, v9, v10, s15
                                        ; implicit-def: $vgpr9
; %bb.1141:                             ;   in Loop: Header=BB379_555 Depth=1
	s_andn2_saveexec_b64 s[10:11], s[4:5]
; %bb.1142:                             ;   in Loop: Header=BB379_555 Depth=1
	v_or_b32_e32 v10, 0x10000, v9
	v_cmp_eq_u32_sdwa s[4:5], v9, v27 src0_sel:WORD_0 src1_sel:DWORD
	s_nop 1
	v_cndmask_b32_e64 v10, v10, v9, s[4:5]
; %bb.1143:                             ;   in Loop: Header=BB379_555 Depth=1
	s_or_b64 exec, exec, s[10:11]
	v_lshrrev_b32_e32 v3, 24, v3
	v_cvt_f32_fp8_sdwa v3, v3 src0_sel:BYTE_0
                                        ; implicit-def: $vgpr11
	s_nop 0
	v_mul_f32_e32 v3, v23, v3
	v_and_b32_e32 v9, 0x7f800000, v3
	v_cmp_ne_u32_e64 s[4:5], s12, v9
	s_and_saveexec_b64 s[10:11], s[4:5]
	s_xor_b64 s[4:5], exec, s[10:11]
; %bb.1144:                             ;   in Loop: Header=BB379_555 Depth=1
	v_bfe_u32 v9, v3, 16, 1
	v_add3_u32 v11, v3, v9, s15
                                        ; implicit-def: $vgpr3
; %bb.1145:                             ;   in Loop: Header=BB379_555 Depth=1
	s_andn2_saveexec_b64 s[10:11], s[4:5]
; %bb.1146:                             ;   in Loop: Header=BB379_555 Depth=1
	v_or_b32_e32 v9, 0x10000, v3
	v_cmp_eq_u32_sdwa s[4:5], v3, v27 src0_sel:WORD_0 src1_sel:DWORD
	s_nop 1
	v_cndmask_b32_e64 v11, v9, v3, s[4:5]
; %bb.1147:                             ;   in Loop: Header=BB379_555 Depth=1
	s_or_b64 exec, exec, s[10:11]
	v_lshrrev_b32_e32 v6, 16, v6
	v_lshrrev_b32_e32 v8, 16, v8
	;; [unrolled: 1-line block ×8, first 2 shown]
	s_and_saveexec_b64 s[10:11], vcc
	s_cbranch_execz .LBB379_1149
; %bb.1148:                             ;   in Loop: Header=BB379_555 Depth=1
	v_accvgpr_read_b32 v10, a40
	v_cmp_lt_i32_e64 s[4:5], v10, v45
	v_accvgpr_read_b32 v10, a46
	s_nop 0
	v_cndmask_b32_e64 v4, 0, v4, s[4:5]
	v_cmp_lt_i32_e64 s[4:5], v10, v45
	v_accvgpr_read_b32 v10, a45
	s_nop 0
	v_cndmask_b32_e64 v5, 0, v5, s[4:5]
	;; [unrolled: 4-line block ×6, first 2 shown]
	v_cmp_lt_i32_e64 s[4:5], v10, v45
	s_nop 1
	v_cndmask_b32_e64 v3, 0, v3, s[4:5]
	v_cmp_lt_i32_e64 s[4:5], v17, v45
	s_nop 1
	v_cndmask_b32_e64 v2, 0, v2, s[4:5]
.LBB379_1149:                           ;   in Loop: Header=BB379_555 Depth=1
	s_or_b64 exec, exec, s[10:11]
	v_lshlrev_b32_e32 v4, 16, v4
	v_mul_f32_e32 v4, v36, v4
	v_and_b32_e32 v10, 0x7f800000, v4
	v_cmp_ne_u32_e64 s[4:5], s12, v10
                                        ; implicit-def: $agpr47
	s_and_saveexec_b64 s[10:11], s[4:5]
	s_xor_b64 s[4:5], exec, s[10:11]
; %bb.1150:                             ;   in Loop: Header=BB379_555 Depth=1
	v_bfe_u32 v10, v4, 16, 1
	v_add3_u32 v4, v4, v10, s15
	v_accvgpr_write_b32 a47, v4
                                        ; implicit-def: $vgpr4
; %bb.1151:                             ;   in Loop: Header=BB379_555 Depth=1
	s_andn2_saveexec_b64 s[10:11], s[4:5]
; %bb.1152:                             ;   in Loop: Header=BB379_555 Depth=1
	v_or_b32_e32 v10, 0x10000, v4
	v_cmp_eq_u32_sdwa s[4:5], v4, v27 src0_sel:WORD_0 src1_sel:DWORD
	s_nop 1
	v_cndmask_b32_e64 v4, v10, v4, s[4:5]
	v_accvgpr_write_b32 a47, v4
; %bb.1153:                             ;   in Loop: Header=BB379_555 Depth=1
	s_or_b64 exec, exec, s[10:11]
	v_lshlrev_b32_e32 v4, 16, v5
	v_mul_f32_e32 v4, v37, v4
	v_and_b32_e32 v5, 0x7f800000, v4
	v_cmp_ne_u32_e64 s[4:5], s12, v5
                                        ; implicit-def: $agpr48
	s_and_saveexec_b64 s[10:11], s[4:5]
	s_xor_b64 s[4:5], exec, s[10:11]
; %bb.1154:                             ;   in Loop: Header=BB379_555 Depth=1
	v_bfe_u32 v5, v4, 16, 1
	v_add3_u32 v4, v4, v5, s15
	v_accvgpr_write_b32 a48, v4
                                        ; implicit-def: $vgpr4
; %bb.1155:                             ;   in Loop: Header=BB379_555 Depth=1
	s_andn2_saveexec_b64 s[10:11], s[4:5]
; %bb.1156:                             ;   in Loop: Header=BB379_555 Depth=1
	v_or_b32_e32 v5, 0x10000, v4
	v_cmp_eq_u32_sdwa s[4:5], v4, v27 src0_sel:WORD_0 src1_sel:DWORD
	s_nop 1
	v_cndmask_b32_e64 v4, v5, v4, s[4:5]
	v_accvgpr_write_b32 a48, v4
; %bb.1157:                             ;   in Loop: Header=BB379_555 Depth=1
	s_or_b64 exec, exec, s[10:11]
	v_lshlrev_b32_e32 v4, 16, v7
	v_mul_f32_e32 v4, v38, v4
	v_and_b32_e32 v5, 0x7f800000, v4
	v_cmp_ne_u32_e64 s[4:5], s12, v5
                                        ; implicit-def: $agpr49
	s_and_saveexec_b64 s[10:11], s[4:5]
	s_xor_b64 s[4:5], exec, s[10:11]
; %bb.1158:                             ;   in Loop: Header=BB379_555 Depth=1
	v_bfe_u32 v5, v4, 16, 1
	v_add3_u32 v4, v4, v5, s15
	v_accvgpr_write_b32 a49, v4
                                        ; implicit-def: $vgpr4
; %bb.1159:                             ;   in Loop: Header=BB379_555 Depth=1
	s_andn2_saveexec_b64 s[10:11], s[4:5]
; %bb.1160:                             ;   in Loop: Header=BB379_555 Depth=1
	v_or_b32_e32 v5, 0x10000, v4
	v_cmp_eq_u32_sdwa s[4:5], v4, v27 src0_sel:WORD_0 src1_sel:DWORD
	s_nop 1
	v_cndmask_b32_e64 v4, v5, v4, s[4:5]
	v_accvgpr_write_b32 a49, v4
; %bb.1161:                             ;   in Loop: Header=BB379_555 Depth=1
	s_or_b64 exec, exec, s[10:11]
	v_lshlrev_b32_e32 v4, 16, v9
	v_mul_f32_e32 v4, v39, v4
	v_and_b32_e32 v5, 0x7f800000, v4
	v_cmp_ne_u32_e64 s[4:5], s12, v5
                                        ; implicit-def: $agpr50
	s_and_saveexec_b64 s[10:11], s[4:5]
	s_xor_b64 s[4:5], exec, s[10:11]
; %bb.1162:                             ;   in Loop: Header=BB379_555 Depth=1
	v_bfe_u32 v5, v4, 16, 1
	v_add3_u32 v4, v4, v5, s15
	v_accvgpr_write_b32 a50, v4
                                        ; implicit-def: $vgpr4
; %bb.1163:                             ;   in Loop: Header=BB379_555 Depth=1
	s_andn2_saveexec_b64 s[10:11], s[4:5]
; %bb.1164:                             ;   in Loop: Header=BB379_555 Depth=1
	v_or_b32_e32 v5, 0x10000, v4
	v_cmp_eq_u32_sdwa s[4:5], v4, v27 src0_sel:WORD_0 src1_sel:DWORD
	s_nop 1
	v_cndmask_b32_e64 v4, v5, v4, s[4:5]
	v_accvgpr_write_b32 a50, v4
; %bb.1165:                             ;   in Loop: Header=BB379_555 Depth=1
	s_or_b64 exec, exec, s[10:11]
	v_lshlrev_b32_e32 v4, 16, v8
	v_mul_f32_e32 v4, v48, v4
	v_and_b32_e32 v5, 0x7f800000, v4
	v_cmp_ne_u32_e64 s[4:5], s12, v5
                                        ; implicit-def: $agpr51
	s_and_saveexec_b64 s[10:11], s[4:5]
	s_xor_b64 s[4:5], exec, s[10:11]
; %bb.1166:                             ;   in Loop: Header=BB379_555 Depth=1
	v_bfe_u32 v5, v4, 16, 1
	v_add3_u32 v4, v4, v5, s15
	v_accvgpr_write_b32 a51, v4
                                        ; implicit-def: $vgpr4
; %bb.1167:                             ;   in Loop: Header=BB379_555 Depth=1
	s_andn2_saveexec_b64 s[10:11], s[4:5]
; %bb.1168:                             ;   in Loop: Header=BB379_555 Depth=1
	v_or_b32_e32 v5, 0x10000, v4
	v_cmp_eq_u32_sdwa s[4:5], v4, v27 src0_sel:WORD_0 src1_sel:DWORD
	s_nop 1
	v_cndmask_b32_e64 v4, v5, v4, s[4:5]
	v_accvgpr_write_b32 a51, v4
; %bb.1169:                             ;   in Loop: Header=BB379_555 Depth=1
	s_or_b64 exec, exec, s[10:11]
	v_lshlrev_b32_e32 v4, 16, v6
	v_mul_f32_e32 v4, v49, v4
	v_and_b32_e32 v5, 0x7f800000, v4
	v_cmp_ne_u32_e64 s[4:5], s12, v5
                                        ; implicit-def: $agpr52
	s_and_saveexec_b64 s[10:11], s[4:5]
	s_xor_b64 s[4:5], exec, s[10:11]
; %bb.1170:                             ;   in Loop: Header=BB379_555 Depth=1
	v_bfe_u32 v5, v4, 16, 1
	v_add3_u32 v4, v4, v5, s15
	v_accvgpr_write_b32 a52, v4
                                        ; implicit-def: $vgpr4
; %bb.1171:                             ;   in Loop: Header=BB379_555 Depth=1
	s_andn2_saveexec_b64 s[10:11], s[4:5]
; %bb.1172:                             ;   in Loop: Header=BB379_555 Depth=1
	v_or_b32_e32 v5, 0x10000, v4
	v_cmp_eq_u32_sdwa s[4:5], v4, v27 src0_sel:WORD_0 src1_sel:DWORD
	s_nop 1
	v_cndmask_b32_e64 v4, v5, v4, s[4:5]
	v_accvgpr_write_b32 a52, v4
; %bb.1173:                             ;   in Loop: Header=BB379_555 Depth=1
	s_or_b64 exec, exec, s[10:11]
	v_lshlrev_b32_e32 v3, 16, v3
	v_mul_f32_e32 v3, v50, v3
	v_and_b32_e32 v4, 0x7f800000, v3
	v_cmp_ne_u32_e64 s[4:5], s12, v4
                                        ; implicit-def: $agpr53
	s_and_saveexec_b64 s[10:11], s[4:5]
	s_xor_b64 s[4:5], exec, s[10:11]
; %bb.1174:                             ;   in Loop: Header=BB379_555 Depth=1
	v_bfe_u32 v4, v3, 16, 1
	v_add3_u32 v3, v3, v4, s15
	v_accvgpr_write_b32 a53, v3
                                        ; implicit-def: $vgpr3
; %bb.1175:                             ;   in Loop: Header=BB379_555 Depth=1
	s_andn2_saveexec_b64 s[10:11], s[4:5]
; %bb.1176:                             ;   in Loop: Header=BB379_555 Depth=1
	v_or_b32_e32 v4, 0x10000, v3
	v_cmp_eq_u32_sdwa s[4:5], v3, v27 src0_sel:WORD_0 src1_sel:DWORD
	s_nop 1
	v_cndmask_b32_e64 v3, v4, v3, s[4:5]
	v_accvgpr_write_b32 a53, v3
; %bb.1177:                             ;   in Loop: Header=BB379_555 Depth=1
	s_or_b64 exec, exec, s[10:11]
	v_lshlrev_b32_e32 v2, 16, v2
	v_mul_f32_e32 v2, v51, v2
	v_and_b32_e32 v3, 0x7f800000, v2
	v_cmp_ne_u32_e64 s[4:5], s12, v3
                                        ; implicit-def: $agpr54
	s_and_saveexec_b64 s[10:11], s[4:5]
	s_xor_b64 s[4:5], exec, s[10:11]
; %bb.1178:                             ;   in Loop: Header=BB379_555 Depth=1
	v_bfe_u32 v3, v2, 16, 1
	v_add3_u32 v2, v2, v3, s15
	v_accvgpr_write_b32 a54, v2
                                        ; implicit-def: $vgpr2
; %bb.1179:                             ;   in Loop: Header=BB379_555 Depth=1
	s_andn2_saveexec_b64 s[10:11], s[4:5]
; %bb.1180:                             ;   in Loop: Header=BB379_555 Depth=1
	v_or_b32_e32 v3, 0x10000, v2
	v_cmp_eq_u32_sdwa s[4:5], v2, v27 src0_sel:WORD_0 src1_sel:DWORD
	s_nop 1
	v_cndmask_b32_e64 v2, v3, v2, s[4:5]
	v_accvgpr_write_b32 a54, v2
; %bb.1181:                             ;   in Loop: Header=BB379_555 Depth=1
	s_or_b64 exec, exec, s[10:11]
	scratch_load_dwordx2 v[2:3], off, s32 offset:400 ; 8-byte Folded Reload
	s_waitcnt vmcnt(0)
	v_lshl_add_u64 v[2:3], v[0:1], 0, v[2:3]
	flat_load_dwordx2 v[2:3], v[2:3]
	s_waitcnt vmcnt(0) lgkmcnt(0)
	v_and_b32_e32 v4, 0xff, v2
	v_cvt_f32_fp8_sdwa v4, v4 src0_sel:BYTE_0
	s_nop 0
	v_mul_f32_e32 v5, v23, v4
	v_and_b32_e32 v4, 0x7f800000, v5
	v_cmp_ne_u32_e64 s[4:5], s12, v4
                                        ; implicit-def: $vgpr4
	s_and_saveexec_b64 s[10:11], s[4:5]
	s_xor_b64 s[4:5], exec, s[10:11]
; %bb.1182:                             ;   in Loop: Header=BB379_555 Depth=1
	v_bfe_u32 v4, v5, 16, 1
	v_add3_u32 v4, v5, v4, s15
                                        ; implicit-def: $vgpr5
; %bb.1183:                             ;   in Loop: Header=BB379_555 Depth=1
	s_andn2_saveexec_b64 s[10:11], s[4:5]
; %bb.1184:                             ;   in Loop: Header=BB379_555 Depth=1
	v_or_b32_e32 v4, 0x10000, v5
	v_cmp_eq_u32_sdwa s[4:5], v5, v27 src0_sel:WORD_0 src1_sel:DWORD
	s_nop 1
	v_cndmask_b32_e64 v4, v4, v5, s[4:5]
; %bb.1185:                             ;   in Loop: Header=BB379_555 Depth=1
	s_or_b64 exec, exec, s[10:11]
	v_bfe_u32 v5, v2, 8, 8
	v_cvt_f32_fp8_sdwa v5, v5 src0_sel:BYTE_0
	s_nop 0
	v_mul_f32_e32 v6, v23, v5
	v_and_b32_e32 v5, 0x7f800000, v6
	v_cmp_ne_u32_e64 s[4:5], s12, v5
                                        ; implicit-def: $vgpr5
	s_and_saveexec_b64 s[10:11], s[4:5]
	s_xor_b64 s[4:5], exec, s[10:11]
; %bb.1186:                             ;   in Loop: Header=BB379_555 Depth=1
	v_bfe_u32 v5, v6, 16, 1
	v_add3_u32 v5, v6, v5, s15
                                        ; implicit-def: $vgpr6
; %bb.1187:                             ;   in Loop: Header=BB379_555 Depth=1
	s_andn2_saveexec_b64 s[10:11], s[4:5]
; %bb.1188:                             ;   in Loop: Header=BB379_555 Depth=1
	v_or_b32_e32 v5, 0x10000, v6
	v_cmp_eq_u32_sdwa s[4:5], v6, v27 src0_sel:WORD_0 src1_sel:DWORD
	s_nop 1
	v_cndmask_b32_e64 v5, v5, v6, s[4:5]
; %bb.1189:                             ;   in Loop: Header=BB379_555 Depth=1
	s_or_b64 exec, exec, s[10:11]
	v_bfe_u32 v6, v2, 16, 8
	v_cvt_f32_fp8_sdwa v6, v6 src0_sel:BYTE_0
	s_nop 0
	v_mul_f32_e32 v6, v23, v6
	v_and_b32_e32 v7, 0x7f800000, v6
	v_cmp_ne_u32_e64 s[4:5], s12, v7
                                        ; implicit-def: $vgpr7
	s_and_saveexec_b64 s[10:11], s[4:5]
	s_xor_b64 s[4:5], exec, s[10:11]
; %bb.1190:                             ;   in Loop: Header=BB379_555 Depth=1
	v_bfe_u32 v7, v6, 16, 1
	v_add3_u32 v7, v6, v7, s15
                                        ; implicit-def: $vgpr6
; %bb.1191:                             ;   in Loop: Header=BB379_555 Depth=1
	s_andn2_saveexec_b64 s[10:11], s[4:5]
; %bb.1192:                             ;   in Loop: Header=BB379_555 Depth=1
	v_or_b32_e32 v7, 0x10000, v6
	v_cmp_eq_u32_sdwa s[4:5], v6, v27 src0_sel:WORD_0 src1_sel:DWORD
	s_nop 1
	v_cndmask_b32_e64 v7, v7, v6, s[4:5]
; %bb.1193:                             ;   in Loop: Header=BB379_555 Depth=1
	s_or_b64 exec, exec, s[10:11]
	v_lshrrev_b32_e32 v2, 24, v2
	v_cvt_f32_fp8_sdwa v2, v2 src0_sel:BYTE_0
	s_nop 0
	v_mul_f32_e32 v6, v23, v2
	v_and_b32_e32 v2, 0x7f800000, v6
	v_cmp_ne_u32_e64 s[4:5], s12, v2
                                        ; implicit-def: $vgpr2
	s_and_saveexec_b64 s[10:11], s[4:5]
	s_xor_b64 s[4:5], exec, s[10:11]
; %bb.1194:                             ;   in Loop: Header=BB379_555 Depth=1
	v_bfe_u32 v2, v6, 16, 1
	v_add3_u32 v2, v6, v2, s15
                                        ; implicit-def: $vgpr6
; %bb.1195:                             ;   in Loop: Header=BB379_555 Depth=1
	s_andn2_saveexec_b64 s[10:11], s[4:5]
; %bb.1196:                             ;   in Loop: Header=BB379_555 Depth=1
	v_or_b32_e32 v2, 0x10000, v6
	v_cmp_eq_u32_sdwa s[4:5], v6, v27 src0_sel:WORD_0 src1_sel:DWORD
	s_nop 1
	v_cndmask_b32_e64 v2, v2, v6, s[4:5]
; %bb.1197:                             ;   in Loop: Header=BB379_555 Depth=1
	s_or_b64 exec, exec, s[10:11]
	v_and_b32_e32 v6, 0xff, v3
	v_cvt_f32_fp8_sdwa v6, v6 src0_sel:BYTE_0
	s_nop 0
	v_mul_f32_e32 v6, v23, v6
	v_and_b32_e32 v8, 0x7f800000, v6
	v_cmp_ne_u32_e64 s[4:5], s12, v8
                                        ; implicit-def: $vgpr8
	s_and_saveexec_b64 s[10:11], s[4:5]
	s_xor_b64 s[4:5], exec, s[10:11]
; %bb.1198:                             ;   in Loop: Header=BB379_555 Depth=1
	v_bfe_u32 v8, v6, 16, 1
	v_add3_u32 v8, v6, v8, s15
                                        ; implicit-def: $vgpr6
; %bb.1199:                             ;   in Loop: Header=BB379_555 Depth=1
	s_andn2_saveexec_b64 s[10:11], s[4:5]
; %bb.1200:                             ;   in Loop: Header=BB379_555 Depth=1
	v_or_b32_e32 v8, 0x10000, v6
	v_cmp_eq_u32_sdwa s[4:5], v6, v27 src0_sel:WORD_0 src1_sel:DWORD
	s_nop 1
	v_cndmask_b32_e64 v8, v8, v6, s[4:5]
; %bb.1201:                             ;   in Loop: Header=BB379_555 Depth=1
	s_or_b64 exec, exec, s[10:11]
	v_bfe_u32 v6, v3, 8, 8
	v_cvt_f32_fp8_sdwa v6, v6 src0_sel:BYTE_0
	s_nop 0
	v_mul_f32_e32 v9, v23, v6
	v_and_b32_e32 v6, 0x7f800000, v9
	v_cmp_ne_u32_e64 s[4:5], s12, v6
                                        ; implicit-def: $vgpr6
	s_and_saveexec_b64 s[10:11], s[4:5]
	s_xor_b64 s[4:5], exec, s[10:11]
; %bb.1202:                             ;   in Loop: Header=BB379_555 Depth=1
	v_bfe_u32 v6, v9, 16, 1
	v_add3_u32 v6, v9, v6, s15
                                        ; implicit-def: $vgpr9
; %bb.1203:                             ;   in Loop: Header=BB379_555 Depth=1
	s_andn2_saveexec_b64 s[10:11], s[4:5]
; %bb.1204:                             ;   in Loop: Header=BB379_555 Depth=1
	v_or_b32_e32 v6, 0x10000, v9
	v_cmp_eq_u32_sdwa s[4:5], v9, v27 src0_sel:WORD_0 src1_sel:DWORD
	s_nop 1
	v_cndmask_b32_e64 v6, v6, v9, s[4:5]
; %bb.1205:                             ;   in Loop: Header=BB379_555 Depth=1
	s_or_b64 exec, exec, s[10:11]
	v_bfe_u32 v9, v3, 16, 8
	v_cvt_f32_fp8_sdwa v9, v9 src0_sel:BYTE_0
	s_nop 0
	v_mul_f32_e32 v9, v23, v9
	v_and_b32_e32 v10, 0x7f800000, v9
	v_cmp_ne_u32_e64 s[4:5], s12, v10
                                        ; implicit-def: $vgpr10
	s_and_saveexec_b64 s[10:11], s[4:5]
	s_xor_b64 s[4:5], exec, s[10:11]
; %bb.1206:                             ;   in Loop: Header=BB379_555 Depth=1
	v_bfe_u32 v10, v9, 16, 1
	v_add3_u32 v10, v9, v10, s15
                                        ; implicit-def: $vgpr9
; %bb.1207:                             ;   in Loop: Header=BB379_555 Depth=1
	s_andn2_saveexec_b64 s[10:11], s[4:5]
; %bb.1208:                             ;   in Loop: Header=BB379_555 Depth=1
	v_or_b32_e32 v10, 0x10000, v9
	v_cmp_eq_u32_sdwa s[4:5], v9, v27 src0_sel:WORD_0 src1_sel:DWORD
	s_nop 1
	v_cndmask_b32_e64 v10, v10, v9, s[4:5]
; %bb.1209:                             ;   in Loop: Header=BB379_555 Depth=1
	s_or_b64 exec, exec, s[10:11]
	v_lshrrev_b32_e32 v3, 24, v3
	v_cvt_f32_fp8_sdwa v3, v3 src0_sel:BYTE_0
                                        ; implicit-def: $vgpr11
	s_nop 0
	v_mul_f32_e32 v3, v23, v3
	v_and_b32_e32 v9, 0x7f800000, v3
	v_cmp_ne_u32_e64 s[4:5], s12, v9
	s_and_saveexec_b64 s[10:11], s[4:5]
	s_xor_b64 s[4:5], exec, s[10:11]
; %bb.1210:                             ;   in Loop: Header=BB379_555 Depth=1
	v_bfe_u32 v9, v3, 16, 1
	v_add3_u32 v11, v3, v9, s15
                                        ; implicit-def: $vgpr3
; %bb.1211:                             ;   in Loop: Header=BB379_555 Depth=1
	s_andn2_saveexec_b64 s[10:11], s[4:5]
; %bb.1212:                             ;   in Loop: Header=BB379_555 Depth=1
	v_or_b32_e32 v9, 0x10000, v3
	v_cmp_eq_u32_sdwa s[4:5], v3, v27 src0_sel:WORD_0 src1_sel:DWORD
	s_nop 1
	v_cndmask_b32_e64 v11, v9, v3, s[4:5]
; %bb.1213:                             ;   in Loop: Header=BB379_555 Depth=1
	s_or_b64 exec, exec, s[10:11]
	v_lshrrev_b32_e32 v6, 16, v6
	v_lshrrev_b32_e32 v8, 16, v8
	;; [unrolled: 1-line block ×8, first 2 shown]
	s_and_saveexec_b64 s[10:11], vcc
	s_cbranch_execz .LBB379_1215
; %bb.1214:                             ;   in Loop: Header=BB379_555 Depth=1
	v_accvgpr_read_b32 v10, a40
	v_cmp_lt_i32_e64 s[4:5], v10, v45
	v_accvgpr_read_b32 v10, a46
	s_nop 0
	v_cndmask_b32_e64 v4, 0, v4, s[4:5]
	v_cmp_lt_i32_e64 s[4:5], v10, v45
	v_accvgpr_read_b32 v10, a45
	s_nop 0
	v_cndmask_b32_e64 v5, 0, v5, s[4:5]
	;; [unrolled: 4-line block ×6, first 2 shown]
	v_cmp_lt_i32_e64 s[4:5], v10, v45
	s_nop 1
	v_cndmask_b32_e64 v3, 0, v3, s[4:5]
	v_cmp_lt_i32_e64 s[4:5], v17, v45
	s_nop 1
	v_cndmask_b32_e64 v2, 0, v2, s[4:5]
.LBB379_1215:                           ;   in Loop: Header=BB379_555 Depth=1
	s_or_b64 exec, exec, s[10:11]
	v_lshlrev_b32_e32 v4, 16, v4
	v_mul_f32_e32 v4, v36, v4
	v_and_b32_e32 v10, 0x7f800000, v4
	v_cmp_ne_u32_e64 s[4:5], s12, v10
                                        ; implicit-def: $agpr55
	s_and_saveexec_b64 s[10:11], s[4:5]
	s_xor_b64 s[4:5], exec, s[10:11]
; %bb.1216:                             ;   in Loop: Header=BB379_555 Depth=1
	v_bfe_u32 v10, v4, 16, 1
	v_add3_u32 v4, v4, v10, s15
	v_accvgpr_write_b32 a55, v4
                                        ; implicit-def: $vgpr4
; %bb.1217:                             ;   in Loop: Header=BB379_555 Depth=1
	s_andn2_saveexec_b64 s[10:11], s[4:5]
; %bb.1218:                             ;   in Loop: Header=BB379_555 Depth=1
	v_or_b32_e32 v10, 0x10000, v4
	v_cmp_eq_u32_sdwa s[4:5], v4, v27 src0_sel:WORD_0 src1_sel:DWORD
	s_nop 1
	v_cndmask_b32_e64 v4, v10, v4, s[4:5]
	v_accvgpr_write_b32 a55, v4
; %bb.1219:                             ;   in Loop: Header=BB379_555 Depth=1
	s_or_b64 exec, exec, s[10:11]
	v_lshlrev_b32_e32 v4, 16, v5
	v_mul_f32_e32 v4, v37, v4
	v_and_b32_e32 v5, 0x7f800000, v4
	v_cmp_ne_u32_e64 s[4:5], s12, v5
                                        ; implicit-def: $agpr56
	s_and_saveexec_b64 s[10:11], s[4:5]
	s_xor_b64 s[4:5], exec, s[10:11]
; %bb.1220:                             ;   in Loop: Header=BB379_555 Depth=1
	v_bfe_u32 v5, v4, 16, 1
	v_add3_u32 v4, v4, v5, s15
	v_accvgpr_write_b32 a56, v4
                                        ; implicit-def: $vgpr4
; %bb.1221:                             ;   in Loop: Header=BB379_555 Depth=1
	s_andn2_saveexec_b64 s[10:11], s[4:5]
; %bb.1222:                             ;   in Loop: Header=BB379_555 Depth=1
	v_or_b32_e32 v5, 0x10000, v4
	v_cmp_eq_u32_sdwa s[4:5], v4, v27 src0_sel:WORD_0 src1_sel:DWORD
	s_nop 1
	v_cndmask_b32_e64 v4, v5, v4, s[4:5]
	v_accvgpr_write_b32 a56, v4
; %bb.1223:                             ;   in Loop: Header=BB379_555 Depth=1
	s_or_b64 exec, exec, s[10:11]
	v_lshlrev_b32_e32 v4, 16, v7
	v_mul_f32_e32 v4, v38, v4
	v_and_b32_e32 v5, 0x7f800000, v4
	v_cmp_ne_u32_e64 s[4:5], s12, v5
                                        ; implicit-def: $agpr57
	s_and_saveexec_b64 s[10:11], s[4:5]
	s_xor_b64 s[4:5], exec, s[10:11]
; %bb.1224:                             ;   in Loop: Header=BB379_555 Depth=1
	v_bfe_u32 v5, v4, 16, 1
	v_add3_u32 v4, v4, v5, s15
	v_accvgpr_write_b32 a57, v4
                                        ; implicit-def: $vgpr4
; %bb.1225:                             ;   in Loop: Header=BB379_555 Depth=1
	s_andn2_saveexec_b64 s[10:11], s[4:5]
; %bb.1226:                             ;   in Loop: Header=BB379_555 Depth=1
	v_or_b32_e32 v5, 0x10000, v4
	v_cmp_eq_u32_sdwa s[4:5], v4, v27 src0_sel:WORD_0 src1_sel:DWORD
	s_nop 1
	v_cndmask_b32_e64 v4, v5, v4, s[4:5]
	v_accvgpr_write_b32 a57, v4
; %bb.1227:                             ;   in Loop: Header=BB379_555 Depth=1
	s_or_b64 exec, exec, s[10:11]
	v_lshlrev_b32_e32 v4, 16, v9
	v_mul_f32_e32 v4, v39, v4
	v_and_b32_e32 v5, 0x7f800000, v4
	v_cmp_ne_u32_e64 s[4:5], s12, v5
                                        ; implicit-def: $agpr58
	s_and_saveexec_b64 s[10:11], s[4:5]
	s_xor_b64 s[4:5], exec, s[10:11]
; %bb.1228:                             ;   in Loop: Header=BB379_555 Depth=1
	v_bfe_u32 v5, v4, 16, 1
	v_add3_u32 v4, v4, v5, s15
	v_accvgpr_write_b32 a58, v4
                                        ; implicit-def: $vgpr4
; %bb.1229:                             ;   in Loop: Header=BB379_555 Depth=1
	s_andn2_saveexec_b64 s[10:11], s[4:5]
; %bb.1230:                             ;   in Loop: Header=BB379_555 Depth=1
	v_or_b32_e32 v5, 0x10000, v4
	v_cmp_eq_u32_sdwa s[4:5], v4, v27 src0_sel:WORD_0 src1_sel:DWORD
	s_nop 1
	v_cndmask_b32_e64 v4, v5, v4, s[4:5]
	v_accvgpr_write_b32 a58, v4
; %bb.1231:                             ;   in Loop: Header=BB379_555 Depth=1
	s_or_b64 exec, exec, s[10:11]
	v_lshlrev_b32_e32 v4, 16, v8
	v_mul_f32_e32 v4, v48, v4
	v_and_b32_e32 v5, 0x7f800000, v4
	v_cmp_ne_u32_e64 s[4:5], s12, v5
                                        ; implicit-def: $agpr59
	s_and_saveexec_b64 s[10:11], s[4:5]
	s_xor_b64 s[4:5], exec, s[10:11]
; %bb.1232:                             ;   in Loop: Header=BB379_555 Depth=1
	v_bfe_u32 v5, v4, 16, 1
	v_add3_u32 v4, v4, v5, s15
	v_accvgpr_write_b32 a59, v4
                                        ; implicit-def: $vgpr4
; %bb.1233:                             ;   in Loop: Header=BB379_555 Depth=1
	s_andn2_saveexec_b64 s[10:11], s[4:5]
; %bb.1234:                             ;   in Loop: Header=BB379_555 Depth=1
	v_or_b32_e32 v5, 0x10000, v4
	v_cmp_eq_u32_sdwa s[4:5], v4, v27 src0_sel:WORD_0 src1_sel:DWORD
	s_nop 1
	v_cndmask_b32_e64 v4, v5, v4, s[4:5]
	v_accvgpr_write_b32 a59, v4
; %bb.1235:                             ;   in Loop: Header=BB379_555 Depth=1
	s_or_b64 exec, exec, s[10:11]
	v_lshlrev_b32_e32 v4, 16, v6
	v_mul_f32_e32 v4, v49, v4
	v_and_b32_e32 v5, 0x7f800000, v4
	v_cmp_ne_u32_e64 s[4:5], s12, v5
                                        ; implicit-def: $agpr60
	s_and_saveexec_b64 s[10:11], s[4:5]
	s_xor_b64 s[4:5], exec, s[10:11]
; %bb.1236:                             ;   in Loop: Header=BB379_555 Depth=1
	v_bfe_u32 v5, v4, 16, 1
	v_add3_u32 v4, v4, v5, s15
	v_accvgpr_write_b32 a60, v4
                                        ; implicit-def: $vgpr4
; %bb.1237:                             ;   in Loop: Header=BB379_555 Depth=1
	s_andn2_saveexec_b64 s[10:11], s[4:5]
; %bb.1238:                             ;   in Loop: Header=BB379_555 Depth=1
	v_or_b32_e32 v5, 0x10000, v4
	v_cmp_eq_u32_sdwa s[4:5], v4, v27 src0_sel:WORD_0 src1_sel:DWORD
	s_nop 1
	v_cndmask_b32_e64 v4, v5, v4, s[4:5]
	v_accvgpr_write_b32 a60, v4
; %bb.1239:                             ;   in Loop: Header=BB379_555 Depth=1
	s_or_b64 exec, exec, s[10:11]
	v_lshlrev_b32_e32 v3, 16, v3
	v_mul_f32_e32 v3, v50, v3
	v_and_b32_e32 v4, 0x7f800000, v3
	v_cmp_ne_u32_e64 s[4:5], s12, v4
                                        ; implicit-def: $agpr61
	s_and_saveexec_b64 s[10:11], s[4:5]
	s_xor_b64 s[4:5], exec, s[10:11]
; %bb.1240:                             ;   in Loop: Header=BB379_555 Depth=1
	v_bfe_u32 v4, v3, 16, 1
	v_add3_u32 v3, v3, v4, s15
	v_accvgpr_write_b32 a61, v3
                                        ; implicit-def: $vgpr3
; %bb.1241:                             ;   in Loop: Header=BB379_555 Depth=1
	s_andn2_saveexec_b64 s[10:11], s[4:5]
; %bb.1242:                             ;   in Loop: Header=BB379_555 Depth=1
	v_or_b32_e32 v4, 0x10000, v3
	v_cmp_eq_u32_sdwa s[4:5], v3, v27 src0_sel:WORD_0 src1_sel:DWORD
	s_nop 1
	v_cndmask_b32_e64 v3, v4, v3, s[4:5]
	v_accvgpr_write_b32 a61, v3
; %bb.1243:                             ;   in Loop: Header=BB379_555 Depth=1
	s_or_b64 exec, exec, s[10:11]
	v_lshlrev_b32_e32 v2, 16, v2
	v_mul_f32_e32 v2, v51, v2
	v_and_b32_e32 v3, 0x7f800000, v2
	v_cmp_ne_u32_e64 s[4:5], s12, v3
                                        ; implicit-def: $agpr62
	s_and_saveexec_b64 s[10:11], s[4:5]
	s_xor_b64 s[4:5], exec, s[10:11]
; %bb.1244:                             ;   in Loop: Header=BB379_555 Depth=1
	v_bfe_u32 v3, v2, 16, 1
	v_add3_u32 v2, v2, v3, s15
	v_accvgpr_write_b32 a62, v2
                                        ; implicit-def: $vgpr2
; %bb.1245:                             ;   in Loop: Header=BB379_555 Depth=1
	s_andn2_saveexec_b64 s[10:11], s[4:5]
; %bb.1246:                             ;   in Loop: Header=BB379_555 Depth=1
	v_or_b32_e32 v3, 0x10000, v2
	v_cmp_eq_u32_sdwa s[4:5], v2, v27 src0_sel:WORD_0 src1_sel:DWORD
	s_nop 1
	v_cndmask_b32_e64 v2, v3, v2, s[4:5]
	v_accvgpr_write_b32 a62, v2
; %bb.1247:                             ;   in Loop: Header=BB379_555 Depth=1
	s_or_b64 exec, exec, s[10:11]
	scratch_load_dwordx2 v[2:3], off, s32 offset:408 ; 8-byte Folded Reload
	s_waitcnt vmcnt(0)
	v_lshl_add_u64 v[2:3], v[0:1], 0, v[2:3]
	flat_load_dwordx2 v[2:3], v[2:3]
	s_waitcnt vmcnt(0) lgkmcnt(0)
	v_and_b32_e32 v4, 0xff, v2
	v_cvt_f32_fp8_sdwa v4, v4 src0_sel:BYTE_0
	s_nop 0
	v_mul_f32_e32 v5, v23, v4
	v_and_b32_e32 v4, 0x7f800000, v5
	v_cmp_ne_u32_e64 s[4:5], s12, v4
                                        ; implicit-def: $vgpr4
	s_and_saveexec_b64 s[10:11], s[4:5]
	s_xor_b64 s[4:5], exec, s[10:11]
; %bb.1248:                             ;   in Loop: Header=BB379_555 Depth=1
	v_bfe_u32 v4, v5, 16, 1
	v_add3_u32 v4, v5, v4, s15
                                        ; implicit-def: $vgpr5
; %bb.1249:                             ;   in Loop: Header=BB379_555 Depth=1
	s_andn2_saveexec_b64 s[10:11], s[4:5]
; %bb.1250:                             ;   in Loop: Header=BB379_555 Depth=1
	v_or_b32_e32 v4, 0x10000, v5
	v_cmp_eq_u32_sdwa s[4:5], v5, v27 src0_sel:WORD_0 src1_sel:DWORD
	s_nop 1
	v_cndmask_b32_e64 v4, v4, v5, s[4:5]
; %bb.1251:                             ;   in Loop: Header=BB379_555 Depth=1
	s_or_b64 exec, exec, s[10:11]
	v_bfe_u32 v5, v2, 8, 8
	v_cvt_f32_fp8_sdwa v5, v5 src0_sel:BYTE_0
	s_nop 0
	v_mul_f32_e32 v6, v23, v5
	v_and_b32_e32 v5, 0x7f800000, v6
	v_cmp_ne_u32_e64 s[4:5], s12, v5
                                        ; implicit-def: $vgpr5
	s_and_saveexec_b64 s[10:11], s[4:5]
	s_xor_b64 s[4:5], exec, s[10:11]
; %bb.1252:                             ;   in Loop: Header=BB379_555 Depth=1
	v_bfe_u32 v5, v6, 16, 1
	v_add3_u32 v5, v6, v5, s15
                                        ; implicit-def: $vgpr6
; %bb.1253:                             ;   in Loop: Header=BB379_555 Depth=1
	s_andn2_saveexec_b64 s[10:11], s[4:5]
; %bb.1254:                             ;   in Loop: Header=BB379_555 Depth=1
	v_or_b32_e32 v5, 0x10000, v6
	v_cmp_eq_u32_sdwa s[4:5], v6, v27 src0_sel:WORD_0 src1_sel:DWORD
	s_nop 1
	v_cndmask_b32_e64 v5, v5, v6, s[4:5]
; %bb.1255:                             ;   in Loop: Header=BB379_555 Depth=1
	s_or_b64 exec, exec, s[10:11]
	v_bfe_u32 v6, v2, 16, 8
	v_cvt_f32_fp8_sdwa v6, v6 src0_sel:BYTE_0
	s_nop 0
	v_mul_f32_e32 v6, v23, v6
	v_and_b32_e32 v7, 0x7f800000, v6
	v_cmp_ne_u32_e64 s[4:5], s12, v7
                                        ; implicit-def: $vgpr7
	s_and_saveexec_b64 s[10:11], s[4:5]
	s_xor_b64 s[4:5], exec, s[10:11]
; %bb.1256:                             ;   in Loop: Header=BB379_555 Depth=1
	v_bfe_u32 v7, v6, 16, 1
	v_add3_u32 v7, v6, v7, s15
                                        ; implicit-def: $vgpr6
; %bb.1257:                             ;   in Loop: Header=BB379_555 Depth=1
	s_andn2_saveexec_b64 s[10:11], s[4:5]
; %bb.1258:                             ;   in Loop: Header=BB379_555 Depth=1
	v_or_b32_e32 v7, 0x10000, v6
	v_cmp_eq_u32_sdwa s[4:5], v6, v27 src0_sel:WORD_0 src1_sel:DWORD
	s_nop 1
	v_cndmask_b32_e64 v7, v7, v6, s[4:5]
; %bb.1259:                             ;   in Loop: Header=BB379_555 Depth=1
	s_or_b64 exec, exec, s[10:11]
	v_lshrrev_b32_e32 v2, 24, v2
	v_cvt_f32_fp8_sdwa v2, v2 src0_sel:BYTE_0
	s_nop 0
	v_mul_f32_e32 v6, v23, v2
	v_and_b32_e32 v2, 0x7f800000, v6
	v_cmp_ne_u32_e64 s[4:5], s12, v2
                                        ; implicit-def: $vgpr2
	s_and_saveexec_b64 s[10:11], s[4:5]
	s_xor_b64 s[4:5], exec, s[10:11]
; %bb.1260:                             ;   in Loop: Header=BB379_555 Depth=1
	v_bfe_u32 v2, v6, 16, 1
	v_add3_u32 v2, v6, v2, s15
                                        ; implicit-def: $vgpr6
; %bb.1261:                             ;   in Loop: Header=BB379_555 Depth=1
	s_andn2_saveexec_b64 s[10:11], s[4:5]
; %bb.1262:                             ;   in Loop: Header=BB379_555 Depth=1
	v_or_b32_e32 v2, 0x10000, v6
	v_cmp_eq_u32_sdwa s[4:5], v6, v27 src0_sel:WORD_0 src1_sel:DWORD
	s_nop 1
	v_cndmask_b32_e64 v2, v2, v6, s[4:5]
; %bb.1263:                             ;   in Loop: Header=BB379_555 Depth=1
	s_or_b64 exec, exec, s[10:11]
	v_and_b32_e32 v6, 0xff, v3
	v_cvt_f32_fp8_sdwa v6, v6 src0_sel:BYTE_0
	s_nop 0
	v_mul_f32_e32 v6, v23, v6
	v_and_b32_e32 v8, 0x7f800000, v6
	v_cmp_ne_u32_e64 s[4:5], s12, v8
                                        ; implicit-def: $vgpr8
	s_and_saveexec_b64 s[10:11], s[4:5]
	s_xor_b64 s[4:5], exec, s[10:11]
; %bb.1264:                             ;   in Loop: Header=BB379_555 Depth=1
	v_bfe_u32 v8, v6, 16, 1
	v_add3_u32 v8, v6, v8, s15
                                        ; implicit-def: $vgpr6
; %bb.1265:                             ;   in Loop: Header=BB379_555 Depth=1
	s_andn2_saveexec_b64 s[10:11], s[4:5]
; %bb.1266:                             ;   in Loop: Header=BB379_555 Depth=1
	v_or_b32_e32 v8, 0x10000, v6
	v_cmp_eq_u32_sdwa s[4:5], v6, v27 src0_sel:WORD_0 src1_sel:DWORD
	s_nop 1
	v_cndmask_b32_e64 v8, v8, v6, s[4:5]
; %bb.1267:                             ;   in Loop: Header=BB379_555 Depth=1
	s_or_b64 exec, exec, s[10:11]
	v_bfe_u32 v6, v3, 8, 8
	v_cvt_f32_fp8_sdwa v6, v6 src0_sel:BYTE_0
	s_nop 0
	v_mul_f32_e32 v9, v23, v6
	v_and_b32_e32 v6, 0x7f800000, v9
	v_cmp_ne_u32_e64 s[4:5], s12, v6
                                        ; implicit-def: $vgpr6
	s_and_saveexec_b64 s[10:11], s[4:5]
	s_xor_b64 s[4:5], exec, s[10:11]
; %bb.1268:                             ;   in Loop: Header=BB379_555 Depth=1
	v_bfe_u32 v6, v9, 16, 1
	v_add3_u32 v6, v9, v6, s15
                                        ; implicit-def: $vgpr9
; %bb.1269:                             ;   in Loop: Header=BB379_555 Depth=1
	s_andn2_saveexec_b64 s[10:11], s[4:5]
; %bb.1270:                             ;   in Loop: Header=BB379_555 Depth=1
	v_or_b32_e32 v6, 0x10000, v9
	v_cmp_eq_u32_sdwa s[4:5], v9, v27 src0_sel:WORD_0 src1_sel:DWORD
	s_nop 1
	v_cndmask_b32_e64 v6, v6, v9, s[4:5]
; %bb.1271:                             ;   in Loop: Header=BB379_555 Depth=1
	s_or_b64 exec, exec, s[10:11]
	v_bfe_u32 v9, v3, 16, 8
	v_cvt_f32_fp8_sdwa v9, v9 src0_sel:BYTE_0
	s_nop 0
	v_mul_f32_e32 v9, v23, v9
	v_and_b32_e32 v10, 0x7f800000, v9
	v_cmp_ne_u32_e64 s[4:5], s12, v10
                                        ; implicit-def: $vgpr10
	s_and_saveexec_b64 s[10:11], s[4:5]
	s_xor_b64 s[4:5], exec, s[10:11]
; %bb.1272:                             ;   in Loop: Header=BB379_555 Depth=1
	v_bfe_u32 v10, v9, 16, 1
	v_add3_u32 v10, v9, v10, s15
                                        ; implicit-def: $vgpr9
; %bb.1273:                             ;   in Loop: Header=BB379_555 Depth=1
	s_andn2_saveexec_b64 s[10:11], s[4:5]
; %bb.1274:                             ;   in Loop: Header=BB379_555 Depth=1
	v_or_b32_e32 v10, 0x10000, v9
	v_cmp_eq_u32_sdwa s[4:5], v9, v27 src0_sel:WORD_0 src1_sel:DWORD
	s_nop 1
	v_cndmask_b32_e64 v10, v10, v9, s[4:5]
; %bb.1275:                             ;   in Loop: Header=BB379_555 Depth=1
	s_or_b64 exec, exec, s[10:11]
	v_lshrrev_b32_e32 v3, 24, v3
	v_cvt_f32_fp8_sdwa v3, v3 src0_sel:BYTE_0
                                        ; implicit-def: $vgpr11
	s_nop 0
	v_mul_f32_e32 v3, v23, v3
	v_and_b32_e32 v9, 0x7f800000, v3
	v_cmp_ne_u32_e64 s[4:5], s12, v9
	s_and_saveexec_b64 s[10:11], s[4:5]
	s_xor_b64 s[4:5], exec, s[10:11]
; %bb.1276:                             ;   in Loop: Header=BB379_555 Depth=1
	v_bfe_u32 v9, v3, 16, 1
	v_add3_u32 v11, v3, v9, s15
                                        ; implicit-def: $vgpr3
; %bb.1277:                             ;   in Loop: Header=BB379_555 Depth=1
	s_andn2_saveexec_b64 s[10:11], s[4:5]
; %bb.1278:                             ;   in Loop: Header=BB379_555 Depth=1
	v_or_b32_e32 v9, 0x10000, v3
	v_cmp_eq_u32_sdwa s[4:5], v3, v27 src0_sel:WORD_0 src1_sel:DWORD
	s_nop 1
	v_cndmask_b32_e64 v11, v9, v3, s[4:5]
; %bb.1279:                             ;   in Loop: Header=BB379_555 Depth=1
	s_or_b64 exec, exec, s[10:11]
	v_lshrrev_b32_e32 v6, 16, v6
	v_lshrrev_b32_e32 v8, 16, v8
	;; [unrolled: 1-line block ×8, first 2 shown]
	s_and_saveexec_b64 s[10:11], vcc
	s_cbranch_execz .LBB379_1281
; %bb.1280:                             ;   in Loop: Header=BB379_555 Depth=1
	v_accvgpr_read_b32 v10, a40
	v_cmp_lt_i32_e64 s[4:5], v10, v45
	v_accvgpr_read_b32 v10, a46
	s_nop 0
	v_cndmask_b32_e64 v4, 0, v4, s[4:5]
	v_cmp_lt_i32_e64 s[4:5], v10, v45
	v_accvgpr_read_b32 v10, a45
	s_nop 0
	v_cndmask_b32_e64 v5, 0, v5, s[4:5]
	;; [unrolled: 4-line block ×6, first 2 shown]
	v_cmp_lt_i32_e64 s[4:5], v10, v45
	s_nop 1
	v_cndmask_b32_e64 v3, 0, v3, s[4:5]
	v_cmp_lt_i32_e64 s[4:5], v17, v45
	s_nop 1
	v_cndmask_b32_e64 v2, 0, v2, s[4:5]
.LBB379_1281:                           ;   in Loop: Header=BB379_555 Depth=1
	s_or_b64 exec, exec, s[10:11]
	v_lshlrev_b32_e32 v4, 16, v4
	v_mul_f32_e32 v4, v36, v4
	v_and_b32_e32 v10, 0x7f800000, v4
	v_cmp_ne_u32_e64 s[4:5], s12, v10
                                        ; implicit-def: $agpr63
	s_and_saveexec_b64 s[10:11], s[4:5]
	s_xor_b64 s[4:5], exec, s[10:11]
; %bb.1282:                             ;   in Loop: Header=BB379_555 Depth=1
	v_bfe_u32 v10, v4, 16, 1
	v_add3_u32 v4, v4, v10, s15
	v_accvgpr_write_b32 a63, v4
                                        ; implicit-def: $vgpr4
; %bb.1283:                             ;   in Loop: Header=BB379_555 Depth=1
	s_andn2_saveexec_b64 s[10:11], s[4:5]
; %bb.1284:                             ;   in Loop: Header=BB379_555 Depth=1
	v_or_b32_e32 v10, 0x10000, v4
	v_cmp_eq_u32_sdwa s[4:5], v4, v27 src0_sel:WORD_0 src1_sel:DWORD
	s_nop 1
	v_cndmask_b32_e64 v4, v10, v4, s[4:5]
	v_accvgpr_write_b32 a63, v4
; %bb.1285:                             ;   in Loop: Header=BB379_555 Depth=1
	s_or_b64 exec, exec, s[10:11]
	v_lshlrev_b32_e32 v4, 16, v5
	v_mul_f32_e32 v4, v37, v4
	v_and_b32_e32 v5, 0x7f800000, v4
	v_cmp_ne_u32_e64 s[4:5], s12, v5
                                        ; implicit-def: $agpr10
	s_and_saveexec_b64 s[10:11], s[4:5]
	s_xor_b64 s[4:5], exec, s[10:11]
; %bb.1286:                             ;   in Loop: Header=BB379_555 Depth=1
	v_bfe_u32 v5, v4, 16, 1
	v_add3_u32 v4, v4, v5, s15
	v_accvgpr_write_b32 a10, v4
                                        ; implicit-def: $vgpr4
; %bb.1287:                             ;   in Loop: Header=BB379_555 Depth=1
	s_andn2_saveexec_b64 s[10:11], s[4:5]
; %bb.1288:                             ;   in Loop: Header=BB379_555 Depth=1
	v_or_b32_e32 v5, 0x10000, v4
	v_cmp_eq_u32_sdwa s[4:5], v4, v27 src0_sel:WORD_0 src1_sel:DWORD
	s_nop 1
	v_cndmask_b32_e64 v4, v5, v4, s[4:5]
	v_accvgpr_write_b32 a10, v4
; %bb.1289:                             ;   in Loop: Header=BB379_555 Depth=1
	s_or_b64 exec, exec, s[10:11]
	v_lshlrev_b32_e32 v4, 16, v7
	v_mul_f32_e32 v4, v38, v4
	v_and_b32_e32 v5, 0x7f800000, v4
	v_cmp_ne_u32_e64 s[4:5], s12, v5
                                        ; implicit-def: $agpr9
	s_and_saveexec_b64 s[10:11], s[4:5]
	s_xor_b64 s[4:5], exec, s[10:11]
; %bb.1290:                             ;   in Loop: Header=BB379_555 Depth=1
	v_bfe_u32 v5, v4, 16, 1
	v_add3_u32 v4, v4, v5, s15
	v_accvgpr_write_b32 a9, v4
                                        ; implicit-def: $vgpr4
; %bb.1291:                             ;   in Loop: Header=BB379_555 Depth=1
	s_andn2_saveexec_b64 s[10:11], s[4:5]
; %bb.1292:                             ;   in Loop: Header=BB379_555 Depth=1
	v_or_b32_e32 v5, 0x10000, v4
	v_cmp_eq_u32_sdwa s[4:5], v4, v27 src0_sel:WORD_0 src1_sel:DWORD
	s_nop 1
	v_cndmask_b32_e64 v4, v5, v4, s[4:5]
	v_accvgpr_write_b32 a9, v4
; %bb.1293:                             ;   in Loop: Header=BB379_555 Depth=1
	s_or_b64 exec, exec, s[10:11]
	v_lshlrev_b32_e32 v4, 16, v9
	v_mul_f32_e32 v4, v39, v4
	v_and_b32_e32 v5, 0x7f800000, v4
	v_cmp_ne_u32_e64 s[4:5], s12, v5
                                        ; implicit-def: $agpr2
	s_and_saveexec_b64 s[10:11], s[4:5]
	s_xor_b64 s[4:5], exec, s[10:11]
; %bb.1294:                             ;   in Loop: Header=BB379_555 Depth=1
	v_bfe_u32 v5, v4, 16, 1
	v_add3_u32 v4, v4, v5, s15
	v_accvgpr_write_b32 a2, v4
                                        ; implicit-def: $vgpr4
; %bb.1295:                             ;   in Loop: Header=BB379_555 Depth=1
	s_andn2_saveexec_b64 s[10:11], s[4:5]
; %bb.1296:                             ;   in Loop: Header=BB379_555 Depth=1
	v_or_b32_e32 v5, 0x10000, v4
	v_cmp_eq_u32_sdwa s[4:5], v4, v27 src0_sel:WORD_0 src1_sel:DWORD
	s_nop 1
	v_cndmask_b32_e64 v4, v5, v4, s[4:5]
	v_accvgpr_write_b32 a2, v4
; %bb.1297:                             ;   in Loop: Header=BB379_555 Depth=1
	s_or_b64 exec, exec, s[10:11]
	v_lshlrev_b32_e32 v4, 16, v8
	v_mul_f32_e32 v4, v48, v4
	v_and_b32_e32 v5, 0x7f800000, v4
	v_cmp_ne_u32_e64 s[4:5], s12, v5
                                        ; implicit-def: $agpr5
	s_and_saveexec_b64 s[10:11], s[4:5]
	s_xor_b64 s[4:5], exec, s[10:11]
; %bb.1298:                             ;   in Loop: Header=BB379_555 Depth=1
	v_bfe_u32 v5, v4, 16, 1
	v_add3_u32 v4, v4, v5, s15
	v_accvgpr_write_b32 a5, v4
                                        ; implicit-def: $vgpr4
; %bb.1299:                             ;   in Loop: Header=BB379_555 Depth=1
	s_andn2_saveexec_b64 s[10:11], s[4:5]
; %bb.1300:                             ;   in Loop: Header=BB379_555 Depth=1
	v_or_b32_e32 v5, 0x10000, v4
	v_cmp_eq_u32_sdwa s[4:5], v4, v27 src0_sel:WORD_0 src1_sel:DWORD
	s_nop 1
	v_cndmask_b32_e64 v4, v5, v4, s[4:5]
	v_accvgpr_write_b32 a5, v4
; %bb.1301:                             ;   in Loop: Header=BB379_555 Depth=1
	s_or_b64 exec, exec, s[10:11]
	v_lshlrev_b32_e32 v4, 16, v6
	v_mul_f32_e32 v4, v49, v4
	v_and_b32_e32 v5, 0x7f800000, v4
	v_cmp_ne_u32_e64 s[4:5], s12, v5
                                        ; implicit-def: $agpr0
	s_and_saveexec_b64 s[10:11], s[4:5]
	s_xor_b64 s[4:5], exec, s[10:11]
; %bb.1302:                             ;   in Loop: Header=BB379_555 Depth=1
	v_bfe_u32 v5, v4, 16, 1
	v_add3_u32 v4, v4, v5, s15
	v_accvgpr_write_b32 a0, v4
                                        ; implicit-def: $vgpr4
; %bb.1303:                             ;   in Loop: Header=BB379_555 Depth=1
	s_andn2_saveexec_b64 s[10:11], s[4:5]
; %bb.1304:                             ;   in Loop: Header=BB379_555 Depth=1
	v_or_b32_e32 v5, 0x10000, v4
	v_cmp_eq_u32_sdwa s[4:5], v4, v27 src0_sel:WORD_0 src1_sel:DWORD
	s_nop 1
	v_cndmask_b32_e64 v4, v5, v4, s[4:5]
	v_accvgpr_write_b32 a0, v4
; %bb.1305:                             ;   in Loop: Header=BB379_555 Depth=1
	s_or_b64 exec, exec, s[10:11]
	v_lshlrev_b32_e32 v3, 16, v3
	v_mul_f32_e32 v3, v50, v3
	v_and_b32_e32 v4, 0x7f800000, v3
	v_cmp_ne_u32_e64 s[4:5], s12, v4
                                        ; implicit-def: $agpr1
	s_and_saveexec_b64 s[10:11], s[4:5]
	s_xor_b64 s[4:5], exec, s[10:11]
; %bb.1306:                             ;   in Loop: Header=BB379_555 Depth=1
	v_bfe_u32 v4, v3, 16, 1
	v_add3_u32 v3, v3, v4, s15
	v_accvgpr_write_b32 a1, v3
                                        ; implicit-def: $vgpr3
; %bb.1307:                             ;   in Loop: Header=BB379_555 Depth=1
	s_andn2_saveexec_b64 s[10:11], s[4:5]
; %bb.1308:                             ;   in Loop: Header=BB379_555 Depth=1
	v_or_b32_e32 v4, 0x10000, v3
	v_cmp_eq_u32_sdwa s[4:5], v3, v27 src0_sel:WORD_0 src1_sel:DWORD
	s_nop 1
	v_cndmask_b32_e64 v3, v4, v3, s[4:5]
	v_accvgpr_write_b32 a1, v3
; %bb.1309:                             ;   in Loop: Header=BB379_555 Depth=1
	s_or_b64 exec, exec, s[10:11]
	v_lshlrev_b32_e32 v2, 16, v2
	v_mul_f32_e32 v2, v51, v2
	v_and_b32_e32 v3, 0x7f800000, v2
	v_cmp_ne_u32_e64 s[4:5], s12, v3
                                        ; implicit-def: $agpr8
	s_and_saveexec_b64 s[10:11], s[4:5]
	s_xor_b64 s[4:5], exec, s[10:11]
; %bb.1310:                             ;   in Loop: Header=BB379_555 Depth=1
	v_bfe_u32 v3, v2, 16, 1
	v_add3_u32 v2, v2, v3, s15
	v_accvgpr_write_b32 a8, v2
                                        ; implicit-def: $vgpr2
; %bb.1311:                             ;   in Loop: Header=BB379_555 Depth=1
	s_andn2_saveexec_b64 s[10:11], s[4:5]
; %bb.1312:                             ;   in Loop: Header=BB379_555 Depth=1
	v_or_b32_e32 v3, 0x10000, v2
	v_cmp_eq_u32_sdwa s[4:5], v2, v27 src0_sel:WORD_0 src1_sel:DWORD
	s_nop 1
	v_cndmask_b32_e64 v2, v3, v2, s[4:5]
	v_accvgpr_write_b32 a8, v2
; %bb.1313:                             ;   in Loop: Header=BB379_555 Depth=1
	s_or_b64 exec, exec, s[10:11]
	scratch_load_dwordx2 v[2:3], off, s32 offset:416 ; 8-byte Folded Reload
	s_waitcnt vmcnt(0)
	v_lshl_add_u64 v[2:3], v[0:1], 0, v[2:3]
	flat_load_dwordx2 v[2:3], v[2:3]
	s_waitcnt vmcnt(0) lgkmcnt(0)
	v_and_b32_e32 v4, 0xff, v2
	v_cvt_f32_fp8_sdwa v4, v4 src0_sel:BYTE_0
	s_nop 0
	v_mul_f32_e32 v5, v23, v4
	v_and_b32_e32 v4, 0x7f800000, v5
	v_cmp_ne_u32_e64 s[4:5], s12, v4
                                        ; implicit-def: $vgpr4
	s_and_saveexec_b64 s[10:11], s[4:5]
	s_xor_b64 s[4:5], exec, s[10:11]
; %bb.1314:                             ;   in Loop: Header=BB379_555 Depth=1
	v_bfe_u32 v4, v5, 16, 1
	v_add3_u32 v4, v5, v4, s15
                                        ; implicit-def: $vgpr5
; %bb.1315:                             ;   in Loop: Header=BB379_555 Depth=1
	s_andn2_saveexec_b64 s[10:11], s[4:5]
; %bb.1316:                             ;   in Loop: Header=BB379_555 Depth=1
	v_or_b32_e32 v4, 0x10000, v5
	v_cmp_eq_u32_sdwa s[4:5], v5, v27 src0_sel:WORD_0 src1_sel:DWORD
	s_nop 1
	v_cndmask_b32_e64 v4, v4, v5, s[4:5]
; %bb.1317:                             ;   in Loop: Header=BB379_555 Depth=1
	s_or_b64 exec, exec, s[10:11]
	v_bfe_u32 v5, v2, 8, 8
	v_cvt_f32_fp8_sdwa v5, v5 src0_sel:BYTE_0
	s_nop 0
	v_mul_f32_e32 v6, v23, v5
	v_and_b32_e32 v5, 0x7f800000, v6
	v_cmp_ne_u32_e64 s[4:5], s12, v5
                                        ; implicit-def: $vgpr5
	s_and_saveexec_b64 s[10:11], s[4:5]
	s_xor_b64 s[4:5], exec, s[10:11]
; %bb.1318:                             ;   in Loop: Header=BB379_555 Depth=1
	v_bfe_u32 v5, v6, 16, 1
	v_add3_u32 v5, v6, v5, s15
                                        ; implicit-def: $vgpr6
; %bb.1319:                             ;   in Loop: Header=BB379_555 Depth=1
	s_andn2_saveexec_b64 s[10:11], s[4:5]
; %bb.1320:                             ;   in Loop: Header=BB379_555 Depth=1
	v_or_b32_e32 v5, 0x10000, v6
	v_cmp_eq_u32_sdwa s[4:5], v6, v27 src0_sel:WORD_0 src1_sel:DWORD
	s_nop 1
	v_cndmask_b32_e64 v5, v5, v6, s[4:5]
; %bb.1321:                             ;   in Loop: Header=BB379_555 Depth=1
	s_or_b64 exec, exec, s[10:11]
	v_bfe_u32 v6, v2, 16, 8
	v_cvt_f32_fp8_sdwa v6, v6 src0_sel:BYTE_0
	s_nop 0
	v_mul_f32_e32 v6, v23, v6
	v_and_b32_e32 v7, 0x7f800000, v6
	v_cmp_ne_u32_e64 s[4:5], s12, v7
                                        ; implicit-def: $vgpr7
	s_and_saveexec_b64 s[10:11], s[4:5]
	s_xor_b64 s[4:5], exec, s[10:11]
; %bb.1322:                             ;   in Loop: Header=BB379_555 Depth=1
	v_bfe_u32 v7, v6, 16, 1
	v_add3_u32 v7, v6, v7, s15
                                        ; implicit-def: $vgpr6
; %bb.1323:                             ;   in Loop: Header=BB379_555 Depth=1
	s_andn2_saveexec_b64 s[10:11], s[4:5]
; %bb.1324:                             ;   in Loop: Header=BB379_555 Depth=1
	v_or_b32_e32 v7, 0x10000, v6
	v_cmp_eq_u32_sdwa s[4:5], v6, v27 src0_sel:WORD_0 src1_sel:DWORD
	s_nop 1
	v_cndmask_b32_e64 v7, v7, v6, s[4:5]
; %bb.1325:                             ;   in Loop: Header=BB379_555 Depth=1
	s_or_b64 exec, exec, s[10:11]
	v_lshrrev_b32_e32 v2, 24, v2
	v_cvt_f32_fp8_sdwa v2, v2 src0_sel:BYTE_0
	s_nop 0
	v_mul_f32_e32 v6, v23, v2
	v_and_b32_e32 v2, 0x7f800000, v6
	v_cmp_ne_u32_e64 s[4:5], s12, v2
                                        ; implicit-def: $vgpr2
	s_and_saveexec_b64 s[10:11], s[4:5]
	s_xor_b64 s[4:5], exec, s[10:11]
; %bb.1326:                             ;   in Loop: Header=BB379_555 Depth=1
	v_bfe_u32 v2, v6, 16, 1
	v_add3_u32 v2, v6, v2, s15
                                        ; implicit-def: $vgpr6
; %bb.1327:                             ;   in Loop: Header=BB379_555 Depth=1
	s_andn2_saveexec_b64 s[10:11], s[4:5]
; %bb.1328:                             ;   in Loop: Header=BB379_555 Depth=1
	v_or_b32_e32 v2, 0x10000, v6
	v_cmp_eq_u32_sdwa s[4:5], v6, v27 src0_sel:WORD_0 src1_sel:DWORD
	s_nop 1
	v_cndmask_b32_e64 v2, v2, v6, s[4:5]
; %bb.1329:                             ;   in Loop: Header=BB379_555 Depth=1
	s_or_b64 exec, exec, s[10:11]
	v_and_b32_e32 v6, 0xff, v3
	v_cvt_f32_fp8_sdwa v6, v6 src0_sel:BYTE_0
	s_nop 0
	v_mul_f32_e32 v6, v23, v6
	v_and_b32_e32 v8, 0x7f800000, v6
	v_cmp_ne_u32_e64 s[4:5], s12, v8
                                        ; implicit-def: $vgpr8
	s_and_saveexec_b64 s[10:11], s[4:5]
	s_xor_b64 s[4:5], exec, s[10:11]
; %bb.1330:                             ;   in Loop: Header=BB379_555 Depth=1
	v_bfe_u32 v8, v6, 16, 1
	v_add3_u32 v8, v6, v8, s15
                                        ; implicit-def: $vgpr6
; %bb.1331:                             ;   in Loop: Header=BB379_555 Depth=1
	s_andn2_saveexec_b64 s[10:11], s[4:5]
; %bb.1332:                             ;   in Loop: Header=BB379_555 Depth=1
	v_or_b32_e32 v8, 0x10000, v6
	v_cmp_eq_u32_sdwa s[4:5], v6, v27 src0_sel:WORD_0 src1_sel:DWORD
	s_nop 1
	v_cndmask_b32_e64 v8, v8, v6, s[4:5]
; %bb.1333:                             ;   in Loop: Header=BB379_555 Depth=1
	s_or_b64 exec, exec, s[10:11]
	v_bfe_u32 v6, v3, 8, 8
	v_cvt_f32_fp8_sdwa v6, v6 src0_sel:BYTE_0
	s_nop 0
	v_mul_f32_e32 v9, v23, v6
	v_and_b32_e32 v6, 0x7f800000, v9
	v_cmp_ne_u32_e64 s[4:5], s12, v6
                                        ; implicit-def: $vgpr6
	s_and_saveexec_b64 s[10:11], s[4:5]
	s_xor_b64 s[4:5], exec, s[10:11]
; %bb.1334:                             ;   in Loop: Header=BB379_555 Depth=1
	v_bfe_u32 v6, v9, 16, 1
	v_add3_u32 v6, v9, v6, s15
                                        ; implicit-def: $vgpr9
; %bb.1335:                             ;   in Loop: Header=BB379_555 Depth=1
	s_andn2_saveexec_b64 s[10:11], s[4:5]
; %bb.1336:                             ;   in Loop: Header=BB379_555 Depth=1
	v_or_b32_e32 v6, 0x10000, v9
	v_cmp_eq_u32_sdwa s[4:5], v9, v27 src0_sel:WORD_0 src1_sel:DWORD
	s_nop 1
	v_cndmask_b32_e64 v6, v6, v9, s[4:5]
; %bb.1337:                             ;   in Loop: Header=BB379_555 Depth=1
	s_or_b64 exec, exec, s[10:11]
	v_bfe_u32 v9, v3, 16, 8
	v_cvt_f32_fp8_sdwa v9, v9 src0_sel:BYTE_0
	s_nop 0
	v_mul_f32_e32 v9, v23, v9
	v_and_b32_e32 v10, 0x7f800000, v9
	v_cmp_ne_u32_e64 s[4:5], s12, v10
                                        ; implicit-def: $vgpr10
	s_and_saveexec_b64 s[10:11], s[4:5]
	s_xor_b64 s[4:5], exec, s[10:11]
; %bb.1338:                             ;   in Loop: Header=BB379_555 Depth=1
	v_bfe_u32 v10, v9, 16, 1
	v_add3_u32 v10, v9, v10, s15
                                        ; implicit-def: $vgpr9
; %bb.1339:                             ;   in Loop: Header=BB379_555 Depth=1
	s_andn2_saveexec_b64 s[10:11], s[4:5]
; %bb.1340:                             ;   in Loop: Header=BB379_555 Depth=1
	v_or_b32_e32 v10, 0x10000, v9
	v_cmp_eq_u32_sdwa s[4:5], v9, v27 src0_sel:WORD_0 src1_sel:DWORD
	s_nop 1
	v_cndmask_b32_e64 v10, v10, v9, s[4:5]
; %bb.1341:                             ;   in Loop: Header=BB379_555 Depth=1
	s_or_b64 exec, exec, s[10:11]
	v_lshrrev_b32_e32 v3, 24, v3
	v_cvt_f32_fp8_sdwa v3, v3 src0_sel:BYTE_0
                                        ; implicit-def: $vgpr11
	s_nop 0
	v_mul_f32_e32 v3, v23, v3
	v_and_b32_e32 v9, 0x7f800000, v3
	v_cmp_ne_u32_e64 s[4:5], s12, v9
	s_and_saveexec_b64 s[10:11], s[4:5]
	s_xor_b64 s[4:5], exec, s[10:11]
; %bb.1342:                             ;   in Loop: Header=BB379_555 Depth=1
	v_bfe_u32 v9, v3, 16, 1
	v_add3_u32 v11, v3, v9, s15
                                        ; implicit-def: $vgpr3
; %bb.1343:                             ;   in Loop: Header=BB379_555 Depth=1
	s_andn2_saveexec_b64 s[10:11], s[4:5]
; %bb.1344:                             ;   in Loop: Header=BB379_555 Depth=1
	v_or_b32_e32 v9, 0x10000, v3
	v_cmp_eq_u32_sdwa s[4:5], v3, v27 src0_sel:WORD_0 src1_sel:DWORD
	s_nop 1
	v_cndmask_b32_e64 v11, v9, v3, s[4:5]
; %bb.1345:                             ;   in Loop: Header=BB379_555 Depth=1
	s_or_b64 exec, exec, s[10:11]
	v_lshrrev_b32_e32 v6, 16, v6
	v_lshrrev_b32_e32 v8, 16, v8
	v_lshrrev_b32_e32 v9, 16, v2
	v_lshrrev_b32_e32 v7, 16, v7
	v_lshrrev_b32_e32 v5, 16, v5
	v_lshrrev_b32_e32 v4, 16, v4
	v_lshrrev_b32_e32 v3, 16, v10
	v_lshrrev_b32_e32 v2, 16, v11
	s_and_saveexec_b64 s[10:11], vcc
	s_cbranch_execz .LBB379_1347
; %bb.1346:                             ;   in Loop: Header=BB379_555 Depth=1
	v_accvgpr_read_b32 v10, a40
	v_cmp_lt_i32_e64 s[4:5], v10, v45
	v_accvgpr_read_b32 v10, a46
	s_nop 0
	v_cndmask_b32_e64 v4, 0, v4, s[4:5]
	v_cmp_lt_i32_e64 s[4:5], v10, v45
	v_accvgpr_read_b32 v10, a45
	s_nop 0
	v_cndmask_b32_e64 v5, 0, v5, s[4:5]
	;; [unrolled: 4-line block ×6, first 2 shown]
	v_cmp_lt_i32_e64 s[4:5], v10, v45
	s_nop 1
	v_cndmask_b32_e64 v3, 0, v3, s[4:5]
	v_cmp_lt_i32_e64 s[4:5], v17, v45
	s_nop 1
	v_cndmask_b32_e64 v2, 0, v2, s[4:5]
.LBB379_1347:                           ;   in Loop: Header=BB379_555 Depth=1
	s_or_b64 exec, exec, s[10:11]
	v_lshlrev_b32_e32 v4, 16, v4
	v_mul_f32_e32 v4, v36, v4
	v_and_b32_e32 v10, 0x7f800000, v4
	v_cmp_ne_u32_e64 s[4:5], s12, v10
                                        ; implicit-def: $agpr11
	s_and_saveexec_b64 s[10:11], s[4:5]
	s_xor_b64 s[4:5], exec, s[10:11]
; %bb.1348:                             ;   in Loop: Header=BB379_555 Depth=1
	v_bfe_u32 v10, v4, 16, 1
	v_add3_u32 v4, v4, v10, s15
	v_accvgpr_write_b32 a11, v4
                                        ; implicit-def: $vgpr4
; %bb.1349:                             ;   in Loop: Header=BB379_555 Depth=1
	s_andn2_saveexec_b64 s[10:11], s[4:5]
; %bb.1350:                             ;   in Loop: Header=BB379_555 Depth=1
	v_or_b32_e32 v10, 0x10000, v4
	v_cmp_eq_u32_sdwa s[4:5], v4, v27 src0_sel:WORD_0 src1_sel:DWORD
	s_nop 1
	v_cndmask_b32_e64 v4, v10, v4, s[4:5]
	v_accvgpr_write_b32 a11, v4
; %bb.1351:                             ;   in Loop: Header=BB379_555 Depth=1
	s_or_b64 exec, exec, s[10:11]
	v_lshlrev_b32_e32 v4, 16, v5
	v_mul_f32_e32 v4, v37, v4
	v_and_b32_e32 v5, 0x7f800000, v4
	v_cmp_ne_u32_e64 s[4:5], s12, v5
                                        ; implicit-def: $agpr3
	s_and_saveexec_b64 s[10:11], s[4:5]
	s_xor_b64 s[4:5], exec, s[10:11]
; %bb.1352:                             ;   in Loop: Header=BB379_555 Depth=1
	v_bfe_u32 v5, v4, 16, 1
	v_add3_u32 v4, v4, v5, s15
	v_accvgpr_write_b32 a3, v4
                                        ; implicit-def: $vgpr4
; %bb.1353:                             ;   in Loop: Header=BB379_555 Depth=1
	s_andn2_saveexec_b64 s[10:11], s[4:5]
; %bb.1354:                             ;   in Loop: Header=BB379_555 Depth=1
	v_or_b32_e32 v5, 0x10000, v4
	v_cmp_eq_u32_sdwa s[4:5], v4, v27 src0_sel:WORD_0 src1_sel:DWORD
	s_nop 1
	v_cndmask_b32_e64 v4, v5, v4, s[4:5]
	v_accvgpr_write_b32 a3, v4
; %bb.1355:                             ;   in Loop: Header=BB379_555 Depth=1
	s_or_b64 exec, exec, s[10:11]
	v_lshlrev_b32_e32 v4, 16, v7
	v_mul_f32_e32 v4, v38, v4
	v_and_b32_e32 v5, 0x7f800000, v4
	v_cmp_ne_u32_e64 s[4:5], s12, v5
                                        ; implicit-def: $agpr12
	s_and_saveexec_b64 s[10:11], s[4:5]
	s_xor_b64 s[4:5], exec, s[10:11]
; %bb.1356:                             ;   in Loop: Header=BB379_555 Depth=1
	v_bfe_u32 v5, v4, 16, 1
	v_add3_u32 v4, v4, v5, s15
	v_accvgpr_write_b32 a12, v4
                                        ; implicit-def: $vgpr4
; %bb.1357:                             ;   in Loop: Header=BB379_555 Depth=1
	s_andn2_saveexec_b64 s[10:11], s[4:5]
; %bb.1358:                             ;   in Loop: Header=BB379_555 Depth=1
	v_or_b32_e32 v5, 0x10000, v4
	v_cmp_eq_u32_sdwa s[4:5], v4, v27 src0_sel:WORD_0 src1_sel:DWORD
	s_nop 1
	v_cndmask_b32_e64 v4, v5, v4, s[4:5]
	v_accvgpr_write_b32 a12, v4
; %bb.1359:                             ;   in Loop: Header=BB379_555 Depth=1
	s_or_b64 exec, exec, s[10:11]
	v_lshlrev_b32_e32 v4, 16, v9
	v_mul_f32_e32 v4, v39, v4
	v_and_b32_e32 v5, 0x7f800000, v4
	v_cmp_ne_u32_e64 s[4:5], s12, v5
                                        ; implicit-def: $agpr13
	s_and_saveexec_b64 s[10:11], s[4:5]
	s_xor_b64 s[4:5], exec, s[10:11]
; %bb.1360:                             ;   in Loop: Header=BB379_555 Depth=1
	v_bfe_u32 v5, v4, 16, 1
	v_add3_u32 v4, v4, v5, s15
	v_accvgpr_write_b32 a13, v4
                                        ; implicit-def: $vgpr4
; %bb.1361:                             ;   in Loop: Header=BB379_555 Depth=1
	s_andn2_saveexec_b64 s[10:11], s[4:5]
; %bb.1362:                             ;   in Loop: Header=BB379_555 Depth=1
	v_or_b32_e32 v5, 0x10000, v4
	v_cmp_eq_u32_sdwa s[4:5], v4, v27 src0_sel:WORD_0 src1_sel:DWORD
	s_nop 1
	v_cndmask_b32_e64 v4, v5, v4, s[4:5]
	v_accvgpr_write_b32 a13, v4
; %bb.1363:                             ;   in Loop: Header=BB379_555 Depth=1
	s_or_b64 exec, exec, s[10:11]
	v_lshlrev_b32_e32 v4, 16, v8
	v_mul_f32_e32 v4, v48, v4
	v_and_b32_e32 v5, 0x7f800000, v4
	v_cmp_ne_u32_e64 s[4:5], s12, v5
                                        ; implicit-def: $agpr14
	s_and_saveexec_b64 s[10:11], s[4:5]
	s_xor_b64 s[4:5], exec, s[10:11]
; %bb.1364:                             ;   in Loop: Header=BB379_555 Depth=1
	v_bfe_u32 v5, v4, 16, 1
	v_add3_u32 v4, v4, v5, s15
	v_accvgpr_write_b32 a14, v4
                                        ; implicit-def: $vgpr4
; %bb.1365:                             ;   in Loop: Header=BB379_555 Depth=1
	s_andn2_saveexec_b64 s[10:11], s[4:5]
; %bb.1366:                             ;   in Loop: Header=BB379_555 Depth=1
	v_or_b32_e32 v5, 0x10000, v4
	v_cmp_eq_u32_sdwa s[4:5], v4, v27 src0_sel:WORD_0 src1_sel:DWORD
	s_nop 1
	v_cndmask_b32_e64 v4, v5, v4, s[4:5]
	v_accvgpr_write_b32 a14, v4
; %bb.1367:                             ;   in Loop: Header=BB379_555 Depth=1
	s_or_b64 exec, exec, s[10:11]
	v_lshlrev_b32_e32 v4, 16, v6
	v_mul_f32_e32 v4, v49, v4
	v_and_b32_e32 v5, 0x7f800000, v4
	v_cmp_ne_u32_e64 s[4:5], s12, v5
                                        ; implicit-def: $agpr15
	s_and_saveexec_b64 s[10:11], s[4:5]
	s_xor_b64 s[4:5], exec, s[10:11]
; %bb.1368:                             ;   in Loop: Header=BB379_555 Depth=1
	v_bfe_u32 v5, v4, 16, 1
	v_add3_u32 v4, v4, v5, s15
	v_accvgpr_write_b32 a15, v4
                                        ; implicit-def: $vgpr4
; %bb.1369:                             ;   in Loop: Header=BB379_555 Depth=1
	s_andn2_saveexec_b64 s[10:11], s[4:5]
; %bb.1370:                             ;   in Loop: Header=BB379_555 Depth=1
	v_or_b32_e32 v5, 0x10000, v4
	v_cmp_eq_u32_sdwa s[4:5], v4, v27 src0_sel:WORD_0 src1_sel:DWORD
	s_nop 1
	v_cndmask_b32_e64 v4, v5, v4, s[4:5]
	v_accvgpr_write_b32 a15, v4
; %bb.1371:                             ;   in Loop: Header=BB379_555 Depth=1
	s_or_b64 exec, exec, s[10:11]
	v_lshlrev_b32_e32 v3, 16, v3
	v_mul_f32_e32 v3, v50, v3
	v_and_b32_e32 v4, 0x7f800000, v3
	v_cmp_ne_u32_e64 s[4:5], s12, v4
                                        ; implicit-def: $agpr16
	s_and_saveexec_b64 s[10:11], s[4:5]
	s_xor_b64 s[4:5], exec, s[10:11]
; %bb.1372:                             ;   in Loop: Header=BB379_555 Depth=1
	v_bfe_u32 v4, v3, 16, 1
	v_add3_u32 v3, v3, v4, s15
	v_accvgpr_write_b32 a16, v3
                                        ; implicit-def: $vgpr3
; %bb.1373:                             ;   in Loop: Header=BB379_555 Depth=1
	s_andn2_saveexec_b64 s[10:11], s[4:5]
; %bb.1374:                             ;   in Loop: Header=BB379_555 Depth=1
	v_or_b32_e32 v4, 0x10000, v3
	v_cmp_eq_u32_sdwa s[4:5], v3, v27 src0_sel:WORD_0 src1_sel:DWORD
	s_nop 1
	v_cndmask_b32_e64 v3, v4, v3, s[4:5]
	v_accvgpr_write_b32 a16, v3
; %bb.1375:                             ;   in Loop: Header=BB379_555 Depth=1
	s_or_b64 exec, exec, s[10:11]
	v_lshlrev_b32_e32 v2, 16, v2
	v_mul_f32_e32 v2, v51, v2
	v_and_b32_e32 v3, 0x7f800000, v2
	v_cmp_ne_u32_e64 s[4:5], s12, v3
                                        ; implicit-def: $agpr6
	s_and_saveexec_b64 s[10:11], s[4:5]
	s_xor_b64 s[4:5], exec, s[10:11]
; %bb.1376:                             ;   in Loop: Header=BB379_555 Depth=1
	v_bfe_u32 v3, v2, 16, 1
	v_add3_u32 v2, v2, v3, s15
	v_accvgpr_write_b32 a6, v2
                                        ; implicit-def: $vgpr2
; %bb.1377:                             ;   in Loop: Header=BB379_555 Depth=1
	s_andn2_saveexec_b64 s[10:11], s[4:5]
; %bb.1378:                             ;   in Loop: Header=BB379_555 Depth=1
	v_or_b32_e32 v3, 0x10000, v2
	v_cmp_eq_u32_sdwa s[4:5], v2, v27 src0_sel:WORD_0 src1_sel:DWORD
	s_nop 1
	v_cndmask_b32_e64 v2, v3, v2, s[4:5]
	v_accvgpr_write_b32 a6, v2
; %bb.1379:                             ;   in Loop: Header=BB379_555 Depth=1
	s_or_b64 exec, exec, s[10:11]
	scratch_load_dwordx2 v[2:3], off, s32 offset:424 ; 8-byte Folded Reload
	s_waitcnt vmcnt(0)
	v_lshl_add_u64 v[2:3], v[0:1], 0, v[2:3]
	flat_load_dwordx2 v[2:3], v[2:3]
	s_waitcnt vmcnt(0) lgkmcnt(0)
	v_and_b32_e32 v4, 0xff, v2
	v_cvt_f32_fp8_sdwa v4, v4 src0_sel:BYTE_0
	s_nop 0
	v_mul_f32_e32 v5, v23, v4
	v_and_b32_e32 v4, 0x7f800000, v5
	v_cmp_ne_u32_e64 s[4:5], s12, v4
                                        ; implicit-def: $vgpr4
	s_and_saveexec_b64 s[10:11], s[4:5]
	s_xor_b64 s[4:5], exec, s[10:11]
; %bb.1380:                             ;   in Loop: Header=BB379_555 Depth=1
	v_bfe_u32 v4, v5, 16, 1
	v_add3_u32 v4, v5, v4, s15
                                        ; implicit-def: $vgpr5
; %bb.1381:                             ;   in Loop: Header=BB379_555 Depth=1
	s_andn2_saveexec_b64 s[10:11], s[4:5]
; %bb.1382:                             ;   in Loop: Header=BB379_555 Depth=1
	v_or_b32_e32 v4, 0x10000, v5
	v_cmp_eq_u32_sdwa s[4:5], v5, v27 src0_sel:WORD_0 src1_sel:DWORD
	s_nop 1
	v_cndmask_b32_e64 v4, v4, v5, s[4:5]
; %bb.1383:                             ;   in Loop: Header=BB379_555 Depth=1
	s_or_b64 exec, exec, s[10:11]
	v_bfe_u32 v5, v2, 8, 8
	v_cvt_f32_fp8_sdwa v5, v5 src0_sel:BYTE_0
	s_nop 0
	v_mul_f32_e32 v6, v23, v5
	v_and_b32_e32 v5, 0x7f800000, v6
	v_cmp_ne_u32_e64 s[4:5], s12, v5
                                        ; implicit-def: $vgpr5
	s_and_saveexec_b64 s[10:11], s[4:5]
	s_xor_b64 s[4:5], exec, s[10:11]
; %bb.1384:                             ;   in Loop: Header=BB379_555 Depth=1
	v_bfe_u32 v5, v6, 16, 1
	v_add3_u32 v5, v6, v5, s15
                                        ; implicit-def: $vgpr6
; %bb.1385:                             ;   in Loop: Header=BB379_555 Depth=1
	s_andn2_saveexec_b64 s[10:11], s[4:5]
; %bb.1386:                             ;   in Loop: Header=BB379_555 Depth=1
	v_or_b32_e32 v5, 0x10000, v6
	v_cmp_eq_u32_sdwa s[4:5], v6, v27 src0_sel:WORD_0 src1_sel:DWORD
	s_nop 1
	v_cndmask_b32_e64 v5, v5, v6, s[4:5]
; %bb.1387:                             ;   in Loop: Header=BB379_555 Depth=1
	s_or_b64 exec, exec, s[10:11]
	v_bfe_u32 v6, v2, 16, 8
	v_cvt_f32_fp8_sdwa v6, v6 src0_sel:BYTE_0
	s_nop 0
	v_mul_f32_e32 v6, v23, v6
	v_and_b32_e32 v7, 0x7f800000, v6
	v_cmp_ne_u32_e64 s[4:5], s12, v7
                                        ; implicit-def: $vgpr7
	s_and_saveexec_b64 s[10:11], s[4:5]
	s_xor_b64 s[4:5], exec, s[10:11]
; %bb.1388:                             ;   in Loop: Header=BB379_555 Depth=1
	v_bfe_u32 v7, v6, 16, 1
	v_add3_u32 v7, v6, v7, s15
                                        ; implicit-def: $vgpr6
; %bb.1389:                             ;   in Loop: Header=BB379_555 Depth=1
	s_andn2_saveexec_b64 s[10:11], s[4:5]
; %bb.1390:                             ;   in Loop: Header=BB379_555 Depth=1
	v_or_b32_e32 v7, 0x10000, v6
	v_cmp_eq_u32_sdwa s[4:5], v6, v27 src0_sel:WORD_0 src1_sel:DWORD
	s_nop 1
	v_cndmask_b32_e64 v7, v7, v6, s[4:5]
; %bb.1391:                             ;   in Loop: Header=BB379_555 Depth=1
	s_or_b64 exec, exec, s[10:11]
	v_lshrrev_b32_e32 v2, 24, v2
	v_cvt_f32_fp8_sdwa v2, v2 src0_sel:BYTE_0
	s_nop 0
	v_mul_f32_e32 v6, v23, v2
	v_and_b32_e32 v2, 0x7f800000, v6
	v_cmp_ne_u32_e64 s[4:5], s12, v2
                                        ; implicit-def: $vgpr2
	s_and_saveexec_b64 s[10:11], s[4:5]
	s_xor_b64 s[4:5], exec, s[10:11]
; %bb.1392:                             ;   in Loop: Header=BB379_555 Depth=1
	v_bfe_u32 v2, v6, 16, 1
	v_add3_u32 v2, v6, v2, s15
                                        ; implicit-def: $vgpr6
; %bb.1393:                             ;   in Loop: Header=BB379_555 Depth=1
	s_andn2_saveexec_b64 s[10:11], s[4:5]
; %bb.1394:                             ;   in Loop: Header=BB379_555 Depth=1
	v_or_b32_e32 v2, 0x10000, v6
	v_cmp_eq_u32_sdwa s[4:5], v6, v27 src0_sel:WORD_0 src1_sel:DWORD
	s_nop 1
	v_cndmask_b32_e64 v2, v2, v6, s[4:5]
; %bb.1395:                             ;   in Loop: Header=BB379_555 Depth=1
	s_or_b64 exec, exec, s[10:11]
	v_and_b32_e32 v6, 0xff, v3
	v_cvt_f32_fp8_sdwa v6, v6 src0_sel:BYTE_0
	s_nop 0
	v_mul_f32_e32 v6, v23, v6
	v_and_b32_e32 v8, 0x7f800000, v6
	v_cmp_ne_u32_e64 s[4:5], s12, v8
                                        ; implicit-def: $vgpr8
	s_and_saveexec_b64 s[10:11], s[4:5]
	s_xor_b64 s[4:5], exec, s[10:11]
; %bb.1396:                             ;   in Loop: Header=BB379_555 Depth=1
	v_bfe_u32 v8, v6, 16, 1
	v_add3_u32 v8, v6, v8, s15
                                        ; implicit-def: $vgpr6
; %bb.1397:                             ;   in Loop: Header=BB379_555 Depth=1
	s_andn2_saveexec_b64 s[10:11], s[4:5]
; %bb.1398:                             ;   in Loop: Header=BB379_555 Depth=1
	v_or_b32_e32 v8, 0x10000, v6
	v_cmp_eq_u32_sdwa s[4:5], v6, v27 src0_sel:WORD_0 src1_sel:DWORD
	s_nop 1
	v_cndmask_b32_e64 v8, v8, v6, s[4:5]
; %bb.1399:                             ;   in Loop: Header=BB379_555 Depth=1
	s_or_b64 exec, exec, s[10:11]
	v_bfe_u32 v6, v3, 8, 8
	v_cvt_f32_fp8_sdwa v6, v6 src0_sel:BYTE_0
	s_nop 0
	v_mul_f32_e32 v9, v23, v6
	v_and_b32_e32 v6, 0x7f800000, v9
	v_cmp_ne_u32_e64 s[4:5], s12, v6
                                        ; implicit-def: $vgpr6
	s_and_saveexec_b64 s[10:11], s[4:5]
	s_xor_b64 s[4:5], exec, s[10:11]
; %bb.1400:                             ;   in Loop: Header=BB379_555 Depth=1
	v_bfe_u32 v6, v9, 16, 1
	v_add3_u32 v6, v9, v6, s15
                                        ; implicit-def: $vgpr9
; %bb.1401:                             ;   in Loop: Header=BB379_555 Depth=1
	s_andn2_saveexec_b64 s[10:11], s[4:5]
; %bb.1402:                             ;   in Loop: Header=BB379_555 Depth=1
	v_or_b32_e32 v6, 0x10000, v9
	v_cmp_eq_u32_sdwa s[4:5], v9, v27 src0_sel:WORD_0 src1_sel:DWORD
	s_nop 1
	v_cndmask_b32_e64 v6, v6, v9, s[4:5]
; %bb.1403:                             ;   in Loop: Header=BB379_555 Depth=1
	s_or_b64 exec, exec, s[10:11]
	v_bfe_u32 v9, v3, 16, 8
	v_cvt_f32_fp8_sdwa v9, v9 src0_sel:BYTE_0
	s_nop 0
	v_mul_f32_e32 v9, v23, v9
	v_and_b32_e32 v10, 0x7f800000, v9
	v_cmp_ne_u32_e64 s[4:5], s12, v10
                                        ; implicit-def: $vgpr10
	s_and_saveexec_b64 s[10:11], s[4:5]
	s_xor_b64 s[4:5], exec, s[10:11]
; %bb.1404:                             ;   in Loop: Header=BB379_555 Depth=1
	v_bfe_u32 v10, v9, 16, 1
	v_add3_u32 v10, v9, v10, s15
                                        ; implicit-def: $vgpr9
; %bb.1405:                             ;   in Loop: Header=BB379_555 Depth=1
	s_andn2_saveexec_b64 s[10:11], s[4:5]
; %bb.1406:                             ;   in Loop: Header=BB379_555 Depth=1
	v_or_b32_e32 v10, 0x10000, v9
	v_cmp_eq_u32_sdwa s[4:5], v9, v27 src0_sel:WORD_0 src1_sel:DWORD
	s_nop 1
	v_cndmask_b32_e64 v10, v10, v9, s[4:5]
; %bb.1407:                             ;   in Loop: Header=BB379_555 Depth=1
	s_or_b64 exec, exec, s[10:11]
	v_lshrrev_b32_e32 v3, 24, v3
	v_cvt_f32_fp8_sdwa v3, v3 src0_sel:BYTE_0
                                        ; implicit-def: $vgpr11
	s_nop 0
	v_mul_f32_e32 v3, v23, v3
	v_and_b32_e32 v9, 0x7f800000, v3
	v_cmp_ne_u32_e64 s[4:5], s12, v9
	s_and_saveexec_b64 s[10:11], s[4:5]
	s_xor_b64 s[4:5], exec, s[10:11]
; %bb.1408:                             ;   in Loop: Header=BB379_555 Depth=1
	v_bfe_u32 v9, v3, 16, 1
	v_add3_u32 v11, v3, v9, s15
                                        ; implicit-def: $vgpr3
; %bb.1409:                             ;   in Loop: Header=BB379_555 Depth=1
	s_andn2_saveexec_b64 s[10:11], s[4:5]
; %bb.1410:                             ;   in Loop: Header=BB379_555 Depth=1
	v_or_b32_e32 v9, 0x10000, v3
	v_cmp_eq_u32_sdwa s[4:5], v3, v27 src0_sel:WORD_0 src1_sel:DWORD
	s_nop 1
	v_cndmask_b32_e64 v11, v9, v3, s[4:5]
; %bb.1411:                             ;   in Loop: Header=BB379_555 Depth=1
	s_or_b64 exec, exec, s[10:11]
	v_lshrrev_b32_e32 v6, 16, v6
	v_lshrrev_b32_e32 v8, 16, v8
	;; [unrolled: 1-line block ×8, first 2 shown]
	s_and_saveexec_b64 s[10:11], vcc
	s_cbranch_execz .LBB379_1413
; %bb.1412:                             ;   in Loop: Header=BB379_555 Depth=1
	v_accvgpr_read_b32 v10, a40
	v_cmp_lt_i32_e64 s[4:5], v10, v45
	v_accvgpr_read_b32 v10, a46
	s_nop 0
	v_cndmask_b32_e64 v4, 0, v4, s[4:5]
	v_cmp_lt_i32_e64 s[4:5], v10, v45
	v_accvgpr_read_b32 v10, a45
	s_nop 0
	v_cndmask_b32_e64 v5, 0, v5, s[4:5]
	;; [unrolled: 4-line block ×6, first 2 shown]
	v_cmp_lt_i32_e64 s[4:5], v10, v45
	s_nop 1
	v_cndmask_b32_e64 v3, 0, v3, s[4:5]
	v_cmp_lt_i32_e64 s[4:5], v17, v45
	s_nop 1
	v_cndmask_b32_e64 v2, 0, v2, s[4:5]
.LBB379_1413:                           ;   in Loop: Header=BB379_555 Depth=1
	s_or_b64 exec, exec, s[10:11]
	v_lshlrev_b32_e32 v4, 16, v4
	v_mul_f32_e32 v4, v36, v4
	v_and_b32_e32 v10, 0x7f800000, v4
	v_cmp_ne_u32_e64 s[4:5], s12, v10
                                        ; implicit-def: $vgpr16
	s_and_saveexec_b64 s[10:11], s[4:5]
	s_xor_b64 s[4:5], exec, s[10:11]
; %bb.1414:                             ;   in Loop: Header=BB379_555 Depth=1
	v_bfe_u32 v10, v4, 16, 1
	v_add3_u32 v16, v4, v10, s15
                                        ; implicit-def: $vgpr4
; %bb.1415:                             ;   in Loop: Header=BB379_555 Depth=1
	s_andn2_saveexec_b64 s[10:11], s[4:5]
; %bb.1416:                             ;   in Loop: Header=BB379_555 Depth=1
	v_or_b32_e32 v10, 0x10000, v4
	v_cmp_eq_u32_sdwa s[4:5], v4, v27 src0_sel:WORD_0 src1_sel:DWORD
	s_nop 1
	v_cndmask_b32_e64 v16, v10, v4, s[4:5]
; %bb.1417:                             ;   in Loop: Header=BB379_555 Depth=1
	s_or_b64 exec, exec, s[10:11]
	v_lshlrev_b32_e32 v4, 16, v5
	v_mul_f32_e32 v4, v37, v4
	v_and_b32_e32 v5, 0x7f800000, v4
	v_cmp_ne_u32_e64 s[4:5], s12, v5
                                        ; implicit-def: $vgpr10
	s_and_saveexec_b64 s[10:11], s[4:5]
	s_xor_b64 s[4:5], exec, s[10:11]
; %bb.1418:                             ;   in Loop: Header=BB379_555 Depth=1
	v_bfe_u32 v5, v4, 16, 1
	v_add3_u32 v10, v4, v5, s15
                                        ; implicit-def: $vgpr4
; %bb.1419:                             ;   in Loop: Header=BB379_555 Depth=1
	s_andn2_saveexec_b64 s[10:11], s[4:5]
; %bb.1420:                             ;   in Loop: Header=BB379_555 Depth=1
	v_or_b32_e32 v5, 0x10000, v4
	v_cmp_eq_u32_sdwa s[4:5], v4, v27 src0_sel:WORD_0 src1_sel:DWORD
	s_nop 1
	v_cndmask_b32_e64 v10, v5, v4, s[4:5]
; %bb.1421:                             ;   in Loop: Header=BB379_555 Depth=1
	s_or_b64 exec, exec, s[10:11]
	v_lshlrev_b32_e32 v4, 16, v7
	v_mul_f32_e32 v4, v38, v4
	v_and_b32_e32 v5, 0x7f800000, v4
	v_cmp_ne_u32_e64 s[4:5], s12, v5
                                        ; implicit-def: $vgpr11
	s_and_saveexec_b64 s[10:11], s[4:5]
	s_xor_b64 s[4:5], exec, s[10:11]
; %bb.1422:                             ;   in Loop: Header=BB379_555 Depth=1
	v_bfe_u32 v5, v4, 16, 1
	v_add3_u32 v11, v4, v5, s15
                                        ; implicit-def: $vgpr4
; %bb.1423:                             ;   in Loop: Header=BB379_555 Depth=1
	s_andn2_saveexec_b64 s[10:11], s[4:5]
; %bb.1424:                             ;   in Loop: Header=BB379_555 Depth=1
	v_or_b32_e32 v5, 0x10000, v4
	v_cmp_eq_u32_sdwa s[4:5], v4, v27 src0_sel:WORD_0 src1_sel:DWORD
	s_nop 1
	v_cndmask_b32_e64 v11, v5, v4, s[4:5]
; %bb.1425:                             ;   in Loop: Header=BB379_555 Depth=1
	s_or_b64 exec, exec, s[10:11]
	v_lshlrev_b32_e32 v4, 16, v9
	v_mul_f32_e32 v4, v39, v4
	v_and_b32_e32 v5, 0x7f800000, v4
	v_cmp_ne_u32_e64 s[4:5], s12, v5
                                        ; implicit-def: $vgpr22
	s_and_saveexec_b64 s[10:11], s[4:5]
	s_xor_b64 s[4:5], exec, s[10:11]
; %bb.1426:                             ;   in Loop: Header=BB379_555 Depth=1
	v_bfe_u32 v5, v4, 16, 1
	v_add3_u32 v22, v4, v5, s15
                                        ; implicit-def: $vgpr4
; %bb.1427:                             ;   in Loop: Header=BB379_555 Depth=1
	s_andn2_saveexec_b64 s[10:11], s[4:5]
; %bb.1428:                             ;   in Loop: Header=BB379_555 Depth=1
	v_or_b32_e32 v5, 0x10000, v4
	v_cmp_eq_u32_sdwa s[4:5], v4, v27 src0_sel:WORD_0 src1_sel:DWORD
	s_nop 1
	v_cndmask_b32_e64 v22, v5, v4, s[4:5]
; %bb.1429:                             ;   in Loop: Header=BB379_555 Depth=1
	s_or_b64 exec, exec, s[10:11]
	v_lshlrev_b32_e32 v4, 16, v8
	v_mul_f32_e32 v4, v48, v4
	v_and_b32_e32 v5, 0x7f800000, v4
	v_cmp_ne_u32_e64 s[4:5], s12, v5
                                        ; implicit-def: $vgpr9
	s_and_saveexec_b64 s[10:11], s[4:5]
	s_xor_b64 s[4:5], exec, s[10:11]
; %bb.1430:                             ;   in Loop: Header=BB379_555 Depth=1
	v_bfe_u32 v5, v4, 16, 1
	v_add3_u32 v9, v4, v5, s15
                                        ; implicit-def: $vgpr4
; %bb.1431:                             ;   in Loop: Header=BB379_555 Depth=1
	s_andn2_saveexec_b64 s[10:11], s[4:5]
; %bb.1432:                             ;   in Loop: Header=BB379_555 Depth=1
	v_or_b32_e32 v5, 0x10000, v4
	v_cmp_eq_u32_sdwa s[4:5], v4, v27 src0_sel:WORD_0 src1_sel:DWORD
	s_nop 1
	v_cndmask_b32_e64 v9, v5, v4, s[4:5]
; %bb.1433:                             ;   in Loop: Header=BB379_555 Depth=1
	s_or_b64 exec, exec, s[10:11]
	v_lshlrev_b32_e32 v4, 16, v6
	v_mul_f32_e32 v4, v49, v4
	v_and_b32_e32 v5, 0x7f800000, v4
	v_cmp_ne_u32_e64 s[4:5], s12, v5
                                        ; implicit-def: $vgpr61
	s_and_saveexec_b64 s[10:11], s[4:5]
	s_xor_b64 s[4:5], exec, s[10:11]
; %bb.1434:                             ;   in Loop: Header=BB379_555 Depth=1
	v_bfe_u32 v5, v4, 16, 1
	v_add3_u32 v61, v4, v5, s15
                                        ; implicit-def: $vgpr4
; %bb.1435:                             ;   in Loop: Header=BB379_555 Depth=1
	s_andn2_saveexec_b64 s[10:11], s[4:5]
; %bb.1436:                             ;   in Loop: Header=BB379_555 Depth=1
	v_or_b32_e32 v5, 0x10000, v4
	v_cmp_eq_u32_sdwa s[4:5], v4, v27 src0_sel:WORD_0 src1_sel:DWORD
	s_nop 1
	v_cndmask_b32_e64 v61, v5, v4, s[4:5]
; %bb.1437:                             ;   in Loop: Header=BB379_555 Depth=1
	s_or_b64 exec, exec, s[10:11]
	v_lshlrev_b32_e32 v3, 16, v3
	v_mul_f32_e32 v3, v50, v3
	v_and_b32_e32 v4, 0x7f800000, v3
	v_cmp_ne_u32_e64 s[4:5], s12, v4
                                        ; implicit-def: $vgpr62
	s_and_saveexec_b64 s[10:11], s[4:5]
	s_xor_b64 s[4:5], exec, s[10:11]
; %bb.1438:                             ;   in Loop: Header=BB379_555 Depth=1
	v_bfe_u32 v4, v3, 16, 1
	v_add3_u32 v62, v3, v4, s15
                                        ; implicit-def: $vgpr3
; %bb.1439:                             ;   in Loop: Header=BB379_555 Depth=1
	s_andn2_saveexec_b64 s[10:11], s[4:5]
; %bb.1440:                             ;   in Loop: Header=BB379_555 Depth=1
	v_or_b32_e32 v4, 0x10000, v3
	v_cmp_eq_u32_sdwa s[4:5], v3, v27 src0_sel:WORD_0 src1_sel:DWORD
	s_nop 1
	v_cndmask_b32_e64 v62, v4, v3, s[4:5]
; %bb.1441:                             ;   in Loop: Header=BB379_555 Depth=1
	s_or_b64 exec, exec, s[10:11]
	v_lshlrev_b32_e32 v2, 16, v2
	v_mul_f32_e32 v2, v51, v2
	v_and_b32_e32 v3, 0x7f800000, v2
	v_cmp_ne_u32_e64 s[4:5], s12, v3
                                        ; implicit-def: $vgpr47
	s_and_saveexec_b64 s[10:11], s[4:5]
	s_xor_b64 s[4:5], exec, s[10:11]
; %bb.1442:                             ;   in Loop: Header=BB379_555 Depth=1
	v_bfe_u32 v3, v2, 16, 1
	v_add3_u32 v47, v2, v3, s15
                                        ; implicit-def: $vgpr2
; %bb.1443:                             ;   in Loop: Header=BB379_555 Depth=1
	s_andn2_saveexec_b64 s[10:11], s[4:5]
; %bb.1444:                             ;   in Loop: Header=BB379_555 Depth=1
	v_or_b32_e32 v3, 0x10000, v2
	v_cmp_eq_u32_sdwa s[4:5], v2, v27 src0_sel:WORD_0 src1_sel:DWORD
	s_nop 1
	v_cndmask_b32_e64 v47, v3, v2, s[4:5]
; %bb.1445:                             ;   in Loop: Header=BB379_555 Depth=1
	s_or_b64 exec, exec, s[10:11]
	scratch_load_dwordx2 v[2:3], off, s32 offset:432 ; 8-byte Folded Reload
	s_waitcnt vmcnt(0)
	v_lshl_add_u64 v[2:3], v[0:1], 0, v[2:3]
	flat_load_dwordx2 v[2:3], v[2:3]
	s_waitcnt vmcnt(0) lgkmcnt(0)
	v_and_b32_e32 v4, 0xff, v2
	v_cvt_f32_fp8_sdwa v4, v4 src0_sel:BYTE_0
	s_nop 0
	v_mul_f32_e32 v5, v23, v4
	v_and_b32_e32 v4, 0x7f800000, v5
	v_cmp_ne_u32_e64 s[4:5], s12, v4
                                        ; implicit-def: $vgpr4
	s_and_saveexec_b64 s[10:11], s[4:5]
	s_xor_b64 s[4:5], exec, s[10:11]
; %bb.1446:                             ;   in Loop: Header=BB379_555 Depth=1
	v_bfe_u32 v4, v5, 16, 1
	v_add3_u32 v4, v5, v4, s15
                                        ; implicit-def: $vgpr5
; %bb.1447:                             ;   in Loop: Header=BB379_555 Depth=1
	s_andn2_saveexec_b64 s[10:11], s[4:5]
; %bb.1448:                             ;   in Loop: Header=BB379_555 Depth=1
	v_or_b32_e32 v4, 0x10000, v5
	v_cmp_eq_u32_sdwa s[4:5], v5, v27 src0_sel:WORD_0 src1_sel:DWORD
	s_nop 1
	v_cndmask_b32_e64 v4, v4, v5, s[4:5]
; %bb.1449:                             ;   in Loop: Header=BB379_555 Depth=1
	s_or_b64 exec, exec, s[10:11]
	v_bfe_u32 v5, v2, 8, 8
	v_cvt_f32_fp8_sdwa v5, v5 src0_sel:BYTE_0
	s_nop 0
	v_mul_f32_e32 v6, v23, v5
	v_and_b32_e32 v5, 0x7f800000, v6
	v_cmp_ne_u32_e64 s[4:5], s12, v5
                                        ; implicit-def: $vgpr5
	s_and_saveexec_b64 s[10:11], s[4:5]
	s_xor_b64 s[4:5], exec, s[10:11]
; %bb.1450:                             ;   in Loop: Header=BB379_555 Depth=1
	v_bfe_u32 v5, v6, 16, 1
	v_add3_u32 v5, v6, v5, s15
                                        ; implicit-def: $vgpr6
; %bb.1451:                             ;   in Loop: Header=BB379_555 Depth=1
	s_andn2_saveexec_b64 s[10:11], s[4:5]
; %bb.1452:                             ;   in Loop: Header=BB379_555 Depth=1
	v_or_b32_e32 v5, 0x10000, v6
	v_cmp_eq_u32_sdwa s[4:5], v6, v27 src0_sel:WORD_0 src1_sel:DWORD
	s_nop 1
	v_cndmask_b32_e64 v5, v5, v6, s[4:5]
; %bb.1453:                             ;   in Loop: Header=BB379_555 Depth=1
	s_or_b64 exec, exec, s[10:11]
	v_bfe_u32 v6, v2, 16, 8
	v_cvt_f32_fp8_sdwa v6, v6 src0_sel:BYTE_0
	s_nop 0
	v_mul_f32_e32 v6, v23, v6
	v_and_b32_e32 v7, 0x7f800000, v6
	v_cmp_ne_u32_e64 s[4:5], s12, v7
                                        ; implicit-def: $vgpr7
	s_and_saveexec_b64 s[10:11], s[4:5]
	s_xor_b64 s[4:5], exec, s[10:11]
; %bb.1454:                             ;   in Loop: Header=BB379_555 Depth=1
	v_bfe_u32 v7, v6, 16, 1
	v_add3_u32 v7, v6, v7, s15
                                        ; implicit-def: $vgpr6
; %bb.1455:                             ;   in Loop: Header=BB379_555 Depth=1
	s_andn2_saveexec_b64 s[10:11], s[4:5]
; %bb.1456:                             ;   in Loop: Header=BB379_555 Depth=1
	v_or_b32_e32 v7, 0x10000, v6
	v_cmp_eq_u32_sdwa s[4:5], v6, v27 src0_sel:WORD_0 src1_sel:DWORD
	s_nop 1
	v_cndmask_b32_e64 v7, v7, v6, s[4:5]
; %bb.1457:                             ;   in Loop: Header=BB379_555 Depth=1
	s_or_b64 exec, exec, s[10:11]
	v_lshrrev_b32_e32 v2, 24, v2
	v_cvt_f32_fp8_sdwa v2, v2 src0_sel:BYTE_0
	s_nop 0
	v_mul_f32_e32 v6, v23, v2
	v_and_b32_e32 v2, 0x7f800000, v6
	v_cmp_ne_u32_e64 s[4:5], s12, v2
                                        ; implicit-def: $vgpr2
	s_and_saveexec_b64 s[10:11], s[4:5]
	s_xor_b64 s[4:5], exec, s[10:11]
; %bb.1458:                             ;   in Loop: Header=BB379_555 Depth=1
	v_bfe_u32 v2, v6, 16, 1
	v_add3_u32 v2, v6, v2, s15
                                        ; implicit-def: $vgpr6
; %bb.1459:                             ;   in Loop: Header=BB379_555 Depth=1
	s_andn2_saveexec_b64 s[10:11], s[4:5]
; %bb.1460:                             ;   in Loop: Header=BB379_555 Depth=1
	v_or_b32_e32 v2, 0x10000, v6
	v_cmp_eq_u32_sdwa s[4:5], v6, v27 src0_sel:WORD_0 src1_sel:DWORD
	s_nop 1
	v_cndmask_b32_e64 v2, v2, v6, s[4:5]
; %bb.1461:                             ;   in Loop: Header=BB379_555 Depth=1
	s_or_b64 exec, exec, s[10:11]
	v_and_b32_e32 v6, 0xff, v3
	v_cvt_f32_fp8_sdwa v6, v6 src0_sel:BYTE_0
	s_nop 0
	v_mul_f32_e32 v6, v23, v6
	v_and_b32_e32 v8, 0x7f800000, v6
	v_cmp_ne_u32_e64 s[4:5], s12, v8
                                        ; implicit-def: $vgpr8
	s_and_saveexec_b64 s[10:11], s[4:5]
	s_xor_b64 s[4:5], exec, s[10:11]
; %bb.1462:                             ;   in Loop: Header=BB379_555 Depth=1
	v_bfe_u32 v8, v6, 16, 1
	v_add3_u32 v8, v6, v8, s15
                                        ; implicit-def: $vgpr6
; %bb.1463:                             ;   in Loop: Header=BB379_555 Depth=1
	s_andn2_saveexec_b64 s[10:11], s[4:5]
; %bb.1464:                             ;   in Loop: Header=BB379_555 Depth=1
	v_or_b32_e32 v8, 0x10000, v6
	v_cmp_eq_u32_sdwa s[4:5], v6, v27 src0_sel:WORD_0 src1_sel:DWORD
	s_nop 1
	v_cndmask_b32_e64 v8, v8, v6, s[4:5]
; %bb.1465:                             ;   in Loop: Header=BB379_555 Depth=1
	s_or_b64 exec, exec, s[10:11]
	v_bfe_u32 v6, v3, 8, 8
	v_cvt_f32_fp8_sdwa v6, v6 src0_sel:BYTE_0
	s_nop 0
	v_mul_f32_e32 v14, v23, v6
	v_and_b32_e32 v6, 0x7f800000, v14
	v_cmp_ne_u32_e64 s[4:5], s12, v6
                                        ; implicit-def: $vgpr6
	s_and_saveexec_b64 s[10:11], s[4:5]
	s_xor_b64 s[4:5], exec, s[10:11]
; %bb.1466:                             ;   in Loop: Header=BB379_555 Depth=1
	v_bfe_u32 v6, v14, 16, 1
	v_add3_u32 v6, v14, v6, s15
                                        ; implicit-def: $vgpr14
; %bb.1467:                             ;   in Loop: Header=BB379_555 Depth=1
	s_andn2_saveexec_b64 s[10:11], s[4:5]
; %bb.1468:                             ;   in Loop: Header=BB379_555 Depth=1
	v_or_b32_e32 v6, 0x10000, v14
	v_cmp_eq_u32_sdwa s[4:5], v14, v27 src0_sel:WORD_0 src1_sel:DWORD
	s_nop 1
	v_cndmask_b32_e64 v6, v6, v14, s[4:5]
; %bb.1469:                             ;   in Loop: Header=BB379_555 Depth=1
	s_or_b64 exec, exec, s[10:11]
	v_bfe_u32 v14, v3, 16, 8
	v_cvt_f32_fp8_sdwa v14, v14 src0_sel:BYTE_0
	s_nop 0
	v_mul_f32_e32 v14, v23, v14
	v_and_b32_e32 v15, 0x7f800000, v14
	v_cmp_ne_u32_e64 s[4:5], s12, v15
                                        ; implicit-def: $vgpr15
	s_and_saveexec_b64 s[10:11], s[4:5]
	s_xor_b64 s[4:5], exec, s[10:11]
; %bb.1470:                             ;   in Loop: Header=BB379_555 Depth=1
	v_bfe_u32 v15, v14, 16, 1
	v_add3_u32 v15, v14, v15, s15
                                        ; implicit-def: $vgpr14
; %bb.1471:                             ;   in Loop: Header=BB379_555 Depth=1
	s_andn2_saveexec_b64 s[10:11], s[4:5]
; %bb.1472:                             ;   in Loop: Header=BB379_555 Depth=1
	v_or_b32_e32 v15, 0x10000, v14
	v_cmp_eq_u32_sdwa s[4:5], v14, v27 src0_sel:WORD_0 src1_sel:DWORD
	s_nop 1
	v_cndmask_b32_e64 v15, v15, v14, s[4:5]
; %bb.1473:                             ;   in Loop: Header=BB379_555 Depth=1
	s_or_b64 exec, exec, s[10:11]
	v_lshrrev_b32_e32 v3, 24, v3
	v_cvt_f32_fp8_sdwa v3, v3 src0_sel:BYTE_0
                                        ; implicit-def: $vgpr52
	s_nop 0
	v_mul_f32_e32 v3, v23, v3
	v_and_b32_e32 v14, 0x7f800000, v3
	v_cmp_ne_u32_e64 s[4:5], s12, v14
	s_and_saveexec_b64 s[10:11], s[4:5]
	s_xor_b64 s[4:5], exec, s[10:11]
; %bb.1474:                             ;   in Loop: Header=BB379_555 Depth=1
	v_bfe_u32 v14, v3, 16, 1
	v_add3_u32 v52, v3, v14, s15
                                        ; implicit-def: $vgpr3
; %bb.1475:                             ;   in Loop: Header=BB379_555 Depth=1
	s_andn2_saveexec_b64 s[10:11], s[4:5]
; %bb.1476:                             ;   in Loop: Header=BB379_555 Depth=1
	v_or_b32_e32 v14, 0x10000, v3
	v_cmp_eq_u32_sdwa s[4:5], v3, v27 src0_sel:WORD_0 src1_sel:DWORD
	s_nop 1
	v_cndmask_b32_e64 v52, v14, v3, s[4:5]
; %bb.1477:                             ;   in Loop: Header=BB379_555 Depth=1
	s_or_b64 exec, exec, s[10:11]
	v_lshrrev_b32_e32 v6, 16, v6
	v_lshrrev_b32_e32 v8, 16, v8
	;; [unrolled: 1-line block ×8, first 2 shown]
	s_and_saveexec_b64 s[10:11], vcc
	s_cbranch_execz .LBB379_1479
; %bb.1478:                             ;   in Loop: Header=BB379_555 Depth=1
	v_accvgpr_read_b32 v15, a40
	v_cmp_lt_i32_e64 s[4:5], v15, v45
	v_accvgpr_read_b32 v15, a46
	s_nop 0
	v_cndmask_b32_e64 v4, 0, v4, s[4:5]
	v_cmp_lt_i32_e64 s[4:5], v15, v45
	v_accvgpr_read_b32 v15, a45
	s_nop 0
	v_cndmask_b32_e64 v5, 0, v5, s[4:5]
	;; [unrolled: 4-line block ×6, first 2 shown]
	v_cmp_lt_i32_e64 s[4:5], v15, v45
	s_nop 1
	v_cndmask_b32_e64 v3, 0, v3, s[4:5]
	v_cmp_lt_i32_e64 s[4:5], v17, v45
	s_nop 1
	v_cndmask_b32_e64 v2, 0, v2, s[4:5]
.LBB379_1479:                           ;   in Loop: Header=BB379_555 Depth=1
	s_or_b64 exec, exec, s[10:11]
	v_lshlrev_b32_e32 v4, 16, v4
	v_mul_f32_e32 v4, v36, v4
	v_and_b32_e32 v15, 0x7f800000, v4
	v_cmp_ne_u32_e64 s[4:5], s12, v15
                                        ; implicit-def: $vgpr56
	s_and_saveexec_b64 s[10:11], s[4:5]
	s_xor_b64 s[4:5], exec, s[10:11]
; %bb.1480:                             ;   in Loop: Header=BB379_555 Depth=1
	v_bfe_u32 v15, v4, 16, 1
	v_add3_u32 v56, v4, v15, s15
                                        ; implicit-def: $vgpr4
; %bb.1481:                             ;   in Loop: Header=BB379_555 Depth=1
	s_andn2_saveexec_b64 s[10:11], s[4:5]
; %bb.1482:                             ;   in Loop: Header=BB379_555 Depth=1
	v_or_b32_e32 v15, 0x10000, v4
	v_cmp_eq_u32_sdwa s[4:5], v4, v27 src0_sel:WORD_0 src1_sel:DWORD
	s_nop 1
	v_cndmask_b32_e64 v56, v15, v4, s[4:5]
; %bb.1483:                             ;   in Loop: Header=BB379_555 Depth=1
	s_or_b64 exec, exec, s[10:11]
	v_lshlrev_b32_e32 v4, 16, v5
	v_mul_f32_e32 v4, v37, v4
	v_and_b32_e32 v5, 0x7f800000, v4
	v_cmp_ne_u32_e64 s[4:5], s12, v5
                                        ; implicit-def: $vgpr5
	s_and_saveexec_b64 s[10:11], s[4:5]
	s_xor_b64 s[4:5], exec, s[10:11]
; %bb.1484:                             ;   in Loop: Header=BB379_555 Depth=1
	v_bfe_u32 v5, v4, 16, 1
	v_add3_u32 v5, v4, v5, s15
                                        ; implicit-def: $vgpr4
; %bb.1485:                             ;   in Loop: Header=BB379_555 Depth=1
	s_andn2_saveexec_b64 s[10:11], s[4:5]
; %bb.1486:                             ;   in Loop: Header=BB379_555 Depth=1
	v_or_b32_e32 v5, 0x10000, v4
	v_cmp_eq_u32_sdwa s[4:5], v4, v27 src0_sel:WORD_0 src1_sel:DWORD
	s_nop 1
	v_cndmask_b32_e64 v5, v5, v4, s[4:5]
; %bb.1487:                             ;   in Loop: Header=BB379_555 Depth=1
	s_or_b64 exec, exec, s[10:11]
	v_lshlrev_b32_e32 v4, 16, v7
	v_mul_f32_e32 v7, v38, v4
	v_and_b32_e32 v4, 0x7f800000, v7
	v_cmp_ne_u32_e64 s[4:5], s12, v4
                                        ; implicit-def: $vgpr4
	s_and_saveexec_b64 s[10:11], s[4:5]
	s_xor_b64 s[4:5], exec, s[10:11]
; %bb.1488:                             ;   in Loop: Header=BB379_555 Depth=1
	v_bfe_u32 v4, v7, 16, 1
	v_add3_u32 v4, v7, v4, s15
                                        ; implicit-def: $vgpr7
; %bb.1489:                             ;   in Loop: Header=BB379_555 Depth=1
	s_andn2_saveexec_b64 s[10:11], s[4:5]
; %bb.1490:                             ;   in Loop: Header=BB379_555 Depth=1
	v_or_b32_e32 v4, 0x10000, v7
	v_cmp_eq_u32_sdwa s[4:5], v7, v27 src0_sel:WORD_0 src1_sel:DWORD
	s_nop 1
	v_cndmask_b32_e64 v4, v4, v7, s[4:5]
; %bb.1491:                             ;   in Loop: Header=BB379_555 Depth=1
	s_or_b64 exec, exec, s[10:11]
	v_lshlrev_b32_e32 v7, 16, v14
	v_mul_f32_e32 v7, v39, v7
	v_and_b32_e32 v14, 0x7f800000, v7
	v_cmp_ne_u32_e64 s[4:5], s12, v14
                                        ; implicit-def: $vgpr52
	s_and_saveexec_b64 s[10:11], s[4:5]
	s_xor_b64 s[4:5], exec, s[10:11]
; %bb.1492:                             ;   in Loop: Header=BB379_555 Depth=1
	v_bfe_u32 v14, v7, 16, 1
	v_add3_u32 v52, v7, v14, s15
                                        ; implicit-def: $vgpr7
; %bb.1493:                             ;   in Loop: Header=BB379_555 Depth=1
	s_andn2_saveexec_b64 s[10:11], s[4:5]
; %bb.1494:                             ;   in Loop: Header=BB379_555 Depth=1
	v_or_b32_e32 v14, 0x10000, v7
	v_cmp_eq_u32_sdwa s[4:5], v7, v27 src0_sel:WORD_0 src1_sel:DWORD
	s_nop 1
	v_cndmask_b32_e64 v52, v14, v7, s[4:5]
; %bb.1495:                             ;   in Loop: Header=BB379_555 Depth=1
	s_or_b64 exec, exec, s[10:11]
	v_lshlrev_b32_e32 v7, 16, v8
	v_mul_f32_e32 v7, v48, v7
	v_and_b32_e32 v8, 0x7f800000, v7
	v_cmp_ne_u32_e64 s[4:5], s12, v8
                                        ; implicit-def: $vgpr53
	s_and_saveexec_b64 s[10:11], s[4:5]
	s_xor_b64 s[4:5], exec, s[10:11]
; %bb.1496:                             ;   in Loop: Header=BB379_555 Depth=1
	v_bfe_u32 v8, v7, 16, 1
	v_add3_u32 v53, v7, v8, s15
                                        ; implicit-def: $vgpr7
; %bb.1497:                             ;   in Loop: Header=BB379_555 Depth=1
	s_andn2_saveexec_b64 s[10:11], s[4:5]
; %bb.1498:                             ;   in Loop: Header=BB379_555 Depth=1
	v_or_b32_e32 v8, 0x10000, v7
	v_cmp_eq_u32_sdwa s[4:5], v7, v27 src0_sel:WORD_0 src1_sel:DWORD
	s_nop 1
	v_cndmask_b32_e64 v53, v8, v7, s[4:5]
; %bb.1499:                             ;   in Loop: Header=BB379_555 Depth=1
	s_or_b64 exec, exec, s[10:11]
	v_lshlrev_b32_e32 v6, 16, v6
	v_mul_f32_e32 v6, v49, v6
	v_and_b32_e32 v7, 0x7f800000, v6
	v_cmp_ne_u32_e64 s[4:5], s12, v7
                                        ; implicit-def: $vgpr54
	s_and_saveexec_b64 s[10:11], s[4:5]
	s_xor_b64 s[4:5], exec, s[10:11]
; %bb.1500:                             ;   in Loop: Header=BB379_555 Depth=1
	v_bfe_u32 v7, v6, 16, 1
	v_add3_u32 v54, v6, v7, s15
                                        ; implicit-def: $vgpr6
; %bb.1501:                             ;   in Loop: Header=BB379_555 Depth=1
	s_andn2_saveexec_b64 s[10:11], s[4:5]
; %bb.1502:                             ;   in Loop: Header=BB379_555 Depth=1
	v_or_b32_e32 v7, 0x10000, v6
	v_cmp_eq_u32_sdwa s[4:5], v6, v27 src0_sel:WORD_0 src1_sel:DWORD
	s_nop 1
	v_cndmask_b32_e64 v54, v7, v6, s[4:5]
; %bb.1503:                             ;   in Loop: Header=BB379_555 Depth=1
	s_or_b64 exec, exec, s[10:11]
	v_lshlrev_b32_e32 v3, 16, v3
	v_mul_f32_e32 v3, v50, v3
	v_and_b32_e32 v6, 0x7f800000, v3
	v_cmp_ne_u32_e64 s[4:5], s12, v6
                                        ; implicit-def: $vgpr55
	s_and_saveexec_b64 s[10:11], s[4:5]
	s_xor_b64 s[4:5], exec, s[10:11]
; %bb.1504:                             ;   in Loop: Header=BB379_555 Depth=1
	v_bfe_u32 v6, v3, 16, 1
	v_add3_u32 v55, v3, v6, s15
                                        ; implicit-def: $vgpr3
; %bb.1505:                             ;   in Loop: Header=BB379_555 Depth=1
	s_andn2_saveexec_b64 s[10:11], s[4:5]
; %bb.1506:                             ;   in Loop: Header=BB379_555 Depth=1
	v_or_b32_e32 v6, 0x10000, v3
	v_cmp_eq_u32_sdwa s[4:5], v3, v27 src0_sel:WORD_0 src1_sel:DWORD
	s_nop 1
	v_cndmask_b32_e64 v55, v6, v3, s[4:5]
; %bb.1507:                             ;   in Loop: Header=BB379_555 Depth=1
	s_or_b64 exec, exec, s[10:11]
	v_lshlrev_b32_e32 v2, 16, v2
	v_mul_f32_e32 v2, v51, v2
	v_and_b32_e32 v3, 0x7f800000, v2
	v_cmp_ne_u32_e64 s[4:5], s12, v3
                                        ; implicit-def: $vgpr40
	s_and_saveexec_b64 s[10:11], s[4:5]
	s_xor_b64 s[4:5], exec, s[10:11]
; %bb.1508:                             ;   in Loop: Header=BB379_555 Depth=1
	v_bfe_u32 v3, v2, 16, 1
	v_add3_u32 v40, v2, v3, s15
                                        ; implicit-def: $vgpr2
; %bb.1509:                             ;   in Loop: Header=BB379_555 Depth=1
	s_andn2_saveexec_b64 s[10:11], s[4:5]
; %bb.1510:                             ;   in Loop: Header=BB379_555 Depth=1
	v_or_b32_e32 v3, 0x10000, v2
	v_cmp_eq_u32_sdwa s[4:5], v2, v27 src0_sel:WORD_0 src1_sel:DWORD
	s_nop 1
	v_cndmask_b32_e64 v40, v3, v2, s[4:5]
; %bb.1511:                             ;   in Loop: Header=BB379_555 Depth=1
	s_or_b64 exec, exec, s[10:11]
	scratch_load_dwordx2 v[2:3], off, s32 offset:440 ; 8-byte Folded Reload
	s_waitcnt vmcnt(0)
	v_lshl_add_u64 v[2:3], v[0:1], 0, v[2:3]
	flat_load_dwordx2 v[2:3], v[2:3]
	s_waitcnt vmcnt(0) lgkmcnt(0)
	v_and_b32_e32 v6, 0xff, v2
	v_cvt_f32_fp8_sdwa v6, v6 src0_sel:BYTE_0
	s_nop 0
	v_mul_f32_e32 v7, v23, v6
	v_and_b32_e32 v6, 0x7f800000, v7
	v_cmp_ne_u32_e64 s[4:5], s12, v6
                                        ; implicit-def: $vgpr6
	s_and_saveexec_b64 s[10:11], s[4:5]
	s_xor_b64 s[4:5], exec, s[10:11]
; %bb.1512:                             ;   in Loop: Header=BB379_555 Depth=1
	v_bfe_u32 v6, v7, 16, 1
	v_add3_u32 v6, v7, v6, s15
                                        ; implicit-def: $vgpr7
; %bb.1513:                             ;   in Loop: Header=BB379_555 Depth=1
	s_andn2_saveexec_b64 s[10:11], s[4:5]
; %bb.1514:                             ;   in Loop: Header=BB379_555 Depth=1
	v_or_b32_e32 v6, 0x10000, v7
	v_cmp_eq_u32_sdwa s[4:5], v7, v27 src0_sel:WORD_0 src1_sel:DWORD
	s_nop 1
	v_cndmask_b32_e64 v6, v6, v7, s[4:5]
; %bb.1515:                             ;   in Loop: Header=BB379_555 Depth=1
	s_or_b64 exec, exec, s[10:11]
	v_bfe_u32 v7, v2, 8, 8
	v_cvt_f32_fp8_sdwa v7, v7 src0_sel:BYTE_0
	s_nop 0
	v_mul_f32_e32 v8, v23, v7
	v_and_b32_e32 v7, 0x7f800000, v8
	v_cmp_ne_u32_e64 s[4:5], s12, v7
                                        ; implicit-def: $vgpr7
	s_and_saveexec_b64 s[10:11], s[4:5]
	s_xor_b64 s[4:5], exec, s[10:11]
; %bb.1516:                             ;   in Loop: Header=BB379_555 Depth=1
	v_bfe_u32 v7, v8, 16, 1
	v_add3_u32 v7, v8, v7, s15
                                        ; implicit-def: $vgpr8
; %bb.1517:                             ;   in Loop: Header=BB379_555 Depth=1
	s_andn2_saveexec_b64 s[10:11], s[4:5]
; %bb.1518:                             ;   in Loop: Header=BB379_555 Depth=1
	v_or_b32_e32 v7, 0x10000, v8
	v_cmp_eq_u32_sdwa s[4:5], v8, v27 src0_sel:WORD_0 src1_sel:DWORD
	s_nop 1
	v_cndmask_b32_e64 v7, v7, v8, s[4:5]
; %bb.1519:                             ;   in Loop: Header=BB379_555 Depth=1
	s_or_b64 exec, exec, s[10:11]
	v_bfe_u32 v8, v2, 16, 8
	v_cvt_f32_fp8_sdwa v8, v8 src0_sel:BYTE_0
	s_nop 0
	v_mul_f32_e32 v8, v23, v8
	v_and_b32_e32 v14, 0x7f800000, v8
	v_cmp_ne_u32_e64 s[4:5], s12, v14
                                        ; implicit-def: $vgpr14
	s_and_saveexec_b64 s[10:11], s[4:5]
	s_xor_b64 s[4:5], exec, s[10:11]
; %bb.1520:                             ;   in Loop: Header=BB379_555 Depth=1
	v_bfe_u32 v14, v8, 16, 1
	v_add3_u32 v14, v8, v14, s15
                                        ; implicit-def: $vgpr8
; %bb.1521:                             ;   in Loop: Header=BB379_555 Depth=1
	s_andn2_saveexec_b64 s[10:11], s[4:5]
; %bb.1522:                             ;   in Loop: Header=BB379_555 Depth=1
	v_or_b32_e32 v14, 0x10000, v8
	v_cmp_eq_u32_sdwa s[4:5], v8, v27 src0_sel:WORD_0 src1_sel:DWORD
	s_nop 1
	v_cndmask_b32_e64 v14, v14, v8, s[4:5]
; %bb.1523:                             ;   in Loop: Header=BB379_555 Depth=1
	s_or_b64 exec, exec, s[10:11]
	v_lshrrev_b32_e32 v2, 24, v2
	v_cvt_f32_fp8_sdwa v2, v2 src0_sel:BYTE_0
	s_nop 0
	v_mul_f32_e32 v8, v23, v2
	v_and_b32_e32 v2, 0x7f800000, v8
	v_cmp_ne_u32_e64 s[4:5], s12, v2
                                        ; implicit-def: $vgpr2
	s_and_saveexec_b64 s[10:11], s[4:5]
	s_xor_b64 s[4:5], exec, s[10:11]
; %bb.1524:                             ;   in Loop: Header=BB379_555 Depth=1
	v_bfe_u32 v2, v8, 16, 1
	v_add3_u32 v2, v8, v2, s15
                                        ; implicit-def: $vgpr8
; %bb.1525:                             ;   in Loop: Header=BB379_555 Depth=1
	s_andn2_saveexec_b64 s[10:11], s[4:5]
; %bb.1526:                             ;   in Loop: Header=BB379_555 Depth=1
	v_or_b32_e32 v2, 0x10000, v8
	v_cmp_eq_u32_sdwa s[4:5], v8, v27 src0_sel:WORD_0 src1_sel:DWORD
	s_nop 1
	v_cndmask_b32_e64 v2, v2, v8, s[4:5]
; %bb.1527:                             ;   in Loop: Header=BB379_555 Depth=1
	s_or_b64 exec, exec, s[10:11]
	v_and_b32_e32 v8, 0xff, v3
	v_cvt_f32_fp8_sdwa v8, v8 src0_sel:BYTE_0
	s_nop 0
	v_mul_f32_e32 v8, v23, v8
	v_and_b32_e32 v15, 0x7f800000, v8
	v_cmp_ne_u32_e64 s[4:5], s12, v15
                                        ; implicit-def: $vgpr15
	s_and_saveexec_b64 s[10:11], s[4:5]
	s_xor_b64 s[4:5], exec, s[10:11]
; %bb.1528:                             ;   in Loop: Header=BB379_555 Depth=1
	v_bfe_u32 v15, v8, 16, 1
	v_add3_u32 v15, v8, v15, s15
                                        ; implicit-def: $vgpr8
; %bb.1529:                             ;   in Loop: Header=BB379_555 Depth=1
	s_andn2_saveexec_b64 s[10:11], s[4:5]
; %bb.1530:                             ;   in Loop: Header=BB379_555 Depth=1
	v_or_b32_e32 v15, 0x10000, v8
	v_cmp_eq_u32_sdwa s[4:5], v8, v27 src0_sel:WORD_0 src1_sel:DWORD
	s_nop 1
	v_cndmask_b32_e64 v15, v15, v8, s[4:5]
; %bb.1531:                             ;   in Loop: Header=BB379_555 Depth=1
	s_or_b64 exec, exec, s[10:11]
	v_bfe_u32 v8, v3, 8, 8
	v_cvt_f32_fp8_sdwa v8, v8 src0_sel:BYTE_0
	s_nop 0
	v_mul_f32_e32 v41, v23, v8
	v_and_b32_e32 v8, 0x7f800000, v41
	v_cmp_ne_u32_e64 s[4:5], s12, v8
                                        ; implicit-def: $vgpr8
	s_and_saveexec_b64 s[10:11], s[4:5]
	s_xor_b64 s[4:5], exec, s[10:11]
; %bb.1532:                             ;   in Loop: Header=BB379_555 Depth=1
	v_bfe_u32 v8, v41, 16, 1
	v_add3_u32 v8, v41, v8, s15
                                        ; implicit-def: $vgpr41
; %bb.1533:                             ;   in Loop: Header=BB379_555 Depth=1
	s_andn2_saveexec_b64 s[10:11], s[4:5]
; %bb.1534:                             ;   in Loop: Header=BB379_555 Depth=1
	v_or_b32_e32 v8, 0x10000, v41
	v_cmp_eq_u32_sdwa s[4:5], v41, v27 src0_sel:WORD_0 src1_sel:DWORD
	s_nop 1
	v_cndmask_b32_e64 v8, v8, v41, s[4:5]
; %bb.1535:                             ;   in Loop: Header=BB379_555 Depth=1
	s_or_b64 exec, exec, s[10:11]
	v_bfe_u32 v41, v3, 16, 8
	v_cvt_f32_fp8_sdwa v41, v41 src0_sel:BYTE_0
	s_nop 0
	v_mul_f32_e32 v42, v23, v41
	v_and_b32_e32 v41, 0x7f800000, v42
	v_cmp_ne_u32_e64 s[4:5], s12, v41
                                        ; implicit-def: $vgpr41
	s_and_saveexec_b64 s[10:11], s[4:5]
	s_xor_b64 s[4:5], exec, s[10:11]
; %bb.1536:                             ;   in Loop: Header=BB379_555 Depth=1
	v_bfe_u32 v41, v42, 16, 1
	v_add3_u32 v41, v42, v41, s15
                                        ; implicit-def: $vgpr42
; %bb.1537:                             ;   in Loop: Header=BB379_555 Depth=1
	s_andn2_saveexec_b64 s[10:11], s[4:5]
; %bb.1538:                             ;   in Loop: Header=BB379_555 Depth=1
	v_or_b32_e32 v41, 0x10000, v42
	v_cmp_eq_u32_sdwa s[4:5], v42, v27 src0_sel:WORD_0 src1_sel:DWORD
	s_nop 1
	v_cndmask_b32_e64 v41, v41, v42, s[4:5]
; %bb.1539:                             ;   in Loop: Header=BB379_555 Depth=1
	s_or_b64 exec, exec, s[10:11]
	v_lshrrev_b32_e32 v3, 24, v3
	v_cvt_f32_fp8_sdwa v3, v3 src0_sel:BYTE_0
	s_nop 0
	v_mul_f32_e32 v3, v23, v3
	v_and_b32_e32 v42, 0x7f800000, v3
	v_cmp_ne_u32_e64 s[4:5], s12, v42
                                        ; implicit-def: $vgpr42
	s_and_saveexec_b64 s[10:11], s[4:5]
	s_xor_b64 s[4:5], exec, s[10:11]
; %bb.1540:                             ;   in Loop: Header=BB379_555 Depth=1
	v_bfe_u32 v42, v3, 16, 1
	v_add3_u32 v42, v3, v42, s15
                                        ; implicit-def: $vgpr3
; %bb.1541:                             ;   in Loop: Header=BB379_555 Depth=1
	s_andn2_saveexec_b64 s[10:11], s[4:5]
; %bb.1542:                             ;   in Loop: Header=BB379_555 Depth=1
	v_or_b32_e32 v42, 0x10000, v3
	v_cmp_eq_u32_sdwa s[4:5], v3, v27 src0_sel:WORD_0 src1_sel:DWORD
	s_nop 1
	v_cndmask_b32_e64 v42, v42, v3, s[4:5]
; %bb.1543:                             ;   in Loop: Header=BB379_555 Depth=1
	s_or_b64 exec, exec, s[10:11]
	v_lshrrev_b32_e32 v8, 16, v8
	v_lshrrev_b32_e32 v43, 16, v15
	;; [unrolled: 1-line block ×8, first 2 shown]
	s_and_saveexec_b64 s[10:11], vcc
	s_cbranch_execz .LBB379_1545
; %bb.1544:                             ;   in Loop: Header=BB379_555 Depth=1
	v_accvgpr_read_b32 v6, a40
	v_cmp_lt_i32_e64 s[4:5], v6, v45
	v_accvgpr_read_b32 v6, a46
	s_nop 0
	v_cndmask_b32_e64 v2, 0, v2, s[4:5]
	v_cmp_lt_i32_e64 s[4:5], v6, v45
	v_accvgpr_read_b32 v6, a45
	s_nop 0
	v_cndmask_b32_e64 v3, 0, v3, s[4:5]
	;; [unrolled: 4-line block ×6, first 2 shown]
	v_cmp_lt_i32_e64 s[4:5], v6, v45
	s_nop 1
	v_cndmask_b32_e64 v15, 0, v15, s[4:5]
	v_cmp_lt_i32_e64 s[4:5], v17, v45
	s_nop 1
	v_cndmask_b32_e64 v42, 0, v42, s[4:5]
.LBB379_1545:                           ;   in Loop: Header=BB379_555 Depth=1
	s_or_b64 exec, exec, s[10:11]
	v_lshlrev_b32_e32 v2, 16, v2
	v_mul_f32_e32 v6, v36, v2
	v_and_b32_e32 v2, 0x7f800000, v6
	v_cmp_ne_u32_e64 s[4:5], s12, v2
                                        ; implicit-def: $vgpr2
	s_and_saveexec_b64 s[10:11], s[4:5]
	s_xor_b64 s[4:5], exec, s[10:11]
; %bb.1546:                             ;   in Loop: Header=BB379_555 Depth=1
	v_bfe_u32 v2, v6, 16, 1
	v_add3_u32 v2, v6, v2, s15
                                        ; implicit-def: $vgpr6
; %bb.1547:                             ;   in Loop: Header=BB379_555 Depth=1
	s_andn2_saveexec_b64 s[10:11], s[4:5]
; %bb.1548:                             ;   in Loop: Header=BB379_555 Depth=1
	v_or_b32_e32 v2, 0x10000, v6
	v_cmp_eq_u32_sdwa s[4:5], v6, v27 src0_sel:WORD_0 src1_sel:DWORD
	s_nop 1
	v_cndmask_b32_e64 v2, v2, v6, s[4:5]
; %bb.1549:                             ;   in Loop: Header=BB379_555 Depth=1
	s_or_b64 exec, exec, s[10:11]
	v_lshlrev_b32_e32 v3, 16, v3
	v_mul_f32_e32 v6, v37, v3
	v_and_b32_e32 v3, 0x7f800000, v6
	v_cmp_ne_u32_e64 s[4:5], s12, v3
                                        ; implicit-def: $vgpr3
	s_and_saveexec_b64 s[10:11], s[4:5]
	s_xor_b64 s[4:5], exec, s[10:11]
; %bb.1550:                             ;   in Loop: Header=BB379_555 Depth=1
	v_bfe_u32 v3, v6, 16, 1
	v_add3_u32 v3, v6, v3, s15
                                        ; implicit-def: $vgpr6
; %bb.1551:                             ;   in Loop: Header=BB379_555 Depth=1
	s_andn2_saveexec_b64 s[10:11], s[4:5]
; %bb.1552:                             ;   in Loop: Header=BB379_555 Depth=1
	v_or_b32_e32 v3, 0x10000, v6
	v_cmp_eq_u32_sdwa s[4:5], v6, v27 src0_sel:WORD_0 src1_sel:DWORD
	s_nop 1
	v_cndmask_b32_e64 v3, v3, v6, s[4:5]
; %bb.1553:                             ;   in Loop: Header=BB379_555 Depth=1
	s_or_b64 exec, exec, s[10:11]
	v_lshlrev_b32_e32 v6, 16, v14
	v_mul_f32_e32 v6, v38, v6
	v_and_b32_e32 v7, 0x7f800000, v6
	v_cmp_ne_u32_e64 s[4:5], s12, v7
                                        ; implicit-def: $vgpr41
	s_and_saveexec_b64 s[10:11], s[4:5]
	s_xor_b64 s[4:5], exec, s[10:11]
; %bb.1554:                             ;   in Loop: Header=BB379_555 Depth=1
	v_bfe_u32 v7, v6, 16, 1
	v_add3_u32 v41, v6, v7, s15
                                        ; implicit-def: $vgpr6
; %bb.1555:                             ;   in Loop: Header=BB379_555 Depth=1
	s_andn2_saveexec_b64 s[10:11], s[4:5]
; %bb.1556:                             ;   in Loop: Header=BB379_555 Depth=1
	v_or_b32_e32 v7, 0x10000, v6
	v_cmp_eq_u32_sdwa s[4:5], v6, v27 src0_sel:WORD_0 src1_sel:DWORD
	s_nop 1
	v_cndmask_b32_e64 v41, v7, v6, s[4:5]
; %bb.1557:                             ;   in Loop: Header=BB379_555 Depth=1
	s_or_b64 exec, exec, s[10:11]
	v_lshlrev_b32_e32 v6, 16, v44
	v_mul_f32_e32 v7, v39, v6
	v_and_b32_e32 v6, 0x7f800000, v7
	v_cmp_ne_u32_e64 s[4:5], s12, v6
                                        ; implicit-def: $vgpr6
	s_and_saveexec_b64 s[10:11], s[4:5]
	s_xor_b64 s[4:5], exec, s[10:11]
; %bb.1558:                             ;   in Loop: Header=BB379_555 Depth=1
	v_bfe_u32 v6, v7, 16, 1
	v_add3_u32 v6, v7, v6, s15
                                        ; implicit-def: $vgpr7
; %bb.1559:                             ;   in Loop: Header=BB379_555 Depth=1
	s_andn2_saveexec_b64 s[10:11], s[4:5]
; %bb.1560:                             ;   in Loop: Header=BB379_555 Depth=1
	v_or_b32_e32 v6, 0x10000, v7
	v_cmp_eq_u32_sdwa s[4:5], v7, v27 src0_sel:WORD_0 src1_sel:DWORD
	s_nop 1
	v_cndmask_b32_e64 v6, v6, v7, s[4:5]
; %bb.1561:                             ;   in Loop: Header=BB379_555 Depth=1
	s_or_b64 exec, exec, s[10:11]
	v_lshlrev_b32_e32 v7, 16, v43
	v_mul_f32_e32 v14, v48, v7
	v_and_b32_e32 v7, 0x7f800000, v14
	v_cmp_ne_u32_e64 s[4:5], s12, v7
                                        ; implicit-def: $vgpr7
	s_and_saveexec_b64 s[10:11], s[4:5]
	s_xor_b64 s[4:5], exec, s[10:11]
; %bb.1562:                             ;   in Loop: Header=BB379_555 Depth=1
	v_bfe_u32 v7, v14, 16, 1
	v_add3_u32 v7, v14, v7, s15
                                        ; implicit-def: $vgpr14
; %bb.1563:                             ;   in Loop: Header=BB379_555 Depth=1
	s_andn2_saveexec_b64 s[10:11], s[4:5]
; %bb.1564:                             ;   in Loop: Header=BB379_555 Depth=1
	v_or_b32_e32 v7, 0x10000, v14
	v_cmp_eq_u32_sdwa s[4:5], v14, v27 src0_sel:WORD_0 src1_sel:DWORD
	s_nop 1
	v_cndmask_b32_e64 v7, v7, v14, s[4:5]
; %bb.1565:                             ;   in Loop: Header=BB379_555 Depth=1
	s_or_b64 exec, exec, s[10:11]
	v_lshlrev_b32_e32 v8, 16, v8
	v_mul_f32_e32 v8, v49, v8
	v_and_b32_e32 v14, 0x7f800000, v8
	v_cmp_ne_u32_e64 s[4:5], s12, v14
                                        ; implicit-def: $vgpr14
	s_and_saveexec_b64 s[10:11], s[4:5]
	s_xor_b64 s[4:5], exec, s[10:11]
; %bb.1566:                             ;   in Loop: Header=BB379_555 Depth=1
	v_bfe_u32 v14, v8, 16, 1
	v_add3_u32 v14, v8, v14, s15
                                        ; implicit-def: $vgpr8
; %bb.1567:                             ;   in Loop: Header=BB379_555 Depth=1
	s_andn2_saveexec_b64 s[10:11], s[4:5]
; %bb.1568:                             ;   in Loop: Header=BB379_555 Depth=1
	v_or_b32_e32 v14, 0x10000, v8
	v_cmp_eq_u32_sdwa s[4:5], v8, v27 src0_sel:WORD_0 src1_sel:DWORD
	s_nop 1
	v_cndmask_b32_e64 v14, v14, v8, s[4:5]
; %bb.1569:                             ;   in Loop: Header=BB379_555 Depth=1
	s_or_b64 exec, exec, s[10:11]
	v_lshlrev_b32_e32 v8, 16, v15
	v_mul_f32_e32 v8, v50, v8
	v_and_b32_e32 v15, 0x7f800000, v8
	v_cmp_ne_u32_e64 s[4:5], s12, v15
                                        ; implicit-def: $vgpr15
	s_and_saveexec_b64 s[10:11], s[4:5]
	s_xor_b64 s[4:5], exec, s[10:11]
; %bb.1570:                             ;   in Loop: Header=BB379_555 Depth=1
	v_bfe_u32 v15, v8, 16, 1
	v_add3_u32 v15, v8, v15, s15
                                        ; implicit-def: $vgpr8
; %bb.1571:                             ;   in Loop: Header=BB379_555 Depth=1
	s_andn2_saveexec_b64 s[10:11], s[4:5]
; %bb.1572:                             ;   in Loop: Header=BB379_555 Depth=1
	v_or_b32_e32 v15, 0x10000, v8
	v_cmp_eq_u32_sdwa s[4:5], v8, v27 src0_sel:WORD_0 src1_sel:DWORD
	s_nop 1
	v_cndmask_b32_e64 v15, v15, v8, s[4:5]
; %bb.1573:                             ;   in Loop: Header=BB379_555 Depth=1
	s_or_b64 exec, exec, s[10:11]
	v_lshlrev_b32_e32 v8, 16, v42
	v_mul_f32_e32 v8, v51, v8
	v_and_b32_e32 v42, 0x7f800000, v8
	v_cmp_ne_u32_e64 s[4:5], s12, v42
                                        ; implicit-def: $vgpr42
	s_and_saveexec_b64 s[10:11], s[4:5]
	s_xor_b64 s[4:5], exec, s[10:11]
; %bb.1574:                             ;   in Loop: Header=BB379_555 Depth=1
	v_bfe_u32 v42, v8, 16, 1
	v_add3_u32 v42, v8, v42, s15
                                        ; implicit-def: $vgpr8
; %bb.1575:                             ;   in Loop: Header=BB379_555 Depth=1
	s_andn2_saveexec_b64 s[10:11], s[4:5]
; %bb.1576:                             ;   in Loop: Header=BB379_555 Depth=1
	v_or_b32_e32 v42, 0x10000, v8
	v_cmp_eq_u32_sdwa s[4:5], v8, v27 src0_sel:WORD_0 src1_sel:DWORD
	s_nop 1
	v_cndmask_b32_e64 v42, v42, v8, s[4:5]
; %bb.1577:                             ;   in Loop: Header=BB379_555 Depth=1
	s_or_b64 exec, exec, s[10:11]
	scratch_load_dwordx2 v[58:59], off, s32 offset:448 ; 8-byte Folded Reload
	s_waitcnt vmcnt(0)
	v_lshl_add_u64 v[0:1], v[0:1], 0, v[58:59]
	flat_load_dwordx2 v[0:1], v[0:1]
	s_waitcnt vmcnt(0) lgkmcnt(0)
	v_and_b32_e32 v8, 0xff, v0
	v_cvt_f32_fp8_sdwa v8, v8 src0_sel:BYTE_0
	s_nop 0
	v_mul_f32_e32 v8, v23, v8
	v_and_b32_e32 v43, 0x7f800000, v8
	v_cmp_ne_u32_e64 s[4:5], s12, v43
                                        ; implicit-def: $vgpr43
	s_and_saveexec_b64 s[10:11], s[4:5]
	s_xor_b64 s[4:5], exec, s[10:11]
; %bb.1578:                             ;   in Loop: Header=BB379_555 Depth=1
	v_bfe_u32 v43, v8, 16, 1
	v_add3_u32 v43, v8, v43, s15
                                        ; implicit-def: $vgpr8
; %bb.1579:                             ;   in Loop: Header=BB379_555 Depth=1
	s_andn2_saveexec_b64 s[10:11], s[4:5]
; %bb.1580:                             ;   in Loop: Header=BB379_555 Depth=1
	v_or_b32_e32 v43, 0x10000, v8
	v_cmp_eq_u32_sdwa s[4:5], v8, v27 src0_sel:WORD_0 src1_sel:DWORD
	s_nop 1
	v_cndmask_b32_e64 v43, v43, v8, s[4:5]
; %bb.1581:                             ;   in Loop: Header=BB379_555 Depth=1
	s_or_b64 exec, exec, s[10:11]
	v_bfe_u32 v8, v0, 8, 8
	v_cvt_f32_fp8_sdwa v8, v8 src0_sel:BYTE_0
	s_nop 0
	v_mul_f32_e32 v44, v23, v8
	v_and_b32_e32 v8, 0x7f800000, v44
	v_cmp_ne_u32_e64 s[4:5], s12, v8
                                        ; implicit-def: $vgpr8
	s_and_saveexec_b64 s[10:11], s[4:5]
	s_xor_b64 s[4:5], exec, s[10:11]
; %bb.1582:                             ;   in Loop: Header=BB379_555 Depth=1
	v_bfe_u32 v8, v44, 16, 1
	v_add3_u32 v8, v44, v8, s15
                                        ; implicit-def: $vgpr44
; %bb.1583:                             ;   in Loop: Header=BB379_555 Depth=1
	s_andn2_saveexec_b64 s[10:11], s[4:5]
; %bb.1584:                             ;   in Loop: Header=BB379_555 Depth=1
	v_or_b32_e32 v8, 0x10000, v44
	v_cmp_eq_u32_sdwa s[4:5], v44, v27 src0_sel:WORD_0 src1_sel:DWORD
	s_nop 1
	v_cndmask_b32_e64 v8, v8, v44, s[4:5]
; %bb.1585:                             ;   in Loop: Header=BB379_555 Depth=1
	s_or_b64 exec, exec, s[10:11]
	v_bfe_u32 v44, v0, 16, 8
	v_cvt_f32_fp8_sdwa v44, v44 src0_sel:BYTE_0
                                        ; implicit-def: $vgpr59
	s_nop 0
	v_mul_f32_e32 v44, v23, v44
	v_and_b32_e32 v46, 0x7f800000, v44
	v_cmp_ne_u32_e64 s[4:5], s12, v46
	s_and_saveexec_b64 s[10:11], s[4:5]
	s_xor_b64 s[4:5], exec, s[10:11]
; %bb.1586:                             ;   in Loop: Header=BB379_555 Depth=1
	v_bfe_u32 v46, v44, 16, 1
	v_add3_u32 v59, v44, v46, s15
                                        ; implicit-def: $vgpr44
; %bb.1587:                             ;   in Loop: Header=BB379_555 Depth=1
	s_andn2_saveexec_b64 s[10:11], s[4:5]
; %bb.1588:                             ;   in Loop: Header=BB379_555 Depth=1
	v_or_b32_e32 v46, 0x10000, v44
	v_cmp_eq_u32_sdwa s[4:5], v44, v27 src0_sel:WORD_0 src1_sel:DWORD
	s_nop 1
	v_cndmask_b32_e64 v59, v46, v44, s[4:5]
; %bb.1589:                             ;   in Loop: Header=BB379_555 Depth=1
	s_or_b64 exec, exec, s[10:11]
	v_lshrrev_b32_e32 v0, 24, v0
	v_cvt_f32_fp8_sdwa v0, v0 src0_sel:BYTE_0
	s_nop 0
	v_mul_f32_e32 v44, v23, v0
	v_and_b32_e32 v0, 0x7f800000, v44
	v_cmp_ne_u32_e64 s[4:5], s12, v0
                                        ; implicit-def: $vgpr0
	s_and_saveexec_b64 s[10:11], s[4:5]
	s_xor_b64 s[4:5], exec, s[10:11]
; %bb.1590:                             ;   in Loop: Header=BB379_555 Depth=1
	v_bfe_u32 v0, v44, 16, 1
	v_add3_u32 v0, v44, v0, s15
                                        ; implicit-def: $vgpr44
; %bb.1591:                             ;   in Loop: Header=BB379_555 Depth=1
	s_andn2_saveexec_b64 s[10:11], s[4:5]
; %bb.1592:                             ;   in Loop: Header=BB379_555 Depth=1
	v_or_b32_e32 v0, 0x10000, v44
	v_cmp_eq_u32_sdwa s[4:5], v44, v27 src0_sel:WORD_0 src1_sel:DWORD
	s_nop 1
	v_cndmask_b32_e64 v0, v0, v44, s[4:5]
; %bb.1593:                             ;   in Loop: Header=BB379_555 Depth=1
	s_or_b64 exec, exec, s[10:11]
	v_and_b32_e32 v44, 0xff, v1
	v_cvt_f32_fp8_sdwa v44, v44 src0_sel:BYTE_0
                                        ; implicit-def: $vgpr57
	s_nop 0
	v_mul_f32_e32 v44, v23, v44
	v_and_b32_e32 v46, 0x7f800000, v44
	v_cmp_ne_u32_e64 s[4:5], s12, v46
	s_and_saveexec_b64 s[10:11], s[4:5]
	s_xor_b64 s[4:5], exec, s[10:11]
; %bb.1594:                             ;   in Loop: Header=BB379_555 Depth=1
	v_bfe_u32 v46, v44, 16, 1
	v_add3_u32 v57, v44, v46, s15
                                        ; implicit-def: $vgpr44
; %bb.1595:                             ;   in Loop: Header=BB379_555 Depth=1
	s_andn2_saveexec_b64 s[10:11], s[4:5]
; %bb.1596:                             ;   in Loop: Header=BB379_555 Depth=1
	v_or_b32_e32 v46, 0x10000, v44
	v_cmp_eq_u32_sdwa s[4:5], v44, v27 src0_sel:WORD_0 src1_sel:DWORD
	s_nop 1
	v_cndmask_b32_e64 v57, v46, v44, s[4:5]
; %bb.1597:                             ;   in Loop: Header=BB379_555 Depth=1
	s_or_b64 exec, exec, s[10:11]
	v_bfe_u32 v44, v1, 8, 8
	v_cvt_f32_fp8_sdwa v44, v44 src0_sel:BYTE_0
	s_nop 0
	v_mul_f32_e32 v46, v23, v44
	v_and_b32_e32 v44, 0x7f800000, v46
	v_cmp_ne_u32_e64 s[4:5], s12, v44
                                        ; implicit-def: $vgpr44
	s_and_saveexec_b64 s[10:11], s[4:5]
	s_xor_b64 s[4:5], exec, s[10:11]
; %bb.1598:                             ;   in Loop: Header=BB379_555 Depth=1
	v_bfe_u32 v44, v46, 16, 1
	v_add3_u32 v44, v46, v44, s15
                                        ; implicit-def: $vgpr46
; %bb.1599:                             ;   in Loop: Header=BB379_555 Depth=1
	s_andn2_saveexec_b64 s[10:11], s[4:5]
; %bb.1600:                             ;   in Loop: Header=BB379_555 Depth=1
	v_or_b32_e32 v44, 0x10000, v46
	v_cmp_eq_u32_sdwa s[4:5], v46, v27 src0_sel:WORD_0 src1_sel:DWORD
	s_nop 1
	v_cndmask_b32_e64 v44, v44, v46, s[4:5]
; %bb.1601:                             ;   in Loop: Header=BB379_555 Depth=1
	s_or_b64 exec, exec, s[10:11]
	v_bfe_u32 v46, v1, 16, 8
	v_cvt_f32_fp8_sdwa v46, v46 src0_sel:BYTE_0
	s_nop 0
	v_mul_f32_e32 v46, v23, v46
	v_and_b32_e32 v58, 0x7f800000, v46
	v_cmp_ne_u32_e64 s[4:5], s12, v58
                                        ; implicit-def: $vgpr58
	s_and_saveexec_b64 s[10:11], s[4:5]
	s_xor_b64 s[4:5], exec, s[10:11]
; %bb.1602:                             ;   in Loop: Header=BB379_555 Depth=1
	v_bfe_u32 v58, v46, 16, 1
	v_add3_u32 v58, v46, v58, s15
                                        ; implicit-def: $vgpr46
; %bb.1603:                             ;   in Loop: Header=BB379_555 Depth=1
	s_andn2_saveexec_b64 s[10:11], s[4:5]
; %bb.1604:                             ;   in Loop: Header=BB379_555 Depth=1
	v_or_b32_e32 v58, 0x10000, v46
	v_cmp_eq_u32_sdwa s[4:5], v46, v27 src0_sel:WORD_0 src1_sel:DWORD
	s_nop 1
	v_cndmask_b32_e64 v58, v58, v46, s[4:5]
; %bb.1605:                             ;   in Loop: Header=BB379_555 Depth=1
	s_or_b64 exec, exec, s[10:11]
	v_lshrrev_b32_e32 v1, 24, v1
	v_cvt_f32_fp8_sdwa v1, v1 src0_sel:BYTE_0
	s_nop 0
	v_mul_f32_e32 v1, v23, v1
	v_and_b32_e32 v46, 0x7f800000, v1
	v_cmp_ne_u32_e64 s[4:5], s12, v46
                                        ; implicit-def: $vgpr46
	s_and_saveexec_b64 s[10:11], s[4:5]
	s_xor_b64 s[4:5], exec, s[10:11]
; %bb.1606:                             ;   in Loop: Header=BB379_555 Depth=1
	v_bfe_u32 v46, v1, 16, 1
	v_add3_u32 v46, v1, v46, s15
                                        ; implicit-def: $vgpr1
; %bb.1607:                             ;   in Loop: Header=BB379_555 Depth=1
	s_andn2_saveexec_b64 s[10:11], s[4:5]
; %bb.1608:                             ;   in Loop: Header=BB379_555 Depth=1
	v_or_b32_e32 v46, 0x10000, v1
	v_cmp_eq_u32_sdwa s[4:5], v1, v27 src0_sel:WORD_0 src1_sel:DWORD
	s_nop 1
	v_cndmask_b32_e64 v46, v46, v1, s[4:5]
; %bb.1609:                             ;   in Loop: Header=BB379_555 Depth=1
	s_or_b64 exec, exec, s[10:11]
	v_lshrrev_b32_e32 v44, 16, v44
	v_lshrrev_b32_e32 v57, 16, v57
	;; [unrolled: 1-line block ×8, first 2 shown]
	s_and_saveexec_b64 s[4:5], vcc
	s_cbranch_execz .LBB379_1611
; %bb.1610:                             ;   in Loop: Header=BB379_555 Depth=1
	v_accvgpr_read_b32 v46, a40
	v_cmp_lt_i32_e32 vcc, v46, v45
	v_accvgpr_read_b32 v46, a46
	s_nop 0
	v_cndmask_b32_e32 v0, 0, v0, vcc
	v_cmp_lt_i32_e32 vcc, v46, v45
	v_accvgpr_read_b32 v46, a45
	s_nop 0
	v_cndmask_b32_e32 v1, 0, v1, vcc
	;; [unrolled: 4-line block ×6, first 2 shown]
	v_cmp_lt_i32_e32 vcc, v46, v45
	s_nop 1
	v_cndmask_b32_e32 v8, 0, v8, vcc
	v_cmp_lt_i32_e32 vcc, v17, v45
	s_nop 1
	v_cndmask_b32_e32 v43, 0, v43, vcc
.LBB379_1611:                           ;   in Loop: Header=BB379_555 Depth=1
	s_or_b64 exec, exec, s[4:5]
	v_lshlrev_b32_e32 v0, 16, v0
	v_mul_f32_e32 v36, v36, v0
	v_and_b32_e32 v0, 0x7f800000, v36
	v_cmp_ne_u32_e32 vcc, s12, v0
                                        ; implicit-def: $vgpr0
	s_and_saveexec_b64 s[4:5], vcc
	s_xor_b64 s[4:5], exec, s[4:5]
; %bb.1612:                             ;   in Loop: Header=BB379_555 Depth=1
	v_bfe_u32 v0, v36, 16, 1
	v_add3_u32 v0, v36, v0, s15
                                        ; implicit-def: $vgpr36
; %bb.1613:                             ;   in Loop: Header=BB379_555 Depth=1
	s_andn2_saveexec_b64 s[4:5], s[4:5]
; %bb.1614:                             ;   in Loop: Header=BB379_555 Depth=1
	v_or_b32_e32 v0, 0x10000, v36
	v_cmp_eq_u32_sdwa vcc, v36, v27 src0_sel:WORD_0 src1_sel:DWORD
	s_nop 1
	v_cndmask_b32_e32 v0, v0, v36, vcc
; %bb.1615:                             ;   in Loop: Header=BB379_555 Depth=1
	s_or_b64 exec, exec, s[4:5]
	v_lshlrev_b32_e32 v1, 16, v1
	v_mul_f32_e32 v36, v37, v1
	v_and_b32_e32 v1, 0x7f800000, v36
	v_cmp_ne_u32_e32 vcc, s12, v1
                                        ; implicit-def: $vgpr1
	s_and_saveexec_b64 s[4:5], vcc
	s_xor_b64 s[4:5], exec, s[4:5]
; %bb.1616:                             ;   in Loop: Header=BB379_555 Depth=1
	v_bfe_u32 v1, v36, 16, 1
	v_add3_u32 v1, v36, v1, s15
                                        ; implicit-def: $vgpr36
; %bb.1617:                             ;   in Loop: Header=BB379_555 Depth=1
	s_andn2_saveexec_b64 s[4:5], s[4:5]
; %bb.1618:                             ;   in Loop: Header=BB379_555 Depth=1
	v_or_b32_e32 v1, 0x10000, v36
	v_cmp_eq_u32_sdwa vcc, v36, v27 src0_sel:WORD_0 src1_sel:DWORD
	s_nop 1
	v_cndmask_b32_e32 v1, v1, v36, vcc
; %bb.1619:                             ;   in Loop: Header=BB379_555 Depth=1
	s_or_b64 exec, exec, s[4:5]
	v_lshlrev_b32_e32 v36, 16, v59
	v_mul_f32_e32 v37, v38, v36
	v_and_b32_e32 v36, 0x7f800000, v37
	v_cmp_ne_u32_e32 vcc, s12, v36
                                        ; implicit-def: $vgpr36
	s_and_saveexec_b64 s[4:5], vcc
	s_xor_b64 s[4:5], exec, s[4:5]
; %bb.1620:                             ;   in Loop: Header=BB379_555 Depth=1
	v_bfe_u32 v36, v37, 16, 1
	v_add3_u32 v36, v37, v36, s15
                                        ; implicit-def: $vgpr37
; %bb.1621:                             ;   in Loop: Header=BB379_555 Depth=1
	s_andn2_saveexec_b64 s[4:5], s[4:5]
; %bb.1622:                             ;   in Loop: Header=BB379_555 Depth=1
	v_or_b32_e32 v36, 0x10000, v37
	v_cmp_eq_u32_sdwa vcc, v37, v27 src0_sel:WORD_0 src1_sel:DWORD
	s_nop 1
	v_cndmask_b32_e32 v36, v36, v37, vcc
; %bb.1623:                             ;   in Loop: Header=BB379_555 Depth=1
	s_or_b64 exec, exec, s[4:5]
	v_lshlrev_b32_e32 v37, 16, v60
	v_mul_f32_e32 v38, v39, v37
	v_and_b32_e32 v37, 0x7f800000, v38
	v_cmp_ne_u32_e32 vcc, s12, v37
                                        ; implicit-def: $vgpr37
	s_and_saveexec_b64 s[4:5], vcc
	s_xor_b64 s[4:5], exec, s[4:5]
; %bb.1624:                             ;   in Loop: Header=BB379_555 Depth=1
	v_bfe_u32 v37, v38, 16, 1
	v_add3_u32 v37, v38, v37, s15
                                        ; implicit-def: $vgpr38
; %bb.1625:                             ;   in Loop: Header=BB379_555 Depth=1
	s_andn2_saveexec_b64 s[4:5], s[4:5]
; %bb.1626:                             ;   in Loop: Header=BB379_555 Depth=1
	v_or_b32_e32 v37, 0x10000, v38
	v_cmp_eq_u32_sdwa vcc, v38, v27 src0_sel:WORD_0 src1_sel:DWORD
	s_nop 1
	v_cndmask_b32_e32 v37, v37, v38, vcc
; %bb.1627:                             ;   in Loop: Header=BB379_555 Depth=1
	s_or_b64 exec, exec, s[4:5]
	v_lshlrev_b32_e32 v38, 16, v57
	v_mul_f32_e32 v39, v48, v38
	v_and_b32_e32 v38, 0x7f800000, v39
	v_cmp_ne_u32_e32 vcc, s12, v38
                                        ; implicit-def: $vgpr38
	s_and_saveexec_b64 s[4:5], vcc
	s_xor_b64 s[4:5], exec, s[4:5]
; %bb.1628:                             ;   in Loop: Header=BB379_555 Depth=1
	v_bfe_u32 v38, v39, 16, 1
	v_add3_u32 v38, v39, v38, s15
                                        ; implicit-def: $vgpr39
; %bb.1629:                             ;   in Loop: Header=BB379_555 Depth=1
	s_andn2_saveexec_b64 s[4:5], s[4:5]
; %bb.1630:                             ;   in Loop: Header=BB379_555 Depth=1
	v_or_b32_e32 v38, 0x10000, v39
	v_cmp_eq_u32_sdwa vcc, v39, v27 src0_sel:WORD_0 src1_sel:DWORD
	s_nop 1
	v_cndmask_b32_e32 v38, v38, v39, vcc
; %bb.1631:                             ;   in Loop: Header=BB379_555 Depth=1
	s_or_b64 exec, exec, s[4:5]
	v_lshlrev_b32_e32 v39, 16, v44
	v_mul_f32_e32 v48, v49, v39
	v_and_b32_e32 v39, 0x7f800000, v48
	v_cmp_ne_u32_e32 vcc, s12, v39
                                        ; implicit-def: $vgpr39
	s_and_saveexec_b64 s[4:5], vcc
	s_xor_b64 s[4:5], exec, s[4:5]
; %bb.1632:                             ;   in Loop: Header=BB379_555 Depth=1
	v_bfe_u32 v39, v48, 16, 1
	v_add3_u32 v39, v48, v39, s15
                                        ; implicit-def: $vgpr48
; %bb.1633:                             ;   in Loop: Header=BB379_555 Depth=1
	s_andn2_saveexec_b64 s[4:5], s[4:5]
; %bb.1634:                             ;   in Loop: Header=BB379_555 Depth=1
	v_or_b32_e32 v39, 0x10000, v48
	v_cmp_eq_u32_sdwa vcc, v48, v27 src0_sel:WORD_0 src1_sel:DWORD
	s_nop 1
	v_cndmask_b32_e32 v39, v39, v48, vcc
; %bb.1635:                             ;   in Loop: Header=BB379_555 Depth=1
	s_or_b64 exec, exec, s[4:5]
	v_lshlrev_b32_e32 v8, 16, v8
	v_mul_f32_e32 v8, v50, v8
	v_and_b32_e32 v48, 0x7f800000, v8
	v_cmp_ne_u32_e32 vcc, s12, v48
                                        ; implicit-def: $vgpr48
	s_and_saveexec_b64 s[4:5], vcc
	s_xor_b64 s[4:5], exec, s[4:5]
; %bb.1636:                             ;   in Loop: Header=BB379_555 Depth=1
	v_bfe_u32 v48, v8, 16, 1
	v_add3_u32 v48, v8, v48, s15
                                        ; implicit-def: $vgpr8
; %bb.1637:                             ;   in Loop: Header=BB379_555 Depth=1
	s_andn2_saveexec_b64 s[4:5], s[4:5]
; %bb.1638:                             ;   in Loop: Header=BB379_555 Depth=1
	v_or_b32_e32 v48, 0x10000, v8
	v_cmp_eq_u32_sdwa vcc, v8, v27 src0_sel:WORD_0 src1_sel:DWORD
	s_nop 1
	v_cndmask_b32_e32 v48, v48, v8, vcc
; %bb.1639:                             ;   in Loop: Header=BB379_555 Depth=1
	s_or_b64 exec, exec, s[4:5]
	v_lshlrev_b32_e32 v8, 16, v43
	v_mul_f32_e32 v8, v51, v8
	v_and_b32_e32 v49, 0x7f800000, v8
	v_cmp_ne_u32_e32 vcc, s12, v49
                                        ; implicit-def: $vgpr49
	s_and_saveexec_b64 s[4:5], vcc
	s_xor_b64 s[4:5], exec, s[4:5]
; %bb.1640:                             ;   in Loop: Header=BB379_555 Depth=1
	v_bfe_u32 v49, v8, 16, 1
	v_add3_u32 v49, v8, v49, s15
                                        ; implicit-def: $vgpr8
; %bb.1641:                             ;   in Loop: Header=BB379_555 Depth=1
	s_andn2_saveexec_b64 s[4:5], s[4:5]
	s_cbranch_execz .LBB379_554
; %bb.1642:                             ;   in Loop: Header=BB379_555 Depth=1
	v_or_b32_e32 v49, 0x10000, v8
	v_cmp_eq_u32_sdwa vcc, v8, v27 src0_sel:WORD_0 src1_sel:DWORD
	s_nop 1
	v_cndmask_b32_e32 v49, v49, v8, vcc
	s_branch .LBB379_554
.LBB379_1643:
	s_or_b64 exec, exec, s[8:9]
	scratch_load_dword v36, off, s32 offset:468 ; 4-byte Folded Reload
	scratch_load_dword v23, off, s32 offset:464 ; 4-byte Folded Reload
.LBB379_1644:
	s_or_b64 exec, exec, s[6:7]
	s_waitcnt vmcnt(0)
	ds_bpermute_b32 v0, v36, v34
	ds_bpermute_b32 v1, v36, v35
	;; [unrolled: 1-line block ×6, first 2 shown]
	s_waitcnt lgkmcnt(0)
	v_pk_add_f32 v[0:1], v[34:35], v[0:1]
	ds_bpermute_b32 v4, v23, v0
	ds_bpermute_b32 v5, v23, v1
	v_pk_add_f32 v[2:3], v[32:33], v[2:3]
	v_mov_b32_e32 v32, v23
	ds_bpermute_b32 v8, v23, v2
	ds_bpermute_b32 v9, v32, v3
	s_waitcnt lgkmcnt(2)
	v_pk_add_f32 v[22:23], v[0:1], v[4:5]
	v_pk_add_f32 v[0:1], v[30:31], v[6:7]
	ds_bpermute_b32 v4, v32, v0
	ds_bpermute_b32 v5, v32, v1
	;; [unrolled: 1-line block ×6, first 2 shown]
	s_waitcnt lgkmcnt(6)
	v_pk_add_f32 v[16:17], v[2:3], v[8:9]
	ds_bpermute_b32 v2, v36, v24
	ds_bpermute_b32 v3, v36, v25
	s_waitcnt lgkmcnt(6)
	v_pk_add_f32 v[14:15], v[0:1], v[4:5]
	s_waitcnt lgkmcnt(4)
	v_pk_add_f32 v[0:1], v[28:29], v[6:7]
	;; [unrolled: 2-line block ×3, first 2 shown]
	ds_bpermute_b32 v4, v32, v0
	ds_bpermute_b32 v5, v32, v1
	s_waitcnt lgkmcnt(2)
	v_pk_add_f32 v[2:3], v[24:25], v[2:3]
	ds_bpermute_b32 v24, v32, v18
	ds_bpermute_b32 v25, v32, v19
	s_waitcnt lgkmcnt(0)
	v_pk_add_f32 v[10:11], v[0:1], v[4:5]
	s_barrier
	v_pk_add_f32 v[0:1], v[18:19], v[24:25]
	scratch_load_dword v18, off, s32 offset:836 ; 4-byte Folded Reload
	ds_bpermute_b32 v6, v36, v20
	ds_bpermute_b32 v7, v36, v21
	;; [unrolled: 1-line block ×6, first 2 shown]
	s_waitcnt lgkmcnt(4)
	v_pk_add_f32 v[6:7], v[20:21], v[6:7]
	ds_bpermute_b32 v20, v32, v6
	ds_bpermute_b32 v21, v32, v7
	s_waitcnt lgkmcnt(4)
	v_pk_add_f32 v[8:9], v[2:3], v[8:9]
	s_waitcnt lgkmcnt(2)
	v_pk_add_f32 v[2:3], v[12:13], v[26:27]
	ds_bpermute_b32 v12, v32, v2
	ds_bpermute_b32 v13, v32, v3
	s_waitcnt lgkmcnt(2)
	v_pk_add_f32 v[6:7], v[6:7], v[20:21]
	s_waitcnt vmcnt(0)
	v_and_b32_e32 v4, 0x3c3, v18
	v_cmp_ne_u32_e32 vcc, 64, v4
	s_and_saveexec_b64 s[4:5], vcc
	s_xor_b64 s[4:5], exec, s[4:5]
; %bb.1645:
                                        ; implicit-def: $vgpr4
                                        ; kill: killed $vgpr4
; %bb.1646:
	s_or_saveexec_b64 s[4:5], s[4:5]
	s_waitcnt lgkmcnt(0)
	v_pk_add_f32 v[2:3], v[2:3], v[12:13]
	s_xor_b64 exec, exec, s[4:5]
	s_cbranch_execz .LBB379_1648
; %bb.1647:
	scratch_load_dword v4, off, s32 offset:460 ; 4-byte Folded Reload
	s_ashr_i32 s23, s22, 31
	s_lshl_b64 s[6:7], s[22:23], 2
	s_getpc_b64 s[8:9]
	s_add_u32 s8, s8, llvm.amdgcn.dynlds.offset.table@rel32@lo+4
	s_addc_u32 s9, s9, llvm.amdgcn.dynlds.offset.table@rel32@hi+12
	s_add_u32 s6, s6, s8
	s_addc_u32 s7, s7, s9
	s_load_dword s6, s[6:7], 0x0
	s_waitcnt vmcnt(0) lgkmcnt(0)
	v_add_u32_e32 v4, s6, v4
	ds_write2_b32 v4, v22, v23 offset1:16
	ds_write2_b32 v4, v16, v17 offset0:32 offset1:48
	ds_write2_b32 v4, v14, v15 offset0:64 offset1:80
	ds_write2_b32 v4, v10, v11 offset0:96 offset1:112
	ds_write2_b32 v4, v8, v9 offset0:128 offset1:144
	ds_write2_b32 v4, v6, v7 offset0:160 offset1:176
	ds_write2_b32 v4, v0, v1 offset0:192 offset1:208
	ds_write2_b32 v4, v2, v3 offset0:224 offset1:240
.LBB379_1648:
	s_or_b64 exec, exec, s[4:5]
	s_waitcnt lgkmcnt(0)
	s_barrier
	s_and_saveexec_b64 s[4:5], s[2:3]
	s_xor_b64 s[2:3], exec, s[4:5]
	s_andn2_saveexec_b64 s[2:3], s[2:3]
	s_cbranch_execz .LBB379_1667
; %bb.1649:
	scratch_load_dword v4, off, s32 offset:456 ; 4-byte Folded Reload
	s_waitcnt vmcnt(0)
	v_cmp_eq_u32_e32 vcc, 0, v4
	v_lshrrev_b32_e32 v4, 2, v18
	s_and_saveexec_b64 s[4:5], vcc
	s_cbranch_execnz .LBB379_1735
; %bb.1650:
	s_or_b64 exec, exec, s[4:5]
	s_and_saveexec_b64 s[4:5], vcc
	s_cbranch_execnz .LBB379_1736
.LBB379_1651:
	s_or_b64 exec, exec, s[4:5]
	s_and_saveexec_b64 s[4:5], vcc
	s_cbranch_execnz .LBB379_1737
.LBB379_1652:
	s_or_b64 exec, exec, s[4:5]
	s_and_saveexec_b64 s[4:5], vcc
	s_cbranch_execnz .LBB379_1738
.LBB379_1653:
	s_or_b64 exec, exec, s[4:5]
	s_and_saveexec_b64 s[4:5], vcc
	s_cbranch_execnz .LBB379_1739
.LBB379_1654:
	s_or_b64 exec, exec, s[4:5]
	s_and_saveexec_b64 s[4:5], vcc
	s_cbranch_execnz .LBB379_1740
.LBB379_1655:
	s_or_b64 exec, exec, s[4:5]
	s_and_saveexec_b64 s[4:5], vcc
	s_cbranch_execnz .LBB379_1741
.LBB379_1656:
	s_or_b64 exec, exec, s[4:5]
	s_and_saveexec_b64 s[4:5], vcc
	s_cbranch_execnz .LBB379_1742
.LBB379_1657:
	s_or_b64 exec, exec, s[4:5]
	s_and_saveexec_b64 s[4:5], vcc
	s_cbranch_execnz .LBB379_1743
.LBB379_1658:
	s_or_b64 exec, exec, s[4:5]
	s_and_saveexec_b64 s[4:5], vcc
	s_cbranch_execnz .LBB379_1744
.LBB379_1659:
	s_or_b64 exec, exec, s[4:5]
	s_and_saveexec_b64 s[4:5], vcc
	s_cbranch_execnz .LBB379_1745
.LBB379_1660:
	s_or_b64 exec, exec, s[4:5]
	s_and_saveexec_b64 s[4:5], vcc
	s_cbranch_execnz .LBB379_1746
.LBB379_1661:
	s_or_b64 exec, exec, s[4:5]
	s_and_saveexec_b64 s[4:5], vcc
	s_cbranch_execnz .LBB379_1747
.LBB379_1662:
	s_or_b64 exec, exec, s[4:5]
	s_and_saveexec_b64 s[4:5], vcc
	s_cbranch_execnz .LBB379_1748
.LBB379_1663:
	s_or_b64 exec, exec, s[4:5]
	s_and_saveexec_b64 s[4:5], vcc
	s_cbranch_execnz .LBB379_1749
.LBB379_1664:
	s_or_b64 exec, exec, s[4:5]
	s_and_saveexec_b64 s[4:5], vcc
	s_cbranch_execz .LBB379_1666
.LBB379_1665:
	s_ashr_i32 s23, s22, 31
	s_lshl_b64 s[6:7], s[22:23], 2
	s_getpc_b64 s[8:9]
	s_add_u32 s8, s8, llvm.amdgcn.dynlds.offset.table@rel32@lo+4
	s_addc_u32 s9, s9, llvm.amdgcn.dynlds.offset.table@rel32@hi+12
	s_add_u32 s6, s6, s8
	s_addc_u32 s7, s7, s9
	s_load_dword s6, s[6:7], 0x0
	s_waitcnt lgkmcnt(0)
	v_lshl_add_u32 v4, v4, 2, s6
	ds_read_b32 v4, v4 offset:960
	s_waitcnt lgkmcnt(0)
	v_add_f32_e32 v3, v4, v3
.LBB379_1666:
	s_or_b64 exec, exec, s[4:5]
.LBB379_1667:
	s_or_b64 exec, exec, s[2:3]
	s_barrier
	s_and_b64 exec, exec, s[0:1]
	s_cbranch_execz .LBB379_1734
; %bb.1668:
	scratch_load_dword v4, off, s32 offset:456 ; 4-byte Folded Reload
	s_waitcnt vmcnt(0)
	v_cmp_eq_u32_e32 vcc, 0, v4
	s_and_b64 exec, exec, vcc
	s_cbranch_execz .LBB379_1734
; %bb.1669:
	s_mov_b32 s0, 0x7f800000
	v_and_b32_e32 v4, 0x7f800000, v22
	v_cmp_ne_u32_e32 vcc, s0, v4
                                        ; implicit-def: $vgpr12
	s_and_saveexec_b64 s[0:1], vcc
	s_xor_b64 s[0:1], exec, s[0:1]
; %bb.1670:
	v_bfe_u32 v4, v22, 16, 1
	s_movk_i32 s2, 0x7fff
	v_add3_u32 v12, v22, v4, s2
; %bb.1671:
	s_andn2_saveexec_b64 s[0:1], s[0:1]
; %bb.1672:
	v_mov_b32_e32 v4, 0
	v_or_b32_e32 v5, 0x10000, v22
	v_cmp_eq_u32_sdwa vcc, v22, v4 src0_sel:WORD_0 src1_sel:DWORD
	s_nop 1
	v_cndmask_b32_e32 v12, v5, v22, vcc
; %bb.1673:
	s_or_b64 exec, exec, s[0:1]
	scratch_load_dwordx2 v[4:5], off, s32 offset:840 ; 8-byte Folded Reload
	s_mul_i32 s0, s13, s18
	s_mul_i32 s0, s0, s19
	s_lshl_b32 s0, s0, 8
	s_mul_i32 s2, s20, s13
	s_lshl_b32 s4, s14, 8
	s_ashr_i32 s1, s0, 31
	s_ashr_i32 s3, s2, 31
	;; [unrolled: 1-line block ×3, first 2 shown]
	s_lshl_b64 s[0:1], s[0:1], 1
	s_lshl_b64 s[2:3], s[2:3], 1
	;; [unrolled: 1-line block ×3, first 2 shown]
	s_add_u32 s2, s4, s2
	s_addc_u32 s3, s5, s3
	s_add_u32 s0, s2, s0
	s_addc_u32 s1, s3, s1
	v_lshrrev_b32_e32 v13, 1, v18
	v_and_b32_e32 v18, 0x1fe, v13
	v_mov_b32_e32 v19, 0
	s_waitcnt vmcnt(0)
	v_lshl_add_u64 v[4:5], s[0:1], 0, v[4:5]
	v_lshl_add_u64 v[4:5], v[4:5], 0, v[18:19]
	flat_store_short_d16_hi v[4:5], v12
	s_mov_b32 s0, 0x7f800000
	v_and_b32_e32 v12, 0x7f800000, v23
	v_cmp_ne_u32_e32 vcc, s0, v12
                                        ; implicit-def: $vgpr12
	s_and_saveexec_b64 s[0:1], vcc
	s_xor_b64 s[0:1], exec, s[0:1]
; %bb.1674:
	v_bfe_u32 v12, v23, 16, 1
	s_movk_i32 s2, 0x7fff
	v_add3_u32 v12, v23, v12, s2
                                        ; implicit-def: $vgpr22_vgpr23
; %bb.1675:
	s_andn2_saveexec_b64 s[0:1], s[0:1]
; %bb.1676:
	v_mov_b32_e32 v12, 0
	v_or_b32_e32 v13, 0x10000, v23
	v_cmp_eq_u32_sdwa vcc, v23, v12 src0_sel:WORD_0 src1_sel:DWORD
	s_nop 1
	v_cndmask_b32_e32 v12, v13, v23, vcc
; %bb.1677:
	s_or_b64 exec, exec, s[0:1]
	flat_store_short_d16_hi v[4:5], v12 offset:32
	s_mov_b32 s0, 0x7f800000
	v_and_b32_e32 v12, 0x7f800000, v16
	v_cmp_ne_u32_e32 vcc, s0, v12
                                        ; implicit-def: $vgpr12
	s_and_saveexec_b64 s[0:1], vcc
	s_xor_b64 s[0:1], exec, s[0:1]
; %bb.1678:
	v_bfe_u32 v12, v16, 16, 1
	s_movk_i32 s2, 0x7fff
	v_add3_u32 v12, v16, v12, s2
; %bb.1679:
	s_andn2_saveexec_b64 s[0:1], s[0:1]
; %bb.1680:
	v_mov_b32_e32 v12, 0
	v_or_b32_e32 v13, 0x10000, v16
	v_cmp_eq_u32_sdwa vcc, v16, v12 src0_sel:WORD_0 src1_sel:DWORD
	s_nop 1
	v_cndmask_b32_e32 v12, v13, v16, vcc
; %bb.1681:
	s_or_b64 exec, exec, s[0:1]
	flat_store_short_d16_hi v[4:5], v12 offset:64
	s_mov_b32 s0, 0x7f800000
	v_and_b32_e32 v12, 0x7f800000, v17
	v_cmp_ne_u32_e32 vcc, s0, v12
                                        ; implicit-def: $vgpr12
	s_and_saveexec_b64 s[0:1], vcc
	s_xor_b64 s[0:1], exec, s[0:1]
; %bb.1682:
	v_bfe_u32 v12, v17, 16, 1
	s_movk_i32 s2, 0x7fff
	v_add3_u32 v12, v17, v12, s2
                                        ; implicit-def: $vgpr16_vgpr17
; %bb.1683:
	s_andn2_saveexec_b64 s[0:1], s[0:1]
; %bb.1684:
	v_mov_b32_e32 v12, 0
	v_or_b32_e32 v13, 0x10000, v17
	v_cmp_eq_u32_sdwa vcc, v17, v12 src0_sel:WORD_0 src1_sel:DWORD
	s_nop 1
	v_cndmask_b32_e32 v12, v13, v17, vcc
; %bb.1685:
	s_or_b64 exec, exec, s[0:1]
	flat_store_short_d16_hi v[4:5], v12 offset:96
	s_mov_b32 s0, 0x7f800000
	v_and_b32_e32 v12, 0x7f800000, v14
	v_cmp_ne_u32_e32 vcc, s0, v12
                                        ; implicit-def: $vgpr12
	s_and_saveexec_b64 s[0:1], vcc
	s_xor_b64 s[0:1], exec, s[0:1]
; %bb.1686:
	v_bfe_u32 v12, v14, 16, 1
	s_movk_i32 s2, 0x7fff
	v_add3_u32 v12, v14, v12, s2
; %bb.1687:
	s_andn2_saveexec_b64 s[0:1], s[0:1]
; %bb.1688:
	v_mov_b32_e32 v12, 0
	v_or_b32_e32 v13, 0x10000, v14
	v_cmp_eq_u32_sdwa vcc, v14, v12 src0_sel:WORD_0 src1_sel:DWORD
	s_nop 1
	v_cndmask_b32_e32 v12, v13, v14, vcc
; %bb.1689:
	s_or_b64 exec, exec, s[0:1]
	flat_store_short_d16_hi v[4:5], v12 offset:128
	s_mov_b32 s0, 0x7f800000
	v_and_b32_e32 v12, 0x7f800000, v15
	v_cmp_ne_u32_e32 vcc, s0, v12
                                        ; implicit-def: $vgpr12
	s_and_saveexec_b64 s[0:1], vcc
	s_xor_b64 s[0:1], exec, s[0:1]
; %bb.1690:
	v_bfe_u32 v12, v15, 16, 1
	s_movk_i32 s2, 0x7fff
	v_add3_u32 v12, v15, v12, s2
                                        ; implicit-def: $vgpr14_vgpr15
; %bb.1691:
	s_andn2_saveexec_b64 s[0:1], s[0:1]
; %bb.1692:
	v_mov_b32_e32 v12, 0
	v_or_b32_e32 v13, 0x10000, v15
	v_cmp_eq_u32_sdwa vcc, v15, v12 src0_sel:WORD_0 src1_sel:DWORD
	s_nop 1
	v_cndmask_b32_e32 v12, v13, v15, vcc
; %bb.1693:
	s_or_b64 exec, exec, s[0:1]
	flat_store_short_d16_hi v[4:5], v12 offset:160
	s_mov_b32 s0, 0x7f800000
	v_and_b32_e32 v12, 0x7f800000, v10
	v_cmp_ne_u32_e32 vcc, s0, v12
                                        ; implicit-def: $vgpr12
	s_and_saveexec_b64 s[0:1], vcc
	s_xor_b64 s[0:1], exec, s[0:1]
; %bb.1694:
	v_bfe_u32 v12, v10, 16, 1
	s_movk_i32 s2, 0x7fff
	v_add3_u32 v12, v10, v12, s2
; %bb.1695:
	s_andn2_saveexec_b64 s[0:1], s[0:1]
; %bb.1696:
	v_mov_b32_e32 v12, 0
	v_or_b32_e32 v13, 0x10000, v10
	v_cmp_eq_u32_sdwa vcc, v10, v12 src0_sel:WORD_0 src1_sel:DWORD
	s_nop 1
	v_cndmask_b32_e32 v12, v13, v10, vcc
; %bb.1697:
	s_or_b64 exec, exec, s[0:1]
	s_mov_b32 s0, 0x7f800000
	v_and_b32_e32 v10, 0x7f800000, v11
	v_cmp_ne_u32_e32 vcc, s0, v10
	flat_store_short_d16_hi v[4:5], v12 offset:192
                                        ; implicit-def: $vgpr12
	s_and_saveexec_b64 s[0:1], vcc
	s_xor_b64 s[0:1], exec, s[0:1]
; %bb.1698:
	v_bfe_u32 v10, v11, 16, 1
	s_movk_i32 s2, 0x7fff
	v_add3_u32 v12, v11, v10, s2
                                        ; implicit-def: $vgpr10_vgpr11
; %bb.1699:
	s_andn2_saveexec_b64 s[0:1], s[0:1]
; %bb.1700:
	v_mov_b32_e32 v10, 0
	v_or_b32_e32 v12, 0x10000, v11
	v_cmp_eq_u32_sdwa vcc, v11, v10 src0_sel:WORD_0 src1_sel:DWORD
	s_nop 1
	v_cndmask_b32_e32 v12, v12, v11, vcc
; %bb.1701:
	s_or_b64 exec, exec, s[0:1]
	s_mov_b32 s0, 0x7f800000
	v_and_b32_e32 v10, 0x7f800000, v8
	v_cmp_ne_u32_e32 vcc, s0, v10
	flat_store_short_d16_hi v[4:5], v12 offset:224
                                        ; implicit-def: $vgpr10
	s_and_saveexec_b64 s[0:1], vcc
	s_xor_b64 s[0:1], exec, s[0:1]
; %bb.1702:
	v_bfe_u32 v10, v8, 16, 1
	s_movk_i32 s2, 0x7fff
	v_add3_u32 v10, v8, v10, s2
; %bb.1703:
	s_andn2_saveexec_b64 s[0:1], s[0:1]
; %bb.1704:
	v_mov_b32_e32 v10, 0
	v_or_b32_e32 v11, 0x10000, v8
	v_cmp_eq_u32_sdwa vcc, v8, v10 src0_sel:WORD_0 src1_sel:DWORD
	s_nop 1
	v_cndmask_b32_e32 v10, v11, v8, vcc
; %bb.1705:
	s_or_b64 exec, exec, s[0:1]
	s_mov_b32 s0, 0x7f800000
	v_and_b32_e32 v8, 0x7f800000, v9
	v_cmp_ne_u32_e32 vcc, s0, v8
	flat_store_short_d16_hi v[4:5], v10 offset:256
                                        ; implicit-def: $vgpr10
	s_and_saveexec_b64 s[0:1], vcc
	s_xor_b64 s[0:1], exec, s[0:1]
; %bb.1706:
	v_bfe_u32 v8, v9, 16, 1
	s_movk_i32 s2, 0x7fff
	v_add3_u32 v10, v9, v8, s2
                                        ; implicit-def: $vgpr8_vgpr9
; %bb.1707:
	s_andn2_saveexec_b64 s[0:1], s[0:1]
; %bb.1708:
	v_mov_b32_e32 v8, 0
	v_or_b32_e32 v10, 0x10000, v9
	v_cmp_eq_u32_sdwa vcc, v9, v8 src0_sel:WORD_0 src1_sel:DWORD
	s_nop 1
	v_cndmask_b32_e32 v10, v10, v9, vcc
; %bb.1709:
	s_or_b64 exec, exec, s[0:1]
	s_mov_b32 s0, 0x7f800000
	v_and_b32_e32 v8, 0x7f800000, v6
	v_cmp_ne_u32_e32 vcc, s0, v8
	flat_store_short_d16_hi v[4:5], v10 offset:288
                                        ; implicit-def: $vgpr8
	s_and_saveexec_b64 s[0:1], vcc
	s_xor_b64 s[0:1], exec, s[0:1]
; %bb.1710:
	v_bfe_u32 v8, v6, 16, 1
	s_movk_i32 s2, 0x7fff
	v_add3_u32 v8, v6, v8, s2
; %bb.1711:
	s_andn2_saveexec_b64 s[0:1], s[0:1]
; %bb.1712:
	v_mov_b32_e32 v8, 0
	v_or_b32_e32 v9, 0x10000, v6
	v_cmp_eq_u32_sdwa vcc, v6, v8 src0_sel:WORD_0 src1_sel:DWORD
	s_nop 1
	v_cndmask_b32_e32 v8, v9, v6, vcc
; %bb.1713:
	s_or_b64 exec, exec, s[0:1]
	s_mov_b32 s0, 0x7f800000
	v_and_b32_e32 v6, 0x7f800000, v7
	v_cmp_ne_u32_e32 vcc, s0, v6
	flat_store_short_d16_hi v[4:5], v8 offset:320
                                        ; implicit-def: $vgpr8
	s_and_saveexec_b64 s[0:1], vcc
	s_xor_b64 s[0:1], exec, s[0:1]
; %bb.1714:
	v_bfe_u32 v6, v7, 16, 1
	s_movk_i32 s2, 0x7fff
	v_add3_u32 v8, v7, v6, s2
                                        ; implicit-def: $vgpr6_vgpr7
; %bb.1715:
	s_andn2_saveexec_b64 s[0:1], s[0:1]
; %bb.1716:
	v_mov_b32_e32 v6, 0
	v_or_b32_e32 v8, 0x10000, v7
	v_cmp_eq_u32_sdwa vcc, v7, v6 src0_sel:WORD_0 src1_sel:DWORD
	s_nop 1
	v_cndmask_b32_e32 v8, v8, v7, vcc
; %bb.1717:
	s_or_b64 exec, exec, s[0:1]
	s_mov_b32 s0, 0x7f800000
	v_and_b32_e32 v6, 0x7f800000, v0
	v_cmp_ne_u32_e32 vcc, s0, v6
	flat_store_short_d16_hi v[4:5], v8 offset:352
                                        ; implicit-def: $vgpr6
	s_and_saveexec_b64 s[0:1], vcc
	s_xor_b64 s[0:1], exec, s[0:1]
; %bb.1718:
	v_bfe_u32 v6, v0, 16, 1
	s_movk_i32 s2, 0x7fff
	v_add3_u32 v6, v0, v6, s2
; %bb.1719:
	s_andn2_saveexec_b64 s[0:1], s[0:1]
; %bb.1720:
	v_mov_b32_e32 v6, 0
	v_or_b32_e32 v7, 0x10000, v0
	v_cmp_eq_u32_sdwa vcc, v0, v6 src0_sel:WORD_0 src1_sel:DWORD
	s_nop 1
	v_cndmask_b32_e32 v6, v7, v0, vcc
; %bb.1721:
	s_or_b64 exec, exec, s[0:1]
	s_mov_b32 s0, 0x7f800000
	v_and_b32_e32 v0, 0x7f800000, v1
	v_cmp_ne_u32_e32 vcc, s0, v0
	flat_store_short_d16_hi v[4:5], v6 offset:384
                                        ; implicit-def: $vgpr6
	s_and_saveexec_b64 s[0:1], vcc
	s_xor_b64 s[0:1], exec, s[0:1]
; %bb.1722:
	v_bfe_u32 v0, v1, 16, 1
	s_movk_i32 s2, 0x7fff
	v_add3_u32 v6, v1, v0, s2
                                        ; implicit-def: $vgpr0_vgpr1
; %bb.1723:
	s_andn2_saveexec_b64 s[0:1], s[0:1]
; %bb.1724:
	v_mov_b32_e32 v0, 0
	v_or_b32_e32 v6, 0x10000, v1
	v_cmp_eq_u32_sdwa vcc, v1, v0 src0_sel:WORD_0 src1_sel:DWORD
	s_nop 1
	v_cndmask_b32_e32 v6, v6, v1, vcc
; %bb.1725:
	s_or_b64 exec, exec, s[0:1]
	s_mov_b32 s0, 0x7f800000
	v_and_b32_e32 v0, 0x7f800000, v2
	v_cmp_ne_u32_e32 vcc, s0, v0
	flat_store_short_d16_hi v[4:5], v6 offset:416
                                        ; implicit-def: $vgpr0
	s_and_saveexec_b64 s[0:1], vcc
	s_xor_b64 s[0:1], exec, s[0:1]
; %bb.1726:
	v_bfe_u32 v0, v2, 16, 1
	s_movk_i32 s2, 0x7fff
	v_add3_u32 v0, v2, v0, s2
; %bb.1727:
	s_andn2_saveexec_b64 s[0:1], s[0:1]
; %bb.1728:
	v_mov_b32_e32 v0, 0
	v_or_b32_e32 v1, 0x10000, v2
	v_cmp_eq_u32_sdwa vcc, v2, v0 src0_sel:WORD_0 src1_sel:DWORD
	s_nop 1
	v_cndmask_b32_e32 v0, v1, v2, vcc
; %bb.1729:
	s_or_b64 exec, exec, s[0:1]
	flat_store_short_d16_hi v[4:5], v0 offset:448
	s_mov_b32 s0, 0x7f800000
	v_and_b32_e32 v0, 0x7f800000, v3
	v_cmp_ne_u32_e32 vcc, s0, v0
                                        ; implicit-def: $vgpr0
	s_and_saveexec_b64 s[0:1], vcc
	s_xor_b64 s[0:1], exec, s[0:1]
; %bb.1730:
	v_bfe_u32 v0, v3, 16, 1
	s_movk_i32 s2, 0x7fff
	v_add3_u32 v0, v3, v0, s2
                                        ; implicit-def: $vgpr2_vgpr3
; %bb.1731:
	s_andn2_saveexec_b64 s[0:1], s[0:1]
; %bb.1732:
	v_mov_b32_e32 v0, 0
	v_or_b32_e32 v1, 0x10000, v3
	v_cmp_eq_u32_sdwa vcc, v3, v0 src0_sel:WORD_0 src1_sel:DWORD
	s_nop 1
	v_cndmask_b32_e32 v0, v1, v3, vcc
; %bb.1733:
	s_or_b64 exec, exec, s[0:1]
	flat_store_short_d16_hi v[4:5], v0 offset:480
.LBB379_1734:
	s_or_b64 exec, exec, s[16:17]
	scratch_load_dword a63, off, s32        ; 4-byte Folded Reload
	scratch_load_dword a62, off, s32 offset:4 ; 4-byte Folded Reload
	scratch_load_dword a61, off, s32 offset:8 ; 4-byte Folded Reload
	;; [unrolled: 1-line block ×46, first 2 shown]
	v_readlane_b32 s30, v63, 18
	v_readlane_b32 s31, v63, 19
	;; [unrolled: 1-line block ×20, first 2 shown]
	s_or_saveexec_b64 s[0:1], -1
	scratch_load_dword v63, off, s32 offset:928 ; 4-byte Folded Reload
	s_mov_b64 exec, s[0:1]
	s_waitcnt vmcnt(0) lgkmcnt(0)
	s_setpc_b64 s[30:31]
.LBB379_1735:
	s_ashr_i32 s23, s22, 31
	s_lshl_b64 s[6:7], s[22:23], 2
	s_getpc_b64 s[8:9]
	s_add_u32 s8, s8, llvm.amdgcn.dynlds.offset.table@rel32@lo+4
	s_addc_u32 s9, s9, llvm.amdgcn.dynlds.offset.table@rel32@hi+12
	s_add_u32 s6, s6, s8
	s_addc_u32 s7, s7, s9
	s_load_dword s6, s[6:7], 0x0
	s_waitcnt lgkmcnt(0)
	v_lshl_add_u32 v5, v4, 2, s6
	ds_read_b32 v5, v5
	s_waitcnt lgkmcnt(0)
	v_add_f32_e32 v22, v5, v22
	s_or_b64 exec, exec, s[4:5]
	s_and_saveexec_b64 s[4:5], vcc
	s_cbranch_execz .LBB379_1651
.LBB379_1736:
	s_ashr_i32 s23, s22, 31
	s_lshl_b64 s[6:7], s[22:23], 2
	s_getpc_b64 s[8:9]
	s_add_u32 s8, s8, llvm.amdgcn.dynlds.offset.table@rel32@lo+4
	s_addc_u32 s9, s9, llvm.amdgcn.dynlds.offset.table@rel32@hi+12
	s_add_u32 s6, s6, s8
	s_addc_u32 s7, s7, s9
	s_load_dword s6, s[6:7], 0x0
	s_waitcnt lgkmcnt(0)
	v_lshl_add_u32 v5, v4, 2, s6
	ds_read_b32 v5, v5 offset:64
	s_waitcnt lgkmcnt(0)
	v_add_f32_e32 v23, v5, v23
	s_or_b64 exec, exec, s[4:5]
	s_and_saveexec_b64 s[4:5], vcc
	s_cbranch_execz .LBB379_1652
.LBB379_1737:
	s_ashr_i32 s23, s22, 31
	s_lshl_b64 s[6:7], s[22:23], 2
	s_getpc_b64 s[8:9]
	s_add_u32 s8, s8, llvm.amdgcn.dynlds.offset.table@rel32@lo+4
	s_addc_u32 s9, s9, llvm.amdgcn.dynlds.offset.table@rel32@hi+12
	s_add_u32 s6, s6, s8
	s_addc_u32 s7, s7, s9
	s_load_dword s6, s[6:7], 0x0
	s_waitcnt lgkmcnt(0)
	v_lshl_add_u32 v5, v4, 2, s6
	ds_read_b32 v5, v5 offset:128
	s_waitcnt lgkmcnt(0)
	v_add_f32_e32 v16, v5, v16
	s_or_b64 exec, exec, s[4:5]
	s_and_saveexec_b64 s[4:5], vcc
	s_cbranch_execz .LBB379_1653
.LBB379_1738:
	s_ashr_i32 s23, s22, 31
	s_lshl_b64 s[6:7], s[22:23], 2
	s_getpc_b64 s[8:9]
	s_add_u32 s8, s8, llvm.amdgcn.dynlds.offset.table@rel32@lo+4
	s_addc_u32 s9, s9, llvm.amdgcn.dynlds.offset.table@rel32@hi+12
	s_add_u32 s6, s6, s8
	s_addc_u32 s7, s7, s9
	s_load_dword s6, s[6:7], 0x0
	s_waitcnt lgkmcnt(0)
	v_lshl_add_u32 v5, v4, 2, s6
	ds_read_b32 v5, v5 offset:192
	s_waitcnt lgkmcnt(0)
	v_add_f32_e32 v17, v5, v17
	s_or_b64 exec, exec, s[4:5]
	s_and_saveexec_b64 s[4:5], vcc
	s_cbranch_execz .LBB379_1654
.LBB379_1739:
	s_ashr_i32 s23, s22, 31
	s_lshl_b64 s[6:7], s[22:23], 2
	s_getpc_b64 s[8:9]
	s_add_u32 s8, s8, llvm.amdgcn.dynlds.offset.table@rel32@lo+4
	s_addc_u32 s9, s9, llvm.amdgcn.dynlds.offset.table@rel32@hi+12
	s_add_u32 s6, s6, s8
	s_addc_u32 s7, s7, s9
	s_load_dword s6, s[6:7], 0x0
	s_waitcnt lgkmcnt(0)
	v_lshl_add_u32 v5, v4, 2, s6
	ds_read_b32 v5, v5 offset:256
	s_waitcnt lgkmcnt(0)
	v_add_f32_e32 v14, v5, v14
	s_or_b64 exec, exec, s[4:5]
	s_and_saveexec_b64 s[4:5], vcc
	s_cbranch_execz .LBB379_1655
.LBB379_1740:
	s_ashr_i32 s23, s22, 31
	s_lshl_b64 s[6:7], s[22:23], 2
	s_getpc_b64 s[8:9]
	s_add_u32 s8, s8, llvm.amdgcn.dynlds.offset.table@rel32@lo+4
	s_addc_u32 s9, s9, llvm.amdgcn.dynlds.offset.table@rel32@hi+12
	s_add_u32 s6, s6, s8
	s_addc_u32 s7, s7, s9
	s_load_dword s6, s[6:7], 0x0
	s_waitcnt lgkmcnt(0)
	v_lshl_add_u32 v5, v4, 2, s6
	ds_read_b32 v5, v5 offset:320
	s_waitcnt lgkmcnt(0)
	v_add_f32_e32 v15, v5, v15
	s_or_b64 exec, exec, s[4:5]
	s_and_saveexec_b64 s[4:5], vcc
	s_cbranch_execz .LBB379_1656
.LBB379_1741:
	s_ashr_i32 s23, s22, 31
	s_lshl_b64 s[6:7], s[22:23], 2
	s_getpc_b64 s[8:9]
	s_add_u32 s8, s8, llvm.amdgcn.dynlds.offset.table@rel32@lo+4
	s_addc_u32 s9, s9, llvm.amdgcn.dynlds.offset.table@rel32@hi+12
	s_add_u32 s6, s6, s8
	s_addc_u32 s7, s7, s9
	s_load_dword s6, s[6:7], 0x0
	s_waitcnt lgkmcnt(0)
	v_lshl_add_u32 v5, v4, 2, s6
	ds_read_b32 v5, v5 offset:384
	s_waitcnt lgkmcnt(0)
	v_add_f32_e32 v10, v5, v10
	s_or_b64 exec, exec, s[4:5]
	s_and_saveexec_b64 s[4:5], vcc
	s_cbranch_execz .LBB379_1657
.LBB379_1742:
	s_ashr_i32 s23, s22, 31
	s_lshl_b64 s[6:7], s[22:23], 2
	s_getpc_b64 s[8:9]
	s_add_u32 s8, s8, llvm.amdgcn.dynlds.offset.table@rel32@lo+4
	s_addc_u32 s9, s9, llvm.amdgcn.dynlds.offset.table@rel32@hi+12
	s_add_u32 s6, s6, s8
	s_addc_u32 s7, s7, s9
	s_load_dword s6, s[6:7], 0x0
	s_waitcnt lgkmcnt(0)
	v_lshl_add_u32 v5, v4, 2, s6
	ds_read_b32 v5, v5 offset:448
	s_waitcnt lgkmcnt(0)
	v_add_f32_e32 v11, v5, v11
	s_or_b64 exec, exec, s[4:5]
	s_and_saveexec_b64 s[4:5], vcc
	s_cbranch_execz .LBB379_1658
.LBB379_1743:
	s_ashr_i32 s23, s22, 31
	s_lshl_b64 s[6:7], s[22:23], 2
	s_getpc_b64 s[8:9]
	s_add_u32 s8, s8, llvm.amdgcn.dynlds.offset.table@rel32@lo+4
	s_addc_u32 s9, s9, llvm.amdgcn.dynlds.offset.table@rel32@hi+12
	s_add_u32 s6, s6, s8
	s_addc_u32 s7, s7, s9
	s_load_dword s6, s[6:7], 0x0
	s_waitcnt lgkmcnt(0)
	v_lshl_add_u32 v5, v4, 2, s6
	ds_read_b32 v5, v5 offset:512
	s_waitcnt lgkmcnt(0)
	v_add_f32_e32 v8, v5, v8
	s_or_b64 exec, exec, s[4:5]
	s_and_saveexec_b64 s[4:5], vcc
	s_cbranch_execz .LBB379_1659
.LBB379_1744:
	s_ashr_i32 s23, s22, 31
	s_lshl_b64 s[6:7], s[22:23], 2
	s_getpc_b64 s[8:9]
	s_add_u32 s8, s8, llvm.amdgcn.dynlds.offset.table@rel32@lo+4
	s_addc_u32 s9, s9, llvm.amdgcn.dynlds.offset.table@rel32@hi+12
	s_add_u32 s6, s6, s8
	s_addc_u32 s7, s7, s9
	s_load_dword s6, s[6:7], 0x0
	s_waitcnt lgkmcnt(0)
	v_lshl_add_u32 v5, v4, 2, s6
	ds_read_b32 v5, v5 offset:576
	s_waitcnt lgkmcnt(0)
	v_add_f32_e32 v9, v5, v9
	s_or_b64 exec, exec, s[4:5]
	s_and_saveexec_b64 s[4:5], vcc
	s_cbranch_execz .LBB379_1660
.LBB379_1745:
	s_ashr_i32 s23, s22, 31
	s_lshl_b64 s[6:7], s[22:23], 2
	s_getpc_b64 s[8:9]
	s_add_u32 s8, s8, llvm.amdgcn.dynlds.offset.table@rel32@lo+4
	s_addc_u32 s9, s9, llvm.amdgcn.dynlds.offset.table@rel32@hi+12
	s_add_u32 s6, s6, s8
	s_addc_u32 s7, s7, s9
	s_load_dword s6, s[6:7], 0x0
	s_waitcnt lgkmcnt(0)
	v_lshl_add_u32 v5, v4, 2, s6
	ds_read_b32 v5, v5 offset:640
	s_waitcnt lgkmcnt(0)
	v_add_f32_e32 v6, v5, v6
	s_or_b64 exec, exec, s[4:5]
	s_and_saveexec_b64 s[4:5], vcc
	s_cbranch_execz .LBB379_1661
.LBB379_1746:
	s_ashr_i32 s23, s22, 31
	s_lshl_b64 s[6:7], s[22:23], 2
	s_getpc_b64 s[8:9]
	s_add_u32 s8, s8, llvm.amdgcn.dynlds.offset.table@rel32@lo+4
	s_addc_u32 s9, s9, llvm.amdgcn.dynlds.offset.table@rel32@hi+12
	s_add_u32 s6, s6, s8
	s_addc_u32 s7, s7, s9
	s_load_dword s6, s[6:7], 0x0
	s_waitcnt lgkmcnt(0)
	v_lshl_add_u32 v5, v4, 2, s6
	ds_read_b32 v5, v5 offset:704
	s_waitcnt lgkmcnt(0)
	v_add_f32_e32 v7, v5, v7
	s_or_b64 exec, exec, s[4:5]
	s_and_saveexec_b64 s[4:5], vcc
	s_cbranch_execz .LBB379_1662
.LBB379_1747:
	s_ashr_i32 s23, s22, 31
	s_lshl_b64 s[6:7], s[22:23], 2
	s_getpc_b64 s[8:9]
	s_add_u32 s8, s8, llvm.amdgcn.dynlds.offset.table@rel32@lo+4
	s_addc_u32 s9, s9, llvm.amdgcn.dynlds.offset.table@rel32@hi+12
	s_add_u32 s6, s6, s8
	s_addc_u32 s7, s7, s9
	s_load_dword s6, s[6:7], 0x0
	s_waitcnt lgkmcnt(0)
	v_lshl_add_u32 v5, v4, 2, s6
	ds_read_b32 v5, v5 offset:768
	s_waitcnt lgkmcnt(0)
	v_add_f32_e32 v0, v5, v0
	s_or_b64 exec, exec, s[4:5]
	s_and_saveexec_b64 s[4:5], vcc
	s_cbranch_execz .LBB379_1663
.LBB379_1748:
	s_ashr_i32 s23, s22, 31
	s_lshl_b64 s[6:7], s[22:23], 2
	s_getpc_b64 s[8:9]
	s_add_u32 s8, s8, llvm.amdgcn.dynlds.offset.table@rel32@lo+4
	s_addc_u32 s9, s9, llvm.amdgcn.dynlds.offset.table@rel32@hi+12
	s_add_u32 s6, s6, s8
	s_addc_u32 s7, s7, s9
	s_load_dword s6, s[6:7], 0x0
	s_waitcnt lgkmcnt(0)
	v_lshl_add_u32 v5, v4, 2, s6
	ds_read_b32 v5, v5 offset:832
	s_waitcnt lgkmcnt(0)
	v_add_f32_e32 v1, v5, v1
	s_or_b64 exec, exec, s[4:5]
	s_and_saveexec_b64 s[4:5], vcc
	s_cbranch_execz .LBB379_1664
.LBB379_1749:
	s_ashr_i32 s23, s22, 31
	s_lshl_b64 s[6:7], s[22:23], 2
	s_getpc_b64 s[8:9]
	s_add_u32 s8, s8, llvm.amdgcn.dynlds.offset.table@rel32@lo+4
	s_addc_u32 s9, s9, llvm.amdgcn.dynlds.offset.table@rel32@hi+12
	s_add_u32 s6, s6, s8
	s_addc_u32 s7, s7, s9
	s_load_dword s6, s[6:7], 0x0
	s_waitcnt lgkmcnt(0)
	v_lshl_add_u32 v5, v4, 2, s6
	ds_read_b32 v5, v5 offset:896
	s_waitcnt lgkmcnt(0)
	v_add_f32_e32 v2, v5, v2
	s_or_b64 exec, exec, s[4:5]
	s_and_saveexec_b64 s[4:5], vcc
	s_cbranch_execnz .LBB379_1665
	s_branch .LBB379_1666
.Lfunc_end379:
	.size	_ZN4vllm22paged_attention_kernelI14__hip_bfloat16hLi256ELi32ELi128ELNS_18Fp8KVCacheDataTypeE1ELb0ELi512EEEvPfS3_PT_PKS4_PKT0_SA_ifPKiSC_iPKfiiiSE_SE_iiiii, .Lfunc_end379-_ZN4vllm22paged_attention_kernelI14__hip_bfloat16hLi256ELi32ELi128ELNS_18Fp8KVCacheDataTypeE1ELb0ELi512EEEvPfS3_PT_PKS4_PKT0_SA_ifPKiSC_iPKfiiiSE_SE_iiiii
                                        ; -- End function
	.section	.AMDGPU.csdata,"",@progbits
; Function info:
; codeLenInByte = 60928
; NumSgprs: 58
; NumVgprs: 64
; NumAgprs: 64
; TotalNumVgprs: 128
; ScratchSize: 936
; MemoryBound: 0
	.section	.text._ZN4vllm25paged_attention_v2_kernelI14__hip_bfloat16hLi256ELi32ELi128ELNS_18Fp8KVCacheDataTypeE1ELb0ELi512EEEvPfS3_PT_PKS4_PKT0_SA_ifPKiSC_iPKfiiiSE_SE_iiiii,"axG",@progbits,_ZN4vllm25paged_attention_v2_kernelI14__hip_bfloat16hLi256ELi32ELi128ELNS_18Fp8KVCacheDataTypeE1ELb0ELi512EEEvPfS3_PT_PKS4_PKT0_SA_ifPKiSC_iPKfiiiSE_SE_iiiii,comdat
	.protected	_ZN4vllm25paged_attention_v2_kernelI14__hip_bfloat16hLi256ELi32ELi128ELNS_18Fp8KVCacheDataTypeE1ELb0ELi512EEEvPfS3_PT_PKS4_PKT0_SA_ifPKiSC_iPKfiiiSE_SE_iiiii ; -- Begin function _ZN4vllm25paged_attention_v2_kernelI14__hip_bfloat16hLi256ELi32ELi128ELNS_18Fp8KVCacheDataTypeE1ELb0ELi512EEEvPfS3_PT_PKS4_PKT0_SA_ifPKiSC_iPKfiiiSE_SE_iiiii
	.globl	_ZN4vllm25paged_attention_v2_kernelI14__hip_bfloat16hLi256ELi32ELi128ELNS_18Fp8KVCacheDataTypeE1ELb0ELi512EEEvPfS3_PT_PKS4_PKT0_SA_ifPKiSC_iPKfiiiSE_SE_iiiii
	.p2align	8
	.type	_ZN4vllm25paged_attention_v2_kernelI14__hip_bfloat16hLi256ELi32ELi128ELNS_18Fp8KVCacheDataTypeE1ELb0ELi512EEEvPfS3_PT_PKS4_PKT0_SA_ifPKiSC_iPKfiiiSE_SE_iiiii,@function
_ZN4vllm25paged_attention_v2_kernelI14__hip_bfloat16hLi256ELi32ELi128ELNS_18Fp8KVCacheDataTypeE1ELb0ELi512EEEvPfS3_PT_PKS4_PKT0_SA_ifPKiSC_iPKfiiiSE_SE_iiiii: ; @_ZN4vllm25paged_attention_v2_kernelI14__hip_bfloat16hLi256ELi32ELi128ELNS_18Fp8KVCacheDataTypeE1ELb0ELi512EEEvPfS3_PT_PKS4_PKT0_SA_ifPKiSC_iPKfiiiSE_SE_iiiii
; %bb.0:
	s_load_dwordx8 s[24:31], s[0:1], 0x0
	s_load_dwordx8 s[16:23], s[0:1], 0x20
	s_load_dwordx2 s[6:7], s[0:1], 0x40
	s_load_dwordx2 s[10:11], s[0:1], 0x50
	s_load_dword s5, s[0:1], 0x48
	s_load_dwordx8 s[36:43], s[0:1], 0x58
	s_add_u32 s8, s0, 0x90
	s_addc_u32 s9, s1, 0
	s_mov_b32 s12, s2
	s_mov_b32 s13, s3
	s_mov_b32 s14, s4
	s_mov_b32 s15, 12
	v_mov_b32_e32 v31, v0
	s_waitcnt lgkmcnt(0)
	v_mov_b32_e32 v0, s24
	v_mov_b32_e32 v1, s25
	;; [unrolled: 1-line block ×28, first 2 shown]
	s_mov_b32 s32, 0
	s_getpc_b64 s[0:1]
	s_add_u32 s0, s0, _ZN4vllm22paged_attention_kernelI14__hip_bfloat16hLi256ELi32ELi128ELNS_18Fp8KVCacheDataTypeE1ELb0ELi512EEEvPfS3_PT_PKS4_PKT0_SA_ifPKiSC_iPKfiiiSE_SE_iiiii@rel32@lo+4
	s_addc_u32 s1, s1, _ZN4vllm22paged_attention_kernelI14__hip_bfloat16hLi256ELi32ELi128ELNS_18Fp8KVCacheDataTypeE1ELb0ELi512EEEvPfS3_PT_PKS4_PKT0_SA_ifPKiSC_iPKfiiiSE_SE_iiiii@rel32@hi+12
	s_swappc_b64 s[30:31], s[0:1]
	s_endpgm
	.section	.rodata,"a",@progbits
	.p2align	6, 0x0
	.amdhsa_kernel _ZN4vllm25paged_attention_v2_kernelI14__hip_bfloat16hLi256ELi32ELi128ELNS_18Fp8KVCacheDataTypeE1ELb0ELi512EEEvPfS3_PT_PKS4_PKT0_SA_ifPKiSC_iPKfiiiSE_SE_iiiii
		.amdhsa_group_segment_fixed_size 528
		.amdhsa_private_segment_fixed_size 936
		.amdhsa_kernarg_size 400
		.amdhsa_user_sgpr_count 2
		.amdhsa_user_sgpr_dispatch_ptr 0
		.amdhsa_user_sgpr_queue_ptr 0
		.amdhsa_user_sgpr_kernarg_segment_ptr 1
		.amdhsa_user_sgpr_dispatch_id 0
		.amdhsa_user_sgpr_kernarg_preload_length 0
		.amdhsa_user_sgpr_kernarg_preload_offset 0
		.amdhsa_user_sgpr_private_segment_size 0
		.amdhsa_uses_dynamic_stack 0
		.amdhsa_enable_private_segment 1
		.amdhsa_system_sgpr_workgroup_id_x 1
		.amdhsa_system_sgpr_workgroup_id_y 1
		.amdhsa_system_sgpr_workgroup_id_z 1
		.amdhsa_system_sgpr_workgroup_info 0
		.amdhsa_system_vgpr_workitem_id 0
		.amdhsa_next_free_vgpr 128
		.amdhsa_next_free_sgpr 52
		.amdhsa_accum_offset 64
		.amdhsa_reserve_vcc 1
		.amdhsa_float_round_mode_32 0
		.amdhsa_float_round_mode_16_64 0
		.amdhsa_float_denorm_mode_32 3
		.amdhsa_float_denorm_mode_16_64 3
		.amdhsa_dx10_clamp 1
		.amdhsa_ieee_mode 1
		.amdhsa_fp16_overflow 0
		.amdhsa_tg_split 0
		.amdhsa_exception_fp_ieee_invalid_op 0
		.amdhsa_exception_fp_denorm_src 0
		.amdhsa_exception_fp_ieee_div_zero 0
		.amdhsa_exception_fp_ieee_overflow 0
		.amdhsa_exception_fp_ieee_underflow 0
		.amdhsa_exception_fp_ieee_inexact 0
		.amdhsa_exception_int_div_zero 0
	.end_amdhsa_kernel
	.section	.text._ZN4vllm25paged_attention_v2_kernelI14__hip_bfloat16hLi256ELi32ELi128ELNS_18Fp8KVCacheDataTypeE1ELb0ELi512EEEvPfS3_PT_PKS4_PKT0_SA_ifPKiSC_iPKfiiiSE_SE_iiiii,"axG",@progbits,_ZN4vllm25paged_attention_v2_kernelI14__hip_bfloat16hLi256ELi32ELi128ELNS_18Fp8KVCacheDataTypeE1ELb0ELi512EEEvPfS3_PT_PKS4_PKT0_SA_ifPKiSC_iPKfiiiSE_SE_iiiii,comdat
.Lfunc_end380:
	.size	_ZN4vllm25paged_attention_v2_kernelI14__hip_bfloat16hLi256ELi32ELi128ELNS_18Fp8KVCacheDataTypeE1ELb0ELi512EEEvPfS3_PT_PKS4_PKT0_SA_ifPKiSC_iPKfiiiSE_SE_iiiii, .Lfunc_end380-_ZN4vllm25paged_attention_v2_kernelI14__hip_bfloat16hLi256ELi32ELi128ELNS_18Fp8KVCacheDataTypeE1ELb0ELi512EEEvPfS3_PT_PKS4_PKT0_SA_ifPKiSC_iPKfiiiSE_SE_iiiii
                                        ; -- End function
	.section	.AMDGPU.csdata,"",@progbits
; Kernel info:
; codeLenInByte = 228
; NumSgprs: 58
; NumVgprs: 64
; NumAgprs: 64
; TotalNumVgprs: 128
; ScratchSize: 936
; MemoryBound: 0
; FloatMode: 240
; IeeeMode: 1
; LDSByteSize: 528 bytes/workgroup (compile time only)
; SGPRBlocks: 7
; VGPRBlocks: 15
; NumSGPRsForWavesPerEU: 58
; NumVGPRsForWavesPerEU: 128
; AccumOffset: 64
; Occupancy: 4
; WaveLimiterHint : 1
; COMPUTE_PGM_RSRC2:SCRATCH_EN: 1
; COMPUTE_PGM_RSRC2:USER_SGPR: 2
; COMPUTE_PGM_RSRC2:TRAP_HANDLER: 0
; COMPUTE_PGM_RSRC2:TGID_X_EN: 1
; COMPUTE_PGM_RSRC2:TGID_Y_EN: 1
; COMPUTE_PGM_RSRC2:TGID_Z_EN: 1
; COMPUTE_PGM_RSRC2:TIDIG_COMP_CNT: 0
; COMPUTE_PGM_RSRC3_GFX90A:ACCUM_OFFSET: 15
; COMPUTE_PGM_RSRC3_GFX90A:TG_SPLIT: 0
	.text
	.p2alignl 6, 3212836864
	.fill 256, 4, 3212836864
	.type	__hip_cuid_b7c7e157e07e327,@object ; @__hip_cuid_b7c7e157e07e327
	.section	.bss,"aw",@nobits
	.globl	__hip_cuid_b7c7e157e07e327
__hip_cuid_b7c7e157e07e327:
	.byte	0                               ; 0x0
	.size	__hip_cuid_b7c7e157e07e327, 1

	.type	llvm.amdgcn.dynlds.offset.table,@object ; @llvm.amdgcn.dynlds.offset.table
	.section	.data.rel.ro,"aw",@progbits
	.p2align	4, 0x0
llvm.amdgcn.dynlds.offset.table:
	.long	528
	.long	528
	.long	240
	.long	240
	.long	256
	.long	256
	.long	272
	.long	272
	.long	400
	.long	400
	.long	528
	.long	528
	.long	528
	.long	528
	.long	240
	.long	240
	.long	256
	.long	256
	.long	272
	.long	272
	.long	400
	.long	400
	.long	400
	.long	400
	.long	528
	.long	528
	.long	528
	.long	528
	.long	208
	.long	208
	.size	llvm.amdgcn.dynlds.offset.table, 120

	.ident	"AMD clang version 19.0.0git (https://github.com/RadeonOpenCompute/llvm-project roc-6.4.0 25133 c7fe45cf4b819c5991fe208aaa96edf142730f1d)"
	.section	".note.GNU-stack","",@progbits
	.addrsig
	.addrsig_sym __hip_cuid_b7c7e157e07e327
	.amdgpu_metadata
---
amdhsa.kernels:
  - .agpr_count:     0
    .args:
      - .actual_access:  write_only
        .address_space:  global
        .offset:         0
        .size:           8
        .value_kind:     global_buffer
      - .actual_access:  write_only
        .address_space:  global
        .offset:         8
        .size:           8
        .value_kind:     global_buffer
      - .actual_access:  write_only
        .address_space:  global
        .offset:         16
        .size:           8
        .value_kind:     global_buffer
      - .actual_access:  read_only
        .address_space:  global
        .offset:         24
        .size:           8
        .value_kind:     global_buffer
      - .actual_access:  read_only
        .address_space:  global
        .offset:         32
        .size:           8
        .value_kind:     global_buffer
      - .actual_access:  read_only
        .address_space:  global
        .offset:         40
        .size:           8
        .value_kind:     global_buffer
      - .offset:         48
        .size:           4
        .value_kind:     by_value
      - .offset:         52
        .size:           4
        .value_kind:     by_value
      - .actual_access:  read_only
        .address_space:  global
        .offset:         56
        .size:           8
        .value_kind:     global_buffer
      - .actual_access:  read_only
        .address_space:  global
        .offset:         64
        .size:           8
        .value_kind:     global_buffer
      - .offset:         72
        .size:           4
        .value_kind:     by_value
      - .actual_access:  read_only
        .address_space:  global
        .offset:         80
        .size:           8
        .value_kind:     global_buffer
      - .offset:         88
        .size:           4
        .value_kind:     by_value
      - .offset:         92
        .size:           4
        .value_kind:     by_value
      - .offset:         96
        .size:           4
        .value_kind:     by_value
      - .address_space:  global
        .offset:         104
        .size:           8
        .value_kind:     global_buffer
      - .address_space:  global
        .offset:         112
        .size:           8
        .value_kind:     global_buffer
      - .offset:         120
        .size:           4
        .value_kind:     by_value
      - .offset:         124
        .size:           4
        .value_kind:     by_value
      - .offset:         128
        .size:           4
        .value_kind:     by_value
      - .offset:         132
        .size:           4
        .value_kind:     by_value
      - .offset:         136
        .size:           4
        .value_kind:     by_value
      - .offset:         144
        .size:           4
        .value_kind:     hidden_block_count_x
      - .offset:         148
        .size:           4
        .value_kind:     hidden_block_count_y
      - .offset:         152
        .size:           4
        .value_kind:     hidden_block_count_z
      - .offset:         156
        .size:           2
        .value_kind:     hidden_group_size_x
      - .offset:         158
        .size:           2
        .value_kind:     hidden_group_size_y
      - .offset:         160
        .size:           2
        .value_kind:     hidden_group_size_z
      - .offset:         162
        .size:           2
        .value_kind:     hidden_remainder_x
      - .offset:         164
        .size:           2
        .value_kind:     hidden_remainder_y
      - .offset:         166
        .size:           2
        .value_kind:     hidden_remainder_z
      - .offset:         184
        .size:           8
        .value_kind:     hidden_global_offset_x
      - .offset:         192
        .size:           8
        .value_kind:     hidden_global_offset_y
      - .offset:         200
        .size:           8
        .value_kind:     hidden_global_offset_z
      - .offset:         208
        .size:           2
        .value_kind:     hidden_grid_dims
      - .offset:         264
        .size:           4
        .value_kind:     hidden_dynamic_lds_size
    .group_segment_fixed_size: 144
    .kernarg_segment_align: 8
    .kernarg_segment_size: 400
    .language:       OpenCL C
    .language_version:
      - 2
      - 0
    .max_flat_workgroup_size: 1024
    .name:           _ZN4vllm25paged_attention_v2_kernelIffLi32ELi8ELi128ELNS_18Fp8KVCacheDataTypeE0ELb1ELi512EEEvPfS2_PT_PKS3_PKT0_S9_ifPKiSB_iPKfiiiSD_SD_iiiii
    .private_segment_fixed_size: 0
    .sgpr_count:     58
    .sgpr_spill_count: 0
    .symbol:         _ZN4vllm25paged_attention_v2_kernelIffLi32ELi8ELi128ELNS_18Fp8KVCacheDataTypeE0ELb1ELi512EEEvPfS2_PT_PKS3_PKT0_S9_ifPKiSB_iPKfiiiSD_SD_iiiii.kd
    .uniform_work_group_size: 1
    .uses_dynamic_stack: false
    .vgpr_count:     34
    .vgpr_spill_count: 0
    .wavefront_size: 64
  - .agpr_count:     0
    .args:
      - .actual_access:  write_only
        .address_space:  global
        .offset:         0
        .size:           8
        .value_kind:     global_buffer
      - .actual_access:  read_only
        .address_space:  global
        .offset:         8
        .size:           8
        .value_kind:     global_buffer
      - .actual_access:  read_only
        .address_space:  global
        .offset:         16
        .size:           8
        .value_kind:     global_buffer
      - .actual_access:  read_only
        .address_space:  global
        .offset:         24
        .size:           8
        .value_kind:     global_buffer
      - .actual_access:  read_only
        .address_space:  global
        .offset:         32
        .size:           8
        .value_kind:     global_buffer
      - .offset:         40
        .size:           4
        .value_kind:     by_value
      - .offset:         48
        .size:           4
        .value_kind:     hidden_block_count_x
      - .offset:         52
        .size:           4
        .value_kind:     hidden_block_count_y
      - .offset:         56
        .size:           4
        .value_kind:     hidden_block_count_z
      - .offset:         60
        .size:           2
        .value_kind:     hidden_group_size_x
      - .offset:         62
        .size:           2
        .value_kind:     hidden_group_size_y
      - .offset:         64
        .size:           2
        .value_kind:     hidden_group_size_z
      - .offset:         66
        .size:           2
        .value_kind:     hidden_remainder_x
      - .offset:         68
        .size:           2
        .value_kind:     hidden_remainder_y
      - .offset:         70
        .size:           2
        .value_kind:     hidden_remainder_z
      - .offset:         88
        .size:           8
        .value_kind:     hidden_global_offset_x
      - .offset:         96
        .size:           8
        .value_kind:     hidden_global_offset_y
      - .offset:         104
        .size:           8
        .value_kind:     hidden_global_offset_z
      - .offset:         112
        .size:           2
        .value_kind:     hidden_grid_dims
      - .offset:         168
        .size:           4
        .value_kind:     hidden_dynamic_lds_size
    .group_segment_fixed_size: 16
    .kernarg_segment_align: 8
    .kernarg_segment_size: 304
    .language:       OpenCL C
    .language_version:
      - 2
      - 0
    .max_flat_workgroup_size: 1024
    .name:           _ZN4vllm32paged_attention_v2_reduce_kernelIfLi32ELi128ELi512EEEvPT_PKfS4_PKS1_PKii
    .private_segment_fixed_size: 0
    .sgpr_count:     38
    .sgpr_spill_count: 0
    .symbol:         _ZN4vllm32paged_attention_v2_reduce_kernelIfLi32ELi128ELi512EEEvPT_PKfS4_PKS1_PKii.kd
    .uniform_work_group_size: 1
    .uses_dynamic_stack: false
    .vgpr_count:     23
    .vgpr_spill_count: 0
    .wavefront_size: 64
  - .agpr_count:     0
    .args:
      - .actual_access:  write_only
        .address_space:  global
        .offset:         0
        .size:           8
        .value_kind:     global_buffer
      - .actual_access:  write_only
        .address_space:  global
        .offset:         8
        .size:           8
        .value_kind:     global_buffer
      - .actual_access:  write_only
        .address_space:  global
        .offset:         16
        .size:           8
        .value_kind:     global_buffer
      - .actual_access:  read_only
        .address_space:  global
        .offset:         24
        .size:           8
        .value_kind:     global_buffer
      - .actual_access:  read_only
        .address_space:  global
        .offset:         32
        .size:           8
        .value_kind:     global_buffer
      - .actual_access:  read_only
        .address_space:  global
        .offset:         40
        .size:           8
        .value_kind:     global_buffer
      - .offset:         48
        .size:           4
        .value_kind:     by_value
      - .offset:         52
        .size:           4
        .value_kind:     by_value
      - .actual_access:  read_only
        .address_space:  global
        .offset:         56
        .size:           8
        .value_kind:     global_buffer
      - .actual_access:  read_only
        .address_space:  global
        .offset:         64
        .size:           8
        .value_kind:     global_buffer
      - .offset:         72
        .size:           4
        .value_kind:     by_value
      - .actual_access:  read_only
        .address_space:  global
        .offset:         80
        .size:           8
        .value_kind:     global_buffer
      - .offset:         88
        .size:           4
        .value_kind:     by_value
      - .offset:         92
        .size:           4
        .value_kind:     by_value
      - .offset:         96
        .size:           4
        .value_kind:     by_value
      - .address_space:  global
        .offset:         104
        .size:           8
        .value_kind:     global_buffer
      - .address_space:  global
        .offset:         112
        .size:           8
        .value_kind:     global_buffer
      - .offset:         120
        .size:           4
        .value_kind:     by_value
      - .offset:         124
        .size:           4
        .value_kind:     by_value
      - .offset:         128
        .size:           4
        .value_kind:     by_value
      - .offset:         132
        .size:           4
        .value_kind:     by_value
      - .offset:         136
        .size:           4
        .value_kind:     by_value
      - .offset:         144
        .size:           4
        .value_kind:     hidden_block_count_x
      - .offset:         148
        .size:           4
        .value_kind:     hidden_block_count_y
      - .offset:         152
        .size:           4
        .value_kind:     hidden_block_count_z
      - .offset:         156
        .size:           2
        .value_kind:     hidden_group_size_x
      - .offset:         158
        .size:           2
        .value_kind:     hidden_group_size_y
      - .offset:         160
        .size:           2
        .value_kind:     hidden_group_size_z
      - .offset:         162
        .size:           2
        .value_kind:     hidden_remainder_x
      - .offset:         164
        .size:           2
        .value_kind:     hidden_remainder_y
      - .offset:         166
        .size:           2
        .value_kind:     hidden_remainder_z
      - .offset:         184
        .size:           8
        .value_kind:     hidden_global_offset_x
      - .offset:         192
        .size:           8
        .value_kind:     hidden_global_offset_y
      - .offset:         200
        .size:           8
        .value_kind:     hidden_global_offset_z
      - .offset:         208
        .size:           2
        .value_kind:     hidden_grid_dims
      - .offset:         264
        .size:           4
        .value_kind:     hidden_dynamic_lds_size
    .group_segment_fixed_size: 272
    .kernarg_segment_align: 8
    .kernarg_segment_size: 400
    .language:       OpenCL C
    .language_version:
      - 2
      - 0
    .max_flat_workgroup_size: 1024
    .name:           _ZN4vllm25paged_attention_v2_kernelIffLi64ELi8ELi128ELNS_18Fp8KVCacheDataTypeE0ELb1ELi512EEEvPfS2_PT_PKS3_PKT0_S9_ifPKiSB_iPKfiiiSD_SD_iiiii
    .private_segment_fixed_size: 0
    .sgpr_count:     60
    .sgpr_spill_count: 0
    .symbol:         _ZN4vllm25paged_attention_v2_kernelIffLi64ELi8ELi128ELNS_18Fp8KVCacheDataTypeE0ELb1ELi512EEEvPfS2_PT_PKS3_PKT0_S9_ifPKiSB_iPKfiiiSD_SD_iiiii.kd
    .uniform_work_group_size: 1
    .uses_dynamic_stack: false
    .vgpr_count:     43
    .vgpr_spill_count: 0
    .wavefront_size: 64
  - .agpr_count:     0
    .args:
      - .actual_access:  write_only
        .address_space:  global
        .offset:         0
        .size:           8
        .value_kind:     global_buffer
      - .actual_access:  read_only
        .address_space:  global
        .offset:         8
        .size:           8
        .value_kind:     global_buffer
      - .actual_access:  read_only
        .address_space:  global
        .offset:         16
        .size:           8
        .value_kind:     global_buffer
      - .actual_access:  read_only
        .address_space:  global
        .offset:         24
        .size:           8
        .value_kind:     global_buffer
      - .actual_access:  read_only
        .address_space:  global
        .offset:         32
        .size:           8
        .value_kind:     global_buffer
      - .offset:         40
        .size:           4
        .value_kind:     by_value
      - .offset:         48
        .size:           4
        .value_kind:     hidden_block_count_x
      - .offset:         52
        .size:           4
        .value_kind:     hidden_block_count_y
      - .offset:         56
        .size:           4
        .value_kind:     hidden_block_count_z
      - .offset:         60
        .size:           2
        .value_kind:     hidden_group_size_x
      - .offset:         62
        .size:           2
        .value_kind:     hidden_group_size_y
      - .offset:         64
        .size:           2
        .value_kind:     hidden_group_size_z
      - .offset:         66
        .size:           2
        .value_kind:     hidden_remainder_x
      - .offset:         68
        .size:           2
        .value_kind:     hidden_remainder_y
      - .offset:         70
        .size:           2
        .value_kind:     hidden_remainder_z
      - .offset:         88
        .size:           8
        .value_kind:     hidden_global_offset_x
      - .offset:         96
        .size:           8
        .value_kind:     hidden_global_offset_y
      - .offset:         104
        .size:           8
        .value_kind:     hidden_global_offset_z
      - .offset:         112
        .size:           2
        .value_kind:     hidden_grid_dims
      - .offset:         168
        .size:           4
        .value_kind:     hidden_dynamic_lds_size
    .group_segment_fixed_size: 16
    .kernarg_segment_align: 8
    .kernarg_segment_size: 304
    .language:       OpenCL C
    .language_version:
      - 2
      - 0
    .max_flat_workgroup_size: 1024
    .name:           _ZN4vllm32paged_attention_v2_reduce_kernelIfLi64ELi128ELi512EEEvPT_PKfS4_PKS1_PKii
    .private_segment_fixed_size: 0
    .sgpr_count:     38
    .sgpr_spill_count: 0
    .symbol:         _ZN4vllm32paged_attention_v2_reduce_kernelIfLi64ELi128ELi512EEEvPT_PKfS4_PKS1_PKii.kd
    .uniform_work_group_size: 1
    .uses_dynamic_stack: false
    .vgpr_count:     23
    .vgpr_spill_count: 0
    .wavefront_size: 64
  - .agpr_count:     0
    .args:
      - .actual_access:  write_only
        .address_space:  global
        .offset:         0
        .size:           8
        .value_kind:     global_buffer
      - .actual_access:  write_only
        .address_space:  global
        .offset:         8
        .size:           8
        .value_kind:     global_buffer
      - .actual_access:  write_only
        .address_space:  global
        .offset:         16
        .size:           8
        .value_kind:     global_buffer
      - .actual_access:  read_only
        .address_space:  global
        .offset:         24
        .size:           8
        .value_kind:     global_buffer
      - .actual_access:  read_only
        .address_space:  global
        .offset:         32
        .size:           8
        .value_kind:     global_buffer
      - .actual_access:  read_only
        .address_space:  global
        .offset:         40
        .size:           8
        .value_kind:     global_buffer
      - .offset:         48
        .size:           4
        .value_kind:     by_value
      - .offset:         52
        .size:           4
        .value_kind:     by_value
      - .actual_access:  read_only
        .address_space:  global
        .offset:         56
        .size:           8
        .value_kind:     global_buffer
      - .actual_access:  read_only
        .address_space:  global
        .offset:         64
        .size:           8
        .value_kind:     global_buffer
      - .offset:         72
        .size:           4
        .value_kind:     by_value
      - .actual_access:  read_only
        .address_space:  global
        .offset:         80
        .size:           8
        .value_kind:     global_buffer
      - .offset:         88
        .size:           4
        .value_kind:     by_value
      - .offset:         92
        .size:           4
        .value_kind:     by_value
      - .offset:         96
        .size:           4
        .value_kind:     by_value
      - .address_space:  global
        .offset:         104
        .size:           8
        .value_kind:     global_buffer
      - .address_space:  global
        .offset:         112
        .size:           8
        .value_kind:     global_buffer
      - .offset:         120
        .size:           4
        .value_kind:     by_value
      - .offset:         124
        .size:           4
        .value_kind:     by_value
      - .offset:         128
        .size:           4
        .value_kind:     by_value
      - .offset:         132
        .size:           4
        .value_kind:     by_value
      - .offset:         136
        .size:           4
        .value_kind:     by_value
      - .offset:         144
        .size:           4
        .value_kind:     hidden_block_count_x
      - .offset:         148
        .size:           4
        .value_kind:     hidden_block_count_y
      - .offset:         152
        .size:           4
        .value_kind:     hidden_block_count_z
      - .offset:         156
        .size:           2
        .value_kind:     hidden_group_size_x
      - .offset:         158
        .size:           2
        .value_kind:     hidden_group_size_y
      - .offset:         160
        .size:           2
        .value_kind:     hidden_group_size_z
      - .offset:         162
        .size:           2
        .value_kind:     hidden_remainder_x
      - .offset:         164
        .size:           2
        .value_kind:     hidden_remainder_y
      - .offset:         166
        .size:           2
        .value_kind:     hidden_remainder_z
      - .offset:         184
        .size:           8
        .value_kind:     hidden_global_offset_x
      - .offset:         192
        .size:           8
        .value_kind:     hidden_global_offset_y
      - .offset:         200
        .size:           8
        .value_kind:     hidden_global_offset_z
      - .offset:         208
        .size:           2
        .value_kind:     hidden_grid_dims
      - .offset:         264
        .size:           4
        .value_kind:     hidden_dynamic_lds_size
    .group_segment_fixed_size: 336
    .kernarg_segment_align: 8
    .kernarg_segment_size: 400
    .language:       OpenCL C
    .language_version:
      - 2
      - 0
    .max_flat_workgroup_size: 1024
    .name:           _ZN4vllm25paged_attention_v2_kernelIffLi80ELi8ELi128ELNS_18Fp8KVCacheDataTypeE0ELb1ELi512EEEvPfS2_PT_PKS3_PKT0_S9_ifPKiSB_iPKfiiiSD_SD_iiiii
    .private_segment_fixed_size: 0
    .sgpr_count:     58
    .sgpr_spill_count: 0
    .symbol:         _ZN4vllm25paged_attention_v2_kernelIffLi80ELi8ELi128ELNS_18Fp8KVCacheDataTypeE0ELb1ELi512EEEvPfS2_PT_PKS3_PKT0_S9_ifPKiSB_iPKfiiiSD_SD_iiiii.kd
    .uniform_work_group_size: 1
    .uses_dynamic_stack: false
    .vgpr_count:     47
    .vgpr_spill_count: 0
    .wavefront_size: 64
  - .agpr_count:     0
    .args:
      - .actual_access:  write_only
        .address_space:  global
        .offset:         0
        .size:           8
        .value_kind:     global_buffer
      - .actual_access:  read_only
        .address_space:  global
        .offset:         8
        .size:           8
        .value_kind:     global_buffer
      - .actual_access:  read_only
        .address_space:  global
        .offset:         16
        .size:           8
        .value_kind:     global_buffer
      - .actual_access:  read_only
        .address_space:  global
        .offset:         24
        .size:           8
        .value_kind:     global_buffer
      - .actual_access:  read_only
        .address_space:  global
        .offset:         32
        .size:           8
        .value_kind:     global_buffer
      - .offset:         40
        .size:           4
        .value_kind:     by_value
      - .offset:         48
        .size:           4
        .value_kind:     hidden_block_count_x
      - .offset:         52
        .size:           4
        .value_kind:     hidden_block_count_y
      - .offset:         56
        .size:           4
        .value_kind:     hidden_block_count_z
      - .offset:         60
        .size:           2
        .value_kind:     hidden_group_size_x
      - .offset:         62
        .size:           2
        .value_kind:     hidden_group_size_y
      - .offset:         64
        .size:           2
        .value_kind:     hidden_group_size_z
      - .offset:         66
        .size:           2
        .value_kind:     hidden_remainder_x
      - .offset:         68
        .size:           2
        .value_kind:     hidden_remainder_y
      - .offset:         70
        .size:           2
        .value_kind:     hidden_remainder_z
      - .offset:         88
        .size:           8
        .value_kind:     hidden_global_offset_x
      - .offset:         96
        .size:           8
        .value_kind:     hidden_global_offset_y
      - .offset:         104
        .size:           8
        .value_kind:     hidden_global_offset_z
      - .offset:         112
        .size:           2
        .value_kind:     hidden_grid_dims
      - .offset:         168
        .size:           4
        .value_kind:     hidden_dynamic_lds_size
    .group_segment_fixed_size: 16
    .kernarg_segment_align: 8
    .kernarg_segment_size: 304
    .language:       OpenCL C
    .language_version:
      - 2
      - 0
    .max_flat_workgroup_size: 1024
    .name:           _ZN4vllm32paged_attention_v2_reduce_kernelIfLi80ELi128ELi512EEEvPT_PKfS4_PKS1_PKii
    .private_segment_fixed_size: 0
    .sgpr_count:     38
    .sgpr_spill_count: 0
    .symbol:         _ZN4vllm32paged_attention_v2_reduce_kernelIfLi80ELi128ELi512EEEvPT_PKfS4_PKS1_PKii.kd
    .uniform_work_group_size: 1
    .uses_dynamic_stack: false
    .vgpr_count:     23
    .vgpr_spill_count: 0
    .wavefront_size: 64
  - .agpr_count:     0
    .args:
      - .actual_access:  write_only
        .address_space:  global
        .offset:         0
        .size:           8
        .value_kind:     global_buffer
      - .actual_access:  write_only
        .address_space:  global
        .offset:         8
        .size:           8
        .value_kind:     global_buffer
      - .actual_access:  write_only
        .address_space:  global
        .offset:         16
        .size:           8
        .value_kind:     global_buffer
      - .actual_access:  read_only
        .address_space:  global
        .offset:         24
        .size:           8
        .value_kind:     global_buffer
      - .actual_access:  read_only
        .address_space:  global
        .offset:         32
        .size:           8
        .value_kind:     global_buffer
      - .actual_access:  read_only
        .address_space:  global
        .offset:         40
        .size:           8
        .value_kind:     global_buffer
      - .offset:         48
        .size:           4
        .value_kind:     by_value
      - .offset:         52
        .size:           4
        .value_kind:     by_value
      - .actual_access:  read_only
        .address_space:  global
        .offset:         56
        .size:           8
        .value_kind:     global_buffer
      - .actual_access:  read_only
        .address_space:  global
        .offset:         64
        .size:           8
        .value_kind:     global_buffer
      - .offset:         72
        .size:           4
        .value_kind:     by_value
      - .actual_access:  read_only
        .address_space:  global
        .offset:         80
        .size:           8
        .value_kind:     global_buffer
      - .offset:         88
        .size:           4
        .value_kind:     by_value
      - .offset:         92
        .size:           4
        .value_kind:     by_value
      - .offset:         96
        .size:           4
        .value_kind:     by_value
      - .address_space:  global
        .offset:         104
        .size:           8
        .value_kind:     global_buffer
      - .address_space:  global
        .offset:         112
        .size:           8
        .value_kind:     global_buffer
      - .offset:         120
        .size:           4
        .value_kind:     by_value
      - .offset:         124
        .size:           4
        .value_kind:     by_value
      - .offset:         128
        .size:           4
        .value_kind:     by_value
      - .offset:         132
        .size:           4
        .value_kind:     by_value
      - .offset:         136
        .size:           4
        .value_kind:     by_value
      - .offset:         144
        .size:           4
        .value_kind:     hidden_block_count_x
      - .offset:         148
        .size:           4
        .value_kind:     hidden_block_count_y
      - .offset:         152
        .size:           4
        .value_kind:     hidden_block_count_z
      - .offset:         156
        .size:           2
        .value_kind:     hidden_group_size_x
      - .offset:         158
        .size:           2
        .value_kind:     hidden_group_size_y
      - .offset:         160
        .size:           2
        .value_kind:     hidden_group_size_z
      - .offset:         162
        .size:           2
        .value_kind:     hidden_remainder_x
      - .offset:         164
        .size:           2
        .value_kind:     hidden_remainder_y
      - .offset:         166
        .size:           2
        .value_kind:     hidden_remainder_z
      - .offset:         184
        .size:           8
        .value_kind:     hidden_global_offset_x
      - .offset:         192
        .size:           8
        .value_kind:     hidden_global_offset_y
      - .offset:         200
        .size:           8
        .value_kind:     hidden_global_offset_z
      - .offset:         208
        .size:           2
        .value_kind:     hidden_grid_dims
      - .offset:         264
        .size:           4
        .value_kind:     hidden_dynamic_lds_size
    .group_segment_fixed_size: 400
    .kernarg_segment_align: 8
    .kernarg_segment_size: 400
    .language:       OpenCL C
    .language_version:
      - 2
      - 0
    .max_flat_workgroup_size: 1024
    .name:           _ZN4vllm25paged_attention_v2_kernelIffLi96ELi8ELi128ELNS_18Fp8KVCacheDataTypeE0ELb1ELi512EEEvPfS2_PT_PKS3_PKT0_S9_ifPKiSB_iPKfiiiSD_SD_iiiii
    .private_segment_fixed_size: 0
    .sgpr_count:     58
    .sgpr_spill_count: 0
    .symbol:         _ZN4vllm25paged_attention_v2_kernelIffLi96ELi8ELi128ELNS_18Fp8KVCacheDataTypeE0ELb1ELi512EEEvPfS2_PT_PKS3_PKT0_S9_ifPKiSB_iPKfiiiSD_SD_iiiii.kd
    .uniform_work_group_size: 1
    .uses_dynamic_stack: false
    .vgpr_count:     51
    .vgpr_spill_count: 0
    .wavefront_size: 64
  - .agpr_count:     0
    .args:
      - .actual_access:  write_only
        .address_space:  global
        .offset:         0
        .size:           8
        .value_kind:     global_buffer
      - .actual_access:  read_only
        .address_space:  global
        .offset:         8
        .size:           8
        .value_kind:     global_buffer
      - .actual_access:  read_only
        .address_space:  global
        .offset:         16
        .size:           8
        .value_kind:     global_buffer
      - .actual_access:  read_only
        .address_space:  global
        .offset:         24
        .size:           8
        .value_kind:     global_buffer
      - .actual_access:  read_only
        .address_space:  global
        .offset:         32
        .size:           8
        .value_kind:     global_buffer
      - .offset:         40
        .size:           4
        .value_kind:     by_value
      - .offset:         48
        .size:           4
        .value_kind:     hidden_block_count_x
      - .offset:         52
        .size:           4
        .value_kind:     hidden_block_count_y
      - .offset:         56
        .size:           4
        .value_kind:     hidden_block_count_z
      - .offset:         60
        .size:           2
        .value_kind:     hidden_group_size_x
      - .offset:         62
        .size:           2
        .value_kind:     hidden_group_size_y
      - .offset:         64
        .size:           2
        .value_kind:     hidden_group_size_z
      - .offset:         66
        .size:           2
        .value_kind:     hidden_remainder_x
      - .offset:         68
        .size:           2
        .value_kind:     hidden_remainder_y
      - .offset:         70
        .size:           2
        .value_kind:     hidden_remainder_z
      - .offset:         88
        .size:           8
        .value_kind:     hidden_global_offset_x
      - .offset:         96
        .size:           8
        .value_kind:     hidden_global_offset_y
      - .offset:         104
        .size:           8
        .value_kind:     hidden_global_offset_z
      - .offset:         112
        .size:           2
        .value_kind:     hidden_grid_dims
      - .offset:         168
        .size:           4
        .value_kind:     hidden_dynamic_lds_size
    .group_segment_fixed_size: 16
    .kernarg_segment_align: 8
    .kernarg_segment_size: 304
    .language:       OpenCL C
    .language_version:
      - 2
      - 0
    .max_flat_workgroup_size: 1024
    .name:           _ZN4vllm32paged_attention_v2_reduce_kernelIfLi96ELi128ELi512EEEvPT_PKfS4_PKS1_PKii
    .private_segment_fixed_size: 0
    .sgpr_count:     38
    .sgpr_spill_count: 0
    .symbol:         _ZN4vllm32paged_attention_v2_reduce_kernelIfLi96ELi128ELi512EEEvPT_PKfS4_PKS1_PKii.kd
    .uniform_work_group_size: 1
    .uses_dynamic_stack: false
    .vgpr_count:     23
    .vgpr_spill_count: 0
    .wavefront_size: 64
  - .agpr_count:     0
    .args:
      - .actual_access:  write_only
        .address_space:  global
        .offset:         0
        .size:           8
        .value_kind:     global_buffer
      - .actual_access:  write_only
        .address_space:  global
        .offset:         8
        .size:           8
        .value_kind:     global_buffer
      - .actual_access:  write_only
        .address_space:  global
        .offset:         16
        .size:           8
        .value_kind:     global_buffer
      - .actual_access:  read_only
        .address_space:  global
        .offset:         24
        .size:           8
        .value_kind:     global_buffer
      - .actual_access:  read_only
        .address_space:  global
        .offset:         32
        .size:           8
        .value_kind:     global_buffer
      - .actual_access:  read_only
        .address_space:  global
        .offset:         40
        .size:           8
        .value_kind:     global_buffer
      - .offset:         48
        .size:           4
        .value_kind:     by_value
      - .offset:         52
        .size:           4
        .value_kind:     by_value
      - .actual_access:  read_only
        .address_space:  global
        .offset:         56
        .size:           8
        .value_kind:     global_buffer
      - .actual_access:  read_only
        .address_space:  global
        .offset:         64
        .size:           8
        .value_kind:     global_buffer
      - .offset:         72
        .size:           4
        .value_kind:     by_value
      - .actual_access:  read_only
        .address_space:  global
        .offset:         80
        .size:           8
        .value_kind:     global_buffer
      - .offset:         88
        .size:           4
        .value_kind:     by_value
      - .offset:         92
        .size:           4
        .value_kind:     by_value
      - .offset:         96
        .size:           4
        .value_kind:     by_value
      - .address_space:  global
        .offset:         104
        .size:           8
        .value_kind:     global_buffer
      - .address_space:  global
        .offset:         112
        .size:           8
        .value_kind:     global_buffer
      - .offset:         120
        .size:           4
        .value_kind:     by_value
      - .offset:         124
        .size:           4
        .value_kind:     by_value
      - .offset:         128
        .size:           4
        .value_kind:     by_value
      - .offset:         132
        .size:           4
        .value_kind:     by_value
      - .offset:         136
        .size:           4
        .value_kind:     by_value
      - .offset:         144
        .size:           4
        .value_kind:     hidden_block_count_x
      - .offset:         148
        .size:           4
        .value_kind:     hidden_block_count_y
      - .offset:         152
        .size:           4
        .value_kind:     hidden_block_count_z
      - .offset:         156
        .size:           2
        .value_kind:     hidden_group_size_x
      - .offset:         158
        .size:           2
        .value_kind:     hidden_group_size_y
      - .offset:         160
        .size:           2
        .value_kind:     hidden_group_size_z
      - .offset:         162
        .size:           2
        .value_kind:     hidden_remainder_x
      - .offset:         164
        .size:           2
        .value_kind:     hidden_remainder_y
      - .offset:         166
        .size:           2
        .value_kind:     hidden_remainder_z
      - .offset:         184
        .size:           8
        .value_kind:     hidden_global_offset_x
      - .offset:         192
        .size:           8
        .value_kind:     hidden_global_offset_y
      - .offset:         200
        .size:           8
        .value_kind:     hidden_global_offset_z
      - .offset:         208
        .size:           2
        .value_kind:     hidden_grid_dims
      - .offset:         264
        .size:           4
        .value_kind:     hidden_dynamic_lds_size
    .group_segment_fixed_size: 464
    .kernarg_segment_align: 8
    .kernarg_segment_size: 400
    .language:       OpenCL C
    .language_version:
      - 2
      - 0
    .max_flat_workgroup_size: 1024
    .name:           _ZN4vllm25paged_attention_v2_kernelIffLi112ELi8ELi128ELNS_18Fp8KVCacheDataTypeE0ELb1ELi512EEEvPfS2_PT_PKS3_PKT0_S9_ifPKiSB_iPKfiiiSD_SD_iiiii
    .private_segment_fixed_size: 0
    .sgpr_count:     58
    .sgpr_spill_count: 0
    .symbol:         _ZN4vllm25paged_attention_v2_kernelIffLi112ELi8ELi128ELNS_18Fp8KVCacheDataTypeE0ELb1ELi512EEEvPfS2_PT_PKS3_PKT0_S9_ifPKiSB_iPKfiiiSD_SD_iiiii.kd
    .uniform_work_group_size: 1
    .uses_dynamic_stack: false
    .vgpr_count:     55
    .vgpr_spill_count: 0
    .wavefront_size: 64
  - .agpr_count:     0
    .args:
      - .actual_access:  write_only
        .address_space:  global
        .offset:         0
        .size:           8
        .value_kind:     global_buffer
      - .actual_access:  read_only
        .address_space:  global
        .offset:         8
        .size:           8
        .value_kind:     global_buffer
      - .actual_access:  read_only
        .address_space:  global
        .offset:         16
        .size:           8
        .value_kind:     global_buffer
      - .actual_access:  read_only
        .address_space:  global
        .offset:         24
        .size:           8
        .value_kind:     global_buffer
      - .actual_access:  read_only
        .address_space:  global
        .offset:         32
        .size:           8
        .value_kind:     global_buffer
      - .offset:         40
        .size:           4
        .value_kind:     by_value
      - .offset:         48
        .size:           4
        .value_kind:     hidden_block_count_x
      - .offset:         52
        .size:           4
        .value_kind:     hidden_block_count_y
      - .offset:         56
        .size:           4
        .value_kind:     hidden_block_count_z
      - .offset:         60
        .size:           2
        .value_kind:     hidden_group_size_x
      - .offset:         62
        .size:           2
        .value_kind:     hidden_group_size_y
      - .offset:         64
        .size:           2
        .value_kind:     hidden_group_size_z
      - .offset:         66
        .size:           2
        .value_kind:     hidden_remainder_x
      - .offset:         68
        .size:           2
        .value_kind:     hidden_remainder_y
      - .offset:         70
        .size:           2
        .value_kind:     hidden_remainder_z
      - .offset:         88
        .size:           8
        .value_kind:     hidden_global_offset_x
      - .offset:         96
        .size:           8
        .value_kind:     hidden_global_offset_y
      - .offset:         104
        .size:           8
        .value_kind:     hidden_global_offset_z
      - .offset:         112
        .size:           2
        .value_kind:     hidden_grid_dims
      - .offset:         168
        .size:           4
        .value_kind:     hidden_dynamic_lds_size
    .group_segment_fixed_size: 16
    .kernarg_segment_align: 8
    .kernarg_segment_size: 304
    .language:       OpenCL C
    .language_version:
      - 2
      - 0
    .max_flat_workgroup_size: 1024
    .name:           _ZN4vllm32paged_attention_v2_reduce_kernelIfLi112ELi128ELi512EEEvPT_PKfS4_PKS1_PKii
    .private_segment_fixed_size: 0
    .sgpr_count:     38
    .sgpr_spill_count: 0
    .symbol:         _ZN4vllm32paged_attention_v2_reduce_kernelIfLi112ELi128ELi512EEEvPT_PKfS4_PKS1_PKii.kd
    .uniform_work_group_size: 1
    .uses_dynamic_stack: false
    .vgpr_count:     23
    .vgpr_spill_count: 0
    .wavefront_size: 64
  - .agpr_count:     0
    .args:
      - .actual_access:  write_only
        .address_space:  global
        .offset:         0
        .size:           8
        .value_kind:     global_buffer
      - .actual_access:  write_only
        .address_space:  global
        .offset:         8
        .size:           8
        .value_kind:     global_buffer
      - .actual_access:  write_only
        .address_space:  global
        .offset:         16
        .size:           8
        .value_kind:     global_buffer
      - .actual_access:  read_only
        .address_space:  global
        .offset:         24
        .size:           8
        .value_kind:     global_buffer
      - .actual_access:  read_only
        .address_space:  global
        .offset:         32
        .size:           8
        .value_kind:     global_buffer
      - .actual_access:  read_only
        .address_space:  global
        .offset:         40
        .size:           8
        .value_kind:     global_buffer
      - .offset:         48
        .size:           4
        .value_kind:     by_value
      - .offset:         52
        .size:           4
        .value_kind:     by_value
      - .actual_access:  read_only
        .address_space:  global
        .offset:         56
        .size:           8
        .value_kind:     global_buffer
      - .actual_access:  read_only
        .address_space:  global
        .offset:         64
        .size:           8
        .value_kind:     global_buffer
      - .offset:         72
        .size:           4
        .value_kind:     by_value
      - .actual_access:  read_only
        .address_space:  global
        .offset:         80
        .size:           8
        .value_kind:     global_buffer
      - .offset:         88
        .size:           4
        .value_kind:     by_value
      - .offset:         92
        .size:           4
        .value_kind:     by_value
      - .offset:         96
        .size:           4
        .value_kind:     by_value
      - .address_space:  global
        .offset:         104
        .size:           8
        .value_kind:     global_buffer
      - .address_space:  global
        .offset:         112
        .size:           8
        .value_kind:     global_buffer
      - .offset:         120
        .size:           4
        .value_kind:     by_value
      - .offset:         124
        .size:           4
        .value_kind:     by_value
      - .offset:         128
        .size:           4
        .value_kind:     by_value
      - .offset:         132
        .size:           4
        .value_kind:     by_value
      - .offset:         136
        .size:           4
        .value_kind:     by_value
      - .offset:         144
        .size:           4
        .value_kind:     hidden_block_count_x
      - .offset:         148
        .size:           4
        .value_kind:     hidden_block_count_y
      - .offset:         152
        .size:           4
        .value_kind:     hidden_block_count_z
      - .offset:         156
        .size:           2
        .value_kind:     hidden_group_size_x
      - .offset:         158
        .size:           2
        .value_kind:     hidden_group_size_y
      - .offset:         160
        .size:           2
        .value_kind:     hidden_group_size_z
      - .offset:         162
        .size:           2
        .value_kind:     hidden_remainder_x
      - .offset:         164
        .size:           2
        .value_kind:     hidden_remainder_y
      - .offset:         166
        .size:           2
        .value_kind:     hidden_remainder_z
      - .offset:         184
        .size:           8
        .value_kind:     hidden_global_offset_x
      - .offset:         192
        .size:           8
        .value_kind:     hidden_global_offset_y
      - .offset:         200
        .size:           8
        .value_kind:     hidden_global_offset_z
      - .offset:         208
        .size:           2
        .value_kind:     hidden_grid_dims
      - .offset:         264
        .size:           4
        .value_kind:     hidden_dynamic_lds_size
    .group_segment_fixed_size: 496
    .kernarg_segment_align: 8
    .kernarg_segment_size: 400
    .language:       OpenCL C
    .language_version:
      - 2
      - 0
    .max_flat_workgroup_size: 1024
    .name:           _ZN4vllm25paged_attention_v2_kernelIffLi120ELi8ELi128ELNS_18Fp8KVCacheDataTypeE0ELb1ELi512EEEvPfS2_PT_PKS3_PKT0_S9_ifPKiSB_iPKfiiiSD_SD_iiiii
    .private_segment_fixed_size: 0
    .sgpr_count:     58
    .sgpr_spill_count: 0
    .symbol:         _ZN4vllm25paged_attention_v2_kernelIffLi120ELi8ELi128ELNS_18Fp8KVCacheDataTypeE0ELb1ELi512EEEvPfS2_PT_PKS3_PKT0_S9_ifPKiSB_iPKfiiiSD_SD_iiiii.kd
    .uniform_work_group_size: 1
    .uses_dynamic_stack: false
    .vgpr_count:     57
    .vgpr_spill_count: 0
    .wavefront_size: 64
  - .agpr_count:     0
    .args:
      - .actual_access:  write_only
        .address_space:  global
        .offset:         0
        .size:           8
        .value_kind:     global_buffer
      - .actual_access:  read_only
        .address_space:  global
        .offset:         8
        .size:           8
        .value_kind:     global_buffer
      - .actual_access:  read_only
        .address_space:  global
        .offset:         16
        .size:           8
        .value_kind:     global_buffer
      - .actual_access:  read_only
        .address_space:  global
        .offset:         24
        .size:           8
        .value_kind:     global_buffer
      - .actual_access:  read_only
        .address_space:  global
        .offset:         32
        .size:           8
        .value_kind:     global_buffer
      - .offset:         40
        .size:           4
        .value_kind:     by_value
      - .offset:         48
        .size:           4
        .value_kind:     hidden_block_count_x
      - .offset:         52
        .size:           4
        .value_kind:     hidden_block_count_y
      - .offset:         56
        .size:           4
        .value_kind:     hidden_block_count_z
      - .offset:         60
        .size:           2
        .value_kind:     hidden_group_size_x
      - .offset:         62
        .size:           2
        .value_kind:     hidden_group_size_y
      - .offset:         64
        .size:           2
        .value_kind:     hidden_group_size_z
      - .offset:         66
        .size:           2
        .value_kind:     hidden_remainder_x
      - .offset:         68
        .size:           2
        .value_kind:     hidden_remainder_y
      - .offset:         70
        .size:           2
        .value_kind:     hidden_remainder_z
      - .offset:         88
        .size:           8
        .value_kind:     hidden_global_offset_x
      - .offset:         96
        .size:           8
        .value_kind:     hidden_global_offset_y
      - .offset:         104
        .size:           8
        .value_kind:     hidden_global_offset_z
      - .offset:         112
        .size:           2
        .value_kind:     hidden_grid_dims
      - .offset:         168
        .size:           4
        .value_kind:     hidden_dynamic_lds_size
    .group_segment_fixed_size: 16
    .kernarg_segment_align: 8
    .kernarg_segment_size: 304
    .language:       OpenCL C
    .language_version:
      - 2
      - 0
    .max_flat_workgroup_size: 1024
    .name:           _ZN4vllm32paged_attention_v2_reduce_kernelIfLi120ELi128ELi512EEEvPT_PKfS4_PKS1_PKii
    .private_segment_fixed_size: 0
    .sgpr_count:     38
    .sgpr_spill_count: 0
    .symbol:         _ZN4vllm32paged_attention_v2_reduce_kernelIfLi120ELi128ELi512EEEvPT_PKfS4_PKS1_PKii.kd
    .uniform_work_group_size: 1
    .uses_dynamic_stack: false
    .vgpr_count:     23
    .vgpr_spill_count: 0
    .wavefront_size: 64
  - .agpr_count:     0
    .args:
      - .actual_access:  write_only
        .address_space:  global
        .offset:         0
        .size:           8
        .value_kind:     global_buffer
      - .actual_access:  write_only
        .address_space:  global
        .offset:         8
        .size:           8
        .value_kind:     global_buffer
      - .actual_access:  write_only
        .address_space:  global
        .offset:         16
        .size:           8
        .value_kind:     global_buffer
      - .actual_access:  read_only
        .address_space:  global
        .offset:         24
        .size:           8
        .value_kind:     global_buffer
      - .actual_access:  read_only
        .address_space:  global
        .offset:         32
        .size:           8
        .value_kind:     global_buffer
      - .actual_access:  read_only
        .address_space:  global
        .offset:         40
        .size:           8
        .value_kind:     global_buffer
      - .offset:         48
        .size:           4
        .value_kind:     by_value
      - .offset:         52
        .size:           4
        .value_kind:     by_value
      - .actual_access:  read_only
        .address_space:  global
        .offset:         56
        .size:           8
        .value_kind:     global_buffer
      - .actual_access:  read_only
        .address_space:  global
        .offset:         64
        .size:           8
        .value_kind:     global_buffer
      - .offset:         72
        .size:           4
        .value_kind:     by_value
      - .actual_access:  read_only
        .address_space:  global
        .offset:         80
        .size:           8
        .value_kind:     global_buffer
      - .offset:         88
        .size:           4
        .value_kind:     by_value
      - .offset:         92
        .size:           4
        .value_kind:     by_value
      - .offset:         96
        .size:           4
        .value_kind:     by_value
      - .address_space:  global
        .offset:         104
        .size:           8
        .value_kind:     global_buffer
      - .address_space:  global
        .offset:         112
        .size:           8
        .value_kind:     global_buffer
      - .offset:         120
        .size:           4
        .value_kind:     by_value
      - .offset:         124
        .size:           4
        .value_kind:     by_value
      - .offset:         128
        .size:           4
        .value_kind:     by_value
      - .offset:         132
        .size:           4
        .value_kind:     by_value
      - .offset:         136
        .size:           4
        .value_kind:     by_value
      - .offset:         144
        .size:           4
        .value_kind:     hidden_block_count_x
      - .offset:         148
        .size:           4
        .value_kind:     hidden_block_count_y
      - .offset:         152
        .size:           4
        .value_kind:     hidden_block_count_z
      - .offset:         156
        .size:           2
        .value_kind:     hidden_group_size_x
      - .offset:         158
        .size:           2
        .value_kind:     hidden_group_size_y
      - .offset:         160
        .size:           2
        .value_kind:     hidden_group_size_z
      - .offset:         162
        .size:           2
        .value_kind:     hidden_remainder_x
      - .offset:         164
        .size:           2
        .value_kind:     hidden_remainder_y
      - .offset:         166
        .size:           2
        .value_kind:     hidden_remainder_z
      - .offset:         184
        .size:           8
        .value_kind:     hidden_global_offset_x
      - .offset:         192
        .size:           8
        .value_kind:     hidden_global_offset_y
      - .offset:         200
        .size:           8
        .value_kind:     hidden_global_offset_z
      - .offset:         208
        .size:           2
        .value_kind:     hidden_grid_dims
      - .offset:         264
        .size:           4
        .value_kind:     hidden_dynamic_lds_size
    .group_segment_fixed_size: 528
    .kernarg_segment_align: 8
    .kernarg_segment_size: 400
    .language:       OpenCL C
    .language_version:
      - 2
      - 0
    .max_flat_workgroup_size: 1024
    .name:           _ZN4vllm25paged_attention_v2_kernelIffLi128ELi8ELi128ELNS_18Fp8KVCacheDataTypeE0ELb1ELi512EEEvPfS2_PT_PKS3_PKT0_S9_ifPKiSB_iPKfiiiSD_SD_iiiii
    .private_segment_fixed_size: 0
    .sgpr_count:     58
    .sgpr_spill_count: 0
    .symbol:         _ZN4vllm25paged_attention_v2_kernelIffLi128ELi8ELi128ELNS_18Fp8KVCacheDataTypeE0ELb1ELi512EEEvPfS2_PT_PKS3_PKT0_S9_ifPKiSB_iPKfiiiSD_SD_iiiii.kd
    .uniform_work_group_size: 1
    .uses_dynamic_stack: false
    .vgpr_count:     60
    .vgpr_spill_count: 0
    .wavefront_size: 64
  - .agpr_count:     0
    .args:
      - .actual_access:  write_only
        .address_space:  global
        .offset:         0
        .size:           8
        .value_kind:     global_buffer
      - .actual_access:  read_only
        .address_space:  global
        .offset:         8
        .size:           8
        .value_kind:     global_buffer
      - .actual_access:  read_only
        .address_space:  global
        .offset:         16
        .size:           8
        .value_kind:     global_buffer
      - .actual_access:  read_only
        .address_space:  global
        .offset:         24
        .size:           8
        .value_kind:     global_buffer
      - .actual_access:  read_only
        .address_space:  global
        .offset:         32
        .size:           8
        .value_kind:     global_buffer
      - .offset:         40
        .size:           4
        .value_kind:     by_value
      - .offset:         48
        .size:           4
        .value_kind:     hidden_block_count_x
      - .offset:         52
        .size:           4
        .value_kind:     hidden_block_count_y
      - .offset:         56
        .size:           4
        .value_kind:     hidden_block_count_z
      - .offset:         60
        .size:           2
        .value_kind:     hidden_group_size_x
      - .offset:         62
        .size:           2
        .value_kind:     hidden_group_size_y
      - .offset:         64
        .size:           2
        .value_kind:     hidden_group_size_z
      - .offset:         66
        .size:           2
        .value_kind:     hidden_remainder_x
      - .offset:         68
        .size:           2
        .value_kind:     hidden_remainder_y
      - .offset:         70
        .size:           2
        .value_kind:     hidden_remainder_z
      - .offset:         88
        .size:           8
        .value_kind:     hidden_global_offset_x
      - .offset:         96
        .size:           8
        .value_kind:     hidden_global_offset_y
      - .offset:         104
        .size:           8
        .value_kind:     hidden_global_offset_z
      - .offset:         112
        .size:           2
        .value_kind:     hidden_grid_dims
      - .offset:         168
        .size:           4
        .value_kind:     hidden_dynamic_lds_size
    .group_segment_fixed_size: 16
    .kernarg_segment_align: 8
    .kernarg_segment_size: 304
    .language:       OpenCL C
    .language_version:
      - 2
      - 0
    .max_flat_workgroup_size: 1024
    .name:           _ZN4vllm32paged_attention_v2_reduce_kernelIfLi128ELi128ELi512EEEvPT_PKfS4_PKS1_PKii
    .private_segment_fixed_size: 0
    .sgpr_count:     38
    .sgpr_spill_count: 0
    .symbol:         _ZN4vllm32paged_attention_v2_reduce_kernelIfLi128ELi128ELi512EEEvPT_PKfS4_PKS1_PKii.kd
    .uniform_work_group_size: 1
    .uses_dynamic_stack: false
    .vgpr_count:     23
    .vgpr_spill_count: 0
    .wavefront_size: 64
  - .agpr_count:     0
    .args:
      - .actual_access:  write_only
        .address_space:  global
        .offset:         0
        .size:           8
        .value_kind:     global_buffer
      - .actual_access:  write_only
        .address_space:  global
        .offset:         8
        .size:           8
        .value_kind:     global_buffer
      - .actual_access:  write_only
        .address_space:  global
        .offset:         16
        .size:           8
        .value_kind:     global_buffer
      - .actual_access:  read_only
        .address_space:  global
        .offset:         24
        .size:           8
        .value_kind:     global_buffer
      - .actual_access:  read_only
        .address_space:  global
        .offset:         32
        .size:           8
        .value_kind:     global_buffer
      - .actual_access:  read_only
        .address_space:  global
        .offset:         40
        .size:           8
        .value_kind:     global_buffer
      - .offset:         48
        .size:           4
        .value_kind:     by_value
      - .offset:         52
        .size:           4
        .value_kind:     by_value
      - .actual_access:  read_only
        .address_space:  global
        .offset:         56
        .size:           8
        .value_kind:     global_buffer
      - .actual_access:  read_only
        .address_space:  global
        .offset:         64
        .size:           8
        .value_kind:     global_buffer
      - .offset:         72
        .size:           4
        .value_kind:     by_value
      - .actual_access:  read_only
        .address_space:  global
        .offset:         80
        .size:           8
        .value_kind:     global_buffer
      - .offset:         88
        .size:           4
        .value_kind:     by_value
      - .offset:         92
        .size:           4
        .value_kind:     by_value
      - .offset:         96
        .size:           4
        .value_kind:     by_value
      - .address_space:  global
        .offset:         104
        .size:           8
        .value_kind:     global_buffer
      - .address_space:  global
        .offset:         112
        .size:           8
        .value_kind:     global_buffer
      - .offset:         120
        .size:           4
        .value_kind:     by_value
      - .offset:         124
        .size:           4
        .value_kind:     by_value
      - .offset:         128
        .size:           4
        .value_kind:     by_value
      - .offset:         132
        .size:           4
        .value_kind:     by_value
      - .offset:         136
        .size:           4
        .value_kind:     by_value
      - .offset:         144
        .size:           4
        .value_kind:     hidden_block_count_x
      - .offset:         148
        .size:           4
        .value_kind:     hidden_block_count_y
      - .offset:         152
        .size:           4
        .value_kind:     hidden_block_count_z
      - .offset:         156
        .size:           2
        .value_kind:     hidden_group_size_x
      - .offset:         158
        .size:           2
        .value_kind:     hidden_group_size_y
      - .offset:         160
        .size:           2
        .value_kind:     hidden_group_size_z
      - .offset:         162
        .size:           2
        .value_kind:     hidden_remainder_x
      - .offset:         164
        .size:           2
        .value_kind:     hidden_remainder_y
      - .offset:         166
        .size:           2
        .value_kind:     hidden_remainder_z
      - .offset:         184
        .size:           8
        .value_kind:     hidden_global_offset_x
      - .offset:         192
        .size:           8
        .value_kind:     hidden_global_offset_y
      - .offset:         200
        .size:           8
        .value_kind:     hidden_global_offset_z
      - .offset:         208
        .size:           2
        .value_kind:     hidden_grid_dims
      - .offset:         264
        .size:           4
        .value_kind:     hidden_dynamic_lds_size
    .group_segment_fixed_size: 784
    .kernarg_segment_align: 8
    .kernarg_segment_size: 400
    .language:       OpenCL C
    .language_version:
      - 2
      - 0
    .max_flat_workgroup_size: 1024
    .name:           _ZN4vllm25paged_attention_v2_kernelIffLi192ELi8ELi128ELNS_18Fp8KVCacheDataTypeE0ELb1ELi512EEEvPfS2_PT_PKS3_PKT0_S9_ifPKiSB_iPKfiiiSD_SD_iiiii
    .private_segment_fixed_size: 0
    .sgpr_count:     58
    .sgpr_spill_count: 0
    .symbol:         _ZN4vllm25paged_attention_v2_kernelIffLi192ELi8ELi128ELNS_18Fp8KVCacheDataTypeE0ELb1ELi512EEEvPfS2_PT_PKS3_PKT0_S9_ifPKiSB_iPKfiiiSD_SD_iiiii.kd
    .uniform_work_group_size: 1
    .uses_dynamic_stack: false
    .vgpr_count:     76
    .vgpr_spill_count: 0
    .wavefront_size: 64
  - .agpr_count:     0
    .args:
      - .actual_access:  write_only
        .address_space:  global
        .offset:         0
        .size:           8
        .value_kind:     global_buffer
      - .actual_access:  read_only
        .address_space:  global
        .offset:         8
        .size:           8
        .value_kind:     global_buffer
      - .actual_access:  read_only
        .address_space:  global
        .offset:         16
        .size:           8
        .value_kind:     global_buffer
      - .actual_access:  read_only
        .address_space:  global
        .offset:         24
        .size:           8
        .value_kind:     global_buffer
      - .actual_access:  read_only
        .address_space:  global
        .offset:         32
        .size:           8
        .value_kind:     global_buffer
      - .offset:         40
        .size:           4
        .value_kind:     by_value
      - .offset:         48
        .size:           4
        .value_kind:     hidden_block_count_x
      - .offset:         52
        .size:           4
        .value_kind:     hidden_block_count_y
      - .offset:         56
        .size:           4
        .value_kind:     hidden_block_count_z
      - .offset:         60
        .size:           2
        .value_kind:     hidden_group_size_x
      - .offset:         62
        .size:           2
        .value_kind:     hidden_group_size_y
      - .offset:         64
        .size:           2
        .value_kind:     hidden_group_size_z
      - .offset:         66
        .size:           2
        .value_kind:     hidden_remainder_x
      - .offset:         68
        .size:           2
        .value_kind:     hidden_remainder_y
      - .offset:         70
        .size:           2
        .value_kind:     hidden_remainder_z
      - .offset:         88
        .size:           8
        .value_kind:     hidden_global_offset_x
      - .offset:         96
        .size:           8
        .value_kind:     hidden_global_offset_y
      - .offset:         104
        .size:           8
        .value_kind:     hidden_global_offset_z
      - .offset:         112
        .size:           2
        .value_kind:     hidden_grid_dims
      - .offset:         168
        .size:           4
        .value_kind:     hidden_dynamic_lds_size
    .group_segment_fixed_size: 16
    .kernarg_segment_align: 8
    .kernarg_segment_size: 304
    .language:       OpenCL C
    .language_version:
      - 2
      - 0
    .max_flat_workgroup_size: 1024
    .name:           _ZN4vllm32paged_attention_v2_reduce_kernelIfLi192ELi128ELi512EEEvPT_PKfS4_PKS1_PKii
    .private_segment_fixed_size: 0
    .sgpr_count:     38
    .sgpr_spill_count: 0
    .symbol:         _ZN4vllm32paged_attention_v2_reduce_kernelIfLi192ELi128ELi512EEEvPT_PKfS4_PKS1_PKii.kd
    .uniform_work_group_size: 1
    .uses_dynamic_stack: false
    .vgpr_count:     23
    .vgpr_spill_count: 0
    .wavefront_size: 64
  - .agpr_count:     0
    .args:
      - .actual_access:  write_only
        .address_space:  global
        .offset:         0
        .size:           8
        .value_kind:     global_buffer
      - .actual_access:  write_only
        .address_space:  global
        .offset:         8
        .size:           8
        .value_kind:     global_buffer
      - .actual_access:  write_only
        .address_space:  global
        .offset:         16
        .size:           8
        .value_kind:     global_buffer
      - .actual_access:  read_only
        .address_space:  global
        .offset:         24
        .size:           8
        .value_kind:     global_buffer
      - .actual_access:  read_only
        .address_space:  global
        .offset:         32
        .size:           8
        .value_kind:     global_buffer
      - .actual_access:  read_only
        .address_space:  global
        .offset:         40
        .size:           8
        .value_kind:     global_buffer
      - .offset:         48
        .size:           4
        .value_kind:     by_value
      - .offset:         52
        .size:           4
        .value_kind:     by_value
      - .actual_access:  read_only
        .address_space:  global
        .offset:         56
        .size:           8
        .value_kind:     global_buffer
      - .actual_access:  read_only
        .address_space:  global
        .offset:         64
        .size:           8
        .value_kind:     global_buffer
      - .offset:         72
        .size:           4
        .value_kind:     by_value
      - .actual_access:  read_only
        .address_space:  global
        .offset:         80
        .size:           8
        .value_kind:     global_buffer
      - .offset:         88
        .size:           4
        .value_kind:     by_value
      - .offset:         92
        .size:           4
        .value_kind:     by_value
      - .offset:         96
        .size:           4
        .value_kind:     by_value
      - .address_space:  global
        .offset:         104
        .size:           8
        .value_kind:     global_buffer
      - .address_space:  global
        .offset:         112
        .size:           8
        .value_kind:     global_buffer
      - .offset:         120
        .size:           4
        .value_kind:     by_value
      - .offset:         124
        .size:           4
        .value_kind:     by_value
      - .offset:         128
        .size:           4
        .value_kind:     by_value
      - .offset:         132
        .size:           4
        .value_kind:     by_value
      - .offset:         136
        .size:           4
        .value_kind:     by_value
      - .offset:         144
        .size:           4
        .value_kind:     hidden_block_count_x
      - .offset:         148
        .size:           4
        .value_kind:     hidden_block_count_y
      - .offset:         152
        .size:           4
        .value_kind:     hidden_block_count_z
      - .offset:         156
        .size:           2
        .value_kind:     hidden_group_size_x
      - .offset:         158
        .size:           2
        .value_kind:     hidden_group_size_y
      - .offset:         160
        .size:           2
        .value_kind:     hidden_group_size_z
      - .offset:         162
        .size:           2
        .value_kind:     hidden_remainder_x
      - .offset:         164
        .size:           2
        .value_kind:     hidden_remainder_y
      - .offset:         166
        .size:           2
        .value_kind:     hidden_remainder_z
      - .offset:         184
        .size:           8
        .value_kind:     hidden_global_offset_x
      - .offset:         192
        .size:           8
        .value_kind:     hidden_global_offset_y
      - .offset:         200
        .size:           8
        .value_kind:     hidden_global_offset_z
      - .offset:         208
        .size:           2
        .value_kind:     hidden_grid_dims
      - .offset:         264
        .size:           4
        .value_kind:     hidden_dynamic_lds_size
    .group_segment_fixed_size: 1040
    .kernarg_segment_align: 8
    .kernarg_segment_size: 400
    .language:       OpenCL C
    .language_version:
      - 2
      - 0
    .max_flat_workgroup_size: 1024
    .name:           _ZN4vllm25paged_attention_v2_kernelIffLi256ELi8ELi128ELNS_18Fp8KVCacheDataTypeE0ELb1ELi512EEEvPfS2_PT_PKS3_PKT0_S9_ifPKiSB_iPKfiiiSD_SD_iiiii
    .private_segment_fixed_size: 0
    .sgpr_count:     58
    .sgpr_spill_count: 0
    .symbol:         _ZN4vllm25paged_attention_v2_kernelIffLi256ELi8ELi128ELNS_18Fp8KVCacheDataTypeE0ELb1ELi512EEEvPfS2_PT_PKS3_PKT0_S9_ifPKiSB_iPKfiiiSD_SD_iiiii.kd
    .uniform_work_group_size: 1
    .uses_dynamic_stack: false
    .vgpr_count:     81
    .vgpr_spill_count: 0
    .wavefront_size: 64
  - .agpr_count:     0
    .args:
      - .actual_access:  write_only
        .address_space:  global
        .offset:         0
        .size:           8
        .value_kind:     global_buffer
      - .actual_access:  read_only
        .address_space:  global
        .offset:         8
        .size:           8
        .value_kind:     global_buffer
      - .actual_access:  read_only
        .address_space:  global
        .offset:         16
        .size:           8
        .value_kind:     global_buffer
      - .actual_access:  read_only
        .address_space:  global
        .offset:         24
        .size:           8
        .value_kind:     global_buffer
      - .actual_access:  read_only
        .address_space:  global
        .offset:         32
        .size:           8
        .value_kind:     global_buffer
      - .offset:         40
        .size:           4
        .value_kind:     by_value
      - .offset:         48
        .size:           4
        .value_kind:     hidden_block_count_x
      - .offset:         52
        .size:           4
        .value_kind:     hidden_block_count_y
      - .offset:         56
        .size:           4
        .value_kind:     hidden_block_count_z
      - .offset:         60
        .size:           2
        .value_kind:     hidden_group_size_x
      - .offset:         62
        .size:           2
        .value_kind:     hidden_group_size_y
      - .offset:         64
        .size:           2
        .value_kind:     hidden_group_size_z
      - .offset:         66
        .size:           2
        .value_kind:     hidden_remainder_x
      - .offset:         68
        .size:           2
        .value_kind:     hidden_remainder_y
      - .offset:         70
        .size:           2
        .value_kind:     hidden_remainder_z
      - .offset:         88
        .size:           8
        .value_kind:     hidden_global_offset_x
      - .offset:         96
        .size:           8
        .value_kind:     hidden_global_offset_y
      - .offset:         104
        .size:           8
        .value_kind:     hidden_global_offset_z
      - .offset:         112
        .size:           2
        .value_kind:     hidden_grid_dims
      - .offset:         168
        .size:           4
        .value_kind:     hidden_dynamic_lds_size
    .group_segment_fixed_size: 16
    .kernarg_segment_align: 8
    .kernarg_segment_size: 304
    .language:       OpenCL C
    .language_version:
      - 2
      - 0
    .max_flat_workgroup_size: 1024
    .name:           _ZN4vllm32paged_attention_v2_reduce_kernelIfLi256ELi128ELi512EEEvPT_PKfS4_PKS1_PKii
    .private_segment_fixed_size: 0
    .sgpr_count:     38
    .sgpr_spill_count: 0
    .symbol:         _ZN4vllm32paged_attention_v2_reduce_kernelIfLi256ELi128ELi512EEEvPT_PKfS4_PKS1_PKii.kd
    .uniform_work_group_size: 1
    .uses_dynamic_stack: false
    .vgpr_count:     23
    .vgpr_spill_count: 0
    .wavefront_size: 64
  - .agpr_count:     0
    .args:
      - .actual_access:  write_only
        .address_space:  global
        .offset:         0
        .size:           8
        .value_kind:     global_buffer
      - .actual_access:  write_only
        .address_space:  global
        .offset:         8
        .size:           8
        .value_kind:     global_buffer
      - .actual_access:  write_only
        .address_space:  global
        .offset:         16
        .size:           8
        .value_kind:     global_buffer
      - .actual_access:  read_only
        .address_space:  global
        .offset:         24
        .size:           8
        .value_kind:     global_buffer
      - .actual_access:  read_only
        .address_space:  global
        .offset:         32
        .size:           8
        .value_kind:     global_buffer
      - .actual_access:  read_only
        .address_space:  global
        .offset:         40
        .size:           8
        .value_kind:     global_buffer
      - .offset:         48
        .size:           4
        .value_kind:     by_value
      - .offset:         52
        .size:           4
        .value_kind:     by_value
      - .actual_access:  read_only
        .address_space:  global
        .offset:         56
        .size:           8
        .value_kind:     global_buffer
      - .actual_access:  read_only
        .address_space:  global
        .offset:         64
        .size:           8
        .value_kind:     global_buffer
      - .offset:         72
        .size:           4
        .value_kind:     by_value
      - .actual_access:  read_only
        .address_space:  global
        .offset:         80
        .size:           8
        .value_kind:     global_buffer
      - .offset:         88
        .size:           4
        .value_kind:     by_value
      - .offset:         92
        .size:           4
        .value_kind:     by_value
      - .offset:         96
        .size:           4
        .value_kind:     by_value
      - .address_space:  global
        .offset:         104
        .size:           8
        .value_kind:     global_buffer
      - .address_space:  global
        .offset:         112
        .size:           8
        .value_kind:     global_buffer
      - .offset:         120
        .size:           4
        .value_kind:     by_value
      - .offset:         124
        .size:           4
        .value_kind:     by_value
      - .offset:         128
        .size:           4
        .value_kind:     by_value
      - .offset:         132
        .size:           4
        .value_kind:     by_value
      - .offset:         136
        .size:           4
        .value_kind:     by_value
      - .offset:         144
        .size:           4
        .value_kind:     hidden_block_count_x
      - .offset:         148
        .size:           4
        .value_kind:     hidden_block_count_y
      - .offset:         152
        .size:           4
        .value_kind:     hidden_block_count_z
      - .offset:         156
        .size:           2
        .value_kind:     hidden_group_size_x
      - .offset:         158
        .size:           2
        .value_kind:     hidden_group_size_y
      - .offset:         160
        .size:           2
        .value_kind:     hidden_group_size_z
      - .offset:         162
        .size:           2
        .value_kind:     hidden_remainder_x
      - .offset:         164
        .size:           2
        .value_kind:     hidden_remainder_y
      - .offset:         166
        .size:           2
        .value_kind:     hidden_remainder_z
      - .offset:         184
        .size:           8
        .value_kind:     hidden_global_offset_x
      - .offset:         192
        .size:           8
        .value_kind:     hidden_global_offset_y
      - .offset:         200
        .size:           8
        .value_kind:     hidden_global_offset_z
      - .offset:         208
        .size:           2
        .value_kind:     hidden_grid_dims
      - .offset:         264
        .size:           4
        .value_kind:     hidden_dynamic_lds_size
    .group_segment_fixed_size: 144
    .kernarg_segment_align: 8
    .kernarg_segment_size: 400
    .language:       OpenCL C
    .language_version:
      - 2
      - 0
    .max_flat_workgroup_size: 1024
    .name:           _ZN4vllm25paged_attention_v2_kernelIffLi32ELi8ELi128ELNS_18Fp8KVCacheDataTypeE0ELb0ELi512EEEvPfS2_PT_PKS3_PKT0_S9_ifPKiSB_iPKfiiiSD_SD_iiiii
    .private_segment_fixed_size: 0
    .sgpr_count:     48
    .sgpr_spill_count: 0
    .symbol:         _ZN4vllm25paged_attention_v2_kernelIffLi32ELi8ELi128ELNS_18Fp8KVCacheDataTypeE0ELb0ELi512EEEvPfS2_PT_PKS3_PKT0_S9_ifPKiSB_iPKfiiiSD_SD_iiiii.kd
    .uniform_work_group_size: 1
    .uses_dynamic_stack: false
    .vgpr_count:     28
    .vgpr_spill_count: 0
    .wavefront_size: 64
  - .agpr_count:     0
    .args:
      - .actual_access:  write_only
        .address_space:  global
        .offset:         0
        .size:           8
        .value_kind:     global_buffer
      - .actual_access:  write_only
        .address_space:  global
        .offset:         8
        .size:           8
        .value_kind:     global_buffer
      - .actual_access:  write_only
        .address_space:  global
        .offset:         16
        .size:           8
        .value_kind:     global_buffer
      - .actual_access:  read_only
        .address_space:  global
        .offset:         24
        .size:           8
        .value_kind:     global_buffer
      - .actual_access:  read_only
        .address_space:  global
        .offset:         32
        .size:           8
        .value_kind:     global_buffer
      - .actual_access:  read_only
        .address_space:  global
        .offset:         40
        .size:           8
        .value_kind:     global_buffer
      - .offset:         48
        .size:           4
        .value_kind:     by_value
      - .offset:         52
        .size:           4
        .value_kind:     by_value
      - .actual_access:  read_only
        .address_space:  global
        .offset:         56
        .size:           8
        .value_kind:     global_buffer
      - .actual_access:  read_only
        .address_space:  global
        .offset:         64
        .size:           8
        .value_kind:     global_buffer
      - .offset:         72
        .size:           4
        .value_kind:     by_value
      - .actual_access:  read_only
        .address_space:  global
        .offset:         80
        .size:           8
        .value_kind:     global_buffer
      - .offset:         88
        .size:           4
        .value_kind:     by_value
      - .offset:         92
        .size:           4
        .value_kind:     by_value
      - .offset:         96
        .size:           4
        .value_kind:     by_value
      - .address_space:  global
        .offset:         104
        .size:           8
        .value_kind:     global_buffer
      - .address_space:  global
        .offset:         112
        .size:           8
        .value_kind:     global_buffer
      - .offset:         120
        .size:           4
        .value_kind:     by_value
      - .offset:         124
        .size:           4
        .value_kind:     by_value
      - .offset:         128
        .size:           4
        .value_kind:     by_value
      - .offset:         132
        .size:           4
        .value_kind:     by_value
      - .offset:         136
        .size:           4
        .value_kind:     by_value
      - .offset:         144
        .size:           4
        .value_kind:     hidden_block_count_x
      - .offset:         148
        .size:           4
        .value_kind:     hidden_block_count_y
      - .offset:         152
        .size:           4
        .value_kind:     hidden_block_count_z
      - .offset:         156
        .size:           2
        .value_kind:     hidden_group_size_x
      - .offset:         158
        .size:           2
        .value_kind:     hidden_group_size_y
      - .offset:         160
        .size:           2
        .value_kind:     hidden_group_size_z
      - .offset:         162
        .size:           2
        .value_kind:     hidden_remainder_x
      - .offset:         164
        .size:           2
        .value_kind:     hidden_remainder_y
      - .offset:         166
        .size:           2
        .value_kind:     hidden_remainder_z
      - .offset:         184
        .size:           8
        .value_kind:     hidden_global_offset_x
      - .offset:         192
        .size:           8
        .value_kind:     hidden_global_offset_y
      - .offset:         200
        .size:           8
        .value_kind:     hidden_global_offset_z
      - .offset:         208
        .size:           2
        .value_kind:     hidden_grid_dims
      - .offset:         264
        .size:           4
        .value_kind:     hidden_dynamic_lds_size
    .group_segment_fixed_size: 272
    .kernarg_segment_align: 8
    .kernarg_segment_size: 400
    .language:       OpenCL C
    .language_version:
      - 2
      - 0
    .max_flat_workgroup_size: 1024
    .name:           _ZN4vllm25paged_attention_v2_kernelIffLi64ELi8ELi128ELNS_18Fp8KVCacheDataTypeE0ELb0ELi512EEEvPfS2_PT_PKS3_PKT0_S9_ifPKiSB_iPKfiiiSD_SD_iiiii
    .private_segment_fixed_size: 0
    .sgpr_count:     50
    .sgpr_spill_count: 0
    .symbol:         _ZN4vllm25paged_attention_v2_kernelIffLi64ELi8ELi128ELNS_18Fp8KVCacheDataTypeE0ELb0ELi512EEEvPfS2_PT_PKS3_PKT0_S9_ifPKiSB_iPKfiiiSD_SD_iiiii.kd
    .uniform_work_group_size: 1
    .uses_dynamic_stack: false
    .vgpr_count:     37
    .vgpr_spill_count: 0
    .wavefront_size: 64
  - .agpr_count:     0
    .args:
      - .actual_access:  write_only
        .address_space:  global
        .offset:         0
        .size:           8
        .value_kind:     global_buffer
      - .actual_access:  write_only
        .address_space:  global
        .offset:         8
        .size:           8
        .value_kind:     global_buffer
      - .actual_access:  write_only
        .address_space:  global
        .offset:         16
        .size:           8
        .value_kind:     global_buffer
      - .actual_access:  read_only
        .address_space:  global
        .offset:         24
        .size:           8
        .value_kind:     global_buffer
      - .actual_access:  read_only
        .address_space:  global
        .offset:         32
        .size:           8
        .value_kind:     global_buffer
      - .actual_access:  read_only
        .address_space:  global
        .offset:         40
        .size:           8
        .value_kind:     global_buffer
      - .offset:         48
        .size:           4
        .value_kind:     by_value
      - .offset:         52
        .size:           4
        .value_kind:     by_value
      - .actual_access:  read_only
        .address_space:  global
        .offset:         56
        .size:           8
        .value_kind:     global_buffer
      - .actual_access:  read_only
        .address_space:  global
        .offset:         64
        .size:           8
        .value_kind:     global_buffer
      - .offset:         72
        .size:           4
        .value_kind:     by_value
      - .actual_access:  read_only
        .address_space:  global
        .offset:         80
        .size:           8
        .value_kind:     global_buffer
      - .offset:         88
        .size:           4
        .value_kind:     by_value
      - .offset:         92
        .size:           4
        .value_kind:     by_value
      - .offset:         96
        .size:           4
        .value_kind:     by_value
      - .address_space:  global
        .offset:         104
        .size:           8
        .value_kind:     global_buffer
      - .address_space:  global
        .offset:         112
        .size:           8
        .value_kind:     global_buffer
      - .offset:         120
        .size:           4
        .value_kind:     by_value
      - .offset:         124
        .size:           4
        .value_kind:     by_value
      - .offset:         128
        .size:           4
        .value_kind:     by_value
      - .offset:         132
        .size:           4
        .value_kind:     by_value
      - .offset:         136
        .size:           4
        .value_kind:     by_value
      - .offset:         144
        .size:           4
        .value_kind:     hidden_block_count_x
      - .offset:         148
        .size:           4
        .value_kind:     hidden_block_count_y
      - .offset:         152
        .size:           4
        .value_kind:     hidden_block_count_z
      - .offset:         156
        .size:           2
        .value_kind:     hidden_group_size_x
      - .offset:         158
        .size:           2
        .value_kind:     hidden_group_size_y
      - .offset:         160
        .size:           2
        .value_kind:     hidden_group_size_z
      - .offset:         162
        .size:           2
        .value_kind:     hidden_remainder_x
      - .offset:         164
        .size:           2
        .value_kind:     hidden_remainder_y
      - .offset:         166
        .size:           2
        .value_kind:     hidden_remainder_z
      - .offset:         184
        .size:           8
        .value_kind:     hidden_global_offset_x
      - .offset:         192
        .size:           8
        .value_kind:     hidden_global_offset_y
      - .offset:         200
        .size:           8
        .value_kind:     hidden_global_offset_z
      - .offset:         208
        .size:           2
        .value_kind:     hidden_grid_dims
      - .offset:         264
        .size:           4
        .value_kind:     hidden_dynamic_lds_size
    .group_segment_fixed_size: 336
    .kernarg_segment_align: 8
    .kernarg_segment_size: 400
    .language:       OpenCL C
    .language_version:
      - 2
      - 0
    .max_flat_workgroup_size: 1024
    .name:           _ZN4vllm25paged_attention_v2_kernelIffLi80ELi8ELi128ELNS_18Fp8KVCacheDataTypeE0ELb0ELi512EEEvPfS2_PT_PKS3_PKT0_S9_ifPKiSB_iPKfiiiSD_SD_iiiii
    .private_segment_fixed_size: 0
    .sgpr_count:     48
    .sgpr_spill_count: 0
    .symbol:         _ZN4vllm25paged_attention_v2_kernelIffLi80ELi8ELi128ELNS_18Fp8KVCacheDataTypeE0ELb0ELi512EEEvPfS2_PT_PKS3_PKT0_S9_ifPKiSB_iPKfiiiSD_SD_iiiii.kd
    .uniform_work_group_size: 1
    .uses_dynamic_stack: false
    .vgpr_count:     41
    .vgpr_spill_count: 0
    .wavefront_size: 64
  - .agpr_count:     0
    .args:
      - .actual_access:  write_only
        .address_space:  global
        .offset:         0
        .size:           8
        .value_kind:     global_buffer
      - .actual_access:  write_only
        .address_space:  global
        .offset:         8
        .size:           8
        .value_kind:     global_buffer
      - .actual_access:  write_only
        .address_space:  global
        .offset:         16
        .size:           8
        .value_kind:     global_buffer
      - .actual_access:  read_only
        .address_space:  global
        .offset:         24
        .size:           8
        .value_kind:     global_buffer
      - .actual_access:  read_only
        .address_space:  global
        .offset:         32
        .size:           8
        .value_kind:     global_buffer
      - .actual_access:  read_only
        .address_space:  global
        .offset:         40
        .size:           8
        .value_kind:     global_buffer
      - .offset:         48
        .size:           4
        .value_kind:     by_value
      - .offset:         52
        .size:           4
        .value_kind:     by_value
      - .actual_access:  read_only
        .address_space:  global
        .offset:         56
        .size:           8
        .value_kind:     global_buffer
      - .actual_access:  read_only
        .address_space:  global
        .offset:         64
        .size:           8
        .value_kind:     global_buffer
      - .offset:         72
        .size:           4
        .value_kind:     by_value
      - .actual_access:  read_only
        .address_space:  global
        .offset:         80
        .size:           8
        .value_kind:     global_buffer
      - .offset:         88
        .size:           4
        .value_kind:     by_value
      - .offset:         92
        .size:           4
        .value_kind:     by_value
      - .offset:         96
        .size:           4
        .value_kind:     by_value
      - .address_space:  global
        .offset:         104
        .size:           8
        .value_kind:     global_buffer
      - .address_space:  global
        .offset:         112
        .size:           8
        .value_kind:     global_buffer
      - .offset:         120
        .size:           4
        .value_kind:     by_value
      - .offset:         124
        .size:           4
        .value_kind:     by_value
      - .offset:         128
        .size:           4
        .value_kind:     by_value
      - .offset:         132
        .size:           4
        .value_kind:     by_value
      - .offset:         136
        .size:           4
        .value_kind:     by_value
      - .offset:         144
        .size:           4
        .value_kind:     hidden_block_count_x
      - .offset:         148
        .size:           4
        .value_kind:     hidden_block_count_y
      - .offset:         152
        .size:           4
        .value_kind:     hidden_block_count_z
      - .offset:         156
        .size:           2
        .value_kind:     hidden_group_size_x
      - .offset:         158
        .size:           2
        .value_kind:     hidden_group_size_y
      - .offset:         160
        .size:           2
        .value_kind:     hidden_group_size_z
      - .offset:         162
        .size:           2
        .value_kind:     hidden_remainder_x
      - .offset:         164
        .size:           2
        .value_kind:     hidden_remainder_y
      - .offset:         166
        .size:           2
        .value_kind:     hidden_remainder_z
      - .offset:         184
        .size:           8
        .value_kind:     hidden_global_offset_x
      - .offset:         192
        .size:           8
        .value_kind:     hidden_global_offset_y
      - .offset:         200
        .size:           8
        .value_kind:     hidden_global_offset_z
      - .offset:         208
        .size:           2
        .value_kind:     hidden_grid_dims
      - .offset:         264
        .size:           4
        .value_kind:     hidden_dynamic_lds_size
    .group_segment_fixed_size: 400
    .kernarg_segment_align: 8
    .kernarg_segment_size: 400
    .language:       OpenCL C
    .language_version:
      - 2
      - 0
    .max_flat_workgroup_size: 1024
    .name:           _ZN4vllm25paged_attention_v2_kernelIffLi96ELi8ELi128ELNS_18Fp8KVCacheDataTypeE0ELb0ELi512EEEvPfS2_PT_PKS3_PKT0_S9_ifPKiSB_iPKfiiiSD_SD_iiiii
    .private_segment_fixed_size: 0
    .sgpr_count:     48
    .sgpr_spill_count: 0
    .symbol:         _ZN4vllm25paged_attention_v2_kernelIffLi96ELi8ELi128ELNS_18Fp8KVCacheDataTypeE0ELb0ELi512EEEvPfS2_PT_PKS3_PKT0_S9_ifPKiSB_iPKfiiiSD_SD_iiiii.kd
    .uniform_work_group_size: 1
    .uses_dynamic_stack: false
    .vgpr_count:     45
    .vgpr_spill_count: 0
    .wavefront_size: 64
  - .agpr_count:     0
    .args:
      - .actual_access:  write_only
        .address_space:  global
        .offset:         0
        .size:           8
        .value_kind:     global_buffer
      - .actual_access:  write_only
        .address_space:  global
        .offset:         8
        .size:           8
        .value_kind:     global_buffer
      - .actual_access:  write_only
        .address_space:  global
        .offset:         16
        .size:           8
        .value_kind:     global_buffer
      - .actual_access:  read_only
        .address_space:  global
        .offset:         24
        .size:           8
        .value_kind:     global_buffer
      - .actual_access:  read_only
        .address_space:  global
        .offset:         32
        .size:           8
        .value_kind:     global_buffer
      - .actual_access:  read_only
        .address_space:  global
        .offset:         40
        .size:           8
        .value_kind:     global_buffer
      - .offset:         48
        .size:           4
        .value_kind:     by_value
      - .offset:         52
        .size:           4
        .value_kind:     by_value
      - .actual_access:  read_only
        .address_space:  global
        .offset:         56
        .size:           8
        .value_kind:     global_buffer
      - .actual_access:  read_only
        .address_space:  global
        .offset:         64
        .size:           8
        .value_kind:     global_buffer
      - .offset:         72
        .size:           4
        .value_kind:     by_value
      - .actual_access:  read_only
        .address_space:  global
        .offset:         80
        .size:           8
        .value_kind:     global_buffer
      - .offset:         88
        .size:           4
        .value_kind:     by_value
      - .offset:         92
        .size:           4
        .value_kind:     by_value
      - .offset:         96
        .size:           4
        .value_kind:     by_value
      - .address_space:  global
        .offset:         104
        .size:           8
        .value_kind:     global_buffer
      - .address_space:  global
        .offset:         112
        .size:           8
        .value_kind:     global_buffer
      - .offset:         120
        .size:           4
        .value_kind:     by_value
      - .offset:         124
        .size:           4
        .value_kind:     by_value
      - .offset:         128
        .size:           4
        .value_kind:     by_value
      - .offset:         132
        .size:           4
        .value_kind:     by_value
      - .offset:         136
        .size:           4
        .value_kind:     by_value
      - .offset:         144
        .size:           4
        .value_kind:     hidden_block_count_x
      - .offset:         148
        .size:           4
        .value_kind:     hidden_block_count_y
      - .offset:         152
        .size:           4
        .value_kind:     hidden_block_count_z
      - .offset:         156
        .size:           2
        .value_kind:     hidden_group_size_x
      - .offset:         158
        .size:           2
        .value_kind:     hidden_group_size_y
      - .offset:         160
        .size:           2
        .value_kind:     hidden_group_size_z
      - .offset:         162
        .size:           2
        .value_kind:     hidden_remainder_x
      - .offset:         164
        .size:           2
        .value_kind:     hidden_remainder_y
      - .offset:         166
        .size:           2
        .value_kind:     hidden_remainder_z
      - .offset:         184
        .size:           8
        .value_kind:     hidden_global_offset_x
      - .offset:         192
        .size:           8
        .value_kind:     hidden_global_offset_y
      - .offset:         200
        .size:           8
        .value_kind:     hidden_global_offset_z
      - .offset:         208
        .size:           2
        .value_kind:     hidden_grid_dims
      - .offset:         264
        .size:           4
        .value_kind:     hidden_dynamic_lds_size
    .group_segment_fixed_size: 464
    .kernarg_segment_align: 8
    .kernarg_segment_size: 400
    .language:       OpenCL C
    .language_version:
      - 2
      - 0
    .max_flat_workgroup_size: 1024
    .name:           _ZN4vllm25paged_attention_v2_kernelIffLi112ELi8ELi128ELNS_18Fp8KVCacheDataTypeE0ELb0ELi512EEEvPfS2_PT_PKS3_PKT0_S9_ifPKiSB_iPKfiiiSD_SD_iiiii
    .private_segment_fixed_size: 0
    .sgpr_count:     48
    .sgpr_spill_count: 0
    .symbol:         _ZN4vllm25paged_attention_v2_kernelIffLi112ELi8ELi128ELNS_18Fp8KVCacheDataTypeE0ELb0ELi512EEEvPfS2_PT_PKS3_PKT0_S9_ifPKiSB_iPKfiiiSD_SD_iiiii.kd
    .uniform_work_group_size: 1
    .uses_dynamic_stack: false
    .vgpr_count:     49
    .vgpr_spill_count: 0
    .wavefront_size: 64
  - .agpr_count:     0
    .args:
      - .actual_access:  write_only
        .address_space:  global
        .offset:         0
        .size:           8
        .value_kind:     global_buffer
      - .actual_access:  write_only
        .address_space:  global
        .offset:         8
        .size:           8
        .value_kind:     global_buffer
      - .actual_access:  write_only
        .address_space:  global
        .offset:         16
        .size:           8
        .value_kind:     global_buffer
      - .actual_access:  read_only
        .address_space:  global
        .offset:         24
        .size:           8
        .value_kind:     global_buffer
      - .actual_access:  read_only
        .address_space:  global
        .offset:         32
        .size:           8
        .value_kind:     global_buffer
      - .actual_access:  read_only
        .address_space:  global
        .offset:         40
        .size:           8
        .value_kind:     global_buffer
      - .offset:         48
        .size:           4
        .value_kind:     by_value
      - .offset:         52
        .size:           4
        .value_kind:     by_value
      - .actual_access:  read_only
        .address_space:  global
        .offset:         56
        .size:           8
        .value_kind:     global_buffer
      - .actual_access:  read_only
        .address_space:  global
        .offset:         64
        .size:           8
        .value_kind:     global_buffer
      - .offset:         72
        .size:           4
        .value_kind:     by_value
      - .actual_access:  read_only
        .address_space:  global
        .offset:         80
        .size:           8
        .value_kind:     global_buffer
      - .offset:         88
        .size:           4
        .value_kind:     by_value
      - .offset:         92
        .size:           4
        .value_kind:     by_value
      - .offset:         96
        .size:           4
        .value_kind:     by_value
      - .address_space:  global
        .offset:         104
        .size:           8
        .value_kind:     global_buffer
      - .address_space:  global
        .offset:         112
        .size:           8
        .value_kind:     global_buffer
      - .offset:         120
        .size:           4
        .value_kind:     by_value
      - .offset:         124
        .size:           4
        .value_kind:     by_value
      - .offset:         128
        .size:           4
        .value_kind:     by_value
      - .offset:         132
        .size:           4
        .value_kind:     by_value
      - .offset:         136
        .size:           4
        .value_kind:     by_value
      - .offset:         144
        .size:           4
        .value_kind:     hidden_block_count_x
      - .offset:         148
        .size:           4
        .value_kind:     hidden_block_count_y
      - .offset:         152
        .size:           4
        .value_kind:     hidden_block_count_z
      - .offset:         156
        .size:           2
        .value_kind:     hidden_group_size_x
      - .offset:         158
        .size:           2
        .value_kind:     hidden_group_size_y
      - .offset:         160
        .size:           2
        .value_kind:     hidden_group_size_z
      - .offset:         162
        .size:           2
        .value_kind:     hidden_remainder_x
      - .offset:         164
        .size:           2
        .value_kind:     hidden_remainder_y
      - .offset:         166
        .size:           2
        .value_kind:     hidden_remainder_z
      - .offset:         184
        .size:           8
        .value_kind:     hidden_global_offset_x
      - .offset:         192
        .size:           8
        .value_kind:     hidden_global_offset_y
      - .offset:         200
        .size:           8
        .value_kind:     hidden_global_offset_z
      - .offset:         208
        .size:           2
        .value_kind:     hidden_grid_dims
      - .offset:         264
        .size:           4
        .value_kind:     hidden_dynamic_lds_size
    .group_segment_fixed_size: 496
    .kernarg_segment_align: 8
    .kernarg_segment_size: 400
    .language:       OpenCL C
    .language_version:
      - 2
      - 0
    .max_flat_workgroup_size: 1024
    .name:           _ZN4vllm25paged_attention_v2_kernelIffLi120ELi8ELi128ELNS_18Fp8KVCacheDataTypeE0ELb0ELi512EEEvPfS2_PT_PKS3_PKT0_S9_ifPKiSB_iPKfiiiSD_SD_iiiii
    .private_segment_fixed_size: 0
    .sgpr_count:     48
    .sgpr_spill_count: 0
    .symbol:         _ZN4vllm25paged_attention_v2_kernelIffLi120ELi8ELi128ELNS_18Fp8KVCacheDataTypeE0ELb0ELi512EEEvPfS2_PT_PKS3_PKT0_S9_ifPKiSB_iPKfiiiSD_SD_iiiii.kd
    .uniform_work_group_size: 1
    .uses_dynamic_stack: false
    .vgpr_count:     51
    .vgpr_spill_count: 0
    .wavefront_size: 64
  - .agpr_count:     0
    .args:
      - .actual_access:  write_only
        .address_space:  global
        .offset:         0
        .size:           8
        .value_kind:     global_buffer
      - .actual_access:  write_only
        .address_space:  global
        .offset:         8
        .size:           8
        .value_kind:     global_buffer
      - .actual_access:  write_only
        .address_space:  global
        .offset:         16
        .size:           8
        .value_kind:     global_buffer
      - .actual_access:  read_only
        .address_space:  global
        .offset:         24
        .size:           8
        .value_kind:     global_buffer
      - .actual_access:  read_only
        .address_space:  global
        .offset:         32
        .size:           8
        .value_kind:     global_buffer
      - .actual_access:  read_only
        .address_space:  global
        .offset:         40
        .size:           8
        .value_kind:     global_buffer
      - .offset:         48
        .size:           4
        .value_kind:     by_value
      - .offset:         52
        .size:           4
        .value_kind:     by_value
      - .actual_access:  read_only
        .address_space:  global
        .offset:         56
        .size:           8
        .value_kind:     global_buffer
      - .actual_access:  read_only
        .address_space:  global
        .offset:         64
        .size:           8
        .value_kind:     global_buffer
      - .offset:         72
        .size:           4
        .value_kind:     by_value
      - .actual_access:  read_only
        .address_space:  global
        .offset:         80
        .size:           8
        .value_kind:     global_buffer
      - .offset:         88
        .size:           4
        .value_kind:     by_value
      - .offset:         92
        .size:           4
        .value_kind:     by_value
      - .offset:         96
        .size:           4
        .value_kind:     by_value
      - .address_space:  global
        .offset:         104
        .size:           8
        .value_kind:     global_buffer
      - .address_space:  global
        .offset:         112
        .size:           8
        .value_kind:     global_buffer
      - .offset:         120
        .size:           4
        .value_kind:     by_value
      - .offset:         124
        .size:           4
        .value_kind:     by_value
      - .offset:         128
        .size:           4
        .value_kind:     by_value
      - .offset:         132
        .size:           4
        .value_kind:     by_value
      - .offset:         136
        .size:           4
        .value_kind:     by_value
      - .offset:         144
        .size:           4
        .value_kind:     hidden_block_count_x
      - .offset:         148
        .size:           4
        .value_kind:     hidden_block_count_y
      - .offset:         152
        .size:           4
        .value_kind:     hidden_block_count_z
      - .offset:         156
        .size:           2
        .value_kind:     hidden_group_size_x
      - .offset:         158
        .size:           2
        .value_kind:     hidden_group_size_y
      - .offset:         160
        .size:           2
        .value_kind:     hidden_group_size_z
      - .offset:         162
        .size:           2
        .value_kind:     hidden_remainder_x
      - .offset:         164
        .size:           2
        .value_kind:     hidden_remainder_y
      - .offset:         166
        .size:           2
        .value_kind:     hidden_remainder_z
      - .offset:         184
        .size:           8
        .value_kind:     hidden_global_offset_x
      - .offset:         192
        .size:           8
        .value_kind:     hidden_global_offset_y
      - .offset:         200
        .size:           8
        .value_kind:     hidden_global_offset_z
      - .offset:         208
        .size:           2
        .value_kind:     hidden_grid_dims
      - .offset:         264
        .size:           4
        .value_kind:     hidden_dynamic_lds_size
    .group_segment_fixed_size: 528
    .kernarg_segment_align: 8
    .kernarg_segment_size: 400
    .language:       OpenCL C
    .language_version:
      - 2
      - 0
    .max_flat_workgroup_size: 1024
    .name:           _ZN4vllm25paged_attention_v2_kernelIffLi128ELi8ELi128ELNS_18Fp8KVCacheDataTypeE0ELb0ELi512EEEvPfS2_PT_PKS3_PKT0_S9_ifPKiSB_iPKfiiiSD_SD_iiiii
    .private_segment_fixed_size: 0
    .sgpr_count:     48
    .sgpr_spill_count: 0
    .symbol:         _ZN4vllm25paged_attention_v2_kernelIffLi128ELi8ELi128ELNS_18Fp8KVCacheDataTypeE0ELb0ELi512EEEvPfS2_PT_PKS3_PKT0_S9_ifPKiSB_iPKfiiiSD_SD_iiiii.kd
    .uniform_work_group_size: 1
    .uses_dynamic_stack: false
    .vgpr_count:     52
    .vgpr_spill_count: 0
    .wavefront_size: 64
  - .agpr_count:     0
    .args:
      - .actual_access:  write_only
        .address_space:  global
        .offset:         0
        .size:           8
        .value_kind:     global_buffer
      - .actual_access:  write_only
        .address_space:  global
        .offset:         8
        .size:           8
        .value_kind:     global_buffer
      - .actual_access:  write_only
        .address_space:  global
        .offset:         16
        .size:           8
        .value_kind:     global_buffer
      - .actual_access:  read_only
        .address_space:  global
        .offset:         24
        .size:           8
        .value_kind:     global_buffer
      - .actual_access:  read_only
        .address_space:  global
        .offset:         32
        .size:           8
        .value_kind:     global_buffer
      - .actual_access:  read_only
        .address_space:  global
        .offset:         40
        .size:           8
        .value_kind:     global_buffer
      - .offset:         48
        .size:           4
        .value_kind:     by_value
      - .offset:         52
        .size:           4
        .value_kind:     by_value
      - .actual_access:  read_only
        .address_space:  global
        .offset:         56
        .size:           8
        .value_kind:     global_buffer
      - .actual_access:  read_only
        .address_space:  global
        .offset:         64
        .size:           8
        .value_kind:     global_buffer
      - .offset:         72
        .size:           4
        .value_kind:     by_value
      - .actual_access:  read_only
        .address_space:  global
        .offset:         80
        .size:           8
        .value_kind:     global_buffer
      - .offset:         88
        .size:           4
        .value_kind:     by_value
      - .offset:         92
        .size:           4
        .value_kind:     by_value
      - .offset:         96
        .size:           4
        .value_kind:     by_value
      - .address_space:  global
        .offset:         104
        .size:           8
        .value_kind:     global_buffer
      - .address_space:  global
        .offset:         112
        .size:           8
        .value_kind:     global_buffer
      - .offset:         120
        .size:           4
        .value_kind:     by_value
      - .offset:         124
        .size:           4
        .value_kind:     by_value
      - .offset:         128
        .size:           4
        .value_kind:     by_value
      - .offset:         132
        .size:           4
        .value_kind:     by_value
      - .offset:         136
        .size:           4
        .value_kind:     by_value
      - .offset:         144
        .size:           4
        .value_kind:     hidden_block_count_x
      - .offset:         148
        .size:           4
        .value_kind:     hidden_block_count_y
      - .offset:         152
        .size:           4
        .value_kind:     hidden_block_count_z
      - .offset:         156
        .size:           2
        .value_kind:     hidden_group_size_x
      - .offset:         158
        .size:           2
        .value_kind:     hidden_group_size_y
      - .offset:         160
        .size:           2
        .value_kind:     hidden_group_size_z
      - .offset:         162
        .size:           2
        .value_kind:     hidden_remainder_x
      - .offset:         164
        .size:           2
        .value_kind:     hidden_remainder_y
      - .offset:         166
        .size:           2
        .value_kind:     hidden_remainder_z
      - .offset:         184
        .size:           8
        .value_kind:     hidden_global_offset_x
      - .offset:         192
        .size:           8
        .value_kind:     hidden_global_offset_y
      - .offset:         200
        .size:           8
        .value_kind:     hidden_global_offset_z
      - .offset:         208
        .size:           2
        .value_kind:     hidden_grid_dims
      - .offset:         264
        .size:           4
        .value_kind:     hidden_dynamic_lds_size
    .group_segment_fixed_size: 784
    .kernarg_segment_align: 8
    .kernarg_segment_size: 400
    .language:       OpenCL C
    .language_version:
      - 2
      - 0
    .max_flat_workgroup_size: 1024
    .name:           _ZN4vllm25paged_attention_v2_kernelIffLi192ELi8ELi128ELNS_18Fp8KVCacheDataTypeE0ELb0ELi512EEEvPfS2_PT_PKS3_PKT0_S9_ifPKiSB_iPKfiiiSD_SD_iiiii
    .private_segment_fixed_size: 0
    .sgpr_count:     50
    .sgpr_spill_count: 0
    .symbol:         _ZN4vllm25paged_attention_v2_kernelIffLi192ELi8ELi128ELNS_18Fp8KVCacheDataTypeE0ELb0ELi512EEEvPfS2_PT_PKS3_PKT0_S9_ifPKiSB_iPKfiiiSD_SD_iiiii.kd
    .uniform_work_group_size: 1
    .uses_dynamic_stack: false
    .vgpr_count:     91
    .vgpr_spill_count: 0
    .wavefront_size: 64
  - .agpr_count:     0
    .args:
      - .actual_access:  write_only
        .address_space:  global
        .offset:         0
        .size:           8
        .value_kind:     global_buffer
      - .actual_access:  write_only
        .address_space:  global
        .offset:         8
        .size:           8
        .value_kind:     global_buffer
      - .actual_access:  write_only
        .address_space:  global
        .offset:         16
        .size:           8
        .value_kind:     global_buffer
      - .actual_access:  read_only
        .address_space:  global
        .offset:         24
        .size:           8
        .value_kind:     global_buffer
      - .actual_access:  read_only
        .address_space:  global
        .offset:         32
        .size:           8
        .value_kind:     global_buffer
      - .actual_access:  read_only
        .address_space:  global
        .offset:         40
        .size:           8
        .value_kind:     global_buffer
      - .offset:         48
        .size:           4
        .value_kind:     by_value
      - .offset:         52
        .size:           4
        .value_kind:     by_value
      - .actual_access:  read_only
        .address_space:  global
        .offset:         56
        .size:           8
        .value_kind:     global_buffer
      - .actual_access:  read_only
        .address_space:  global
        .offset:         64
        .size:           8
        .value_kind:     global_buffer
      - .offset:         72
        .size:           4
        .value_kind:     by_value
      - .actual_access:  read_only
        .address_space:  global
        .offset:         80
        .size:           8
        .value_kind:     global_buffer
      - .offset:         88
        .size:           4
        .value_kind:     by_value
      - .offset:         92
        .size:           4
        .value_kind:     by_value
      - .offset:         96
        .size:           4
        .value_kind:     by_value
      - .address_space:  global
        .offset:         104
        .size:           8
        .value_kind:     global_buffer
      - .address_space:  global
        .offset:         112
        .size:           8
        .value_kind:     global_buffer
      - .offset:         120
        .size:           4
        .value_kind:     by_value
      - .offset:         124
        .size:           4
        .value_kind:     by_value
      - .offset:         128
        .size:           4
        .value_kind:     by_value
      - .offset:         132
        .size:           4
        .value_kind:     by_value
      - .offset:         136
        .size:           4
        .value_kind:     by_value
      - .offset:         144
        .size:           4
        .value_kind:     hidden_block_count_x
      - .offset:         148
        .size:           4
        .value_kind:     hidden_block_count_y
      - .offset:         152
        .size:           4
        .value_kind:     hidden_block_count_z
      - .offset:         156
        .size:           2
        .value_kind:     hidden_group_size_x
      - .offset:         158
        .size:           2
        .value_kind:     hidden_group_size_y
      - .offset:         160
        .size:           2
        .value_kind:     hidden_group_size_z
      - .offset:         162
        .size:           2
        .value_kind:     hidden_remainder_x
      - .offset:         164
        .size:           2
        .value_kind:     hidden_remainder_y
      - .offset:         166
        .size:           2
        .value_kind:     hidden_remainder_z
      - .offset:         184
        .size:           8
        .value_kind:     hidden_global_offset_x
      - .offset:         192
        .size:           8
        .value_kind:     hidden_global_offset_y
      - .offset:         200
        .size:           8
        .value_kind:     hidden_global_offset_z
      - .offset:         208
        .size:           2
        .value_kind:     hidden_grid_dims
      - .offset:         264
        .size:           4
        .value_kind:     hidden_dynamic_lds_size
    .group_segment_fixed_size: 1040
    .kernarg_segment_align: 8
    .kernarg_segment_size: 400
    .language:       OpenCL C
    .language_version:
      - 2
      - 0
    .max_flat_workgroup_size: 1024
    .name:           _ZN4vllm25paged_attention_v2_kernelIffLi256ELi8ELi128ELNS_18Fp8KVCacheDataTypeE0ELb0ELi512EEEvPfS2_PT_PKS3_PKT0_S9_ifPKiSB_iPKfiiiSD_SD_iiiii
    .private_segment_fixed_size: 0
    .sgpr_count:     50
    .sgpr_spill_count: 0
    .symbol:         _ZN4vllm25paged_attention_v2_kernelIffLi256ELi8ELi128ELNS_18Fp8KVCacheDataTypeE0ELb0ELi512EEEvPfS2_PT_PKS3_PKT0_S9_ifPKiSB_iPKfiiiSD_SD_iiiii.kd
    .uniform_work_group_size: 1
    .uses_dynamic_stack: false
    .vgpr_count:     117
    .vgpr_spill_count: 0
    .wavefront_size: 64
  - .agpr_count:     0
    .args:
      - .actual_access:  write_only
        .address_space:  global
        .offset:         0
        .size:           8
        .value_kind:     global_buffer
      - .actual_access:  write_only
        .address_space:  global
        .offset:         8
        .size:           8
        .value_kind:     global_buffer
      - .actual_access:  write_only
        .address_space:  global
        .offset:         16
        .size:           8
        .value_kind:     global_buffer
      - .actual_access:  read_only
        .address_space:  global
        .offset:         24
        .size:           8
        .value_kind:     global_buffer
      - .actual_access:  read_only
        .address_space:  global
        .offset:         32
        .size:           8
        .value_kind:     global_buffer
      - .actual_access:  read_only
        .address_space:  global
        .offset:         40
        .size:           8
        .value_kind:     global_buffer
      - .offset:         48
        .size:           4
        .value_kind:     by_value
      - .offset:         52
        .size:           4
        .value_kind:     by_value
      - .actual_access:  read_only
        .address_space:  global
        .offset:         56
        .size:           8
        .value_kind:     global_buffer
      - .actual_access:  read_only
        .address_space:  global
        .offset:         64
        .size:           8
        .value_kind:     global_buffer
      - .offset:         72
        .size:           4
        .value_kind:     by_value
      - .actual_access:  read_only
        .address_space:  global
        .offset:         80
        .size:           8
        .value_kind:     global_buffer
      - .offset:         88
        .size:           4
        .value_kind:     by_value
      - .offset:         92
        .size:           4
        .value_kind:     by_value
      - .offset:         96
        .size:           4
        .value_kind:     by_value
      - .address_space:  global
        .offset:         104
        .size:           8
        .value_kind:     global_buffer
      - .address_space:  global
        .offset:         112
        .size:           8
        .value_kind:     global_buffer
      - .offset:         120
        .size:           4
        .value_kind:     by_value
      - .offset:         124
        .size:           4
        .value_kind:     by_value
      - .offset:         128
        .size:           4
        .value_kind:     by_value
      - .offset:         132
        .size:           4
        .value_kind:     by_value
      - .offset:         136
        .size:           4
        .value_kind:     by_value
      - .offset:         144
        .size:           4
        .value_kind:     hidden_block_count_x
      - .offset:         148
        .size:           4
        .value_kind:     hidden_block_count_y
      - .offset:         152
        .size:           4
        .value_kind:     hidden_block_count_z
      - .offset:         156
        .size:           2
        .value_kind:     hidden_group_size_x
      - .offset:         158
        .size:           2
        .value_kind:     hidden_group_size_y
      - .offset:         160
        .size:           2
        .value_kind:     hidden_group_size_z
      - .offset:         162
        .size:           2
        .value_kind:     hidden_remainder_x
      - .offset:         164
        .size:           2
        .value_kind:     hidden_remainder_y
      - .offset:         166
        .size:           2
        .value_kind:     hidden_remainder_z
      - .offset:         184
        .size:           8
        .value_kind:     hidden_global_offset_x
      - .offset:         192
        .size:           8
        .value_kind:     hidden_global_offset_y
      - .offset:         200
        .size:           8
        .value_kind:     hidden_global_offset_z
      - .offset:         208
        .size:           2
        .value_kind:     hidden_grid_dims
      - .offset:         264
        .size:           4
        .value_kind:     hidden_dynamic_lds_size
    .group_segment_fixed_size: 144
    .kernarg_segment_align: 8
    .kernarg_segment_size: 400
    .language:       OpenCL C
    .language_version:
      - 2
      - 0
    .max_flat_workgroup_size: 1024
    .name:           _ZN4vllm25paged_attention_v2_kernelIffLi32ELi16ELi128ELNS_18Fp8KVCacheDataTypeE0ELb1ELi512EEEvPfS2_PT_PKS3_PKT0_S9_ifPKiSB_iPKfiiiSD_SD_iiiii
    .private_segment_fixed_size: 0
    .sgpr_count:     58
    .sgpr_spill_count: 0
    .symbol:         _ZN4vllm25paged_attention_v2_kernelIffLi32ELi16ELi128ELNS_18Fp8KVCacheDataTypeE0ELb1ELi512EEEvPfS2_PT_PKS3_PKT0_S9_ifPKiSB_iPKfiiiSD_SD_iiiii.kd
    .uniform_work_group_size: 1
    .uses_dynamic_stack: false
    .vgpr_count:     44
    .vgpr_spill_count: 0
    .wavefront_size: 64
  - .agpr_count:     0
    .args:
      - .actual_access:  write_only
        .address_space:  global
        .offset:         0
        .size:           8
        .value_kind:     global_buffer
      - .actual_access:  write_only
        .address_space:  global
        .offset:         8
        .size:           8
        .value_kind:     global_buffer
      - .actual_access:  write_only
        .address_space:  global
        .offset:         16
        .size:           8
        .value_kind:     global_buffer
      - .actual_access:  read_only
        .address_space:  global
        .offset:         24
        .size:           8
        .value_kind:     global_buffer
      - .actual_access:  read_only
        .address_space:  global
        .offset:         32
        .size:           8
        .value_kind:     global_buffer
      - .actual_access:  read_only
        .address_space:  global
        .offset:         40
        .size:           8
        .value_kind:     global_buffer
      - .offset:         48
        .size:           4
        .value_kind:     by_value
      - .offset:         52
        .size:           4
        .value_kind:     by_value
      - .actual_access:  read_only
        .address_space:  global
        .offset:         56
        .size:           8
        .value_kind:     global_buffer
      - .actual_access:  read_only
        .address_space:  global
        .offset:         64
        .size:           8
        .value_kind:     global_buffer
      - .offset:         72
        .size:           4
        .value_kind:     by_value
      - .actual_access:  read_only
        .address_space:  global
        .offset:         80
        .size:           8
        .value_kind:     global_buffer
      - .offset:         88
        .size:           4
        .value_kind:     by_value
      - .offset:         92
        .size:           4
        .value_kind:     by_value
      - .offset:         96
        .size:           4
        .value_kind:     by_value
      - .address_space:  global
        .offset:         104
        .size:           8
        .value_kind:     global_buffer
      - .address_space:  global
        .offset:         112
        .size:           8
        .value_kind:     global_buffer
      - .offset:         120
        .size:           4
        .value_kind:     by_value
      - .offset:         124
        .size:           4
        .value_kind:     by_value
      - .offset:         128
        .size:           4
        .value_kind:     by_value
      - .offset:         132
        .size:           4
        .value_kind:     by_value
      - .offset:         136
        .size:           4
        .value_kind:     by_value
      - .offset:         144
        .size:           4
        .value_kind:     hidden_block_count_x
      - .offset:         148
        .size:           4
        .value_kind:     hidden_block_count_y
      - .offset:         152
        .size:           4
        .value_kind:     hidden_block_count_z
      - .offset:         156
        .size:           2
        .value_kind:     hidden_group_size_x
      - .offset:         158
        .size:           2
        .value_kind:     hidden_group_size_y
      - .offset:         160
        .size:           2
        .value_kind:     hidden_group_size_z
      - .offset:         162
        .size:           2
        .value_kind:     hidden_remainder_x
      - .offset:         164
        .size:           2
        .value_kind:     hidden_remainder_y
      - .offset:         166
        .size:           2
        .value_kind:     hidden_remainder_z
      - .offset:         184
        .size:           8
        .value_kind:     hidden_global_offset_x
      - .offset:         192
        .size:           8
        .value_kind:     hidden_global_offset_y
      - .offset:         200
        .size:           8
        .value_kind:     hidden_global_offset_z
      - .offset:         208
        .size:           2
        .value_kind:     hidden_grid_dims
      - .offset:         264
        .size:           4
        .value_kind:     hidden_dynamic_lds_size
    .group_segment_fixed_size: 272
    .kernarg_segment_align: 8
    .kernarg_segment_size: 400
    .language:       OpenCL C
    .language_version:
      - 2
      - 0
    .max_flat_workgroup_size: 1024
    .name:           _ZN4vllm25paged_attention_v2_kernelIffLi64ELi16ELi128ELNS_18Fp8KVCacheDataTypeE0ELb1ELi512EEEvPfS2_PT_PKS3_PKT0_S9_ifPKiSB_iPKfiiiSD_SD_iiiii
    .private_segment_fixed_size: 0
    .sgpr_count:     60
    .sgpr_spill_count: 0
    .symbol:         _ZN4vllm25paged_attention_v2_kernelIffLi64ELi16ELi128ELNS_18Fp8KVCacheDataTypeE0ELb1ELi512EEEvPfS2_PT_PKS3_PKT0_S9_ifPKiSB_iPKfiiiSD_SD_iiiii.kd
    .uniform_work_group_size: 1
    .uses_dynamic_stack: false
    .vgpr_count:     60
    .vgpr_spill_count: 0
    .wavefront_size: 64
  - .agpr_count:     0
    .args:
      - .actual_access:  write_only
        .address_space:  global
        .offset:         0
        .size:           8
        .value_kind:     global_buffer
      - .actual_access:  write_only
        .address_space:  global
        .offset:         8
        .size:           8
        .value_kind:     global_buffer
      - .actual_access:  write_only
        .address_space:  global
        .offset:         16
        .size:           8
        .value_kind:     global_buffer
      - .actual_access:  read_only
        .address_space:  global
        .offset:         24
        .size:           8
        .value_kind:     global_buffer
      - .actual_access:  read_only
        .address_space:  global
        .offset:         32
        .size:           8
        .value_kind:     global_buffer
      - .actual_access:  read_only
        .address_space:  global
        .offset:         40
        .size:           8
        .value_kind:     global_buffer
      - .offset:         48
        .size:           4
        .value_kind:     by_value
      - .offset:         52
        .size:           4
        .value_kind:     by_value
      - .actual_access:  read_only
        .address_space:  global
        .offset:         56
        .size:           8
        .value_kind:     global_buffer
      - .actual_access:  read_only
        .address_space:  global
        .offset:         64
        .size:           8
        .value_kind:     global_buffer
      - .offset:         72
        .size:           4
        .value_kind:     by_value
      - .actual_access:  read_only
        .address_space:  global
        .offset:         80
        .size:           8
        .value_kind:     global_buffer
      - .offset:         88
        .size:           4
        .value_kind:     by_value
      - .offset:         92
        .size:           4
        .value_kind:     by_value
      - .offset:         96
        .size:           4
        .value_kind:     by_value
      - .address_space:  global
        .offset:         104
        .size:           8
        .value_kind:     global_buffer
      - .address_space:  global
        .offset:         112
        .size:           8
        .value_kind:     global_buffer
      - .offset:         120
        .size:           4
        .value_kind:     by_value
      - .offset:         124
        .size:           4
        .value_kind:     by_value
      - .offset:         128
        .size:           4
        .value_kind:     by_value
      - .offset:         132
        .size:           4
        .value_kind:     by_value
      - .offset:         136
        .size:           4
        .value_kind:     by_value
      - .offset:         144
        .size:           4
        .value_kind:     hidden_block_count_x
      - .offset:         148
        .size:           4
        .value_kind:     hidden_block_count_y
      - .offset:         152
        .size:           4
        .value_kind:     hidden_block_count_z
      - .offset:         156
        .size:           2
        .value_kind:     hidden_group_size_x
      - .offset:         158
        .size:           2
        .value_kind:     hidden_group_size_y
      - .offset:         160
        .size:           2
        .value_kind:     hidden_group_size_z
      - .offset:         162
        .size:           2
        .value_kind:     hidden_remainder_x
      - .offset:         164
        .size:           2
        .value_kind:     hidden_remainder_y
      - .offset:         166
        .size:           2
        .value_kind:     hidden_remainder_z
      - .offset:         184
        .size:           8
        .value_kind:     hidden_global_offset_x
      - .offset:         192
        .size:           8
        .value_kind:     hidden_global_offset_y
      - .offset:         200
        .size:           8
        .value_kind:     hidden_global_offset_z
      - .offset:         208
        .size:           2
        .value_kind:     hidden_grid_dims
      - .offset:         264
        .size:           4
        .value_kind:     hidden_dynamic_lds_size
    .group_segment_fixed_size: 336
    .kernarg_segment_align: 8
    .kernarg_segment_size: 400
    .language:       OpenCL C
    .language_version:
      - 2
      - 0
    .max_flat_workgroup_size: 1024
    .name:           _ZN4vllm25paged_attention_v2_kernelIffLi80ELi16ELi128ELNS_18Fp8KVCacheDataTypeE0ELb1ELi512EEEvPfS2_PT_PKS3_PKT0_S9_ifPKiSB_iPKfiiiSD_SD_iiiii
    .private_segment_fixed_size: 0
    .sgpr_count:     59
    .sgpr_spill_count: 0
    .symbol:         _ZN4vllm25paged_attention_v2_kernelIffLi80ELi16ELi128ELNS_18Fp8KVCacheDataTypeE0ELb1ELi512EEEvPfS2_PT_PKS3_PKT0_S9_ifPKiSB_iPKfiiiSD_SD_iiiii.kd
    .uniform_work_group_size: 1
    .uses_dynamic_stack: false
    .vgpr_count:     68
    .vgpr_spill_count: 0
    .wavefront_size: 64
  - .agpr_count:     0
    .args:
      - .actual_access:  write_only
        .address_space:  global
        .offset:         0
        .size:           8
        .value_kind:     global_buffer
      - .actual_access:  write_only
        .address_space:  global
        .offset:         8
        .size:           8
        .value_kind:     global_buffer
      - .actual_access:  write_only
        .address_space:  global
        .offset:         16
        .size:           8
        .value_kind:     global_buffer
      - .actual_access:  read_only
        .address_space:  global
        .offset:         24
        .size:           8
        .value_kind:     global_buffer
      - .actual_access:  read_only
        .address_space:  global
        .offset:         32
        .size:           8
        .value_kind:     global_buffer
      - .actual_access:  read_only
        .address_space:  global
        .offset:         40
        .size:           8
        .value_kind:     global_buffer
      - .offset:         48
        .size:           4
        .value_kind:     by_value
      - .offset:         52
        .size:           4
        .value_kind:     by_value
      - .actual_access:  read_only
        .address_space:  global
        .offset:         56
        .size:           8
        .value_kind:     global_buffer
      - .actual_access:  read_only
        .address_space:  global
        .offset:         64
        .size:           8
        .value_kind:     global_buffer
      - .offset:         72
        .size:           4
        .value_kind:     by_value
      - .actual_access:  read_only
        .address_space:  global
        .offset:         80
        .size:           8
        .value_kind:     global_buffer
      - .offset:         88
        .size:           4
        .value_kind:     by_value
      - .offset:         92
        .size:           4
        .value_kind:     by_value
      - .offset:         96
        .size:           4
        .value_kind:     by_value
      - .address_space:  global
        .offset:         104
        .size:           8
        .value_kind:     global_buffer
      - .address_space:  global
        .offset:         112
        .size:           8
        .value_kind:     global_buffer
      - .offset:         120
        .size:           4
        .value_kind:     by_value
      - .offset:         124
        .size:           4
        .value_kind:     by_value
      - .offset:         128
        .size:           4
        .value_kind:     by_value
      - .offset:         132
        .size:           4
        .value_kind:     by_value
      - .offset:         136
        .size:           4
        .value_kind:     by_value
      - .offset:         144
        .size:           4
        .value_kind:     hidden_block_count_x
      - .offset:         148
        .size:           4
        .value_kind:     hidden_block_count_y
      - .offset:         152
        .size:           4
        .value_kind:     hidden_block_count_z
      - .offset:         156
        .size:           2
        .value_kind:     hidden_group_size_x
      - .offset:         158
        .size:           2
        .value_kind:     hidden_group_size_y
      - .offset:         160
        .size:           2
        .value_kind:     hidden_group_size_z
      - .offset:         162
        .size:           2
        .value_kind:     hidden_remainder_x
      - .offset:         164
        .size:           2
        .value_kind:     hidden_remainder_y
      - .offset:         166
        .size:           2
        .value_kind:     hidden_remainder_z
      - .offset:         184
        .size:           8
        .value_kind:     hidden_global_offset_x
      - .offset:         192
        .size:           8
        .value_kind:     hidden_global_offset_y
      - .offset:         200
        .size:           8
        .value_kind:     hidden_global_offset_z
      - .offset:         208
        .size:           2
        .value_kind:     hidden_grid_dims
      - .offset:         264
        .size:           4
        .value_kind:     hidden_dynamic_lds_size
    .group_segment_fixed_size: 400
    .kernarg_segment_align: 8
    .kernarg_segment_size: 400
    .language:       OpenCL C
    .language_version:
      - 2
      - 0
    .max_flat_workgroup_size: 1024
    .name:           _ZN4vllm25paged_attention_v2_kernelIffLi96ELi16ELi128ELNS_18Fp8KVCacheDataTypeE0ELb1ELi512EEEvPfS2_PT_PKS3_PKT0_S9_ifPKiSB_iPKfiiiSD_SD_iiiii
    .private_segment_fixed_size: 0
    .sgpr_count:     59
    .sgpr_spill_count: 0
    .symbol:         _ZN4vllm25paged_attention_v2_kernelIffLi96ELi16ELi128ELNS_18Fp8KVCacheDataTypeE0ELb1ELi512EEEvPfS2_PT_PKS3_PKT0_S9_ifPKiSB_iPKfiiiSD_SD_iiiii.kd
    .uniform_work_group_size: 1
    .uses_dynamic_stack: false
    .vgpr_count:     76
    .vgpr_spill_count: 0
    .wavefront_size: 64
  - .agpr_count:     0
    .args:
      - .actual_access:  write_only
        .address_space:  global
        .offset:         0
        .size:           8
        .value_kind:     global_buffer
      - .actual_access:  write_only
        .address_space:  global
        .offset:         8
        .size:           8
        .value_kind:     global_buffer
      - .actual_access:  write_only
        .address_space:  global
        .offset:         16
        .size:           8
        .value_kind:     global_buffer
      - .actual_access:  read_only
        .address_space:  global
        .offset:         24
        .size:           8
        .value_kind:     global_buffer
      - .actual_access:  read_only
        .address_space:  global
        .offset:         32
        .size:           8
        .value_kind:     global_buffer
      - .actual_access:  read_only
        .address_space:  global
        .offset:         40
        .size:           8
        .value_kind:     global_buffer
      - .offset:         48
        .size:           4
        .value_kind:     by_value
      - .offset:         52
        .size:           4
        .value_kind:     by_value
      - .actual_access:  read_only
        .address_space:  global
        .offset:         56
        .size:           8
        .value_kind:     global_buffer
      - .actual_access:  read_only
        .address_space:  global
        .offset:         64
        .size:           8
        .value_kind:     global_buffer
      - .offset:         72
        .size:           4
        .value_kind:     by_value
      - .actual_access:  read_only
        .address_space:  global
        .offset:         80
        .size:           8
        .value_kind:     global_buffer
      - .offset:         88
        .size:           4
        .value_kind:     by_value
      - .offset:         92
        .size:           4
        .value_kind:     by_value
      - .offset:         96
        .size:           4
        .value_kind:     by_value
      - .address_space:  global
        .offset:         104
        .size:           8
        .value_kind:     global_buffer
      - .address_space:  global
        .offset:         112
        .size:           8
        .value_kind:     global_buffer
      - .offset:         120
        .size:           4
        .value_kind:     by_value
      - .offset:         124
        .size:           4
        .value_kind:     by_value
      - .offset:         128
        .size:           4
        .value_kind:     by_value
      - .offset:         132
        .size:           4
        .value_kind:     by_value
      - .offset:         136
        .size:           4
        .value_kind:     by_value
      - .offset:         144
        .size:           4
        .value_kind:     hidden_block_count_x
      - .offset:         148
        .size:           4
        .value_kind:     hidden_block_count_y
      - .offset:         152
        .size:           4
        .value_kind:     hidden_block_count_z
      - .offset:         156
        .size:           2
        .value_kind:     hidden_group_size_x
      - .offset:         158
        .size:           2
        .value_kind:     hidden_group_size_y
      - .offset:         160
        .size:           2
        .value_kind:     hidden_group_size_z
      - .offset:         162
        .size:           2
        .value_kind:     hidden_remainder_x
      - .offset:         164
        .size:           2
        .value_kind:     hidden_remainder_y
      - .offset:         166
        .size:           2
        .value_kind:     hidden_remainder_z
      - .offset:         184
        .size:           8
        .value_kind:     hidden_global_offset_x
      - .offset:         192
        .size:           8
        .value_kind:     hidden_global_offset_y
      - .offset:         200
        .size:           8
        .value_kind:     hidden_global_offset_z
      - .offset:         208
        .size:           2
        .value_kind:     hidden_grid_dims
      - .offset:         264
        .size:           4
        .value_kind:     hidden_dynamic_lds_size
    .group_segment_fixed_size: 464
    .kernarg_segment_align: 8
    .kernarg_segment_size: 400
    .language:       OpenCL C
    .language_version:
      - 2
      - 0
    .max_flat_workgroup_size: 1024
    .name:           _ZN4vllm25paged_attention_v2_kernelIffLi112ELi16ELi128ELNS_18Fp8KVCacheDataTypeE0ELb1ELi512EEEvPfS2_PT_PKS3_PKT0_S9_ifPKiSB_iPKfiiiSD_SD_iiiii
    .private_segment_fixed_size: 0
    .sgpr_count:     59
    .sgpr_spill_count: 0
    .symbol:         _ZN4vllm25paged_attention_v2_kernelIffLi112ELi16ELi128ELNS_18Fp8KVCacheDataTypeE0ELb1ELi512EEEvPfS2_PT_PKS3_PKT0_S9_ifPKiSB_iPKfiiiSD_SD_iiiii.kd
    .uniform_work_group_size: 1
    .uses_dynamic_stack: false
    .vgpr_count:     84
    .vgpr_spill_count: 0
    .wavefront_size: 64
  - .agpr_count:     0
    .args:
      - .actual_access:  write_only
        .address_space:  global
        .offset:         0
        .size:           8
        .value_kind:     global_buffer
      - .actual_access:  write_only
        .address_space:  global
        .offset:         8
        .size:           8
        .value_kind:     global_buffer
      - .actual_access:  write_only
        .address_space:  global
        .offset:         16
        .size:           8
        .value_kind:     global_buffer
      - .actual_access:  read_only
        .address_space:  global
        .offset:         24
        .size:           8
        .value_kind:     global_buffer
      - .actual_access:  read_only
        .address_space:  global
        .offset:         32
        .size:           8
        .value_kind:     global_buffer
      - .actual_access:  read_only
        .address_space:  global
        .offset:         40
        .size:           8
        .value_kind:     global_buffer
      - .offset:         48
        .size:           4
        .value_kind:     by_value
      - .offset:         52
        .size:           4
        .value_kind:     by_value
      - .actual_access:  read_only
        .address_space:  global
        .offset:         56
        .size:           8
        .value_kind:     global_buffer
      - .actual_access:  read_only
        .address_space:  global
        .offset:         64
        .size:           8
        .value_kind:     global_buffer
      - .offset:         72
        .size:           4
        .value_kind:     by_value
      - .actual_access:  read_only
        .address_space:  global
        .offset:         80
        .size:           8
        .value_kind:     global_buffer
      - .offset:         88
        .size:           4
        .value_kind:     by_value
      - .offset:         92
        .size:           4
        .value_kind:     by_value
      - .offset:         96
        .size:           4
        .value_kind:     by_value
      - .address_space:  global
        .offset:         104
        .size:           8
        .value_kind:     global_buffer
      - .address_space:  global
        .offset:         112
        .size:           8
        .value_kind:     global_buffer
      - .offset:         120
        .size:           4
        .value_kind:     by_value
      - .offset:         124
        .size:           4
        .value_kind:     by_value
      - .offset:         128
        .size:           4
        .value_kind:     by_value
      - .offset:         132
        .size:           4
        .value_kind:     by_value
      - .offset:         136
        .size:           4
        .value_kind:     by_value
      - .offset:         144
        .size:           4
        .value_kind:     hidden_block_count_x
      - .offset:         148
        .size:           4
        .value_kind:     hidden_block_count_y
      - .offset:         152
        .size:           4
        .value_kind:     hidden_block_count_z
      - .offset:         156
        .size:           2
        .value_kind:     hidden_group_size_x
      - .offset:         158
        .size:           2
        .value_kind:     hidden_group_size_y
      - .offset:         160
        .size:           2
        .value_kind:     hidden_group_size_z
      - .offset:         162
        .size:           2
        .value_kind:     hidden_remainder_x
      - .offset:         164
        .size:           2
        .value_kind:     hidden_remainder_y
      - .offset:         166
        .size:           2
        .value_kind:     hidden_remainder_z
      - .offset:         184
        .size:           8
        .value_kind:     hidden_global_offset_x
      - .offset:         192
        .size:           8
        .value_kind:     hidden_global_offset_y
      - .offset:         200
        .size:           8
        .value_kind:     hidden_global_offset_z
      - .offset:         208
        .size:           2
        .value_kind:     hidden_grid_dims
      - .offset:         264
        .size:           4
        .value_kind:     hidden_dynamic_lds_size
    .group_segment_fixed_size: 496
    .kernarg_segment_align: 8
    .kernarg_segment_size: 400
    .language:       OpenCL C
    .language_version:
      - 2
      - 0
    .max_flat_workgroup_size: 1024
    .name:           _ZN4vllm25paged_attention_v2_kernelIffLi120ELi16ELi128ELNS_18Fp8KVCacheDataTypeE0ELb1ELi512EEEvPfS2_PT_PKS3_PKT0_S9_ifPKiSB_iPKfiiiSD_SD_iiiii
    .private_segment_fixed_size: 0
    .sgpr_count:     59
    .sgpr_spill_count: 0
    .symbol:         _ZN4vllm25paged_attention_v2_kernelIffLi120ELi16ELi128ELNS_18Fp8KVCacheDataTypeE0ELb1ELi512EEEvPfS2_PT_PKS3_PKT0_S9_ifPKiSB_iPKfiiiSD_SD_iiiii.kd
    .uniform_work_group_size: 1
    .uses_dynamic_stack: false
    .vgpr_count:     88
    .vgpr_spill_count: 0
    .wavefront_size: 64
  - .agpr_count:     0
    .args:
      - .actual_access:  write_only
        .address_space:  global
        .offset:         0
        .size:           8
        .value_kind:     global_buffer
      - .actual_access:  write_only
        .address_space:  global
        .offset:         8
        .size:           8
        .value_kind:     global_buffer
      - .actual_access:  write_only
        .address_space:  global
        .offset:         16
        .size:           8
        .value_kind:     global_buffer
      - .actual_access:  read_only
        .address_space:  global
        .offset:         24
        .size:           8
        .value_kind:     global_buffer
      - .actual_access:  read_only
        .address_space:  global
        .offset:         32
        .size:           8
        .value_kind:     global_buffer
      - .actual_access:  read_only
        .address_space:  global
        .offset:         40
        .size:           8
        .value_kind:     global_buffer
      - .offset:         48
        .size:           4
        .value_kind:     by_value
      - .offset:         52
        .size:           4
        .value_kind:     by_value
      - .actual_access:  read_only
        .address_space:  global
        .offset:         56
        .size:           8
        .value_kind:     global_buffer
      - .actual_access:  read_only
        .address_space:  global
        .offset:         64
        .size:           8
        .value_kind:     global_buffer
      - .offset:         72
        .size:           4
        .value_kind:     by_value
      - .actual_access:  read_only
        .address_space:  global
        .offset:         80
        .size:           8
        .value_kind:     global_buffer
      - .offset:         88
        .size:           4
        .value_kind:     by_value
      - .offset:         92
        .size:           4
        .value_kind:     by_value
      - .offset:         96
        .size:           4
        .value_kind:     by_value
      - .address_space:  global
        .offset:         104
        .size:           8
        .value_kind:     global_buffer
      - .address_space:  global
        .offset:         112
        .size:           8
        .value_kind:     global_buffer
      - .offset:         120
        .size:           4
        .value_kind:     by_value
      - .offset:         124
        .size:           4
        .value_kind:     by_value
      - .offset:         128
        .size:           4
        .value_kind:     by_value
      - .offset:         132
        .size:           4
        .value_kind:     by_value
      - .offset:         136
        .size:           4
        .value_kind:     by_value
      - .offset:         144
        .size:           4
        .value_kind:     hidden_block_count_x
      - .offset:         148
        .size:           4
        .value_kind:     hidden_block_count_y
      - .offset:         152
        .size:           4
        .value_kind:     hidden_block_count_z
      - .offset:         156
        .size:           2
        .value_kind:     hidden_group_size_x
      - .offset:         158
        .size:           2
        .value_kind:     hidden_group_size_y
      - .offset:         160
        .size:           2
        .value_kind:     hidden_group_size_z
      - .offset:         162
        .size:           2
        .value_kind:     hidden_remainder_x
      - .offset:         164
        .size:           2
        .value_kind:     hidden_remainder_y
      - .offset:         166
        .size:           2
        .value_kind:     hidden_remainder_z
      - .offset:         184
        .size:           8
        .value_kind:     hidden_global_offset_x
      - .offset:         192
        .size:           8
        .value_kind:     hidden_global_offset_y
      - .offset:         200
        .size:           8
        .value_kind:     hidden_global_offset_z
      - .offset:         208
        .size:           2
        .value_kind:     hidden_grid_dims
      - .offset:         264
        .size:           4
        .value_kind:     hidden_dynamic_lds_size
    .group_segment_fixed_size: 528
    .kernarg_segment_align: 8
    .kernarg_segment_size: 400
    .language:       OpenCL C
    .language_version:
      - 2
      - 0
    .max_flat_workgroup_size: 1024
    .name:           _ZN4vllm25paged_attention_v2_kernelIffLi128ELi16ELi128ELNS_18Fp8KVCacheDataTypeE0ELb1ELi512EEEvPfS2_PT_PKS3_PKT0_S9_ifPKiSB_iPKfiiiSD_SD_iiiii
    .private_segment_fixed_size: 0
    .sgpr_count:     59
    .sgpr_spill_count: 0
    .symbol:         _ZN4vllm25paged_attention_v2_kernelIffLi128ELi16ELi128ELNS_18Fp8KVCacheDataTypeE0ELb1ELi512EEEvPfS2_PT_PKS3_PKT0_S9_ifPKiSB_iPKfiiiSD_SD_iiiii.kd
    .uniform_work_group_size: 1
    .uses_dynamic_stack: false
    .vgpr_count:     92
    .vgpr_spill_count: 0
    .wavefront_size: 64
  - .agpr_count:     0
    .args:
      - .actual_access:  write_only
        .address_space:  global
        .offset:         0
        .size:           8
        .value_kind:     global_buffer
      - .actual_access:  write_only
        .address_space:  global
        .offset:         8
        .size:           8
        .value_kind:     global_buffer
      - .actual_access:  write_only
        .address_space:  global
        .offset:         16
        .size:           8
        .value_kind:     global_buffer
      - .actual_access:  read_only
        .address_space:  global
        .offset:         24
        .size:           8
        .value_kind:     global_buffer
      - .actual_access:  read_only
        .address_space:  global
        .offset:         32
        .size:           8
        .value_kind:     global_buffer
      - .actual_access:  read_only
        .address_space:  global
        .offset:         40
        .size:           8
        .value_kind:     global_buffer
      - .offset:         48
        .size:           4
        .value_kind:     by_value
      - .offset:         52
        .size:           4
        .value_kind:     by_value
      - .actual_access:  read_only
        .address_space:  global
        .offset:         56
        .size:           8
        .value_kind:     global_buffer
      - .actual_access:  read_only
        .address_space:  global
        .offset:         64
        .size:           8
        .value_kind:     global_buffer
      - .offset:         72
        .size:           4
        .value_kind:     by_value
      - .actual_access:  read_only
        .address_space:  global
        .offset:         80
        .size:           8
        .value_kind:     global_buffer
      - .offset:         88
        .size:           4
        .value_kind:     by_value
      - .offset:         92
        .size:           4
        .value_kind:     by_value
      - .offset:         96
        .size:           4
        .value_kind:     by_value
      - .address_space:  global
        .offset:         104
        .size:           8
        .value_kind:     global_buffer
      - .address_space:  global
        .offset:         112
        .size:           8
        .value_kind:     global_buffer
      - .offset:         120
        .size:           4
        .value_kind:     by_value
      - .offset:         124
        .size:           4
        .value_kind:     by_value
      - .offset:         128
        .size:           4
        .value_kind:     by_value
      - .offset:         132
        .size:           4
        .value_kind:     by_value
      - .offset:         136
        .size:           4
        .value_kind:     by_value
      - .offset:         144
        .size:           4
        .value_kind:     hidden_block_count_x
      - .offset:         148
        .size:           4
        .value_kind:     hidden_block_count_y
      - .offset:         152
        .size:           4
        .value_kind:     hidden_block_count_z
      - .offset:         156
        .size:           2
        .value_kind:     hidden_group_size_x
      - .offset:         158
        .size:           2
        .value_kind:     hidden_group_size_y
      - .offset:         160
        .size:           2
        .value_kind:     hidden_group_size_z
      - .offset:         162
        .size:           2
        .value_kind:     hidden_remainder_x
      - .offset:         164
        .size:           2
        .value_kind:     hidden_remainder_y
      - .offset:         166
        .size:           2
        .value_kind:     hidden_remainder_z
      - .offset:         184
        .size:           8
        .value_kind:     hidden_global_offset_x
      - .offset:         192
        .size:           8
        .value_kind:     hidden_global_offset_y
      - .offset:         200
        .size:           8
        .value_kind:     hidden_global_offset_z
      - .offset:         208
        .size:           2
        .value_kind:     hidden_grid_dims
      - .offset:         264
        .size:           4
        .value_kind:     hidden_dynamic_lds_size
    .group_segment_fixed_size: 784
    .kernarg_segment_align: 8
    .kernarg_segment_size: 400
    .language:       OpenCL C
    .language_version:
      - 2
      - 0
    .max_flat_workgroup_size: 1024
    .name:           _ZN4vllm25paged_attention_v2_kernelIffLi192ELi16ELi128ELNS_18Fp8KVCacheDataTypeE0ELb1ELi512EEEvPfS2_PT_PKS3_PKT0_S9_ifPKiSB_iPKfiiiSD_SD_iiiii
    .private_segment_fixed_size: 0
    .sgpr_count:     60
    .sgpr_spill_count: 0
    .symbol:         _ZN4vllm25paged_attention_v2_kernelIffLi192ELi16ELi128ELNS_18Fp8KVCacheDataTypeE0ELb1ELi512EEEvPfS2_PT_PKS3_PKT0_S9_ifPKiSB_iPKfiiiSD_SD_iiiii.kd
    .uniform_work_group_size: 1
    .uses_dynamic_stack: false
    .vgpr_count:     108
    .vgpr_spill_count: 0
    .wavefront_size: 64
  - .agpr_count:     0
    .args:
      - .actual_access:  write_only
        .address_space:  global
        .offset:         0
        .size:           8
        .value_kind:     global_buffer
      - .actual_access:  write_only
        .address_space:  global
        .offset:         8
        .size:           8
        .value_kind:     global_buffer
      - .actual_access:  write_only
        .address_space:  global
        .offset:         16
        .size:           8
        .value_kind:     global_buffer
      - .actual_access:  read_only
        .address_space:  global
        .offset:         24
        .size:           8
        .value_kind:     global_buffer
      - .actual_access:  read_only
        .address_space:  global
        .offset:         32
        .size:           8
        .value_kind:     global_buffer
      - .actual_access:  read_only
        .address_space:  global
        .offset:         40
        .size:           8
        .value_kind:     global_buffer
      - .offset:         48
        .size:           4
        .value_kind:     by_value
      - .offset:         52
        .size:           4
        .value_kind:     by_value
      - .actual_access:  read_only
        .address_space:  global
        .offset:         56
        .size:           8
        .value_kind:     global_buffer
      - .actual_access:  read_only
        .address_space:  global
        .offset:         64
        .size:           8
        .value_kind:     global_buffer
      - .offset:         72
        .size:           4
        .value_kind:     by_value
      - .actual_access:  read_only
        .address_space:  global
        .offset:         80
        .size:           8
        .value_kind:     global_buffer
      - .offset:         88
        .size:           4
        .value_kind:     by_value
      - .offset:         92
        .size:           4
        .value_kind:     by_value
      - .offset:         96
        .size:           4
        .value_kind:     by_value
      - .address_space:  global
        .offset:         104
        .size:           8
        .value_kind:     global_buffer
      - .address_space:  global
        .offset:         112
        .size:           8
        .value_kind:     global_buffer
      - .offset:         120
        .size:           4
        .value_kind:     by_value
      - .offset:         124
        .size:           4
        .value_kind:     by_value
      - .offset:         128
        .size:           4
        .value_kind:     by_value
      - .offset:         132
        .size:           4
        .value_kind:     by_value
      - .offset:         136
        .size:           4
        .value_kind:     by_value
      - .offset:         144
        .size:           4
        .value_kind:     hidden_block_count_x
      - .offset:         148
        .size:           4
        .value_kind:     hidden_block_count_y
      - .offset:         152
        .size:           4
        .value_kind:     hidden_block_count_z
      - .offset:         156
        .size:           2
        .value_kind:     hidden_group_size_x
      - .offset:         158
        .size:           2
        .value_kind:     hidden_group_size_y
      - .offset:         160
        .size:           2
        .value_kind:     hidden_group_size_z
      - .offset:         162
        .size:           2
        .value_kind:     hidden_remainder_x
      - .offset:         164
        .size:           2
        .value_kind:     hidden_remainder_y
      - .offset:         166
        .size:           2
        .value_kind:     hidden_remainder_z
      - .offset:         184
        .size:           8
        .value_kind:     hidden_global_offset_x
      - .offset:         192
        .size:           8
        .value_kind:     hidden_global_offset_y
      - .offset:         200
        .size:           8
        .value_kind:     hidden_global_offset_z
      - .offset:         208
        .size:           2
        .value_kind:     hidden_grid_dims
      - .offset:         264
        .size:           4
        .value_kind:     hidden_dynamic_lds_size
    .group_segment_fixed_size: 1040
    .kernarg_segment_align: 8
    .kernarg_segment_size: 400
    .language:       OpenCL C
    .language_version:
      - 2
      - 0
    .max_flat_workgroup_size: 1024
    .name:           _ZN4vllm25paged_attention_v2_kernelIffLi256ELi16ELi128ELNS_18Fp8KVCacheDataTypeE0ELb1ELi512EEEvPfS2_PT_PKS3_PKT0_S9_ifPKiSB_iPKfiiiSD_SD_iiiii
    .private_segment_fixed_size: 0
    .sgpr_count:     61
    .sgpr_spill_count: 0
    .symbol:         _ZN4vllm25paged_attention_v2_kernelIffLi256ELi16ELi128ELNS_18Fp8KVCacheDataTypeE0ELb1ELi512EEEvPfS2_PT_PKS3_PKT0_S9_ifPKiSB_iPKfiiiSD_SD_iiiii.kd
    .uniform_work_group_size: 1
    .uses_dynamic_stack: false
    .vgpr_count:     127
    .vgpr_spill_count: 0
    .wavefront_size: 64
  - .agpr_count:     0
    .args:
      - .actual_access:  write_only
        .address_space:  global
        .offset:         0
        .size:           8
        .value_kind:     global_buffer
      - .actual_access:  write_only
        .address_space:  global
        .offset:         8
        .size:           8
        .value_kind:     global_buffer
      - .actual_access:  write_only
        .address_space:  global
        .offset:         16
        .size:           8
        .value_kind:     global_buffer
      - .actual_access:  read_only
        .address_space:  global
        .offset:         24
        .size:           8
        .value_kind:     global_buffer
      - .actual_access:  read_only
        .address_space:  global
        .offset:         32
        .size:           8
        .value_kind:     global_buffer
      - .actual_access:  read_only
        .address_space:  global
        .offset:         40
        .size:           8
        .value_kind:     global_buffer
      - .offset:         48
        .size:           4
        .value_kind:     by_value
      - .offset:         52
        .size:           4
        .value_kind:     by_value
      - .actual_access:  read_only
        .address_space:  global
        .offset:         56
        .size:           8
        .value_kind:     global_buffer
      - .actual_access:  read_only
        .address_space:  global
        .offset:         64
        .size:           8
        .value_kind:     global_buffer
      - .offset:         72
        .size:           4
        .value_kind:     by_value
      - .actual_access:  read_only
        .address_space:  global
        .offset:         80
        .size:           8
        .value_kind:     global_buffer
      - .offset:         88
        .size:           4
        .value_kind:     by_value
      - .offset:         92
        .size:           4
        .value_kind:     by_value
      - .offset:         96
        .size:           4
        .value_kind:     by_value
      - .address_space:  global
        .offset:         104
        .size:           8
        .value_kind:     global_buffer
      - .address_space:  global
        .offset:         112
        .size:           8
        .value_kind:     global_buffer
      - .offset:         120
        .size:           4
        .value_kind:     by_value
      - .offset:         124
        .size:           4
        .value_kind:     by_value
      - .offset:         128
        .size:           4
        .value_kind:     by_value
      - .offset:         132
        .size:           4
        .value_kind:     by_value
      - .offset:         136
        .size:           4
        .value_kind:     by_value
      - .offset:         144
        .size:           4
        .value_kind:     hidden_block_count_x
      - .offset:         148
        .size:           4
        .value_kind:     hidden_block_count_y
      - .offset:         152
        .size:           4
        .value_kind:     hidden_block_count_z
      - .offset:         156
        .size:           2
        .value_kind:     hidden_group_size_x
      - .offset:         158
        .size:           2
        .value_kind:     hidden_group_size_y
      - .offset:         160
        .size:           2
        .value_kind:     hidden_group_size_z
      - .offset:         162
        .size:           2
        .value_kind:     hidden_remainder_x
      - .offset:         164
        .size:           2
        .value_kind:     hidden_remainder_y
      - .offset:         166
        .size:           2
        .value_kind:     hidden_remainder_z
      - .offset:         184
        .size:           8
        .value_kind:     hidden_global_offset_x
      - .offset:         192
        .size:           8
        .value_kind:     hidden_global_offset_y
      - .offset:         200
        .size:           8
        .value_kind:     hidden_global_offset_z
      - .offset:         208
        .size:           2
        .value_kind:     hidden_grid_dims
      - .offset:         264
        .size:           4
        .value_kind:     hidden_dynamic_lds_size
    .group_segment_fixed_size: 144
    .kernarg_segment_align: 8
    .kernarg_segment_size: 400
    .language:       OpenCL C
    .language_version:
      - 2
      - 0
    .max_flat_workgroup_size: 1024
    .name:           _ZN4vllm25paged_attention_v2_kernelIffLi32ELi16ELi128ELNS_18Fp8KVCacheDataTypeE0ELb0ELi512EEEvPfS2_PT_PKS3_PKT0_S9_ifPKiSB_iPKfiiiSD_SD_iiiii
    .private_segment_fixed_size: 0
    .sgpr_count:     48
    .sgpr_spill_count: 0
    .symbol:         _ZN4vllm25paged_attention_v2_kernelIffLi32ELi16ELi128ELNS_18Fp8KVCacheDataTypeE0ELb0ELi512EEEvPfS2_PT_PKS3_PKT0_S9_ifPKiSB_iPKfiiiSD_SD_iiiii.kd
    .uniform_work_group_size: 1
    .uses_dynamic_stack: false
    .vgpr_count:     38
    .vgpr_spill_count: 0
    .wavefront_size: 64
  - .agpr_count:     0
    .args:
      - .actual_access:  write_only
        .address_space:  global
        .offset:         0
        .size:           8
        .value_kind:     global_buffer
      - .actual_access:  write_only
        .address_space:  global
        .offset:         8
        .size:           8
        .value_kind:     global_buffer
      - .actual_access:  write_only
        .address_space:  global
        .offset:         16
        .size:           8
        .value_kind:     global_buffer
      - .actual_access:  read_only
        .address_space:  global
        .offset:         24
        .size:           8
        .value_kind:     global_buffer
      - .actual_access:  read_only
        .address_space:  global
        .offset:         32
        .size:           8
        .value_kind:     global_buffer
      - .actual_access:  read_only
        .address_space:  global
        .offset:         40
        .size:           8
        .value_kind:     global_buffer
      - .offset:         48
        .size:           4
        .value_kind:     by_value
      - .offset:         52
        .size:           4
        .value_kind:     by_value
      - .actual_access:  read_only
        .address_space:  global
        .offset:         56
        .size:           8
        .value_kind:     global_buffer
      - .actual_access:  read_only
        .address_space:  global
        .offset:         64
        .size:           8
        .value_kind:     global_buffer
      - .offset:         72
        .size:           4
        .value_kind:     by_value
      - .actual_access:  read_only
        .address_space:  global
        .offset:         80
        .size:           8
        .value_kind:     global_buffer
      - .offset:         88
        .size:           4
        .value_kind:     by_value
      - .offset:         92
        .size:           4
        .value_kind:     by_value
      - .offset:         96
        .size:           4
        .value_kind:     by_value
      - .address_space:  global
        .offset:         104
        .size:           8
        .value_kind:     global_buffer
      - .address_space:  global
        .offset:         112
        .size:           8
        .value_kind:     global_buffer
      - .offset:         120
        .size:           4
        .value_kind:     by_value
      - .offset:         124
        .size:           4
        .value_kind:     by_value
      - .offset:         128
        .size:           4
        .value_kind:     by_value
      - .offset:         132
        .size:           4
        .value_kind:     by_value
      - .offset:         136
        .size:           4
        .value_kind:     by_value
      - .offset:         144
        .size:           4
        .value_kind:     hidden_block_count_x
      - .offset:         148
        .size:           4
        .value_kind:     hidden_block_count_y
      - .offset:         152
        .size:           4
        .value_kind:     hidden_block_count_z
      - .offset:         156
        .size:           2
        .value_kind:     hidden_group_size_x
      - .offset:         158
        .size:           2
        .value_kind:     hidden_group_size_y
      - .offset:         160
        .size:           2
        .value_kind:     hidden_group_size_z
      - .offset:         162
        .size:           2
        .value_kind:     hidden_remainder_x
      - .offset:         164
        .size:           2
        .value_kind:     hidden_remainder_y
      - .offset:         166
        .size:           2
        .value_kind:     hidden_remainder_z
      - .offset:         184
        .size:           8
        .value_kind:     hidden_global_offset_x
      - .offset:         192
        .size:           8
        .value_kind:     hidden_global_offset_y
      - .offset:         200
        .size:           8
        .value_kind:     hidden_global_offset_z
      - .offset:         208
        .size:           2
        .value_kind:     hidden_grid_dims
      - .offset:         264
        .size:           4
        .value_kind:     hidden_dynamic_lds_size
    .group_segment_fixed_size: 272
    .kernarg_segment_align: 8
    .kernarg_segment_size: 400
    .language:       OpenCL C
    .language_version:
      - 2
      - 0
    .max_flat_workgroup_size: 1024
    .name:           _ZN4vllm25paged_attention_v2_kernelIffLi64ELi16ELi128ELNS_18Fp8KVCacheDataTypeE0ELb0ELi512EEEvPfS2_PT_PKS3_PKT0_S9_ifPKiSB_iPKfiiiSD_SD_iiiii
    .private_segment_fixed_size: 0
    .sgpr_count:     50
    .sgpr_spill_count: 0
    .symbol:         _ZN4vllm25paged_attention_v2_kernelIffLi64ELi16ELi128ELNS_18Fp8KVCacheDataTypeE0ELb0ELi512EEEvPfS2_PT_PKS3_PKT0_S9_ifPKiSB_iPKfiiiSD_SD_iiiii.kd
    .uniform_work_group_size: 1
    .uses_dynamic_stack: false
    .vgpr_count:     53
    .vgpr_spill_count: 0
    .wavefront_size: 64
  - .agpr_count:     0
    .args:
      - .actual_access:  write_only
        .address_space:  global
        .offset:         0
        .size:           8
        .value_kind:     global_buffer
      - .actual_access:  write_only
        .address_space:  global
        .offset:         8
        .size:           8
        .value_kind:     global_buffer
      - .actual_access:  write_only
        .address_space:  global
        .offset:         16
        .size:           8
        .value_kind:     global_buffer
      - .actual_access:  read_only
        .address_space:  global
        .offset:         24
        .size:           8
        .value_kind:     global_buffer
      - .actual_access:  read_only
        .address_space:  global
        .offset:         32
        .size:           8
        .value_kind:     global_buffer
      - .actual_access:  read_only
        .address_space:  global
        .offset:         40
        .size:           8
        .value_kind:     global_buffer
      - .offset:         48
        .size:           4
        .value_kind:     by_value
      - .offset:         52
        .size:           4
        .value_kind:     by_value
      - .actual_access:  read_only
        .address_space:  global
        .offset:         56
        .size:           8
        .value_kind:     global_buffer
      - .actual_access:  read_only
        .address_space:  global
        .offset:         64
        .size:           8
        .value_kind:     global_buffer
      - .offset:         72
        .size:           4
        .value_kind:     by_value
      - .actual_access:  read_only
        .address_space:  global
        .offset:         80
        .size:           8
        .value_kind:     global_buffer
      - .offset:         88
        .size:           4
        .value_kind:     by_value
      - .offset:         92
        .size:           4
        .value_kind:     by_value
      - .offset:         96
        .size:           4
        .value_kind:     by_value
      - .address_space:  global
        .offset:         104
        .size:           8
        .value_kind:     global_buffer
      - .address_space:  global
        .offset:         112
        .size:           8
        .value_kind:     global_buffer
      - .offset:         120
        .size:           4
        .value_kind:     by_value
      - .offset:         124
        .size:           4
        .value_kind:     by_value
      - .offset:         128
        .size:           4
        .value_kind:     by_value
      - .offset:         132
        .size:           4
        .value_kind:     by_value
      - .offset:         136
        .size:           4
        .value_kind:     by_value
      - .offset:         144
        .size:           4
        .value_kind:     hidden_block_count_x
      - .offset:         148
        .size:           4
        .value_kind:     hidden_block_count_y
      - .offset:         152
        .size:           4
        .value_kind:     hidden_block_count_z
      - .offset:         156
        .size:           2
        .value_kind:     hidden_group_size_x
      - .offset:         158
        .size:           2
        .value_kind:     hidden_group_size_y
      - .offset:         160
        .size:           2
        .value_kind:     hidden_group_size_z
      - .offset:         162
        .size:           2
        .value_kind:     hidden_remainder_x
      - .offset:         164
        .size:           2
        .value_kind:     hidden_remainder_y
      - .offset:         166
        .size:           2
        .value_kind:     hidden_remainder_z
      - .offset:         184
        .size:           8
        .value_kind:     hidden_global_offset_x
      - .offset:         192
        .size:           8
        .value_kind:     hidden_global_offset_y
      - .offset:         200
        .size:           8
        .value_kind:     hidden_global_offset_z
      - .offset:         208
        .size:           2
        .value_kind:     hidden_grid_dims
      - .offset:         264
        .size:           4
        .value_kind:     hidden_dynamic_lds_size
    .group_segment_fixed_size: 336
    .kernarg_segment_align: 8
    .kernarg_segment_size: 400
    .language:       OpenCL C
    .language_version:
      - 2
      - 0
    .max_flat_workgroup_size: 1024
    .name:           _ZN4vllm25paged_attention_v2_kernelIffLi80ELi16ELi128ELNS_18Fp8KVCacheDataTypeE0ELb0ELi512EEEvPfS2_PT_PKS3_PKT0_S9_ifPKiSB_iPKfiiiSD_SD_iiiii
    .private_segment_fixed_size: 0
    .sgpr_count:     49
    .sgpr_spill_count: 0
    .symbol:         _ZN4vllm25paged_attention_v2_kernelIffLi80ELi16ELi128ELNS_18Fp8KVCacheDataTypeE0ELb0ELi512EEEvPfS2_PT_PKS3_PKT0_S9_ifPKiSB_iPKfiiiSD_SD_iiiii.kd
    .uniform_work_group_size: 1
    .uses_dynamic_stack: false
    .vgpr_count:     62
    .vgpr_spill_count: 0
    .wavefront_size: 64
  - .agpr_count:     0
    .args:
      - .actual_access:  write_only
        .address_space:  global
        .offset:         0
        .size:           8
        .value_kind:     global_buffer
      - .actual_access:  write_only
        .address_space:  global
        .offset:         8
        .size:           8
        .value_kind:     global_buffer
      - .actual_access:  write_only
        .address_space:  global
        .offset:         16
        .size:           8
        .value_kind:     global_buffer
      - .actual_access:  read_only
        .address_space:  global
        .offset:         24
        .size:           8
        .value_kind:     global_buffer
      - .actual_access:  read_only
        .address_space:  global
        .offset:         32
        .size:           8
        .value_kind:     global_buffer
      - .actual_access:  read_only
        .address_space:  global
        .offset:         40
        .size:           8
        .value_kind:     global_buffer
      - .offset:         48
        .size:           4
        .value_kind:     by_value
      - .offset:         52
        .size:           4
        .value_kind:     by_value
      - .actual_access:  read_only
        .address_space:  global
        .offset:         56
        .size:           8
        .value_kind:     global_buffer
      - .actual_access:  read_only
        .address_space:  global
        .offset:         64
        .size:           8
        .value_kind:     global_buffer
      - .offset:         72
        .size:           4
        .value_kind:     by_value
      - .actual_access:  read_only
        .address_space:  global
        .offset:         80
        .size:           8
        .value_kind:     global_buffer
      - .offset:         88
        .size:           4
        .value_kind:     by_value
      - .offset:         92
        .size:           4
        .value_kind:     by_value
      - .offset:         96
        .size:           4
        .value_kind:     by_value
      - .address_space:  global
        .offset:         104
        .size:           8
        .value_kind:     global_buffer
      - .address_space:  global
        .offset:         112
        .size:           8
        .value_kind:     global_buffer
      - .offset:         120
        .size:           4
        .value_kind:     by_value
      - .offset:         124
        .size:           4
        .value_kind:     by_value
      - .offset:         128
        .size:           4
        .value_kind:     by_value
      - .offset:         132
        .size:           4
        .value_kind:     by_value
      - .offset:         136
        .size:           4
        .value_kind:     by_value
      - .offset:         144
        .size:           4
        .value_kind:     hidden_block_count_x
      - .offset:         148
        .size:           4
        .value_kind:     hidden_block_count_y
      - .offset:         152
        .size:           4
        .value_kind:     hidden_block_count_z
      - .offset:         156
        .size:           2
        .value_kind:     hidden_group_size_x
      - .offset:         158
        .size:           2
        .value_kind:     hidden_group_size_y
      - .offset:         160
        .size:           2
        .value_kind:     hidden_group_size_z
      - .offset:         162
        .size:           2
        .value_kind:     hidden_remainder_x
      - .offset:         164
        .size:           2
        .value_kind:     hidden_remainder_y
      - .offset:         166
        .size:           2
        .value_kind:     hidden_remainder_z
      - .offset:         184
        .size:           8
        .value_kind:     hidden_global_offset_x
      - .offset:         192
        .size:           8
        .value_kind:     hidden_global_offset_y
      - .offset:         200
        .size:           8
        .value_kind:     hidden_global_offset_z
      - .offset:         208
        .size:           2
        .value_kind:     hidden_grid_dims
      - .offset:         264
        .size:           4
        .value_kind:     hidden_dynamic_lds_size
    .group_segment_fixed_size: 400
    .kernarg_segment_align: 8
    .kernarg_segment_size: 400
    .language:       OpenCL C
    .language_version:
      - 2
      - 0
    .max_flat_workgroup_size: 1024
    .name:           _ZN4vllm25paged_attention_v2_kernelIffLi96ELi16ELi128ELNS_18Fp8KVCacheDataTypeE0ELb0ELi512EEEvPfS2_PT_PKS3_PKT0_S9_ifPKiSB_iPKfiiiSD_SD_iiiii
    .private_segment_fixed_size: 0
    .sgpr_count:     49
    .sgpr_spill_count: 0
    .symbol:         _ZN4vllm25paged_attention_v2_kernelIffLi96ELi16ELi128ELNS_18Fp8KVCacheDataTypeE0ELb0ELi512EEEvPfS2_PT_PKS3_PKT0_S9_ifPKiSB_iPKfiiiSD_SD_iiiii.kd
    .uniform_work_group_size: 1
    .uses_dynamic_stack: false
    .vgpr_count:     69
    .vgpr_spill_count: 0
    .wavefront_size: 64
  - .agpr_count:     0
    .args:
      - .actual_access:  write_only
        .address_space:  global
        .offset:         0
        .size:           8
        .value_kind:     global_buffer
      - .actual_access:  write_only
        .address_space:  global
        .offset:         8
        .size:           8
        .value_kind:     global_buffer
      - .actual_access:  write_only
        .address_space:  global
        .offset:         16
        .size:           8
        .value_kind:     global_buffer
      - .actual_access:  read_only
        .address_space:  global
        .offset:         24
        .size:           8
        .value_kind:     global_buffer
      - .actual_access:  read_only
        .address_space:  global
        .offset:         32
        .size:           8
        .value_kind:     global_buffer
      - .actual_access:  read_only
        .address_space:  global
        .offset:         40
        .size:           8
        .value_kind:     global_buffer
      - .offset:         48
        .size:           4
        .value_kind:     by_value
      - .offset:         52
        .size:           4
        .value_kind:     by_value
      - .actual_access:  read_only
        .address_space:  global
        .offset:         56
        .size:           8
        .value_kind:     global_buffer
      - .actual_access:  read_only
        .address_space:  global
        .offset:         64
        .size:           8
        .value_kind:     global_buffer
      - .offset:         72
        .size:           4
        .value_kind:     by_value
      - .actual_access:  read_only
        .address_space:  global
        .offset:         80
        .size:           8
        .value_kind:     global_buffer
      - .offset:         88
        .size:           4
        .value_kind:     by_value
      - .offset:         92
        .size:           4
        .value_kind:     by_value
      - .offset:         96
        .size:           4
        .value_kind:     by_value
      - .address_space:  global
        .offset:         104
        .size:           8
        .value_kind:     global_buffer
      - .address_space:  global
        .offset:         112
        .size:           8
        .value_kind:     global_buffer
      - .offset:         120
        .size:           4
        .value_kind:     by_value
      - .offset:         124
        .size:           4
        .value_kind:     by_value
      - .offset:         128
        .size:           4
        .value_kind:     by_value
      - .offset:         132
        .size:           4
        .value_kind:     by_value
      - .offset:         136
        .size:           4
        .value_kind:     by_value
      - .offset:         144
        .size:           4
        .value_kind:     hidden_block_count_x
      - .offset:         148
        .size:           4
        .value_kind:     hidden_block_count_y
      - .offset:         152
        .size:           4
        .value_kind:     hidden_block_count_z
      - .offset:         156
        .size:           2
        .value_kind:     hidden_group_size_x
      - .offset:         158
        .size:           2
        .value_kind:     hidden_group_size_y
      - .offset:         160
        .size:           2
        .value_kind:     hidden_group_size_z
      - .offset:         162
        .size:           2
        .value_kind:     hidden_remainder_x
      - .offset:         164
        .size:           2
        .value_kind:     hidden_remainder_y
      - .offset:         166
        .size:           2
        .value_kind:     hidden_remainder_z
      - .offset:         184
        .size:           8
        .value_kind:     hidden_global_offset_x
      - .offset:         192
        .size:           8
        .value_kind:     hidden_global_offset_y
      - .offset:         200
        .size:           8
        .value_kind:     hidden_global_offset_z
      - .offset:         208
        .size:           2
        .value_kind:     hidden_grid_dims
      - .offset:         264
        .size:           4
        .value_kind:     hidden_dynamic_lds_size
    .group_segment_fixed_size: 464
    .kernarg_segment_align: 8
    .kernarg_segment_size: 400
    .language:       OpenCL C
    .language_version:
      - 2
      - 0
    .max_flat_workgroup_size: 1024
    .name:           _ZN4vllm25paged_attention_v2_kernelIffLi112ELi16ELi128ELNS_18Fp8KVCacheDataTypeE0ELb0ELi512EEEvPfS2_PT_PKS3_PKT0_S9_ifPKiSB_iPKfiiiSD_SD_iiiii
    .private_segment_fixed_size: 0
    .sgpr_count:     49
    .sgpr_spill_count: 0
    .symbol:         _ZN4vllm25paged_attention_v2_kernelIffLi112ELi16ELi128ELNS_18Fp8KVCacheDataTypeE0ELb0ELi512EEEvPfS2_PT_PKS3_PKT0_S9_ifPKiSB_iPKfiiiSD_SD_iiiii.kd
    .uniform_work_group_size: 1
    .uses_dynamic_stack: false
    .vgpr_count:     77
    .vgpr_spill_count: 0
    .wavefront_size: 64
  - .agpr_count:     0
    .args:
      - .actual_access:  write_only
        .address_space:  global
        .offset:         0
        .size:           8
        .value_kind:     global_buffer
      - .actual_access:  write_only
        .address_space:  global
        .offset:         8
        .size:           8
        .value_kind:     global_buffer
      - .actual_access:  write_only
        .address_space:  global
        .offset:         16
        .size:           8
        .value_kind:     global_buffer
      - .actual_access:  read_only
        .address_space:  global
        .offset:         24
        .size:           8
        .value_kind:     global_buffer
      - .actual_access:  read_only
        .address_space:  global
        .offset:         32
        .size:           8
        .value_kind:     global_buffer
      - .actual_access:  read_only
        .address_space:  global
        .offset:         40
        .size:           8
        .value_kind:     global_buffer
      - .offset:         48
        .size:           4
        .value_kind:     by_value
      - .offset:         52
        .size:           4
        .value_kind:     by_value
      - .actual_access:  read_only
        .address_space:  global
        .offset:         56
        .size:           8
        .value_kind:     global_buffer
      - .actual_access:  read_only
        .address_space:  global
        .offset:         64
        .size:           8
        .value_kind:     global_buffer
      - .offset:         72
        .size:           4
        .value_kind:     by_value
      - .actual_access:  read_only
        .address_space:  global
        .offset:         80
        .size:           8
        .value_kind:     global_buffer
      - .offset:         88
        .size:           4
        .value_kind:     by_value
      - .offset:         92
        .size:           4
        .value_kind:     by_value
      - .offset:         96
        .size:           4
        .value_kind:     by_value
      - .address_space:  global
        .offset:         104
        .size:           8
        .value_kind:     global_buffer
      - .address_space:  global
        .offset:         112
        .size:           8
        .value_kind:     global_buffer
      - .offset:         120
        .size:           4
        .value_kind:     by_value
      - .offset:         124
        .size:           4
        .value_kind:     by_value
      - .offset:         128
        .size:           4
        .value_kind:     by_value
      - .offset:         132
        .size:           4
        .value_kind:     by_value
      - .offset:         136
        .size:           4
        .value_kind:     by_value
      - .offset:         144
        .size:           4
        .value_kind:     hidden_block_count_x
      - .offset:         148
        .size:           4
        .value_kind:     hidden_block_count_y
      - .offset:         152
        .size:           4
        .value_kind:     hidden_block_count_z
      - .offset:         156
        .size:           2
        .value_kind:     hidden_group_size_x
      - .offset:         158
        .size:           2
        .value_kind:     hidden_group_size_y
      - .offset:         160
        .size:           2
        .value_kind:     hidden_group_size_z
      - .offset:         162
        .size:           2
        .value_kind:     hidden_remainder_x
      - .offset:         164
        .size:           2
        .value_kind:     hidden_remainder_y
      - .offset:         166
        .size:           2
        .value_kind:     hidden_remainder_z
      - .offset:         184
        .size:           8
        .value_kind:     hidden_global_offset_x
      - .offset:         192
        .size:           8
        .value_kind:     hidden_global_offset_y
      - .offset:         200
        .size:           8
        .value_kind:     hidden_global_offset_z
      - .offset:         208
        .size:           2
        .value_kind:     hidden_grid_dims
      - .offset:         264
        .size:           4
        .value_kind:     hidden_dynamic_lds_size
    .group_segment_fixed_size: 496
    .kernarg_segment_align: 8
    .kernarg_segment_size: 400
    .language:       OpenCL C
    .language_version:
      - 2
      - 0
    .max_flat_workgroup_size: 1024
    .name:           _ZN4vllm25paged_attention_v2_kernelIffLi120ELi16ELi128ELNS_18Fp8KVCacheDataTypeE0ELb0ELi512EEEvPfS2_PT_PKS3_PKT0_S9_ifPKiSB_iPKfiiiSD_SD_iiiii
    .private_segment_fixed_size: 0
    .sgpr_count:     49
    .sgpr_spill_count: 0
    .symbol:         _ZN4vllm25paged_attention_v2_kernelIffLi120ELi16ELi128ELNS_18Fp8KVCacheDataTypeE0ELb0ELi512EEEvPfS2_PT_PKS3_PKT0_S9_ifPKiSB_iPKfiiiSD_SD_iiiii.kd
    .uniform_work_group_size: 1
    .uses_dynamic_stack: false
    .vgpr_count:     81
    .vgpr_spill_count: 0
    .wavefront_size: 64
  - .agpr_count:     0
    .args:
      - .actual_access:  write_only
        .address_space:  global
        .offset:         0
        .size:           8
        .value_kind:     global_buffer
      - .actual_access:  write_only
        .address_space:  global
        .offset:         8
        .size:           8
        .value_kind:     global_buffer
      - .actual_access:  write_only
        .address_space:  global
        .offset:         16
        .size:           8
        .value_kind:     global_buffer
      - .actual_access:  read_only
        .address_space:  global
        .offset:         24
        .size:           8
        .value_kind:     global_buffer
      - .actual_access:  read_only
        .address_space:  global
        .offset:         32
        .size:           8
        .value_kind:     global_buffer
      - .actual_access:  read_only
        .address_space:  global
        .offset:         40
        .size:           8
        .value_kind:     global_buffer
      - .offset:         48
        .size:           4
        .value_kind:     by_value
      - .offset:         52
        .size:           4
        .value_kind:     by_value
      - .actual_access:  read_only
        .address_space:  global
        .offset:         56
        .size:           8
        .value_kind:     global_buffer
      - .actual_access:  read_only
        .address_space:  global
        .offset:         64
        .size:           8
        .value_kind:     global_buffer
      - .offset:         72
        .size:           4
        .value_kind:     by_value
      - .actual_access:  read_only
        .address_space:  global
        .offset:         80
        .size:           8
        .value_kind:     global_buffer
      - .offset:         88
        .size:           4
        .value_kind:     by_value
      - .offset:         92
        .size:           4
        .value_kind:     by_value
      - .offset:         96
        .size:           4
        .value_kind:     by_value
      - .address_space:  global
        .offset:         104
        .size:           8
        .value_kind:     global_buffer
      - .address_space:  global
        .offset:         112
        .size:           8
        .value_kind:     global_buffer
      - .offset:         120
        .size:           4
        .value_kind:     by_value
      - .offset:         124
        .size:           4
        .value_kind:     by_value
      - .offset:         128
        .size:           4
        .value_kind:     by_value
      - .offset:         132
        .size:           4
        .value_kind:     by_value
      - .offset:         136
        .size:           4
        .value_kind:     by_value
      - .offset:         144
        .size:           4
        .value_kind:     hidden_block_count_x
      - .offset:         148
        .size:           4
        .value_kind:     hidden_block_count_y
      - .offset:         152
        .size:           4
        .value_kind:     hidden_block_count_z
      - .offset:         156
        .size:           2
        .value_kind:     hidden_group_size_x
      - .offset:         158
        .size:           2
        .value_kind:     hidden_group_size_y
      - .offset:         160
        .size:           2
        .value_kind:     hidden_group_size_z
      - .offset:         162
        .size:           2
        .value_kind:     hidden_remainder_x
      - .offset:         164
        .size:           2
        .value_kind:     hidden_remainder_y
      - .offset:         166
        .size:           2
        .value_kind:     hidden_remainder_z
      - .offset:         184
        .size:           8
        .value_kind:     hidden_global_offset_x
      - .offset:         192
        .size:           8
        .value_kind:     hidden_global_offset_y
      - .offset:         200
        .size:           8
        .value_kind:     hidden_global_offset_z
      - .offset:         208
        .size:           2
        .value_kind:     hidden_grid_dims
      - .offset:         264
        .size:           4
        .value_kind:     hidden_dynamic_lds_size
    .group_segment_fixed_size: 528
    .kernarg_segment_align: 8
    .kernarg_segment_size: 400
    .language:       OpenCL C
    .language_version:
      - 2
      - 0
    .max_flat_workgroup_size: 1024
    .name:           _ZN4vllm25paged_attention_v2_kernelIffLi128ELi16ELi128ELNS_18Fp8KVCacheDataTypeE0ELb0ELi512EEEvPfS2_PT_PKS3_PKT0_S9_ifPKiSB_iPKfiiiSD_SD_iiiii
    .private_segment_fixed_size: 0
    .sgpr_count:     49
    .sgpr_spill_count: 0
    .symbol:         _ZN4vllm25paged_attention_v2_kernelIffLi128ELi16ELi128ELNS_18Fp8KVCacheDataTypeE0ELb0ELi512EEEvPfS2_PT_PKS3_PKT0_S9_ifPKiSB_iPKfiiiSD_SD_iiiii.kd
    .uniform_work_group_size: 1
    .uses_dynamic_stack: false
    .vgpr_count:     85
    .vgpr_spill_count: 0
    .wavefront_size: 64
  - .agpr_count:     0
    .args:
      - .actual_access:  write_only
        .address_space:  global
        .offset:         0
        .size:           8
        .value_kind:     global_buffer
      - .actual_access:  write_only
        .address_space:  global
        .offset:         8
        .size:           8
        .value_kind:     global_buffer
      - .actual_access:  write_only
        .address_space:  global
        .offset:         16
        .size:           8
        .value_kind:     global_buffer
      - .actual_access:  read_only
        .address_space:  global
        .offset:         24
        .size:           8
        .value_kind:     global_buffer
      - .actual_access:  read_only
        .address_space:  global
        .offset:         32
        .size:           8
        .value_kind:     global_buffer
      - .actual_access:  read_only
        .address_space:  global
        .offset:         40
        .size:           8
        .value_kind:     global_buffer
      - .offset:         48
        .size:           4
        .value_kind:     by_value
      - .offset:         52
        .size:           4
        .value_kind:     by_value
      - .actual_access:  read_only
        .address_space:  global
        .offset:         56
        .size:           8
        .value_kind:     global_buffer
      - .actual_access:  read_only
        .address_space:  global
        .offset:         64
        .size:           8
        .value_kind:     global_buffer
      - .offset:         72
        .size:           4
        .value_kind:     by_value
      - .actual_access:  read_only
        .address_space:  global
        .offset:         80
        .size:           8
        .value_kind:     global_buffer
      - .offset:         88
        .size:           4
        .value_kind:     by_value
      - .offset:         92
        .size:           4
        .value_kind:     by_value
      - .offset:         96
        .size:           4
        .value_kind:     by_value
      - .address_space:  global
        .offset:         104
        .size:           8
        .value_kind:     global_buffer
      - .address_space:  global
        .offset:         112
        .size:           8
        .value_kind:     global_buffer
      - .offset:         120
        .size:           4
        .value_kind:     by_value
      - .offset:         124
        .size:           4
        .value_kind:     by_value
      - .offset:         128
        .size:           4
        .value_kind:     by_value
      - .offset:         132
        .size:           4
        .value_kind:     by_value
      - .offset:         136
        .size:           4
        .value_kind:     by_value
      - .offset:         144
        .size:           4
        .value_kind:     hidden_block_count_x
      - .offset:         148
        .size:           4
        .value_kind:     hidden_block_count_y
      - .offset:         152
        .size:           4
        .value_kind:     hidden_block_count_z
      - .offset:         156
        .size:           2
        .value_kind:     hidden_group_size_x
      - .offset:         158
        .size:           2
        .value_kind:     hidden_group_size_y
      - .offset:         160
        .size:           2
        .value_kind:     hidden_group_size_z
      - .offset:         162
        .size:           2
        .value_kind:     hidden_remainder_x
      - .offset:         164
        .size:           2
        .value_kind:     hidden_remainder_y
      - .offset:         166
        .size:           2
        .value_kind:     hidden_remainder_z
      - .offset:         184
        .size:           8
        .value_kind:     hidden_global_offset_x
      - .offset:         192
        .size:           8
        .value_kind:     hidden_global_offset_y
      - .offset:         200
        .size:           8
        .value_kind:     hidden_global_offset_z
      - .offset:         208
        .size:           2
        .value_kind:     hidden_grid_dims
      - .offset:         264
        .size:           4
        .value_kind:     hidden_dynamic_lds_size
    .group_segment_fixed_size: 784
    .kernarg_segment_align: 8
    .kernarg_segment_size: 400
    .language:       OpenCL C
    .language_version:
      - 2
      - 0
    .max_flat_workgroup_size: 1024
    .name:           _ZN4vllm25paged_attention_v2_kernelIffLi192ELi16ELi128ELNS_18Fp8KVCacheDataTypeE0ELb0ELi512EEEvPfS2_PT_PKS3_PKT0_S9_ifPKiSB_iPKfiiiSD_SD_iiiii
    .private_segment_fixed_size: 0
    .sgpr_count:     50
    .sgpr_spill_count: 0
    .symbol:         _ZN4vllm25paged_attention_v2_kernelIffLi192ELi16ELi128ELNS_18Fp8KVCacheDataTypeE0ELb0ELi512EEEvPfS2_PT_PKS3_PKT0_S9_ifPKiSB_iPKfiiiSD_SD_iiiii.kd
    .uniform_work_group_size: 1
    .uses_dynamic_stack: false
    .vgpr_count:     116
    .vgpr_spill_count: 0
    .wavefront_size: 64
  - .agpr_count:     0
    .args:
      - .actual_access:  write_only
        .address_space:  global
        .offset:         0
        .size:           8
        .value_kind:     global_buffer
      - .actual_access:  write_only
        .address_space:  global
        .offset:         8
        .size:           8
        .value_kind:     global_buffer
      - .actual_access:  write_only
        .address_space:  global
        .offset:         16
        .size:           8
        .value_kind:     global_buffer
      - .actual_access:  read_only
        .address_space:  global
        .offset:         24
        .size:           8
        .value_kind:     global_buffer
      - .actual_access:  read_only
        .address_space:  global
        .offset:         32
        .size:           8
        .value_kind:     global_buffer
      - .actual_access:  read_only
        .address_space:  global
        .offset:         40
        .size:           8
        .value_kind:     global_buffer
      - .offset:         48
        .size:           4
        .value_kind:     by_value
      - .offset:         52
        .size:           4
        .value_kind:     by_value
      - .actual_access:  read_only
        .address_space:  global
        .offset:         56
        .size:           8
        .value_kind:     global_buffer
      - .actual_access:  read_only
        .address_space:  global
        .offset:         64
        .size:           8
        .value_kind:     global_buffer
      - .offset:         72
        .size:           4
        .value_kind:     by_value
      - .actual_access:  read_only
        .address_space:  global
        .offset:         80
        .size:           8
        .value_kind:     global_buffer
      - .offset:         88
        .size:           4
        .value_kind:     by_value
      - .offset:         92
        .size:           4
        .value_kind:     by_value
      - .offset:         96
        .size:           4
        .value_kind:     by_value
      - .address_space:  global
        .offset:         104
        .size:           8
        .value_kind:     global_buffer
      - .address_space:  global
        .offset:         112
        .size:           8
        .value_kind:     global_buffer
      - .offset:         120
        .size:           4
        .value_kind:     by_value
      - .offset:         124
        .size:           4
        .value_kind:     by_value
      - .offset:         128
        .size:           4
        .value_kind:     by_value
      - .offset:         132
        .size:           4
        .value_kind:     by_value
      - .offset:         136
        .size:           4
        .value_kind:     by_value
      - .offset:         144
        .size:           4
        .value_kind:     hidden_block_count_x
      - .offset:         148
        .size:           4
        .value_kind:     hidden_block_count_y
      - .offset:         152
        .size:           4
        .value_kind:     hidden_block_count_z
      - .offset:         156
        .size:           2
        .value_kind:     hidden_group_size_x
      - .offset:         158
        .size:           2
        .value_kind:     hidden_group_size_y
      - .offset:         160
        .size:           2
        .value_kind:     hidden_group_size_z
      - .offset:         162
        .size:           2
        .value_kind:     hidden_remainder_x
      - .offset:         164
        .size:           2
        .value_kind:     hidden_remainder_y
      - .offset:         166
        .size:           2
        .value_kind:     hidden_remainder_z
      - .offset:         184
        .size:           8
        .value_kind:     hidden_global_offset_x
      - .offset:         192
        .size:           8
        .value_kind:     hidden_global_offset_y
      - .offset:         200
        .size:           8
        .value_kind:     hidden_global_offset_z
      - .offset:         208
        .size:           2
        .value_kind:     hidden_grid_dims
      - .offset:         264
        .size:           4
        .value_kind:     hidden_dynamic_lds_size
    .group_segment_fixed_size: 1040
    .kernarg_segment_align: 8
    .kernarg_segment_size: 400
    .language:       OpenCL C
    .language_version:
      - 2
      - 0
    .max_flat_workgroup_size: 1024
    .name:           _ZN4vllm25paged_attention_v2_kernelIffLi256ELi16ELi128ELNS_18Fp8KVCacheDataTypeE0ELb0ELi512EEEvPfS2_PT_PKS3_PKT0_S9_ifPKiSB_iPKfiiiSD_SD_iiiii
    .private_segment_fixed_size: 92
    .sgpr_count:     51
    .sgpr_spill_count: 0
    .symbol:         _ZN4vllm25paged_attention_v2_kernelIffLi256ELi16ELi128ELNS_18Fp8KVCacheDataTypeE0ELb0ELi512EEEvPfS2_PT_PKS3_PKT0_S9_ifPKiSB_iPKfiiiSD_SD_iiiii.kd
    .uniform_work_group_size: 1
    .uses_dynamic_stack: false
    .vgpr_count:     128
    .vgpr_spill_count: 23
    .wavefront_size: 64
  - .agpr_count:     0
    .args:
      - .actual_access:  write_only
        .address_space:  global
        .offset:         0
        .size:           8
        .value_kind:     global_buffer
      - .actual_access:  write_only
        .address_space:  global
        .offset:         8
        .size:           8
        .value_kind:     global_buffer
      - .actual_access:  write_only
        .address_space:  global
        .offset:         16
        .size:           8
        .value_kind:     global_buffer
      - .actual_access:  read_only
        .address_space:  global
        .offset:         24
        .size:           8
        .value_kind:     global_buffer
      - .actual_access:  read_only
        .address_space:  global
        .offset:         32
        .size:           8
        .value_kind:     global_buffer
      - .actual_access:  read_only
        .address_space:  global
        .offset:         40
        .size:           8
        .value_kind:     global_buffer
      - .offset:         48
        .size:           4
        .value_kind:     by_value
      - .offset:         52
        .size:           4
        .value_kind:     by_value
      - .actual_access:  read_only
        .address_space:  global
        .offset:         56
        .size:           8
        .value_kind:     global_buffer
      - .actual_access:  read_only
        .address_space:  global
        .offset:         64
        .size:           8
        .value_kind:     global_buffer
      - .offset:         72
        .size:           4
        .value_kind:     by_value
      - .actual_access:  read_only
        .address_space:  global
        .offset:         80
        .size:           8
        .value_kind:     global_buffer
      - .offset:         88
        .size:           4
        .value_kind:     by_value
      - .offset:         92
        .size:           4
        .value_kind:     by_value
      - .offset:         96
        .size:           4
        .value_kind:     by_value
      - .address_space:  global
        .offset:         104
        .size:           8
        .value_kind:     global_buffer
      - .address_space:  global
        .offset:         112
        .size:           8
        .value_kind:     global_buffer
      - .offset:         120
        .size:           4
        .value_kind:     by_value
      - .offset:         124
        .size:           4
        .value_kind:     by_value
      - .offset:         128
        .size:           4
        .value_kind:     by_value
      - .offset:         132
        .size:           4
        .value_kind:     by_value
      - .offset:         136
        .size:           4
        .value_kind:     by_value
      - .offset:         144
        .size:           4
        .value_kind:     hidden_block_count_x
      - .offset:         148
        .size:           4
        .value_kind:     hidden_block_count_y
      - .offset:         152
        .size:           4
        .value_kind:     hidden_block_count_z
      - .offset:         156
        .size:           2
        .value_kind:     hidden_group_size_x
      - .offset:         158
        .size:           2
        .value_kind:     hidden_group_size_y
      - .offset:         160
        .size:           2
        .value_kind:     hidden_group_size_z
      - .offset:         162
        .size:           2
        .value_kind:     hidden_remainder_x
      - .offset:         164
        .size:           2
        .value_kind:     hidden_remainder_y
      - .offset:         166
        .size:           2
        .value_kind:     hidden_remainder_z
      - .offset:         184
        .size:           8
        .value_kind:     hidden_global_offset_x
      - .offset:         192
        .size:           8
        .value_kind:     hidden_global_offset_y
      - .offset:         200
        .size:           8
        .value_kind:     hidden_global_offset_z
      - .offset:         208
        .size:           2
        .value_kind:     hidden_grid_dims
      - .offset:         264
        .size:           4
        .value_kind:     hidden_dynamic_lds_size
    .group_segment_fixed_size: 144
    .kernarg_segment_align: 8
    .kernarg_segment_size: 400
    .language:       OpenCL C
    .language_version:
      - 2
      - 0
    .max_flat_workgroup_size: 1024
    .name:           _ZN4vllm25paged_attention_v2_kernelIffLi32ELi32ELi128ELNS_18Fp8KVCacheDataTypeE0ELb1ELi512EEEvPfS2_PT_PKS3_PKT0_S9_ifPKiSB_iPKfiiiSD_SD_iiiii
    .private_segment_fixed_size: 0
    .sgpr_count:     58
    .sgpr_spill_count: 0
    .symbol:         _ZN4vllm25paged_attention_v2_kernelIffLi32ELi32ELi128ELNS_18Fp8KVCacheDataTypeE0ELb1ELi512EEEvPfS2_PT_PKS3_PKT0_S9_ifPKiSB_iPKfiiiSD_SD_iiiii.kd
    .uniform_work_group_size: 1
    .uses_dynamic_stack: false
    .vgpr_count:     57
    .vgpr_spill_count: 0
    .wavefront_size: 64
  - .agpr_count:     0
    .args:
      - .actual_access:  write_only
        .address_space:  global
        .offset:         0
        .size:           8
        .value_kind:     global_buffer
      - .actual_access:  write_only
        .address_space:  global
        .offset:         8
        .size:           8
        .value_kind:     global_buffer
      - .actual_access:  write_only
        .address_space:  global
        .offset:         16
        .size:           8
        .value_kind:     global_buffer
      - .actual_access:  read_only
        .address_space:  global
        .offset:         24
        .size:           8
        .value_kind:     global_buffer
      - .actual_access:  read_only
        .address_space:  global
        .offset:         32
        .size:           8
        .value_kind:     global_buffer
      - .actual_access:  read_only
        .address_space:  global
        .offset:         40
        .size:           8
        .value_kind:     global_buffer
      - .offset:         48
        .size:           4
        .value_kind:     by_value
      - .offset:         52
        .size:           4
        .value_kind:     by_value
      - .actual_access:  read_only
        .address_space:  global
        .offset:         56
        .size:           8
        .value_kind:     global_buffer
      - .actual_access:  read_only
        .address_space:  global
        .offset:         64
        .size:           8
        .value_kind:     global_buffer
      - .offset:         72
        .size:           4
        .value_kind:     by_value
      - .actual_access:  read_only
        .address_space:  global
        .offset:         80
        .size:           8
        .value_kind:     global_buffer
      - .offset:         88
        .size:           4
        .value_kind:     by_value
      - .offset:         92
        .size:           4
        .value_kind:     by_value
      - .offset:         96
        .size:           4
        .value_kind:     by_value
      - .address_space:  global
        .offset:         104
        .size:           8
        .value_kind:     global_buffer
      - .address_space:  global
        .offset:         112
        .size:           8
        .value_kind:     global_buffer
      - .offset:         120
        .size:           4
        .value_kind:     by_value
      - .offset:         124
        .size:           4
        .value_kind:     by_value
      - .offset:         128
        .size:           4
        .value_kind:     by_value
      - .offset:         132
        .size:           4
        .value_kind:     by_value
      - .offset:         136
        .size:           4
        .value_kind:     by_value
      - .offset:         144
        .size:           4
        .value_kind:     hidden_block_count_x
      - .offset:         148
        .size:           4
        .value_kind:     hidden_block_count_y
      - .offset:         152
        .size:           4
        .value_kind:     hidden_block_count_z
      - .offset:         156
        .size:           2
        .value_kind:     hidden_group_size_x
      - .offset:         158
        .size:           2
        .value_kind:     hidden_group_size_y
      - .offset:         160
        .size:           2
        .value_kind:     hidden_group_size_z
      - .offset:         162
        .size:           2
        .value_kind:     hidden_remainder_x
      - .offset:         164
        .size:           2
        .value_kind:     hidden_remainder_y
      - .offset:         166
        .size:           2
        .value_kind:     hidden_remainder_z
      - .offset:         184
        .size:           8
        .value_kind:     hidden_global_offset_x
      - .offset:         192
        .size:           8
        .value_kind:     hidden_global_offset_y
      - .offset:         200
        .size:           8
        .value_kind:     hidden_global_offset_z
      - .offset:         208
        .size:           2
        .value_kind:     hidden_grid_dims
      - .offset:         264
        .size:           4
        .value_kind:     hidden_dynamic_lds_size
    .group_segment_fixed_size: 272
    .kernarg_segment_align: 8
    .kernarg_segment_size: 400
    .language:       OpenCL C
    .language_version:
      - 2
      - 0
    .max_flat_workgroup_size: 1024
    .name:           _ZN4vllm25paged_attention_v2_kernelIffLi64ELi32ELi128ELNS_18Fp8KVCacheDataTypeE0ELb1ELi512EEEvPfS2_PT_PKS3_PKT0_S9_ifPKiSB_iPKfiiiSD_SD_iiiii
    .private_segment_fixed_size: 0
    .sgpr_count:     59
    .sgpr_spill_count: 0
    .symbol:         _ZN4vllm25paged_attention_v2_kernelIffLi64ELi32ELi128ELNS_18Fp8KVCacheDataTypeE0ELb1ELi512EEEvPfS2_PT_PKS3_PKT0_S9_ifPKiSB_iPKfiiiSD_SD_iiiii.kd
    .uniform_work_group_size: 1
    .uses_dynamic_stack: false
    .vgpr_count:     89
    .vgpr_spill_count: 0
    .wavefront_size: 64
  - .agpr_count:     0
    .args:
      - .actual_access:  write_only
        .address_space:  global
        .offset:         0
        .size:           8
        .value_kind:     global_buffer
      - .actual_access:  write_only
        .address_space:  global
        .offset:         8
        .size:           8
        .value_kind:     global_buffer
      - .actual_access:  write_only
        .address_space:  global
        .offset:         16
        .size:           8
        .value_kind:     global_buffer
      - .actual_access:  read_only
        .address_space:  global
        .offset:         24
        .size:           8
        .value_kind:     global_buffer
      - .actual_access:  read_only
        .address_space:  global
        .offset:         32
        .size:           8
        .value_kind:     global_buffer
      - .actual_access:  read_only
        .address_space:  global
        .offset:         40
        .size:           8
        .value_kind:     global_buffer
      - .offset:         48
        .size:           4
        .value_kind:     by_value
      - .offset:         52
        .size:           4
        .value_kind:     by_value
      - .actual_access:  read_only
        .address_space:  global
        .offset:         56
        .size:           8
        .value_kind:     global_buffer
      - .actual_access:  read_only
        .address_space:  global
        .offset:         64
        .size:           8
        .value_kind:     global_buffer
      - .offset:         72
        .size:           4
        .value_kind:     by_value
      - .actual_access:  read_only
        .address_space:  global
        .offset:         80
        .size:           8
        .value_kind:     global_buffer
      - .offset:         88
        .size:           4
        .value_kind:     by_value
      - .offset:         92
        .size:           4
        .value_kind:     by_value
      - .offset:         96
        .size:           4
        .value_kind:     by_value
      - .address_space:  global
        .offset:         104
        .size:           8
        .value_kind:     global_buffer
      - .address_space:  global
        .offset:         112
        .size:           8
        .value_kind:     global_buffer
      - .offset:         120
        .size:           4
        .value_kind:     by_value
      - .offset:         124
        .size:           4
        .value_kind:     by_value
      - .offset:         128
        .size:           4
        .value_kind:     by_value
      - .offset:         132
        .size:           4
        .value_kind:     by_value
      - .offset:         136
        .size:           4
        .value_kind:     by_value
      - .offset:         144
        .size:           4
        .value_kind:     hidden_block_count_x
      - .offset:         148
        .size:           4
        .value_kind:     hidden_block_count_y
      - .offset:         152
        .size:           4
        .value_kind:     hidden_block_count_z
      - .offset:         156
        .size:           2
        .value_kind:     hidden_group_size_x
      - .offset:         158
        .size:           2
        .value_kind:     hidden_group_size_y
      - .offset:         160
        .size:           2
        .value_kind:     hidden_group_size_z
      - .offset:         162
        .size:           2
        .value_kind:     hidden_remainder_x
      - .offset:         164
        .size:           2
        .value_kind:     hidden_remainder_y
      - .offset:         166
        .size:           2
        .value_kind:     hidden_remainder_z
      - .offset:         184
        .size:           8
        .value_kind:     hidden_global_offset_x
      - .offset:         192
        .size:           8
        .value_kind:     hidden_global_offset_y
      - .offset:         200
        .size:           8
        .value_kind:     hidden_global_offset_z
      - .offset:         208
        .size:           2
        .value_kind:     hidden_grid_dims
      - .offset:         264
        .size:           4
        .value_kind:     hidden_dynamic_lds_size
    .group_segment_fixed_size: 336
    .kernarg_segment_align: 8
    .kernarg_segment_size: 400
    .language:       OpenCL C
    .language_version:
      - 2
      - 0
    .max_flat_workgroup_size: 1024
    .name:           _ZN4vllm25paged_attention_v2_kernelIffLi80ELi32ELi128ELNS_18Fp8KVCacheDataTypeE0ELb1ELi512EEEvPfS2_PT_PKS3_PKT0_S9_ifPKiSB_iPKfiiiSD_SD_iiiii
    .private_segment_fixed_size: 0
    .sgpr_count:     60
    .sgpr_spill_count: 0
    .symbol:         _ZN4vllm25paged_attention_v2_kernelIffLi80ELi32ELi128ELNS_18Fp8KVCacheDataTypeE0ELb1ELi512EEEvPfS2_PT_PKS3_PKT0_S9_ifPKiSB_iPKfiiiSD_SD_iiiii.kd
    .uniform_work_group_size: 1
    .uses_dynamic_stack: false
    .vgpr_count:     105
    .vgpr_spill_count: 0
    .wavefront_size: 64
  - .agpr_count:     0
    .args:
      - .actual_access:  write_only
        .address_space:  global
        .offset:         0
        .size:           8
        .value_kind:     global_buffer
      - .actual_access:  write_only
        .address_space:  global
        .offset:         8
        .size:           8
        .value_kind:     global_buffer
      - .actual_access:  write_only
        .address_space:  global
        .offset:         16
        .size:           8
        .value_kind:     global_buffer
      - .actual_access:  read_only
        .address_space:  global
        .offset:         24
        .size:           8
        .value_kind:     global_buffer
      - .actual_access:  read_only
        .address_space:  global
        .offset:         32
        .size:           8
        .value_kind:     global_buffer
      - .actual_access:  read_only
        .address_space:  global
        .offset:         40
        .size:           8
        .value_kind:     global_buffer
      - .offset:         48
        .size:           4
        .value_kind:     by_value
      - .offset:         52
        .size:           4
        .value_kind:     by_value
      - .actual_access:  read_only
        .address_space:  global
        .offset:         56
        .size:           8
        .value_kind:     global_buffer
      - .actual_access:  read_only
        .address_space:  global
        .offset:         64
        .size:           8
        .value_kind:     global_buffer
      - .offset:         72
        .size:           4
        .value_kind:     by_value
      - .actual_access:  read_only
        .address_space:  global
        .offset:         80
        .size:           8
        .value_kind:     global_buffer
      - .offset:         88
        .size:           4
        .value_kind:     by_value
      - .offset:         92
        .size:           4
        .value_kind:     by_value
      - .offset:         96
        .size:           4
        .value_kind:     by_value
      - .address_space:  global
        .offset:         104
        .size:           8
        .value_kind:     global_buffer
      - .address_space:  global
        .offset:         112
        .size:           8
        .value_kind:     global_buffer
      - .offset:         120
        .size:           4
        .value_kind:     by_value
      - .offset:         124
        .size:           4
        .value_kind:     by_value
      - .offset:         128
        .size:           4
        .value_kind:     by_value
      - .offset:         132
        .size:           4
        .value_kind:     by_value
      - .offset:         136
        .size:           4
        .value_kind:     by_value
      - .offset:         144
        .size:           4
        .value_kind:     hidden_block_count_x
      - .offset:         148
        .size:           4
        .value_kind:     hidden_block_count_y
      - .offset:         152
        .size:           4
        .value_kind:     hidden_block_count_z
      - .offset:         156
        .size:           2
        .value_kind:     hidden_group_size_x
      - .offset:         158
        .size:           2
        .value_kind:     hidden_group_size_y
      - .offset:         160
        .size:           2
        .value_kind:     hidden_group_size_z
      - .offset:         162
        .size:           2
        .value_kind:     hidden_remainder_x
      - .offset:         164
        .size:           2
        .value_kind:     hidden_remainder_y
      - .offset:         166
        .size:           2
        .value_kind:     hidden_remainder_z
      - .offset:         184
        .size:           8
        .value_kind:     hidden_global_offset_x
      - .offset:         192
        .size:           8
        .value_kind:     hidden_global_offset_y
      - .offset:         200
        .size:           8
        .value_kind:     hidden_global_offset_z
      - .offset:         208
        .size:           2
        .value_kind:     hidden_grid_dims
      - .offset:         264
        .size:           4
        .value_kind:     hidden_dynamic_lds_size
    .group_segment_fixed_size: 400
    .kernarg_segment_align: 8
    .kernarg_segment_size: 400
    .language:       OpenCL C
    .language_version:
      - 2
      - 0
    .max_flat_workgroup_size: 1024
    .name:           _ZN4vllm25paged_attention_v2_kernelIffLi96ELi32ELi128ELNS_18Fp8KVCacheDataTypeE0ELb1ELi512EEEvPfS2_PT_PKS3_PKT0_S9_ifPKiSB_iPKfiiiSD_SD_iiiii
    .private_segment_fixed_size: 0
    .sgpr_count:     60
    .sgpr_spill_count: 0
    .symbol:         _ZN4vllm25paged_attention_v2_kernelIffLi96ELi32ELi128ELNS_18Fp8KVCacheDataTypeE0ELb1ELi512EEEvPfS2_PT_PKS3_PKT0_S9_ifPKiSB_iPKfiiiSD_SD_iiiii.kd
    .uniform_work_group_size: 1
    .uses_dynamic_stack: false
    .vgpr_count:     106
    .vgpr_spill_count: 0
    .wavefront_size: 64
  - .agpr_count:     0
    .args:
      - .actual_access:  write_only
        .address_space:  global
        .offset:         0
        .size:           8
        .value_kind:     global_buffer
      - .actual_access:  write_only
        .address_space:  global
        .offset:         8
        .size:           8
        .value_kind:     global_buffer
      - .actual_access:  write_only
        .address_space:  global
        .offset:         16
        .size:           8
        .value_kind:     global_buffer
      - .actual_access:  read_only
        .address_space:  global
        .offset:         24
        .size:           8
        .value_kind:     global_buffer
      - .actual_access:  read_only
        .address_space:  global
        .offset:         32
        .size:           8
        .value_kind:     global_buffer
      - .actual_access:  read_only
        .address_space:  global
        .offset:         40
        .size:           8
        .value_kind:     global_buffer
      - .offset:         48
        .size:           4
        .value_kind:     by_value
      - .offset:         52
        .size:           4
        .value_kind:     by_value
      - .actual_access:  read_only
        .address_space:  global
        .offset:         56
        .size:           8
        .value_kind:     global_buffer
      - .actual_access:  read_only
        .address_space:  global
        .offset:         64
        .size:           8
        .value_kind:     global_buffer
      - .offset:         72
        .size:           4
        .value_kind:     by_value
      - .actual_access:  read_only
        .address_space:  global
        .offset:         80
        .size:           8
        .value_kind:     global_buffer
      - .offset:         88
        .size:           4
        .value_kind:     by_value
      - .offset:         92
        .size:           4
        .value_kind:     by_value
      - .offset:         96
        .size:           4
        .value_kind:     by_value
      - .address_space:  global
        .offset:         104
        .size:           8
        .value_kind:     global_buffer
      - .address_space:  global
        .offset:         112
        .size:           8
        .value_kind:     global_buffer
      - .offset:         120
        .size:           4
        .value_kind:     by_value
      - .offset:         124
        .size:           4
        .value_kind:     by_value
      - .offset:         128
        .size:           4
        .value_kind:     by_value
      - .offset:         132
        .size:           4
        .value_kind:     by_value
      - .offset:         136
        .size:           4
        .value_kind:     by_value
      - .offset:         144
        .size:           4
        .value_kind:     hidden_block_count_x
      - .offset:         148
        .size:           4
        .value_kind:     hidden_block_count_y
      - .offset:         152
        .size:           4
        .value_kind:     hidden_block_count_z
      - .offset:         156
        .size:           2
        .value_kind:     hidden_group_size_x
      - .offset:         158
        .size:           2
        .value_kind:     hidden_group_size_y
      - .offset:         160
        .size:           2
        .value_kind:     hidden_group_size_z
      - .offset:         162
        .size:           2
        .value_kind:     hidden_remainder_x
      - .offset:         164
        .size:           2
        .value_kind:     hidden_remainder_y
      - .offset:         166
        .size:           2
        .value_kind:     hidden_remainder_z
      - .offset:         184
        .size:           8
        .value_kind:     hidden_global_offset_x
      - .offset:         192
        .size:           8
        .value_kind:     hidden_global_offset_y
      - .offset:         200
        .size:           8
        .value_kind:     hidden_global_offset_z
      - .offset:         208
        .size:           2
        .value_kind:     hidden_grid_dims
      - .offset:         264
        .size:           4
        .value_kind:     hidden_dynamic_lds_size
    .group_segment_fixed_size: 464
    .kernarg_segment_align: 8
    .kernarg_segment_size: 400
    .language:       OpenCL C
    .language_version:
      - 2
      - 0
    .max_flat_workgroup_size: 1024
    .name:           _ZN4vllm25paged_attention_v2_kernelIffLi112ELi32ELi128ELNS_18Fp8KVCacheDataTypeE0ELb1ELi512EEEvPfS2_PT_PKS3_PKT0_S9_ifPKiSB_iPKfiiiSD_SD_iiiii
    .private_segment_fixed_size: 0
    .sgpr_count:     61
    .sgpr_spill_count: 0
    .symbol:         _ZN4vllm25paged_attention_v2_kernelIffLi112ELi32ELi128ELNS_18Fp8KVCacheDataTypeE0ELb1ELi512EEEvPfS2_PT_PKS3_PKT0_S9_ifPKiSB_iPKfiiiSD_SD_iiiii.kd
    .uniform_work_group_size: 1
    .uses_dynamic_stack: false
    .vgpr_count:     112
    .vgpr_spill_count: 0
    .wavefront_size: 64
  - .agpr_count:     0
    .args:
      - .actual_access:  write_only
        .address_space:  global
        .offset:         0
        .size:           8
        .value_kind:     global_buffer
      - .actual_access:  write_only
        .address_space:  global
        .offset:         8
        .size:           8
        .value_kind:     global_buffer
      - .actual_access:  write_only
        .address_space:  global
        .offset:         16
        .size:           8
        .value_kind:     global_buffer
      - .actual_access:  read_only
        .address_space:  global
        .offset:         24
        .size:           8
        .value_kind:     global_buffer
      - .actual_access:  read_only
        .address_space:  global
        .offset:         32
        .size:           8
        .value_kind:     global_buffer
      - .actual_access:  read_only
        .address_space:  global
        .offset:         40
        .size:           8
        .value_kind:     global_buffer
      - .offset:         48
        .size:           4
        .value_kind:     by_value
      - .offset:         52
        .size:           4
        .value_kind:     by_value
      - .actual_access:  read_only
        .address_space:  global
        .offset:         56
        .size:           8
        .value_kind:     global_buffer
      - .actual_access:  read_only
        .address_space:  global
        .offset:         64
        .size:           8
        .value_kind:     global_buffer
      - .offset:         72
        .size:           4
        .value_kind:     by_value
      - .actual_access:  read_only
        .address_space:  global
        .offset:         80
        .size:           8
        .value_kind:     global_buffer
      - .offset:         88
        .size:           4
        .value_kind:     by_value
      - .offset:         92
        .size:           4
        .value_kind:     by_value
      - .offset:         96
        .size:           4
        .value_kind:     by_value
      - .address_space:  global
        .offset:         104
        .size:           8
        .value_kind:     global_buffer
      - .address_space:  global
        .offset:         112
        .size:           8
        .value_kind:     global_buffer
      - .offset:         120
        .size:           4
        .value_kind:     by_value
      - .offset:         124
        .size:           4
        .value_kind:     by_value
      - .offset:         128
        .size:           4
        .value_kind:     by_value
      - .offset:         132
        .size:           4
        .value_kind:     by_value
      - .offset:         136
        .size:           4
        .value_kind:     by_value
      - .offset:         144
        .size:           4
        .value_kind:     hidden_block_count_x
      - .offset:         148
        .size:           4
        .value_kind:     hidden_block_count_y
      - .offset:         152
        .size:           4
        .value_kind:     hidden_block_count_z
      - .offset:         156
        .size:           2
        .value_kind:     hidden_group_size_x
      - .offset:         158
        .size:           2
        .value_kind:     hidden_group_size_y
      - .offset:         160
        .size:           2
        .value_kind:     hidden_group_size_z
      - .offset:         162
        .size:           2
        .value_kind:     hidden_remainder_x
      - .offset:         164
        .size:           2
        .value_kind:     hidden_remainder_y
      - .offset:         166
        .size:           2
        .value_kind:     hidden_remainder_z
      - .offset:         184
        .size:           8
        .value_kind:     hidden_global_offset_x
      - .offset:         192
        .size:           8
        .value_kind:     hidden_global_offset_y
      - .offset:         200
        .size:           8
        .value_kind:     hidden_global_offset_z
      - .offset:         208
        .size:           2
        .value_kind:     hidden_grid_dims
      - .offset:         264
        .size:           4
        .value_kind:     hidden_dynamic_lds_size
    .group_segment_fixed_size: 496
    .kernarg_segment_align: 8
    .kernarg_segment_size: 400
    .language:       OpenCL C
    .language_version:
      - 2
      - 0
    .max_flat_workgroup_size: 1024
    .name:           _ZN4vllm25paged_attention_v2_kernelIffLi120ELi32ELi128ELNS_18Fp8KVCacheDataTypeE0ELb1ELi512EEEvPfS2_PT_PKS3_PKT0_S9_ifPKiSB_iPKfiiiSD_SD_iiiii
    .private_segment_fixed_size: 0
    .sgpr_count:     61
    .sgpr_spill_count: 0
    .symbol:         _ZN4vllm25paged_attention_v2_kernelIffLi120ELi32ELi128ELNS_18Fp8KVCacheDataTypeE0ELb1ELi512EEEvPfS2_PT_PKS3_PKT0_S9_ifPKiSB_iPKfiiiSD_SD_iiiii.kd
    .uniform_work_group_size: 1
    .uses_dynamic_stack: false
    .vgpr_count:     119
    .vgpr_spill_count: 0
    .wavefront_size: 64
  - .agpr_count:     0
    .args:
      - .actual_access:  write_only
        .address_space:  global
        .offset:         0
        .size:           8
        .value_kind:     global_buffer
      - .actual_access:  write_only
        .address_space:  global
        .offset:         8
        .size:           8
        .value_kind:     global_buffer
      - .actual_access:  write_only
        .address_space:  global
        .offset:         16
        .size:           8
        .value_kind:     global_buffer
      - .actual_access:  read_only
        .address_space:  global
        .offset:         24
        .size:           8
        .value_kind:     global_buffer
      - .actual_access:  read_only
        .address_space:  global
        .offset:         32
        .size:           8
        .value_kind:     global_buffer
      - .actual_access:  read_only
        .address_space:  global
        .offset:         40
        .size:           8
        .value_kind:     global_buffer
      - .offset:         48
        .size:           4
        .value_kind:     by_value
      - .offset:         52
        .size:           4
        .value_kind:     by_value
      - .actual_access:  read_only
        .address_space:  global
        .offset:         56
        .size:           8
        .value_kind:     global_buffer
      - .actual_access:  read_only
        .address_space:  global
        .offset:         64
        .size:           8
        .value_kind:     global_buffer
      - .offset:         72
        .size:           4
        .value_kind:     by_value
      - .actual_access:  read_only
        .address_space:  global
        .offset:         80
        .size:           8
        .value_kind:     global_buffer
      - .offset:         88
        .size:           4
        .value_kind:     by_value
      - .offset:         92
        .size:           4
        .value_kind:     by_value
      - .offset:         96
        .size:           4
        .value_kind:     by_value
      - .address_space:  global
        .offset:         104
        .size:           8
        .value_kind:     global_buffer
      - .address_space:  global
        .offset:         112
        .size:           8
        .value_kind:     global_buffer
      - .offset:         120
        .size:           4
        .value_kind:     by_value
      - .offset:         124
        .size:           4
        .value_kind:     by_value
      - .offset:         128
        .size:           4
        .value_kind:     by_value
      - .offset:         132
        .size:           4
        .value_kind:     by_value
      - .offset:         136
        .size:           4
        .value_kind:     by_value
      - .offset:         144
        .size:           4
        .value_kind:     hidden_block_count_x
      - .offset:         148
        .size:           4
        .value_kind:     hidden_block_count_y
      - .offset:         152
        .size:           4
        .value_kind:     hidden_block_count_z
      - .offset:         156
        .size:           2
        .value_kind:     hidden_group_size_x
      - .offset:         158
        .size:           2
        .value_kind:     hidden_group_size_y
      - .offset:         160
        .size:           2
        .value_kind:     hidden_group_size_z
      - .offset:         162
        .size:           2
        .value_kind:     hidden_remainder_x
      - .offset:         164
        .size:           2
        .value_kind:     hidden_remainder_y
      - .offset:         166
        .size:           2
        .value_kind:     hidden_remainder_z
      - .offset:         184
        .size:           8
        .value_kind:     hidden_global_offset_x
      - .offset:         192
        .size:           8
        .value_kind:     hidden_global_offset_y
      - .offset:         200
        .size:           8
        .value_kind:     hidden_global_offset_z
      - .offset:         208
        .size:           2
        .value_kind:     hidden_grid_dims
      - .offset:         264
        .size:           4
        .value_kind:     hidden_dynamic_lds_size
    .group_segment_fixed_size: 528
    .kernarg_segment_align: 8
    .kernarg_segment_size: 400
    .language:       OpenCL C
    .language_version:
      - 2
      - 0
    .max_flat_workgroup_size: 1024
    .name:           _ZN4vllm25paged_attention_v2_kernelIffLi128ELi32ELi128ELNS_18Fp8KVCacheDataTypeE0ELb1ELi512EEEvPfS2_PT_PKS3_PKT0_S9_ifPKiSB_iPKfiiiSD_SD_iiiii
    .private_segment_fixed_size: 0
    .sgpr_count:     63
    .sgpr_spill_count: 0
    .symbol:         _ZN4vllm25paged_attention_v2_kernelIffLi128ELi32ELi128ELNS_18Fp8KVCacheDataTypeE0ELb1ELi512EEEvPfS2_PT_PKS3_PKT0_S9_ifPKiSB_iPKfiiiSD_SD_iiiii.kd
    .uniform_work_group_size: 1
    .uses_dynamic_stack: false
    .vgpr_count:     126
    .vgpr_spill_count: 0
    .wavefront_size: 64
  - .agpr_count:     0
    .args:
      - .actual_access:  write_only
        .address_space:  global
        .offset:         0
        .size:           8
        .value_kind:     global_buffer
      - .actual_access:  write_only
        .address_space:  global
        .offset:         8
        .size:           8
        .value_kind:     global_buffer
      - .actual_access:  write_only
        .address_space:  global
        .offset:         16
        .size:           8
        .value_kind:     global_buffer
      - .actual_access:  read_only
        .address_space:  global
        .offset:         24
        .size:           8
        .value_kind:     global_buffer
      - .actual_access:  read_only
        .address_space:  global
        .offset:         32
        .size:           8
        .value_kind:     global_buffer
      - .actual_access:  read_only
        .address_space:  global
        .offset:         40
        .size:           8
        .value_kind:     global_buffer
      - .offset:         48
        .size:           4
        .value_kind:     by_value
      - .offset:         52
        .size:           4
        .value_kind:     by_value
      - .actual_access:  read_only
        .address_space:  global
        .offset:         56
        .size:           8
        .value_kind:     global_buffer
      - .actual_access:  read_only
        .address_space:  global
        .offset:         64
        .size:           8
        .value_kind:     global_buffer
      - .offset:         72
        .size:           4
        .value_kind:     by_value
      - .actual_access:  read_only
        .address_space:  global
        .offset:         80
        .size:           8
        .value_kind:     global_buffer
      - .offset:         88
        .size:           4
        .value_kind:     by_value
      - .offset:         92
        .size:           4
        .value_kind:     by_value
      - .offset:         96
        .size:           4
        .value_kind:     by_value
      - .address_space:  global
        .offset:         104
        .size:           8
        .value_kind:     global_buffer
      - .address_space:  global
        .offset:         112
        .size:           8
        .value_kind:     global_buffer
      - .offset:         120
        .size:           4
        .value_kind:     by_value
      - .offset:         124
        .size:           4
        .value_kind:     by_value
      - .offset:         128
        .size:           4
        .value_kind:     by_value
      - .offset:         132
        .size:           4
        .value_kind:     by_value
      - .offset:         136
        .size:           4
        .value_kind:     by_value
      - .offset:         144
        .size:           4
        .value_kind:     hidden_block_count_x
      - .offset:         148
        .size:           4
        .value_kind:     hidden_block_count_y
      - .offset:         152
        .size:           4
        .value_kind:     hidden_block_count_z
      - .offset:         156
        .size:           2
        .value_kind:     hidden_group_size_x
      - .offset:         158
        .size:           2
        .value_kind:     hidden_group_size_y
      - .offset:         160
        .size:           2
        .value_kind:     hidden_group_size_z
      - .offset:         162
        .size:           2
        .value_kind:     hidden_remainder_x
      - .offset:         164
        .size:           2
        .value_kind:     hidden_remainder_y
      - .offset:         166
        .size:           2
        .value_kind:     hidden_remainder_z
      - .offset:         184
        .size:           8
        .value_kind:     hidden_global_offset_x
      - .offset:         192
        .size:           8
        .value_kind:     hidden_global_offset_y
      - .offset:         200
        .size:           8
        .value_kind:     hidden_global_offset_z
      - .offset:         208
        .size:           2
        .value_kind:     hidden_grid_dims
      - .offset:         264
        .size:           4
        .value_kind:     hidden_dynamic_lds_size
    .group_segment_fixed_size: 784
    .kernarg_segment_align: 8
    .kernarg_segment_size: 400
    .language:       OpenCL C
    .language_version:
      - 2
      - 0
    .max_flat_workgroup_size: 1024
    .name:           _ZN4vllm25paged_attention_v2_kernelIffLi192ELi32ELi128ELNS_18Fp8KVCacheDataTypeE0ELb1ELi512EEEvPfS2_PT_PKS3_PKT0_S9_ifPKiSB_iPKfiiiSD_SD_iiiii
    .private_segment_fixed_size: 224
    .sgpr_count:     63
    .sgpr_spill_count: 0
    .symbol:         _ZN4vllm25paged_attention_v2_kernelIffLi192ELi32ELi128ELNS_18Fp8KVCacheDataTypeE0ELb1ELi512EEEvPfS2_PT_PKS3_PKT0_S9_ifPKiSB_iPKfiiiSD_SD_iiiii.kd
    .uniform_work_group_size: 1
    .uses_dynamic_stack: false
    .vgpr_count:     128
    .vgpr_spill_count: 105
    .wavefront_size: 64
  - .agpr_count:     0
    .args:
      - .actual_access:  write_only
        .address_space:  global
        .offset:         0
        .size:           8
        .value_kind:     global_buffer
      - .actual_access:  write_only
        .address_space:  global
        .offset:         8
        .size:           8
        .value_kind:     global_buffer
      - .actual_access:  write_only
        .address_space:  global
        .offset:         16
        .size:           8
        .value_kind:     global_buffer
      - .actual_access:  read_only
        .address_space:  global
        .offset:         24
        .size:           8
        .value_kind:     global_buffer
      - .actual_access:  read_only
        .address_space:  global
        .offset:         32
        .size:           8
        .value_kind:     global_buffer
      - .actual_access:  read_only
        .address_space:  global
        .offset:         40
        .size:           8
        .value_kind:     global_buffer
      - .offset:         48
        .size:           4
        .value_kind:     by_value
      - .offset:         52
        .size:           4
        .value_kind:     by_value
      - .actual_access:  read_only
        .address_space:  global
        .offset:         56
        .size:           8
        .value_kind:     global_buffer
      - .actual_access:  read_only
        .address_space:  global
        .offset:         64
        .size:           8
        .value_kind:     global_buffer
      - .offset:         72
        .size:           4
        .value_kind:     by_value
      - .actual_access:  read_only
        .address_space:  global
        .offset:         80
        .size:           8
        .value_kind:     global_buffer
      - .offset:         88
        .size:           4
        .value_kind:     by_value
      - .offset:         92
        .size:           4
        .value_kind:     by_value
      - .offset:         96
        .size:           4
        .value_kind:     by_value
      - .address_space:  global
        .offset:         104
        .size:           8
        .value_kind:     global_buffer
      - .address_space:  global
        .offset:         112
        .size:           8
        .value_kind:     global_buffer
      - .offset:         120
        .size:           4
        .value_kind:     by_value
      - .offset:         124
        .size:           4
        .value_kind:     by_value
      - .offset:         128
        .size:           4
        .value_kind:     by_value
      - .offset:         132
        .size:           4
        .value_kind:     by_value
      - .offset:         136
        .size:           4
        .value_kind:     by_value
      - .offset:         144
        .size:           4
        .value_kind:     hidden_block_count_x
      - .offset:         148
        .size:           4
        .value_kind:     hidden_block_count_y
      - .offset:         152
        .size:           4
        .value_kind:     hidden_block_count_z
      - .offset:         156
        .size:           2
        .value_kind:     hidden_group_size_x
      - .offset:         158
        .size:           2
        .value_kind:     hidden_group_size_y
      - .offset:         160
        .size:           2
        .value_kind:     hidden_group_size_z
      - .offset:         162
        .size:           2
        .value_kind:     hidden_remainder_x
      - .offset:         164
        .size:           2
        .value_kind:     hidden_remainder_y
      - .offset:         166
        .size:           2
        .value_kind:     hidden_remainder_z
      - .offset:         184
        .size:           8
        .value_kind:     hidden_global_offset_x
      - .offset:         192
        .size:           8
        .value_kind:     hidden_global_offset_y
      - .offset:         200
        .size:           8
        .value_kind:     hidden_global_offset_z
      - .offset:         208
        .size:           2
        .value_kind:     hidden_grid_dims
      - .offset:         264
        .size:           4
        .value_kind:     hidden_dynamic_lds_size
    .group_segment_fixed_size: 1040
    .kernarg_segment_align: 8
    .kernarg_segment_size: 400
    .language:       OpenCL C
    .language_version:
      - 2
      - 0
    .max_flat_workgroup_size: 1024
    .name:           _ZN4vllm25paged_attention_v2_kernelIffLi256ELi32ELi128ELNS_18Fp8KVCacheDataTypeE0ELb1ELi512EEEvPfS2_PT_PKS3_PKT0_S9_ifPKiSB_iPKfiiiSD_SD_iiiii
    .private_segment_fixed_size: 460
    .sgpr_count:     65
    .sgpr_spill_count: 0
    .symbol:         _ZN4vllm25paged_attention_v2_kernelIffLi256ELi32ELi128ELNS_18Fp8KVCacheDataTypeE0ELb1ELi512EEEvPfS2_PT_PKS3_PKT0_S9_ifPKiSB_iPKfiiiSD_SD_iiiii.kd
    .uniform_work_group_size: 1
    .uses_dynamic_stack: false
    .vgpr_count:     128
    .vgpr_spill_count: 216
    .wavefront_size: 64
  - .agpr_count:     0
    .args:
      - .actual_access:  write_only
        .address_space:  global
        .offset:         0
        .size:           8
        .value_kind:     global_buffer
      - .actual_access:  write_only
        .address_space:  global
        .offset:         8
        .size:           8
        .value_kind:     global_buffer
      - .actual_access:  write_only
        .address_space:  global
        .offset:         16
        .size:           8
        .value_kind:     global_buffer
      - .actual_access:  read_only
        .address_space:  global
        .offset:         24
        .size:           8
        .value_kind:     global_buffer
      - .actual_access:  read_only
        .address_space:  global
        .offset:         32
        .size:           8
        .value_kind:     global_buffer
      - .actual_access:  read_only
        .address_space:  global
        .offset:         40
        .size:           8
        .value_kind:     global_buffer
      - .offset:         48
        .size:           4
        .value_kind:     by_value
      - .offset:         52
        .size:           4
        .value_kind:     by_value
      - .actual_access:  read_only
        .address_space:  global
        .offset:         56
        .size:           8
        .value_kind:     global_buffer
      - .actual_access:  read_only
        .address_space:  global
        .offset:         64
        .size:           8
        .value_kind:     global_buffer
      - .offset:         72
        .size:           4
        .value_kind:     by_value
      - .actual_access:  read_only
        .address_space:  global
        .offset:         80
        .size:           8
        .value_kind:     global_buffer
      - .offset:         88
        .size:           4
        .value_kind:     by_value
      - .offset:         92
        .size:           4
        .value_kind:     by_value
      - .offset:         96
        .size:           4
        .value_kind:     by_value
      - .address_space:  global
        .offset:         104
        .size:           8
        .value_kind:     global_buffer
      - .address_space:  global
        .offset:         112
        .size:           8
        .value_kind:     global_buffer
      - .offset:         120
        .size:           4
        .value_kind:     by_value
      - .offset:         124
        .size:           4
        .value_kind:     by_value
      - .offset:         128
        .size:           4
        .value_kind:     by_value
      - .offset:         132
        .size:           4
        .value_kind:     by_value
      - .offset:         136
        .size:           4
        .value_kind:     by_value
      - .offset:         144
        .size:           4
        .value_kind:     hidden_block_count_x
      - .offset:         148
        .size:           4
        .value_kind:     hidden_block_count_y
      - .offset:         152
        .size:           4
        .value_kind:     hidden_block_count_z
      - .offset:         156
        .size:           2
        .value_kind:     hidden_group_size_x
      - .offset:         158
        .size:           2
        .value_kind:     hidden_group_size_y
      - .offset:         160
        .size:           2
        .value_kind:     hidden_group_size_z
      - .offset:         162
        .size:           2
        .value_kind:     hidden_remainder_x
      - .offset:         164
        .size:           2
        .value_kind:     hidden_remainder_y
      - .offset:         166
        .size:           2
        .value_kind:     hidden_remainder_z
      - .offset:         184
        .size:           8
        .value_kind:     hidden_global_offset_x
      - .offset:         192
        .size:           8
        .value_kind:     hidden_global_offset_y
      - .offset:         200
        .size:           8
        .value_kind:     hidden_global_offset_z
      - .offset:         208
        .size:           2
        .value_kind:     hidden_grid_dims
      - .offset:         264
        .size:           4
        .value_kind:     hidden_dynamic_lds_size
    .group_segment_fixed_size: 144
    .kernarg_segment_align: 8
    .kernarg_segment_size: 400
    .language:       OpenCL C
    .language_version:
      - 2
      - 0
    .max_flat_workgroup_size: 1024
    .name:           _ZN4vllm25paged_attention_v2_kernelIffLi32ELi32ELi128ELNS_18Fp8KVCacheDataTypeE0ELb0ELi512EEEvPfS2_PT_PKS3_PKT0_S9_ifPKiSB_iPKfiiiSD_SD_iiiii
    .private_segment_fixed_size: 0
    .sgpr_count:     48
    .sgpr_spill_count: 0
    .symbol:         _ZN4vllm25paged_attention_v2_kernelIffLi32ELi32ELi128ELNS_18Fp8KVCacheDataTypeE0ELb0ELi512EEEvPfS2_PT_PKS3_PKT0_S9_ifPKiSB_iPKfiiiSD_SD_iiiii.kd
    .uniform_work_group_size: 1
    .uses_dynamic_stack: false
    .vgpr_count:     50
    .vgpr_spill_count: 0
    .wavefront_size: 64
  - .agpr_count:     0
    .args:
      - .actual_access:  write_only
        .address_space:  global
        .offset:         0
        .size:           8
        .value_kind:     global_buffer
      - .actual_access:  write_only
        .address_space:  global
        .offset:         8
        .size:           8
        .value_kind:     global_buffer
      - .actual_access:  write_only
        .address_space:  global
        .offset:         16
        .size:           8
        .value_kind:     global_buffer
      - .actual_access:  read_only
        .address_space:  global
        .offset:         24
        .size:           8
        .value_kind:     global_buffer
      - .actual_access:  read_only
        .address_space:  global
        .offset:         32
        .size:           8
        .value_kind:     global_buffer
      - .actual_access:  read_only
        .address_space:  global
        .offset:         40
        .size:           8
        .value_kind:     global_buffer
      - .offset:         48
        .size:           4
        .value_kind:     by_value
      - .offset:         52
        .size:           4
        .value_kind:     by_value
      - .actual_access:  read_only
        .address_space:  global
        .offset:         56
        .size:           8
        .value_kind:     global_buffer
      - .actual_access:  read_only
        .address_space:  global
        .offset:         64
        .size:           8
        .value_kind:     global_buffer
      - .offset:         72
        .size:           4
        .value_kind:     by_value
      - .actual_access:  read_only
        .address_space:  global
        .offset:         80
        .size:           8
        .value_kind:     global_buffer
      - .offset:         88
        .size:           4
        .value_kind:     by_value
      - .offset:         92
        .size:           4
        .value_kind:     by_value
      - .offset:         96
        .size:           4
        .value_kind:     by_value
      - .address_space:  global
        .offset:         104
        .size:           8
        .value_kind:     global_buffer
      - .address_space:  global
        .offset:         112
        .size:           8
        .value_kind:     global_buffer
      - .offset:         120
        .size:           4
        .value_kind:     by_value
      - .offset:         124
        .size:           4
        .value_kind:     by_value
      - .offset:         128
        .size:           4
        .value_kind:     by_value
      - .offset:         132
        .size:           4
        .value_kind:     by_value
      - .offset:         136
        .size:           4
        .value_kind:     by_value
      - .offset:         144
        .size:           4
        .value_kind:     hidden_block_count_x
      - .offset:         148
        .size:           4
        .value_kind:     hidden_block_count_y
      - .offset:         152
        .size:           4
        .value_kind:     hidden_block_count_z
      - .offset:         156
        .size:           2
        .value_kind:     hidden_group_size_x
      - .offset:         158
        .size:           2
        .value_kind:     hidden_group_size_y
      - .offset:         160
        .size:           2
        .value_kind:     hidden_group_size_z
      - .offset:         162
        .size:           2
        .value_kind:     hidden_remainder_x
      - .offset:         164
        .size:           2
        .value_kind:     hidden_remainder_y
      - .offset:         166
        .size:           2
        .value_kind:     hidden_remainder_z
      - .offset:         184
        .size:           8
        .value_kind:     hidden_global_offset_x
      - .offset:         192
        .size:           8
        .value_kind:     hidden_global_offset_y
      - .offset:         200
        .size:           8
        .value_kind:     hidden_global_offset_z
      - .offset:         208
        .size:           2
        .value_kind:     hidden_grid_dims
      - .offset:         264
        .size:           4
        .value_kind:     hidden_dynamic_lds_size
    .group_segment_fixed_size: 272
    .kernarg_segment_align: 8
    .kernarg_segment_size: 400
    .language:       OpenCL C
    .language_version:
      - 2
      - 0
    .max_flat_workgroup_size: 1024
    .name:           _ZN4vllm25paged_attention_v2_kernelIffLi64ELi32ELi128ELNS_18Fp8KVCacheDataTypeE0ELb0ELi512EEEvPfS2_PT_PKS3_PKT0_S9_ifPKiSB_iPKfiiiSD_SD_iiiii
    .private_segment_fixed_size: 0
    .sgpr_count:     49
    .sgpr_spill_count: 0
    .symbol:         _ZN4vllm25paged_attention_v2_kernelIffLi64ELi32ELi128ELNS_18Fp8KVCacheDataTypeE0ELb0ELi512EEEvPfS2_PT_PKS3_PKT0_S9_ifPKiSB_iPKfiiiSD_SD_iiiii.kd
    .uniform_work_group_size: 1
    .uses_dynamic_stack: false
    .vgpr_count:     78
    .vgpr_spill_count: 0
    .wavefront_size: 64
  - .agpr_count:     0
    .args:
      - .actual_access:  write_only
        .address_space:  global
        .offset:         0
        .size:           8
        .value_kind:     global_buffer
      - .actual_access:  write_only
        .address_space:  global
        .offset:         8
        .size:           8
        .value_kind:     global_buffer
      - .actual_access:  write_only
        .address_space:  global
        .offset:         16
        .size:           8
        .value_kind:     global_buffer
      - .actual_access:  read_only
        .address_space:  global
        .offset:         24
        .size:           8
        .value_kind:     global_buffer
      - .actual_access:  read_only
        .address_space:  global
        .offset:         32
        .size:           8
        .value_kind:     global_buffer
      - .actual_access:  read_only
        .address_space:  global
        .offset:         40
        .size:           8
        .value_kind:     global_buffer
      - .offset:         48
        .size:           4
        .value_kind:     by_value
      - .offset:         52
        .size:           4
        .value_kind:     by_value
      - .actual_access:  read_only
        .address_space:  global
        .offset:         56
        .size:           8
        .value_kind:     global_buffer
      - .actual_access:  read_only
        .address_space:  global
        .offset:         64
        .size:           8
        .value_kind:     global_buffer
      - .offset:         72
        .size:           4
        .value_kind:     by_value
      - .actual_access:  read_only
        .address_space:  global
        .offset:         80
        .size:           8
        .value_kind:     global_buffer
      - .offset:         88
        .size:           4
        .value_kind:     by_value
      - .offset:         92
        .size:           4
        .value_kind:     by_value
      - .offset:         96
        .size:           4
        .value_kind:     by_value
      - .address_space:  global
        .offset:         104
        .size:           8
        .value_kind:     global_buffer
      - .address_space:  global
        .offset:         112
        .size:           8
        .value_kind:     global_buffer
      - .offset:         120
        .size:           4
        .value_kind:     by_value
      - .offset:         124
        .size:           4
        .value_kind:     by_value
      - .offset:         128
        .size:           4
        .value_kind:     by_value
      - .offset:         132
        .size:           4
        .value_kind:     by_value
      - .offset:         136
        .size:           4
        .value_kind:     by_value
      - .offset:         144
        .size:           4
        .value_kind:     hidden_block_count_x
      - .offset:         148
        .size:           4
        .value_kind:     hidden_block_count_y
      - .offset:         152
        .size:           4
        .value_kind:     hidden_block_count_z
      - .offset:         156
        .size:           2
        .value_kind:     hidden_group_size_x
      - .offset:         158
        .size:           2
        .value_kind:     hidden_group_size_y
      - .offset:         160
        .size:           2
        .value_kind:     hidden_group_size_z
      - .offset:         162
        .size:           2
        .value_kind:     hidden_remainder_x
      - .offset:         164
        .size:           2
        .value_kind:     hidden_remainder_y
      - .offset:         166
        .size:           2
        .value_kind:     hidden_remainder_z
      - .offset:         184
        .size:           8
        .value_kind:     hidden_global_offset_x
      - .offset:         192
        .size:           8
        .value_kind:     hidden_global_offset_y
      - .offset:         200
        .size:           8
        .value_kind:     hidden_global_offset_z
      - .offset:         208
        .size:           2
        .value_kind:     hidden_grid_dims
      - .offset:         264
        .size:           4
        .value_kind:     hidden_dynamic_lds_size
    .group_segment_fixed_size: 336
    .kernarg_segment_align: 8
    .kernarg_segment_size: 400
    .language:       OpenCL C
    .language_version:
      - 2
      - 0
    .max_flat_workgroup_size: 1024
    .name:           _ZN4vllm25paged_attention_v2_kernelIffLi80ELi32ELi128ELNS_18Fp8KVCacheDataTypeE0ELb0ELi512EEEvPfS2_PT_PKS3_PKT0_S9_ifPKiSB_iPKfiiiSD_SD_iiiii
    .private_segment_fixed_size: 0
    .sgpr_count:     50
    .sgpr_spill_count: 0
    .symbol:         _ZN4vllm25paged_attention_v2_kernelIffLi80ELi32ELi128ELNS_18Fp8KVCacheDataTypeE0ELb0ELi512EEEvPfS2_PT_PKS3_PKT0_S9_ifPKiSB_iPKfiiiSD_SD_iiiii.kd
    .uniform_work_group_size: 1
    .uses_dynamic_stack: false
    .vgpr_count:     88
    .vgpr_spill_count: 0
    .wavefront_size: 64
  - .agpr_count:     0
    .args:
      - .actual_access:  write_only
        .address_space:  global
        .offset:         0
        .size:           8
        .value_kind:     global_buffer
      - .actual_access:  write_only
        .address_space:  global
        .offset:         8
        .size:           8
        .value_kind:     global_buffer
      - .actual_access:  write_only
        .address_space:  global
        .offset:         16
        .size:           8
        .value_kind:     global_buffer
      - .actual_access:  read_only
        .address_space:  global
        .offset:         24
        .size:           8
        .value_kind:     global_buffer
      - .actual_access:  read_only
        .address_space:  global
        .offset:         32
        .size:           8
        .value_kind:     global_buffer
      - .actual_access:  read_only
        .address_space:  global
        .offset:         40
        .size:           8
        .value_kind:     global_buffer
      - .offset:         48
        .size:           4
        .value_kind:     by_value
      - .offset:         52
        .size:           4
        .value_kind:     by_value
      - .actual_access:  read_only
        .address_space:  global
        .offset:         56
        .size:           8
        .value_kind:     global_buffer
      - .actual_access:  read_only
        .address_space:  global
        .offset:         64
        .size:           8
        .value_kind:     global_buffer
      - .offset:         72
        .size:           4
        .value_kind:     by_value
      - .actual_access:  read_only
        .address_space:  global
        .offset:         80
        .size:           8
        .value_kind:     global_buffer
      - .offset:         88
        .size:           4
        .value_kind:     by_value
      - .offset:         92
        .size:           4
        .value_kind:     by_value
      - .offset:         96
        .size:           4
        .value_kind:     by_value
      - .address_space:  global
        .offset:         104
        .size:           8
        .value_kind:     global_buffer
      - .address_space:  global
        .offset:         112
        .size:           8
        .value_kind:     global_buffer
      - .offset:         120
        .size:           4
        .value_kind:     by_value
      - .offset:         124
        .size:           4
        .value_kind:     by_value
      - .offset:         128
        .size:           4
        .value_kind:     by_value
      - .offset:         132
        .size:           4
        .value_kind:     by_value
      - .offset:         136
        .size:           4
        .value_kind:     by_value
      - .offset:         144
        .size:           4
        .value_kind:     hidden_block_count_x
      - .offset:         148
        .size:           4
        .value_kind:     hidden_block_count_y
      - .offset:         152
        .size:           4
        .value_kind:     hidden_block_count_z
      - .offset:         156
        .size:           2
        .value_kind:     hidden_group_size_x
      - .offset:         158
        .size:           2
        .value_kind:     hidden_group_size_y
      - .offset:         160
        .size:           2
        .value_kind:     hidden_group_size_z
      - .offset:         162
        .size:           2
        .value_kind:     hidden_remainder_x
      - .offset:         164
        .size:           2
        .value_kind:     hidden_remainder_y
      - .offset:         166
        .size:           2
        .value_kind:     hidden_remainder_z
      - .offset:         184
        .size:           8
        .value_kind:     hidden_global_offset_x
      - .offset:         192
        .size:           8
        .value_kind:     hidden_global_offset_y
      - .offset:         200
        .size:           8
        .value_kind:     hidden_global_offset_z
      - .offset:         208
        .size:           2
        .value_kind:     hidden_grid_dims
      - .offset:         264
        .size:           4
        .value_kind:     hidden_dynamic_lds_size
    .group_segment_fixed_size: 400
    .kernarg_segment_align: 8
    .kernarg_segment_size: 400
    .language:       OpenCL C
    .language_version:
      - 2
      - 0
    .max_flat_workgroup_size: 1024
    .name:           _ZN4vllm25paged_attention_v2_kernelIffLi96ELi32ELi128ELNS_18Fp8KVCacheDataTypeE0ELb0ELi512EEEvPfS2_PT_PKS3_PKT0_S9_ifPKiSB_iPKfiiiSD_SD_iiiii
    .private_segment_fixed_size: 0
    .sgpr_count:     50
    .sgpr_spill_count: 0
    .symbol:         _ZN4vllm25paged_attention_v2_kernelIffLi96ELi32ELi128ELNS_18Fp8KVCacheDataTypeE0ELb0ELi512EEEvPfS2_PT_PKS3_PKT0_S9_ifPKiSB_iPKfiiiSD_SD_iiiii.kd
    .uniform_work_group_size: 1
    .uses_dynamic_stack: false
    .vgpr_count:     102
    .vgpr_spill_count: 0
    .wavefront_size: 64
  - .agpr_count:     0
    .args:
      - .actual_access:  write_only
        .address_space:  global
        .offset:         0
        .size:           8
        .value_kind:     global_buffer
      - .actual_access:  write_only
        .address_space:  global
        .offset:         8
        .size:           8
        .value_kind:     global_buffer
      - .actual_access:  write_only
        .address_space:  global
        .offset:         16
        .size:           8
        .value_kind:     global_buffer
      - .actual_access:  read_only
        .address_space:  global
        .offset:         24
        .size:           8
        .value_kind:     global_buffer
      - .actual_access:  read_only
        .address_space:  global
        .offset:         32
        .size:           8
        .value_kind:     global_buffer
      - .actual_access:  read_only
        .address_space:  global
        .offset:         40
        .size:           8
        .value_kind:     global_buffer
      - .offset:         48
        .size:           4
        .value_kind:     by_value
      - .offset:         52
        .size:           4
        .value_kind:     by_value
      - .actual_access:  read_only
        .address_space:  global
        .offset:         56
        .size:           8
        .value_kind:     global_buffer
      - .actual_access:  read_only
        .address_space:  global
        .offset:         64
        .size:           8
        .value_kind:     global_buffer
      - .offset:         72
        .size:           4
        .value_kind:     by_value
      - .actual_access:  read_only
        .address_space:  global
        .offset:         80
        .size:           8
        .value_kind:     global_buffer
      - .offset:         88
        .size:           4
        .value_kind:     by_value
      - .offset:         92
        .size:           4
        .value_kind:     by_value
      - .offset:         96
        .size:           4
        .value_kind:     by_value
      - .address_space:  global
        .offset:         104
        .size:           8
        .value_kind:     global_buffer
      - .address_space:  global
        .offset:         112
        .size:           8
        .value_kind:     global_buffer
      - .offset:         120
        .size:           4
        .value_kind:     by_value
      - .offset:         124
        .size:           4
        .value_kind:     by_value
      - .offset:         128
        .size:           4
        .value_kind:     by_value
      - .offset:         132
        .size:           4
        .value_kind:     by_value
      - .offset:         136
        .size:           4
        .value_kind:     by_value
      - .offset:         144
        .size:           4
        .value_kind:     hidden_block_count_x
      - .offset:         148
        .size:           4
        .value_kind:     hidden_block_count_y
      - .offset:         152
        .size:           4
        .value_kind:     hidden_block_count_z
      - .offset:         156
        .size:           2
        .value_kind:     hidden_group_size_x
      - .offset:         158
        .size:           2
        .value_kind:     hidden_group_size_y
      - .offset:         160
        .size:           2
        .value_kind:     hidden_group_size_z
      - .offset:         162
        .size:           2
        .value_kind:     hidden_remainder_x
      - .offset:         164
        .size:           2
        .value_kind:     hidden_remainder_y
      - .offset:         166
        .size:           2
        .value_kind:     hidden_remainder_z
      - .offset:         184
        .size:           8
        .value_kind:     hidden_global_offset_x
      - .offset:         192
        .size:           8
        .value_kind:     hidden_global_offset_y
      - .offset:         200
        .size:           8
        .value_kind:     hidden_global_offset_z
      - .offset:         208
        .size:           2
        .value_kind:     hidden_grid_dims
      - .offset:         264
        .size:           4
        .value_kind:     hidden_dynamic_lds_size
    .group_segment_fixed_size: 464
    .kernarg_segment_align: 8
    .kernarg_segment_size: 400
    .language:       OpenCL C
    .language_version:
      - 2
      - 0
    .max_flat_workgroup_size: 1024
    .name:           _ZN4vllm25paged_attention_v2_kernelIffLi112ELi32ELi128ELNS_18Fp8KVCacheDataTypeE0ELb0ELi512EEEvPfS2_PT_PKS3_PKT0_S9_ifPKiSB_iPKfiiiSD_SD_iiiii
    .private_segment_fixed_size: 0
    .sgpr_count:     51
    .sgpr_spill_count: 0
    .symbol:         _ZN4vllm25paged_attention_v2_kernelIffLi112ELi32ELi128ELNS_18Fp8KVCacheDataTypeE0ELb0ELi512EEEvPfS2_PT_PKS3_PKT0_S9_ifPKiSB_iPKfiiiSD_SD_iiiii.kd
    .uniform_work_group_size: 1
    .uses_dynamic_stack: false
    .vgpr_count:     110
    .vgpr_spill_count: 0
    .wavefront_size: 64
  - .agpr_count:     0
    .args:
      - .actual_access:  write_only
        .address_space:  global
        .offset:         0
        .size:           8
        .value_kind:     global_buffer
      - .actual_access:  write_only
        .address_space:  global
        .offset:         8
        .size:           8
        .value_kind:     global_buffer
      - .actual_access:  write_only
        .address_space:  global
        .offset:         16
        .size:           8
        .value_kind:     global_buffer
      - .actual_access:  read_only
        .address_space:  global
        .offset:         24
        .size:           8
        .value_kind:     global_buffer
      - .actual_access:  read_only
        .address_space:  global
        .offset:         32
        .size:           8
        .value_kind:     global_buffer
      - .actual_access:  read_only
        .address_space:  global
        .offset:         40
        .size:           8
        .value_kind:     global_buffer
      - .offset:         48
        .size:           4
        .value_kind:     by_value
      - .offset:         52
        .size:           4
        .value_kind:     by_value
      - .actual_access:  read_only
        .address_space:  global
        .offset:         56
        .size:           8
        .value_kind:     global_buffer
      - .actual_access:  read_only
        .address_space:  global
        .offset:         64
        .size:           8
        .value_kind:     global_buffer
      - .offset:         72
        .size:           4
        .value_kind:     by_value
      - .actual_access:  read_only
        .address_space:  global
        .offset:         80
        .size:           8
        .value_kind:     global_buffer
      - .offset:         88
        .size:           4
        .value_kind:     by_value
      - .offset:         92
        .size:           4
        .value_kind:     by_value
      - .offset:         96
        .size:           4
        .value_kind:     by_value
      - .address_space:  global
        .offset:         104
        .size:           8
        .value_kind:     global_buffer
      - .address_space:  global
        .offset:         112
        .size:           8
        .value_kind:     global_buffer
      - .offset:         120
        .size:           4
        .value_kind:     by_value
      - .offset:         124
        .size:           4
        .value_kind:     by_value
      - .offset:         128
        .size:           4
        .value_kind:     by_value
      - .offset:         132
        .size:           4
        .value_kind:     by_value
      - .offset:         136
        .size:           4
        .value_kind:     by_value
      - .offset:         144
        .size:           4
        .value_kind:     hidden_block_count_x
      - .offset:         148
        .size:           4
        .value_kind:     hidden_block_count_y
      - .offset:         152
        .size:           4
        .value_kind:     hidden_block_count_z
      - .offset:         156
        .size:           2
        .value_kind:     hidden_group_size_x
      - .offset:         158
        .size:           2
        .value_kind:     hidden_group_size_y
      - .offset:         160
        .size:           2
        .value_kind:     hidden_group_size_z
      - .offset:         162
        .size:           2
        .value_kind:     hidden_remainder_x
      - .offset:         164
        .size:           2
        .value_kind:     hidden_remainder_y
      - .offset:         166
        .size:           2
        .value_kind:     hidden_remainder_z
      - .offset:         184
        .size:           8
        .value_kind:     hidden_global_offset_x
      - .offset:         192
        .size:           8
        .value_kind:     hidden_global_offset_y
      - .offset:         200
        .size:           8
        .value_kind:     hidden_global_offset_z
      - .offset:         208
        .size:           2
        .value_kind:     hidden_grid_dims
      - .offset:         264
        .size:           4
        .value_kind:     hidden_dynamic_lds_size
    .group_segment_fixed_size: 496
    .kernarg_segment_align: 8
    .kernarg_segment_size: 400
    .language:       OpenCL C
    .language_version:
      - 2
      - 0
    .max_flat_workgroup_size: 1024
    .name:           _ZN4vllm25paged_attention_v2_kernelIffLi120ELi32ELi128ELNS_18Fp8KVCacheDataTypeE0ELb0ELi512EEEvPfS2_PT_PKS3_PKT0_S9_ifPKiSB_iPKfiiiSD_SD_iiiii
    .private_segment_fixed_size: 0
    .sgpr_count:     53
    .sgpr_spill_count: 0
    .symbol:         _ZN4vllm25paged_attention_v2_kernelIffLi120ELi32ELi128ELNS_18Fp8KVCacheDataTypeE0ELb0ELi512EEEvPfS2_PT_PKS3_PKT0_S9_ifPKiSB_iPKfiiiSD_SD_iiiii.kd
    .uniform_work_group_size: 1
    .uses_dynamic_stack: false
    .vgpr_count:     117
    .vgpr_spill_count: 0
    .wavefront_size: 64
  - .agpr_count:     0
    .args:
      - .actual_access:  write_only
        .address_space:  global
        .offset:         0
        .size:           8
        .value_kind:     global_buffer
      - .actual_access:  write_only
        .address_space:  global
        .offset:         8
        .size:           8
        .value_kind:     global_buffer
      - .actual_access:  write_only
        .address_space:  global
        .offset:         16
        .size:           8
        .value_kind:     global_buffer
      - .actual_access:  read_only
        .address_space:  global
        .offset:         24
        .size:           8
        .value_kind:     global_buffer
      - .actual_access:  read_only
        .address_space:  global
        .offset:         32
        .size:           8
        .value_kind:     global_buffer
      - .actual_access:  read_only
        .address_space:  global
        .offset:         40
        .size:           8
        .value_kind:     global_buffer
      - .offset:         48
        .size:           4
        .value_kind:     by_value
      - .offset:         52
        .size:           4
        .value_kind:     by_value
      - .actual_access:  read_only
        .address_space:  global
        .offset:         56
        .size:           8
        .value_kind:     global_buffer
      - .actual_access:  read_only
        .address_space:  global
        .offset:         64
        .size:           8
        .value_kind:     global_buffer
      - .offset:         72
        .size:           4
        .value_kind:     by_value
      - .actual_access:  read_only
        .address_space:  global
        .offset:         80
        .size:           8
        .value_kind:     global_buffer
      - .offset:         88
        .size:           4
        .value_kind:     by_value
      - .offset:         92
        .size:           4
        .value_kind:     by_value
      - .offset:         96
        .size:           4
        .value_kind:     by_value
      - .address_space:  global
        .offset:         104
        .size:           8
        .value_kind:     global_buffer
      - .address_space:  global
        .offset:         112
        .size:           8
        .value_kind:     global_buffer
      - .offset:         120
        .size:           4
        .value_kind:     by_value
      - .offset:         124
        .size:           4
        .value_kind:     by_value
      - .offset:         128
        .size:           4
        .value_kind:     by_value
      - .offset:         132
        .size:           4
        .value_kind:     by_value
      - .offset:         136
        .size:           4
        .value_kind:     by_value
      - .offset:         144
        .size:           4
        .value_kind:     hidden_block_count_x
      - .offset:         148
        .size:           4
        .value_kind:     hidden_block_count_y
      - .offset:         152
        .size:           4
        .value_kind:     hidden_block_count_z
      - .offset:         156
        .size:           2
        .value_kind:     hidden_group_size_x
      - .offset:         158
        .size:           2
        .value_kind:     hidden_group_size_y
      - .offset:         160
        .size:           2
        .value_kind:     hidden_group_size_z
      - .offset:         162
        .size:           2
        .value_kind:     hidden_remainder_x
      - .offset:         164
        .size:           2
        .value_kind:     hidden_remainder_y
      - .offset:         166
        .size:           2
        .value_kind:     hidden_remainder_z
      - .offset:         184
        .size:           8
        .value_kind:     hidden_global_offset_x
      - .offset:         192
        .size:           8
        .value_kind:     hidden_global_offset_y
      - .offset:         200
        .size:           8
        .value_kind:     hidden_global_offset_z
      - .offset:         208
        .size:           2
        .value_kind:     hidden_grid_dims
      - .offset:         264
        .size:           4
        .value_kind:     hidden_dynamic_lds_size
    .group_segment_fixed_size: 528
    .kernarg_segment_align: 8
    .kernarg_segment_size: 400
    .language:       OpenCL C
    .language_version:
      - 2
      - 0
    .max_flat_workgroup_size: 1024
    .name:           _ZN4vllm25paged_attention_v2_kernelIffLi128ELi32ELi128ELNS_18Fp8KVCacheDataTypeE0ELb0ELi512EEEvPfS2_PT_PKS3_PKT0_S9_ifPKiSB_iPKfiiiSD_SD_iiiii
    .private_segment_fixed_size: 0
    .sgpr_count:     55
    .sgpr_spill_count: 0
    .symbol:         _ZN4vllm25paged_attention_v2_kernelIffLi128ELi32ELi128ELNS_18Fp8KVCacheDataTypeE0ELb0ELi512EEEvPfS2_PT_PKS3_PKT0_S9_ifPKiSB_iPKfiiiSD_SD_iiiii.kd
    .uniform_work_group_size: 1
    .uses_dynamic_stack: false
    .vgpr_count:     124
    .vgpr_spill_count: 0
    .wavefront_size: 64
  - .agpr_count:     0
    .args:
      - .actual_access:  write_only
        .address_space:  global
        .offset:         0
        .size:           8
        .value_kind:     global_buffer
      - .actual_access:  write_only
        .address_space:  global
        .offset:         8
        .size:           8
        .value_kind:     global_buffer
      - .actual_access:  write_only
        .address_space:  global
        .offset:         16
        .size:           8
        .value_kind:     global_buffer
      - .actual_access:  read_only
        .address_space:  global
        .offset:         24
        .size:           8
        .value_kind:     global_buffer
      - .actual_access:  read_only
        .address_space:  global
        .offset:         32
        .size:           8
        .value_kind:     global_buffer
      - .actual_access:  read_only
        .address_space:  global
        .offset:         40
        .size:           8
        .value_kind:     global_buffer
      - .offset:         48
        .size:           4
        .value_kind:     by_value
      - .offset:         52
        .size:           4
        .value_kind:     by_value
      - .actual_access:  read_only
        .address_space:  global
        .offset:         56
        .size:           8
        .value_kind:     global_buffer
      - .actual_access:  read_only
        .address_space:  global
        .offset:         64
        .size:           8
        .value_kind:     global_buffer
      - .offset:         72
        .size:           4
        .value_kind:     by_value
      - .actual_access:  read_only
        .address_space:  global
        .offset:         80
        .size:           8
        .value_kind:     global_buffer
      - .offset:         88
        .size:           4
        .value_kind:     by_value
      - .offset:         92
        .size:           4
        .value_kind:     by_value
      - .offset:         96
        .size:           4
        .value_kind:     by_value
      - .address_space:  global
        .offset:         104
        .size:           8
        .value_kind:     global_buffer
      - .address_space:  global
        .offset:         112
        .size:           8
        .value_kind:     global_buffer
      - .offset:         120
        .size:           4
        .value_kind:     by_value
      - .offset:         124
        .size:           4
        .value_kind:     by_value
      - .offset:         128
        .size:           4
        .value_kind:     by_value
      - .offset:         132
        .size:           4
        .value_kind:     by_value
      - .offset:         136
        .size:           4
        .value_kind:     by_value
      - .offset:         144
        .size:           4
        .value_kind:     hidden_block_count_x
      - .offset:         148
        .size:           4
        .value_kind:     hidden_block_count_y
      - .offset:         152
        .size:           4
        .value_kind:     hidden_block_count_z
      - .offset:         156
        .size:           2
        .value_kind:     hidden_group_size_x
      - .offset:         158
        .size:           2
        .value_kind:     hidden_group_size_y
      - .offset:         160
        .size:           2
        .value_kind:     hidden_group_size_z
      - .offset:         162
        .size:           2
        .value_kind:     hidden_remainder_x
      - .offset:         164
        .size:           2
        .value_kind:     hidden_remainder_y
      - .offset:         166
        .size:           2
        .value_kind:     hidden_remainder_z
      - .offset:         184
        .size:           8
        .value_kind:     hidden_global_offset_x
      - .offset:         192
        .size:           8
        .value_kind:     hidden_global_offset_y
      - .offset:         200
        .size:           8
        .value_kind:     hidden_global_offset_z
      - .offset:         208
        .size:           2
        .value_kind:     hidden_grid_dims
      - .offset:         264
        .size:           4
        .value_kind:     hidden_dynamic_lds_size
    .group_segment_fixed_size: 784
    .kernarg_segment_align: 8
    .kernarg_segment_size: 400
    .language:       OpenCL C
    .language_version:
      - 2
      - 0
    .max_flat_workgroup_size: 1024
    .name:           _ZN4vllm25paged_attention_v2_kernelIffLi192ELi32ELi128ELNS_18Fp8KVCacheDataTypeE0ELb0ELi512EEEvPfS2_PT_PKS3_PKT0_S9_ifPKiSB_iPKfiiiSD_SD_iiiii
    .private_segment_fixed_size: 224
    .sgpr_count:     59
    .sgpr_spill_count: 0
    .symbol:         _ZN4vllm25paged_attention_v2_kernelIffLi192ELi32ELi128ELNS_18Fp8KVCacheDataTypeE0ELb0ELi512EEEvPfS2_PT_PKS3_PKT0_S9_ifPKiSB_iPKfiiiSD_SD_iiiii.kd
    .uniform_work_group_size: 1
    .uses_dynamic_stack: false
    .vgpr_count:     128
    .vgpr_spill_count: 102
    .wavefront_size: 64
  - .agpr_count:     0
    .args:
      - .actual_access:  write_only
        .address_space:  global
        .offset:         0
        .size:           8
        .value_kind:     global_buffer
      - .actual_access:  write_only
        .address_space:  global
        .offset:         8
        .size:           8
        .value_kind:     global_buffer
      - .actual_access:  write_only
        .address_space:  global
        .offset:         16
        .size:           8
        .value_kind:     global_buffer
      - .actual_access:  read_only
        .address_space:  global
        .offset:         24
        .size:           8
        .value_kind:     global_buffer
      - .actual_access:  read_only
        .address_space:  global
        .offset:         32
        .size:           8
        .value_kind:     global_buffer
      - .actual_access:  read_only
        .address_space:  global
        .offset:         40
        .size:           8
        .value_kind:     global_buffer
      - .offset:         48
        .size:           4
        .value_kind:     by_value
      - .offset:         52
        .size:           4
        .value_kind:     by_value
      - .actual_access:  read_only
        .address_space:  global
        .offset:         56
        .size:           8
        .value_kind:     global_buffer
      - .actual_access:  read_only
        .address_space:  global
        .offset:         64
        .size:           8
        .value_kind:     global_buffer
      - .offset:         72
        .size:           4
        .value_kind:     by_value
      - .actual_access:  read_only
        .address_space:  global
        .offset:         80
        .size:           8
        .value_kind:     global_buffer
      - .offset:         88
        .size:           4
        .value_kind:     by_value
      - .offset:         92
        .size:           4
        .value_kind:     by_value
      - .offset:         96
        .size:           4
        .value_kind:     by_value
      - .address_space:  global
        .offset:         104
        .size:           8
        .value_kind:     global_buffer
      - .address_space:  global
        .offset:         112
        .size:           8
        .value_kind:     global_buffer
      - .offset:         120
        .size:           4
        .value_kind:     by_value
      - .offset:         124
        .size:           4
        .value_kind:     by_value
      - .offset:         128
        .size:           4
        .value_kind:     by_value
      - .offset:         132
        .size:           4
        .value_kind:     by_value
      - .offset:         136
        .size:           4
        .value_kind:     by_value
      - .offset:         144
        .size:           4
        .value_kind:     hidden_block_count_x
      - .offset:         148
        .size:           4
        .value_kind:     hidden_block_count_y
      - .offset:         152
        .size:           4
        .value_kind:     hidden_block_count_z
      - .offset:         156
        .size:           2
        .value_kind:     hidden_group_size_x
      - .offset:         158
        .size:           2
        .value_kind:     hidden_group_size_y
      - .offset:         160
        .size:           2
        .value_kind:     hidden_group_size_z
      - .offset:         162
        .size:           2
        .value_kind:     hidden_remainder_x
      - .offset:         164
        .size:           2
        .value_kind:     hidden_remainder_y
      - .offset:         166
        .size:           2
        .value_kind:     hidden_remainder_z
      - .offset:         184
        .size:           8
        .value_kind:     hidden_global_offset_x
      - .offset:         192
        .size:           8
        .value_kind:     hidden_global_offset_y
      - .offset:         200
        .size:           8
        .value_kind:     hidden_global_offset_z
      - .offset:         208
        .size:           2
        .value_kind:     hidden_grid_dims
      - .offset:         264
        .size:           4
        .value_kind:     hidden_dynamic_lds_size
    .group_segment_fixed_size: 1040
    .kernarg_segment_align: 8
    .kernarg_segment_size: 400
    .language:       OpenCL C
    .language_version:
      - 2
      - 0
    .max_flat_workgroup_size: 1024
    .name:           _ZN4vllm25paged_attention_v2_kernelIffLi256ELi32ELi128ELNS_18Fp8KVCacheDataTypeE0ELb0ELi512EEEvPfS2_PT_PKS3_PKT0_S9_ifPKiSB_iPKfiiiSD_SD_iiiii
    .private_segment_fixed_size: 472
    .sgpr_count:     55
    .sgpr_spill_count: 0
    .symbol:         _ZN4vllm25paged_attention_v2_kernelIffLi256ELi32ELi128ELNS_18Fp8KVCacheDataTypeE0ELb0ELi512EEEvPfS2_PT_PKS3_PKT0_S9_ifPKiSB_iPKfiiiSD_SD_iiiii.kd
    .uniform_work_group_size: 1
    .uses_dynamic_stack: false
    .vgpr_count:     128
    .vgpr_spill_count: 246
    .wavefront_size: 64
  - .agpr_count:     0
    .args:
      - .actual_access:  write_only
        .address_space:  global
        .offset:         0
        .size:           8
        .value_kind:     global_buffer
      - .actual_access:  write_only
        .address_space:  global
        .offset:         8
        .size:           8
        .value_kind:     global_buffer
      - .actual_access:  write_only
        .address_space:  global
        .offset:         16
        .size:           8
        .value_kind:     global_buffer
      - .actual_access:  read_only
        .address_space:  global
        .offset:         24
        .size:           8
        .value_kind:     global_buffer
      - .actual_access:  read_only
        .address_space:  global
        .offset:         32
        .size:           8
        .value_kind:     global_buffer
      - .actual_access:  read_only
        .address_space:  global
        .offset:         40
        .size:           8
        .value_kind:     global_buffer
      - .offset:         48
        .size:           4
        .value_kind:     by_value
      - .offset:         52
        .size:           4
        .value_kind:     by_value
      - .actual_access:  read_only
        .address_space:  global
        .offset:         56
        .size:           8
        .value_kind:     global_buffer
      - .actual_access:  read_only
        .address_space:  global
        .offset:         64
        .size:           8
        .value_kind:     global_buffer
      - .offset:         72
        .size:           4
        .value_kind:     by_value
      - .actual_access:  read_only
        .address_space:  global
        .offset:         80
        .size:           8
        .value_kind:     global_buffer
      - .offset:         88
        .size:           4
        .value_kind:     by_value
      - .offset:         92
        .size:           4
        .value_kind:     by_value
      - .offset:         96
        .size:           4
        .value_kind:     by_value
      - .address_space:  global
        .offset:         104
        .size:           8
        .value_kind:     global_buffer
      - .address_space:  global
        .offset:         112
        .size:           8
        .value_kind:     global_buffer
      - .offset:         120
        .size:           4
        .value_kind:     by_value
      - .offset:         124
        .size:           4
        .value_kind:     by_value
      - .offset:         128
        .size:           4
        .value_kind:     by_value
      - .offset:         132
        .size:           4
        .value_kind:     by_value
      - .offset:         136
        .size:           4
        .value_kind:     by_value
      - .offset:         144
        .size:           4
        .value_kind:     hidden_block_count_x
      - .offset:         148
        .size:           4
        .value_kind:     hidden_block_count_y
      - .offset:         152
        .size:           4
        .value_kind:     hidden_block_count_z
      - .offset:         156
        .size:           2
        .value_kind:     hidden_group_size_x
      - .offset:         158
        .size:           2
        .value_kind:     hidden_group_size_y
      - .offset:         160
        .size:           2
        .value_kind:     hidden_group_size_z
      - .offset:         162
        .size:           2
        .value_kind:     hidden_remainder_x
      - .offset:         164
        .size:           2
        .value_kind:     hidden_remainder_y
      - .offset:         166
        .size:           2
        .value_kind:     hidden_remainder_z
      - .offset:         184
        .size:           8
        .value_kind:     hidden_global_offset_x
      - .offset:         192
        .size:           8
        .value_kind:     hidden_global_offset_y
      - .offset:         200
        .size:           8
        .value_kind:     hidden_global_offset_z
      - .offset:         208
        .size:           2
        .value_kind:     hidden_grid_dims
      - .offset:         264
        .size:           4
        .value_kind:     hidden_dynamic_lds_size
    .group_segment_fixed_size: 80
    .kernarg_segment_align: 8
    .kernarg_segment_size: 400
    .language:       OpenCL C
    .language_version:
      - 2
      - 0
    .max_flat_workgroup_size: 1024
    .name:           _ZN4vllm25paged_attention_v2_kernelIttLi32ELi8ELi128ELNS_18Fp8KVCacheDataTypeE0ELb1ELi512EEEvPfS2_PT_PKS3_PKT0_S9_ifPKiSB_iPKfiiiSD_SD_iiiii
    .private_segment_fixed_size: 0
    .sgpr_count:     58
    .sgpr_spill_count: 0
    .symbol:         _ZN4vllm25paged_attention_v2_kernelIttLi32ELi8ELi128ELNS_18Fp8KVCacheDataTypeE0ELb1ELi512EEEvPfS2_PT_PKS3_PKT0_S9_ifPKiSB_iPKfiiiSD_SD_iiiii.kd
    .uniform_work_group_size: 1
    .uses_dynamic_stack: false
    .vgpr_count:     33
    .vgpr_spill_count: 0
    .wavefront_size: 64
  - .agpr_count:     0
    .args:
      - .actual_access:  write_only
        .address_space:  global
        .offset:         0
        .size:           8
        .value_kind:     global_buffer
      - .actual_access:  read_only
        .address_space:  global
        .offset:         8
        .size:           8
        .value_kind:     global_buffer
      - .actual_access:  read_only
        .address_space:  global
        .offset:         16
        .size:           8
        .value_kind:     global_buffer
      - .actual_access:  read_only
        .address_space:  global
        .offset:         24
        .size:           8
        .value_kind:     global_buffer
      - .actual_access:  read_only
        .address_space:  global
        .offset:         32
        .size:           8
        .value_kind:     global_buffer
      - .offset:         40
        .size:           4
        .value_kind:     by_value
      - .offset:         48
        .size:           4
        .value_kind:     hidden_block_count_x
      - .offset:         52
        .size:           4
        .value_kind:     hidden_block_count_y
      - .offset:         56
        .size:           4
        .value_kind:     hidden_block_count_z
      - .offset:         60
        .size:           2
        .value_kind:     hidden_group_size_x
      - .offset:         62
        .size:           2
        .value_kind:     hidden_group_size_y
      - .offset:         64
        .size:           2
        .value_kind:     hidden_group_size_z
      - .offset:         66
        .size:           2
        .value_kind:     hidden_remainder_x
      - .offset:         68
        .size:           2
        .value_kind:     hidden_remainder_y
      - .offset:         70
        .size:           2
        .value_kind:     hidden_remainder_z
      - .offset:         88
        .size:           8
        .value_kind:     hidden_global_offset_x
      - .offset:         96
        .size:           8
        .value_kind:     hidden_global_offset_y
      - .offset:         104
        .size:           8
        .value_kind:     hidden_global_offset_z
      - .offset:         112
        .size:           2
        .value_kind:     hidden_grid_dims
      - .offset:         168
        .size:           4
        .value_kind:     hidden_dynamic_lds_size
    .group_segment_fixed_size: 16
    .kernarg_segment_align: 8
    .kernarg_segment_size: 304
    .language:       OpenCL C
    .language_version:
      - 2
      - 0
    .max_flat_workgroup_size: 1024
    .name:           _ZN4vllm32paged_attention_v2_reduce_kernelItLi32ELi128ELi512EEEvPT_PKfS4_PKS1_PKii
    .private_segment_fixed_size: 0
    .sgpr_count:     38
    .sgpr_spill_count: 0
    .symbol:         _ZN4vllm32paged_attention_v2_reduce_kernelItLi32ELi128ELi512EEEvPT_PKfS4_PKS1_PKii.kd
    .uniform_work_group_size: 1
    .uses_dynamic_stack: false
    .vgpr_count:     23
    .vgpr_spill_count: 0
    .wavefront_size: 64
  - .agpr_count:     0
    .args:
      - .actual_access:  write_only
        .address_space:  global
        .offset:         0
        .size:           8
        .value_kind:     global_buffer
      - .actual_access:  write_only
        .address_space:  global
        .offset:         8
        .size:           8
        .value_kind:     global_buffer
      - .actual_access:  write_only
        .address_space:  global
        .offset:         16
        .size:           8
        .value_kind:     global_buffer
      - .actual_access:  read_only
        .address_space:  global
        .offset:         24
        .size:           8
        .value_kind:     global_buffer
      - .actual_access:  read_only
        .address_space:  global
        .offset:         32
        .size:           8
        .value_kind:     global_buffer
      - .actual_access:  read_only
        .address_space:  global
        .offset:         40
        .size:           8
        .value_kind:     global_buffer
      - .offset:         48
        .size:           4
        .value_kind:     by_value
      - .offset:         52
        .size:           4
        .value_kind:     by_value
      - .actual_access:  read_only
        .address_space:  global
        .offset:         56
        .size:           8
        .value_kind:     global_buffer
      - .actual_access:  read_only
        .address_space:  global
        .offset:         64
        .size:           8
        .value_kind:     global_buffer
      - .offset:         72
        .size:           4
        .value_kind:     by_value
      - .actual_access:  read_only
        .address_space:  global
        .offset:         80
        .size:           8
        .value_kind:     global_buffer
      - .offset:         88
        .size:           4
        .value_kind:     by_value
      - .offset:         92
        .size:           4
        .value_kind:     by_value
      - .offset:         96
        .size:           4
        .value_kind:     by_value
      - .address_space:  global
        .offset:         104
        .size:           8
        .value_kind:     global_buffer
      - .address_space:  global
        .offset:         112
        .size:           8
        .value_kind:     global_buffer
      - .offset:         120
        .size:           4
        .value_kind:     by_value
      - .offset:         124
        .size:           4
        .value_kind:     by_value
      - .offset:         128
        .size:           4
        .value_kind:     by_value
      - .offset:         132
        .size:           4
        .value_kind:     by_value
      - .offset:         136
        .size:           4
        .value_kind:     by_value
      - .offset:         144
        .size:           4
        .value_kind:     hidden_block_count_x
      - .offset:         148
        .size:           4
        .value_kind:     hidden_block_count_y
      - .offset:         152
        .size:           4
        .value_kind:     hidden_block_count_z
      - .offset:         156
        .size:           2
        .value_kind:     hidden_group_size_x
      - .offset:         158
        .size:           2
        .value_kind:     hidden_group_size_y
      - .offset:         160
        .size:           2
        .value_kind:     hidden_group_size_z
      - .offset:         162
        .size:           2
        .value_kind:     hidden_remainder_x
      - .offset:         164
        .size:           2
        .value_kind:     hidden_remainder_y
      - .offset:         166
        .size:           2
        .value_kind:     hidden_remainder_z
      - .offset:         184
        .size:           8
        .value_kind:     hidden_global_offset_x
      - .offset:         192
        .size:           8
        .value_kind:     hidden_global_offset_y
      - .offset:         200
        .size:           8
        .value_kind:     hidden_global_offset_z
      - .offset:         208
        .size:           2
        .value_kind:     hidden_grid_dims
      - .offset:         264
        .size:           4
        .value_kind:     hidden_dynamic_lds_size
    .group_segment_fixed_size: 144
    .kernarg_segment_align: 8
    .kernarg_segment_size: 400
    .language:       OpenCL C
    .language_version:
      - 2
      - 0
    .max_flat_workgroup_size: 1024
    .name:           _ZN4vllm25paged_attention_v2_kernelIttLi64ELi8ELi128ELNS_18Fp8KVCacheDataTypeE0ELb1ELi512EEEvPfS2_PT_PKS3_PKT0_S9_ifPKiSB_iPKfiiiSD_SD_iiiii
    .private_segment_fixed_size: 0
    .sgpr_count:     60
    .sgpr_spill_count: 0
    .symbol:         _ZN4vllm25paged_attention_v2_kernelIttLi64ELi8ELi128ELNS_18Fp8KVCacheDataTypeE0ELb1ELi512EEEvPfS2_PT_PKS3_PKT0_S9_ifPKiSB_iPKfiiiSD_SD_iiiii.kd
    .uniform_work_group_size: 1
    .uses_dynamic_stack: false
    .vgpr_count:     40
    .vgpr_spill_count: 0
    .wavefront_size: 64
  - .agpr_count:     0
    .args:
      - .actual_access:  write_only
        .address_space:  global
        .offset:         0
        .size:           8
        .value_kind:     global_buffer
      - .actual_access:  read_only
        .address_space:  global
        .offset:         8
        .size:           8
        .value_kind:     global_buffer
      - .actual_access:  read_only
        .address_space:  global
        .offset:         16
        .size:           8
        .value_kind:     global_buffer
      - .actual_access:  read_only
        .address_space:  global
        .offset:         24
        .size:           8
        .value_kind:     global_buffer
      - .actual_access:  read_only
        .address_space:  global
        .offset:         32
        .size:           8
        .value_kind:     global_buffer
      - .offset:         40
        .size:           4
        .value_kind:     by_value
      - .offset:         48
        .size:           4
        .value_kind:     hidden_block_count_x
      - .offset:         52
        .size:           4
        .value_kind:     hidden_block_count_y
      - .offset:         56
        .size:           4
        .value_kind:     hidden_block_count_z
      - .offset:         60
        .size:           2
        .value_kind:     hidden_group_size_x
      - .offset:         62
        .size:           2
        .value_kind:     hidden_group_size_y
      - .offset:         64
        .size:           2
        .value_kind:     hidden_group_size_z
      - .offset:         66
        .size:           2
        .value_kind:     hidden_remainder_x
      - .offset:         68
        .size:           2
        .value_kind:     hidden_remainder_y
      - .offset:         70
        .size:           2
        .value_kind:     hidden_remainder_z
      - .offset:         88
        .size:           8
        .value_kind:     hidden_global_offset_x
      - .offset:         96
        .size:           8
        .value_kind:     hidden_global_offset_y
      - .offset:         104
        .size:           8
        .value_kind:     hidden_global_offset_z
      - .offset:         112
        .size:           2
        .value_kind:     hidden_grid_dims
      - .offset:         168
        .size:           4
        .value_kind:     hidden_dynamic_lds_size
    .group_segment_fixed_size: 16
    .kernarg_segment_align: 8
    .kernarg_segment_size: 304
    .language:       OpenCL C
    .language_version:
      - 2
      - 0
    .max_flat_workgroup_size: 1024
    .name:           _ZN4vllm32paged_attention_v2_reduce_kernelItLi64ELi128ELi512EEEvPT_PKfS4_PKS1_PKii
    .private_segment_fixed_size: 0
    .sgpr_count:     38
    .sgpr_spill_count: 0
    .symbol:         _ZN4vllm32paged_attention_v2_reduce_kernelItLi64ELi128ELi512EEEvPT_PKfS4_PKS1_PKii.kd
    .uniform_work_group_size: 1
    .uses_dynamic_stack: false
    .vgpr_count:     23
    .vgpr_spill_count: 0
    .wavefront_size: 64
  - .agpr_count:     0
    .args:
      - .actual_access:  write_only
        .address_space:  global
        .offset:         0
        .size:           8
        .value_kind:     global_buffer
      - .actual_access:  write_only
        .address_space:  global
        .offset:         8
        .size:           8
        .value_kind:     global_buffer
      - .actual_access:  write_only
        .address_space:  global
        .offset:         16
        .size:           8
        .value_kind:     global_buffer
      - .actual_access:  read_only
        .address_space:  global
        .offset:         24
        .size:           8
        .value_kind:     global_buffer
      - .actual_access:  read_only
        .address_space:  global
        .offset:         32
        .size:           8
        .value_kind:     global_buffer
      - .actual_access:  read_only
        .address_space:  global
        .offset:         40
        .size:           8
        .value_kind:     global_buffer
      - .offset:         48
        .size:           4
        .value_kind:     by_value
      - .offset:         52
        .size:           4
        .value_kind:     by_value
      - .actual_access:  read_only
        .address_space:  global
        .offset:         56
        .size:           8
        .value_kind:     global_buffer
      - .actual_access:  read_only
        .address_space:  global
        .offset:         64
        .size:           8
        .value_kind:     global_buffer
      - .offset:         72
        .size:           4
        .value_kind:     by_value
      - .actual_access:  read_only
        .address_space:  global
        .offset:         80
        .size:           8
        .value_kind:     global_buffer
      - .offset:         88
        .size:           4
        .value_kind:     by_value
      - .offset:         92
        .size:           4
        .value_kind:     by_value
      - .offset:         96
        .size:           4
        .value_kind:     by_value
      - .address_space:  global
        .offset:         104
        .size:           8
        .value_kind:     global_buffer
      - .address_space:  global
        .offset:         112
        .size:           8
        .value_kind:     global_buffer
      - .offset:         120
        .size:           4
        .value_kind:     by_value
      - .offset:         124
        .size:           4
        .value_kind:     by_value
      - .offset:         128
        .size:           4
        .value_kind:     by_value
      - .offset:         132
        .size:           4
        .value_kind:     by_value
      - .offset:         136
        .size:           4
        .value_kind:     by_value
      - .offset:         144
        .size:           4
        .value_kind:     hidden_block_count_x
      - .offset:         148
        .size:           4
        .value_kind:     hidden_block_count_y
      - .offset:         152
        .size:           4
        .value_kind:     hidden_block_count_z
      - .offset:         156
        .size:           2
        .value_kind:     hidden_group_size_x
      - .offset:         158
        .size:           2
        .value_kind:     hidden_group_size_y
      - .offset:         160
        .size:           2
        .value_kind:     hidden_group_size_z
      - .offset:         162
        .size:           2
        .value_kind:     hidden_remainder_x
      - .offset:         164
        .size:           2
        .value_kind:     hidden_remainder_y
      - .offset:         166
        .size:           2
        .value_kind:     hidden_remainder_z
      - .offset:         184
        .size:           8
        .value_kind:     hidden_global_offset_x
      - .offset:         192
        .size:           8
        .value_kind:     hidden_global_offset_y
      - .offset:         200
        .size:           8
        .value_kind:     hidden_global_offset_z
      - .offset:         208
        .size:           2
        .value_kind:     hidden_grid_dims
      - .offset:         264
        .size:           4
        .value_kind:     hidden_dynamic_lds_size
    .group_segment_fixed_size: 176
    .kernarg_segment_align: 8
    .kernarg_segment_size: 400
    .language:       OpenCL C
    .language_version:
      - 2
      - 0
    .max_flat_workgroup_size: 1024
    .name:           _ZN4vllm25paged_attention_v2_kernelIttLi80ELi8ELi128ELNS_18Fp8KVCacheDataTypeE0ELb1ELi512EEEvPfS2_PT_PKS3_PKT0_S9_ifPKiSB_iPKfiiiSD_SD_iiiii
    .private_segment_fixed_size: 0
    .sgpr_count:     60
    .sgpr_spill_count: 0
    .symbol:         _ZN4vllm25paged_attention_v2_kernelIttLi80ELi8ELi128ELNS_18Fp8KVCacheDataTypeE0ELb1ELi512EEEvPfS2_PT_PKS3_PKT0_S9_ifPKiSB_iPKfiiiSD_SD_iiiii.kd
    .uniform_work_group_size: 1
    .uses_dynamic_stack: false
    .vgpr_count:     44
    .vgpr_spill_count: 0
    .wavefront_size: 64
  - .agpr_count:     0
    .args:
      - .actual_access:  write_only
        .address_space:  global
        .offset:         0
        .size:           8
        .value_kind:     global_buffer
      - .actual_access:  read_only
        .address_space:  global
        .offset:         8
        .size:           8
        .value_kind:     global_buffer
      - .actual_access:  read_only
        .address_space:  global
        .offset:         16
        .size:           8
        .value_kind:     global_buffer
      - .actual_access:  read_only
        .address_space:  global
        .offset:         24
        .size:           8
        .value_kind:     global_buffer
      - .actual_access:  read_only
        .address_space:  global
        .offset:         32
        .size:           8
        .value_kind:     global_buffer
      - .offset:         40
        .size:           4
        .value_kind:     by_value
      - .offset:         48
        .size:           4
        .value_kind:     hidden_block_count_x
      - .offset:         52
        .size:           4
        .value_kind:     hidden_block_count_y
      - .offset:         56
        .size:           4
        .value_kind:     hidden_block_count_z
      - .offset:         60
        .size:           2
        .value_kind:     hidden_group_size_x
      - .offset:         62
        .size:           2
        .value_kind:     hidden_group_size_y
      - .offset:         64
        .size:           2
        .value_kind:     hidden_group_size_z
      - .offset:         66
        .size:           2
        .value_kind:     hidden_remainder_x
      - .offset:         68
        .size:           2
        .value_kind:     hidden_remainder_y
      - .offset:         70
        .size:           2
        .value_kind:     hidden_remainder_z
      - .offset:         88
        .size:           8
        .value_kind:     hidden_global_offset_x
      - .offset:         96
        .size:           8
        .value_kind:     hidden_global_offset_y
      - .offset:         104
        .size:           8
        .value_kind:     hidden_global_offset_z
      - .offset:         112
        .size:           2
        .value_kind:     hidden_grid_dims
      - .offset:         168
        .size:           4
        .value_kind:     hidden_dynamic_lds_size
    .group_segment_fixed_size: 16
    .kernarg_segment_align: 8
    .kernarg_segment_size: 304
    .language:       OpenCL C
    .language_version:
      - 2
      - 0
    .max_flat_workgroup_size: 1024
    .name:           _ZN4vllm32paged_attention_v2_reduce_kernelItLi80ELi128ELi512EEEvPT_PKfS4_PKS1_PKii
    .private_segment_fixed_size: 0
    .sgpr_count:     38
    .sgpr_spill_count: 0
    .symbol:         _ZN4vllm32paged_attention_v2_reduce_kernelItLi80ELi128ELi512EEEvPT_PKfS4_PKS1_PKii.kd
    .uniform_work_group_size: 1
    .uses_dynamic_stack: false
    .vgpr_count:     23
    .vgpr_spill_count: 0
    .wavefront_size: 64
  - .agpr_count:     0
    .args:
      - .actual_access:  write_only
        .address_space:  global
        .offset:         0
        .size:           8
        .value_kind:     global_buffer
      - .actual_access:  write_only
        .address_space:  global
        .offset:         8
        .size:           8
        .value_kind:     global_buffer
      - .actual_access:  write_only
        .address_space:  global
        .offset:         16
        .size:           8
        .value_kind:     global_buffer
      - .actual_access:  read_only
        .address_space:  global
        .offset:         24
        .size:           8
        .value_kind:     global_buffer
      - .actual_access:  read_only
        .address_space:  global
        .offset:         32
        .size:           8
        .value_kind:     global_buffer
      - .actual_access:  read_only
        .address_space:  global
        .offset:         40
        .size:           8
        .value_kind:     global_buffer
      - .offset:         48
        .size:           4
        .value_kind:     by_value
      - .offset:         52
        .size:           4
        .value_kind:     by_value
      - .actual_access:  read_only
        .address_space:  global
        .offset:         56
        .size:           8
        .value_kind:     global_buffer
      - .actual_access:  read_only
        .address_space:  global
        .offset:         64
        .size:           8
        .value_kind:     global_buffer
      - .offset:         72
        .size:           4
        .value_kind:     by_value
      - .actual_access:  read_only
        .address_space:  global
        .offset:         80
        .size:           8
        .value_kind:     global_buffer
      - .offset:         88
        .size:           4
        .value_kind:     by_value
      - .offset:         92
        .size:           4
        .value_kind:     by_value
      - .offset:         96
        .size:           4
        .value_kind:     by_value
      - .address_space:  global
        .offset:         104
        .size:           8
        .value_kind:     global_buffer
      - .address_space:  global
        .offset:         112
        .size:           8
        .value_kind:     global_buffer
      - .offset:         120
        .size:           4
        .value_kind:     by_value
      - .offset:         124
        .size:           4
        .value_kind:     by_value
      - .offset:         128
        .size:           4
        .value_kind:     by_value
      - .offset:         132
        .size:           4
        .value_kind:     by_value
      - .offset:         136
        .size:           4
        .value_kind:     by_value
      - .offset:         144
        .size:           4
        .value_kind:     hidden_block_count_x
      - .offset:         148
        .size:           4
        .value_kind:     hidden_block_count_y
      - .offset:         152
        .size:           4
        .value_kind:     hidden_block_count_z
      - .offset:         156
        .size:           2
        .value_kind:     hidden_group_size_x
      - .offset:         158
        .size:           2
        .value_kind:     hidden_group_size_y
      - .offset:         160
        .size:           2
        .value_kind:     hidden_group_size_z
      - .offset:         162
        .size:           2
        .value_kind:     hidden_remainder_x
      - .offset:         164
        .size:           2
        .value_kind:     hidden_remainder_y
      - .offset:         166
        .size:           2
        .value_kind:     hidden_remainder_z
      - .offset:         184
        .size:           8
        .value_kind:     hidden_global_offset_x
      - .offset:         192
        .size:           8
        .value_kind:     hidden_global_offset_y
      - .offset:         200
        .size:           8
        .value_kind:     hidden_global_offset_z
      - .offset:         208
        .size:           2
        .value_kind:     hidden_grid_dims
      - .offset:         264
        .size:           4
        .value_kind:     hidden_dynamic_lds_size
    .group_segment_fixed_size: 208
    .kernarg_segment_align: 8
    .kernarg_segment_size: 400
    .language:       OpenCL C
    .language_version:
      - 2
      - 0
    .max_flat_workgroup_size: 1024
    .name:           _ZN4vllm25paged_attention_v2_kernelIttLi96ELi8ELi128ELNS_18Fp8KVCacheDataTypeE0ELb1ELi512EEEvPfS2_PT_PKS3_PKT0_S9_ifPKiSB_iPKfiiiSD_SD_iiiii
    .private_segment_fixed_size: 0
    .sgpr_count:     60
    .sgpr_spill_count: 0
    .symbol:         _ZN4vllm25paged_attention_v2_kernelIttLi96ELi8ELi128ELNS_18Fp8KVCacheDataTypeE0ELb1ELi512EEEvPfS2_PT_PKS3_PKT0_S9_ifPKiSB_iPKfiiiSD_SD_iiiii.kd
    .uniform_work_group_size: 1
    .uses_dynamic_stack: false
    .vgpr_count:     48
    .vgpr_spill_count: 0
    .wavefront_size: 64
  - .agpr_count:     0
    .args:
      - .actual_access:  write_only
        .address_space:  global
        .offset:         0
        .size:           8
        .value_kind:     global_buffer
      - .actual_access:  read_only
        .address_space:  global
        .offset:         8
        .size:           8
        .value_kind:     global_buffer
      - .actual_access:  read_only
        .address_space:  global
        .offset:         16
        .size:           8
        .value_kind:     global_buffer
      - .actual_access:  read_only
        .address_space:  global
        .offset:         24
        .size:           8
        .value_kind:     global_buffer
      - .actual_access:  read_only
        .address_space:  global
        .offset:         32
        .size:           8
        .value_kind:     global_buffer
      - .offset:         40
        .size:           4
        .value_kind:     by_value
      - .offset:         48
        .size:           4
        .value_kind:     hidden_block_count_x
      - .offset:         52
        .size:           4
        .value_kind:     hidden_block_count_y
      - .offset:         56
        .size:           4
        .value_kind:     hidden_block_count_z
      - .offset:         60
        .size:           2
        .value_kind:     hidden_group_size_x
      - .offset:         62
        .size:           2
        .value_kind:     hidden_group_size_y
      - .offset:         64
        .size:           2
        .value_kind:     hidden_group_size_z
      - .offset:         66
        .size:           2
        .value_kind:     hidden_remainder_x
      - .offset:         68
        .size:           2
        .value_kind:     hidden_remainder_y
      - .offset:         70
        .size:           2
        .value_kind:     hidden_remainder_z
      - .offset:         88
        .size:           8
        .value_kind:     hidden_global_offset_x
      - .offset:         96
        .size:           8
        .value_kind:     hidden_global_offset_y
      - .offset:         104
        .size:           8
        .value_kind:     hidden_global_offset_z
      - .offset:         112
        .size:           2
        .value_kind:     hidden_grid_dims
      - .offset:         168
        .size:           4
        .value_kind:     hidden_dynamic_lds_size
    .group_segment_fixed_size: 16
    .kernarg_segment_align: 8
    .kernarg_segment_size: 304
    .language:       OpenCL C
    .language_version:
      - 2
      - 0
    .max_flat_workgroup_size: 1024
    .name:           _ZN4vllm32paged_attention_v2_reduce_kernelItLi96ELi128ELi512EEEvPT_PKfS4_PKS1_PKii
    .private_segment_fixed_size: 0
    .sgpr_count:     38
    .sgpr_spill_count: 0
    .symbol:         _ZN4vllm32paged_attention_v2_reduce_kernelItLi96ELi128ELi512EEEvPT_PKfS4_PKS1_PKii.kd
    .uniform_work_group_size: 1
    .uses_dynamic_stack: false
    .vgpr_count:     23
    .vgpr_spill_count: 0
    .wavefront_size: 64
  - .agpr_count:     0
    .args:
      - .actual_access:  write_only
        .address_space:  global
        .offset:         0
        .size:           8
        .value_kind:     global_buffer
      - .actual_access:  write_only
        .address_space:  global
        .offset:         8
        .size:           8
        .value_kind:     global_buffer
      - .actual_access:  write_only
        .address_space:  global
        .offset:         16
        .size:           8
        .value_kind:     global_buffer
      - .actual_access:  read_only
        .address_space:  global
        .offset:         24
        .size:           8
        .value_kind:     global_buffer
      - .actual_access:  read_only
        .address_space:  global
        .offset:         32
        .size:           8
        .value_kind:     global_buffer
      - .actual_access:  read_only
        .address_space:  global
        .offset:         40
        .size:           8
        .value_kind:     global_buffer
      - .offset:         48
        .size:           4
        .value_kind:     by_value
      - .offset:         52
        .size:           4
        .value_kind:     by_value
      - .actual_access:  read_only
        .address_space:  global
        .offset:         56
        .size:           8
        .value_kind:     global_buffer
      - .actual_access:  read_only
        .address_space:  global
        .offset:         64
        .size:           8
        .value_kind:     global_buffer
      - .offset:         72
        .size:           4
        .value_kind:     by_value
      - .actual_access:  read_only
        .address_space:  global
        .offset:         80
        .size:           8
        .value_kind:     global_buffer
      - .offset:         88
        .size:           4
        .value_kind:     by_value
      - .offset:         92
        .size:           4
        .value_kind:     by_value
      - .offset:         96
        .size:           4
        .value_kind:     by_value
      - .address_space:  global
        .offset:         104
        .size:           8
        .value_kind:     global_buffer
      - .address_space:  global
        .offset:         112
        .size:           8
        .value_kind:     global_buffer
      - .offset:         120
        .size:           4
        .value_kind:     by_value
      - .offset:         124
        .size:           4
        .value_kind:     by_value
      - .offset:         128
        .size:           4
        .value_kind:     by_value
      - .offset:         132
        .size:           4
        .value_kind:     by_value
      - .offset:         136
        .size:           4
        .value_kind:     by_value
      - .offset:         144
        .size:           4
        .value_kind:     hidden_block_count_x
      - .offset:         148
        .size:           4
        .value_kind:     hidden_block_count_y
      - .offset:         152
        .size:           4
        .value_kind:     hidden_block_count_z
      - .offset:         156
        .size:           2
        .value_kind:     hidden_group_size_x
      - .offset:         158
        .size:           2
        .value_kind:     hidden_group_size_y
      - .offset:         160
        .size:           2
        .value_kind:     hidden_group_size_z
      - .offset:         162
        .size:           2
        .value_kind:     hidden_remainder_x
      - .offset:         164
        .size:           2
        .value_kind:     hidden_remainder_y
      - .offset:         166
        .size:           2
        .value_kind:     hidden_remainder_z
      - .offset:         184
        .size:           8
        .value_kind:     hidden_global_offset_x
      - .offset:         192
        .size:           8
        .value_kind:     hidden_global_offset_y
      - .offset:         200
        .size:           8
        .value_kind:     hidden_global_offset_z
      - .offset:         208
        .size:           2
        .value_kind:     hidden_grid_dims
      - .offset:         264
        .size:           4
        .value_kind:     hidden_dynamic_lds_size
    .group_segment_fixed_size: 240
    .kernarg_segment_align: 8
    .kernarg_segment_size: 400
    .language:       OpenCL C
    .language_version:
      - 2
      - 0
    .max_flat_workgroup_size: 1024
    .name:           _ZN4vllm25paged_attention_v2_kernelIttLi112ELi8ELi128ELNS_18Fp8KVCacheDataTypeE0ELb1ELi512EEEvPfS2_PT_PKS3_PKT0_S9_ifPKiSB_iPKfiiiSD_SD_iiiii
    .private_segment_fixed_size: 0
    .sgpr_count:     60
    .sgpr_spill_count: 0
    .symbol:         _ZN4vllm25paged_attention_v2_kernelIttLi112ELi8ELi128ELNS_18Fp8KVCacheDataTypeE0ELb1ELi512EEEvPfS2_PT_PKS3_PKT0_S9_ifPKiSB_iPKfiiiSD_SD_iiiii.kd
    .uniform_work_group_size: 1
    .uses_dynamic_stack: false
    .vgpr_count:     51
    .vgpr_spill_count: 0
    .wavefront_size: 64
  - .agpr_count:     0
    .args:
      - .actual_access:  write_only
        .address_space:  global
        .offset:         0
        .size:           8
        .value_kind:     global_buffer
      - .actual_access:  read_only
        .address_space:  global
        .offset:         8
        .size:           8
        .value_kind:     global_buffer
      - .actual_access:  read_only
        .address_space:  global
        .offset:         16
        .size:           8
        .value_kind:     global_buffer
      - .actual_access:  read_only
        .address_space:  global
        .offset:         24
        .size:           8
        .value_kind:     global_buffer
      - .actual_access:  read_only
        .address_space:  global
        .offset:         32
        .size:           8
        .value_kind:     global_buffer
      - .offset:         40
        .size:           4
        .value_kind:     by_value
      - .offset:         48
        .size:           4
        .value_kind:     hidden_block_count_x
      - .offset:         52
        .size:           4
        .value_kind:     hidden_block_count_y
      - .offset:         56
        .size:           4
        .value_kind:     hidden_block_count_z
      - .offset:         60
        .size:           2
        .value_kind:     hidden_group_size_x
      - .offset:         62
        .size:           2
        .value_kind:     hidden_group_size_y
      - .offset:         64
        .size:           2
        .value_kind:     hidden_group_size_z
      - .offset:         66
        .size:           2
        .value_kind:     hidden_remainder_x
      - .offset:         68
        .size:           2
        .value_kind:     hidden_remainder_y
      - .offset:         70
        .size:           2
        .value_kind:     hidden_remainder_z
      - .offset:         88
        .size:           8
        .value_kind:     hidden_global_offset_x
      - .offset:         96
        .size:           8
        .value_kind:     hidden_global_offset_y
      - .offset:         104
        .size:           8
        .value_kind:     hidden_global_offset_z
      - .offset:         112
        .size:           2
        .value_kind:     hidden_grid_dims
      - .offset:         168
        .size:           4
        .value_kind:     hidden_dynamic_lds_size
    .group_segment_fixed_size: 16
    .kernarg_segment_align: 8
    .kernarg_segment_size: 304
    .language:       OpenCL C
    .language_version:
      - 2
      - 0
    .max_flat_workgroup_size: 1024
    .name:           _ZN4vllm32paged_attention_v2_reduce_kernelItLi112ELi128ELi512EEEvPT_PKfS4_PKS1_PKii
    .private_segment_fixed_size: 0
    .sgpr_count:     38
    .sgpr_spill_count: 0
    .symbol:         _ZN4vllm32paged_attention_v2_reduce_kernelItLi112ELi128ELi512EEEvPT_PKfS4_PKS1_PKii.kd
    .uniform_work_group_size: 1
    .uses_dynamic_stack: false
    .vgpr_count:     23
    .vgpr_spill_count: 0
    .wavefront_size: 64
  - .agpr_count:     0
    .args:
      - .actual_access:  write_only
        .address_space:  global
        .offset:         0
        .size:           8
        .value_kind:     global_buffer
      - .actual_access:  write_only
        .address_space:  global
        .offset:         8
        .size:           8
        .value_kind:     global_buffer
      - .actual_access:  write_only
        .address_space:  global
        .offset:         16
        .size:           8
        .value_kind:     global_buffer
      - .actual_access:  read_only
        .address_space:  global
        .offset:         24
        .size:           8
        .value_kind:     global_buffer
      - .actual_access:  read_only
        .address_space:  global
        .offset:         32
        .size:           8
        .value_kind:     global_buffer
      - .actual_access:  read_only
        .address_space:  global
        .offset:         40
        .size:           8
        .value_kind:     global_buffer
      - .offset:         48
        .size:           4
        .value_kind:     by_value
      - .offset:         52
        .size:           4
        .value_kind:     by_value
      - .actual_access:  read_only
        .address_space:  global
        .offset:         56
        .size:           8
        .value_kind:     global_buffer
      - .actual_access:  read_only
        .address_space:  global
        .offset:         64
        .size:           8
        .value_kind:     global_buffer
      - .offset:         72
        .size:           4
        .value_kind:     by_value
      - .actual_access:  read_only
        .address_space:  global
        .offset:         80
        .size:           8
        .value_kind:     global_buffer
      - .offset:         88
        .size:           4
        .value_kind:     by_value
      - .offset:         92
        .size:           4
        .value_kind:     by_value
      - .offset:         96
        .size:           4
        .value_kind:     by_value
      - .address_space:  global
        .offset:         104
        .size:           8
        .value_kind:     global_buffer
      - .address_space:  global
        .offset:         112
        .size:           8
        .value_kind:     global_buffer
      - .offset:         120
        .size:           4
        .value_kind:     by_value
      - .offset:         124
        .size:           4
        .value_kind:     by_value
      - .offset:         128
        .size:           4
        .value_kind:     by_value
      - .offset:         132
        .size:           4
        .value_kind:     by_value
      - .offset:         136
        .size:           4
        .value_kind:     by_value
      - .offset:         144
        .size:           4
        .value_kind:     hidden_block_count_x
      - .offset:         148
        .size:           4
        .value_kind:     hidden_block_count_y
      - .offset:         152
        .size:           4
        .value_kind:     hidden_block_count_z
      - .offset:         156
        .size:           2
        .value_kind:     hidden_group_size_x
      - .offset:         158
        .size:           2
        .value_kind:     hidden_group_size_y
      - .offset:         160
        .size:           2
        .value_kind:     hidden_group_size_z
      - .offset:         162
        .size:           2
        .value_kind:     hidden_remainder_x
      - .offset:         164
        .size:           2
        .value_kind:     hidden_remainder_y
      - .offset:         166
        .size:           2
        .value_kind:     hidden_remainder_z
      - .offset:         184
        .size:           8
        .value_kind:     hidden_global_offset_x
      - .offset:         192
        .size:           8
        .value_kind:     hidden_global_offset_y
      - .offset:         200
        .size:           8
        .value_kind:     hidden_global_offset_z
      - .offset:         208
        .size:           2
        .value_kind:     hidden_grid_dims
      - .offset:         264
        .size:           4
        .value_kind:     hidden_dynamic_lds_size
    .group_segment_fixed_size: 256
    .kernarg_segment_align: 8
    .kernarg_segment_size: 400
    .language:       OpenCL C
    .language_version:
      - 2
      - 0
    .max_flat_workgroup_size: 1024
    .name:           _ZN4vllm25paged_attention_v2_kernelIttLi120ELi8ELi128ELNS_18Fp8KVCacheDataTypeE0ELb1ELi512EEEvPfS2_PT_PKS3_PKT0_S9_ifPKiSB_iPKfiiiSD_SD_iiiii
    .private_segment_fixed_size: 0
    .sgpr_count:     60
    .sgpr_spill_count: 0
    .symbol:         _ZN4vllm25paged_attention_v2_kernelIttLi120ELi8ELi128ELNS_18Fp8KVCacheDataTypeE0ELb1ELi512EEEvPfS2_PT_PKS3_PKT0_S9_ifPKiSB_iPKfiiiSD_SD_iiiii.kd
    .uniform_work_group_size: 1
    .uses_dynamic_stack: false
    .vgpr_count:     53
    .vgpr_spill_count: 0
    .wavefront_size: 64
  - .agpr_count:     0
    .args:
      - .actual_access:  write_only
        .address_space:  global
        .offset:         0
        .size:           8
        .value_kind:     global_buffer
      - .actual_access:  read_only
        .address_space:  global
        .offset:         8
        .size:           8
        .value_kind:     global_buffer
      - .actual_access:  read_only
        .address_space:  global
        .offset:         16
        .size:           8
        .value_kind:     global_buffer
      - .actual_access:  read_only
        .address_space:  global
        .offset:         24
        .size:           8
        .value_kind:     global_buffer
      - .actual_access:  read_only
        .address_space:  global
        .offset:         32
        .size:           8
        .value_kind:     global_buffer
      - .offset:         40
        .size:           4
        .value_kind:     by_value
      - .offset:         48
        .size:           4
        .value_kind:     hidden_block_count_x
      - .offset:         52
        .size:           4
        .value_kind:     hidden_block_count_y
      - .offset:         56
        .size:           4
        .value_kind:     hidden_block_count_z
      - .offset:         60
        .size:           2
        .value_kind:     hidden_group_size_x
      - .offset:         62
        .size:           2
        .value_kind:     hidden_group_size_y
      - .offset:         64
        .size:           2
        .value_kind:     hidden_group_size_z
      - .offset:         66
        .size:           2
        .value_kind:     hidden_remainder_x
      - .offset:         68
        .size:           2
        .value_kind:     hidden_remainder_y
      - .offset:         70
        .size:           2
        .value_kind:     hidden_remainder_z
      - .offset:         88
        .size:           8
        .value_kind:     hidden_global_offset_x
      - .offset:         96
        .size:           8
        .value_kind:     hidden_global_offset_y
      - .offset:         104
        .size:           8
        .value_kind:     hidden_global_offset_z
      - .offset:         112
        .size:           2
        .value_kind:     hidden_grid_dims
      - .offset:         168
        .size:           4
        .value_kind:     hidden_dynamic_lds_size
    .group_segment_fixed_size: 16
    .kernarg_segment_align: 8
    .kernarg_segment_size: 304
    .language:       OpenCL C
    .language_version:
      - 2
      - 0
    .max_flat_workgroup_size: 1024
    .name:           _ZN4vllm32paged_attention_v2_reduce_kernelItLi120ELi128ELi512EEEvPT_PKfS4_PKS1_PKii
    .private_segment_fixed_size: 0
    .sgpr_count:     38
    .sgpr_spill_count: 0
    .symbol:         _ZN4vllm32paged_attention_v2_reduce_kernelItLi120ELi128ELi512EEEvPT_PKfS4_PKS1_PKii.kd
    .uniform_work_group_size: 1
    .uses_dynamic_stack: false
    .vgpr_count:     23
    .vgpr_spill_count: 0
    .wavefront_size: 64
  - .agpr_count:     0
    .args:
      - .actual_access:  write_only
        .address_space:  global
        .offset:         0
        .size:           8
        .value_kind:     global_buffer
      - .actual_access:  write_only
        .address_space:  global
        .offset:         8
        .size:           8
        .value_kind:     global_buffer
      - .actual_access:  write_only
        .address_space:  global
        .offset:         16
        .size:           8
        .value_kind:     global_buffer
      - .actual_access:  read_only
        .address_space:  global
        .offset:         24
        .size:           8
        .value_kind:     global_buffer
      - .actual_access:  read_only
        .address_space:  global
        .offset:         32
        .size:           8
        .value_kind:     global_buffer
      - .actual_access:  read_only
        .address_space:  global
        .offset:         40
        .size:           8
        .value_kind:     global_buffer
      - .offset:         48
        .size:           4
        .value_kind:     by_value
      - .offset:         52
        .size:           4
        .value_kind:     by_value
      - .actual_access:  read_only
        .address_space:  global
        .offset:         56
        .size:           8
        .value_kind:     global_buffer
      - .actual_access:  read_only
        .address_space:  global
        .offset:         64
        .size:           8
        .value_kind:     global_buffer
      - .offset:         72
        .size:           4
        .value_kind:     by_value
      - .actual_access:  read_only
        .address_space:  global
        .offset:         80
        .size:           8
        .value_kind:     global_buffer
      - .offset:         88
        .size:           4
        .value_kind:     by_value
      - .offset:         92
        .size:           4
        .value_kind:     by_value
      - .offset:         96
        .size:           4
        .value_kind:     by_value
      - .address_space:  global
        .offset:         104
        .size:           8
        .value_kind:     global_buffer
      - .address_space:  global
        .offset:         112
        .size:           8
        .value_kind:     global_buffer
      - .offset:         120
        .size:           4
        .value_kind:     by_value
      - .offset:         124
        .size:           4
        .value_kind:     by_value
      - .offset:         128
        .size:           4
        .value_kind:     by_value
      - .offset:         132
        .size:           4
        .value_kind:     by_value
      - .offset:         136
        .size:           4
        .value_kind:     by_value
      - .offset:         144
        .size:           4
        .value_kind:     hidden_block_count_x
      - .offset:         148
        .size:           4
        .value_kind:     hidden_block_count_y
      - .offset:         152
        .size:           4
        .value_kind:     hidden_block_count_z
      - .offset:         156
        .size:           2
        .value_kind:     hidden_group_size_x
      - .offset:         158
        .size:           2
        .value_kind:     hidden_group_size_y
      - .offset:         160
        .size:           2
        .value_kind:     hidden_group_size_z
      - .offset:         162
        .size:           2
        .value_kind:     hidden_remainder_x
      - .offset:         164
        .size:           2
        .value_kind:     hidden_remainder_y
      - .offset:         166
        .size:           2
        .value_kind:     hidden_remainder_z
      - .offset:         184
        .size:           8
        .value_kind:     hidden_global_offset_x
      - .offset:         192
        .size:           8
        .value_kind:     hidden_global_offset_y
      - .offset:         200
        .size:           8
        .value_kind:     hidden_global_offset_z
      - .offset:         208
        .size:           2
        .value_kind:     hidden_grid_dims
      - .offset:         264
        .size:           4
        .value_kind:     hidden_dynamic_lds_size
    .group_segment_fixed_size: 272
    .kernarg_segment_align: 8
    .kernarg_segment_size: 400
    .language:       OpenCL C
    .language_version:
      - 2
      - 0
    .max_flat_workgroup_size: 1024
    .name:           _ZN4vllm25paged_attention_v2_kernelIttLi128ELi8ELi128ELNS_18Fp8KVCacheDataTypeE0ELb1ELi512EEEvPfS2_PT_PKS3_PKT0_S9_ifPKiSB_iPKfiiiSD_SD_iiiii
    .private_segment_fixed_size: 0
    .sgpr_count:     58
    .sgpr_spill_count: 0
    .symbol:         _ZN4vllm25paged_attention_v2_kernelIttLi128ELi8ELi128ELNS_18Fp8KVCacheDataTypeE0ELb1ELi512EEEvPfS2_PT_PKS3_PKT0_S9_ifPKiSB_iPKfiiiSD_SD_iiiii.kd
    .uniform_work_group_size: 1
    .uses_dynamic_stack: false
    .vgpr_count:     55
    .vgpr_spill_count: 0
    .wavefront_size: 64
  - .agpr_count:     0
    .args:
      - .actual_access:  write_only
        .address_space:  global
        .offset:         0
        .size:           8
        .value_kind:     global_buffer
      - .actual_access:  read_only
        .address_space:  global
        .offset:         8
        .size:           8
        .value_kind:     global_buffer
      - .actual_access:  read_only
        .address_space:  global
        .offset:         16
        .size:           8
        .value_kind:     global_buffer
      - .actual_access:  read_only
        .address_space:  global
        .offset:         24
        .size:           8
        .value_kind:     global_buffer
      - .actual_access:  read_only
        .address_space:  global
        .offset:         32
        .size:           8
        .value_kind:     global_buffer
      - .offset:         40
        .size:           4
        .value_kind:     by_value
      - .offset:         48
        .size:           4
        .value_kind:     hidden_block_count_x
      - .offset:         52
        .size:           4
        .value_kind:     hidden_block_count_y
      - .offset:         56
        .size:           4
        .value_kind:     hidden_block_count_z
      - .offset:         60
        .size:           2
        .value_kind:     hidden_group_size_x
      - .offset:         62
        .size:           2
        .value_kind:     hidden_group_size_y
      - .offset:         64
        .size:           2
        .value_kind:     hidden_group_size_z
      - .offset:         66
        .size:           2
        .value_kind:     hidden_remainder_x
      - .offset:         68
        .size:           2
        .value_kind:     hidden_remainder_y
      - .offset:         70
        .size:           2
        .value_kind:     hidden_remainder_z
      - .offset:         88
        .size:           8
        .value_kind:     hidden_global_offset_x
      - .offset:         96
        .size:           8
        .value_kind:     hidden_global_offset_y
      - .offset:         104
        .size:           8
        .value_kind:     hidden_global_offset_z
      - .offset:         112
        .size:           2
        .value_kind:     hidden_grid_dims
      - .offset:         168
        .size:           4
        .value_kind:     hidden_dynamic_lds_size
    .group_segment_fixed_size: 16
    .kernarg_segment_align: 8
    .kernarg_segment_size: 304
    .language:       OpenCL C
    .language_version:
      - 2
      - 0
    .max_flat_workgroup_size: 1024
    .name:           _ZN4vllm32paged_attention_v2_reduce_kernelItLi128ELi128ELi512EEEvPT_PKfS4_PKS1_PKii
    .private_segment_fixed_size: 0
    .sgpr_count:     38
    .sgpr_spill_count: 0
    .symbol:         _ZN4vllm32paged_attention_v2_reduce_kernelItLi128ELi128ELi512EEEvPT_PKfS4_PKS1_PKii.kd
    .uniform_work_group_size: 1
    .uses_dynamic_stack: false
    .vgpr_count:     23
    .vgpr_spill_count: 0
    .wavefront_size: 64
  - .agpr_count:     0
    .args:
      - .actual_access:  write_only
        .address_space:  global
        .offset:         0
        .size:           8
        .value_kind:     global_buffer
      - .actual_access:  write_only
        .address_space:  global
        .offset:         8
        .size:           8
        .value_kind:     global_buffer
      - .actual_access:  write_only
        .address_space:  global
        .offset:         16
        .size:           8
        .value_kind:     global_buffer
      - .actual_access:  read_only
        .address_space:  global
        .offset:         24
        .size:           8
        .value_kind:     global_buffer
      - .actual_access:  read_only
        .address_space:  global
        .offset:         32
        .size:           8
        .value_kind:     global_buffer
      - .actual_access:  read_only
        .address_space:  global
        .offset:         40
        .size:           8
        .value_kind:     global_buffer
      - .offset:         48
        .size:           4
        .value_kind:     by_value
      - .offset:         52
        .size:           4
        .value_kind:     by_value
      - .actual_access:  read_only
        .address_space:  global
        .offset:         56
        .size:           8
        .value_kind:     global_buffer
      - .actual_access:  read_only
        .address_space:  global
        .offset:         64
        .size:           8
        .value_kind:     global_buffer
      - .offset:         72
        .size:           4
        .value_kind:     by_value
      - .actual_access:  read_only
        .address_space:  global
        .offset:         80
        .size:           8
        .value_kind:     global_buffer
      - .offset:         88
        .size:           4
        .value_kind:     by_value
      - .offset:         92
        .size:           4
        .value_kind:     by_value
      - .offset:         96
        .size:           4
        .value_kind:     by_value
      - .address_space:  global
        .offset:         104
        .size:           8
        .value_kind:     global_buffer
      - .address_space:  global
        .offset:         112
        .size:           8
        .value_kind:     global_buffer
      - .offset:         120
        .size:           4
        .value_kind:     by_value
      - .offset:         124
        .size:           4
        .value_kind:     by_value
      - .offset:         128
        .size:           4
        .value_kind:     by_value
      - .offset:         132
        .size:           4
        .value_kind:     by_value
      - .offset:         136
        .size:           4
        .value_kind:     by_value
      - .offset:         144
        .size:           4
        .value_kind:     hidden_block_count_x
      - .offset:         148
        .size:           4
        .value_kind:     hidden_block_count_y
      - .offset:         152
        .size:           4
        .value_kind:     hidden_block_count_z
      - .offset:         156
        .size:           2
        .value_kind:     hidden_group_size_x
      - .offset:         158
        .size:           2
        .value_kind:     hidden_group_size_y
      - .offset:         160
        .size:           2
        .value_kind:     hidden_group_size_z
      - .offset:         162
        .size:           2
        .value_kind:     hidden_remainder_x
      - .offset:         164
        .size:           2
        .value_kind:     hidden_remainder_y
      - .offset:         166
        .size:           2
        .value_kind:     hidden_remainder_z
      - .offset:         184
        .size:           8
        .value_kind:     hidden_global_offset_x
      - .offset:         192
        .size:           8
        .value_kind:     hidden_global_offset_y
      - .offset:         200
        .size:           8
        .value_kind:     hidden_global_offset_z
      - .offset:         208
        .size:           2
        .value_kind:     hidden_grid_dims
      - .offset:         264
        .size:           4
        .value_kind:     hidden_dynamic_lds_size
    .group_segment_fixed_size: 400
    .kernarg_segment_align: 8
    .kernarg_segment_size: 400
    .language:       OpenCL C
    .language_version:
      - 2
      - 0
    .max_flat_workgroup_size: 1024
    .name:           _ZN4vllm25paged_attention_v2_kernelIttLi192ELi8ELi128ELNS_18Fp8KVCacheDataTypeE0ELb1ELi512EEEvPfS2_PT_PKS3_PKT0_S9_ifPKiSB_iPKfiiiSD_SD_iiiii
    .private_segment_fixed_size: 0
    .sgpr_count:     58
    .sgpr_spill_count: 0
    .symbol:         _ZN4vllm25paged_attention_v2_kernelIttLi192ELi8ELi128ELNS_18Fp8KVCacheDataTypeE0ELb1ELi512EEEvPfS2_PT_PKS3_PKT0_S9_ifPKiSB_iPKfiiiSD_SD_iiiii.kd
    .uniform_work_group_size: 1
    .uses_dynamic_stack: false
    .vgpr_count:     68
    .vgpr_spill_count: 0
    .wavefront_size: 64
  - .agpr_count:     0
    .args:
      - .actual_access:  write_only
        .address_space:  global
        .offset:         0
        .size:           8
        .value_kind:     global_buffer
      - .actual_access:  read_only
        .address_space:  global
        .offset:         8
        .size:           8
        .value_kind:     global_buffer
      - .actual_access:  read_only
        .address_space:  global
        .offset:         16
        .size:           8
        .value_kind:     global_buffer
      - .actual_access:  read_only
        .address_space:  global
        .offset:         24
        .size:           8
        .value_kind:     global_buffer
      - .actual_access:  read_only
        .address_space:  global
        .offset:         32
        .size:           8
        .value_kind:     global_buffer
      - .offset:         40
        .size:           4
        .value_kind:     by_value
      - .offset:         48
        .size:           4
        .value_kind:     hidden_block_count_x
      - .offset:         52
        .size:           4
        .value_kind:     hidden_block_count_y
      - .offset:         56
        .size:           4
        .value_kind:     hidden_block_count_z
      - .offset:         60
        .size:           2
        .value_kind:     hidden_group_size_x
      - .offset:         62
        .size:           2
        .value_kind:     hidden_group_size_y
      - .offset:         64
        .size:           2
        .value_kind:     hidden_group_size_z
      - .offset:         66
        .size:           2
        .value_kind:     hidden_remainder_x
      - .offset:         68
        .size:           2
        .value_kind:     hidden_remainder_y
      - .offset:         70
        .size:           2
        .value_kind:     hidden_remainder_z
      - .offset:         88
        .size:           8
        .value_kind:     hidden_global_offset_x
      - .offset:         96
        .size:           8
        .value_kind:     hidden_global_offset_y
      - .offset:         104
        .size:           8
        .value_kind:     hidden_global_offset_z
      - .offset:         112
        .size:           2
        .value_kind:     hidden_grid_dims
      - .offset:         168
        .size:           4
        .value_kind:     hidden_dynamic_lds_size
    .group_segment_fixed_size: 16
    .kernarg_segment_align: 8
    .kernarg_segment_size: 304
    .language:       OpenCL C
    .language_version:
      - 2
      - 0
    .max_flat_workgroup_size: 1024
    .name:           _ZN4vllm32paged_attention_v2_reduce_kernelItLi192ELi128ELi512EEEvPT_PKfS4_PKS1_PKii
    .private_segment_fixed_size: 0
    .sgpr_count:     38
    .sgpr_spill_count: 0
    .symbol:         _ZN4vllm32paged_attention_v2_reduce_kernelItLi192ELi128ELi512EEEvPT_PKfS4_PKS1_PKii.kd
    .uniform_work_group_size: 1
    .uses_dynamic_stack: false
    .vgpr_count:     23
    .vgpr_spill_count: 0
    .wavefront_size: 64
  - .agpr_count:     0
    .args:
      - .actual_access:  write_only
        .address_space:  global
        .offset:         0
        .size:           8
        .value_kind:     global_buffer
      - .actual_access:  write_only
        .address_space:  global
        .offset:         8
        .size:           8
        .value_kind:     global_buffer
      - .actual_access:  write_only
        .address_space:  global
        .offset:         16
        .size:           8
        .value_kind:     global_buffer
      - .actual_access:  read_only
        .address_space:  global
        .offset:         24
        .size:           8
        .value_kind:     global_buffer
      - .actual_access:  read_only
        .address_space:  global
        .offset:         32
        .size:           8
        .value_kind:     global_buffer
      - .actual_access:  read_only
        .address_space:  global
        .offset:         40
        .size:           8
        .value_kind:     global_buffer
      - .offset:         48
        .size:           4
        .value_kind:     by_value
      - .offset:         52
        .size:           4
        .value_kind:     by_value
      - .actual_access:  read_only
        .address_space:  global
        .offset:         56
        .size:           8
        .value_kind:     global_buffer
      - .actual_access:  read_only
        .address_space:  global
        .offset:         64
        .size:           8
        .value_kind:     global_buffer
      - .offset:         72
        .size:           4
        .value_kind:     by_value
      - .actual_access:  read_only
        .address_space:  global
        .offset:         80
        .size:           8
        .value_kind:     global_buffer
      - .offset:         88
        .size:           4
        .value_kind:     by_value
      - .offset:         92
        .size:           4
        .value_kind:     by_value
      - .offset:         96
        .size:           4
        .value_kind:     by_value
      - .address_space:  global
        .offset:         104
        .size:           8
        .value_kind:     global_buffer
      - .address_space:  global
        .offset:         112
        .size:           8
        .value_kind:     global_buffer
      - .offset:         120
        .size:           4
        .value_kind:     by_value
      - .offset:         124
        .size:           4
        .value_kind:     by_value
      - .offset:         128
        .size:           4
        .value_kind:     by_value
      - .offset:         132
        .size:           4
        .value_kind:     by_value
      - .offset:         136
        .size:           4
        .value_kind:     by_value
      - .offset:         144
        .size:           4
        .value_kind:     hidden_block_count_x
      - .offset:         148
        .size:           4
        .value_kind:     hidden_block_count_y
      - .offset:         152
        .size:           4
        .value_kind:     hidden_block_count_z
      - .offset:         156
        .size:           2
        .value_kind:     hidden_group_size_x
      - .offset:         158
        .size:           2
        .value_kind:     hidden_group_size_y
      - .offset:         160
        .size:           2
        .value_kind:     hidden_group_size_z
      - .offset:         162
        .size:           2
        .value_kind:     hidden_remainder_x
      - .offset:         164
        .size:           2
        .value_kind:     hidden_remainder_y
      - .offset:         166
        .size:           2
        .value_kind:     hidden_remainder_z
      - .offset:         184
        .size:           8
        .value_kind:     hidden_global_offset_x
      - .offset:         192
        .size:           8
        .value_kind:     hidden_global_offset_y
      - .offset:         200
        .size:           8
        .value_kind:     hidden_global_offset_z
      - .offset:         208
        .size:           2
        .value_kind:     hidden_grid_dims
      - .offset:         264
        .size:           4
        .value_kind:     hidden_dynamic_lds_size
    .group_segment_fixed_size: 528
    .kernarg_segment_align: 8
    .kernarg_segment_size: 400
    .language:       OpenCL C
    .language_version:
      - 2
      - 0
    .max_flat_workgroup_size: 1024
    .name:           _ZN4vllm25paged_attention_v2_kernelIttLi256ELi8ELi128ELNS_18Fp8KVCacheDataTypeE0ELb1ELi512EEEvPfS2_PT_PKS3_PKT0_S9_ifPKiSB_iPKfiiiSD_SD_iiiii
    .private_segment_fixed_size: 0
    .sgpr_count:     58
    .sgpr_spill_count: 0
    .symbol:         _ZN4vllm25paged_attention_v2_kernelIttLi256ELi8ELi128ELNS_18Fp8KVCacheDataTypeE0ELb1ELi512EEEvPfS2_PT_PKS3_PKT0_S9_ifPKiSB_iPKfiiiSD_SD_iiiii.kd
    .uniform_work_group_size: 1
    .uses_dynamic_stack: false
    .vgpr_count:     82
    .vgpr_spill_count: 0
    .wavefront_size: 64
  - .agpr_count:     0
    .args:
      - .actual_access:  write_only
        .address_space:  global
        .offset:         0
        .size:           8
        .value_kind:     global_buffer
      - .actual_access:  read_only
        .address_space:  global
        .offset:         8
        .size:           8
        .value_kind:     global_buffer
      - .actual_access:  read_only
        .address_space:  global
        .offset:         16
        .size:           8
        .value_kind:     global_buffer
      - .actual_access:  read_only
        .address_space:  global
        .offset:         24
        .size:           8
        .value_kind:     global_buffer
      - .actual_access:  read_only
        .address_space:  global
        .offset:         32
        .size:           8
        .value_kind:     global_buffer
      - .offset:         40
        .size:           4
        .value_kind:     by_value
      - .offset:         48
        .size:           4
        .value_kind:     hidden_block_count_x
      - .offset:         52
        .size:           4
        .value_kind:     hidden_block_count_y
      - .offset:         56
        .size:           4
        .value_kind:     hidden_block_count_z
      - .offset:         60
        .size:           2
        .value_kind:     hidden_group_size_x
      - .offset:         62
        .size:           2
        .value_kind:     hidden_group_size_y
      - .offset:         64
        .size:           2
        .value_kind:     hidden_group_size_z
      - .offset:         66
        .size:           2
        .value_kind:     hidden_remainder_x
      - .offset:         68
        .size:           2
        .value_kind:     hidden_remainder_y
      - .offset:         70
        .size:           2
        .value_kind:     hidden_remainder_z
      - .offset:         88
        .size:           8
        .value_kind:     hidden_global_offset_x
      - .offset:         96
        .size:           8
        .value_kind:     hidden_global_offset_y
      - .offset:         104
        .size:           8
        .value_kind:     hidden_global_offset_z
      - .offset:         112
        .size:           2
        .value_kind:     hidden_grid_dims
      - .offset:         168
        .size:           4
        .value_kind:     hidden_dynamic_lds_size
    .group_segment_fixed_size: 16
    .kernarg_segment_align: 8
    .kernarg_segment_size: 304
    .language:       OpenCL C
    .language_version:
      - 2
      - 0
    .max_flat_workgroup_size: 1024
    .name:           _ZN4vllm32paged_attention_v2_reduce_kernelItLi256ELi128ELi512EEEvPT_PKfS4_PKS1_PKii
    .private_segment_fixed_size: 0
    .sgpr_count:     38
    .sgpr_spill_count: 0
    .symbol:         _ZN4vllm32paged_attention_v2_reduce_kernelItLi256ELi128ELi512EEEvPT_PKfS4_PKS1_PKii.kd
    .uniform_work_group_size: 1
    .uses_dynamic_stack: false
    .vgpr_count:     23
    .vgpr_spill_count: 0
    .wavefront_size: 64
  - .agpr_count:     0
    .args:
      - .actual_access:  write_only
        .address_space:  global
        .offset:         0
        .size:           8
        .value_kind:     global_buffer
      - .actual_access:  write_only
        .address_space:  global
        .offset:         8
        .size:           8
        .value_kind:     global_buffer
      - .actual_access:  write_only
        .address_space:  global
        .offset:         16
        .size:           8
        .value_kind:     global_buffer
      - .actual_access:  read_only
        .address_space:  global
        .offset:         24
        .size:           8
        .value_kind:     global_buffer
      - .actual_access:  read_only
        .address_space:  global
        .offset:         32
        .size:           8
        .value_kind:     global_buffer
      - .actual_access:  read_only
        .address_space:  global
        .offset:         40
        .size:           8
        .value_kind:     global_buffer
      - .offset:         48
        .size:           4
        .value_kind:     by_value
      - .offset:         52
        .size:           4
        .value_kind:     by_value
      - .actual_access:  read_only
        .address_space:  global
        .offset:         56
        .size:           8
        .value_kind:     global_buffer
      - .actual_access:  read_only
        .address_space:  global
        .offset:         64
        .size:           8
        .value_kind:     global_buffer
      - .offset:         72
        .size:           4
        .value_kind:     by_value
      - .actual_access:  read_only
        .address_space:  global
        .offset:         80
        .size:           8
        .value_kind:     global_buffer
      - .offset:         88
        .size:           4
        .value_kind:     by_value
      - .offset:         92
        .size:           4
        .value_kind:     by_value
      - .offset:         96
        .size:           4
        .value_kind:     by_value
      - .address_space:  global
        .offset:         104
        .size:           8
        .value_kind:     global_buffer
      - .address_space:  global
        .offset:         112
        .size:           8
        .value_kind:     global_buffer
      - .offset:         120
        .size:           4
        .value_kind:     by_value
      - .offset:         124
        .size:           4
        .value_kind:     by_value
      - .offset:         128
        .size:           4
        .value_kind:     by_value
      - .offset:         132
        .size:           4
        .value_kind:     by_value
      - .offset:         136
        .size:           4
        .value_kind:     by_value
      - .offset:         144
        .size:           4
        .value_kind:     hidden_block_count_x
      - .offset:         148
        .size:           4
        .value_kind:     hidden_block_count_y
      - .offset:         152
        .size:           4
        .value_kind:     hidden_block_count_z
      - .offset:         156
        .size:           2
        .value_kind:     hidden_group_size_x
      - .offset:         158
        .size:           2
        .value_kind:     hidden_group_size_y
      - .offset:         160
        .size:           2
        .value_kind:     hidden_group_size_z
      - .offset:         162
        .size:           2
        .value_kind:     hidden_remainder_x
      - .offset:         164
        .size:           2
        .value_kind:     hidden_remainder_y
      - .offset:         166
        .size:           2
        .value_kind:     hidden_remainder_z
      - .offset:         184
        .size:           8
        .value_kind:     hidden_global_offset_x
      - .offset:         192
        .size:           8
        .value_kind:     hidden_global_offset_y
      - .offset:         200
        .size:           8
        .value_kind:     hidden_global_offset_z
      - .offset:         208
        .size:           2
        .value_kind:     hidden_grid_dims
      - .offset:         264
        .size:           4
        .value_kind:     hidden_dynamic_lds_size
    .group_segment_fixed_size: 80
    .kernarg_segment_align: 8
    .kernarg_segment_size: 400
    .language:       OpenCL C
    .language_version:
      - 2
      - 0
    .max_flat_workgroup_size: 1024
    .name:           _ZN4vllm25paged_attention_v2_kernelIttLi32ELi8ELi128ELNS_18Fp8KVCacheDataTypeE0ELb0ELi512EEEvPfS2_PT_PKS3_PKT0_S9_ifPKiSB_iPKfiiiSD_SD_iiiii
    .private_segment_fixed_size: 0
    .sgpr_count:     48
    .sgpr_spill_count: 0
    .symbol:         _ZN4vllm25paged_attention_v2_kernelIttLi32ELi8ELi128ELNS_18Fp8KVCacheDataTypeE0ELb0ELi512EEEvPfS2_PT_PKS3_PKT0_S9_ifPKiSB_iPKfiiiSD_SD_iiiii.kd
    .uniform_work_group_size: 1
    .uses_dynamic_stack: false
    .vgpr_count:     30
    .vgpr_spill_count: 0
    .wavefront_size: 64
  - .agpr_count:     0
    .args:
      - .actual_access:  write_only
        .address_space:  global
        .offset:         0
        .size:           8
        .value_kind:     global_buffer
      - .actual_access:  write_only
        .address_space:  global
        .offset:         8
        .size:           8
        .value_kind:     global_buffer
      - .actual_access:  write_only
        .address_space:  global
        .offset:         16
        .size:           8
        .value_kind:     global_buffer
      - .actual_access:  read_only
        .address_space:  global
        .offset:         24
        .size:           8
        .value_kind:     global_buffer
      - .actual_access:  read_only
        .address_space:  global
        .offset:         32
        .size:           8
        .value_kind:     global_buffer
      - .actual_access:  read_only
        .address_space:  global
        .offset:         40
        .size:           8
        .value_kind:     global_buffer
      - .offset:         48
        .size:           4
        .value_kind:     by_value
      - .offset:         52
        .size:           4
        .value_kind:     by_value
      - .actual_access:  read_only
        .address_space:  global
        .offset:         56
        .size:           8
        .value_kind:     global_buffer
      - .actual_access:  read_only
        .address_space:  global
        .offset:         64
        .size:           8
        .value_kind:     global_buffer
      - .offset:         72
        .size:           4
        .value_kind:     by_value
      - .actual_access:  read_only
        .address_space:  global
        .offset:         80
        .size:           8
        .value_kind:     global_buffer
      - .offset:         88
        .size:           4
        .value_kind:     by_value
      - .offset:         92
        .size:           4
        .value_kind:     by_value
      - .offset:         96
        .size:           4
        .value_kind:     by_value
      - .address_space:  global
        .offset:         104
        .size:           8
        .value_kind:     global_buffer
      - .address_space:  global
        .offset:         112
        .size:           8
        .value_kind:     global_buffer
      - .offset:         120
        .size:           4
        .value_kind:     by_value
      - .offset:         124
        .size:           4
        .value_kind:     by_value
      - .offset:         128
        .size:           4
        .value_kind:     by_value
      - .offset:         132
        .size:           4
        .value_kind:     by_value
      - .offset:         136
        .size:           4
        .value_kind:     by_value
      - .offset:         144
        .size:           4
        .value_kind:     hidden_block_count_x
      - .offset:         148
        .size:           4
        .value_kind:     hidden_block_count_y
      - .offset:         152
        .size:           4
        .value_kind:     hidden_block_count_z
      - .offset:         156
        .size:           2
        .value_kind:     hidden_group_size_x
      - .offset:         158
        .size:           2
        .value_kind:     hidden_group_size_y
      - .offset:         160
        .size:           2
        .value_kind:     hidden_group_size_z
      - .offset:         162
        .size:           2
        .value_kind:     hidden_remainder_x
      - .offset:         164
        .size:           2
        .value_kind:     hidden_remainder_y
      - .offset:         166
        .size:           2
        .value_kind:     hidden_remainder_z
      - .offset:         184
        .size:           8
        .value_kind:     hidden_global_offset_x
      - .offset:         192
        .size:           8
        .value_kind:     hidden_global_offset_y
      - .offset:         200
        .size:           8
        .value_kind:     hidden_global_offset_z
      - .offset:         208
        .size:           2
        .value_kind:     hidden_grid_dims
      - .offset:         264
        .size:           4
        .value_kind:     hidden_dynamic_lds_size
    .group_segment_fixed_size: 144
    .kernarg_segment_align: 8
    .kernarg_segment_size: 400
    .language:       OpenCL C
    .language_version:
      - 2
      - 0
    .max_flat_workgroup_size: 1024
    .name:           _ZN4vllm25paged_attention_v2_kernelIttLi64ELi8ELi128ELNS_18Fp8KVCacheDataTypeE0ELb0ELi512EEEvPfS2_PT_PKS3_PKT0_S9_ifPKiSB_iPKfiiiSD_SD_iiiii
    .private_segment_fixed_size: 0
    .sgpr_count:     50
    .sgpr_spill_count: 0
    .symbol:         _ZN4vllm25paged_attention_v2_kernelIttLi64ELi8ELi128ELNS_18Fp8KVCacheDataTypeE0ELb0ELi512EEEvPfS2_PT_PKS3_PKT0_S9_ifPKiSB_iPKfiiiSD_SD_iiiii.kd
    .uniform_work_group_size: 1
    .uses_dynamic_stack: false
    .vgpr_count:     34
    .vgpr_spill_count: 0
    .wavefront_size: 64
  - .agpr_count:     0
    .args:
      - .actual_access:  write_only
        .address_space:  global
        .offset:         0
        .size:           8
        .value_kind:     global_buffer
      - .actual_access:  write_only
        .address_space:  global
        .offset:         8
        .size:           8
        .value_kind:     global_buffer
      - .actual_access:  write_only
        .address_space:  global
        .offset:         16
        .size:           8
        .value_kind:     global_buffer
      - .actual_access:  read_only
        .address_space:  global
        .offset:         24
        .size:           8
        .value_kind:     global_buffer
      - .actual_access:  read_only
        .address_space:  global
        .offset:         32
        .size:           8
        .value_kind:     global_buffer
      - .actual_access:  read_only
        .address_space:  global
        .offset:         40
        .size:           8
        .value_kind:     global_buffer
      - .offset:         48
        .size:           4
        .value_kind:     by_value
      - .offset:         52
        .size:           4
        .value_kind:     by_value
      - .actual_access:  read_only
        .address_space:  global
        .offset:         56
        .size:           8
        .value_kind:     global_buffer
      - .actual_access:  read_only
        .address_space:  global
        .offset:         64
        .size:           8
        .value_kind:     global_buffer
      - .offset:         72
        .size:           4
        .value_kind:     by_value
      - .actual_access:  read_only
        .address_space:  global
        .offset:         80
        .size:           8
        .value_kind:     global_buffer
      - .offset:         88
        .size:           4
        .value_kind:     by_value
      - .offset:         92
        .size:           4
        .value_kind:     by_value
      - .offset:         96
        .size:           4
        .value_kind:     by_value
      - .address_space:  global
        .offset:         104
        .size:           8
        .value_kind:     global_buffer
      - .address_space:  global
        .offset:         112
        .size:           8
        .value_kind:     global_buffer
      - .offset:         120
        .size:           4
        .value_kind:     by_value
      - .offset:         124
        .size:           4
        .value_kind:     by_value
      - .offset:         128
        .size:           4
        .value_kind:     by_value
      - .offset:         132
        .size:           4
        .value_kind:     by_value
      - .offset:         136
        .size:           4
        .value_kind:     by_value
      - .offset:         144
        .size:           4
        .value_kind:     hidden_block_count_x
      - .offset:         148
        .size:           4
        .value_kind:     hidden_block_count_y
      - .offset:         152
        .size:           4
        .value_kind:     hidden_block_count_z
      - .offset:         156
        .size:           2
        .value_kind:     hidden_group_size_x
      - .offset:         158
        .size:           2
        .value_kind:     hidden_group_size_y
      - .offset:         160
        .size:           2
        .value_kind:     hidden_group_size_z
      - .offset:         162
        .size:           2
        .value_kind:     hidden_remainder_x
      - .offset:         164
        .size:           2
        .value_kind:     hidden_remainder_y
      - .offset:         166
        .size:           2
        .value_kind:     hidden_remainder_z
      - .offset:         184
        .size:           8
        .value_kind:     hidden_global_offset_x
      - .offset:         192
        .size:           8
        .value_kind:     hidden_global_offset_y
      - .offset:         200
        .size:           8
        .value_kind:     hidden_global_offset_z
      - .offset:         208
        .size:           2
        .value_kind:     hidden_grid_dims
      - .offset:         264
        .size:           4
        .value_kind:     hidden_dynamic_lds_size
    .group_segment_fixed_size: 176
    .kernarg_segment_align: 8
    .kernarg_segment_size: 400
    .language:       OpenCL C
    .language_version:
      - 2
      - 0
    .max_flat_workgroup_size: 1024
    .name:           _ZN4vllm25paged_attention_v2_kernelIttLi80ELi8ELi128ELNS_18Fp8KVCacheDataTypeE0ELb0ELi512EEEvPfS2_PT_PKS3_PKT0_S9_ifPKiSB_iPKfiiiSD_SD_iiiii
    .private_segment_fixed_size: 0
    .sgpr_count:     50
    .sgpr_spill_count: 0
    .symbol:         _ZN4vllm25paged_attention_v2_kernelIttLi80ELi8ELi128ELNS_18Fp8KVCacheDataTypeE0ELb0ELi512EEEvPfS2_PT_PKS3_PKT0_S9_ifPKiSB_iPKfiiiSD_SD_iiiii.kd
    .uniform_work_group_size: 1
    .uses_dynamic_stack: false
    .vgpr_count:     38
    .vgpr_spill_count: 0
    .wavefront_size: 64
  - .agpr_count:     0
    .args:
      - .actual_access:  write_only
        .address_space:  global
        .offset:         0
        .size:           8
        .value_kind:     global_buffer
      - .actual_access:  write_only
        .address_space:  global
        .offset:         8
        .size:           8
        .value_kind:     global_buffer
      - .actual_access:  write_only
        .address_space:  global
        .offset:         16
        .size:           8
        .value_kind:     global_buffer
      - .actual_access:  read_only
        .address_space:  global
        .offset:         24
        .size:           8
        .value_kind:     global_buffer
      - .actual_access:  read_only
        .address_space:  global
        .offset:         32
        .size:           8
        .value_kind:     global_buffer
      - .actual_access:  read_only
        .address_space:  global
        .offset:         40
        .size:           8
        .value_kind:     global_buffer
      - .offset:         48
        .size:           4
        .value_kind:     by_value
      - .offset:         52
        .size:           4
        .value_kind:     by_value
      - .actual_access:  read_only
        .address_space:  global
        .offset:         56
        .size:           8
        .value_kind:     global_buffer
      - .actual_access:  read_only
        .address_space:  global
        .offset:         64
        .size:           8
        .value_kind:     global_buffer
      - .offset:         72
        .size:           4
        .value_kind:     by_value
      - .actual_access:  read_only
        .address_space:  global
        .offset:         80
        .size:           8
        .value_kind:     global_buffer
      - .offset:         88
        .size:           4
        .value_kind:     by_value
      - .offset:         92
        .size:           4
        .value_kind:     by_value
      - .offset:         96
        .size:           4
        .value_kind:     by_value
      - .address_space:  global
        .offset:         104
        .size:           8
        .value_kind:     global_buffer
      - .address_space:  global
        .offset:         112
        .size:           8
        .value_kind:     global_buffer
      - .offset:         120
        .size:           4
        .value_kind:     by_value
      - .offset:         124
        .size:           4
        .value_kind:     by_value
      - .offset:         128
        .size:           4
        .value_kind:     by_value
      - .offset:         132
        .size:           4
        .value_kind:     by_value
      - .offset:         136
        .size:           4
        .value_kind:     by_value
      - .offset:         144
        .size:           4
        .value_kind:     hidden_block_count_x
      - .offset:         148
        .size:           4
        .value_kind:     hidden_block_count_y
      - .offset:         152
        .size:           4
        .value_kind:     hidden_block_count_z
      - .offset:         156
        .size:           2
        .value_kind:     hidden_group_size_x
      - .offset:         158
        .size:           2
        .value_kind:     hidden_group_size_y
      - .offset:         160
        .size:           2
        .value_kind:     hidden_group_size_z
      - .offset:         162
        .size:           2
        .value_kind:     hidden_remainder_x
      - .offset:         164
        .size:           2
        .value_kind:     hidden_remainder_y
      - .offset:         166
        .size:           2
        .value_kind:     hidden_remainder_z
      - .offset:         184
        .size:           8
        .value_kind:     hidden_global_offset_x
      - .offset:         192
        .size:           8
        .value_kind:     hidden_global_offset_y
      - .offset:         200
        .size:           8
        .value_kind:     hidden_global_offset_z
      - .offset:         208
        .size:           2
        .value_kind:     hidden_grid_dims
      - .offset:         264
        .size:           4
        .value_kind:     hidden_dynamic_lds_size
    .group_segment_fixed_size: 208
    .kernarg_segment_align: 8
    .kernarg_segment_size: 400
    .language:       OpenCL C
    .language_version:
      - 2
      - 0
    .max_flat_workgroup_size: 1024
    .name:           _ZN4vllm25paged_attention_v2_kernelIttLi96ELi8ELi128ELNS_18Fp8KVCacheDataTypeE0ELb0ELi512EEEvPfS2_PT_PKS3_PKT0_S9_ifPKiSB_iPKfiiiSD_SD_iiiii
    .private_segment_fixed_size: 0
    .sgpr_count:     50
    .sgpr_spill_count: 0
    .symbol:         _ZN4vllm25paged_attention_v2_kernelIttLi96ELi8ELi128ELNS_18Fp8KVCacheDataTypeE0ELb0ELi512EEEvPfS2_PT_PKS3_PKT0_S9_ifPKiSB_iPKfiiiSD_SD_iiiii.kd
    .uniform_work_group_size: 1
    .uses_dynamic_stack: false
    .vgpr_count:     42
    .vgpr_spill_count: 0
    .wavefront_size: 64
  - .agpr_count:     0
    .args:
      - .actual_access:  write_only
        .address_space:  global
        .offset:         0
        .size:           8
        .value_kind:     global_buffer
      - .actual_access:  write_only
        .address_space:  global
        .offset:         8
        .size:           8
        .value_kind:     global_buffer
      - .actual_access:  write_only
        .address_space:  global
        .offset:         16
        .size:           8
        .value_kind:     global_buffer
      - .actual_access:  read_only
        .address_space:  global
        .offset:         24
        .size:           8
        .value_kind:     global_buffer
      - .actual_access:  read_only
        .address_space:  global
        .offset:         32
        .size:           8
        .value_kind:     global_buffer
      - .actual_access:  read_only
        .address_space:  global
        .offset:         40
        .size:           8
        .value_kind:     global_buffer
      - .offset:         48
        .size:           4
        .value_kind:     by_value
      - .offset:         52
        .size:           4
        .value_kind:     by_value
      - .actual_access:  read_only
        .address_space:  global
        .offset:         56
        .size:           8
        .value_kind:     global_buffer
      - .actual_access:  read_only
        .address_space:  global
        .offset:         64
        .size:           8
        .value_kind:     global_buffer
      - .offset:         72
        .size:           4
        .value_kind:     by_value
      - .actual_access:  read_only
        .address_space:  global
        .offset:         80
        .size:           8
        .value_kind:     global_buffer
      - .offset:         88
        .size:           4
        .value_kind:     by_value
      - .offset:         92
        .size:           4
        .value_kind:     by_value
      - .offset:         96
        .size:           4
        .value_kind:     by_value
      - .address_space:  global
        .offset:         104
        .size:           8
        .value_kind:     global_buffer
      - .address_space:  global
        .offset:         112
        .size:           8
        .value_kind:     global_buffer
      - .offset:         120
        .size:           4
        .value_kind:     by_value
      - .offset:         124
        .size:           4
        .value_kind:     by_value
      - .offset:         128
        .size:           4
        .value_kind:     by_value
      - .offset:         132
        .size:           4
        .value_kind:     by_value
      - .offset:         136
        .size:           4
        .value_kind:     by_value
      - .offset:         144
        .size:           4
        .value_kind:     hidden_block_count_x
      - .offset:         148
        .size:           4
        .value_kind:     hidden_block_count_y
      - .offset:         152
        .size:           4
        .value_kind:     hidden_block_count_z
      - .offset:         156
        .size:           2
        .value_kind:     hidden_group_size_x
      - .offset:         158
        .size:           2
        .value_kind:     hidden_group_size_y
      - .offset:         160
        .size:           2
        .value_kind:     hidden_group_size_z
      - .offset:         162
        .size:           2
        .value_kind:     hidden_remainder_x
      - .offset:         164
        .size:           2
        .value_kind:     hidden_remainder_y
      - .offset:         166
        .size:           2
        .value_kind:     hidden_remainder_z
      - .offset:         184
        .size:           8
        .value_kind:     hidden_global_offset_x
      - .offset:         192
        .size:           8
        .value_kind:     hidden_global_offset_y
      - .offset:         200
        .size:           8
        .value_kind:     hidden_global_offset_z
      - .offset:         208
        .size:           2
        .value_kind:     hidden_grid_dims
      - .offset:         264
        .size:           4
        .value_kind:     hidden_dynamic_lds_size
    .group_segment_fixed_size: 240
    .kernarg_segment_align: 8
    .kernarg_segment_size: 400
    .language:       OpenCL C
    .language_version:
      - 2
      - 0
    .max_flat_workgroup_size: 1024
    .name:           _ZN4vllm25paged_attention_v2_kernelIttLi112ELi8ELi128ELNS_18Fp8KVCacheDataTypeE0ELb0ELi512EEEvPfS2_PT_PKS3_PKT0_S9_ifPKiSB_iPKfiiiSD_SD_iiiii
    .private_segment_fixed_size: 0
    .sgpr_count:     50
    .sgpr_spill_count: 0
    .symbol:         _ZN4vllm25paged_attention_v2_kernelIttLi112ELi8ELi128ELNS_18Fp8KVCacheDataTypeE0ELb0ELi512EEEvPfS2_PT_PKS3_PKT0_S9_ifPKiSB_iPKfiiiSD_SD_iiiii.kd
    .uniform_work_group_size: 1
    .uses_dynamic_stack: false
    .vgpr_count:     45
    .vgpr_spill_count: 0
    .wavefront_size: 64
  - .agpr_count:     0
    .args:
      - .actual_access:  write_only
        .address_space:  global
        .offset:         0
        .size:           8
        .value_kind:     global_buffer
      - .actual_access:  write_only
        .address_space:  global
        .offset:         8
        .size:           8
        .value_kind:     global_buffer
      - .actual_access:  write_only
        .address_space:  global
        .offset:         16
        .size:           8
        .value_kind:     global_buffer
      - .actual_access:  read_only
        .address_space:  global
        .offset:         24
        .size:           8
        .value_kind:     global_buffer
      - .actual_access:  read_only
        .address_space:  global
        .offset:         32
        .size:           8
        .value_kind:     global_buffer
      - .actual_access:  read_only
        .address_space:  global
        .offset:         40
        .size:           8
        .value_kind:     global_buffer
      - .offset:         48
        .size:           4
        .value_kind:     by_value
      - .offset:         52
        .size:           4
        .value_kind:     by_value
      - .actual_access:  read_only
        .address_space:  global
        .offset:         56
        .size:           8
        .value_kind:     global_buffer
      - .actual_access:  read_only
        .address_space:  global
        .offset:         64
        .size:           8
        .value_kind:     global_buffer
      - .offset:         72
        .size:           4
        .value_kind:     by_value
      - .actual_access:  read_only
        .address_space:  global
        .offset:         80
        .size:           8
        .value_kind:     global_buffer
      - .offset:         88
        .size:           4
        .value_kind:     by_value
      - .offset:         92
        .size:           4
        .value_kind:     by_value
      - .offset:         96
        .size:           4
        .value_kind:     by_value
      - .address_space:  global
        .offset:         104
        .size:           8
        .value_kind:     global_buffer
      - .address_space:  global
        .offset:         112
        .size:           8
        .value_kind:     global_buffer
      - .offset:         120
        .size:           4
        .value_kind:     by_value
      - .offset:         124
        .size:           4
        .value_kind:     by_value
      - .offset:         128
        .size:           4
        .value_kind:     by_value
      - .offset:         132
        .size:           4
        .value_kind:     by_value
      - .offset:         136
        .size:           4
        .value_kind:     by_value
      - .offset:         144
        .size:           4
        .value_kind:     hidden_block_count_x
      - .offset:         148
        .size:           4
        .value_kind:     hidden_block_count_y
      - .offset:         152
        .size:           4
        .value_kind:     hidden_block_count_z
      - .offset:         156
        .size:           2
        .value_kind:     hidden_group_size_x
      - .offset:         158
        .size:           2
        .value_kind:     hidden_group_size_y
      - .offset:         160
        .size:           2
        .value_kind:     hidden_group_size_z
      - .offset:         162
        .size:           2
        .value_kind:     hidden_remainder_x
      - .offset:         164
        .size:           2
        .value_kind:     hidden_remainder_y
      - .offset:         166
        .size:           2
        .value_kind:     hidden_remainder_z
      - .offset:         184
        .size:           8
        .value_kind:     hidden_global_offset_x
      - .offset:         192
        .size:           8
        .value_kind:     hidden_global_offset_y
      - .offset:         200
        .size:           8
        .value_kind:     hidden_global_offset_z
      - .offset:         208
        .size:           2
        .value_kind:     hidden_grid_dims
      - .offset:         264
        .size:           4
        .value_kind:     hidden_dynamic_lds_size
    .group_segment_fixed_size: 256
    .kernarg_segment_align: 8
    .kernarg_segment_size: 400
    .language:       OpenCL C
    .language_version:
      - 2
      - 0
    .max_flat_workgroup_size: 1024
    .name:           _ZN4vllm25paged_attention_v2_kernelIttLi120ELi8ELi128ELNS_18Fp8KVCacheDataTypeE0ELb0ELi512EEEvPfS2_PT_PKS3_PKT0_S9_ifPKiSB_iPKfiiiSD_SD_iiiii
    .private_segment_fixed_size: 0
    .sgpr_count:     50
    .sgpr_spill_count: 0
    .symbol:         _ZN4vllm25paged_attention_v2_kernelIttLi120ELi8ELi128ELNS_18Fp8KVCacheDataTypeE0ELb0ELi512EEEvPfS2_PT_PKS3_PKT0_S9_ifPKiSB_iPKfiiiSD_SD_iiiii.kd
    .uniform_work_group_size: 1
    .uses_dynamic_stack: false
    .vgpr_count:     47
    .vgpr_spill_count: 0
    .wavefront_size: 64
  - .agpr_count:     0
    .args:
      - .actual_access:  write_only
        .address_space:  global
        .offset:         0
        .size:           8
        .value_kind:     global_buffer
      - .actual_access:  write_only
        .address_space:  global
        .offset:         8
        .size:           8
        .value_kind:     global_buffer
      - .actual_access:  write_only
        .address_space:  global
        .offset:         16
        .size:           8
        .value_kind:     global_buffer
      - .actual_access:  read_only
        .address_space:  global
        .offset:         24
        .size:           8
        .value_kind:     global_buffer
      - .actual_access:  read_only
        .address_space:  global
        .offset:         32
        .size:           8
        .value_kind:     global_buffer
      - .actual_access:  read_only
        .address_space:  global
        .offset:         40
        .size:           8
        .value_kind:     global_buffer
      - .offset:         48
        .size:           4
        .value_kind:     by_value
      - .offset:         52
        .size:           4
        .value_kind:     by_value
      - .actual_access:  read_only
        .address_space:  global
        .offset:         56
        .size:           8
        .value_kind:     global_buffer
      - .actual_access:  read_only
        .address_space:  global
        .offset:         64
        .size:           8
        .value_kind:     global_buffer
      - .offset:         72
        .size:           4
        .value_kind:     by_value
      - .actual_access:  read_only
        .address_space:  global
        .offset:         80
        .size:           8
        .value_kind:     global_buffer
      - .offset:         88
        .size:           4
        .value_kind:     by_value
      - .offset:         92
        .size:           4
        .value_kind:     by_value
      - .offset:         96
        .size:           4
        .value_kind:     by_value
      - .address_space:  global
        .offset:         104
        .size:           8
        .value_kind:     global_buffer
      - .address_space:  global
        .offset:         112
        .size:           8
        .value_kind:     global_buffer
      - .offset:         120
        .size:           4
        .value_kind:     by_value
      - .offset:         124
        .size:           4
        .value_kind:     by_value
      - .offset:         128
        .size:           4
        .value_kind:     by_value
      - .offset:         132
        .size:           4
        .value_kind:     by_value
      - .offset:         136
        .size:           4
        .value_kind:     by_value
      - .offset:         144
        .size:           4
        .value_kind:     hidden_block_count_x
      - .offset:         148
        .size:           4
        .value_kind:     hidden_block_count_y
      - .offset:         152
        .size:           4
        .value_kind:     hidden_block_count_z
      - .offset:         156
        .size:           2
        .value_kind:     hidden_group_size_x
      - .offset:         158
        .size:           2
        .value_kind:     hidden_group_size_y
      - .offset:         160
        .size:           2
        .value_kind:     hidden_group_size_z
      - .offset:         162
        .size:           2
        .value_kind:     hidden_remainder_x
      - .offset:         164
        .size:           2
        .value_kind:     hidden_remainder_y
      - .offset:         166
        .size:           2
        .value_kind:     hidden_remainder_z
      - .offset:         184
        .size:           8
        .value_kind:     hidden_global_offset_x
      - .offset:         192
        .size:           8
        .value_kind:     hidden_global_offset_y
      - .offset:         200
        .size:           8
        .value_kind:     hidden_global_offset_z
      - .offset:         208
        .size:           2
        .value_kind:     hidden_grid_dims
      - .offset:         264
        .size:           4
        .value_kind:     hidden_dynamic_lds_size
    .group_segment_fixed_size: 272
    .kernarg_segment_align: 8
    .kernarg_segment_size: 400
    .language:       OpenCL C
    .language_version:
      - 2
      - 0
    .max_flat_workgroup_size: 1024
    .name:           _ZN4vllm25paged_attention_v2_kernelIttLi128ELi8ELi128ELNS_18Fp8KVCacheDataTypeE0ELb0ELi512EEEvPfS2_PT_PKS3_PKT0_S9_ifPKiSB_iPKfiiiSD_SD_iiiii
    .private_segment_fixed_size: 0
    .sgpr_count:     48
    .sgpr_spill_count: 0
    .symbol:         _ZN4vllm25paged_attention_v2_kernelIttLi128ELi8ELi128ELNS_18Fp8KVCacheDataTypeE0ELb0ELi512EEEvPfS2_PT_PKS3_PKT0_S9_ifPKiSB_iPKfiiiSD_SD_iiiii.kd
    .uniform_work_group_size: 1
    .uses_dynamic_stack: false
    .vgpr_count:     49
    .vgpr_spill_count: 0
    .wavefront_size: 64
  - .agpr_count:     0
    .args:
      - .actual_access:  write_only
        .address_space:  global
        .offset:         0
        .size:           8
        .value_kind:     global_buffer
      - .actual_access:  write_only
        .address_space:  global
        .offset:         8
        .size:           8
        .value_kind:     global_buffer
      - .actual_access:  write_only
        .address_space:  global
        .offset:         16
        .size:           8
        .value_kind:     global_buffer
      - .actual_access:  read_only
        .address_space:  global
        .offset:         24
        .size:           8
        .value_kind:     global_buffer
      - .actual_access:  read_only
        .address_space:  global
        .offset:         32
        .size:           8
        .value_kind:     global_buffer
      - .actual_access:  read_only
        .address_space:  global
        .offset:         40
        .size:           8
        .value_kind:     global_buffer
      - .offset:         48
        .size:           4
        .value_kind:     by_value
      - .offset:         52
        .size:           4
        .value_kind:     by_value
      - .actual_access:  read_only
        .address_space:  global
        .offset:         56
        .size:           8
        .value_kind:     global_buffer
      - .actual_access:  read_only
        .address_space:  global
        .offset:         64
        .size:           8
        .value_kind:     global_buffer
      - .offset:         72
        .size:           4
        .value_kind:     by_value
      - .actual_access:  read_only
        .address_space:  global
        .offset:         80
        .size:           8
        .value_kind:     global_buffer
      - .offset:         88
        .size:           4
        .value_kind:     by_value
      - .offset:         92
        .size:           4
        .value_kind:     by_value
      - .offset:         96
        .size:           4
        .value_kind:     by_value
      - .address_space:  global
        .offset:         104
        .size:           8
        .value_kind:     global_buffer
      - .address_space:  global
        .offset:         112
        .size:           8
        .value_kind:     global_buffer
      - .offset:         120
        .size:           4
        .value_kind:     by_value
      - .offset:         124
        .size:           4
        .value_kind:     by_value
      - .offset:         128
        .size:           4
        .value_kind:     by_value
      - .offset:         132
        .size:           4
        .value_kind:     by_value
      - .offset:         136
        .size:           4
        .value_kind:     by_value
      - .offset:         144
        .size:           4
        .value_kind:     hidden_block_count_x
      - .offset:         148
        .size:           4
        .value_kind:     hidden_block_count_y
      - .offset:         152
        .size:           4
        .value_kind:     hidden_block_count_z
      - .offset:         156
        .size:           2
        .value_kind:     hidden_group_size_x
      - .offset:         158
        .size:           2
        .value_kind:     hidden_group_size_y
      - .offset:         160
        .size:           2
        .value_kind:     hidden_group_size_z
      - .offset:         162
        .size:           2
        .value_kind:     hidden_remainder_x
      - .offset:         164
        .size:           2
        .value_kind:     hidden_remainder_y
      - .offset:         166
        .size:           2
        .value_kind:     hidden_remainder_z
      - .offset:         184
        .size:           8
        .value_kind:     hidden_global_offset_x
      - .offset:         192
        .size:           8
        .value_kind:     hidden_global_offset_y
      - .offset:         200
        .size:           8
        .value_kind:     hidden_global_offset_z
      - .offset:         208
        .size:           2
        .value_kind:     hidden_grid_dims
      - .offset:         264
        .size:           4
        .value_kind:     hidden_dynamic_lds_size
    .group_segment_fixed_size: 400
    .kernarg_segment_align: 8
    .kernarg_segment_size: 400
    .language:       OpenCL C
    .language_version:
      - 2
      - 0
    .max_flat_workgroup_size: 1024
    .name:           _ZN4vllm25paged_attention_v2_kernelIttLi192ELi8ELi128ELNS_18Fp8KVCacheDataTypeE0ELb0ELi512EEEvPfS2_PT_PKS3_PKT0_S9_ifPKiSB_iPKfiiiSD_SD_iiiii
    .private_segment_fixed_size: 0
    .sgpr_count:     50
    .sgpr_spill_count: 0
    .symbol:         _ZN4vllm25paged_attention_v2_kernelIttLi192ELi8ELi128ELNS_18Fp8KVCacheDataTypeE0ELb0ELi512EEEvPfS2_PT_PKS3_PKT0_S9_ifPKiSB_iPKfiiiSD_SD_iiiii.kd
    .uniform_work_group_size: 1
    .uses_dynamic_stack: false
    .vgpr_count:     62
    .vgpr_spill_count: 0
    .wavefront_size: 64
  - .agpr_count:     0
    .args:
      - .actual_access:  write_only
        .address_space:  global
        .offset:         0
        .size:           8
        .value_kind:     global_buffer
      - .actual_access:  write_only
        .address_space:  global
        .offset:         8
        .size:           8
        .value_kind:     global_buffer
      - .actual_access:  write_only
        .address_space:  global
        .offset:         16
        .size:           8
        .value_kind:     global_buffer
      - .actual_access:  read_only
        .address_space:  global
        .offset:         24
        .size:           8
        .value_kind:     global_buffer
      - .actual_access:  read_only
        .address_space:  global
        .offset:         32
        .size:           8
        .value_kind:     global_buffer
      - .actual_access:  read_only
        .address_space:  global
        .offset:         40
        .size:           8
        .value_kind:     global_buffer
      - .offset:         48
        .size:           4
        .value_kind:     by_value
      - .offset:         52
        .size:           4
        .value_kind:     by_value
      - .actual_access:  read_only
        .address_space:  global
        .offset:         56
        .size:           8
        .value_kind:     global_buffer
      - .actual_access:  read_only
        .address_space:  global
        .offset:         64
        .size:           8
        .value_kind:     global_buffer
      - .offset:         72
        .size:           4
        .value_kind:     by_value
      - .actual_access:  read_only
        .address_space:  global
        .offset:         80
        .size:           8
        .value_kind:     global_buffer
      - .offset:         88
        .size:           4
        .value_kind:     by_value
      - .offset:         92
        .size:           4
        .value_kind:     by_value
      - .offset:         96
        .size:           4
        .value_kind:     by_value
      - .address_space:  global
        .offset:         104
        .size:           8
        .value_kind:     global_buffer
      - .address_space:  global
        .offset:         112
        .size:           8
        .value_kind:     global_buffer
      - .offset:         120
        .size:           4
        .value_kind:     by_value
      - .offset:         124
        .size:           4
        .value_kind:     by_value
      - .offset:         128
        .size:           4
        .value_kind:     by_value
      - .offset:         132
        .size:           4
        .value_kind:     by_value
      - .offset:         136
        .size:           4
        .value_kind:     by_value
      - .offset:         144
        .size:           4
        .value_kind:     hidden_block_count_x
      - .offset:         148
        .size:           4
        .value_kind:     hidden_block_count_y
      - .offset:         152
        .size:           4
        .value_kind:     hidden_block_count_z
      - .offset:         156
        .size:           2
        .value_kind:     hidden_group_size_x
      - .offset:         158
        .size:           2
        .value_kind:     hidden_group_size_y
      - .offset:         160
        .size:           2
        .value_kind:     hidden_group_size_z
      - .offset:         162
        .size:           2
        .value_kind:     hidden_remainder_x
      - .offset:         164
        .size:           2
        .value_kind:     hidden_remainder_y
      - .offset:         166
        .size:           2
        .value_kind:     hidden_remainder_z
      - .offset:         184
        .size:           8
        .value_kind:     hidden_global_offset_x
      - .offset:         192
        .size:           8
        .value_kind:     hidden_global_offset_y
      - .offset:         200
        .size:           8
        .value_kind:     hidden_global_offset_z
      - .offset:         208
        .size:           2
        .value_kind:     hidden_grid_dims
      - .offset:         264
        .size:           4
        .value_kind:     hidden_dynamic_lds_size
    .group_segment_fixed_size: 528
    .kernarg_segment_align: 8
    .kernarg_segment_size: 400
    .language:       OpenCL C
    .language_version:
      - 2
      - 0
    .max_flat_workgroup_size: 1024
    .name:           _ZN4vllm25paged_attention_v2_kernelIttLi256ELi8ELi128ELNS_18Fp8KVCacheDataTypeE0ELb0ELi512EEEvPfS2_PT_PKS3_PKT0_S9_ifPKiSB_iPKfiiiSD_SD_iiiii
    .private_segment_fixed_size: 0
    .sgpr_count:     50
    .sgpr_spill_count: 0
    .symbol:         _ZN4vllm25paged_attention_v2_kernelIttLi256ELi8ELi128ELNS_18Fp8KVCacheDataTypeE0ELb0ELi512EEEvPfS2_PT_PKS3_PKT0_S9_ifPKiSB_iPKfiiiSD_SD_iiiii.kd
    .uniform_work_group_size: 1
    .uses_dynamic_stack: false
    .vgpr_count:     61
    .vgpr_spill_count: 0
    .wavefront_size: 64
  - .agpr_count:     0
    .args:
      - .actual_access:  write_only
        .address_space:  global
        .offset:         0
        .size:           8
        .value_kind:     global_buffer
      - .actual_access:  write_only
        .address_space:  global
        .offset:         8
        .size:           8
        .value_kind:     global_buffer
      - .actual_access:  write_only
        .address_space:  global
        .offset:         16
        .size:           8
        .value_kind:     global_buffer
      - .actual_access:  read_only
        .address_space:  global
        .offset:         24
        .size:           8
        .value_kind:     global_buffer
      - .actual_access:  read_only
        .address_space:  global
        .offset:         32
        .size:           8
        .value_kind:     global_buffer
      - .actual_access:  read_only
        .address_space:  global
        .offset:         40
        .size:           8
        .value_kind:     global_buffer
      - .offset:         48
        .size:           4
        .value_kind:     by_value
      - .offset:         52
        .size:           4
        .value_kind:     by_value
      - .actual_access:  read_only
        .address_space:  global
        .offset:         56
        .size:           8
        .value_kind:     global_buffer
      - .actual_access:  read_only
        .address_space:  global
        .offset:         64
        .size:           8
        .value_kind:     global_buffer
      - .offset:         72
        .size:           4
        .value_kind:     by_value
      - .actual_access:  read_only
        .address_space:  global
        .offset:         80
        .size:           8
        .value_kind:     global_buffer
      - .offset:         88
        .size:           4
        .value_kind:     by_value
      - .offset:         92
        .size:           4
        .value_kind:     by_value
      - .offset:         96
        .size:           4
        .value_kind:     by_value
      - .address_space:  global
        .offset:         104
        .size:           8
        .value_kind:     global_buffer
      - .address_space:  global
        .offset:         112
        .size:           8
        .value_kind:     global_buffer
      - .offset:         120
        .size:           4
        .value_kind:     by_value
      - .offset:         124
        .size:           4
        .value_kind:     by_value
      - .offset:         128
        .size:           4
        .value_kind:     by_value
      - .offset:         132
        .size:           4
        .value_kind:     by_value
      - .offset:         136
        .size:           4
        .value_kind:     by_value
      - .offset:         144
        .size:           4
        .value_kind:     hidden_block_count_x
      - .offset:         148
        .size:           4
        .value_kind:     hidden_block_count_y
      - .offset:         152
        .size:           4
        .value_kind:     hidden_block_count_z
      - .offset:         156
        .size:           2
        .value_kind:     hidden_group_size_x
      - .offset:         158
        .size:           2
        .value_kind:     hidden_group_size_y
      - .offset:         160
        .size:           2
        .value_kind:     hidden_group_size_z
      - .offset:         162
        .size:           2
        .value_kind:     hidden_remainder_x
      - .offset:         164
        .size:           2
        .value_kind:     hidden_remainder_y
      - .offset:         166
        .size:           2
        .value_kind:     hidden_remainder_z
      - .offset:         184
        .size:           8
        .value_kind:     hidden_global_offset_x
      - .offset:         192
        .size:           8
        .value_kind:     hidden_global_offset_y
      - .offset:         200
        .size:           8
        .value_kind:     hidden_global_offset_z
      - .offset:         208
        .size:           2
        .value_kind:     hidden_grid_dims
      - .offset:         264
        .size:           4
        .value_kind:     hidden_dynamic_lds_size
    .group_segment_fixed_size: 80
    .kernarg_segment_align: 8
    .kernarg_segment_size: 400
    .language:       OpenCL C
    .language_version:
      - 2
      - 0
    .max_flat_workgroup_size: 1024
    .name:           _ZN4vllm25paged_attention_v2_kernelIttLi32ELi16ELi128ELNS_18Fp8KVCacheDataTypeE0ELb1ELi512EEEvPfS2_PT_PKS3_PKT0_S9_ifPKiSB_iPKfiiiSD_SD_iiiii
    .private_segment_fixed_size: 0
    .sgpr_count:     58
    .sgpr_spill_count: 0
    .symbol:         _ZN4vllm25paged_attention_v2_kernelIttLi32ELi16ELi128ELNS_18Fp8KVCacheDataTypeE0ELb1ELi512EEEvPfS2_PT_PKS3_PKT0_S9_ifPKiSB_iPKfiiiSD_SD_iiiii.kd
    .uniform_work_group_size: 1
    .uses_dynamic_stack: false
    .vgpr_count:     37
    .vgpr_spill_count: 0
    .wavefront_size: 64
  - .agpr_count:     0
    .args:
      - .actual_access:  write_only
        .address_space:  global
        .offset:         0
        .size:           8
        .value_kind:     global_buffer
      - .actual_access:  write_only
        .address_space:  global
        .offset:         8
        .size:           8
        .value_kind:     global_buffer
      - .actual_access:  write_only
        .address_space:  global
        .offset:         16
        .size:           8
        .value_kind:     global_buffer
      - .actual_access:  read_only
        .address_space:  global
        .offset:         24
        .size:           8
        .value_kind:     global_buffer
      - .actual_access:  read_only
        .address_space:  global
        .offset:         32
        .size:           8
        .value_kind:     global_buffer
      - .actual_access:  read_only
        .address_space:  global
        .offset:         40
        .size:           8
        .value_kind:     global_buffer
      - .offset:         48
        .size:           4
        .value_kind:     by_value
      - .offset:         52
        .size:           4
        .value_kind:     by_value
      - .actual_access:  read_only
        .address_space:  global
        .offset:         56
        .size:           8
        .value_kind:     global_buffer
      - .actual_access:  read_only
        .address_space:  global
        .offset:         64
        .size:           8
        .value_kind:     global_buffer
      - .offset:         72
        .size:           4
        .value_kind:     by_value
      - .actual_access:  read_only
        .address_space:  global
        .offset:         80
        .size:           8
        .value_kind:     global_buffer
      - .offset:         88
        .size:           4
        .value_kind:     by_value
      - .offset:         92
        .size:           4
        .value_kind:     by_value
      - .offset:         96
        .size:           4
        .value_kind:     by_value
      - .address_space:  global
        .offset:         104
        .size:           8
        .value_kind:     global_buffer
      - .address_space:  global
        .offset:         112
        .size:           8
        .value_kind:     global_buffer
      - .offset:         120
        .size:           4
        .value_kind:     by_value
      - .offset:         124
        .size:           4
        .value_kind:     by_value
      - .offset:         128
        .size:           4
        .value_kind:     by_value
      - .offset:         132
        .size:           4
        .value_kind:     by_value
      - .offset:         136
        .size:           4
        .value_kind:     by_value
      - .offset:         144
        .size:           4
        .value_kind:     hidden_block_count_x
      - .offset:         148
        .size:           4
        .value_kind:     hidden_block_count_y
      - .offset:         152
        .size:           4
        .value_kind:     hidden_block_count_z
      - .offset:         156
        .size:           2
        .value_kind:     hidden_group_size_x
      - .offset:         158
        .size:           2
        .value_kind:     hidden_group_size_y
      - .offset:         160
        .size:           2
        .value_kind:     hidden_group_size_z
      - .offset:         162
        .size:           2
        .value_kind:     hidden_remainder_x
      - .offset:         164
        .size:           2
        .value_kind:     hidden_remainder_y
      - .offset:         166
        .size:           2
        .value_kind:     hidden_remainder_z
      - .offset:         184
        .size:           8
        .value_kind:     hidden_global_offset_x
      - .offset:         192
        .size:           8
        .value_kind:     hidden_global_offset_y
      - .offset:         200
        .size:           8
        .value_kind:     hidden_global_offset_z
      - .offset:         208
        .size:           2
        .value_kind:     hidden_grid_dims
      - .offset:         264
        .size:           4
        .value_kind:     hidden_dynamic_lds_size
    .group_segment_fixed_size: 144
    .kernarg_segment_align: 8
    .kernarg_segment_size: 400
    .language:       OpenCL C
    .language_version:
      - 2
      - 0
    .max_flat_workgroup_size: 1024
    .name:           _ZN4vllm25paged_attention_v2_kernelIttLi64ELi16ELi128ELNS_18Fp8KVCacheDataTypeE0ELb1ELi512EEEvPfS2_PT_PKS3_PKT0_S9_ifPKiSB_iPKfiiiSD_SD_iiiii
    .private_segment_fixed_size: 0
    .sgpr_count:     58
    .sgpr_spill_count: 0
    .symbol:         _ZN4vllm25paged_attention_v2_kernelIttLi64ELi16ELi128ELNS_18Fp8KVCacheDataTypeE0ELb1ELi512EEEvPfS2_PT_PKS3_PKT0_S9_ifPKiSB_iPKfiiiSD_SD_iiiii.kd
    .uniform_work_group_size: 1
    .uses_dynamic_stack: false
    .vgpr_count:     49
    .vgpr_spill_count: 0
    .wavefront_size: 64
  - .agpr_count:     0
    .args:
      - .actual_access:  write_only
        .address_space:  global
        .offset:         0
        .size:           8
        .value_kind:     global_buffer
      - .actual_access:  write_only
        .address_space:  global
        .offset:         8
        .size:           8
        .value_kind:     global_buffer
      - .actual_access:  write_only
        .address_space:  global
        .offset:         16
        .size:           8
        .value_kind:     global_buffer
      - .actual_access:  read_only
        .address_space:  global
        .offset:         24
        .size:           8
        .value_kind:     global_buffer
      - .actual_access:  read_only
        .address_space:  global
        .offset:         32
        .size:           8
        .value_kind:     global_buffer
      - .actual_access:  read_only
        .address_space:  global
        .offset:         40
        .size:           8
        .value_kind:     global_buffer
      - .offset:         48
        .size:           4
        .value_kind:     by_value
      - .offset:         52
        .size:           4
        .value_kind:     by_value
      - .actual_access:  read_only
        .address_space:  global
        .offset:         56
        .size:           8
        .value_kind:     global_buffer
      - .actual_access:  read_only
        .address_space:  global
        .offset:         64
        .size:           8
        .value_kind:     global_buffer
      - .offset:         72
        .size:           4
        .value_kind:     by_value
      - .actual_access:  read_only
        .address_space:  global
        .offset:         80
        .size:           8
        .value_kind:     global_buffer
      - .offset:         88
        .size:           4
        .value_kind:     by_value
      - .offset:         92
        .size:           4
        .value_kind:     by_value
      - .offset:         96
        .size:           4
        .value_kind:     by_value
      - .address_space:  global
        .offset:         104
        .size:           8
        .value_kind:     global_buffer
      - .address_space:  global
        .offset:         112
        .size:           8
        .value_kind:     global_buffer
      - .offset:         120
        .size:           4
        .value_kind:     by_value
      - .offset:         124
        .size:           4
        .value_kind:     by_value
      - .offset:         128
        .size:           4
        .value_kind:     by_value
      - .offset:         132
        .size:           4
        .value_kind:     by_value
      - .offset:         136
        .size:           4
        .value_kind:     by_value
      - .offset:         144
        .size:           4
        .value_kind:     hidden_block_count_x
      - .offset:         148
        .size:           4
        .value_kind:     hidden_block_count_y
      - .offset:         152
        .size:           4
        .value_kind:     hidden_block_count_z
      - .offset:         156
        .size:           2
        .value_kind:     hidden_group_size_x
      - .offset:         158
        .size:           2
        .value_kind:     hidden_group_size_y
      - .offset:         160
        .size:           2
        .value_kind:     hidden_group_size_z
      - .offset:         162
        .size:           2
        .value_kind:     hidden_remainder_x
      - .offset:         164
        .size:           2
        .value_kind:     hidden_remainder_y
      - .offset:         166
        .size:           2
        .value_kind:     hidden_remainder_z
      - .offset:         184
        .size:           8
        .value_kind:     hidden_global_offset_x
      - .offset:         192
        .size:           8
        .value_kind:     hidden_global_offset_y
      - .offset:         200
        .size:           8
        .value_kind:     hidden_global_offset_z
      - .offset:         208
        .size:           2
        .value_kind:     hidden_grid_dims
      - .offset:         264
        .size:           4
        .value_kind:     hidden_dynamic_lds_size
    .group_segment_fixed_size: 176
    .kernarg_segment_align: 8
    .kernarg_segment_size: 400
    .language:       OpenCL C
    .language_version:
      - 2
      - 0
    .max_flat_workgroup_size: 1024
    .name:           _ZN4vllm25paged_attention_v2_kernelIttLi80ELi16ELi128ELNS_18Fp8KVCacheDataTypeE0ELb1ELi512EEEvPfS2_PT_PKS3_PKT0_S9_ifPKiSB_iPKfiiiSD_SD_iiiii
    .private_segment_fixed_size: 0
    .sgpr_count:     58
    .sgpr_spill_count: 0
    .symbol:         _ZN4vllm25paged_attention_v2_kernelIttLi80ELi16ELi128ELNS_18Fp8KVCacheDataTypeE0ELb1ELi512EEEvPfS2_PT_PKS3_PKT0_S9_ifPKiSB_iPKfiiiSD_SD_iiiii.kd
    .uniform_work_group_size: 1
    .uses_dynamic_stack: false
    .vgpr_count:     55
    .vgpr_spill_count: 0
    .wavefront_size: 64
  - .agpr_count:     0
    .args:
      - .actual_access:  write_only
        .address_space:  global
        .offset:         0
        .size:           8
        .value_kind:     global_buffer
      - .actual_access:  write_only
        .address_space:  global
        .offset:         8
        .size:           8
        .value_kind:     global_buffer
      - .actual_access:  write_only
        .address_space:  global
        .offset:         16
        .size:           8
        .value_kind:     global_buffer
      - .actual_access:  read_only
        .address_space:  global
        .offset:         24
        .size:           8
        .value_kind:     global_buffer
      - .actual_access:  read_only
        .address_space:  global
        .offset:         32
        .size:           8
        .value_kind:     global_buffer
      - .actual_access:  read_only
        .address_space:  global
        .offset:         40
        .size:           8
        .value_kind:     global_buffer
      - .offset:         48
        .size:           4
        .value_kind:     by_value
      - .offset:         52
        .size:           4
        .value_kind:     by_value
      - .actual_access:  read_only
        .address_space:  global
        .offset:         56
        .size:           8
        .value_kind:     global_buffer
      - .actual_access:  read_only
        .address_space:  global
        .offset:         64
        .size:           8
        .value_kind:     global_buffer
      - .offset:         72
        .size:           4
        .value_kind:     by_value
      - .actual_access:  read_only
        .address_space:  global
        .offset:         80
        .size:           8
        .value_kind:     global_buffer
      - .offset:         88
        .size:           4
        .value_kind:     by_value
      - .offset:         92
        .size:           4
        .value_kind:     by_value
      - .offset:         96
        .size:           4
        .value_kind:     by_value
      - .address_space:  global
        .offset:         104
        .size:           8
        .value_kind:     global_buffer
      - .address_space:  global
        .offset:         112
        .size:           8
        .value_kind:     global_buffer
      - .offset:         120
        .size:           4
        .value_kind:     by_value
      - .offset:         124
        .size:           4
        .value_kind:     by_value
      - .offset:         128
        .size:           4
        .value_kind:     by_value
      - .offset:         132
        .size:           4
        .value_kind:     by_value
      - .offset:         136
        .size:           4
        .value_kind:     by_value
      - .offset:         144
        .size:           4
        .value_kind:     hidden_block_count_x
      - .offset:         148
        .size:           4
        .value_kind:     hidden_block_count_y
      - .offset:         152
        .size:           4
        .value_kind:     hidden_block_count_z
      - .offset:         156
        .size:           2
        .value_kind:     hidden_group_size_x
      - .offset:         158
        .size:           2
        .value_kind:     hidden_group_size_y
      - .offset:         160
        .size:           2
        .value_kind:     hidden_group_size_z
      - .offset:         162
        .size:           2
        .value_kind:     hidden_remainder_x
      - .offset:         164
        .size:           2
        .value_kind:     hidden_remainder_y
      - .offset:         166
        .size:           2
        .value_kind:     hidden_remainder_z
      - .offset:         184
        .size:           8
        .value_kind:     hidden_global_offset_x
      - .offset:         192
        .size:           8
        .value_kind:     hidden_global_offset_y
      - .offset:         200
        .size:           8
        .value_kind:     hidden_global_offset_z
      - .offset:         208
        .size:           2
        .value_kind:     hidden_grid_dims
      - .offset:         264
        .size:           4
        .value_kind:     hidden_dynamic_lds_size
    .group_segment_fixed_size: 208
    .kernarg_segment_align: 8
    .kernarg_segment_size: 400
    .language:       OpenCL C
    .language_version:
      - 2
      - 0
    .max_flat_workgroup_size: 1024
    .name:           _ZN4vllm25paged_attention_v2_kernelIttLi96ELi16ELi128ELNS_18Fp8KVCacheDataTypeE0ELb1ELi512EEEvPfS2_PT_PKS3_PKT0_S9_ifPKiSB_iPKfiiiSD_SD_iiiii
    .private_segment_fixed_size: 0
    .sgpr_count:     58
    .sgpr_spill_count: 0
    .symbol:         _ZN4vllm25paged_attention_v2_kernelIttLi96ELi16ELi128ELNS_18Fp8KVCacheDataTypeE0ELb1ELi512EEEvPfS2_PT_PKS3_PKT0_S9_ifPKiSB_iPKfiiiSD_SD_iiiii.kd
    .uniform_work_group_size: 1
    .uses_dynamic_stack: false
    .vgpr_count:     61
    .vgpr_spill_count: 0
    .wavefront_size: 64
  - .agpr_count:     0
    .args:
      - .actual_access:  write_only
        .address_space:  global
        .offset:         0
        .size:           8
        .value_kind:     global_buffer
      - .actual_access:  write_only
        .address_space:  global
        .offset:         8
        .size:           8
        .value_kind:     global_buffer
      - .actual_access:  write_only
        .address_space:  global
        .offset:         16
        .size:           8
        .value_kind:     global_buffer
      - .actual_access:  read_only
        .address_space:  global
        .offset:         24
        .size:           8
        .value_kind:     global_buffer
      - .actual_access:  read_only
        .address_space:  global
        .offset:         32
        .size:           8
        .value_kind:     global_buffer
      - .actual_access:  read_only
        .address_space:  global
        .offset:         40
        .size:           8
        .value_kind:     global_buffer
      - .offset:         48
        .size:           4
        .value_kind:     by_value
      - .offset:         52
        .size:           4
        .value_kind:     by_value
      - .actual_access:  read_only
        .address_space:  global
        .offset:         56
        .size:           8
        .value_kind:     global_buffer
      - .actual_access:  read_only
        .address_space:  global
        .offset:         64
        .size:           8
        .value_kind:     global_buffer
      - .offset:         72
        .size:           4
        .value_kind:     by_value
      - .actual_access:  read_only
        .address_space:  global
        .offset:         80
        .size:           8
        .value_kind:     global_buffer
      - .offset:         88
        .size:           4
        .value_kind:     by_value
      - .offset:         92
        .size:           4
        .value_kind:     by_value
      - .offset:         96
        .size:           4
        .value_kind:     by_value
      - .address_space:  global
        .offset:         104
        .size:           8
        .value_kind:     global_buffer
      - .address_space:  global
        .offset:         112
        .size:           8
        .value_kind:     global_buffer
      - .offset:         120
        .size:           4
        .value_kind:     by_value
      - .offset:         124
        .size:           4
        .value_kind:     by_value
      - .offset:         128
        .size:           4
        .value_kind:     by_value
      - .offset:         132
        .size:           4
        .value_kind:     by_value
      - .offset:         136
        .size:           4
        .value_kind:     by_value
      - .offset:         144
        .size:           4
        .value_kind:     hidden_block_count_x
      - .offset:         148
        .size:           4
        .value_kind:     hidden_block_count_y
      - .offset:         152
        .size:           4
        .value_kind:     hidden_block_count_z
      - .offset:         156
        .size:           2
        .value_kind:     hidden_group_size_x
      - .offset:         158
        .size:           2
        .value_kind:     hidden_group_size_y
      - .offset:         160
        .size:           2
        .value_kind:     hidden_group_size_z
      - .offset:         162
        .size:           2
        .value_kind:     hidden_remainder_x
      - .offset:         164
        .size:           2
        .value_kind:     hidden_remainder_y
      - .offset:         166
        .size:           2
        .value_kind:     hidden_remainder_z
      - .offset:         184
        .size:           8
        .value_kind:     hidden_global_offset_x
      - .offset:         192
        .size:           8
        .value_kind:     hidden_global_offset_y
      - .offset:         200
        .size:           8
        .value_kind:     hidden_global_offset_z
      - .offset:         208
        .size:           2
        .value_kind:     hidden_grid_dims
      - .offset:         264
        .size:           4
        .value_kind:     hidden_dynamic_lds_size
    .group_segment_fixed_size: 240
    .kernarg_segment_align: 8
    .kernarg_segment_size: 400
    .language:       OpenCL C
    .language_version:
      - 2
      - 0
    .max_flat_workgroup_size: 1024
    .name:           _ZN4vllm25paged_attention_v2_kernelIttLi112ELi16ELi128ELNS_18Fp8KVCacheDataTypeE0ELb1ELi512EEEvPfS2_PT_PKS3_PKT0_S9_ifPKiSB_iPKfiiiSD_SD_iiiii
    .private_segment_fixed_size: 0
    .sgpr_count:     58
    .sgpr_spill_count: 0
    .symbol:         _ZN4vllm25paged_attention_v2_kernelIttLi112ELi16ELi128ELNS_18Fp8KVCacheDataTypeE0ELb1ELi512EEEvPfS2_PT_PKS3_PKT0_S9_ifPKiSB_iPKfiiiSD_SD_iiiii.kd
    .uniform_work_group_size: 1
    .uses_dynamic_stack: false
    .vgpr_count:     67
    .vgpr_spill_count: 0
    .wavefront_size: 64
  - .agpr_count:     0
    .args:
      - .actual_access:  write_only
        .address_space:  global
        .offset:         0
        .size:           8
        .value_kind:     global_buffer
      - .actual_access:  write_only
        .address_space:  global
        .offset:         8
        .size:           8
        .value_kind:     global_buffer
      - .actual_access:  write_only
        .address_space:  global
        .offset:         16
        .size:           8
        .value_kind:     global_buffer
      - .actual_access:  read_only
        .address_space:  global
        .offset:         24
        .size:           8
        .value_kind:     global_buffer
      - .actual_access:  read_only
        .address_space:  global
        .offset:         32
        .size:           8
        .value_kind:     global_buffer
      - .actual_access:  read_only
        .address_space:  global
        .offset:         40
        .size:           8
        .value_kind:     global_buffer
      - .offset:         48
        .size:           4
        .value_kind:     by_value
      - .offset:         52
        .size:           4
        .value_kind:     by_value
      - .actual_access:  read_only
        .address_space:  global
        .offset:         56
        .size:           8
        .value_kind:     global_buffer
      - .actual_access:  read_only
        .address_space:  global
        .offset:         64
        .size:           8
        .value_kind:     global_buffer
      - .offset:         72
        .size:           4
        .value_kind:     by_value
      - .actual_access:  read_only
        .address_space:  global
        .offset:         80
        .size:           8
        .value_kind:     global_buffer
      - .offset:         88
        .size:           4
        .value_kind:     by_value
      - .offset:         92
        .size:           4
        .value_kind:     by_value
      - .offset:         96
        .size:           4
        .value_kind:     by_value
      - .address_space:  global
        .offset:         104
        .size:           8
        .value_kind:     global_buffer
      - .address_space:  global
        .offset:         112
        .size:           8
        .value_kind:     global_buffer
      - .offset:         120
        .size:           4
        .value_kind:     by_value
      - .offset:         124
        .size:           4
        .value_kind:     by_value
      - .offset:         128
        .size:           4
        .value_kind:     by_value
      - .offset:         132
        .size:           4
        .value_kind:     by_value
      - .offset:         136
        .size:           4
        .value_kind:     by_value
      - .offset:         144
        .size:           4
        .value_kind:     hidden_block_count_x
      - .offset:         148
        .size:           4
        .value_kind:     hidden_block_count_y
      - .offset:         152
        .size:           4
        .value_kind:     hidden_block_count_z
      - .offset:         156
        .size:           2
        .value_kind:     hidden_group_size_x
      - .offset:         158
        .size:           2
        .value_kind:     hidden_group_size_y
      - .offset:         160
        .size:           2
        .value_kind:     hidden_group_size_z
      - .offset:         162
        .size:           2
        .value_kind:     hidden_remainder_x
      - .offset:         164
        .size:           2
        .value_kind:     hidden_remainder_y
      - .offset:         166
        .size:           2
        .value_kind:     hidden_remainder_z
      - .offset:         184
        .size:           8
        .value_kind:     hidden_global_offset_x
      - .offset:         192
        .size:           8
        .value_kind:     hidden_global_offset_y
      - .offset:         200
        .size:           8
        .value_kind:     hidden_global_offset_z
      - .offset:         208
        .size:           2
        .value_kind:     hidden_grid_dims
      - .offset:         264
        .size:           4
        .value_kind:     hidden_dynamic_lds_size
    .group_segment_fixed_size: 256
    .kernarg_segment_align: 8
    .kernarg_segment_size: 400
    .language:       OpenCL C
    .language_version:
      - 2
      - 0
    .max_flat_workgroup_size: 1024
    .name:           _ZN4vllm25paged_attention_v2_kernelIttLi120ELi16ELi128ELNS_18Fp8KVCacheDataTypeE0ELb1ELi512EEEvPfS2_PT_PKS3_PKT0_S9_ifPKiSB_iPKfiiiSD_SD_iiiii
    .private_segment_fixed_size: 0
    .sgpr_count:     58
    .sgpr_spill_count: 0
    .symbol:         _ZN4vllm25paged_attention_v2_kernelIttLi120ELi16ELi128ELNS_18Fp8KVCacheDataTypeE0ELb1ELi512EEEvPfS2_PT_PKS3_PKT0_S9_ifPKiSB_iPKfiiiSD_SD_iiiii.kd
    .uniform_work_group_size: 1
    .uses_dynamic_stack: false
    .vgpr_count:     71
    .vgpr_spill_count: 0
    .wavefront_size: 64
  - .agpr_count:     0
    .args:
      - .actual_access:  write_only
        .address_space:  global
        .offset:         0
        .size:           8
        .value_kind:     global_buffer
      - .actual_access:  write_only
        .address_space:  global
        .offset:         8
        .size:           8
        .value_kind:     global_buffer
      - .actual_access:  write_only
        .address_space:  global
        .offset:         16
        .size:           8
        .value_kind:     global_buffer
      - .actual_access:  read_only
        .address_space:  global
        .offset:         24
        .size:           8
        .value_kind:     global_buffer
      - .actual_access:  read_only
        .address_space:  global
        .offset:         32
        .size:           8
        .value_kind:     global_buffer
      - .actual_access:  read_only
        .address_space:  global
        .offset:         40
        .size:           8
        .value_kind:     global_buffer
      - .offset:         48
        .size:           4
        .value_kind:     by_value
      - .offset:         52
        .size:           4
        .value_kind:     by_value
      - .actual_access:  read_only
        .address_space:  global
        .offset:         56
        .size:           8
        .value_kind:     global_buffer
      - .actual_access:  read_only
        .address_space:  global
        .offset:         64
        .size:           8
        .value_kind:     global_buffer
      - .offset:         72
        .size:           4
        .value_kind:     by_value
      - .actual_access:  read_only
        .address_space:  global
        .offset:         80
        .size:           8
        .value_kind:     global_buffer
      - .offset:         88
        .size:           4
        .value_kind:     by_value
      - .offset:         92
        .size:           4
        .value_kind:     by_value
      - .offset:         96
        .size:           4
        .value_kind:     by_value
      - .address_space:  global
        .offset:         104
        .size:           8
        .value_kind:     global_buffer
      - .address_space:  global
        .offset:         112
        .size:           8
        .value_kind:     global_buffer
      - .offset:         120
        .size:           4
        .value_kind:     by_value
      - .offset:         124
        .size:           4
        .value_kind:     by_value
      - .offset:         128
        .size:           4
        .value_kind:     by_value
      - .offset:         132
        .size:           4
        .value_kind:     by_value
      - .offset:         136
        .size:           4
        .value_kind:     by_value
      - .offset:         144
        .size:           4
        .value_kind:     hidden_block_count_x
      - .offset:         148
        .size:           4
        .value_kind:     hidden_block_count_y
      - .offset:         152
        .size:           4
        .value_kind:     hidden_block_count_z
      - .offset:         156
        .size:           2
        .value_kind:     hidden_group_size_x
      - .offset:         158
        .size:           2
        .value_kind:     hidden_group_size_y
      - .offset:         160
        .size:           2
        .value_kind:     hidden_group_size_z
      - .offset:         162
        .size:           2
        .value_kind:     hidden_remainder_x
      - .offset:         164
        .size:           2
        .value_kind:     hidden_remainder_y
      - .offset:         166
        .size:           2
        .value_kind:     hidden_remainder_z
      - .offset:         184
        .size:           8
        .value_kind:     hidden_global_offset_x
      - .offset:         192
        .size:           8
        .value_kind:     hidden_global_offset_y
      - .offset:         200
        .size:           8
        .value_kind:     hidden_global_offset_z
      - .offset:         208
        .size:           2
        .value_kind:     hidden_grid_dims
      - .offset:         264
        .size:           4
        .value_kind:     hidden_dynamic_lds_size
    .group_segment_fixed_size: 272
    .kernarg_segment_align: 8
    .kernarg_segment_size: 400
    .language:       OpenCL C
    .language_version:
      - 2
      - 0
    .max_flat_workgroup_size: 1024
    .name:           _ZN4vllm25paged_attention_v2_kernelIttLi128ELi16ELi128ELNS_18Fp8KVCacheDataTypeE0ELb1ELi512EEEvPfS2_PT_PKS3_PKT0_S9_ifPKiSB_iPKfiiiSD_SD_iiiii
    .private_segment_fixed_size: 0
    .sgpr_count:     60
    .sgpr_spill_count: 0
    .symbol:         _ZN4vllm25paged_attention_v2_kernelIttLi128ELi16ELi128ELNS_18Fp8KVCacheDataTypeE0ELb1ELi512EEEvPfS2_PT_PKS3_PKT0_S9_ifPKiSB_iPKfiiiSD_SD_iiiii.kd
    .uniform_work_group_size: 1
    .uses_dynamic_stack: false
    .vgpr_count:     73
    .vgpr_spill_count: 0
    .wavefront_size: 64
  - .agpr_count:     0
    .args:
      - .actual_access:  write_only
        .address_space:  global
        .offset:         0
        .size:           8
        .value_kind:     global_buffer
      - .actual_access:  write_only
        .address_space:  global
        .offset:         8
        .size:           8
        .value_kind:     global_buffer
      - .actual_access:  write_only
        .address_space:  global
        .offset:         16
        .size:           8
        .value_kind:     global_buffer
      - .actual_access:  read_only
        .address_space:  global
        .offset:         24
        .size:           8
        .value_kind:     global_buffer
      - .actual_access:  read_only
        .address_space:  global
        .offset:         32
        .size:           8
        .value_kind:     global_buffer
      - .actual_access:  read_only
        .address_space:  global
        .offset:         40
        .size:           8
        .value_kind:     global_buffer
      - .offset:         48
        .size:           4
        .value_kind:     by_value
      - .offset:         52
        .size:           4
        .value_kind:     by_value
      - .actual_access:  read_only
        .address_space:  global
        .offset:         56
        .size:           8
        .value_kind:     global_buffer
      - .actual_access:  read_only
        .address_space:  global
        .offset:         64
        .size:           8
        .value_kind:     global_buffer
      - .offset:         72
        .size:           4
        .value_kind:     by_value
      - .actual_access:  read_only
        .address_space:  global
        .offset:         80
        .size:           8
        .value_kind:     global_buffer
      - .offset:         88
        .size:           4
        .value_kind:     by_value
      - .offset:         92
        .size:           4
        .value_kind:     by_value
      - .offset:         96
        .size:           4
        .value_kind:     by_value
      - .address_space:  global
        .offset:         104
        .size:           8
        .value_kind:     global_buffer
      - .address_space:  global
        .offset:         112
        .size:           8
        .value_kind:     global_buffer
      - .offset:         120
        .size:           4
        .value_kind:     by_value
      - .offset:         124
        .size:           4
        .value_kind:     by_value
      - .offset:         128
        .size:           4
        .value_kind:     by_value
      - .offset:         132
        .size:           4
        .value_kind:     by_value
      - .offset:         136
        .size:           4
        .value_kind:     by_value
      - .offset:         144
        .size:           4
        .value_kind:     hidden_block_count_x
      - .offset:         148
        .size:           4
        .value_kind:     hidden_block_count_y
      - .offset:         152
        .size:           4
        .value_kind:     hidden_block_count_z
      - .offset:         156
        .size:           2
        .value_kind:     hidden_group_size_x
      - .offset:         158
        .size:           2
        .value_kind:     hidden_group_size_y
      - .offset:         160
        .size:           2
        .value_kind:     hidden_group_size_z
      - .offset:         162
        .size:           2
        .value_kind:     hidden_remainder_x
      - .offset:         164
        .size:           2
        .value_kind:     hidden_remainder_y
      - .offset:         166
        .size:           2
        .value_kind:     hidden_remainder_z
      - .offset:         184
        .size:           8
        .value_kind:     hidden_global_offset_x
      - .offset:         192
        .size:           8
        .value_kind:     hidden_global_offset_y
      - .offset:         200
        .size:           8
        .value_kind:     hidden_global_offset_z
      - .offset:         208
        .size:           2
        .value_kind:     hidden_grid_dims
      - .offset:         264
        .size:           4
        .value_kind:     hidden_dynamic_lds_size
    .group_segment_fixed_size: 400
    .kernarg_segment_align: 8
    .kernarg_segment_size: 400
    .language:       OpenCL C
    .language_version:
      - 2
      - 0
    .max_flat_workgroup_size: 1024
    .name:           _ZN4vllm25paged_attention_v2_kernelIttLi192ELi16ELi128ELNS_18Fp8KVCacheDataTypeE0ELb1ELi512EEEvPfS2_PT_PKS3_PKT0_S9_ifPKiSB_iPKfiiiSD_SD_iiiii
    .private_segment_fixed_size: 0
    .sgpr_count:     59
    .sgpr_spill_count: 0
    .symbol:         _ZN4vllm25paged_attention_v2_kernelIttLi192ELi16ELi128ELNS_18Fp8KVCacheDataTypeE0ELb1ELi512EEEvPfS2_PT_PKS3_PKT0_S9_ifPKiSB_iPKfiiiSD_SD_iiiii.kd
    .uniform_work_group_size: 1
    .uses_dynamic_stack: false
    .vgpr_count:     90
    .vgpr_spill_count: 0
    .wavefront_size: 64
  - .agpr_count:     0
    .args:
      - .actual_access:  write_only
        .address_space:  global
        .offset:         0
        .size:           8
        .value_kind:     global_buffer
      - .actual_access:  write_only
        .address_space:  global
        .offset:         8
        .size:           8
        .value_kind:     global_buffer
      - .actual_access:  write_only
        .address_space:  global
        .offset:         16
        .size:           8
        .value_kind:     global_buffer
      - .actual_access:  read_only
        .address_space:  global
        .offset:         24
        .size:           8
        .value_kind:     global_buffer
      - .actual_access:  read_only
        .address_space:  global
        .offset:         32
        .size:           8
        .value_kind:     global_buffer
      - .actual_access:  read_only
        .address_space:  global
        .offset:         40
        .size:           8
        .value_kind:     global_buffer
      - .offset:         48
        .size:           4
        .value_kind:     by_value
      - .offset:         52
        .size:           4
        .value_kind:     by_value
      - .actual_access:  read_only
        .address_space:  global
        .offset:         56
        .size:           8
        .value_kind:     global_buffer
      - .actual_access:  read_only
        .address_space:  global
        .offset:         64
        .size:           8
        .value_kind:     global_buffer
      - .offset:         72
        .size:           4
        .value_kind:     by_value
      - .actual_access:  read_only
        .address_space:  global
        .offset:         80
        .size:           8
        .value_kind:     global_buffer
      - .offset:         88
        .size:           4
        .value_kind:     by_value
      - .offset:         92
        .size:           4
        .value_kind:     by_value
      - .offset:         96
        .size:           4
        .value_kind:     by_value
      - .address_space:  global
        .offset:         104
        .size:           8
        .value_kind:     global_buffer
      - .address_space:  global
        .offset:         112
        .size:           8
        .value_kind:     global_buffer
      - .offset:         120
        .size:           4
        .value_kind:     by_value
      - .offset:         124
        .size:           4
        .value_kind:     by_value
      - .offset:         128
        .size:           4
        .value_kind:     by_value
      - .offset:         132
        .size:           4
        .value_kind:     by_value
      - .offset:         136
        .size:           4
        .value_kind:     by_value
      - .offset:         144
        .size:           4
        .value_kind:     hidden_block_count_x
      - .offset:         148
        .size:           4
        .value_kind:     hidden_block_count_y
      - .offset:         152
        .size:           4
        .value_kind:     hidden_block_count_z
      - .offset:         156
        .size:           2
        .value_kind:     hidden_group_size_x
      - .offset:         158
        .size:           2
        .value_kind:     hidden_group_size_y
      - .offset:         160
        .size:           2
        .value_kind:     hidden_group_size_z
      - .offset:         162
        .size:           2
        .value_kind:     hidden_remainder_x
      - .offset:         164
        .size:           2
        .value_kind:     hidden_remainder_y
      - .offset:         166
        .size:           2
        .value_kind:     hidden_remainder_z
      - .offset:         184
        .size:           8
        .value_kind:     hidden_global_offset_x
      - .offset:         192
        .size:           8
        .value_kind:     hidden_global_offset_y
      - .offset:         200
        .size:           8
        .value_kind:     hidden_global_offset_z
      - .offset:         208
        .size:           2
        .value_kind:     hidden_grid_dims
      - .offset:         264
        .size:           4
        .value_kind:     hidden_dynamic_lds_size
    .group_segment_fixed_size: 528
    .kernarg_segment_align: 8
    .kernarg_segment_size: 400
    .language:       OpenCL C
    .language_version:
      - 2
      - 0
    .max_flat_workgroup_size: 1024
    .name:           _ZN4vllm25paged_attention_v2_kernelIttLi256ELi16ELi128ELNS_18Fp8KVCacheDataTypeE0ELb1ELi512EEEvPfS2_PT_PKS3_PKT0_S9_ifPKiSB_iPKfiiiSD_SD_iiiii
    .private_segment_fixed_size: 0
    .sgpr_count:     59
    .sgpr_spill_count: 0
    .symbol:         _ZN4vllm25paged_attention_v2_kernelIttLi256ELi16ELi128ELNS_18Fp8KVCacheDataTypeE0ELb1ELi512EEEvPfS2_PT_PKS3_PKT0_S9_ifPKiSB_iPKfiiiSD_SD_iiiii.kd
    .uniform_work_group_size: 1
    .uses_dynamic_stack: false
    .vgpr_count:     91
    .vgpr_spill_count: 0
    .wavefront_size: 64
  - .agpr_count:     0
    .args:
      - .actual_access:  write_only
        .address_space:  global
        .offset:         0
        .size:           8
        .value_kind:     global_buffer
      - .actual_access:  write_only
        .address_space:  global
        .offset:         8
        .size:           8
        .value_kind:     global_buffer
      - .actual_access:  write_only
        .address_space:  global
        .offset:         16
        .size:           8
        .value_kind:     global_buffer
      - .actual_access:  read_only
        .address_space:  global
        .offset:         24
        .size:           8
        .value_kind:     global_buffer
      - .actual_access:  read_only
        .address_space:  global
        .offset:         32
        .size:           8
        .value_kind:     global_buffer
      - .actual_access:  read_only
        .address_space:  global
        .offset:         40
        .size:           8
        .value_kind:     global_buffer
      - .offset:         48
        .size:           4
        .value_kind:     by_value
      - .offset:         52
        .size:           4
        .value_kind:     by_value
      - .actual_access:  read_only
        .address_space:  global
        .offset:         56
        .size:           8
        .value_kind:     global_buffer
      - .actual_access:  read_only
        .address_space:  global
        .offset:         64
        .size:           8
        .value_kind:     global_buffer
      - .offset:         72
        .size:           4
        .value_kind:     by_value
      - .actual_access:  read_only
        .address_space:  global
        .offset:         80
        .size:           8
        .value_kind:     global_buffer
      - .offset:         88
        .size:           4
        .value_kind:     by_value
      - .offset:         92
        .size:           4
        .value_kind:     by_value
      - .offset:         96
        .size:           4
        .value_kind:     by_value
      - .address_space:  global
        .offset:         104
        .size:           8
        .value_kind:     global_buffer
      - .address_space:  global
        .offset:         112
        .size:           8
        .value_kind:     global_buffer
      - .offset:         120
        .size:           4
        .value_kind:     by_value
      - .offset:         124
        .size:           4
        .value_kind:     by_value
      - .offset:         128
        .size:           4
        .value_kind:     by_value
      - .offset:         132
        .size:           4
        .value_kind:     by_value
      - .offset:         136
        .size:           4
        .value_kind:     by_value
      - .offset:         144
        .size:           4
        .value_kind:     hidden_block_count_x
      - .offset:         148
        .size:           4
        .value_kind:     hidden_block_count_y
      - .offset:         152
        .size:           4
        .value_kind:     hidden_block_count_z
      - .offset:         156
        .size:           2
        .value_kind:     hidden_group_size_x
      - .offset:         158
        .size:           2
        .value_kind:     hidden_group_size_y
      - .offset:         160
        .size:           2
        .value_kind:     hidden_group_size_z
      - .offset:         162
        .size:           2
        .value_kind:     hidden_remainder_x
      - .offset:         164
        .size:           2
        .value_kind:     hidden_remainder_y
      - .offset:         166
        .size:           2
        .value_kind:     hidden_remainder_z
      - .offset:         184
        .size:           8
        .value_kind:     hidden_global_offset_x
      - .offset:         192
        .size:           8
        .value_kind:     hidden_global_offset_y
      - .offset:         200
        .size:           8
        .value_kind:     hidden_global_offset_z
      - .offset:         208
        .size:           2
        .value_kind:     hidden_grid_dims
      - .offset:         264
        .size:           4
        .value_kind:     hidden_dynamic_lds_size
    .group_segment_fixed_size: 80
    .kernarg_segment_align: 8
    .kernarg_segment_size: 400
    .language:       OpenCL C
    .language_version:
      - 2
      - 0
    .max_flat_workgroup_size: 1024
    .name:           _ZN4vllm25paged_attention_v2_kernelIttLi32ELi16ELi128ELNS_18Fp8KVCacheDataTypeE0ELb0ELi512EEEvPfS2_PT_PKS3_PKT0_S9_ifPKiSB_iPKfiiiSD_SD_iiiii
    .private_segment_fixed_size: 0
    .sgpr_count:     48
    .sgpr_spill_count: 0
    .symbol:         _ZN4vllm25paged_attention_v2_kernelIttLi32ELi16ELi128ELNS_18Fp8KVCacheDataTypeE0ELb0ELi512EEEvPfS2_PT_PKS3_PKT0_S9_ifPKiSB_iPKfiiiSD_SD_iiiii.kd
    .uniform_work_group_size: 1
    .uses_dynamic_stack: false
    .vgpr_count:     32
    .vgpr_spill_count: 0
    .wavefront_size: 64
  - .agpr_count:     0
    .args:
      - .actual_access:  write_only
        .address_space:  global
        .offset:         0
        .size:           8
        .value_kind:     global_buffer
      - .actual_access:  write_only
        .address_space:  global
        .offset:         8
        .size:           8
        .value_kind:     global_buffer
      - .actual_access:  write_only
        .address_space:  global
        .offset:         16
        .size:           8
        .value_kind:     global_buffer
      - .actual_access:  read_only
        .address_space:  global
        .offset:         24
        .size:           8
        .value_kind:     global_buffer
      - .actual_access:  read_only
        .address_space:  global
        .offset:         32
        .size:           8
        .value_kind:     global_buffer
      - .actual_access:  read_only
        .address_space:  global
        .offset:         40
        .size:           8
        .value_kind:     global_buffer
      - .offset:         48
        .size:           4
        .value_kind:     by_value
      - .offset:         52
        .size:           4
        .value_kind:     by_value
      - .actual_access:  read_only
        .address_space:  global
        .offset:         56
        .size:           8
        .value_kind:     global_buffer
      - .actual_access:  read_only
        .address_space:  global
        .offset:         64
        .size:           8
        .value_kind:     global_buffer
      - .offset:         72
        .size:           4
        .value_kind:     by_value
      - .actual_access:  read_only
        .address_space:  global
        .offset:         80
        .size:           8
        .value_kind:     global_buffer
      - .offset:         88
        .size:           4
        .value_kind:     by_value
      - .offset:         92
        .size:           4
        .value_kind:     by_value
      - .offset:         96
        .size:           4
        .value_kind:     by_value
      - .address_space:  global
        .offset:         104
        .size:           8
        .value_kind:     global_buffer
      - .address_space:  global
        .offset:         112
        .size:           8
        .value_kind:     global_buffer
      - .offset:         120
        .size:           4
        .value_kind:     by_value
      - .offset:         124
        .size:           4
        .value_kind:     by_value
      - .offset:         128
        .size:           4
        .value_kind:     by_value
      - .offset:         132
        .size:           4
        .value_kind:     by_value
      - .offset:         136
        .size:           4
        .value_kind:     by_value
      - .offset:         144
        .size:           4
        .value_kind:     hidden_block_count_x
      - .offset:         148
        .size:           4
        .value_kind:     hidden_block_count_y
      - .offset:         152
        .size:           4
        .value_kind:     hidden_block_count_z
      - .offset:         156
        .size:           2
        .value_kind:     hidden_group_size_x
      - .offset:         158
        .size:           2
        .value_kind:     hidden_group_size_y
      - .offset:         160
        .size:           2
        .value_kind:     hidden_group_size_z
      - .offset:         162
        .size:           2
        .value_kind:     hidden_remainder_x
      - .offset:         164
        .size:           2
        .value_kind:     hidden_remainder_y
      - .offset:         166
        .size:           2
        .value_kind:     hidden_remainder_z
      - .offset:         184
        .size:           8
        .value_kind:     hidden_global_offset_x
      - .offset:         192
        .size:           8
        .value_kind:     hidden_global_offset_y
      - .offset:         200
        .size:           8
        .value_kind:     hidden_global_offset_z
      - .offset:         208
        .size:           2
        .value_kind:     hidden_grid_dims
      - .offset:         264
        .size:           4
        .value_kind:     hidden_dynamic_lds_size
    .group_segment_fixed_size: 144
    .kernarg_segment_align: 8
    .kernarg_segment_size: 400
    .language:       OpenCL C
    .language_version:
      - 2
      - 0
    .max_flat_workgroup_size: 1024
    .name:           _ZN4vllm25paged_attention_v2_kernelIttLi64ELi16ELi128ELNS_18Fp8KVCacheDataTypeE0ELb0ELi512EEEvPfS2_PT_PKS3_PKT0_S9_ifPKiSB_iPKfiiiSD_SD_iiiii
    .private_segment_fixed_size: 0
    .sgpr_count:     48
    .sgpr_spill_count: 0
    .symbol:         _ZN4vllm25paged_attention_v2_kernelIttLi64ELi16ELi128ELNS_18Fp8KVCacheDataTypeE0ELb0ELi512EEEvPfS2_PT_PKS3_PKT0_S9_ifPKiSB_iPKfiiiSD_SD_iiiii.kd
    .uniform_work_group_size: 1
    .uses_dynamic_stack: false
    .vgpr_count:     44
    .vgpr_spill_count: 0
    .wavefront_size: 64
  - .agpr_count:     0
    .args:
      - .actual_access:  write_only
        .address_space:  global
        .offset:         0
        .size:           8
        .value_kind:     global_buffer
      - .actual_access:  write_only
        .address_space:  global
        .offset:         8
        .size:           8
        .value_kind:     global_buffer
      - .actual_access:  write_only
        .address_space:  global
        .offset:         16
        .size:           8
        .value_kind:     global_buffer
      - .actual_access:  read_only
        .address_space:  global
        .offset:         24
        .size:           8
        .value_kind:     global_buffer
      - .actual_access:  read_only
        .address_space:  global
        .offset:         32
        .size:           8
        .value_kind:     global_buffer
      - .actual_access:  read_only
        .address_space:  global
        .offset:         40
        .size:           8
        .value_kind:     global_buffer
      - .offset:         48
        .size:           4
        .value_kind:     by_value
      - .offset:         52
        .size:           4
        .value_kind:     by_value
      - .actual_access:  read_only
        .address_space:  global
        .offset:         56
        .size:           8
        .value_kind:     global_buffer
      - .actual_access:  read_only
        .address_space:  global
        .offset:         64
        .size:           8
        .value_kind:     global_buffer
      - .offset:         72
        .size:           4
        .value_kind:     by_value
      - .actual_access:  read_only
        .address_space:  global
        .offset:         80
        .size:           8
        .value_kind:     global_buffer
      - .offset:         88
        .size:           4
        .value_kind:     by_value
      - .offset:         92
        .size:           4
        .value_kind:     by_value
      - .offset:         96
        .size:           4
        .value_kind:     by_value
      - .address_space:  global
        .offset:         104
        .size:           8
        .value_kind:     global_buffer
      - .address_space:  global
        .offset:         112
        .size:           8
        .value_kind:     global_buffer
      - .offset:         120
        .size:           4
        .value_kind:     by_value
      - .offset:         124
        .size:           4
        .value_kind:     by_value
      - .offset:         128
        .size:           4
        .value_kind:     by_value
      - .offset:         132
        .size:           4
        .value_kind:     by_value
      - .offset:         136
        .size:           4
        .value_kind:     by_value
      - .offset:         144
        .size:           4
        .value_kind:     hidden_block_count_x
      - .offset:         148
        .size:           4
        .value_kind:     hidden_block_count_y
      - .offset:         152
        .size:           4
        .value_kind:     hidden_block_count_z
      - .offset:         156
        .size:           2
        .value_kind:     hidden_group_size_x
      - .offset:         158
        .size:           2
        .value_kind:     hidden_group_size_y
      - .offset:         160
        .size:           2
        .value_kind:     hidden_group_size_z
      - .offset:         162
        .size:           2
        .value_kind:     hidden_remainder_x
      - .offset:         164
        .size:           2
        .value_kind:     hidden_remainder_y
      - .offset:         166
        .size:           2
        .value_kind:     hidden_remainder_z
      - .offset:         184
        .size:           8
        .value_kind:     hidden_global_offset_x
      - .offset:         192
        .size:           8
        .value_kind:     hidden_global_offset_y
      - .offset:         200
        .size:           8
        .value_kind:     hidden_global_offset_z
      - .offset:         208
        .size:           2
        .value_kind:     hidden_grid_dims
      - .offset:         264
        .size:           4
        .value_kind:     hidden_dynamic_lds_size
    .group_segment_fixed_size: 176
    .kernarg_segment_align: 8
    .kernarg_segment_size: 400
    .language:       OpenCL C
    .language_version:
      - 2
      - 0
    .max_flat_workgroup_size: 1024
    .name:           _ZN4vllm25paged_attention_v2_kernelIttLi80ELi16ELi128ELNS_18Fp8KVCacheDataTypeE0ELb0ELi512EEEvPfS2_PT_PKS3_PKT0_S9_ifPKiSB_iPKfiiiSD_SD_iiiii
    .private_segment_fixed_size: 0
    .sgpr_count:     48
    .sgpr_spill_count: 0
    .symbol:         _ZN4vllm25paged_attention_v2_kernelIttLi80ELi16ELi128ELNS_18Fp8KVCacheDataTypeE0ELb0ELi512EEEvPfS2_PT_PKS3_PKT0_S9_ifPKiSB_iPKfiiiSD_SD_iiiii.kd
    .uniform_work_group_size: 1
    .uses_dynamic_stack: false
    .vgpr_count:     50
    .vgpr_spill_count: 0
    .wavefront_size: 64
  - .agpr_count:     0
    .args:
      - .actual_access:  write_only
        .address_space:  global
        .offset:         0
        .size:           8
        .value_kind:     global_buffer
      - .actual_access:  write_only
        .address_space:  global
        .offset:         8
        .size:           8
        .value_kind:     global_buffer
      - .actual_access:  write_only
        .address_space:  global
        .offset:         16
        .size:           8
        .value_kind:     global_buffer
      - .actual_access:  read_only
        .address_space:  global
        .offset:         24
        .size:           8
        .value_kind:     global_buffer
      - .actual_access:  read_only
        .address_space:  global
        .offset:         32
        .size:           8
        .value_kind:     global_buffer
      - .actual_access:  read_only
        .address_space:  global
        .offset:         40
        .size:           8
        .value_kind:     global_buffer
      - .offset:         48
        .size:           4
        .value_kind:     by_value
      - .offset:         52
        .size:           4
        .value_kind:     by_value
      - .actual_access:  read_only
        .address_space:  global
        .offset:         56
        .size:           8
        .value_kind:     global_buffer
      - .actual_access:  read_only
        .address_space:  global
        .offset:         64
        .size:           8
        .value_kind:     global_buffer
      - .offset:         72
        .size:           4
        .value_kind:     by_value
      - .actual_access:  read_only
        .address_space:  global
        .offset:         80
        .size:           8
        .value_kind:     global_buffer
      - .offset:         88
        .size:           4
        .value_kind:     by_value
      - .offset:         92
        .size:           4
        .value_kind:     by_value
      - .offset:         96
        .size:           4
        .value_kind:     by_value
      - .address_space:  global
        .offset:         104
        .size:           8
        .value_kind:     global_buffer
      - .address_space:  global
        .offset:         112
        .size:           8
        .value_kind:     global_buffer
      - .offset:         120
        .size:           4
        .value_kind:     by_value
      - .offset:         124
        .size:           4
        .value_kind:     by_value
      - .offset:         128
        .size:           4
        .value_kind:     by_value
      - .offset:         132
        .size:           4
        .value_kind:     by_value
      - .offset:         136
        .size:           4
        .value_kind:     by_value
      - .offset:         144
        .size:           4
        .value_kind:     hidden_block_count_x
      - .offset:         148
        .size:           4
        .value_kind:     hidden_block_count_y
      - .offset:         152
        .size:           4
        .value_kind:     hidden_block_count_z
      - .offset:         156
        .size:           2
        .value_kind:     hidden_group_size_x
      - .offset:         158
        .size:           2
        .value_kind:     hidden_group_size_y
      - .offset:         160
        .size:           2
        .value_kind:     hidden_group_size_z
      - .offset:         162
        .size:           2
        .value_kind:     hidden_remainder_x
      - .offset:         164
        .size:           2
        .value_kind:     hidden_remainder_y
      - .offset:         166
        .size:           2
        .value_kind:     hidden_remainder_z
      - .offset:         184
        .size:           8
        .value_kind:     hidden_global_offset_x
      - .offset:         192
        .size:           8
        .value_kind:     hidden_global_offset_y
      - .offset:         200
        .size:           8
        .value_kind:     hidden_global_offset_z
      - .offset:         208
        .size:           2
        .value_kind:     hidden_grid_dims
      - .offset:         264
        .size:           4
        .value_kind:     hidden_dynamic_lds_size
    .group_segment_fixed_size: 208
    .kernarg_segment_align: 8
    .kernarg_segment_size: 400
    .language:       OpenCL C
    .language_version:
      - 2
      - 0
    .max_flat_workgroup_size: 1024
    .name:           _ZN4vllm25paged_attention_v2_kernelIttLi96ELi16ELi128ELNS_18Fp8KVCacheDataTypeE0ELb0ELi512EEEvPfS2_PT_PKS3_PKT0_S9_ifPKiSB_iPKfiiiSD_SD_iiiii
    .private_segment_fixed_size: 0
    .sgpr_count:     48
    .sgpr_spill_count: 0
    .symbol:         _ZN4vllm25paged_attention_v2_kernelIttLi96ELi16ELi128ELNS_18Fp8KVCacheDataTypeE0ELb0ELi512EEEvPfS2_PT_PKS3_PKT0_S9_ifPKiSB_iPKfiiiSD_SD_iiiii.kd
    .uniform_work_group_size: 1
    .uses_dynamic_stack: false
    .vgpr_count:     56
    .vgpr_spill_count: 0
    .wavefront_size: 64
  - .agpr_count:     0
    .args:
      - .actual_access:  write_only
        .address_space:  global
        .offset:         0
        .size:           8
        .value_kind:     global_buffer
      - .actual_access:  write_only
        .address_space:  global
        .offset:         8
        .size:           8
        .value_kind:     global_buffer
      - .actual_access:  write_only
        .address_space:  global
        .offset:         16
        .size:           8
        .value_kind:     global_buffer
      - .actual_access:  read_only
        .address_space:  global
        .offset:         24
        .size:           8
        .value_kind:     global_buffer
      - .actual_access:  read_only
        .address_space:  global
        .offset:         32
        .size:           8
        .value_kind:     global_buffer
      - .actual_access:  read_only
        .address_space:  global
        .offset:         40
        .size:           8
        .value_kind:     global_buffer
      - .offset:         48
        .size:           4
        .value_kind:     by_value
      - .offset:         52
        .size:           4
        .value_kind:     by_value
      - .actual_access:  read_only
        .address_space:  global
        .offset:         56
        .size:           8
        .value_kind:     global_buffer
      - .actual_access:  read_only
        .address_space:  global
        .offset:         64
        .size:           8
        .value_kind:     global_buffer
      - .offset:         72
        .size:           4
        .value_kind:     by_value
      - .actual_access:  read_only
        .address_space:  global
        .offset:         80
        .size:           8
        .value_kind:     global_buffer
      - .offset:         88
        .size:           4
        .value_kind:     by_value
      - .offset:         92
        .size:           4
        .value_kind:     by_value
      - .offset:         96
        .size:           4
        .value_kind:     by_value
      - .address_space:  global
        .offset:         104
        .size:           8
        .value_kind:     global_buffer
      - .address_space:  global
        .offset:         112
        .size:           8
        .value_kind:     global_buffer
      - .offset:         120
        .size:           4
        .value_kind:     by_value
      - .offset:         124
        .size:           4
        .value_kind:     by_value
      - .offset:         128
        .size:           4
        .value_kind:     by_value
      - .offset:         132
        .size:           4
        .value_kind:     by_value
      - .offset:         136
        .size:           4
        .value_kind:     by_value
      - .offset:         144
        .size:           4
        .value_kind:     hidden_block_count_x
      - .offset:         148
        .size:           4
        .value_kind:     hidden_block_count_y
      - .offset:         152
        .size:           4
        .value_kind:     hidden_block_count_z
      - .offset:         156
        .size:           2
        .value_kind:     hidden_group_size_x
      - .offset:         158
        .size:           2
        .value_kind:     hidden_group_size_y
      - .offset:         160
        .size:           2
        .value_kind:     hidden_group_size_z
      - .offset:         162
        .size:           2
        .value_kind:     hidden_remainder_x
      - .offset:         164
        .size:           2
        .value_kind:     hidden_remainder_y
      - .offset:         166
        .size:           2
        .value_kind:     hidden_remainder_z
      - .offset:         184
        .size:           8
        .value_kind:     hidden_global_offset_x
      - .offset:         192
        .size:           8
        .value_kind:     hidden_global_offset_y
      - .offset:         200
        .size:           8
        .value_kind:     hidden_global_offset_z
      - .offset:         208
        .size:           2
        .value_kind:     hidden_grid_dims
      - .offset:         264
        .size:           4
        .value_kind:     hidden_dynamic_lds_size
    .group_segment_fixed_size: 240
    .kernarg_segment_align: 8
    .kernarg_segment_size: 400
    .language:       OpenCL C
    .language_version:
      - 2
      - 0
    .max_flat_workgroup_size: 1024
    .name:           _ZN4vllm25paged_attention_v2_kernelIttLi112ELi16ELi128ELNS_18Fp8KVCacheDataTypeE0ELb0ELi512EEEvPfS2_PT_PKS3_PKT0_S9_ifPKiSB_iPKfiiiSD_SD_iiiii
    .private_segment_fixed_size: 0
    .sgpr_count:     48
    .sgpr_spill_count: 0
    .symbol:         _ZN4vllm25paged_attention_v2_kernelIttLi112ELi16ELi128ELNS_18Fp8KVCacheDataTypeE0ELb0ELi512EEEvPfS2_PT_PKS3_PKT0_S9_ifPKiSB_iPKfiiiSD_SD_iiiii.kd
    .uniform_work_group_size: 1
    .uses_dynamic_stack: false
    .vgpr_count:     62
    .vgpr_spill_count: 0
    .wavefront_size: 64
  - .agpr_count:     0
    .args:
      - .actual_access:  write_only
        .address_space:  global
        .offset:         0
        .size:           8
        .value_kind:     global_buffer
      - .actual_access:  write_only
        .address_space:  global
        .offset:         8
        .size:           8
        .value_kind:     global_buffer
      - .actual_access:  write_only
        .address_space:  global
        .offset:         16
        .size:           8
        .value_kind:     global_buffer
      - .actual_access:  read_only
        .address_space:  global
        .offset:         24
        .size:           8
        .value_kind:     global_buffer
      - .actual_access:  read_only
        .address_space:  global
        .offset:         32
        .size:           8
        .value_kind:     global_buffer
      - .actual_access:  read_only
        .address_space:  global
        .offset:         40
        .size:           8
        .value_kind:     global_buffer
      - .offset:         48
        .size:           4
        .value_kind:     by_value
      - .offset:         52
        .size:           4
        .value_kind:     by_value
      - .actual_access:  read_only
        .address_space:  global
        .offset:         56
        .size:           8
        .value_kind:     global_buffer
      - .actual_access:  read_only
        .address_space:  global
        .offset:         64
        .size:           8
        .value_kind:     global_buffer
      - .offset:         72
        .size:           4
        .value_kind:     by_value
      - .actual_access:  read_only
        .address_space:  global
        .offset:         80
        .size:           8
        .value_kind:     global_buffer
      - .offset:         88
        .size:           4
        .value_kind:     by_value
      - .offset:         92
        .size:           4
        .value_kind:     by_value
      - .offset:         96
        .size:           4
        .value_kind:     by_value
      - .address_space:  global
        .offset:         104
        .size:           8
        .value_kind:     global_buffer
      - .address_space:  global
        .offset:         112
        .size:           8
        .value_kind:     global_buffer
      - .offset:         120
        .size:           4
        .value_kind:     by_value
      - .offset:         124
        .size:           4
        .value_kind:     by_value
      - .offset:         128
        .size:           4
        .value_kind:     by_value
      - .offset:         132
        .size:           4
        .value_kind:     by_value
      - .offset:         136
        .size:           4
        .value_kind:     by_value
      - .offset:         144
        .size:           4
        .value_kind:     hidden_block_count_x
      - .offset:         148
        .size:           4
        .value_kind:     hidden_block_count_y
      - .offset:         152
        .size:           4
        .value_kind:     hidden_block_count_z
      - .offset:         156
        .size:           2
        .value_kind:     hidden_group_size_x
      - .offset:         158
        .size:           2
        .value_kind:     hidden_group_size_y
      - .offset:         160
        .size:           2
        .value_kind:     hidden_group_size_z
      - .offset:         162
        .size:           2
        .value_kind:     hidden_remainder_x
      - .offset:         164
        .size:           2
        .value_kind:     hidden_remainder_y
      - .offset:         166
        .size:           2
        .value_kind:     hidden_remainder_z
      - .offset:         184
        .size:           8
        .value_kind:     hidden_global_offset_x
      - .offset:         192
        .size:           8
        .value_kind:     hidden_global_offset_y
      - .offset:         200
        .size:           8
        .value_kind:     hidden_global_offset_z
      - .offset:         208
        .size:           2
        .value_kind:     hidden_grid_dims
      - .offset:         264
        .size:           4
        .value_kind:     hidden_dynamic_lds_size
    .group_segment_fixed_size: 256
    .kernarg_segment_align: 8
    .kernarg_segment_size: 400
    .language:       OpenCL C
    .language_version:
      - 2
      - 0
    .max_flat_workgroup_size: 1024
    .name:           _ZN4vllm25paged_attention_v2_kernelIttLi120ELi16ELi128ELNS_18Fp8KVCacheDataTypeE0ELb0ELi512EEEvPfS2_PT_PKS3_PKT0_S9_ifPKiSB_iPKfiiiSD_SD_iiiii
    .private_segment_fixed_size: 0
    .sgpr_count:     48
    .sgpr_spill_count: 0
    .symbol:         _ZN4vllm25paged_attention_v2_kernelIttLi120ELi16ELi128ELNS_18Fp8KVCacheDataTypeE0ELb0ELi512EEEvPfS2_PT_PKS3_PKT0_S9_ifPKiSB_iPKfiiiSD_SD_iiiii.kd
    .uniform_work_group_size: 1
    .uses_dynamic_stack: false
    .vgpr_count:     66
    .vgpr_spill_count: 0
    .wavefront_size: 64
  - .agpr_count:     0
    .args:
      - .actual_access:  write_only
        .address_space:  global
        .offset:         0
        .size:           8
        .value_kind:     global_buffer
      - .actual_access:  write_only
        .address_space:  global
        .offset:         8
        .size:           8
        .value_kind:     global_buffer
      - .actual_access:  write_only
        .address_space:  global
        .offset:         16
        .size:           8
        .value_kind:     global_buffer
      - .actual_access:  read_only
        .address_space:  global
        .offset:         24
        .size:           8
        .value_kind:     global_buffer
      - .actual_access:  read_only
        .address_space:  global
        .offset:         32
        .size:           8
        .value_kind:     global_buffer
      - .actual_access:  read_only
        .address_space:  global
        .offset:         40
        .size:           8
        .value_kind:     global_buffer
      - .offset:         48
        .size:           4
        .value_kind:     by_value
      - .offset:         52
        .size:           4
        .value_kind:     by_value
      - .actual_access:  read_only
        .address_space:  global
        .offset:         56
        .size:           8
        .value_kind:     global_buffer
      - .actual_access:  read_only
        .address_space:  global
        .offset:         64
        .size:           8
        .value_kind:     global_buffer
      - .offset:         72
        .size:           4
        .value_kind:     by_value
      - .actual_access:  read_only
        .address_space:  global
        .offset:         80
        .size:           8
        .value_kind:     global_buffer
      - .offset:         88
        .size:           4
        .value_kind:     by_value
      - .offset:         92
        .size:           4
        .value_kind:     by_value
      - .offset:         96
        .size:           4
        .value_kind:     by_value
      - .address_space:  global
        .offset:         104
        .size:           8
        .value_kind:     global_buffer
      - .address_space:  global
        .offset:         112
        .size:           8
        .value_kind:     global_buffer
      - .offset:         120
        .size:           4
        .value_kind:     by_value
      - .offset:         124
        .size:           4
        .value_kind:     by_value
      - .offset:         128
        .size:           4
        .value_kind:     by_value
      - .offset:         132
        .size:           4
        .value_kind:     by_value
      - .offset:         136
        .size:           4
        .value_kind:     by_value
      - .offset:         144
        .size:           4
        .value_kind:     hidden_block_count_x
      - .offset:         148
        .size:           4
        .value_kind:     hidden_block_count_y
      - .offset:         152
        .size:           4
        .value_kind:     hidden_block_count_z
      - .offset:         156
        .size:           2
        .value_kind:     hidden_group_size_x
      - .offset:         158
        .size:           2
        .value_kind:     hidden_group_size_y
      - .offset:         160
        .size:           2
        .value_kind:     hidden_group_size_z
      - .offset:         162
        .size:           2
        .value_kind:     hidden_remainder_x
      - .offset:         164
        .size:           2
        .value_kind:     hidden_remainder_y
      - .offset:         166
        .size:           2
        .value_kind:     hidden_remainder_z
      - .offset:         184
        .size:           8
        .value_kind:     hidden_global_offset_x
      - .offset:         192
        .size:           8
        .value_kind:     hidden_global_offset_y
      - .offset:         200
        .size:           8
        .value_kind:     hidden_global_offset_z
      - .offset:         208
        .size:           2
        .value_kind:     hidden_grid_dims
      - .offset:         264
        .size:           4
        .value_kind:     hidden_dynamic_lds_size
    .group_segment_fixed_size: 272
    .kernarg_segment_align: 8
    .kernarg_segment_size: 400
    .language:       OpenCL C
    .language_version:
      - 2
      - 0
    .max_flat_workgroup_size: 1024
    .name:           _ZN4vllm25paged_attention_v2_kernelIttLi128ELi16ELi128ELNS_18Fp8KVCacheDataTypeE0ELb0ELi512EEEvPfS2_PT_PKS3_PKT0_S9_ifPKiSB_iPKfiiiSD_SD_iiiii
    .private_segment_fixed_size: 0
    .sgpr_count:     50
    .sgpr_spill_count: 0
    .symbol:         _ZN4vllm25paged_attention_v2_kernelIttLi128ELi16ELi128ELNS_18Fp8KVCacheDataTypeE0ELb0ELi512EEEvPfS2_PT_PKS3_PKT0_S9_ifPKiSB_iPKfiiiSD_SD_iiiii.kd
    .uniform_work_group_size: 1
    .uses_dynamic_stack: false
    .vgpr_count:     68
    .vgpr_spill_count: 0
    .wavefront_size: 64
  - .agpr_count:     0
    .args:
      - .actual_access:  write_only
        .address_space:  global
        .offset:         0
        .size:           8
        .value_kind:     global_buffer
      - .actual_access:  write_only
        .address_space:  global
        .offset:         8
        .size:           8
        .value_kind:     global_buffer
      - .actual_access:  write_only
        .address_space:  global
        .offset:         16
        .size:           8
        .value_kind:     global_buffer
      - .actual_access:  read_only
        .address_space:  global
        .offset:         24
        .size:           8
        .value_kind:     global_buffer
      - .actual_access:  read_only
        .address_space:  global
        .offset:         32
        .size:           8
        .value_kind:     global_buffer
      - .actual_access:  read_only
        .address_space:  global
        .offset:         40
        .size:           8
        .value_kind:     global_buffer
      - .offset:         48
        .size:           4
        .value_kind:     by_value
      - .offset:         52
        .size:           4
        .value_kind:     by_value
      - .actual_access:  read_only
        .address_space:  global
        .offset:         56
        .size:           8
        .value_kind:     global_buffer
      - .actual_access:  read_only
        .address_space:  global
        .offset:         64
        .size:           8
        .value_kind:     global_buffer
      - .offset:         72
        .size:           4
        .value_kind:     by_value
      - .actual_access:  read_only
        .address_space:  global
        .offset:         80
        .size:           8
        .value_kind:     global_buffer
      - .offset:         88
        .size:           4
        .value_kind:     by_value
      - .offset:         92
        .size:           4
        .value_kind:     by_value
      - .offset:         96
        .size:           4
        .value_kind:     by_value
      - .address_space:  global
        .offset:         104
        .size:           8
        .value_kind:     global_buffer
      - .address_space:  global
        .offset:         112
        .size:           8
        .value_kind:     global_buffer
      - .offset:         120
        .size:           4
        .value_kind:     by_value
      - .offset:         124
        .size:           4
        .value_kind:     by_value
      - .offset:         128
        .size:           4
        .value_kind:     by_value
      - .offset:         132
        .size:           4
        .value_kind:     by_value
      - .offset:         136
        .size:           4
        .value_kind:     by_value
      - .offset:         144
        .size:           4
        .value_kind:     hidden_block_count_x
      - .offset:         148
        .size:           4
        .value_kind:     hidden_block_count_y
      - .offset:         152
        .size:           4
        .value_kind:     hidden_block_count_z
      - .offset:         156
        .size:           2
        .value_kind:     hidden_group_size_x
      - .offset:         158
        .size:           2
        .value_kind:     hidden_group_size_y
      - .offset:         160
        .size:           2
        .value_kind:     hidden_group_size_z
      - .offset:         162
        .size:           2
        .value_kind:     hidden_remainder_x
      - .offset:         164
        .size:           2
        .value_kind:     hidden_remainder_y
      - .offset:         166
        .size:           2
        .value_kind:     hidden_remainder_z
      - .offset:         184
        .size:           8
        .value_kind:     hidden_global_offset_x
      - .offset:         192
        .size:           8
        .value_kind:     hidden_global_offset_y
      - .offset:         200
        .size:           8
        .value_kind:     hidden_global_offset_z
      - .offset:         208
        .size:           2
        .value_kind:     hidden_grid_dims
      - .offset:         264
        .size:           4
        .value_kind:     hidden_dynamic_lds_size
    .group_segment_fixed_size: 400
    .kernarg_segment_align: 8
    .kernarg_segment_size: 400
    .language:       OpenCL C
    .language_version:
      - 2
      - 0
    .max_flat_workgroup_size: 1024
    .name:           _ZN4vllm25paged_attention_v2_kernelIttLi192ELi16ELi128ELNS_18Fp8KVCacheDataTypeE0ELb0ELi512EEEvPfS2_PT_PKS3_PKT0_S9_ifPKiSB_iPKfiiiSD_SD_iiiii
    .private_segment_fixed_size: 0
    .sgpr_count:     49
    .sgpr_spill_count: 0
    .symbol:         _ZN4vllm25paged_attention_v2_kernelIttLi192ELi16ELi128ELNS_18Fp8KVCacheDataTypeE0ELb0ELi512EEEvPfS2_PT_PKS3_PKT0_S9_ifPKiSB_iPKfiiiSD_SD_iiiii.kd
    .uniform_work_group_size: 1
    .uses_dynamic_stack: false
    .vgpr_count:     62
    .vgpr_spill_count: 0
    .wavefront_size: 64
  - .agpr_count:     0
    .args:
      - .actual_access:  write_only
        .address_space:  global
        .offset:         0
        .size:           8
        .value_kind:     global_buffer
      - .actual_access:  write_only
        .address_space:  global
        .offset:         8
        .size:           8
        .value_kind:     global_buffer
      - .actual_access:  write_only
        .address_space:  global
        .offset:         16
        .size:           8
        .value_kind:     global_buffer
      - .actual_access:  read_only
        .address_space:  global
        .offset:         24
        .size:           8
        .value_kind:     global_buffer
      - .actual_access:  read_only
        .address_space:  global
        .offset:         32
        .size:           8
        .value_kind:     global_buffer
      - .actual_access:  read_only
        .address_space:  global
        .offset:         40
        .size:           8
        .value_kind:     global_buffer
      - .offset:         48
        .size:           4
        .value_kind:     by_value
      - .offset:         52
        .size:           4
        .value_kind:     by_value
      - .actual_access:  read_only
        .address_space:  global
        .offset:         56
        .size:           8
        .value_kind:     global_buffer
      - .actual_access:  read_only
        .address_space:  global
        .offset:         64
        .size:           8
        .value_kind:     global_buffer
      - .offset:         72
        .size:           4
        .value_kind:     by_value
      - .actual_access:  read_only
        .address_space:  global
        .offset:         80
        .size:           8
        .value_kind:     global_buffer
      - .offset:         88
        .size:           4
        .value_kind:     by_value
      - .offset:         92
        .size:           4
        .value_kind:     by_value
      - .offset:         96
        .size:           4
        .value_kind:     by_value
      - .address_space:  global
        .offset:         104
        .size:           8
        .value_kind:     global_buffer
      - .address_space:  global
        .offset:         112
        .size:           8
        .value_kind:     global_buffer
      - .offset:         120
        .size:           4
        .value_kind:     by_value
      - .offset:         124
        .size:           4
        .value_kind:     by_value
      - .offset:         128
        .size:           4
        .value_kind:     by_value
      - .offset:         132
        .size:           4
        .value_kind:     by_value
      - .offset:         136
        .size:           4
        .value_kind:     by_value
      - .offset:         144
        .size:           4
        .value_kind:     hidden_block_count_x
      - .offset:         148
        .size:           4
        .value_kind:     hidden_block_count_y
      - .offset:         152
        .size:           4
        .value_kind:     hidden_block_count_z
      - .offset:         156
        .size:           2
        .value_kind:     hidden_group_size_x
      - .offset:         158
        .size:           2
        .value_kind:     hidden_group_size_y
      - .offset:         160
        .size:           2
        .value_kind:     hidden_group_size_z
      - .offset:         162
        .size:           2
        .value_kind:     hidden_remainder_x
      - .offset:         164
        .size:           2
        .value_kind:     hidden_remainder_y
      - .offset:         166
        .size:           2
        .value_kind:     hidden_remainder_z
      - .offset:         184
        .size:           8
        .value_kind:     hidden_global_offset_x
      - .offset:         192
        .size:           8
        .value_kind:     hidden_global_offset_y
      - .offset:         200
        .size:           8
        .value_kind:     hidden_global_offset_z
      - .offset:         208
        .size:           2
        .value_kind:     hidden_grid_dims
      - .offset:         264
        .size:           4
        .value_kind:     hidden_dynamic_lds_size
    .group_segment_fixed_size: 528
    .kernarg_segment_align: 8
    .kernarg_segment_size: 400
    .language:       OpenCL C
    .language_version:
      - 2
      - 0
    .max_flat_workgroup_size: 1024
    .name:           _ZN4vllm25paged_attention_v2_kernelIttLi256ELi16ELi128ELNS_18Fp8KVCacheDataTypeE0ELb0ELi512EEEvPfS2_PT_PKS3_PKT0_S9_ifPKiSB_iPKfiiiSD_SD_iiiii
    .private_segment_fixed_size: 0
    .sgpr_count:     49
    .sgpr_spill_count: 0
    .symbol:         _ZN4vllm25paged_attention_v2_kernelIttLi256ELi16ELi128ELNS_18Fp8KVCacheDataTypeE0ELb0ELi512EEEvPfS2_PT_PKS3_PKT0_S9_ifPKiSB_iPKfiiiSD_SD_iiiii.kd
    .uniform_work_group_size: 1
    .uses_dynamic_stack: false
    .vgpr_count:     63
    .vgpr_spill_count: 0
    .wavefront_size: 64
  - .agpr_count:     0
    .args:
      - .actual_access:  write_only
        .address_space:  global
        .offset:         0
        .size:           8
        .value_kind:     global_buffer
      - .actual_access:  write_only
        .address_space:  global
        .offset:         8
        .size:           8
        .value_kind:     global_buffer
      - .actual_access:  write_only
        .address_space:  global
        .offset:         16
        .size:           8
        .value_kind:     global_buffer
      - .actual_access:  read_only
        .address_space:  global
        .offset:         24
        .size:           8
        .value_kind:     global_buffer
      - .actual_access:  read_only
        .address_space:  global
        .offset:         32
        .size:           8
        .value_kind:     global_buffer
      - .actual_access:  read_only
        .address_space:  global
        .offset:         40
        .size:           8
        .value_kind:     global_buffer
      - .offset:         48
        .size:           4
        .value_kind:     by_value
      - .offset:         52
        .size:           4
        .value_kind:     by_value
      - .actual_access:  read_only
        .address_space:  global
        .offset:         56
        .size:           8
        .value_kind:     global_buffer
      - .actual_access:  read_only
        .address_space:  global
        .offset:         64
        .size:           8
        .value_kind:     global_buffer
      - .offset:         72
        .size:           4
        .value_kind:     by_value
      - .actual_access:  read_only
        .address_space:  global
        .offset:         80
        .size:           8
        .value_kind:     global_buffer
      - .offset:         88
        .size:           4
        .value_kind:     by_value
      - .offset:         92
        .size:           4
        .value_kind:     by_value
      - .offset:         96
        .size:           4
        .value_kind:     by_value
      - .address_space:  global
        .offset:         104
        .size:           8
        .value_kind:     global_buffer
      - .address_space:  global
        .offset:         112
        .size:           8
        .value_kind:     global_buffer
      - .offset:         120
        .size:           4
        .value_kind:     by_value
      - .offset:         124
        .size:           4
        .value_kind:     by_value
      - .offset:         128
        .size:           4
        .value_kind:     by_value
      - .offset:         132
        .size:           4
        .value_kind:     by_value
      - .offset:         136
        .size:           4
        .value_kind:     by_value
      - .offset:         144
        .size:           4
        .value_kind:     hidden_block_count_x
      - .offset:         148
        .size:           4
        .value_kind:     hidden_block_count_y
      - .offset:         152
        .size:           4
        .value_kind:     hidden_block_count_z
      - .offset:         156
        .size:           2
        .value_kind:     hidden_group_size_x
      - .offset:         158
        .size:           2
        .value_kind:     hidden_group_size_y
      - .offset:         160
        .size:           2
        .value_kind:     hidden_group_size_z
      - .offset:         162
        .size:           2
        .value_kind:     hidden_remainder_x
      - .offset:         164
        .size:           2
        .value_kind:     hidden_remainder_y
      - .offset:         166
        .size:           2
        .value_kind:     hidden_remainder_z
      - .offset:         184
        .size:           8
        .value_kind:     hidden_global_offset_x
      - .offset:         192
        .size:           8
        .value_kind:     hidden_global_offset_y
      - .offset:         200
        .size:           8
        .value_kind:     hidden_global_offset_z
      - .offset:         208
        .size:           2
        .value_kind:     hidden_grid_dims
      - .offset:         264
        .size:           4
        .value_kind:     hidden_dynamic_lds_size
    .group_segment_fixed_size: 80
    .kernarg_segment_align: 8
    .kernarg_segment_size: 400
    .language:       OpenCL C
    .language_version:
      - 2
      - 0
    .max_flat_workgroup_size: 1024
    .name:           _ZN4vllm25paged_attention_v2_kernelIttLi32ELi32ELi128ELNS_18Fp8KVCacheDataTypeE0ELb1ELi512EEEvPfS2_PT_PKS3_PKT0_S9_ifPKiSB_iPKfiiiSD_SD_iiiii
    .private_segment_fixed_size: 0
    .sgpr_count:     58
    .sgpr_spill_count: 0
    .symbol:         _ZN4vllm25paged_attention_v2_kernelIttLi32ELi32ELi128ELNS_18Fp8KVCacheDataTypeE0ELb1ELi512EEEvPfS2_PT_PKS3_PKT0_S9_ifPKiSB_iPKfiiiSD_SD_iiiii.kd
    .uniform_work_group_size: 1
    .uses_dynamic_stack: false
    .vgpr_count:     50
    .vgpr_spill_count: 0
    .wavefront_size: 64
  - .agpr_count:     0
    .args:
      - .actual_access:  write_only
        .address_space:  global
        .offset:         0
        .size:           8
        .value_kind:     global_buffer
      - .actual_access:  write_only
        .address_space:  global
        .offset:         8
        .size:           8
        .value_kind:     global_buffer
      - .actual_access:  write_only
        .address_space:  global
        .offset:         16
        .size:           8
        .value_kind:     global_buffer
      - .actual_access:  read_only
        .address_space:  global
        .offset:         24
        .size:           8
        .value_kind:     global_buffer
      - .actual_access:  read_only
        .address_space:  global
        .offset:         32
        .size:           8
        .value_kind:     global_buffer
      - .actual_access:  read_only
        .address_space:  global
        .offset:         40
        .size:           8
        .value_kind:     global_buffer
      - .offset:         48
        .size:           4
        .value_kind:     by_value
      - .offset:         52
        .size:           4
        .value_kind:     by_value
      - .actual_access:  read_only
        .address_space:  global
        .offset:         56
        .size:           8
        .value_kind:     global_buffer
      - .actual_access:  read_only
        .address_space:  global
        .offset:         64
        .size:           8
        .value_kind:     global_buffer
      - .offset:         72
        .size:           4
        .value_kind:     by_value
      - .actual_access:  read_only
        .address_space:  global
        .offset:         80
        .size:           8
        .value_kind:     global_buffer
      - .offset:         88
        .size:           4
        .value_kind:     by_value
      - .offset:         92
        .size:           4
        .value_kind:     by_value
      - .offset:         96
        .size:           4
        .value_kind:     by_value
      - .address_space:  global
        .offset:         104
        .size:           8
        .value_kind:     global_buffer
      - .address_space:  global
        .offset:         112
        .size:           8
        .value_kind:     global_buffer
      - .offset:         120
        .size:           4
        .value_kind:     by_value
      - .offset:         124
        .size:           4
        .value_kind:     by_value
      - .offset:         128
        .size:           4
        .value_kind:     by_value
      - .offset:         132
        .size:           4
        .value_kind:     by_value
      - .offset:         136
        .size:           4
        .value_kind:     by_value
      - .offset:         144
        .size:           4
        .value_kind:     hidden_block_count_x
      - .offset:         148
        .size:           4
        .value_kind:     hidden_block_count_y
      - .offset:         152
        .size:           4
        .value_kind:     hidden_block_count_z
      - .offset:         156
        .size:           2
        .value_kind:     hidden_group_size_x
      - .offset:         158
        .size:           2
        .value_kind:     hidden_group_size_y
      - .offset:         160
        .size:           2
        .value_kind:     hidden_group_size_z
      - .offset:         162
        .size:           2
        .value_kind:     hidden_remainder_x
      - .offset:         164
        .size:           2
        .value_kind:     hidden_remainder_y
      - .offset:         166
        .size:           2
        .value_kind:     hidden_remainder_z
      - .offset:         184
        .size:           8
        .value_kind:     hidden_global_offset_x
      - .offset:         192
        .size:           8
        .value_kind:     hidden_global_offset_y
      - .offset:         200
        .size:           8
        .value_kind:     hidden_global_offset_z
      - .offset:         208
        .size:           2
        .value_kind:     hidden_grid_dims
      - .offset:         264
        .size:           4
        .value_kind:     hidden_dynamic_lds_size
    .group_segment_fixed_size: 144
    .kernarg_segment_align: 8
    .kernarg_segment_size: 400
    .language:       OpenCL C
    .language_version:
      - 2
      - 0
    .max_flat_workgroup_size: 1024
    .name:           _ZN4vllm25paged_attention_v2_kernelIttLi64ELi32ELi128ELNS_18Fp8KVCacheDataTypeE0ELb1ELi512EEEvPfS2_PT_PKS3_PKT0_S9_ifPKiSB_iPKfiiiSD_SD_iiiii
    .private_segment_fixed_size: 0
    .sgpr_count:     58
    .sgpr_spill_count: 0
    .symbol:         _ZN4vllm25paged_attention_v2_kernelIttLi64ELi32ELi128ELNS_18Fp8KVCacheDataTypeE0ELb1ELi512EEEvPfS2_PT_PKS3_PKT0_S9_ifPKiSB_iPKfiiiSD_SD_iiiii.kd
    .uniform_work_group_size: 1
    .uses_dynamic_stack: false
    .vgpr_count:     66
    .vgpr_spill_count: 0
    .wavefront_size: 64
  - .agpr_count:     0
    .args:
      - .actual_access:  write_only
        .address_space:  global
        .offset:         0
        .size:           8
        .value_kind:     global_buffer
      - .actual_access:  write_only
        .address_space:  global
        .offset:         8
        .size:           8
        .value_kind:     global_buffer
      - .actual_access:  write_only
        .address_space:  global
        .offset:         16
        .size:           8
        .value_kind:     global_buffer
      - .actual_access:  read_only
        .address_space:  global
        .offset:         24
        .size:           8
        .value_kind:     global_buffer
      - .actual_access:  read_only
        .address_space:  global
        .offset:         32
        .size:           8
        .value_kind:     global_buffer
      - .actual_access:  read_only
        .address_space:  global
        .offset:         40
        .size:           8
        .value_kind:     global_buffer
      - .offset:         48
        .size:           4
        .value_kind:     by_value
      - .offset:         52
        .size:           4
        .value_kind:     by_value
      - .actual_access:  read_only
        .address_space:  global
        .offset:         56
        .size:           8
        .value_kind:     global_buffer
      - .actual_access:  read_only
        .address_space:  global
        .offset:         64
        .size:           8
        .value_kind:     global_buffer
      - .offset:         72
        .size:           4
        .value_kind:     by_value
      - .actual_access:  read_only
        .address_space:  global
        .offset:         80
        .size:           8
        .value_kind:     global_buffer
      - .offset:         88
        .size:           4
        .value_kind:     by_value
      - .offset:         92
        .size:           4
        .value_kind:     by_value
      - .offset:         96
        .size:           4
        .value_kind:     by_value
      - .address_space:  global
        .offset:         104
        .size:           8
        .value_kind:     global_buffer
      - .address_space:  global
        .offset:         112
        .size:           8
        .value_kind:     global_buffer
      - .offset:         120
        .size:           4
        .value_kind:     by_value
      - .offset:         124
        .size:           4
        .value_kind:     by_value
      - .offset:         128
        .size:           4
        .value_kind:     by_value
      - .offset:         132
        .size:           4
        .value_kind:     by_value
      - .offset:         136
        .size:           4
        .value_kind:     by_value
      - .offset:         144
        .size:           4
        .value_kind:     hidden_block_count_x
      - .offset:         148
        .size:           4
        .value_kind:     hidden_block_count_y
      - .offset:         152
        .size:           4
        .value_kind:     hidden_block_count_z
      - .offset:         156
        .size:           2
        .value_kind:     hidden_group_size_x
      - .offset:         158
        .size:           2
        .value_kind:     hidden_group_size_y
      - .offset:         160
        .size:           2
        .value_kind:     hidden_group_size_z
      - .offset:         162
        .size:           2
        .value_kind:     hidden_remainder_x
      - .offset:         164
        .size:           2
        .value_kind:     hidden_remainder_y
      - .offset:         166
        .size:           2
        .value_kind:     hidden_remainder_z
      - .offset:         184
        .size:           8
        .value_kind:     hidden_global_offset_x
      - .offset:         192
        .size:           8
        .value_kind:     hidden_global_offset_y
      - .offset:         200
        .size:           8
        .value_kind:     hidden_global_offset_z
      - .offset:         208
        .size:           2
        .value_kind:     hidden_grid_dims
      - .offset:         264
        .size:           4
        .value_kind:     hidden_dynamic_lds_size
    .group_segment_fixed_size: 176
    .kernarg_segment_align: 8
    .kernarg_segment_size: 400
    .language:       OpenCL C
    .language_version:
      - 2
      - 0
    .max_flat_workgroup_size: 1024
    .name:           _ZN4vllm25paged_attention_v2_kernelIttLi80ELi32ELi128ELNS_18Fp8KVCacheDataTypeE0ELb1ELi512EEEvPfS2_PT_PKS3_PKT0_S9_ifPKiSB_iPKfiiiSD_SD_iiiii
    .private_segment_fixed_size: 0
    .sgpr_count:     62
    .sgpr_spill_count: 0
    .symbol:         _ZN4vllm25paged_attention_v2_kernelIttLi80ELi32ELi128ELNS_18Fp8KVCacheDataTypeE0ELb1ELi512EEEvPfS2_PT_PKS3_PKT0_S9_ifPKiSB_iPKfiiiSD_SD_iiiii.kd
    .uniform_work_group_size: 1
    .uses_dynamic_stack: false
    .vgpr_count:     71
    .vgpr_spill_count: 0
    .wavefront_size: 64
  - .agpr_count:     0
    .args:
      - .actual_access:  write_only
        .address_space:  global
        .offset:         0
        .size:           8
        .value_kind:     global_buffer
      - .actual_access:  write_only
        .address_space:  global
        .offset:         8
        .size:           8
        .value_kind:     global_buffer
      - .actual_access:  write_only
        .address_space:  global
        .offset:         16
        .size:           8
        .value_kind:     global_buffer
      - .actual_access:  read_only
        .address_space:  global
        .offset:         24
        .size:           8
        .value_kind:     global_buffer
      - .actual_access:  read_only
        .address_space:  global
        .offset:         32
        .size:           8
        .value_kind:     global_buffer
      - .actual_access:  read_only
        .address_space:  global
        .offset:         40
        .size:           8
        .value_kind:     global_buffer
      - .offset:         48
        .size:           4
        .value_kind:     by_value
      - .offset:         52
        .size:           4
        .value_kind:     by_value
      - .actual_access:  read_only
        .address_space:  global
        .offset:         56
        .size:           8
        .value_kind:     global_buffer
      - .actual_access:  read_only
        .address_space:  global
        .offset:         64
        .size:           8
        .value_kind:     global_buffer
      - .offset:         72
        .size:           4
        .value_kind:     by_value
      - .actual_access:  read_only
        .address_space:  global
        .offset:         80
        .size:           8
        .value_kind:     global_buffer
      - .offset:         88
        .size:           4
        .value_kind:     by_value
      - .offset:         92
        .size:           4
        .value_kind:     by_value
      - .offset:         96
        .size:           4
        .value_kind:     by_value
      - .address_space:  global
        .offset:         104
        .size:           8
        .value_kind:     global_buffer
      - .address_space:  global
        .offset:         112
        .size:           8
        .value_kind:     global_buffer
      - .offset:         120
        .size:           4
        .value_kind:     by_value
      - .offset:         124
        .size:           4
        .value_kind:     by_value
      - .offset:         128
        .size:           4
        .value_kind:     by_value
      - .offset:         132
        .size:           4
        .value_kind:     by_value
      - .offset:         136
        .size:           4
        .value_kind:     by_value
      - .offset:         144
        .size:           4
        .value_kind:     hidden_block_count_x
      - .offset:         148
        .size:           4
        .value_kind:     hidden_block_count_y
      - .offset:         152
        .size:           4
        .value_kind:     hidden_block_count_z
      - .offset:         156
        .size:           2
        .value_kind:     hidden_group_size_x
      - .offset:         158
        .size:           2
        .value_kind:     hidden_group_size_y
      - .offset:         160
        .size:           2
        .value_kind:     hidden_group_size_z
      - .offset:         162
        .size:           2
        .value_kind:     hidden_remainder_x
      - .offset:         164
        .size:           2
        .value_kind:     hidden_remainder_y
      - .offset:         166
        .size:           2
        .value_kind:     hidden_remainder_z
      - .offset:         184
        .size:           8
        .value_kind:     hidden_global_offset_x
      - .offset:         192
        .size:           8
        .value_kind:     hidden_global_offset_y
      - .offset:         200
        .size:           8
        .value_kind:     hidden_global_offset_z
      - .offset:         208
        .size:           2
        .value_kind:     hidden_grid_dims
      - .offset:         264
        .size:           4
        .value_kind:     hidden_dynamic_lds_size
    .group_segment_fixed_size: 208
    .kernarg_segment_align: 8
    .kernarg_segment_size: 400
    .language:       OpenCL C
    .language_version:
      - 2
      - 0
    .max_flat_workgroup_size: 1024
    .name:           _ZN4vllm25paged_attention_v2_kernelIttLi96ELi32ELi128ELNS_18Fp8KVCacheDataTypeE0ELb1ELi512EEEvPfS2_PT_PKS3_PKT0_S9_ifPKiSB_iPKfiiiSD_SD_iiiii
    .private_segment_fixed_size: 0
    .sgpr_count:     62
    .sgpr_spill_count: 0
    .symbol:         _ZN4vllm25paged_attention_v2_kernelIttLi96ELi32ELi128ELNS_18Fp8KVCacheDataTypeE0ELb1ELi512EEEvPfS2_PT_PKS3_PKT0_S9_ifPKiSB_iPKfiiiSD_SD_iiiii.kd
    .uniform_work_group_size: 1
    .uses_dynamic_stack: false
    .vgpr_count:     76
    .vgpr_spill_count: 0
    .wavefront_size: 64
  - .agpr_count:     0
    .args:
      - .actual_access:  write_only
        .address_space:  global
        .offset:         0
        .size:           8
        .value_kind:     global_buffer
      - .actual_access:  write_only
        .address_space:  global
        .offset:         8
        .size:           8
        .value_kind:     global_buffer
      - .actual_access:  write_only
        .address_space:  global
        .offset:         16
        .size:           8
        .value_kind:     global_buffer
      - .actual_access:  read_only
        .address_space:  global
        .offset:         24
        .size:           8
        .value_kind:     global_buffer
      - .actual_access:  read_only
        .address_space:  global
        .offset:         32
        .size:           8
        .value_kind:     global_buffer
      - .actual_access:  read_only
        .address_space:  global
        .offset:         40
        .size:           8
        .value_kind:     global_buffer
      - .offset:         48
        .size:           4
        .value_kind:     by_value
      - .offset:         52
        .size:           4
        .value_kind:     by_value
      - .actual_access:  read_only
        .address_space:  global
        .offset:         56
        .size:           8
        .value_kind:     global_buffer
      - .actual_access:  read_only
        .address_space:  global
        .offset:         64
        .size:           8
        .value_kind:     global_buffer
      - .offset:         72
        .size:           4
        .value_kind:     by_value
      - .actual_access:  read_only
        .address_space:  global
        .offset:         80
        .size:           8
        .value_kind:     global_buffer
      - .offset:         88
        .size:           4
        .value_kind:     by_value
      - .offset:         92
        .size:           4
        .value_kind:     by_value
      - .offset:         96
        .size:           4
        .value_kind:     by_value
      - .address_space:  global
        .offset:         104
        .size:           8
        .value_kind:     global_buffer
      - .address_space:  global
        .offset:         112
        .size:           8
        .value_kind:     global_buffer
      - .offset:         120
        .size:           4
        .value_kind:     by_value
      - .offset:         124
        .size:           4
        .value_kind:     by_value
      - .offset:         128
        .size:           4
        .value_kind:     by_value
      - .offset:         132
        .size:           4
        .value_kind:     by_value
      - .offset:         136
        .size:           4
        .value_kind:     by_value
      - .offset:         144
        .size:           4
        .value_kind:     hidden_block_count_x
      - .offset:         148
        .size:           4
        .value_kind:     hidden_block_count_y
      - .offset:         152
        .size:           4
        .value_kind:     hidden_block_count_z
      - .offset:         156
        .size:           2
        .value_kind:     hidden_group_size_x
      - .offset:         158
        .size:           2
        .value_kind:     hidden_group_size_y
      - .offset:         160
        .size:           2
        .value_kind:     hidden_group_size_z
      - .offset:         162
        .size:           2
        .value_kind:     hidden_remainder_x
      - .offset:         164
        .size:           2
        .value_kind:     hidden_remainder_y
      - .offset:         166
        .size:           2
        .value_kind:     hidden_remainder_z
      - .offset:         184
        .size:           8
        .value_kind:     hidden_global_offset_x
      - .offset:         192
        .size:           8
        .value_kind:     hidden_global_offset_y
      - .offset:         200
        .size:           8
        .value_kind:     hidden_global_offset_z
      - .offset:         208
        .size:           2
        .value_kind:     hidden_grid_dims
      - .offset:         264
        .size:           4
        .value_kind:     hidden_dynamic_lds_size
    .group_segment_fixed_size: 240
    .kernarg_segment_align: 8
    .kernarg_segment_size: 400
    .language:       OpenCL C
    .language_version:
      - 2
      - 0
    .max_flat_workgroup_size: 1024
    .name:           _ZN4vllm25paged_attention_v2_kernelIttLi112ELi32ELi128ELNS_18Fp8KVCacheDataTypeE0ELb1ELi512EEEvPfS2_PT_PKS3_PKT0_S9_ifPKiSB_iPKfiiiSD_SD_iiiii
    .private_segment_fixed_size: 0
    .sgpr_count:     62
    .sgpr_spill_count: 0
    .symbol:         _ZN4vllm25paged_attention_v2_kernelIttLi112ELi32ELi128ELNS_18Fp8KVCacheDataTypeE0ELb1ELi512EEEvPfS2_PT_PKS3_PKT0_S9_ifPKiSB_iPKfiiiSD_SD_iiiii.kd
    .uniform_work_group_size: 1
    .uses_dynamic_stack: false
    .vgpr_count:     80
    .vgpr_spill_count: 0
    .wavefront_size: 64
  - .agpr_count:     0
    .args:
      - .actual_access:  write_only
        .address_space:  global
        .offset:         0
        .size:           8
        .value_kind:     global_buffer
      - .actual_access:  write_only
        .address_space:  global
        .offset:         8
        .size:           8
        .value_kind:     global_buffer
      - .actual_access:  write_only
        .address_space:  global
        .offset:         16
        .size:           8
        .value_kind:     global_buffer
      - .actual_access:  read_only
        .address_space:  global
        .offset:         24
        .size:           8
        .value_kind:     global_buffer
      - .actual_access:  read_only
        .address_space:  global
        .offset:         32
        .size:           8
        .value_kind:     global_buffer
      - .actual_access:  read_only
        .address_space:  global
        .offset:         40
        .size:           8
        .value_kind:     global_buffer
      - .offset:         48
        .size:           4
        .value_kind:     by_value
      - .offset:         52
        .size:           4
        .value_kind:     by_value
      - .actual_access:  read_only
        .address_space:  global
        .offset:         56
        .size:           8
        .value_kind:     global_buffer
      - .actual_access:  read_only
        .address_space:  global
        .offset:         64
        .size:           8
        .value_kind:     global_buffer
      - .offset:         72
        .size:           4
        .value_kind:     by_value
      - .actual_access:  read_only
        .address_space:  global
        .offset:         80
        .size:           8
        .value_kind:     global_buffer
      - .offset:         88
        .size:           4
        .value_kind:     by_value
      - .offset:         92
        .size:           4
        .value_kind:     by_value
      - .offset:         96
        .size:           4
        .value_kind:     by_value
      - .address_space:  global
        .offset:         104
        .size:           8
        .value_kind:     global_buffer
      - .address_space:  global
        .offset:         112
        .size:           8
        .value_kind:     global_buffer
      - .offset:         120
        .size:           4
        .value_kind:     by_value
      - .offset:         124
        .size:           4
        .value_kind:     by_value
      - .offset:         128
        .size:           4
        .value_kind:     by_value
      - .offset:         132
        .size:           4
        .value_kind:     by_value
      - .offset:         136
        .size:           4
        .value_kind:     by_value
      - .offset:         144
        .size:           4
        .value_kind:     hidden_block_count_x
      - .offset:         148
        .size:           4
        .value_kind:     hidden_block_count_y
      - .offset:         152
        .size:           4
        .value_kind:     hidden_block_count_z
      - .offset:         156
        .size:           2
        .value_kind:     hidden_group_size_x
      - .offset:         158
        .size:           2
        .value_kind:     hidden_group_size_y
      - .offset:         160
        .size:           2
        .value_kind:     hidden_group_size_z
      - .offset:         162
        .size:           2
        .value_kind:     hidden_remainder_x
      - .offset:         164
        .size:           2
        .value_kind:     hidden_remainder_y
      - .offset:         166
        .size:           2
        .value_kind:     hidden_remainder_z
      - .offset:         184
        .size:           8
        .value_kind:     hidden_global_offset_x
      - .offset:         192
        .size:           8
        .value_kind:     hidden_global_offset_y
      - .offset:         200
        .size:           8
        .value_kind:     hidden_global_offset_z
      - .offset:         208
        .size:           2
        .value_kind:     hidden_grid_dims
      - .offset:         264
        .size:           4
        .value_kind:     hidden_dynamic_lds_size
    .group_segment_fixed_size: 256
    .kernarg_segment_align: 8
    .kernarg_segment_size: 400
    .language:       OpenCL C
    .language_version:
      - 2
      - 0
    .max_flat_workgroup_size: 1024
    .name:           _ZN4vllm25paged_attention_v2_kernelIttLi120ELi32ELi128ELNS_18Fp8KVCacheDataTypeE0ELb1ELi512EEEvPfS2_PT_PKS3_PKT0_S9_ifPKiSB_iPKfiiiSD_SD_iiiii
    .private_segment_fixed_size: 0
    .sgpr_count:     62
    .sgpr_spill_count: 0
    .symbol:         _ZN4vllm25paged_attention_v2_kernelIttLi120ELi32ELi128ELNS_18Fp8KVCacheDataTypeE0ELb1ELi512EEEvPfS2_PT_PKS3_PKT0_S9_ifPKiSB_iPKfiiiSD_SD_iiiii.kd
    .uniform_work_group_size: 1
    .uses_dynamic_stack: false
    .vgpr_count:     82
    .vgpr_spill_count: 0
    .wavefront_size: 64
  - .agpr_count:     0
    .args:
      - .actual_access:  write_only
        .address_space:  global
        .offset:         0
        .size:           8
        .value_kind:     global_buffer
      - .actual_access:  write_only
        .address_space:  global
        .offset:         8
        .size:           8
        .value_kind:     global_buffer
      - .actual_access:  write_only
        .address_space:  global
        .offset:         16
        .size:           8
        .value_kind:     global_buffer
      - .actual_access:  read_only
        .address_space:  global
        .offset:         24
        .size:           8
        .value_kind:     global_buffer
      - .actual_access:  read_only
        .address_space:  global
        .offset:         32
        .size:           8
        .value_kind:     global_buffer
      - .actual_access:  read_only
        .address_space:  global
        .offset:         40
        .size:           8
        .value_kind:     global_buffer
      - .offset:         48
        .size:           4
        .value_kind:     by_value
      - .offset:         52
        .size:           4
        .value_kind:     by_value
      - .actual_access:  read_only
        .address_space:  global
        .offset:         56
        .size:           8
        .value_kind:     global_buffer
      - .actual_access:  read_only
        .address_space:  global
        .offset:         64
        .size:           8
        .value_kind:     global_buffer
      - .offset:         72
        .size:           4
        .value_kind:     by_value
      - .actual_access:  read_only
        .address_space:  global
        .offset:         80
        .size:           8
        .value_kind:     global_buffer
      - .offset:         88
        .size:           4
        .value_kind:     by_value
      - .offset:         92
        .size:           4
        .value_kind:     by_value
      - .offset:         96
        .size:           4
        .value_kind:     by_value
      - .address_space:  global
        .offset:         104
        .size:           8
        .value_kind:     global_buffer
      - .address_space:  global
        .offset:         112
        .size:           8
        .value_kind:     global_buffer
      - .offset:         120
        .size:           4
        .value_kind:     by_value
      - .offset:         124
        .size:           4
        .value_kind:     by_value
      - .offset:         128
        .size:           4
        .value_kind:     by_value
      - .offset:         132
        .size:           4
        .value_kind:     by_value
      - .offset:         136
        .size:           4
        .value_kind:     by_value
      - .offset:         144
        .size:           4
        .value_kind:     hidden_block_count_x
      - .offset:         148
        .size:           4
        .value_kind:     hidden_block_count_y
      - .offset:         152
        .size:           4
        .value_kind:     hidden_block_count_z
      - .offset:         156
        .size:           2
        .value_kind:     hidden_group_size_x
      - .offset:         158
        .size:           2
        .value_kind:     hidden_group_size_y
      - .offset:         160
        .size:           2
        .value_kind:     hidden_group_size_z
      - .offset:         162
        .size:           2
        .value_kind:     hidden_remainder_x
      - .offset:         164
        .size:           2
        .value_kind:     hidden_remainder_y
      - .offset:         166
        .size:           2
        .value_kind:     hidden_remainder_z
      - .offset:         184
        .size:           8
        .value_kind:     hidden_global_offset_x
      - .offset:         192
        .size:           8
        .value_kind:     hidden_global_offset_y
      - .offset:         200
        .size:           8
        .value_kind:     hidden_global_offset_z
      - .offset:         208
        .size:           2
        .value_kind:     hidden_grid_dims
      - .offset:         264
        .size:           4
        .value_kind:     hidden_dynamic_lds_size
    .group_segment_fixed_size: 272
    .kernarg_segment_align: 8
    .kernarg_segment_size: 400
    .language:       OpenCL C
    .language_version:
      - 2
      - 0
    .max_flat_workgroup_size: 1024
    .name:           _ZN4vllm25paged_attention_v2_kernelIttLi128ELi32ELi128ELNS_18Fp8KVCacheDataTypeE0ELb1ELi512EEEvPfS2_PT_PKS3_PKT0_S9_ifPKiSB_iPKfiiiSD_SD_iiiii
    .private_segment_fixed_size: 0
    .sgpr_count:     62
    .sgpr_spill_count: 0
    .symbol:         _ZN4vllm25paged_attention_v2_kernelIttLi128ELi32ELi128ELNS_18Fp8KVCacheDataTypeE0ELb1ELi512EEEvPfS2_PT_PKS3_PKT0_S9_ifPKiSB_iPKfiiiSD_SD_iiiii.kd
    .uniform_work_group_size: 1
    .uses_dynamic_stack: false
    .vgpr_count:     84
    .vgpr_spill_count: 0
    .wavefront_size: 64
  - .agpr_count:     0
    .args:
      - .actual_access:  write_only
        .address_space:  global
        .offset:         0
        .size:           8
        .value_kind:     global_buffer
      - .actual_access:  write_only
        .address_space:  global
        .offset:         8
        .size:           8
        .value_kind:     global_buffer
      - .actual_access:  write_only
        .address_space:  global
        .offset:         16
        .size:           8
        .value_kind:     global_buffer
      - .actual_access:  read_only
        .address_space:  global
        .offset:         24
        .size:           8
        .value_kind:     global_buffer
      - .actual_access:  read_only
        .address_space:  global
        .offset:         32
        .size:           8
        .value_kind:     global_buffer
      - .actual_access:  read_only
        .address_space:  global
        .offset:         40
        .size:           8
        .value_kind:     global_buffer
      - .offset:         48
        .size:           4
        .value_kind:     by_value
      - .offset:         52
        .size:           4
        .value_kind:     by_value
      - .actual_access:  read_only
        .address_space:  global
        .offset:         56
        .size:           8
        .value_kind:     global_buffer
      - .actual_access:  read_only
        .address_space:  global
        .offset:         64
        .size:           8
        .value_kind:     global_buffer
      - .offset:         72
        .size:           4
        .value_kind:     by_value
      - .actual_access:  read_only
        .address_space:  global
        .offset:         80
        .size:           8
        .value_kind:     global_buffer
      - .offset:         88
        .size:           4
        .value_kind:     by_value
      - .offset:         92
        .size:           4
        .value_kind:     by_value
      - .offset:         96
        .size:           4
        .value_kind:     by_value
      - .address_space:  global
        .offset:         104
        .size:           8
        .value_kind:     global_buffer
      - .address_space:  global
        .offset:         112
        .size:           8
        .value_kind:     global_buffer
      - .offset:         120
        .size:           4
        .value_kind:     by_value
      - .offset:         124
        .size:           4
        .value_kind:     by_value
      - .offset:         128
        .size:           4
        .value_kind:     by_value
      - .offset:         132
        .size:           4
        .value_kind:     by_value
      - .offset:         136
        .size:           4
        .value_kind:     by_value
      - .offset:         144
        .size:           4
        .value_kind:     hidden_block_count_x
      - .offset:         148
        .size:           4
        .value_kind:     hidden_block_count_y
      - .offset:         152
        .size:           4
        .value_kind:     hidden_block_count_z
      - .offset:         156
        .size:           2
        .value_kind:     hidden_group_size_x
      - .offset:         158
        .size:           2
        .value_kind:     hidden_group_size_y
      - .offset:         160
        .size:           2
        .value_kind:     hidden_group_size_z
      - .offset:         162
        .size:           2
        .value_kind:     hidden_remainder_x
      - .offset:         164
        .size:           2
        .value_kind:     hidden_remainder_y
      - .offset:         166
        .size:           2
        .value_kind:     hidden_remainder_z
      - .offset:         184
        .size:           8
        .value_kind:     hidden_global_offset_x
      - .offset:         192
        .size:           8
        .value_kind:     hidden_global_offset_y
      - .offset:         200
        .size:           8
        .value_kind:     hidden_global_offset_z
      - .offset:         208
        .size:           2
        .value_kind:     hidden_grid_dims
      - .offset:         264
        .size:           4
        .value_kind:     hidden_dynamic_lds_size
    .group_segment_fixed_size: 400
    .kernarg_segment_align: 8
    .kernarg_segment_size: 400
    .language:       OpenCL C
    .language_version:
      - 2
      - 0
    .max_flat_workgroup_size: 1024
    .name:           _ZN4vllm25paged_attention_v2_kernelIttLi192ELi32ELi128ELNS_18Fp8KVCacheDataTypeE0ELb1ELi512EEEvPfS2_PT_PKS3_PKT0_S9_ifPKiSB_iPKfiiiSD_SD_iiiii
    .private_segment_fixed_size: 0
    .sgpr_count:     62
    .sgpr_spill_count: 0
    .symbol:         _ZN4vllm25paged_attention_v2_kernelIttLi192ELi32ELi128ELNS_18Fp8KVCacheDataTypeE0ELb1ELi512EEEvPfS2_PT_PKS3_PKT0_S9_ifPKiSB_iPKfiiiSD_SD_iiiii.kd
    .uniform_work_group_size: 1
    .uses_dynamic_stack: false
    .vgpr_count:     99
    .vgpr_spill_count: 0
    .wavefront_size: 64
  - .agpr_count:     0
    .args:
      - .actual_access:  write_only
        .address_space:  global
        .offset:         0
        .size:           8
        .value_kind:     global_buffer
      - .actual_access:  write_only
        .address_space:  global
        .offset:         8
        .size:           8
        .value_kind:     global_buffer
      - .actual_access:  write_only
        .address_space:  global
        .offset:         16
        .size:           8
        .value_kind:     global_buffer
      - .actual_access:  read_only
        .address_space:  global
        .offset:         24
        .size:           8
        .value_kind:     global_buffer
      - .actual_access:  read_only
        .address_space:  global
        .offset:         32
        .size:           8
        .value_kind:     global_buffer
      - .actual_access:  read_only
        .address_space:  global
        .offset:         40
        .size:           8
        .value_kind:     global_buffer
      - .offset:         48
        .size:           4
        .value_kind:     by_value
      - .offset:         52
        .size:           4
        .value_kind:     by_value
      - .actual_access:  read_only
        .address_space:  global
        .offset:         56
        .size:           8
        .value_kind:     global_buffer
      - .actual_access:  read_only
        .address_space:  global
        .offset:         64
        .size:           8
        .value_kind:     global_buffer
      - .offset:         72
        .size:           4
        .value_kind:     by_value
      - .actual_access:  read_only
        .address_space:  global
        .offset:         80
        .size:           8
        .value_kind:     global_buffer
      - .offset:         88
        .size:           4
        .value_kind:     by_value
      - .offset:         92
        .size:           4
        .value_kind:     by_value
      - .offset:         96
        .size:           4
        .value_kind:     by_value
      - .address_space:  global
        .offset:         104
        .size:           8
        .value_kind:     global_buffer
      - .address_space:  global
        .offset:         112
        .size:           8
        .value_kind:     global_buffer
      - .offset:         120
        .size:           4
        .value_kind:     by_value
      - .offset:         124
        .size:           4
        .value_kind:     by_value
      - .offset:         128
        .size:           4
        .value_kind:     by_value
      - .offset:         132
        .size:           4
        .value_kind:     by_value
      - .offset:         136
        .size:           4
        .value_kind:     by_value
      - .offset:         144
        .size:           4
        .value_kind:     hidden_block_count_x
      - .offset:         148
        .size:           4
        .value_kind:     hidden_block_count_y
      - .offset:         152
        .size:           4
        .value_kind:     hidden_block_count_z
      - .offset:         156
        .size:           2
        .value_kind:     hidden_group_size_x
      - .offset:         158
        .size:           2
        .value_kind:     hidden_group_size_y
      - .offset:         160
        .size:           2
        .value_kind:     hidden_group_size_z
      - .offset:         162
        .size:           2
        .value_kind:     hidden_remainder_x
      - .offset:         164
        .size:           2
        .value_kind:     hidden_remainder_y
      - .offset:         166
        .size:           2
        .value_kind:     hidden_remainder_z
      - .offset:         184
        .size:           8
        .value_kind:     hidden_global_offset_x
      - .offset:         192
        .size:           8
        .value_kind:     hidden_global_offset_y
      - .offset:         200
        .size:           8
        .value_kind:     hidden_global_offset_z
      - .offset:         208
        .size:           2
        .value_kind:     hidden_grid_dims
      - .offset:         264
        .size:           4
        .value_kind:     hidden_dynamic_lds_size
    .group_segment_fixed_size: 528
    .kernarg_segment_align: 8
    .kernarg_segment_size: 400
    .language:       OpenCL C
    .language_version:
      - 2
      - 0
    .max_flat_workgroup_size: 1024
    .name:           _ZN4vllm25paged_attention_v2_kernelIttLi256ELi32ELi128ELNS_18Fp8KVCacheDataTypeE0ELb1ELi512EEEvPfS2_PT_PKS3_PKT0_S9_ifPKiSB_iPKfiiiSD_SD_iiiii
    .private_segment_fixed_size: 0
    .sgpr_count:     66
    .sgpr_spill_count: 0
    .symbol:         _ZN4vllm25paged_attention_v2_kernelIttLi256ELi32ELi128ELNS_18Fp8KVCacheDataTypeE0ELb1ELi512EEEvPfS2_PT_PKS3_PKT0_S9_ifPKiSB_iPKfiiiSD_SD_iiiii.kd
    .uniform_work_group_size: 1
    .uses_dynamic_stack: false
    .vgpr_count:     113
    .vgpr_spill_count: 0
    .wavefront_size: 64
  - .agpr_count:     0
    .args:
      - .actual_access:  write_only
        .address_space:  global
        .offset:         0
        .size:           8
        .value_kind:     global_buffer
      - .actual_access:  write_only
        .address_space:  global
        .offset:         8
        .size:           8
        .value_kind:     global_buffer
      - .actual_access:  write_only
        .address_space:  global
        .offset:         16
        .size:           8
        .value_kind:     global_buffer
      - .actual_access:  read_only
        .address_space:  global
        .offset:         24
        .size:           8
        .value_kind:     global_buffer
      - .actual_access:  read_only
        .address_space:  global
        .offset:         32
        .size:           8
        .value_kind:     global_buffer
      - .actual_access:  read_only
        .address_space:  global
        .offset:         40
        .size:           8
        .value_kind:     global_buffer
      - .offset:         48
        .size:           4
        .value_kind:     by_value
      - .offset:         52
        .size:           4
        .value_kind:     by_value
      - .actual_access:  read_only
        .address_space:  global
        .offset:         56
        .size:           8
        .value_kind:     global_buffer
      - .actual_access:  read_only
        .address_space:  global
        .offset:         64
        .size:           8
        .value_kind:     global_buffer
      - .offset:         72
        .size:           4
        .value_kind:     by_value
      - .actual_access:  read_only
        .address_space:  global
        .offset:         80
        .size:           8
        .value_kind:     global_buffer
      - .offset:         88
        .size:           4
        .value_kind:     by_value
      - .offset:         92
        .size:           4
        .value_kind:     by_value
      - .offset:         96
        .size:           4
        .value_kind:     by_value
      - .address_space:  global
        .offset:         104
        .size:           8
        .value_kind:     global_buffer
      - .address_space:  global
        .offset:         112
        .size:           8
        .value_kind:     global_buffer
      - .offset:         120
        .size:           4
        .value_kind:     by_value
      - .offset:         124
        .size:           4
        .value_kind:     by_value
      - .offset:         128
        .size:           4
        .value_kind:     by_value
      - .offset:         132
        .size:           4
        .value_kind:     by_value
      - .offset:         136
        .size:           4
        .value_kind:     by_value
      - .offset:         144
        .size:           4
        .value_kind:     hidden_block_count_x
      - .offset:         148
        .size:           4
        .value_kind:     hidden_block_count_y
      - .offset:         152
        .size:           4
        .value_kind:     hidden_block_count_z
      - .offset:         156
        .size:           2
        .value_kind:     hidden_group_size_x
      - .offset:         158
        .size:           2
        .value_kind:     hidden_group_size_y
      - .offset:         160
        .size:           2
        .value_kind:     hidden_group_size_z
      - .offset:         162
        .size:           2
        .value_kind:     hidden_remainder_x
      - .offset:         164
        .size:           2
        .value_kind:     hidden_remainder_y
      - .offset:         166
        .size:           2
        .value_kind:     hidden_remainder_z
      - .offset:         184
        .size:           8
        .value_kind:     hidden_global_offset_x
      - .offset:         192
        .size:           8
        .value_kind:     hidden_global_offset_y
      - .offset:         200
        .size:           8
        .value_kind:     hidden_global_offset_z
      - .offset:         208
        .size:           2
        .value_kind:     hidden_grid_dims
      - .offset:         264
        .size:           4
        .value_kind:     hidden_dynamic_lds_size
    .group_segment_fixed_size: 80
    .kernarg_segment_align: 8
    .kernarg_segment_size: 400
    .language:       OpenCL C
    .language_version:
      - 2
      - 0
    .max_flat_workgroup_size: 1024
    .name:           _ZN4vllm25paged_attention_v2_kernelIttLi32ELi32ELi128ELNS_18Fp8KVCacheDataTypeE0ELb0ELi512EEEvPfS2_PT_PKS3_PKT0_S9_ifPKiSB_iPKfiiiSD_SD_iiiii
    .private_segment_fixed_size: 0
    .sgpr_count:     48
    .sgpr_spill_count: 0
    .symbol:         _ZN4vllm25paged_attention_v2_kernelIttLi32ELi32ELi128ELNS_18Fp8KVCacheDataTypeE0ELb0ELi512EEEvPfS2_PT_PKS3_PKT0_S9_ifPKiSB_iPKfiiiSD_SD_iiiii.kd
    .uniform_work_group_size: 1
    .uses_dynamic_stack: false
    .vgpr_count:     45
    .vgpr_spill_count: 0
    .wavefront_size: 64
  - .agpr_count:     0
    .args:
      - .actual_access:  write_only
        .address_space:  global
        .offset:         0
        .size:           8
        .value_kind:     global_buffer
      - .actual_access:  write_only
        .address_space:  global
        .offset:         8
        .size:           8
        .value_kind:     global_buffer
      - .actual_access:  write_only
        .address_space:  global
        .offset:         16
        .size:           8
        .value_kind:     global_buffer
      - .actual_access:  read_only
        .address_space:  global
        .offset:         24
        .size:           8
        .value_kind:     global_buffer
      - .actual_access:  read_only
        .address_space:  global
        .offset:         32
        .size:           8
        .value_kind:     global_buffer
      - .actual_access:  read_only
        .address_space:  global
        .offset:         40
        .size:           8
        .value_kind:     global_buffer
      - .offset:         48
        .size:           4
        .value_kind:     by_value
      - .offset:         52
        .size:           4
        .value_kind:     by_value
      - .actual_access:  read_only
        .address_space:  global
        .offset:         56
        .size:           8
        .value_kind:     global_buffer
      - .actual_access:  read_only
        .address_space:  global
        .offset:         64
        .size:           8
        .value_kind:     global_buffer
      - .offset:         72
        .size:           4
        .value_kind:     by_value
      - .actual_access:  read_only
        .address_space:  global
        .offset:         80
        .size:           8
        .value_kind:     global_buffer
      - .offset:         88
        .size:           4
        .value_kind:     by_value
      - .offset:         92
        .size:           4
        .value_kind:     by_value
      - .offset:         96
        .size:           4
        .value_kind:     by_value
      - .address_space:  global
        .offset:         104
        .size:           8
        .value_kind:     global_buffer
      - .address_space:  global
        .offset:         112
        .size:           8
        .value_kind:     global_buffer
      - .offset:         120
        .size:           4
        .value_kind:     by_value
      - .offset:         124
        .size:           4
        .value_kind:     by_value
      - .offset:         128
        .size:           4
        .value_kind:     by_value
      - .offset:         132
        .size:           4
        .value_kind:     by_value
      - .offset:         136
        .size:           4
        .value_kind:     by_value
      - .offset:         144
        .size:           4
        .value_kind:     hidden_block_count_x
      - .offset:         148
        .size:           4
        .value_kind:     hidden_block_count_y
      - .offset:         152
        .size:           4
        .value_kind:     hidden_block_count_z
      - .offset:         156
        .size:           2
        .value_kind:     hidden_group_size_x
      - .offset:         158
        .size:           2
        .value_kind:     hidden_group_size_y
      - .offset:         160
        .size:           2
        .value_kind:     hidden_group_size_z
      - .offset:         162
        .size:           2
        .value_kind:     hidden_remainder_x
      - .offset:         164
        .size:           2
        .value_kind:     hidden_remainder_y
      - .offset:         166
        .size:           2
        .value_kind:     hidden_remainder_z
      - .offset:         184
        .size:           8
        .value_kind:     hidden_global_offset_x
      - .offset:         192
        .size:           8
        .value_kind:     hidden_global_offset_y
      - .offset:         200
        .size:           8
        .value_kind:     hidden_global_offset_z
      - .offset:         208
        .size:           2
        .value_kind:     hidden_grid_dims
      - .offset:         264
        .size:           4
        .value_kind:     hidden_dynamic_lds_size
    .group_segment_fixed_size: 144
    .kernarg_segment_align: 8
    .kernarg_segment_size: 400
    .language:       OpenCL C
    .language_version:
      - 2
      - 0
    .max_flat_workgroup_size: 1024
    .name:           _ZN4vllm25paged_attention_v2_kernelIttLi64ELi32ELi128ELNS_18Fp8KVCacheDataTypeE0ELb0ELi512EEEvPfS2_PT_PKS3_PKT0_S9_ifPKiSB_iPKfiiiSD_SD_iiiii
    .private_segment_fixed_size: 0
    .sgpr_count:     48
    .sgpr_spill_count: 0
    .symbol:         _ZN4vllm25paged_attention_v2_kernelIttLi64ELi32ELi128ELNS_18Fp8KVCacheDataTypeE0ELb0ELi512EEEvPfS2_PT_PKS3_PKT0_S9_ifPKiSB_iPKfiiiSD_SD_iiiii.kd
    .uniform_work_group_size: 1
    .uses_dynamic_stack: false
    .vgpr_count:     61
    .vgpr_spill_count: 0
    .wavefront_size: 64
  - .agpr_count:     0
    .args:
      - .actual_access:  write_only
        .address_space:  global
        .offset:         0
        .size:           8
        .value_kind:     global_buffer
      - .actual_access:  write_only
        .address_space:  global
        .offset:         8
        .size:           8
        .value_kind:     global_buffer
      - .actual_access:  write_only
        .address_space:  global
        .offset:         16
        .size:           8
        .value_kind:     global_buffer
      - .actual_access:  read_only
        .address_space:  global
        .offset:         24
        .size:           8
        .value_kind:     global_buffer
      - .actual_access:  read_only
        .address_space:  global
        .offset:         32
        .size:           8
        .value_kind:     global_buffer
      - .actual_access:  read_only
        .address_space:  global
        .offset:         40
        .size:           8
        .value_kind:     global_buffer
      - .offset:         48
        .size:           4
        .value_kind:     by_value
      - .offset:         52
        .size:           4
        .value_kind:     by_value
      - .actual_access:  read_only
        .address_space:  global
        .offset:         56
        .size:           8
        .value_kind:     global_buffer
      - .actual_access:  read_only
        .address_space:  global
        .offset:         64
        .size:           8
        .value_kind:     global_buffer
      - .offset:         72
        .size:           4
        .value_kind:     by_value
      - .actual_access:  read_only
        .address_space:  global
        .offset:         80
        .size:           8
        .value_kind:     global_buffer
      - .offset:         88
        .size:           4
        .value_kind:     by_value
      - .offset:         92
        .size:           4
        .value_kind:     by_value
      - .offset:         96
        .size:           4
        .value_kind:     by_value
      - .address_space:  global
        .offset:         104
        .size:           8
        .value_kind:     global_buffer
      - .address_space:  global
        .offset:         112
        .size:           8
        .value_kind:     global_buffer
      - .offset:         120
        .size:           4
        .value_kind:     by_value
      - .offset:         124
        .size:           4
        .value_kind:     by_value
      - .offset:         128
        .size:           4
        .value_kind:     by_value
      - .offset:         132
        .size:           4
        .value_kind:     by_value
      - .offset:         136
        .size:           4
        .value_kind:     by_value
      - .offset:         144
        .size:           4
        .value_kind:     hidden_block_count_x
      - .offset:         148
        .size:           4
        .value_kind:     hidden_block_count_y
      - .offset:         152
        .size:           4
        .value_kind:     hidden_block_count_z
      - .offset:         156
        .size:           2
        .value_kind:     hidden_group_size_x
      - .offset:         158
        .size:           2
        .value_kind:     hidden_group_size_y
      - .offset:         160
        .size:           2
        .value_kind:     hidden_group_size_z
      - .offset:         162
        .size:           2
        .value_kind:     hidden_remainder_x
      - .offset:         164
        .size:           2
        .value_kind:     hidden_remainder_y
      - .offset:         166
        .size:           2
        .value_kind:     hidden_remainder_z
      - .offset:         184
        .size:           8
        .value_kind:     hidden_global_offset_x
      - .offset:         192
        .size:           8
        .value_kind:     hidden_global_offset_y
      - .offset:         200
        .size:           8
        .value_kind:     hidden_global_offset_z
      - .offset:         208
        .size:           2
        .value_kind:     hidden_grid_dims
      - .offset:         264
        .size:           4
        .value_kind:     hidden_dynamic_lds_size
    .group_segment_fixed_size: 176
    .kernarg_segment_align: 8
    .kernarg_segment_size: 400
    .language:       OpenCL C
    .language_version:
      - 2
      - 0
    .max_flat_workgroup_size: 1024
    .name:           _ZN4vllm25paged_attention_v2_kernelIttLi80ELi32ELi128ELNS_18Fp8KVCacheDataTypeE0ELb0ELi512EEEvPfS2_PT_PKS3_PKT0_S9_ifPKiSB_iPKfiiiSD_SD_iiiii
    .private_segment_fixed_size: 0
    .sgpr_count:     49
    .sgpr_spill_count: 0
    .symbol:         _ZN4vllm25paged_attention_v2_kernelIttLi80ELi32ELi128ELNS_18Fp8KVCacheDataTypeE0ELb0ELi512EEEvPfS2_PT_PKS3_PKT0_S9_ifPKiSB_iPKfiiiSD_SD_iiiii.kd
    .uniform_work_group_size: 1
    .uses_dynamic_stack: false
    .vgpr_count:     67
    .vgpr_spill_count: 0
    .wavefront_size: 64
  - .agpr_count:     0
    .args:
      - .actual_access:  write_only
        .address_space:  global
        .offset:         0
        .size:           8
        .value_kind:     global_buffer
      - .actual_access:  write_only
        .address_space:  global
        .offset:         8
        .size:           8
        .value_kind:     global_buffer
      - .actual_access:  write_only
        .address_space:  global
        .offset:         16
        .size:           8
        .value_kind:     global_buffer
      - .actual_access:  read_only
        .address_space:  global
        .offset:         24
        .size:           8
        .value_kind:     global_buffer
      - .actual_access:  read_only
        .address_space:  global
        .offset:         32
        .size:           8
        .value_kind:     global_buffer
      - .actual_access:  read_only
        .address_space:  global
        .offset:         40
        .size:           8
        .value_kind:     global_buffer
      - .offset:         48
        .size:           4
        .value_kind:     by_value
      - .offset:         52
        .size:           4
        .value_kind:     by_value
      - .actual_access:  read_only
        .address_space:  global
        .offset:         56
        .size:           8
        .value_kind:     global_buffer
      - .actual_access:  read_only
        .address_space:  global
        .offset:         64
        .size:           8
        .value_kind:     global_buffer
      - .offset:         72
        .size:           4
        .value_kind:     by_value
      - .actual_access:  read_only
        .address_space:  global
        .offset:         80
        .size:           8
        .value_kind:     global_buffer
      - .offset:         88
        .size:           4
        .value_kind:     by_value
      - .offset:         92
        .size:           4
        .value_kind:     by_value
      - .offset:         96
        .size:           4
        .value_kind:     by_value
      - .address_space:  global
        .offset:         104
        .size:           8
        .value_kind:     global_buffer
      - .address_space:  global
        .offset:         112
        .size:           8
        .value_kind:     global_buffer
      - .offset:         120
        .size:           4
        .value_kind:     by_value
      - .offset:         124
        .size:           4
        .value_kind:     by_value
      - .offset:         128
        .size:           4
        .value_kind:     by_value
      - .offset:         132
        .size:           4
        .value_kind:     by_value
      - .offset:         136
        .size:           4
        .value_kind:     by_value
      - .offset:         144
        .size:           4
        .value_kind:     hidden_block_count_x
      - .offset:         148
        .size:           4
        .value_kind:     hidden_block_count_y
      - .offset:         152
        .size:           4
        .value_kind:     hidden_block_count_z
      - .offset:         156
        .size:           2
        .value_kind:     hidden_group_size_x
      - .offset:         158
        .size:           2
        .value_kind:     hidden_group_size_y
      - .offset:         160
        .size:           2
        .value_kind:     hidden_group_size_z
      - .offset:         162
        .size:           2
        .value_kind:     hidden_remainder_x
      - .offset:         164
        .size:           2
        .value_kind:     hidden_remainder_y
      - .offset:         166
        .size:           2
        .value_kind:     hidden_remainder_z
      - .offset:         184
        .size:           8
        .value_kind:     hidden_global_offset_x
      - .offset:         192
        .size:           8
        .value_kind:     hidden_global_offset_y
      - .offset:         200
        .size:           8
        .value_kind:     hidden_global_offset_z
      - .offset:         208
        .size:           2
        .value_kind:     hidden_grid_dims
      - .offset:         264
        .size:           4
        .value_kind:     hidden_dynamic_lds_size
    .group_segment_fixed_size: 208
    .kernarg_segment_align: 8
    .kernarg_segment_size: 400
    .language:       OpenCL C
    .language_version:
      - 2
      - 0
    .max_flat_workgroup_size: 1024
    .name:           _ZN4vllm25paged_attention_v2_kernelIttLi96ELi32ELi128ELNS_18Fp8KVCacheDataTypeE0ELb0ELi512EEEvPfS2_PT_PKS3_PKT0_S9_ifPKiSB_iPKfiiiSD_SD_iiiii
    .private_segment_fixed_size: 0
    .sgpr_count:     49
    .sgpr_spill_count: 0
    .symbol:         _ZN4vllm25paged_attention_v2_kernelIttLi96ELi32ELi128ELNS_18Fp8KVCacheDataTypeE0ELb0ELi512EEEvPfS2_PT_PKS3_PKT0_S9_ifPKiSB_iPKfiiiSD_SD_iiiii.kd
    .uniform_work_group_size: 1
    .uses_dynamic_stack: false
    .vgpr_count:     71
    .vgpr_spill_count: 0
    .wavefront_size: 64
  - .agpr_count:     0
    .args:
      - .actual_access:  write_only
        .address_space:  global
        .offset:         0
        .size:           8
        .value_kind:     global_buffer
      - .actual_access:  write_only
        .address_space:  global
        .offset:         8
        .size:           8
        .value_kind:     global_buffer
      - .actual_access:  write_only
        .address_space:  global
        .offset:         16
        .size:           8
        .value_kind:     global_buffer
      - .actual_access:  read_only
        .address_space:  global
        .offset:         24
        .size:           8
        .value_kind:     global_buffer
      - .actual_access:  read_only
        .address_space:  global
        .offset:         32
        .size:           8
        .value_kind:     global_buffer
      - .actual_access:  read_only
        .address_space:  global
        .offset:         40
        .size:           8
        .value_kind:     global_buffer
      - .offset:         48
        .size:           4
        .value_kind:     by_value
      - .offset:         52
        .size:           4
        .value_kind:     by_value
      - .actual_access:  read_only
        .address_space:  global
        .offset:         56
        .size:           8
        .value_kind:     global_buffer
      - .actual_access:  read_only
        .address_space:  global
        .offset:         64
        .size:           8
        .value_kind:     global_buffer
      - .offset:         72
        .size:           4
        .value_kind:     by_value
      - .actual_access:  read_only
        .address_space:  global
        .offset:         80
        .size:           8
        .value_kind:     global_buffer
      - .offset:         88
        .size:           4
        .value_kind:     by_value
      - .offset:         92
        .size:           4
        .value_kind:     by_value
      - .offset:         96
        .size:           4
        .value_kind:     by_value
      - .address_space:  global
        .offset:         104
        .size:           8
        .value_kind:     global_buffer
      - .address_space:  global
        .offset:         112
        .size:           8
        .value_kind:     global_buffer
      - .offset:         120
        .size:           4
        .value_kind:     by_value
      - .offset:         124
        .size:           4
        .value_kind:     by_value
      - .offset:         128
        .size:           4
        .value_kind:     by_value
      - .offset:         132
        .size:           4
        .value_kind:     by_value
      - .offset:         136
        .size:           4
        .value_kind:     by_value
      - .offset:         144
        .size:           4
        .value_kind:     hidden_block_count_x
      - .offset:         148
        .size:           4
        .value_kind:     hidden_block_count_y
      - .offset:         152
        .size:           4
        .value_kind:     hidden_block_count_z
      - .offset:         156
        .size:           2
        .value_kind:     hidden_group_size_x
      - .offset:         158
        .size:           2
        .value_kind:     hidden_group_size_y
      - .offset:         160
        .size:           2
        .value_kind:     hidden_group_size_z
      - .offset:         162
        .size:           2
        .value_kind:     hidden_remainder_x
      - .offset:         164
        .size:           2
        .value_kind:     hidden_remainder_y
      - .offset:         166
        .size:           2
        .value_kind:     hidden_remainder_z
      - .offset:         184
        .size:           8
        .value_kind:     hidden_global_offset_x
      - .offset:         192
        .size:           8
        .value_kind:     hidden_global_offset_y
      - .offset:         200
        .size:           8
        .value_kind:     hidden_global_offset_z
      - .offset:         208
        .size:           2
        .value_kind:     hidden_grid_dims
      - .offset:         264
        .size:           4
        .value_kind:     hidden_dynamic_lds_size
    .group_segment_fixed_size: 240
    .kernarg_segment_align: 8
    .kernarg_segment_size: 400
    .language:       OpenCL C
    .language_version:
      - 2
      - 0
    .max_flat_workgroup_size: 1024
    .name:           _ZN4vllm25paged_attention_v2_kernelIttLi112ELi32ELi128ELNS_18Fp8KVCacheDataTypeE0ELb0ELi512EEEvPfS2_PT_PKS3_PKT0_S9_ifPKiSB_iPKfiiiSD_SD_iiiii
    .private_segment_fixed_size: 0
    .sgpr_count:     49
    .sgpr_spill_count: 0
    .symbol:         _ZN4vllm25paged_attention_v2_kernelIttLi112ELi32ELi128ELNS_18Fp8KVCacheDataTypeE0ELb0ELi512EEEvPfS2_PT_PKS3_PKT0_S9_ifPKiSB_iPKfiiiSD_SD_iiiii.kd
    .uniform_work_group_size: 1
    .uses_dynamic_stack: false
    .vgpr_count:     76
    .vgpr_spill_count: 0
    .wavefront_size: 64
  - .agpr_count:     0
    .args:
      - .actual_access:  write_only
        .address_space:  global
        .offset:         0
        .size:           8
        .value_kind:     global_buffer
      - .actual_access:  write_only
        .address_space:  global
        .offset:         8
        .size:           8
        .value_kind:     global_buffer
      - .actual_access:  write_only
        .address_space:  global
        .offset:         16
        .size:           8
        .value_kind:     global_buffer
      - .actual_access:  read_only
        .address_space:  global
        .offset:         24
        .size:           8
        .value_kind:     global_buffer
      - .actual_access:  read_only
        .address_space:  global
        .offset:         32
        .size:           8
        .value_kind:     global_buffer
      - .actual_access:  read_only
        .address_space:  global
        .offset:         40
        .size:           8
        .value_kind:     global_buffer
      - .offset:         48
        .size:           4
        .value_kind:     by_value
      - .offset:         52
        .size:           4
        .value_kind:     by_value
      - .actual_access:  read_only
        .address_space:  global
        .offset:         56
        .size:           8
        .value_kind:     global_buffer
      - .actual_access:  read_only
        .address_space:  global
        .offset:         64
        .size:           8
        .value_kind:     global_buffer
      - .offset:         72
        .size:           4
        .value_kind:     by_value
      - .actual_access:  read_only
        .address_space:  global
        .offset:         80
        .size:           8
        .value_kind:     global_buffer
      - .offset:         88
        .size:           4
        .value_kind:     by_value
      - .offset:         92
        .size:           4
        .value_kind:     by_value
      - .offset:         96
        .size:           4
        .value_kind:     by_value
      - .address_space:  global
        .offset:         104
        .size:           8
        .value_kind:     global_buffer
      - .address_space:  global
        .offset:         112
        .size:           8
        .value_kind:     global_buffer
      - .offset:         120
        .size:           4
        .value_kind:     by_value
      - .offset:         124
        .size:           4
        .value_kind:     by_value
      - .offset:         128
        .size:           4
        .value_kind:     by_value
      - .offset:         132
        .size:           4
        .value_kind:     by_value
      - .offset:         136
        .size:           4
        .value_kind:     by_value
      - .offset:         144
        .size:           4
        .value_kind:     hidden_block_count_x
      - .offset:         148
        .size:           4
        .value_kind:     hidden_block_count_y
      - .offset:         152
        .size:           4
        .value_kind:     hidden_block_count_z
      - .offset:         156
        .size:           2
        .value_kind:     hidden_group_size_x
      - .offset:         158
        .size:           2
        .value_kind:     hidden_group_size_y
      - .offset:         160
        .size:           2
        .value_kind:     hidden_group_size_z
      - .offset:         162
        .size:           2
        .value_kind:     hidden_remainder_x
      - .offset:         164
        .size:           2
        .value_kind:     hidden_remainder_y
      - .offset:         166
        .size:           2
        .value_kind:     hidden_remainder_z
      - .offset:         184
        .size:           8
        .value_kind:     hidden_global_offset_x
      - .offset:         192
        .size:           8
        .value_kind:     hidden_global_offset_y
      - .offset:         200
        .size:           8
        .value_kind:     hidden_global_offset_z
      - .offset:         208
        .size:           2
        .value_kind:     hidden_grid_dims
      - .offset:         264
        .size:           4
        .value_kind:     hidden_dynamic_lds_size
    .group_segment_fixed_size: 256
    .kernarg_segment_align: 8
    .kernarg_segment_size: 400
    .language:       OpenCL C
    .language_version:
      - 2
      - 0
    .max_flat_workgroup_size: 1024
    .name:           _ZN4vllm25paged_attention_v2_kernelIttLi120ELi32ELi128ELNS_18Fp8KVCacheDataTypeE0ELb0ELi512EEEvPfS2_PT_PKS3_PKT0_S9_ifPKiSB_iPKfiiiSD_SD_iiiii
    .private_segment_fixed_size: 0
    .sgpr_count:     49
    .sgpr_spill_count: 0
    .symbol:         _ZN4vllm25paged_attention_v2_kernelIttLi120ELi32ELi128ELNS_18Fp8KVCacheDataTypeE0ELb0ELi512EEEvPfS2_PT_PKS3_PKT0_S9_ifPKiSB_iPKfiiiSD_SD_iiiii.kd
    .uniform_work_group_size: 1
    .uses_dynamic_stack: false
    .vgpr_count:     78
    .vgpr_spill_count: 0
    .wavefront_size: 64
  - .agpr_count:     0
    .args:
      - .actual_access:  write_only
        .address_space:  global
        .offset:         0
        .size:           8
        .value_kind:     global_buffer
      - .actual_access:  write_only
        .address_space:  global
        .offset:         8
        .size:           8
        .value_kind:     global_buffer
      - .actual_access:  write_only
        .address_space:  global
        .offset:         16
        .size:           8
        .value_kind:     global_buffer
      - .actual_access:  read_only
        .address_space:  global
        .offset:         24
        .size:           8
        .value_kind:     global_buffer
      - .actual_access:  read_only
        .address_space:  global
        .offset:         32
        .size:           8
        .value_kind:     global_buffer
      - .actual_access:  read_only
        .address_space:  global
        .offset:         40
        .size:           8
        .value_kind:     global_buffer
      - .offset:         48
        .size:           4
        .value_kind:     by_value
      - .offset:         52
        .size:           4
        .value_kind:     by_value
      - .actual_access:  read_only
        .address_space:  global
        .offset:         56
        .size:           8
        .value_kind:     global_buffer
      - .actual_access:  read_only
        .address_space:  global
        .offset:         64
        .size:           8
        .value_kind:     global_buffer
      - .offset:         72
        .size:           4
        .value_kind:     by_value
      - .actual_access:  read_only
        .address_space:  global
        .offset:         80
        .size:           8
        .value_kind:     global_buffer
      - .offset:         88
        .size:           4
        .value_kind:     by_value
      - .offset:         92
        .size:           4
        .value_kind:     by_value
      - .offset:         96
        .size:           4
        .value_kind:     by_value
      - .address_space:  global
        .offset:         104
        .size:           8
        .value_kind:     global_buffer
      - .address_space:  global
        .offset:         112
        .size:           8
        .value_kind:     global_buffer
      - .offset:         120
        .size:           4
        .value_kind:     by_value
      - .offset:         124
        .size:           4
        .value_kind:     by_value
      - .offset:         128
        .size:           4
        .value_kind:     by_value
      - .offset:         132
        .size:           4
        .value_kind:     by_value
      - .offset:         136
        .size:           4
        .value_kind:     by_value
      - .offset:         144
        .size:           4
        .value_kind:     hidden_block_count_x
      - .offset:         148
        .size:           4
        .value_kind:     hidden_block_count_y
      - .offset:         152
        .size:           4
        .value_kind:     hidden_block_count_z
      - .offset:         156
        .size:           2
        .value_kind:     hidden_group_size_x
      - .offset:         158
        .size:           2
        .value_kind:     hidden_group_size_y
      - .offset:         160
        .size:           2
        .value_kind:     hidden_group_size_z
      - .offset:         162
        .size:           2
        .value_kind:     hidden_remainder_x
      - .offset:         164
        .size:           2
        .value_kind:     hidden_remainder_y
      - .offset:         166
        .size:           2
        .value_kind:     hidden_remainder_z
      - .offset:         184
        .size:           8
        .value_kind:     hidden_global_offset_x
      - .offset:         192
        .size:           8
        .value_kind:     hidden_global_offset_y
      - .offset:         200
        .size:           8
        .value_kind:     hidden_global_offset_z
      - .offset:         208
        .size:           2
        .value_kind:     hidden_grid_dims
      - .offset:         264
        .size:           4
        .value_kind:     hidden_dynamic_lds_size
    .group_segment_fixed_size: 272
    .kernarg_segment_align: 8
    .kernarg_segment_size: 400
    .language:       OpenCL C
    .language_version:
      - 2
      - 0
    .max_flat_workgroup_size: 1024
    .name:           _ZN4vllm25paged_attention_v2_kernelIttLi128ELi32ELi128ELNS_18Fp8KVCacheDataTypeE0ELb0ELi512EEEvPfS2_PT_PKS3_PKT0_S9_ifPKiSB_iPKfiiiSD_SD_iiiii
    .private_segment_fixed_size: 0
    .sgpr_count:     49
    .sgpr_spill_count: 0
    .symbol:         _ZN4vllm25paged_attention_v2_kernelIttLi128ELi32ELi128ELNS_18Fp8KVCacheDataTypeE0ELb0ELi512EEEvPfS2_PT_PKS3_PKT0_S9_ifPKiSB_iPKfiiiSD_SD_iiiii.kd
    .uniform_work_group_size: 1
    .uses_dynamic_stack: false
    .vgpr_count:     79
    .vgpr_spill_count: 0
    .wavefront_size: 64
  - .agpr_count:     0
    .args:
      - .actual_access:  write_only
        .address_space:  global
        .offset:         0
        .size:           8
        .value_kind:     global_buffer
      - .actual_access:  write_only
        .address_space:  global
        .offset:         8
        .size:           8
        .value_kind:     global_buffer
      - .actual_access:  write_only
        .address_space:  global
        .offset:         16
        .size:           8
        .value_kind:     global_buffer
      - .actual_access:  read_only
        .address_space:  global
        .offset:         24
        .size:           8
        .value_kind:     global_buffer
      - .actual_access:  read_only
        .address_space:  global
        .offset:         32
        .size:           8
        .value_kind:     global_buffer
      - .actual_access:  read_only
        .address_space:  global
        .offset:         40
        .size:           8
        .value_kind:     global_buffer
      - .offset:         48
        .size:           4
        .value_kind:     by_value
      - .offset:         52
        .size:           4
        .value_kind:     by_value
      - .actual_access:  read_only
        .address_space:  global
        .offset:         56
        .size:           8
        .value_kind:     global_buffer
      - .actual_access:  read_only
        .address_space:  global
        .offset:         64
        .size:           8
        .value_kind:     global_buffer
      - .offset:         72
        .size:           4
        .value_kind:     by_value
      - .actual_access:  read_only
        .address_space:  global
        .offset:         80
        .size:           8
        .value_kind:     global_buffer
      - .offset:         88
        .size:           4
        .value_kind:     by_value
      - .offset:         92
        .size:           4
        .value_kind:     by_value
      - .offset:         96
        .size:           4
        .value_kind:     by_value
      - .address_space:  global
        .offset:         104
        .size:           8
        .value_kind:     global_buffer
      - .address_space:  global
        .offset:         112
        .size:           8
        .value_kind:     global_buffer
      - .offset:         120
        .size:           4
        .value_kind:     by_value
      - .offset:         124
        .size:           4
        .value_kind:     by_value
      - .offset:         128
        .size:           4
        .value_kind:     by_value
      - .offset:         132
        .size:           4
        .value_kind:     by_value
      - .offset:         136
        .size:           4
        .value_kind:     by_value
      - .offset:         144
        .size:           4
        .value_kind:     hidden_block_count_x
      - .offset:         148
        .size:           4
        .value_kind:     hidden_block_count_y
      - .offset:         152
        .size:           4
        .value_kind:     hidden_block_count_z
      - .offset:         156
        .size:           2
        .value_kind:     hidden_group_size_x
      - .offset:         158
        .size:           2
        .value_kind:     hidden_group_size_y
      - .offset:         160
        .size:           2
        .value_kind:     hidden_group_size_z
      - .offset:         162
        .size:           2
        .value_kind:     hidden_remainder_x
      - .offset:         164
        .size:           2
        .value_kind:     hidden_remainder_y
      - .offset:         166
        .size:           2
        .value_kind:     hidden_remainder_z
      - .offset:         184
        .size:           8
        .value_kind:     hidden_global_offset_x
      - .offset:         192
        .size:           8
        .value_kind:     hidden_global_offset_y
      - .offset:         200
        .size:           8
        .value_kind:     hidden_global_offset_z
      - .offset:         208
        .size:           2
        .value_kind:     hidden_grid_dims
      - .offset:         264
        .size:           4
        .value_kind:     hidden_dynamic_lds_size
    .group_segment_fixed_size: 400
    .kernarg_segment_align: 8
    .kernarg_segment_size: 400
    .language:       OpenCL C
    .language_version:
      - 2
      - 0
    .max_flat_workgroup_size: 1024
    .name:           _ZN4vllm25paged_attention_v2_kernelIttLi192ELi32ELi128ELNS_18Fp8KVCacheDataTypeE0ELb0ELi512EEEvPfS2_PT_PKS3_PKT0_S9_ifPKiSB_iPKfiiiSD_SD_iiiii
    .private_segment_fixed_size: 0
    .sgpr_count:     50
    .sgpr_spill_count: 0
    .symbol:         _ZN4vllm25paged_attention_v2_kernelIttLi192ELi32ELi128ELNS_18Fp8KVCacheDataTypeE0ELb0ELi512EEEvPfS2_PT_PKS3_PKT0_S9_ifPKiSB_iPKfiiiSD_SD_iiiii.kd
    .uniform_work_group_size: 1
    .uses_dynamic_stack: false
    .vgpr_count:     89
    .vgpr_spill_count: 0
    .wavefront_size: 64
  - .agpr_count:     0
    .args:
      - .actual_access:  write_only
        .address_space:  global
        .offset:         0
        .size:           8
        .value_kind:     global_buffer
      - .actual_access:  write_only
        .address_space:  global
        .offset:         8
        .size:           8
        .value_kind:     global_buffer
      - .actual_access:  write_only
        .address_space:  global
        .offset:         16
        .size:           8
        .value_kind:     global_buffer
      - .actual_access:  read_only
        .address_space:  global
        .offset:         24
        .size:           8
        .value_kind:     global_buffer
      - .actual_access:  read_only
        .address_space:  global
        .offset:         32
        .size:           8
        .value_kind:     global_buffer
      - .actual_access:  read_only
        .address_space:  global
        .offset:         40
        .size:           8
        .value_kind:     global_buffer
      - .offset:         48
        .size:           4
        .value_kind:     by_value
      - .offset:         52
        .size:           4
        .value_kind:     by_value
      - .actual_access:  read_only
        .address_space:  global
        .offset:         56
        .size:           8
        .value_kind:     global_buffer
      - .actual_access:  read_only
        .address_space:  global
        .offset:         64
        .size:           8
        .value_kind:     global_buffer
      - .offset:         72
        .size:           4
        .value_kind:     by_value
      - .actual_access:  read_only
        .address_space:  global
        .offset:         80
        .size:           8
        .value_kind:     global_buffer
      - .offset:         88
        .size:           4
        .value_kind:     by_value
      - .offset:         92
        .size:           4
        .value_kind:     by_value
      - .offset:         96
        .size:           4
        .value_kind:     by_value
      - .address_space:  global
        .offset:         104
        .size:           8
        .value_kind:     global_buffer
      - .address_space:  global
        .offset:         112
        .size:           8
        .value_kind:     global_buffer
      - .offset:         120
        .size:           4
        .value_kind:     by_value
      - .offset:         124
        .size:           4
        .value_kind:     by_value
      - .offset:         128
        .size:           4
        .value_kind:     by_value
      - .offset:         132
        .size:           4
        .value_kind:     by_value
      - .offset:         136
        .size:           4
        .value_kind:     by_value
      - .offset:         144
        .size:           4
        .value_kind:     hidden_block_count_x
      - .offset:         148
        .size:           4
        .value_kind:     hidden_block_count_y
      - .offset:         152
        .size:           4
        .value_kind:     hidden_block_count_z
      - .offset:         156
        .size:           2
        .value_kind:     hidden_group_size_x
      - .offset:         158
        .size:           2
        .value_kind:     hidden_group_size_y
      - .offset:         160
        .size:           2
        .value_kind:     hidden_group_size_z
      - .offset:         162
        .size:           2
        .value_kind:     hidden_remainder_x
      - .offset:         164
        .size:           2
        .value_kind:     hidden_remainder_y
      - .offset:         166
        .size:           2
        .value_kind:     hidden_remainder_z
      - .offset:         184
        .size:           8
        .value_kind:     hidden_global_offset_x
      - .offset:         192
        .size:           8
        .value_kind:     hidden_global_offset_y
      - .offset:         200
        .size:           8
        .value_kind:     hidden_global_offset_z
      - .offset:         208
        .size:           2
        .value_kind:     hidden_grid_dims
      - .offset:         264
        .size:           4
        .value_kind:     hidden_dynamic_lds_size
    .group_segment_fixed_size: 528
    .kernarg_segment_align: 8
    .kernarg_segment_size: 400
    .language:       OpenCL C
    .language_version:
      - 2
      - 0
    .max_flat_workgroup_size: 1024
    .name:           _ZN4vllm25paged_attention_v2_kernelIttLi256ELi32ELi128ELNS_18Fp8KVCacheDataTypeE0ELb0ELi512EEEvPfS2_PT_PKS3_PKT0_S9_ifPKiSB_iPKfiiiSD_SD_iiiii
    .private_segment_fixed_size: 0
    .sgpr_count:     53
    .sgpr_spill_count: 0
    .symbol:         _ZN4vllm25paged_attention_v2_kernelIttLi256ELi32ELi128ELNS_18Fp8KVCacheDataTypeE0ELb0ELi512EEEvPfS2_PT_PKS3_PKT0_S9_ifPKiSB_iPKfiiiSD_SD_iiiii.kd
    .uniform_work_group_size: 1
    .uses_dynamic_stack: false
    .vgpr_count:     106
    .vgpr_spill_count: 0
    .wavefront_size: 64
  - .agpr_count:     0
    .args:
      - .actual_access:  write_only
        .address_space:  global
        .offset:         0
        .size:           8
        .value_kind:     global_buffer
      - .actual_access:  write_only
        .address_space:  global
        .offset:         8
        .size:           8
        .value_kind:     global_buffer
      - .actual_access:  write_only
        .address_space:  global
        .offset:         16
        .size:           8
        .value_kind:     global_buffer
      - .actual_access:  read_only
        .address_space:  global
        .offset:         24
        .size:           8
        .value_kind:     global_buffer
      - .actual_access:  read_only
        .address_space:  global
        .offset:         32
        .size:           8
        .value_kind:     global_buffer
      - .actual_access:  read_only
        .address_space:  global
        .offset:         40
        .size:           8
        .value_kind:     global_buffer
      - .offset:         48
        .size:           4
        .value_kind:     by_value
      - .offset:         52
        .size:           4
        .value_kind:     by_value
      - .actual_access:  read_only
        .address_space:  global
        .offset:         56
        .size:           8
        .value_kind:     global_buffer
      - .actual_access:  read_only
        .address_space:  global
        .offset:         64
        .size:           8
        .value_kind:     global_buffer
      - .offset:         72
        .size:           4
        .value_kind:     by_value
      - .actual_access:  read_only
        .address_space:  global
        .offset:         80
        .size:           8
        .value_kind:     global_buffer
      - .offset:         88
        .size:           4
        .value_kind:     by_value
      - .offset:         92
        .size:           4
        .value_kind:     by_value
      - .offset:         96
        .size:           4
        .value_kind:     by_value
      - .address_space:  global
        .offset:         104
        .size:           8
        .value_kind:     global_buffer
      - .address_space:  global
        .offset:         112
        .size:           8
        .value_kind:     global_buffer
      - .offset:         120
        .size:           4
        .value_kind:     by_value
      - .offset:         124
        .size:           4
        .value_kind:     by_value
      - .offset:         128
        .size:           4
        .value_kind:     by_value
      - .offset:         132
        .size:           4
        .value_kind:     by_value
      - .offset:         136
        .size:           4
        .value_kind:     by_value
      - .offset:         144
        .size:           4
        .value_kind:     hidden_block_count_x
      - .offset:         148
        .size:           4
        .value_kind:     hidden_block_count_y
      - .offset:         152
        .size:           4
        .value_kind:     hidden_block_count_z
      - .offset:         156
        .size:           2
        .value_kind:     hidden_group_size_x
      - .offset:         158
        .size:           2
        .value_kind:     hidden_group_size_y
      - .offset:         160
        .size:           2
        .value_kind:     hidden_group_size_z
      - .offset:         162
        .size:           2
        .value_kind:     hidden_remainder_x
      - .offset:         164
        .size:           2
        .value_kind:     hidden_remainder_y
      - .offset:         166
        .size:           2
        .value_kind:     hidden_remainder_z
      - .offset:         184
        .size:           8
        .value_kind:     hidden_global_offset_x
      - .offset:         192
        .size:           8
        .value_kind:     hidden_global_offset_y
      - .offset:         200
        .size:           8
        .value_kind:     hidden_global_offset_z
      - .offset:         208
        .size:           2
        .value_kind:     hidden_grid_dims
      - .offset:         264
        .size:           4
        .value_kind:     hidden_dynamic_lds_size
    .group_segment_fixed_size: 80
    .kernarg_segment_align: 8
    .kernarg_segment_size: 400
    .language:       OpenCL C
    .language_version:
      - 2
      - 0
    .max_flat_workgroup_size: 1024
    .name:           _ZN4vllm25paged_attention_v2_kernelI14__hip_bfloat16S1_Li32ELi8ELi128ELNS_18Fp8KVCacheDataTypeE0ELb1ELi512EEEvPfS3_PT_PKS4_PKT0_SA_ifPKiSC_iPKfiiiSE_SE_iiiii
    .private_segment_fixed_size: 0
    .sgpr_count:     58
    .sgpr_spill_count: 0
    .symbol:         _ZN4vllm25paged_attention_v2_kernelI14__hip_bfloat16S1_Li32ELi8ELi128ELNS_18Fp8KVCacheDataTypeE0ELb1ELi512EEEvPfS3_PT_PKS4_PKT0_SA_ifPKiSC_iPKfiiiSE_SE_iiiii.kd
    .uniform_work_group_size: 1
    .uses_dynamic_stack: false
    .vgpr_count:     33
    .vgpr_spill_count: 0
    .wavefront_size: 64
  - .agpr_count:     0
    .args:
      - .actual_access:  write_only
        .address_space:  global
        .offset:         0
        .size:           8
        .value_kind:     global_buffer
      - .actual_access:  read_only
        .address_space:  global
        .offset:         8
        .size:           8
        .value_kind:     global_buffer
      - .actual_access:  read_only
        .address_space:  global
        .offset:         16
        .size:           8
        .value_kind:     global_buffer
      - .actual_access:  read_only
        .address_space:  global
        .offset:         24
        .size:           8
        .value_kind:     global_buffer
      - .actual_access:  read_only
        .address_space:  global
        .offset:         32
        .size:           8
        .value_kind:     global_buffer
      - .offset:         40
        .size:           4
        .value_kind:     by_value
      - .offset:         48
        .size:           4
        .value_kind:     hidden_block_count_x
      - .offset:         52
        .size:           4
        .value_kind:     hidden_block_count_y
      - .offset:         56
        .size:           4
        .value_kind:     hidden_block_count_z
      - .offset:         60
        .size:           2
        .value_kind:     hidden_group_size_x
      - .offset:         62
        .size:           2
        .value_kind:     hidden_group_size_y
      - .offset:         64
        .size:           2
        .value_kind:     hidden_group_size_z
      - .offset:         66
        .size:           2
        .value_kind:     hidden_remainder_x
      - .offset:         68
        .size:           2
        .value_kind:     hidden_remainder_y
      - .offset:         70
        .size:           2
        .value_kind:     hidden_remainder_z
      - .offset:         88
        .size:           8
        .value_kind:     hidden_global_offset_x
      - .offset:         96
        .size:           8
        .value_kind:     hidden_global_offset_y
      - .offset:         104
        .size:           8
        .value_kind:     hidden_global_offset_z
      - .offset:         112
        .size:           2
        .value_kind:     hidden_grid_dims
      - .offset:         168
        .size:           4
        .value_kind:     hidden_dynamic_lds_size
    .group_segment_fixed_size: 16
    .kernarg_segment_align: 8
    .kernarg_segment_size: 304
    .language:       OpenCL C
    .language_version:
      - 2
      - 0
    .max_flat_workgroup_size: 1024
    .name:           _ZN4vllm32paged_attention_v2_reduce_kernelI14__hip_bfloat16Li32ELi128ELi512EEEvPT_PKfS5_PKS2_PKii
    .private_segment_fixed_size: 0
    .sgpr_count:     38
    .sgpr_spill_count: 0
    .symbol:         _ZN4vllm32paged_attention_v2_reduce_kernelI14__hip_bfloat16Li32ELi128ELi512EEEvPT_PKfS5_PKS2_PKii.kd
    .uniform_work_group_size: 1
    .uses_dynamic_stack: false
    .vgpr_count:     23
    .vgpr_spill_count: 0
    .wavefront_size: 64
  - .agpr_count:     0
    .args:
      - .actual_access:  write_only
        .address_space:  global
        .offset:         0
        .size:           8
        .value_kind:     global_buffer
      - .actual_access:  write_only
        .address_space:  global
        .offset:         8
        .size:           8
        .value_kind:     global_buffer
      - .actual_access:  write_only
        .address_space:  global
        .offset:         16
        .size:           8
        .value_kind:     global_buffer
      - .actual_access:  read_only
        .address_space:  global
        .offset:         24
        .size:           8
        .value_kind:     global_buffer
      - .actual_access:  read_only
        .address_space:  global
        .offset:         32
        .size:           8
        .value_kind:     global_buffer
      - .actual_access:  read_only
        .address_space:  global
        .offset:         40
        .size:           8
        .value_kind:     global_buffer
      - .offset:         48
        .size:           4
        .value_kind:     by_value
      - .offset:         52
        .size:           4
        .value_kind:     by_value
      - .actual_access:  read_only
        .address_space:  global
        .offset:         56
        .size:           8
        .value_kind:     global_buffer
      - .actual_access:  read_only
        .address_space:  global
        .offset:         64
        .size:           8
        .value_kind:     global_buffer
      - .offset:         72
        .size:           4
        .value_kind:     by_value
      - .actual_access:  read_only
        .address_space:  global
        .offset:         80
        .size:           8
        .value_kind:     global_buffer
      - .offset:         88
        .size:           4
        .value_kind:     by_value
      - .offset:         92
        .size:           4
        .value_kind:     by_value
      - .offset:         96
        .size:           4
        .value_kind:     by_value
      - .address_space:  global
        .offset:         104
        .size:           8
        .value_kind:     global_buffer
      - .address_space:  global
        .offset:         112
        .size:           8
        .value_kind:     global_buffer
      - .offset:         120
        .size:           4
        .value_kind:     by_value
      - .offset:         124
        .size:           4
        .value_kind:     by_value
      - .offset:         128
        .size:           4
        .value_kind:     by_value
      - .offset:         132
        .size:           4
        .value_kind:     by_value
      - .offset:         136
        .size:           4
        .value_kind:     by_value
      - .offset:         144
        .size:           4
        .value_kind:     hidden_block_count_x
      - .offset:         148
        .size:           4
        .value_kind:     hidden_block_count_y
      - .offset:         152
        .size:           4
        .value_kind:     hidden_block_count_z
      - .offset:         156
        .size:           2
        .value_kind:     hidden_group_size_x
      - .offset:         158
        .size:           2
        .value_kind:     hidden_group_size_y
      - .offset:         160
        .size:           2
        .value_kind:     hidden_group_size_z
      - .offset:         162
        .size:           2
        .value_kind:     hidden_remainder_x
      - .offset:         164
        .size:           2
        .value_kind:     hidden_remainder_y
      - .offset:         166
        .size:           2
        .value_kind:     hidden_remainder_z
      - .offset:         184
        .size:           8
        .value_kind:     hidden_global_offset_x
      - .offset:         192
        .size:           8
        .value_kind:     hidden_global_offset_y
      - .offset:         200
        .size:           8
        .value_kind:     hidden_global_offset_z
      - .offset:         208
        .size:           2
        .value_kind:     hidden_grid_dims
      - .offset:         264
        .size:           4
        .value_kind:     hidden_dynamic_lds_size
    .group_segment_fixed_size: 144
    .kernarg_segment_align: 8
    .kernarg_segment_size: 400
    .language:       OpenCL C
    .language_version:
      - 2
      - 0
    .max_flat_workgroup_size: 1024
    .name:           _ZN4vllm25paged_attention_v2_kernelI14__hip_bfloat16S1_Li64ELi8ELi128ELNS_18Fp8KVCacheDataTypeE0ELb1ELi512EEEvPfS3_PT_PKS4_PKT0_SA_ifPKiSC_iPKfiiiSE_SE_iiiii
    .private_segment_fixed_size: 0
    .sgpr_count:     60
    .sgpr_spill_count: 0
    .symbol:         _ZN4vllm25paged_attention_v2_kernelI14__hip_bfloat16S1_Li64ELi8ELi128ELNS_18Fp8KVCacheDataTypeE0ELb1ELi512EEEvPfS3_PT_PKS4_PKT0_SA_ifPKiSC_iPKfiiiSE_SE_iiiii.kd
    .uniform_work_group_size: 1
    .uses_dynamic_stack: false
    .vgpr_count:     41
    .vgpr_spill_count: 0
    .wavefront_size: 64
  - .agpr_count:     0
    .args:
      - .actual_access:  write_only
        .address_space:  global
        .offset:         0
        .size:           8
        .value_kind:     global_buffer
      - .actual_access:  read_only
        .address_space:  global
        .offset:         8
        .size:           8
        .value_kind:     global_buffer
      - .actual_access:  read_only
        .address_space:  global
        .offset:         16
        .size:           8
        .value_kind:     global_buffer
      - .actual_access:  read_only
        .address_space:  global
        .offset:         24
        .size:           8
        .value_kind:     global_buffer
      - .actual_access:  read_only
        .address_space:  global
        .offset:         32
        .size:           8
        .value_kind:     global_buffer
      - .offset:         40
        .size:           4
        .value_kind:     by_value
      - .offset:         48
        .size:           4
        .value_kind:     hidden_block_count_x
      - .offset:         52
        .size:           4
        .value_kind:     hidden_block_count_y
      - .offset:         56
        .size:           4
        .value_kind:     hidden_block_count_z
      - .offset:         60
        .size:           2
        .value_kind:     hidden_group_size_x
      - .offset:         62
        .size:           2
        .value_kind:     hidden_group_size_y
      - .offset:         64
        .size:           2
        .value_kind:     hidden_group_size_z
      - .offset:         66
        .size:           2
        .value_kind:     hidden_remainder_x
      - .offset:         68
        .size:           2
        .value_kind:     hidden_remainder_y
      - .offset:         70
        .size:           2
        .value_kind:     hidden_remainder_z
      - .offset:         88
        .size:           8
        .value_kind:     hidden_global_offset_x
      - .offset:         96
        .size:           8
        .value_kind:     hidden_global_offset_y
      - .offset:         104
        .size:           8
        .value_kind:     hidden_global_offset_z
      - .offset:         112
        .size:           2
        .value_kind:     hidden_grid_dims
      - .offset:         168
        .size:           4
        .value_kind:     hidden_dynamic_lds_size
    .group_segment_fixed_size: 16
    .kernarg_segment_align: 8
    .kernarg_segment_size: 304
    .language:       OpenCL C
    .language_version:
      - 2
      - 0
    .max_flat_workgroup_size: 1024
    .name:           _ZN4vllm32paged_attention_v2_reduce_kernelI14__hip_bfloat16Li64ELi128ELi512EEEvPT_PKfS5_PKS2_PKii
    .private_segment_fixed_size: 0
    .sgpr_count:     38
    .sgpr_spill_count: 0
    .symbol:         _ZN4vllm32paged_attention_v2_reduce_kernelI14__hip_bfloat16Li64ELi128ELi512EEEvPT_PKfS5_PKS2_PKii.kd
    .uniform_work_group_size: 1
    .uses_dynamic_stack: false
    .vgpr_count:     26
    .vgpr_spill_count: 0
    .wavefront_size: 64
  - .agpr_count:     0
    .args:
      - .actual_access:  write_only
        .address_space:  global
        .offset:         0
        .size:           8
        .value_kind:     global_buffer
      - .actual_access:  write_only
        .address_space:  global
        .offset:         8
        .size:           8
        .value_kind:     global_buffer
      - .actual_access:  write_only
        .address_space:  global
        .offset:         16
        .size:           8
        .value_kind:     global_buffer
      - .actual_access:  read_only
        .address_space:  global
        .offset:         24
        .size:           8
        .value_kind:     global_buffer
      - .actual_access:  read_only
        .address_space:  global
        .offset:         32
        .size:           8
        .value_kind:     global_buffer
      - .actual_access:  read_only
        .address_space:  global
        .offset:         40
        .size:           8
        .value_kind:     global_buffer
      - .offset:         48
        .size:           4
        .value_kind:     by_value
      - .offset:         52
        .size:           4
        .value_kind:     by_value
      - .actual_access:  read_only
        .address_space:  global
        .offset:         56
        .size:           8
        .value_kind:     global_buffer
      - .actual_access:  read_only
        .address_space:  global
        .offset:         64
        .size:           8
        .value_kind:     global_buffer
      - .offset:         72
        .size:           4
        .value_kind:     by_value
      - .actual_access:  read_only
        .address_space:  global
        .offset:         80
        .size:           8
        .value_kind:     global_buffer
      - .offset:         88
        .size:           4
        .value_kind:     by_value
      - .offset:         92
        .size:           4
        .value_kind:     by_value
      - .offset:         96
        .size:           4
        .value_kind:     by_value
      - .address_space:  global
        .offset:         104
        .size:           8
        .value_kind:     global_buffer
      - .address_space:  global
        .offset:         112
        .size:           8
        .value_kind:     global_buffer
      - .offset:         120
        .size:           4
        .value_kind:     by_value
      - .offset:         124
        .size:           4
        .value_kind:     by_value
      - .offset:         128
        .size:           4
        .value_kind:     by_value
      - .offset:         132
        .size:           4
        .value_kind:     by_value
      - .offset:         136
        .size:           4
        .value_kind:     by_value
      - .offset:         144
        .size:           4
        .value_kind:     hidden_block_count_x
      - .offset:         148
        .size:           4
        .value_kind:     hidden_block_count_y
      - .offset:         152
        .size:           4
        .value_kind:     hidden_block_count_z
      - .offset:         156
        .size:           2
        .value_kind:     hidden_group_size_x
      - .offset:         158
        .size:           2
        .value_kind:     hidden_group_size_y
      - .offset:         160
        .size:           2
        .value_kind:     hidden_group_size_z
      - .offset:         162
        .size:           2
        .value_kind:     hidden_remainder_x
      - .offset:         164
        .size:           2
        .value_kind:     hidden_remainder_y
      - .offset:         166
        .size:           2
        .value_kind:     hidden_remainder_z
      - .offset:         184
        .size:           8
        .value_kind:     hidden_global_offset_x
      - .offset:         192
        .size:           8
        .value_kind:     hidden_global_offset_y
      - .offset:         200
        .size:           8
        .value_kind:     hidden_global_offset_z
      - .offset:         208
        .size:           2
        .value_kind:     hidden_grid_dims
      - .offset:         264
        .size:           4
        .value_kind:     hidden_dynamic_lds_size
    .group_segment_fixed_size: 176
    .kernarg_segment_align: 8
    .kernarg_segment_size: 400
    .language:       OpenCL C
    .language_version:
      - 2
      - 0
    .max_flat_workgroup_size: 1024
    .name:           _ZN4vllm25paged_attention_v2_kernelI14__hip_bfloat16S1_Li80ELi8ELi128ELNS_18Fp8KVCacheDataTypeE0ELb1ELi512EEEvPfS3_PT_PKS4_PKT0_SA_ifPKiSC_iPKfiiiSE_SE_iiiii
    .private_segment_fixed_size: 0
    .sgpr_count:     60
    .sgpr_spill_count: 0
    .symbol:         _ZN4vllm25paged_attention_v2_kernelI14__hip_bfloat16S1_Li80ELi8ELi128ELNS_18Fp8KVCacheDataTypeE0ELb1ELi512EEEvPfS3_PT_PKS4_PKT0_SA_ifPKiSC_iPKfiiiSE_SE_iiiii.kd
    .uniform_work_group_size: 1
    .uses_dynamic_stack: false
    .vgpr_count:     46
    .vgpr_spill_count: 0
    .wavefront_size: 64
  - .agpr_count:     0
    .args:
      - .actual_access:  write_only
        .address_space:  global
        .offset:         0
        .size:           8
        .value_kind:     global_buffer
      - .actual_access:  read_only
        .address_space:  global
        .offset:         8
        .size:           8
        .value_kind:     global_buffer
      - .actual_access:  read_only
        .address_space:  global
        .offset:         16
        .size:           8
        .value_kind:     global_buffer
      - .actual_access:  read_only
        .address_space:  global
        .offset:         24
        .size:           8
        .value_kind:     global_buffer
      - .actual_access:  read_only
        .address_space:  global
        .offset:         32
        .size:           8
        .value_kind:     global_buffer
      - .offset:         40
        .size:           4
        .value_kind:     by_value
      - .offset:         48
        .size:           4
        .value_kind:     hidden_block_count_x
      - .offset:         52
        .size:           4
        .value_kind:     hidden_block_count_y
      - .offset:         56
        .size:           4
        .value_kind:     hidden_block_count_z
      - .offset:         60
        .size:           2
        .value_kind:     hidden_group_size_x
      - .offset:         62
        .size:           2
        .value_kind:     hidden_group_size_y
      - .offset:         64
        .size:           2
        .value_kind:     hidden_group_size_z
      - .offset:         66
        .size:           2
        .value_kind:     hidden_remainder_x
      - .offset:         68
        .size:           2
        .value_kind:     hidden_remainder_y
      - .offset:         70
        .size:           2
        .value_kind:     hidden_remainder_z
      - .offset:         88
        .size:           8
        .value_kind:     hidden_global_offset_x
      - .offset:         96
        .size:           8
        .value_kind:     hidden_global_offset_y
      - .offset:         104
        .size:           8
        .value_kind:     hidden_global_offset_z
      - .offset:         112
        .size:           2
        .value_kind:     hidden_grid_dims
      - .offset:         168
        .size:           4
        .value_kind:     hidden_dynamic_lds_size
    .group_segment_fixed_size: 16
    .kernarg_segment_align: 8
    .kernarg_segment_size: 304
    .language:       OpenCL C
    .language_version:
      - 2
      - 0
    .max_flat_workgroup_size: 1024
    .name:           _ZN4vllm32paged_attention_v2_reduce_kernelI14__hip_bfloat16Li80ELi128ELi512EEEvPT_PKfS5_PKS2_PKii
    .private_segment_fixed_size: 0
    .sgpr_count:     38
    .sgpr_spill_count: 0
    .symbol:         _ZN4vllm32paged_attention_v2_reduce_kernelI14__hip_bfloat16Li80ELi128ELi512EEEvPT_PKfS5_PKS2_PKii.kd
    .uniform_work_group_size: 1
    .uses_dynamic_stack: false
    .vgpr_count:     26
    .vgpr_spill_count: 0
    .wavefront_size: 64
  - .agpr_count:     0
    .args:
      - .actual_access:  write_only
        .address_space:  global
        .offset:         0
        .size:           8
        .value_kind:     global_buffer
      - .actual_access:  write_only
        .address_space:  global
        .offset:         8
        .size:           8
        .value_kind:     global_buffer
      - .actual_access:  write_only
        .address_space:  global
        .offset:         16
        .size:           8
        .value_kind:     global_buffer
      - .actual_access:  read_only
        .address_space:  global
        .offset:         24
        .size:           8
        .value_kind:     global_buffer
      - .actual_access:  read_only
        .address_space:  global
        .offset:         32
        .size:           8
        .value_kind:     global_buffer
      - .actual_access:  read_only
        .address_space:  global
        .offset:         40
        .size:           8
        .value_kind:     global_buffer
      - .offset:         48
        .size:           4
        .value_kind:     by_value
      - .offset:         52
        .size:           4
        .value_kind:     by_value
      - .actual_access:  read_only
        .address_space:  global
        .offset:         56
        .size:           8
        .value_kind:     global_buffer
      - .actual_access:  read_only
        .address_space:  global
        .offset:         64
        .size:           8
        .value_kind:     global_buffer
      - .offset:         72
        .size:           4
        .value_kind:     by_value
      - .actual_access:  read_only
        .address_space:  global
        .offset:         80
        .size:           8
        .value_kind:     global_buffer
      - .offset:         88
        .size:           4
        .value_kind:     by_value
      - .offset:         92
        .size:           4
        .value_kind:     by_value
      - .offset:         96
        .size:           4
        .value_kind:     by_value
      - .address_space:  global
        .offset:         104
        .size:           8
        .value_kind:     global_buffer
      - .address_space:  global
        .offset:         112
        .size:           8
        .value_kind:     global_buffer
      - .offset:         120
        .size:           4
        .value_kind:     by_value
      - .offset:         124
        .size:           4
        .value_kind:     by_value
      - .offset:         128
        .size:           4
        .value_kind:     by_value
      - .offset:         132
        .size:           4
        .value_kind:     by_value
      - .offset:         136
        .size:           4
        .value_kind:     by_value
      - .offset:         144
        .size:           4
        .value_kind:     hidden_block_count_x
      - .offset:         148
        .size:           4
        .value_kind:     hidden_block_count_y
      - .offset:         152
        .size:           4
        .value_kind:     hidden_block_count_z
      - .offset:         156
        .size:           2
        .value_kind:     hidden_group_size_x
      - .offset:         158
        .size:           2
        .value_kind:     hidden_group_size_y
      - .offset:         160
        .size:           2
        .value_kind:     hidden_group_size_z
      - .offset:         162
        .size:           2
        .value_kind:     hidden_remainder_x
      - .offset:         164
        .size:           2
        .value_kind:     hidden_remainder_y
      - .offset:         166
        .size:           2
        .value_kind:     hidden_remainder_z
      - .offset:         184
        .size:           8
        .value_kind:     hidden_global_offset_x
      - .offset:         192
        .size:           8
        .value_kind:     hidden_global_offset_y
      - .offset:         200
        .size:           8
        .value_kind:     hidden_global_offset_z
      - .offset:         208
        .size:           2
        .value_kind:     hidden_grid_dims
      - .offset:         264
        .size:           4
        .value_kind:     hidden_dynamic_lds_size
    .group_segment_fixed_size: 208
    .kernarg_segment_align: 8
    .kernarg_segment_size: 400
    .language:       OpenCL C
    .language_version:
      - 2
      - 0
    .max_flat_workgroup_size: 1024
    .name:           _ZN4vllm25paged_attention_v2_kernelI14__hip_bfloat16S1_Li96ELi8ELi128ELNS_18Fp8KVCacheDataTypeE0ELb1ELi512EEEvPfS3_PT_PKS4_PKT0_SA_ifPKiSC_iPKfiiiSE_SE_iiiii
    .private_segment_fixed_size: 0
    .sgpr_count:     60
    .sgpr_spill_count: 0
    .symbol:         _ZN4vllm25paged_attention_v2_kernelI14__hip_bfloat16S1_Li96ELi8ELi128ELNS_18Fp8KVCacheDataTypeE0ELb1ELi512EEEvPfS3_PT_PKS4_PKT0_SA_ifPKiSC_iPKfiiiSE_SE_iiiii.kd
    .uniform_work_group_size: 1
    .uses_dynamic_stack: false
    .vgpr_count:     50
    .vgpr_spill_count: 0
    .wavefront_size: 64
  - .agpr_count:     0
    .args:
      - .actual_access:  write_only
        .address_space:  global
        .offset:         0
        .size:           8
        .value_kind:     global_buffer
      - .actual_access:  read_only
        .address_space:  global
        .offset:         8
        .size:           8
        .value_kind:     global_buffer
      - .actual_access:  read_only
        .address_space:  global
        .offset:         16
        .size:           8
        .value_kind:     global_buffer
      - .actual_access:  read_only
        .address_space:  global
        .offset:         24
        .size:           8
        .value_kind:     global_buffer
      - .actual_access:  read_only
        .address_space:  global
        .offset:         32
        .size:           8
        .value_kind:     global_buffer
      - .offset:         40
        .size:           4
        .value_kind:     by_value
      - .offset:         48
        .size:           4
        .value_kind:     hidden_block_count_x
      - .offset:         52
        .size:           4
        .value_kind:     hidden_block_count_y
      - .offset:         56
        .size:           4
        .value_kind:     hidden_block_count_z
      - .offset:         60
        .size:           2
        .value_kind:     hidden_group_size_x
      - .offset:         62
        .size:           2
        .value_kind:     hidden_group_size_y
      - .offset:         64
        .size:           2
        .value_kind:     hidden_group_size_z
      - .offset:         66
        .size:           2
        .value_kind:     hidden_remainder_x
      - .offset:         68
        .size:           2
        .value_kind:     hidden_remainder_y
      - .offset:         70
        .size:           2
        .value_kind:     hidden_remainder_z
      - .offset:         88
        .size:           8
        .value_kind:     hidden_global_offset_x
      - .offset:         96
        .size:           8
        .value_kind:     hidden_global_offset_y
      - .offset:         104
        .size:           8
        .value_kind:     hidden_global_offset_z
      - .offset:         112
        .size:           2
        .value_kind:     hidden_grid_dims
      - .offset:         168
        .size:           4
        .value_kind:     hidden_dynamic_lds_size
    .group_segment_fixed_size: 16
    .kernarg_segment_align: 8
    .kernarg_segment_size: 304
    .language:       OpenCL C
    .language_version:
      - 2
      - 0
    .max_flat_workgroup_size: 1024
    .name:           _ZN4vllm32paged_attention_v2_reduce_kernelI14__hip_bfloat16Li96ELi128ELi512EEEvPT_PKfS5_PKS2_PKii
    .private_segment_fixed_size: 0
    .sgpr_count:     38
    .sgpr_spill_count: 0
    .symbol:         _ZN4vllm32paged_attention_v2_reduce_kernelI14__hip_bfloat16Li96ELi128ELi512EEEvPT_PKfS5_PKS2_PKii.kd
    .uniform_work_group_size: 1
    .uses_dynamic_stack: false
    .vgpr_count:     26
    .vgpr_spill_count: 0
    .wavefront_size: 64
  - .agpr_count:     0
    .args:
      - .actual_access:  write_only
        .address_space:  global
        .offset:         0
        .size:           8
        .value_kind:     global_buffer
      - .actual_access:  write_only
        .address_space:  global
        .offset:         8
        .size:           8
        .value_kind:     global_buffer
      - .actual_access:  write_only
        .address_space:  global
        .offset:         16
        .size:           8
        .value_kind:     global_buffer
      - .actual_access:  read_only
        .address_space:  global
        .offset:         24
        .size:           8
        .value_kind:     global_buffer
      - .actual_access:  read_only
        .address_space:  global
        .offset:         32
        .size:           8
        .value_kind:     global_buffer
      - .actual_access:  read_only
        .address_space:  global
        .offset:         40
        .size:           8
        .value_kind:     global_buffer
      - .offset:         48
        .size:           4
        .value_kind:     by_value
      - .offset:         52
        .size:           4
        .value_kind:     by_value
      - .actual_access:  read_only
        .address_space:  global
        .offset:         56
        .size:           8
        .value_kind:     global_buffer
      - .actual_access:  read_only
        .address_space:  global
        .offset:         64
        .size:           8
        .value_kind:     global_buffer
      - .offset:         72
        .size:           4
        .value_kind:     by_value
      - .actual_access:  read_only
        .address_space:  global
        .offset:         80
        .size:           8
        .value_kind:     global_buffer
      - .offset:         88
        .size:           4
        .value_kind:     by_value
      - .offset:         92
        .size:           4
        .value_kind:     by_value
      - .offset:         96
        .size:           4
        .value_kind:     by_value
      - .address_space:  global
        .offset:         104
        .size:           8
        .value_kind:     global_buffer
      - .address_space:  global
        .offset:         112
        .size:           8
        .value_kind:     global_buffer
      - .offset:         120
        .size:           4
        .value_kind:     by_value
      - .offset:         124
        .size:           4
        .value_kind:     by_value
      - .offset:         128
        .size:           4
        .value_kind:     by_value
      - .offset:         132
        .size:           4
        .value_kind:     by_value
      - .offset:         136
        .size:           4
        .value_kind:     by_value
      - .offset:         144
        .size:           4
        .value_kind:     hidden_block_count_x
      - .offset:         148
        .size:           4
        .value_kind:     hidden_block_count_y
      - .offset:         152
        .size:           4
        .value_kind:     hidden_block_count_z
      - .offset:         156
        .size:           2
        .value_kind:     hidden_group_size_x
      - .offset:         158
        .size:           2
        .value_kind:     hidden_group_size_y
      - .offset:         160
        .size:           2
        .value_kind:     hidden_group_size_z
      - .offset:         162
        .size:           2
        .value_kind:     hidden_remainder_x
      - .offset:         164
        .size:           2
        .value_kind:     hidden_remainder_y
      - .offset:         166
        .size:           2
        .value_kind:     hidden_remainder_z
      - .offset:         184
        .size:           8
        .value_kind:     hidden_global_offset_x
      - .offset:         192
        .size:           8
        .value_kind:     hidden_global_offset_y
      - .offset:         200
        .size:           8
        .value_kind:     hidden_global_offset_z
      - .offset:         208
        .size:           2
        .value_kind:     hidden_grid_dims
      - .offset:         264
        .size:           4
        .value_kind:     hidden_dynamic_lds_size
    .group_segment_fixed_size: 240
    .kernarg_segment_align: 8
    .kernarg_segment_size: 400
    .language:       OpenCL C
    .language_version:
      - 2
      - 0
    .max_flat_workgroup_size: 1024
    .name:           _ZN4vllm25paged_attention_v2_kernelI14__hip_bfloat16S1_Li112ELi8ELi128ELNS_18Fp8KVCacheDataTypeE0ELb1ELi512EEEvPfS3_PT_PKS4_PKT0_SA_ifPKiSC_iPKfiiiSE_SE_iiiii
    .private_segment_fixed_size: 0
    .sgpr_count:     60
    .sgpr_spill_count: 0
    .symbol:         _ZN4vllm25paged_attention_v2_kernelI14__hip_bfloat16S1_Li112ELi8ELi128ELNS_18Fp8KVCacheDataTypeE0ELb1ELi512EEEvPfS3_PT_PKS4_PKT0_SA_ifPKiSC_iPKfiiiSE_SE_iiiii.kd
    .uniform_work_group_size: 1
    .uses_dynamic_stack: false
    .vgpr_count:     54
    .vgpr_spill_count: 0
    .wavefront_size: 64
  - .agpr_count:     0
    .args:
      - .actual_access:  write_only
        .address_space:  global
        .offset:         0
        .size:           8
        .value_kind:     global_buffer
      - .actual_access:  read_only
        .address_space:  global
        .offset:         8
        .size:           8
        .value_kind:     global_buffer
      - .actual_access:  read_only
        .address_space:  global
        .offset:         16
        .size:           8
        .value_kind:     global_buffer
      - .actual_access:  read_only
        .address_space:  global
        .offset:         24
        .size:           8
        .value_kind:     global_buffer
      - .actual_access:  read_only
        .address_space:  global
        .offset:         32
        .size:           8
        .value_kind:     global_buffer
      - .offset:         40
        .size:           4
        .value_kind:     by_value
      - .offset:         48
        .size:           4
        .value_kind:     hidden_block_count_x
      - .offset:         52
        .size:           4
        .value_kind:     hidden_block_count_y
      - .offset:         56
        .size:           4
        .value_kind:     hidden_block_count_z
      - .offset:         60
        .size:           2
        .value_kind:     hidden_group_size_x
      - .offset:         62
        .size:           2
        .value_kind:     hidden_group_size_y
      - .offset:         64
        .size:           2
        .value_kind:     hidden_group_size_z
      - .offset:         66
        .size:           2
        .value_kind:     hidden_remainder_x
      - .offset:         68
        .size:           2
        .value_kind:     hidden_remainder_y
      - .offset:         70
        .size:           2
        .value_kind:     hidden_remainder_z
      - .offset:         88
        .size:           8
        .value_kind:     hidden_global_offset_x
      - .offset:         96
        .size:           8
        .value_kind:     hidden_global_offset_y
      - .offset:         104
        .size:           8
        .value_kind:     hidden_global_offset_z
      - .offset:         112
        .size:           2
        .value_kind:     hidden_grid_dims
      - .offset:         168
        .size:           4
        .value_kind:     hidden_dynamic_lds_size
    .group_segment_fixed_size: 16
    .kernarg_segment_align: 8
    .kernarg_segment_size: 304
    .language:       OpenCL C
    .language_version:
      - 2
      - 0
    .max_flat_workgroup_size: 1024
    .name:           _ZN4vllm32paged_attention_v2_reduce_kernelI14__hip_bfloat16Li112ELi128ELi512EEEvPT_PKfS5_PKS2_PKii
    .private_segment_fixed_size: 0
    .sgpr_count:     38
    .sgpr_spill_count: 0
    .symbol:         _ZN4vllm32paged_attention_v2_reduce_kernelI14__hip_bfloat16Li112ELi128ELi512EEEvPT_PKfS5_PKS2_PKii.kd
    .uniform_work_group_size: 1
    .uses_dynamic_stack: false
    .vgpr_count:     26
    .vgpr_spill_count: 0
    .wavefront_size: 64
  - .agpr_count:     0
    .args:
      - .actual_access:  write_only
        .address_space:  global
        .offset:         0
        .size:           8
        .value_kind:     global_buffer
      - .actual_access:  write_only
        .address_space:  global
        .offset:         8
        .size:           8
        .value_kind:     global_buffer
      - .actual_access:  write_only
        .address_space:  global
        .offset:         16
        .size:           8
        .value_kind:     global_buffer
      - .actual_access:  read_only
        .address_space:  global
        .offset:         24
        .size:           8
        .value_kind:     global_buffer
      - .actual_access:  read_only
        .address_space:  global
        .offset:         32
        .size:           8
        .value_kind:     global_buffer
      - .actual_access:  read_only
        .address_space:  global
        .offset:         40
        .size:           8
        .value_kind:     global_buffer
      - .offset:         48
        .size:           4
        .value_kind:     by_value
      - .offset:         52
        .size:           4
        .value_kind:     by_value
      - .actual_access:  read_only
        .address_space:  global
        .offset:         56
        .size:           8
        .value_kind:     global_buffer
      - .actual_access:  read_only
        .address_space:  global
        .offset:         64
        .size:           8
        .value_kind:     global_buffer
      - .offset:         72
        .size:           4
        .value_kind:     by_value
      - .actual_access:  read_only
        .address_space:  global
        .offset:         80
        .size:           8
        .value_kind:     global_buffer
      - .offset:         88
        .size:           4
        .value_kind:     by_value
      - .offset:         92
        .size:           4
        .value_kind:     by_value
      - .offset:         96
        .size:           4
        .value_kind:     by_value
      - .address_space:  global
        .offset:         104
        .size:           8
        .value_kind:     global_buffer
      - .address_space:  global
        .offset:         112
        .size:           8
        .value_kind:     global_buffer
      - .offset:         120
        .size:           4
        .value_kind:     by_value
      - .offset:         124
        .size:           4
        .value_kind:     by_value
      - .offset:         128
        .size:           4
        .value_kind:     by_value
      - .offset:         132
        .size:           4
        .value_kind:     by_value
      - .offset:         136
        .size:           4
        .value_kind:     by_value
      - .offset:         144
        .size:           4
        .value_kind:     hidden_block_count_x
      - .offset:         148
        .size:           4
        .value_kind:     hidden_block_count_y
      - .offset:         152
        .size:           4
        .value_kind:     hidden_block_count_z
      - .offset:         156
        .size:           2
        .value_kind:     hidden_group_size_x
      - .offset:         158
        .size:           2
        .value_kind:     hidden_group_size_y
      - .offset:         160
        .size:           2
        .value_kind:     hidden_group_size_z
      - .offset:         162
        .size:           2
        .value_kind:     hidden_remainder_x
      - .offset:         164
        .size:           2
        .value_kind:     hidden_remainder_y
      - .offset:         166
        .size:           2
        .value_kind:     hidden_remainder_z
      - .offset:         184
        .size:           8
        .value_kind:     hidden_global_offset_x
      - .offset:         192
        .size:           8
        .value_kind:     hidden_global_offset_y
      - .offset:         200
        .size:           8
        .value_kind:     hidden_global_offset_z
      - .offset:         208
        .size:           2
        .value_kind:     hidden_grid_dims
      - .offset:         264
        .size:           4
        .value_kind:     hidden_dynamic_lds_size
    .group_segment_fixed_size: 256
    .kernarg_segment_align: 8
    .kernarg_segment_size: 400
    .language:       OpenCL C
    .language_version:
      - 2
      - 0
    .max_flat_workgroup_size: 1024
    .name:           _ZN4vllm25paged_attention_v2_kernelI14__hip_bfloat16S1_Li120ELi8ELi128ELNS_18Fp8KVCacheDataTypeE0ELb1ELi512EEEvPfS3_PT_PKS4_PKT0_SA_ifPKiSC_iPKfiiiSE_SE_iiiii
    .private_segment_fixed_size: 0
    .sgpr_count:     60
    .sgpr_spill_count: 0
    .symbol:         _ZN4vllm25paged_attention_v2_kernelI14__hip_bfloat16S1_Li120ELi8ELi128ELNS_18Fp8KVCacheDataTypeE0ELb1ELi512EEEvPfS3_PT_PKS4_PKT0_SA_ifPKiSC_iPKfiiiSE_SE_iiiii.kd
    .uniform_work_group_size: 1
    .uses_dynamic_stack: false
    .vgpr_count:     56
    .vgpr_spill_count: 0
    .wavefront_size: 64
  - .agpr_count:     0
    .args:
      - .actual_access:  write_only
        .address_space:  global
        .offset:         0
        .size:           8
        .value_kind:     global_buffer
      - .actual_access:  read_only
        .address_space:  global
        .offset:         8
        .size:           8
        .value_kind:     global_buffer
      - .actual_access:  read_only
        .address_space:  global
        .offset:         16
        .size:           8
        .value_kind:     global_buffer
      - .actual_access:  read_only
        .address_space:  global
        .offset:         24
        .size:           8
        .value_kind:     global_buffer
      - .actual_access:  read_only
        .address_space:  global
        .offset:         32
        .size:           8
        .value_kind:     global_buffer
      - .offset:         40
        .size:           4
        .value_kind:     by_value
      - .offset:         48
        .size:           4
        .value_kind:     hidden_block_count_x
      - .offset:         52
        .size:           4
        .value_kind:     hidden_block_count_y
      - .offset:         56
        .size:           4
        .value_kind:     hidden_block_count_z
      - .offset:         60
        .size:           2
        .value_kind:     hidden_group_size_x
      - .offset:         62
        .size:           2
        .value_kind:     hidden_group_size_y
      - .offset:         64
        .size:           2
        .value_kind:     hidden_group_size_z
      - .offset:         66
        .size:           2
        .value_kind:     hidden_remainder_x
      - .offset:         68
        .size:           2
        .value_kind:     hidden_remainder_y
      - .offset:         70
        .size:           2
        .value_kind:     hidden_remainder_z
      - .offset:         88
        .size:           8
        .value_kind:     hidden_global_offset_x
      - .offset:         96
        .size:           8
        .value_kind:     hidden_global_offset_y
      - .offset:         104
        .size:           8
        .value_kind:     hidden_global_offset_z
      - .offset:         112
        .size:           2
        .value_kind:     hidden_grid_dims
      - .offset:         168
        .size:           4
        .value_kind:     hidden_dynamic_lds_size
    .group_segment_fixed_size: 16
    .kernarg_segment_align: 8
    .kernarg_segment_size: 304
    .language:       OpenCL C
    .language_version:
      - 2
      - 0
    .max_flat_workgroup_size: 1024
    .name:           _ZN4vllm32paged_attention_v2_reduce_kernelI14__hip_bfloat16Li120ELi128ELi512EEEvPT_PKfS5_PKS2_PKii
    .private_segment_fixed_size: 0
    .sgpr_count:     38
    .sgpr_spill_count: 0
    .symbol:         _ZN4vllm32paged_attention_v2_reduce_kernelI14__hip_bfloat16Li120ELi128ELi512EEEvPT_PKfS5_PKS2_PKii.kd
    .uniform_work_group_size: 1
    .uses_dynamic_stack: false
    .vgpr_count:     26
    .vgpr_spill_count: 0
    .wavefront_size: 64
  - .agpr_count:     0
    .args:
      - .actual_access:  write_only
        .address_space:  global
        .offset:         0
        .size:           8
        .value_kind:     global_buffer
      - .actual_access:  write_only
        .address_space:  global
        .offset:         8
        .size:           8
        .value_kind:     global_buffer
      - .actual_access:  write_only
        .address_space:  global
        .offset:         16
        .size:           8
        .value_kind:     global_buffer
      - .actual_access:  read_only
        .address_space:  global
        .offset:         24
        .size:           8
        .value_kind:     global_buffer
      - .actual_access:  read_only
        .address_space:  global
        .offset:         32
        .size:           8
        .value_kind:     global_buffer
      - .actual_access:  read_only
        .address_space:  global
        .offset:         40
        .size:           8
        .value_kind:     global_buffer
      - .offset:         48
        .size:           4
        .value_kind:     by_value
      - .offset:         52
        .size:           4
        .value_kind:     by_value
      - .actual_access:  read_only
        .address_space:  global
        .offset:         56
        .size:           8
        .value_kind:     global_buffer
      - .actual_access:  read_only
        .address_space:  global
        .offset:         64
        .size:           8
        .value_kind:     global_buffer
      - .offset:         72
        .size:           4
        .value_kind:     by_value
      - .actual_access:  read_only
        .address_space:  global
        .offset:         80
        .size:           8
        .value_kind:     global_buffer
      - .offset:         88
        .size:           4
        .value_kind:     by_value
      - .offset:         92
        .size:           4
        .value_kind:     by_value
      - .offset:         96
        .size:           4
        .value_kind:     by_value
      - .address_space:  global
        .offset:         104
        .size:           8
        .value_kind:     global_buffer
      - .address_space:  global
        .offset:         112
        .size:           8
        .value_kind:     global_buffer
      - .offset:         120
        .size:           4
        .value_kind:     by_value
      - .offset:         124
        .size:           4
        .value_kind:     by_value
      - .offset:         128
        .size:           4
        .value_kind:     by_value
      - .offset:         132
        .size:           4
        .value_kind:     by_value
      - .offset:         136
        .size:           4
        .value_kind:     by_value
      - .offset:         144
        .size:           4
        .value_kind:     hidden_block_count_x
      - .offset:         148
        .size:           4
        .value_kind:     hidden_block_count_y
      - .offset:         152
        .size:           4
        .value_kind:     hidden_block_count_z
      - .offset:         156
        .size:           2
        .value_kind:     hidden_group_size_x
      - .offset:         158
        .size:           2
        .value_kind:     hidden_group_size_y
      - .offset:         160
        .size:           2
        .value_kind:     hidden_group_size_z
      - .offset:         162
        .size:           2
        .value_kind:     hidden_remainder_x
      - .offset:         164
        .size:           2
        .value_kind:     hidden_remainder_y
      - .offset:         166
        .size:           2
        .value_kind:     hidden_remainder_z
      - .offset:         184
        .size:           8
        .value_kind:     hidden_global_offset_x
      - .offset:         192
        .size:           8
        .value_kind:     hidden_global_offset_y
      - .offset:         200
        .size:           8
        .value_kind:     hidden_global_offset_z
      - .offset:         208
        .size:           2
        .value_kind:     hidden_grid_dims
      - .offset:         264
        .size:           4
        .value_kind:     hidden_dynamic_lds_size
    .group_segment_fixed_size: 272
    .kernarg_segment_align: 8
    .kernarg_segment_size: 400
    .language:       OpenCL C
    .language_version:
      - 2
      - 0
    .max_flat_workgroup_size: 1024
    .name:           _ZN4vllm25paged_attention_v2_kernelI14__hip_bfloat16S1_Li128ELi8ELi128ELNS_18Fp8KVCacheDataTypeE0ELb1ELi512EEEvPfS3_PT_PKS4_PKT0_SA_ifPKiSC_iPKfiiiSE_SE_iiiii
    .private_segment_fixed_size: 0
    .sgpr_count:     58
    .sgpr_spill_count: 0
    .symbol:         _ZN4vllm25paged_attention_v2_kernelI14__hip_bfloat16S1_Li128ELi8ELi128ELNS_18Fp8KVCacheDataTypeE0ELb1ELi512EEEvPfS3_PT_PKS4_PKT0_SA_ifPKiSC_iPKfiiiSE_SE_iiiii.kd
    .uniform_work_group_size: 1
    .uses_dynamic_stack: false
    .vgpr_count:     58
    .vgpr_spill_count: 0
    .wavefront_size: 64
  - .agpr_count:     0
    .args:
      - .actual_access:  write_only
        .address_space:  global
        .offset:         0
        .size:           8
        .value_kind:     global_buffer
      - .actual_access:  read_only
        .address_space:  global
        .offset:         8
        .size:           8
        .value_kind:     global_buffer
      - .actual_access:  read_only
        .address_space:  global
        .offset:         16
        .size:           8
        .value_kind:     global_buffer
      - .actual_access:  read_only
        .address_space:  global
        .offset:         24
        .size:           8
        .value_kind:     global_buffer
      - .actual_access:  read_only
        .address_space:  global
        .offset:         32
        .size:           8
        .value_kind:     global_buffer
      - .offset:         40
        .size:           4
        .value_kind:     by_value
      - .offset:         48
        .size:           4
        .value_kind:     hidden_block_count_x
      - .offset:         52
        .size:           4
        .value_kind:     hidden_block_count_y
      - .offset:         56
        .size:           4
        .value_kind:     hidden_block_count_z
      - .offset:         60
        .size:           2
        .value_kind:     hidden_group_size_x
      - .offset:         62
        .size:           2
        .value_kind:     hidden_group_size_y
      - .offset:         64
        .size:           2
        .value_kind:     hidden_group_size_z
      - .offset:         66
        .size:           2
        .value_kind:     hidden_remainder_x
      - .offset:         68
        .size:           2
        .value_kind:     hidden_remainder_y
      - .offset:         70
        .size:           2
        .value_kind:     hidden_remainder_z
      - .offset:         88
        .size:           8
        .value_kind:     hidden_global_offset_x
      - .offset:         96
        .size:           8
        .value_kind:     hidden_global_offset_y
      - .offset:         104
        .size:           8
        .value_kind:     hidden_global_offset_z
      - .offset:         112
        .size:           2
        .value_kind:     hidden_grid_dims
      - .offset:         168
        .size:           4
        .value_kind:     hidden_dynamic_lds_size
    .group_segment_fixed_size: 16
    .kernarg_segment_align: 8
    .kernarg_segment_size: 304
    .language:       OpenCL C
    .language_version:
      - 2
      - 0
    .max_flat_workgroup_size: 1024
    .name:           _ZN4vllm32paged_attention_v2_reduce_kernelI14__hip_bfloat16Li128ELi128ELi512EEEvPT_PKfS5_PKS2_PKii
    .private_segment_fixed_size: 0
    .sgpr_count:     38
    .sgpr_spill_count: 0
    .symbol:         _ZN4vllm32paged_attention_v2_reduce_kernelI14__hip_bfloat16Li128ELi128ELi512EEEvPT_PKfS5_PKS2_PKii.kd
    .uniform_work_group_size: 1
    .uses_dynamic_stack: false
    .vgpr_count:     26
    .vgpr_spill_count: 0
    .wavefront_size: 64
  - .agpr_count:     0
    .args:
      - .actual_access:  write_only
        .address_space:  global
        .offset:         0
        .size:           8
        .value_kind:     global_buffer
      - .actual_access:  write_only
        .address_space:  global
        .offset:         8
        .size:           8
        .value_kind:     global_buffer
      - .actual_access:  write_only
        .address_space:  global
        .offset:         16
        .size:           8
        .value_kind:     global_buffer
      - .actual_access:  read_only
        .address_space:  global
        .offset:         24
        .size:           8
        .value_kind:     global_buffer
      - .actual_access:  read_only
        .address_space:  global
        .offset:         32
        .size:           8
        .value_kind:     global_buffer
      - .actual_access:  read_only
        .address_space:  global
        .offset:         40
        .size:           8
        .value_kind:     global_buffer
      - .offset:         48
        .size:           4
        .value_kind:     by_value
      - .offset:         52
        .size:           4
        .value_kind:     by_value
      - .actual_access:  read_only
        .address_space:  global
        .offset:         56
        .size:           8
        .value_kind:     global_buffer
      - .actual_access:  read_only
        .address_space:  global
        .offset:         64
        .size:           8
        .value_kind:     global_buffer
      - .offset:         72
        .size:           4
        .value_kind:     by_value
      - .actual_access:  read_only
        .address_space:  global
        .offset:         80
        .size:           8
        .value_kind:     global_buffer
      - .offset:         88
        .size:           4
        .value_kind:     by_value
      - .offset:         92
        .size:           4
        .value_kind:     by_value
      - .offset:         96
        .size:           4
        .value_kind:     by_value
      - .address_space:  global
        .offset:         104
        .size:           8
        .value_kind:     global_buffer
      - .address_space:  global
        .offset:         112
        .size:           8
        .value_kind:     global_buffer
      - .offset:         120
        .size:           4
        .value_kind:     by_value
      - .offset:         124
        .size:           4
        .value_kind:     by_value
      - .offset:         128
        .size:           4
        .value_kind:     by_value
      - .offset:         132
        .size:           4
        .value_kind:     by_value
      - .offset:         136
        .size:           4
        .value_kind:     by_value
      - .offset:         144
        .size:           4
        .value_kind:     hidden_block_count_x
      - .offset:         148
        .size:           4
        .value_kind:     hidden_block_count_y
      - .offset:         152
        .size:           4
        .value_kind:     hidden_block_count_z
      - .offset:         156
        .size:           2
        .value_kind:     hidden_group_size_x
      - .offset:         158
        .size:           2
        .value_kind:     hidden_group_size_y
      - .offset:         160
        .size:           2
        .value_kind:     hidden_group_size_z
      - .offset:         162
        .size:           2
        .value_kind:     hidden_remainder_x
      - .offset:         164
        .size:           2
        .value_kind:     hidden_remainder_y
      - .offset:         166
        .size:           2
        .value_kind:     hidden_remainder_z
      - .offset:         184
        .size:           8
        .value_kind:     hidden_global_offset_x
      - .offset:         192
        .size:           8
        .value_kind:     hidden_global_offset_y
      - .offset:         200
        .size:           8
        .value_kind:     hidden_global_offset_z
      - .offset:         208
        .size:           2
        .value_kind:     hidden_grid_dims
      - .offset:         264
        .size:           4
        .value_kind:     hidden_dynamic_lds_size
    .group_segment_fixed_size: 400
    .kernarg_segment_align: 8
    .kernarg_segment_size: 400
    .language:       OpenCL C
    .language_version:
      - 2
      - 0
    .max_flat_workgroup_size: 1024
    .name:           _ZN4vllm25paged_attention_v2_kernelI14__hip_bfloat16S1_Li192ELi8ELi128ELNS_18Fp8KVCacheDataTypeE0ELb1ELi512EEEvPfS3_PT_PKS4_PKT0_SA_ifPKiSC_iPKfiiiSE_SE_iiiii
    .private_segment_fixed_size: 0
    .sgpr_count:     58
    .sgpr_spill_count: 0
    .symbol:         _ZN4vllm25paged_attention_v2_kernelI14__hip_bfloat16S1_Li192ELi8ELi128ELNS_18Fp8KVCacheDataTypeE0ELb1ELi512EEEvPfS3_PT_PKS4_PKT0_SA_ifPKiSC_iPKfiiiSE_SE_iiiii.kd
    .uniform_work_group_size: 1
    .uses_dynamic_stack: false
    .vgpr_count:     73
    .vgpr_spill_count: 0
    .wavefront_size: 64
  - .agpr_count:     0
    .args:
      - .actual_access:  write_only
        .address_space:  global
        .offset:         0
        .size:           8
        .value_kind:     global_buffer
      - .actual_access:  read_only
        .address_space:  global
        .offset:         8
        .size:           8
        .value_kind:     global_buffer
      - .actual_access:  read_only
        .address_space:  global
        .offset:         16
        .size:           8
        .value_kind:     global_buffer
      - .actual_access:  read_only
        .address_space:  global
        .offset:         24
        .size:           8
        .value_kind:     global_buffer
      - .actual_access:  read_only
        .address_space:  global
        .offset:         32
        .size:           8
        .value_kind:     global_buffer
      - .offset:         40
        .size:           4
        .value_kind:     by_value
      - .offset:         48
        .size:           4
        .value_kind:     hidden_block_count_x
      - .offset:         52
        .size:           4
        .value_kind:     hidden_block_count_y
      - .offset:         56
        .size:           4
        .value_kind:     hidden_block_count_z
      - .offset:         60
        .size:           2
        .value_kind:     hidden_group_size_x
      - .offset:         62
        .size:           2
        .value_kind:     hidden_group_size_y
      - .offset:         64
        .size:           2
        .value_kind:     hidden_group_size_z
      - .offset:         66
        .size:           2
        .value_kind:     hidden_remainder_x
      - .offset:         68
        .size:           2
        .value_kind:     hidden_remainder_y
      - .offset:         70
        .size:           2
        .value_kind:     hidden_remainder_z
      - .offset:         88
        .size:           8
        .value_kind:     hidden_global_offset_x
      - .offset:         96
        .size:           8
        .value_kind:     hidden_global_offset_y
      - .offset:         104
        .size:           8
        .value_kind:     hidden_global_offset_z
      - .offset:         112
        .size:           2
        .value_kind:     hidden_grid_dims
      - .offset:         168
        .size:           4
        .value_kind:     hidden_dynamic_lds_size
    .group_segment_fixed_size: 16
    .kernarg_segment_align: 8
    .kernarg_segment_size: 304
    .language:       OpenCL C
    .language_version:
      - 2
      - 0
    .max_flat_workgroup_size: 1024
    .name:           _ZN4vllm32paged_attention_v2_reduce_kernelI14__hip_bfloat16Li192ELi128ELi512EEEvPT_PKfS5_PKS2_PKii
    .private_segment_fixed_size: 0
    .sgpr_count:     38
    .sgpr_spill_count: 0
    .symbol:         _ZN4vllm32paged_attention_v2_reduce_kernelI14__hip_bfloat16Li192ELi128ELi512EEEvPT_PKfS5_PKS2_PKii.kd
    .uniform_work_group_size: 1
    .uses_dynamic_stack: false
    .vgpr_count:     26
    .vgpr_spill_count: 0
    .wavefront_size: 64
  - .agpr_count:     0
    .args:
      - .actual_access:  write_only
        .address_space:  global
        .offset:         0
        .size:           8
        .value_kind:     global_buffer
      - .actual_access:  write_only
        .address_space:  global
        .offset:         8
        .size:           8
        .value_kind:     global_buffer
      - .actual_access:  write_only
        .address_space:  global
        .offset:         16
        .size:           8
        .value_kind:     global_buffer
      - .actual_access:  read_only
        .address_space:  global
        .offset:         24
        .size:           8
        .value_kind:     global_buffer
      - .actual_access:  read_only
        .address_space:  global
        .offset:         32
        .size:           8
        .value_kind:     global_buffer
      - .actual_access:  read_only
        .address_space:  global
        .offset:         40
        .size:           8
        .value_kind:     global_buffer
      - .offset:         48
        .size:           4
        .value_kind:     by_value
      - .offset:         52
        .size:           4
        .value_kind:     by_value
      - .actual_access:  read_only
        .address_space:  global
        .offset:         56
        .size:           8
        .value_kind:     global_buffer
      - .actual_access:  read_only
        .address_space:  global
        .offset:         64
        .size:           8
        .value_kind:     global_buffer
      - .offset:         72
        .size:           4
        .value_kind:     by_value
      - .actual_access:  read_only
        .address_space:  global
        .offset:         80
        .size:           8
        .value_kind:     global_buffer
      - .offset:         88
        .size:           4
        .value_kind:     by_value
      - .offset:         92
        .size:           4
        .value_kind:     by_value
      - .offset:         96
        .size:           4
        .value_kind:     by_value
      - .address_space:  global
        .offset:         104
        .size:           8
        .value_kind:     global_buffer
      - .address_space:  global
        .offset:         112
        .size:           8
        .value_kind:     global_buffer
      - .offset:         120
        .size:           4
        .value_kind:     by_value
      - .offset:         124
        .size:           4
        .value_kind:     by_value
      - .offset:         128
        .size:           4
        .value_kind:     by_value
      - .offset:         132
        .size:           4
        .value_kind:     by_value
      - .offset:         136
        .size:           4
        .value_kind:     by_value
      - .offset:         144
        .size:           4
        .value_kind:     hidden_block_count_x
      - .offset:         148
        .size:           4
        .value_kind:     hidden_block_count_y
      - .offset:         152
        .size:           4
        .value_kind:     hidden_block_count_z
      - .offset:         156
        .size:           2
        .value_kind:     hidden_group_size_x
      - .offset:         158
        .size:           2
        .value_kind:     hidden_group_size_y
      - .offset:         160
        .size:           2
        .value_kind:     hidden_group_size_z
      - .offset:         162
        .size:           2
        .value_kind:     hidden_remainder_x
      - .offset:         164
        .size:           2
        .value_kind:     hidden_remainder_y
      - .offset:         166
        .size:           2
        .value_kind:     hidden_remainder_z
      - .offset:         184
        .size:           8
        .value_kind:     hidden_global_offset_x
      - .offset:         192
        .size:           8
        .value_kind:     hidden_global_offset_y
      - .offset:         200
        .size:           8
        .value_kind:     hidden_global_offset_z
      - .offset:         208
        .size:           2
        .value_kind:     hidden_grid_dims
      - .offset:         264
        .size:           4
        .value_kind:     hidden_dynamic_lds_size
    .group_segment_fixed_size: 528
    .kernarg_segment_align: 8
    .kernarg_segment_size: 400
    .language:       OpenCL C
    .language_version:
      - 2
      - 0
    .max_flat_workgroup_size: 1024
    .name:           _ZN4vllm25paged_attention_v2_kernelI14__hip_bfloat16S1_Li256ELi8ELi128ELNS_18Fp8KVCacheDataTypeE0ELb1ELi512EEEvPfS3_PT_PKS4_PKT0_SA_ifPKiSC_iPKfiiiSE_SE_iiiii
    .private_segment_fixed_size: 0
    .sgpr_count:     58
    .sgpr_spill_count: 0
    .symbol:         _ZN4vllm25paged_attention_v2_kernelI14__hip_bfloat16S1_Li256ELi8ELi128ELNS_18Fp8KVCacheDataTypeE0ELb1ELi512EEEvPfS3_PT_PKS4_PKT0_SA_ifPKiSC_iPKfiiiSE_SE_iiiii.kd
    .uniform_work_group_size: 1
    .uses_dynamic_stack: false
    .vgpr_count:     89
    .vgpr_spill_count: 0
    .wavefront_size: 64
  - .agpr_count:     0
    .args:
      - .actual_access:  write_only
        .address_space:  global
        .offset:         0
        .size:           8
        .value_kind:     global_buffer
      - .actual_access:  read_only
        .address_space:  global
        .offset:         8
        .size:           8
        .value_kind:     global_buffer
      - .actual_access:  read_only
        .address_space:  global
        .offset:         16
        .size:           8
        .value_kind:     global_buffer
      - .actual_access:  read_only
        .address_space:  global
        .offset:         24
        .size:           8
        .value_kind:     global_buffer
      - .actual_access:  read_only
        .address_space:  global
        .offset:         32
        .size:           8
        .value_kind:     global_buffer
      - .offset:         40
        .size:           4
        .value_kind:     by_value
      - .offset:         48
        .size:           4
        .value_kind:     hidden_block_count_x
      - .offset:         52
        .size:           4
        .value_kind:     hidden_block_count_y
      - .offset:         56
        .size:           4
        .value_kind:     hidden_block_count_z
      - .offset:         60
        .size:           2
        .value_kind:     hidden_group_size_x
      - .offset:         62
        .size:           2
        .value_kind:     hidden_group_size_y
      - .offset:         64
        .size:           2
        .value_kind:     hidden_group_size_z
      - .offset:         66
        .size:           2
        .value_kind:     hidden_remainder_x
      - .offset:         68
        .size:           2
        .value_kind:     hidden_remainder_y
      - .offset:         70
        .size:           2
        .value_kind:     hidden_remainder_z
      - .offset:         88
        .size:           8
        .value_kind:     hidden_global_offset_x
      - .offset:         96
        .size:           8
        .value_kind:     hidden_global_offset_y
      - .offset:         104
        .size:           8
        .value_kind:     hidden_global_offset_z
      - .offset:         112
        .size:           2
        .value_kind:     hidden_grid_dims
      - .offset:         168
        .size:           4
        .value_kind:     hidden_dynamic_lds_size
    .group_segment_fixed_size: 16
    .kernarg_segment_align: 8
    .kernarg_segment_size: 304
    .language:       OpenCL C
    .language_version:
      - 2
      - 0
    .max_flat_workgroup_size: 1024
    .name:           _ZN4vllm32paged_attention_v2_reduce_kernelI14__hip_bfloat16Li256ELi128ELi512EEEvPT_PKfS5_PKS2_PKii
    .private_segment_fixed_size: 0
    .sgpr_count:     38
    .sgpr_spill_count: 0
    .symbol:         _ZN4vllm32paged_attention_v2_reduce_kernelI14__hip_bfloat16Li256ELi128ELi512EEEvPT_PKfS5_PKS2_PKii.kd
    .uniform_work_group_size: 1
    .uses_dynamic_stack: false
    .vgpr_count:     26
    .vgpr_spill_count: 0
    .wavefront_size: 64
  - .agpr_count:     0
    .args:
      - .actual_access:  write_only
        .address_space:  global
        .offset:         0
        .size:           8
        .value_kind:     global_buffer
      - .actual_access:  write_only
        .address_space:  global
        .offset:         8
        .size:           8
        .value_kind:     global_buffer
      - .actual_access:  write_only
        .address_space:  global
        .offset:         16
        .size:           8
        .value_kind:     global_buffer
      - .actual_access:  read_only
        .address_space:  global
        .offset:         24
        .size:           8
        .value_kind:     global_buffer
      - .actual_access:  read_only
        .address_space:  global
        .offset:         32
        .size:           8
        .value_kind:     global_buffer
      - .actual_access:  read_only
        .address_space:  global
        .offset:         40
        .size:           8
        .value_kind:     global_buffer
      - .offset:         48
        .size:           4
        .value_kind:     by_value
      - .offset:         52
        .size:           4
        .value_kind:     by_value
      - .actual_access:  read_only
        .address_space:  global
        .offset:         56
        .size:           8
        .value_kind:     global_buffer
      - .actual_access:  read_only
        .address_space:  global
        .offset:         64
        .size:           8
        .value_kind:     global_buffer
      - .offset:         72
        .size:           4
        .value_kind:     by_value
      - .actual_access:  read_only
        .address_space:  global
        .offset:         80
        .size:           8
        .value_kind:     global_buffer
      - .offset:         88
        .size:           4
        .value_kind:     by_value
      - .offset:         92
        .size:           4
        .value_kind:     by_value
      - .offset:         96
        .size:           4
        .value_kind:     by_value
      - .address_space:  global
        .offset:         104
        .size:           8
        .value_kind:     global_buffer
      - .address_space:  global
        .offset:         112
        .size:           8
        .value_kind:     global_buffer
      - .offset:         120
        .size:           4
        .value_kind:     by_value
      - .offset:         124
        .size:           4
        .value_kind:     by_value
      - .offset:         128
        .size:           4
        .value_kind:     by_value
      - .offset:         132
        .size:           4
        .value_kind:     by_value
      - .offset:         136
        .size:           4
        .value_kind:     by_value
      - .offset:         144
        .size:           4
        .value_kind:     hidden_block_count_x
      - .offset:         148
        .size:           4
        .value_kind:     hidden_block_count_y
      - .offset:         152
        .size:           4
        .value_kind:     hidden_block_count_z
      - .offset:         156
        .size:           2
        .value_kind:     hidden_group_size_x
      - .offset:         158
        .size:           2
        .value_kind:     hidden_group_size_y
      - .offset:         160
        .size:           2
        .value_kind:     hidden_group_size_z
      - .offset:         162
        .size:           2
        .value_kind:     hidden_remainder_x
      - .offset:         164
        .size:           2
        .value_kind:     hidden_remainder_y
      - .offset:         166
        .size:           2
        .value_kind:     hidden_remainder_z
      - .offset:         184
        .size:           8
        .value_kind:     hidden_global_offset_x
      - .offset:         192
        .size:           8
        .value_kind:     hidden_global_offset_y
      - .offset:         200
        .size:           8
        .value_kind:     hidden_global_offset_z
      - .offset:         208
        .size:           2
        .value_kind:     hidden_grid_dims
      - .offset:         264
        .size:           4
        .value_kind:     hidden_dynamic_lds_size
    .group_segment_fixed_size: 80
    .kernarg_segment_align: 8
    .kernarg_segment_size: 400
    .language:       OpenCL C
    .language_version:
      - 2
      - 0
    .max_flat_workgroup_size: 1024
    .name:           _ZN4vllm25paged_attention_v2_kernelI14__hip_bfloat16S1_Li32ELi8ELi128ELNS_18Fp8KVCacheDataTypeE0ELb0ELi512EEEvPfS3_PT_PKS4_PKT0_SA_ifPKiSC_iPKfiiiSE_SE_iiiii
    .private_segment_fixed_size: 0
    .sgpr_count:     48
    .sgpr_spill_count: 0
    .symbol:         _ZN4vllm25paged_attention_v2_kernelI14__hip_bfloat16S1_Li32ELi8ELi128ELNS_18Fp8KVCacheDataTypeE0ELb0ELi512EEEvPfS3_PT_PKS4_PKT0_SA_ifPKiSC_iPKfiiiSE_SE_iiiii.kd
    .uniform_work_group_size: 1
    .uses_dynamic_stack: false
    .vgpr_count:     28
    .vgpr_spill_count: 0
    .wavefront_size: 64
  - .agpr_count:     0
    .args:
      - .actual_access:  write_only
        .address_space:  global
        .offset:         0
        .size:           8
        .value_kind:     global_buffer
      - .actual_access:  write_only
        .address_space:  global
        .offset:         8
        .size:           8
        .value_kind:     global_buffer
      - .actual_access:  write_only
        .address_space:  global
        .offset:         16
        .size:           8
        .value_kind:     global_buffer
      - .actual_access:  read_only
        .address_space:  global
        .offset:         24
        .size:           8
        .value_kind:     global_buffer
      - .actual_access:  read_only
        .address_space:  global
        .offset:         32
        .size:           8
        .value_kind:     global_buffer
      - .actual_access:  read_only
        .address_space:  global
        .offset:         40
        .size:           8
        .value_kind:     global_buffer
      - .offset:         48
        .size:           4
        .value_kind:     by_value
      - .offset:         52
        .size:           4
        .value_kind:     by_value
      - .actual_access:  read_only
        .address_space:  global
        .offset:         56
        .size:           8
        .value_kind:     global_buffer
      - .actual_access:  read_only
        .address_space:  global
        .offset:         64
        .size:           8
        .value_kind:     global_buffer
      - .offset:         72
        .size:           4
        .value_kind:     by_value
      - .actual_access:  read_only
        .address_space:  global
        .offset:         80
        .size:           8
        .value_kind:     global_buffer
      - .offset:         88
        .size:           4
        .value_kind:     by_value
      - .offset:         92
        .size:           4
        .value_kind:     by_value
      - .offset:         96
        .size:           4
        .value_kind:     by_value
      - .address_space:  global
        .offset:         104
        .size:           8
        .value_kind:     global_buffer
      - .address_space:  global
        .offset:         112
        .size:           8
        .value_kind:     global_buffer
      - .offset:         120
        .size:           4
        .value_kind:     by_value
      - .offset:         124
        .size:           4
        .value_kind:     by_value
      - .offset:         128
        .size:           4
        .value_kind:     by_value
      - .offset:         132
        .size:           4
        .value_kind:     by_value
      - .offset:         136
        .size:           4
        .value_kind:     by_value
      - .offset:         144
        .size:           4
        .value_kind:     hidden_block_count_x
      - .offset:         148
        .size:           4
        .value_kind:     hidden_block_count_y
      - .offset:         152
        .size:           4
        .value_kind:     hidden_block_count_z
      - .offset:         156
        .size:           2
        .value_kind:     hidden_group_size_x
      - .offset:         158
        .size:           2
        .value_kind:     hidden_group_size_y
      - .offset:         160
        .size:           2
        .value_kind:     hidden_group_size_z
      - .offset:         162
        .size:           2
        .value_kind:     hidden_remainder_x
      - .offset:         164
        .size:           2
        .value_kind:     hidden_remainder_y
      - .offset:         166
        .size:           2
        .value_kind:     hidden_remainder_z
      - .offset:         184
        .size:           8
        .value_kind:     hidden_global_offset_x
      - .offset:         192
        .size:           8
        .value_kind:     hidden_global_offset_y
      - .offset:         200
        .size:           8
        .value_kind:     hidden_global_offset_z
      - .offset:         208
        .size:           2
        .value_kind:     hidden_grid_dims
      - .offset:         264
        .size:           4
        .value_kind:     hidden_dynamic_lds_size
    .group_segment_fixed_size: 144
    .kernarg_segment_align: 8
    .kernarg_segment_size: 400
    .language:       OpenCL C
    .language_version:
      - 2
      - 0
    .max_flat_workgroup_size: 1024
    .name:           _ZN4vllm25paged_attention_v2_kernelI14__hip_bfloat16S1_Li64ELi8ELi128ELNS_18Fp8KVCacheDataTypeE0ELb0ELi512EEEvPfS3_PT_PKS4_PKT0_SA_ifPKiSC_iPKfiiiSE_SE_iiiii
    .private_segment_fixed_size: 0
    .sgpr_count:     50
    .sgpr_spill_count: 0
    .symbol:         _ZN4vllm25paged_attention_v2_kernelI14__hip_bfloat16S1_Li64ELi8ELi128ELNS_18Fp8KVCacheDataTypeE0ELb0ELi512EEEvPfS3_PT_PKS4_PKT0_SA_ifPKiSC_iPKfiiiSE_SE_iiiii.kd
    .uniform_work_group_size: 1
    .uses_dynamic_stack: false
    .vgpr_count:     36
    .vgpr_spill_count: 0
    .wavefront_size: 64
  - .agpr_count:     0
    .args:
      - .actual_access:  write_only
        .address_space:  global
        .offset:         0
        .size:           8
        .value_kind:     global_buffer
      - .actual_access:  write_only
        .address_space:  global
        .offset:         8
        .size:           8
        .value_kind:     global_buffer
      - .actual_access:  write_only
        .address_space:  global
        .offset:         16
        .size:           8
        .value_kind:     global_buffer
      - .actual_access:  read_only
        .address_space:  global
        .offset:         24
        .size:           8
        .value_kind:     global_buffer
      - .actual_access:  read_only
        .address_space:  global
        .offset:         32
        .size:           8
        .value_kind:     global_buffer
      - .actual_access:  read_only
        .address_space:  global
        .offset:         40
        .size:           8
        .value_kind:     global_buffer
      - .offset:         48
        .size:           4
        .value_kind:     by_value
      - .offset:         52
        .size:           4
        .value_kind:     by_value
      - .actual_access:  read_only
        .address_space:  global
        .offset:         56
        .size:           8
        .value_kind:     global_buffer
      - .actual_access:  read_only
        .address_space:  global
        .offset:         64
        .size:           8
        .value_kind:     global_buffer
      - .offset:         72
        .size:           4
        .value_kind:     by_value
      - .actual_access:  read_only
        .address_space:  global
        .offset:         80
        .size:           8
        .value_kind:     global_buffer
      - .offset:         88
        .size:           4
        .value_kind:     by_value
      - .offset:         92
        .size:           4
        .value_kind:     by_value
      - .offset:         96
        .size:           4
        .value_kind:     by_value
      - .address_space:  global
        .offset:         104
        .size:           8
        .value_kind:     global_buffer
      - .address_space:  global
        .offset:         112
        .size:           8
        .value_kind:     global_buffer
      - .offset:         120
        .size:           4
        .value_kind:     by_value
      - .offset:         124
        .size:           4
        .value_kind:     by_value
      - .offset:         128
        .size:           4
        .value_kind:     by_value
      - .offset:         132
        .size:           4
        .value_kind:     by_value
      - .offset:         136
        .size:           4
        .value_kind:     by_value
      - .offset:         144
        .size:           4
        .value_kind:     hidden_block_count_x
      - .offset:         148
        .size:           4
        .value_kind:     hidden_block_count_y
      - .offset:         152
        .size:           4
        .value_kind:     hidden_block_count_z
      - .offset:         156
        .size:           2
        .value_kind:     hidden_group_size_x
      - .offset:         158
        .size:           2
        .value_kind:     hidden_group_size_y
      - .offset:         160
        .size:           2
        .value_kind:     hidden_group_size_z
      - .offset:         162
        .size:           2
        .value_kind:     hidden_remainder_x
      - .offset:         164
        .size:           2
        .value_kind:     hidden_remainder_y
      - .offset:         166
        .size:           2
        .value_kind:     hidden_remainder_z
      - .offset:         184
        .size:           8
        .value_kind:     hidden_global_offset_x
      - .offset:         192
        .size:           8
        .value_kind:     hidden_global_offset_y
      - .offset:         200
        .size:           8
        .value_kind:     hidden_global_offset_z
      - .offset:         208
        .size:           2
        .value_kind:     hidden_grid_dims
      - .offset:         264
        .size:           4
        .value_kind:     hidden_dynamic_lds_size
    .group_segment_fixed_size: 176
    .kernarg_segment_align: 8
    .kernarg_segment_size: 400
    .language:       OpenCL C
    .language_version:
      - 2
      - 0
    .max_flat_workgroup_size: 1024
    .name:           _ZN4vllm25paged_attention_v2_kernelI14__hip_bfloat16S1_Li80ELi8ELi128ELNS_18Fp8KVCacheDataTypeE0ELb0ELi512EEEvPfS3_PT_PKS4_PKT0_SA_ifPKiSC_iPKfiiiSE_SE_iiiii
    .private_segment_fixed_size: 0
    .sgpr_count:     50
    .sgpr_spill_count: 0
    .symbol:         _ZN4vllm25paged_attention_v2_kernelI14__hip_bfloat16S1_Li80ELi8ELi128ELNS_18Fp8KVCacheDataTypeE0ELb0ELi512EEEvPfS3_PT_PKS4_PKT0_SA_ifPKiSC_iPKfiiiSE_SE_iiiii.kd
    .uniform_work_group_size: 1
    .uses_dynamic_stack: false
    .vgpr_count:     41
    .vgpr_spill_count: 0
    .wavefront_size: 64
  - .agpr_count:     0
    .args:
      - .actual_access:  write_only
        .address_space:  global
        .offset:         0
        .size:           8
        .value_kind:     global_buffer
      - .actual_access:  write_only
        .address_space:  global
        .offset:         8
        .size:           8
        .value_kind:     global_buffer
      - .actual_access:  write_only
        .address_space:  global
        .offset:         16
        .size:           8
        .value_kind:     global_buffer
      - .actual_access:  read_only
        .address_space:  global
        .offset:         24
        .size:           8
        .value_kind:     global_buffer
      - .actual_access:  read_only
        .address_space:  global
        .offset:         32
        .size:           8
        .value_kind:     global_buffer
      - .actual_access:  read_only
        .address_space:  global
        .offset:         40
        .size:           8
        .value_kind:     global_buffer
      - .offset:         48
        .size:           4
        .value_kind:     by_value
      - .offset:         52
        .size:           4
        .value_kind:     by_value
      - .actual_access:  read_only
        .address_space:  global
        .offset:         56
        .size:           8
        .value_kind:     global_buffer
      - .actual_access:  read_only
        .address_space:  global
        .offset:         64
        .size:           8
        .value_kind:     global_buffer
      - .offset:         72
        .size:           4
        .value_kind:     by_value
      - .actual_access:  read_only
        .address_space:  global
        .offset:         80
        .size:           8
        .value_kind:     global_buffer
      - .offset:         88
        .size:           4
        .value_kind:     by_value
      - .offset:         92
        .size:           4
        .value_kind:     by_value
      - .offset:         96
        .size:           4
        .value_kind:     by_value
      - .address_space:  global
        .offset:         104
        .size:           8
        .value_kind:     global_buffer
      - .address_space:  global
        .offset:         112
        .size:           8
        .value_kind:     global_buffer
      - .offset:         120
        .size:           4
        .value_kind:     by_value
      - .offset:         124
        .size:           4
        .value_kind:     by_value
      - .offset:         128
        .size:           4
        .value_kind:     by_value
      - .offset:         132
        .size:           4
        .value_kind:     by_value
      - .offset:         136
        .size:           4
        .value_kind:     by_value
      - .offset:         144
        .size:           4
        .value_kind:     hidden_block_count_x
      - .offset:         148
        .size:           4
        .value_kind:     hidden_block_count_y
      - .offset:         152
        .size:           4
        .value_kind:     hidden_block_count_z
      - .offset:         156
        .size:           2
        .value_kind:     hidden_group_size_x
      - .offset:         158
        .size:           2
        .value_kind:     hidden_group_size_y
      - .offset:         160
        .size:           2
        .value_kind:     hidden_group_size_z
      - .offset:         162
        .size:           2
        .value_kind:     hidden_remainder_x
      - .offset:         164
        .size:           2
        .value_kind:     hidden_remainder_y
      - .offset:         166
        .size:           2
        .value_kind:     hidden_remainder_z
      - .offset:         184
        .size:           8
        .value_kind:     hidden_global_offset_x
      - .offset:         192
        .size:           8
        .value_kind:     hidden_global_offset_y
      - .offset:         200
        .size:           8
        .value_kind:     hidden_global_offset_z
      - .offset:         208
        .size:           2
        .value_kind:     hidden_grid_dims
      - .offset:         264
        .size:           4
        .value_kind:     hidden_dynamic_lds_size
    .group_segment_fixed_size: 208
    .kernarg_segment_align: 8
    .kernarg_segment_size: 400
    .language:       OpenCL C
    .language_version:
      - 2
      - 0
    .max_flat_workgroup_size: 1024
    .name:           _ZN4vllm25paged_attention_v2_kernelI14__hip_bfloat16S1_Li96ELi8ELi128ELNS_18Fp8KVCacheDataTypeE0ELb0ELi512EEEvPfS3_PT_PKS4_PKT0_SA_ifPKiSC_iPKfiiiSE_SE_iiiii
    .private_segment_fixed_size: 0
    .sgpr_count:     50
    .sgpr_spill_count: 0
    .symbol:         _ZN4vllm25paged_attention_v2_kernelI14__hip_bfloat16S1_Li96ELi8ELi128ELNS_18Fp8KVCacheDataTypeE0ELb0ELi512EEEvPfS3_PT_PKS4_PKT0_SA_ifPKiSC_iPKfiiiSE_SE_iiiii.kd
    .uniform_work_group_size: 1
    .uses_dynamic_stack: false
    .vgpr_count:     45
    .vgpr_spill_count: 0
    .wavefront_size: 64
  - .agpr_count:     0
    .args:
      - .actual_access:  write_only
        .address_space:  global
        .offset:         0
        .size:           8
        .value_kind:     global_buffer
      - .actual_access:  write_only
        .address_space:  global
        .offset:         8
        .size:           8
        .value_kind:     global_buffer
      - .actual_access:  write_only
        .address_space:  global
        .offset:         16
        .size:           8
        .value_kind:     global_buffer
      - .actual_access:  read_only
        .address_space:  global
        .offset:         24
        .size:           8
        .value_kind:     global_buffer
      - .actual_access:  read_only
        .address_space:  global
        .offset:         32
        .size:           8
        .value_kind:     global_buffer
      - .actual_access:  read_only
        .address_space:  global
        .offset:         40
        .size:           8
        .value_kind:     global_buffer
      - .offset:         48
        .size:           4
        .value_kind:     by_value
      - .offset:         52
        .size:           4
        .value_kind:     by_value
      - .actual_access:  read_only
        .address_space:  global
        .offset:         56
        .size:           8
        .value_kind:     global_buffer
      - .actual_access:  read_only
        .address_space:  global
        .offset:         64
        .size:           8
        .value_kind:     global_buffer
      - .offset:         72
        .size:           4
        .value_kind:     by_value
      - .actual_access:  read_only
        .address_space:  global
        .offset:         80
        .size:           8
        .value_kind:     global_buffer
      - .offset:         88
        .size:           4
        .value_kind:     by_value
      - .offset:         92
        .size:           4
        .value_kind:     by_value
      - .offset:         96
        .size:           4
        .value_kind:     by_value
      - .address_space:  global
        .offset:         104
        .size:           8
        .value_kind:     global_buffer
      - .address_space:  global
        .offset:         112
        .size:           8
        .value_kind:     global_buffer
      - .offset:         120
        .size:           4
        .value_kind:     by_value
      - .offset:         124
        .size:           4
        .value_kind:     by_value
      - .offset:         128
        .size:           4
        .value_kind:     by_value
      - .offset:         132
        .size:           4
        .value_kind:     by_value
      - .offset:         136
        .size:           4
        .value_kind:     by_value
      - .offset:         144
        .size:           4
        .value_kind:     hidden_block_count_x
      - .offset:         148
        .size:           4
        .value_kind:     hidden_block_count_y
      - .offset:         152
        .size:           4
        .value_kind:     hidden_block_count_z
      - .offset:         156
        .size:           2
        .value_kind:     hidden_group_size_x
      - .offset:         158
        .size:           2
        .value_kind:     hidden_group_size_y
      - .offset:         160
        .size:           2
        .value_kind:     hidden_group_size_z
      - .offset:         162
        .size:           2
        .value_kind:     hidden_remainder_x
      - .offset:         164
        .size:           2
        .value_kind:     hidden_remainder_y
      - .offset:         166
        .size:           2
        .value_kind:     hidden_remainder_z
      - .offset:         184
        .size:           8
        .value_kind:     hidden_global_offset_x
      - .offset:         192
        .size:           8
        .value_kind:     hidden_global_offset_y
      - .offset:         200
        .size:           8
        .value_kind:     hidden_global_offset_z
      - .offset:         208
        .size:           2
        .value_kind:     hidden_grid_dims
      - .offset:         264
        .size:           4
        .value_kind:     hidden_dynamic_lds_size
    .group_segment_fixed_size: 240
    .kernarg_segment_align: 8
    .kernarg_segment_size: 400
    .language:       OpenCL C
    .language_version:
      - 2
      - 0
    .max_flat_workgroup_size: 1024
    .name:           _ZN4vllm25paged_attention_v2_kernelI14__hip_bfloat16S1_Li112ELi8ELi128ELNS_18Fp8KVCacheDataTypeE0ELb0ELi512EEEvPfS3_PT_PKS4_PKT0_SA_ifPKiSC_iPKfiiiSE_SE_iiiii
    .private_segment_fixed_size: 0
    .sgpr_count:     50
    .sgpr_spill_count: 0
    .symbol:         _ZN4vllm25paged_attention_v2_kernelI14__hip_bfloat16S1_Li112ELi8ELi128ELNS_18Fp8KVCacheDataTypeE0ELb0ELi512EEEvPfS3_PT_PKS4_PKT0_SA_ifPKiSC_iPKfiiiSE_SE_iiiii.kd
    .uniform_work_group_size: 1
    .uses_dynamic_stack: false
    .vgpr_count:     49
    .vgpr_spill_count: 0
    .wavefront_size: 64
  - .agpr_count:     0
    .args:
      - .actual_access:  write_only
        .address_space:  global
        .offset:         0
        .size:           8
        .value_kind:     global_buffer
      - .actual_access:  write_only
        .address_space:  global
        .offset:         8
        .size:           8
        .value_kind:     global_buffer
      - .actual_access:  write_only
        .address_space:  global
        .offset:         16
        .size:           8
        .value_kind:     global_buffer
      - .actual_access:  read_only
        .address_space:  global
        .offset:         24
        .size:           8
        .value_kind:     global_buffer
      - .actual_access:  read_only
        .address_space:  global
        .offset:         32
        .size:           8
        .value_kind:     global_buffer
      - .actual_access:  read_only
        .address_space:  global
        .offset:         40
        .size:           8
        .value_kind:     global_buffer
      - .offset:         48
        .size:           4
        .value_kind:     by_value
      - .offset:         52
        .size:           4
        .value_kind:     by_value
      - .actual_access:  read_only
        .address_space:  global
        .offset:         56
        .size:           8
        .value_kind:     global_buffer
      - .actual_access:  read_only
        .address_space:  global
        .offset:         64
        .size:           8
        .value_kind:     global_buffer
      - .offset:         72
        .size:           4
        .value_kind:     by_value
      - .actual_access:  read_only
        .address_space:  global
        .offset:         80
        .size:           8
        .value_kind:     global_buffer
      - .offset:         88
        .size:           4
        .value_kind:     by_value
      - .offset:         92
        .size:           4
        .value_kind:     by_value
      - .offset:         96
        .size:           4
        .value_kind:     by_value
      - .address_space:  global
        .offset:         104
        .size:           8
        .value_kind:     global_buffer
      - .address_space:  global
        .offset:         112
        .size:           8
        .value_kind:     global_buffer
      - .offset:         120
        .size:           4
        .value_kind:     by_value
      - .offset:         124
        .size:           4
        .value_kind:     by_value
      - .offset:         128
        .size:           4
        .value_kind:     by_value
      - .offset:         132
        .size:           4
        .value_kind:     by_value
      - .offset:         136
        .size:           4
        .value_kind:     by_value
      - .offset:         144
        .size:           4
        .value_kind:     hidden_block_count_x
      - .offset:         148
        .size:           4
        .value_kind:     hidden_block_count_y
      - .offset:         152
        .size:           4
        .value_kind:     hidden_block_count_z
      - .offset:         156
        .size:           2
        .value_kind:     hidden_group_size_x
      - .offset:         158
        .size:           2
        .value_kind:     hidden_group_size_y
      - .offset:         160
        .size:           2
        .value_kind:     hidden_group_size_z
      - .offset:         162
        .size:           2
        .value_kind:     hidden_remainder_x
      - .offset:         164
        .size:           2
        .value_kind:     hidden_remainder_y
      - .offset:         166
        .size:           2
        .value_kind:     hidden_remainder_z
      - .offset:         184
        .size:           8
        .value_kind:     hidden_global_offset_x
      - .offset:         192
        .size:           8
        .value_kind:     hidden_global_offset_y
      - .offset:         200
        .size:           8
        .value_kind:     hidden_global_offset_z
      - .offset:         208
        .size:           2
        .value_kind:     hidden_grid_dims
      - .offset:         264
        .size:           4
        .value_kind:     hidden_dynamic_lds_size
    .group_segment_fixed_size: 256
    .kernarg_segment_align: 8
    .kernarg_segment_size: 400
    .language:       OpenCL C
    .language_version:
      - 2
      - 0
    .max_flat_workgroup_size: 1024
    .name:           _ZN4vllm25paged_attention_v2_kernelI14__hip_bfloat16S1_Li120ELi8ELi128ELNS_18Fp8KVCacheDataTypeE0ELb0ELi512EEEvPfS3_PT_PKS4_PKT0_SA_ifPKiSC_iPKfiiiSE_SE_iiiii
    .private_segment_fixed_size: 0
    .sgpr_count:     50
    .sgpr_spill_count: 0
    .symbol:         _ZN4vllm25paged_attention_v2_kernelI14__hip_bfloat16S1_Li120ELi8ELi128ELNS_18Fp8KVCacheDataTypeE0ELb0ELi512EEEvPfS3_PT_PKS4_PKT0_SA_ifPKiSC_iPKfiiiSE_SE_iiiii.kd
    .uniform_work_group_size: 1
    .uses_dynamic_stack: false
    .vgpr_count:     51
    .vgpr_spill_count: 0
    .wavefront_size: 64
  - .agpr_count:     0
    .args:
      - .actual_access:  write_only
        .address_space:  global
        .offset:         0
        .size:           8
        .value_kind:     global_buffer
      - .actual_access:  write_only
        .address_space:  global
        .offset:         8
        .size:           8
        .value_kind:     global_buffer
      - .actual_access:  write_only
        .address_space:  global
        .offset:         16
        .size:           8
        .value_kind:     global_buffer
      - .actual_access:  read_only
        .address_space:  global
        .offset:         24
        .size:           8
        .value_kind:     global_buffer
      - .actual_access:  read_only
        .address_space:  global
        .offset:         32
        .size:           8
        .value_kind:     global_buffer
      - .actual_access:  read_only
        .address_space:  global
        .offset:         40
        .size:           8
        .value_kind:     global_buffer
      - .offset:         48
        .size:           4
        .value_kind:     by_value
      - .offset:         52
        .size:           4
        .value_kind:     by_value
      - .actual_access:  read_only
        .address_space:  global
        .offset:         56
        .size:           8
        .value_kind:     global_buffer
      - .actual_access:  read_only
        .address_space:  global
        .offset:         64
        .size:           8
        .value_kind:     global_buffer
      - .offset:         72
        .size:           4
        .value_kind:     by_value
      - .actual_access:  read_only
        .address_space:  global
        .offset:         80
        .size:           8
        .value_kind:     global_buffer
      - .offset:         88
        .size:           4
        .value_kind:     by_value
      - .offset:         92
        .size:           4
        .value_kind:     by_value
      - .offset:         96
        .size:           4
        .value_kind:     by_value
      - .address_space:  global
        .offset:         104
        .size:           8
        .value_kind:     global_buffer
      - .address_space:  global
        .offset:         112
        .size:           8
        .value_kind:     global_buffer
      - .offset:         120
        .size:           4
        .value_kind:     by_value
      - .offset:         124
        .size:           4
        .value_kind:     by_value
      - .offset:         128
        .size:           4
        .value_kind:     by_value
      - .offset:         132
        .size:           4
        .value_kind:     by_value
      - .offset:         136
        .size:           4
        .value_kind:     by_value
      - .offset:         144
        .size:           4
        .value_kind:     hidden_block_count_x
      - .offset:         148
        .size:           4
        .value_kind:     hidden_block_count_y
      - .offset:         152
        .size:           4
        .value_kind:     hidden_block_count_z
      - .offset:         156
        .size:           2
        .value_kind:     hidden_group_size_x
      - .offset:         158
        .size:           2
        .value_kind:     hidden_group_size_y
      - .offset:         160
        .size:           2
        .value_kind:     hidden_group_size_z
      - .offset:         162
        .size:           2
        .value_kind:     hidden_remainder_x
      - .offset:         164
        .size:           2
        .value_kind:     hidden_remainder_y
      - .offset:         166
        .size:           2
        .value_kind:     hidden_remainder_z
      - .offset:         184
        .size:           8
        .value_kind:     hidden_global_offset_x
      - .offset:         192
        .size:           8
        .value_kind:     hidden_global_offset_y
      - .offset:         200
        .size:           8
        .value_kind:     hidden_global_offset_z
      - .offset:         208
        .size:           2
        .value_kind:     hidden_grid_dims
      - .offset:         264
        .size:           4
        .value_kind:     hidden_dynamic_lds_size
    .group_segment_fixed_size: 272
    .kernarg_segment_align: 8
    .kernarg_segment_size: 400
    .language:       OpenCL C
    .language_version:
      - 2
      - 0
    .max_flat_workgroup_size: 1024
    .name:           _ZN4vllm25paged_attention_v2_kernelI14__hip_bfloat16S1_Li128ELi8ELi128ELNS_18Fp8KVCacheDataTypeE0ELb0ELi512EEEvPfS3_PT_PKS4_PKT0_SA_ifPKiSC_iPKfiiiSE_SE_iiiii
    .private_segment_fixed_size: 0
    .sgpr_count:     48
    .sgpr_spill_count: 0
    .symbol:         _ZN4vllm25paged_attention_v2_kernelI14__hip_bfloat16S1_Li128ELi8ELi128ELNS_18Fp8KVCacheDataTypeE0ELb0ELi512EEEvPfS3_PT_PKS4_PKT0_SA_ifPKiSC_iPKfiiiSE_SE_iiiii.kd
    .uniform_work_group_size: 1
    .uses_dynamic_stack: false
    .vgpr_count:     52
    .vgpr_spill_count: 0
    .wavefront_size: 64
  - .agpr_count:     0
    .args:
      - .actual_access:  write_only
        .address_space:  global
        .offset:         0
        .size:           8
        .value_kind:     global_buffer
      - .actual_access:  write_only
        .address_space:  global
        .offset:         8
        .size:           8
        .value_kind:     global_buffer
      - .actual_access:  write_only
        .address_space:  global
        .offset:         16
        .size:           8
        .value_kind:     global_buffer
      - .actual_access:  read_only
        .address_space:  global
        .offset:         24
        .size:           8
        .value_kind:     global_buffer
      - .actual_access:  read_only
        .address_space:  global
        .offset:         32
        .size:           8
        .value_kind:     global_buffer
      - .actual_access:  read_only
        .address_space:  global
        .offset:         40
        .size:           8
        .value_kind:     global_buffer
      - .offset:         48
        .size:           4
        .value_kind:     by_value
      - .offset:         52
        .size:           4
        .value_kind:     by_value
      - .actual_access:  read_only
        .address_space:  global
        .offset:         56
        .size:           8
        .value_kind:     global_buffer
      - .actual_access:  read_only
        .address_space:  global
        .offset:         64
        .size:           8
        .value_kind:     global_buffer
      - .offset:         72
        .size:           4
        .value_kind:     by_value
      - .actual_access:  read_only
        .address_space:  global
        .offset:         80
        .size:           8
        .value_kind:     global_buffer
      - .offset:         88
        .size:           4
        .value_kind:     by_value
      - .offset:         92
        .size:           4
        .value_kind:     by_value
      - .offset:         96
        .size:           4
        .value_kind:     by_value
      - .address_space:  global
        .offset:         104
        .size:           8
        .value_kind:     global_buffer
      - .address_space:  global
        .offset:         112
        .size:           8
        .value_kind:     global_buffer
      - .offset:         120
        .size:           4
        .value_kind:     by_value
      - .offset:         124
        .size:           4
        .value_kind:     by_value
      - .offset:         128
        .size:           4
        .value_kind:     by_value
      - .offset:         132
        .size:           4
        .value_kind:     by_value
      - .offset:         136
        .size:           4
        .value_kind:     by_value
      - .offset:         144
        .size:           4
        .value_kind:     hidden_block_count_x
      - .offset:         148
        .size:           4
        .value_kind:     hidden_block_count_y
      - .offset:         152
        .size:           4
        .value_kind:     hidden_block_count_z
      - .offset:         156
        .size:           2
        .value_kind:     hidden_group_size_x
      - .offset:         158
        .size:           2
        .value_kind:     hidden_group_size_y
      - .offset:         160
        .size:           2
        .value_kind:     hidden_group_size_z
      - .offset:         162
        .size:           2
        .value_kind:     hidden_remainder_x
      - .offset:         164
        .size:           2
        .value_kind:     hidden_remainder_y
      - .offset:         166
        .size:           2
        .value_kind:     hidden_remainder_z
      - .offset:         184
        .size:           8
        .value_kind:     hidden_global_offset_x
      - .offset:         192
        .size:           8
        .value_kind:     hidden_global_offset_y
      - .offset:         200
        .size:           8
        .value_kind:     hidden_global_offset_z
      - .offset:         208
        .size:           2
        .value_kind:     hidden_grid_dims
      - .offset:         264
        .size:           4
        .value_kind:     hidden_dynamic_lds_size
    .group_segment_fixed_size: 400
    .kernarg_segment_align: 8
    .kernarg_segment_size: 400
    .language:       OpenCL C
    .language_version:
      - 2
      - 0
    .max_flat_workgroup_size: 1024
    .name:           _ZN4vllm25paged_attention_v2_kernelI14__hip_bfloat16S1_Li192ELi8ELi128ELNS_18Fp8KVCacheDataTypeE0ELb0ELi512EEEvPfS3_PT_PKS4_PKT0_SA_ifPKiSC_iPKfiiiSE_SE_iiiii
    .private_segment_fixed_size: 0
    .sgpr_count:     50
    .sgpr_spill_count: 0
    .symbol:         _ZN4vllm25paged_attention_v2_kernelI14__hip_bfloat16S1_Li192ELi8ELi128ELNS_18Fp8KVCacheDataTypeE0ELb0ELi512EEEvPfS3_PT_PKS4_PKT0_SA_ifPKiSC_iPKfiiiSE_SE_iiiii.kd
    .uniform_work_group_size: 1
    .uses_dynamic_stack: false
    .vgpr_count:     67
    .vgpr_spill_count: 0
    .wavefront_size: 64
  - .agpr_count:     0
    .args:
      - .actual_access:  write_only
        .address_space:  global
        .offset:         0
        .size:           8
        .value_kind:     global_buffer
      - .actual_access:  write_only
        .address_space:  global
        .offset:         8
        .size:           8
        .value_kind:     global_buffer
      - .actual_access:  write_only
        .address_space:  global
        .offset:         16
        .size:           8
        .value_kind:     global_buffer
      - .actual_access:  read_only
        .address_space:  global
        .offset:         24
        .size:           8
        .value_kind:     global_buffer
      - .actual_access:  read_only
        .address_space:  global
        .offset:         32
        .size:           8
        .value_kind:     global_buffer
      - .actual_access:  read_only
        .address_space:  global
        .offset:         40
        .size:           8
        .value_kind:     global_buffer
      - .offset:         48
        .size:           4
        .value_kind:     by_value
      - .offset:         52
        .size:           4
        .value_kind:     by_value
      - .actual_access:  read_only
        .address_space:  global
        .offset:         56
        .size:           8
        .value_kind:     global_buffer
      - .actual_access:  read_only
        .address_space:  global
        .offset:         64
        .size:           8
        .value_kind:     global_buffer
      - .offset:         72
        .size:           4
        .value_kind:     by_value
      - .actual_access:  read_only
        .address_space:  global
        .offset:         80
        .size:           8
        .value_kind:     global_buffer
      - .offset:         88
        .size:           4
        .value_kind:     by_value
      - .offset:         92
        .size:           4
        .value_kind:     by_value
      - .offset:         96
        .size:           4
        .value_kind:     by_value
      - .address_space:  global
        .offset:         104
        .size:           8
        .value_kind:     global_buffer
      - .address_space:  global
        .offset:         112
        .size:           8
        .value_kind:     global_buffer
      - .offset:         120
        .size:           4
        .value_kind:     by_value
      - .offset:         124
        .size:           4
        .value_kind:     by_value
      - .offset:         128
        .size:           4
        .value_kind:     by_value
      - .offset:         132
        .size:           4
        .value_kind:     by_value
      - .offset:         136
        .size:           4
        .value_kind:     by_value
      - .offset:         144
        .size:           4
        .value_kind:     hidden_block_count_x
      - .offset:         148
        .size:           4
        .value_kind:     hidden_block_count_y
      - .offset:         152
        .size:           4
        .value_kind:     hidden_block_count_z
      - .offset:         156
        .size:           2
        .value_kind:     hidden_group_size_x
      - .offset:         158
        .size:           2
        .value_kind:     hidden_group_size_y
      - .offset:         160
        .size:           2
        .value_kind:     hidden_group_size_z
      - .offset:         162
        .size:           2
        .value_kind:     hidden_remainder_x
      - .offset:         164
        .size:           2
        .value_kind:     hidden_remainder_y
      - .offset:         166
        .size:           2
        .value_kind:     hidden_remainder_z
      - .offset:         184
        .size:           8
        .value_kind:     hidden_global_offset_x
      - .offset:         192
        .size:           8
        .value_kind:     hidden_global_offset_y
      - .offset:         200
        .size:           8
        .value_kind:     hidden_global_offset_z
      - .offset:         208
        .size:           2
        .value_kind:     hidden_grid_dims
      - .offset:         264
        .size:           4
        .value_kind:     hidden_dynamic_lds_size
    .group_segment_fixed_size: 528
    .kernarg_segment_align: 8
    .kernarg_segment_size: 400
    .language:       OpenCL C
    .language_version:
      - 2
      - 0
    .max_flat_workgroup_size: 1024
    .name:           _ZN4vllm25paged_attention_v2_kernelI14__hip_bfloat16S1_Li256ELi8ELi128ELNS_18Fp8KVCacheDataTypeE0ELb0ELi512EEEvPfS3_PT_PKS4_PKT0_SA_ifPKiSC_iPKfiiiSE_SE_iiiii
    .private_segment_fixed_size: 0
    .sgpr_count:     50
    .sgpr_spill_count: 0
    .symbol:         _ZN4vllm25paged_attention_v2_kernelI14__hip_bfloat16S1_Li256ELi8ELi128ELNS_18Fp8KVCacheDataTypeE0ELb0ELi512EEEvPfS3_PT_PKS4_PKT0_SA_ifPKiSC_iPKfiiiSE_SE_iiiii.kd
    .uniform_work_group_size: 1
    .uses_dynamic_stack: false
    .vgpr_count:     83
    .vgpr_spill_count: 0
    .wavefront_size: 64
  - .agpr_count:     0
    .args:
      - .actual_access:  write_only
        .address_space:  global
        .offset:         0
        .size:           8
        .value_kind:     global_buffer
      - .actual_access:  write_only
        .address_space:  global
        .offset:         8
        .size:           8
        .value_kind:     global_buffer
      - .actual_access:  write_only
        .address_space:  global
        .offset:         16
        .size:           8
        .value_kind:     global_buffer
      - .actual_access:  read_only
        .address_space:  global
        .offset:         24
        .size:           8
        .value_kind:     global_buffer
      - .actual_access:  read_only
        .address_space:  global
        .offset:         32
        .size:           8
        .value_kind:     global_buffer
      - .actual_access:  read_only
        .address_space:  global
        .offset:         40
        .size:           8
        .value_kind:     global_buffer
      - .offset:         48
        .size:           4
        .value_kind:     by_value
      - .offset:         52
        .size:           4
        .value_kind:     by_value
      - .actual_access:  read_only
        .address_space:  global
        .offset:         56
        .size:           8
        .value_kind:     global_buffer
      - .actual_access:  read_only
        .address_space:  global
        .offset:         64
        .size:           8
        .value_kind:     global_buffer
      - .offset:         72
        .size:           4
        .value_kind:     by_value
      - .actual_access:  read_only
        .address_space:  global
        .offset:         80
        .size:           8
        .value_kind:     global_buffer
      - .offset:         88
        .size:           4
        .value_kind:     by_value
      - .offset:         92
        .size:           4
        .value_kind:     by_value
      - .offset:         96
        .size:           4
        .value_kind:     by_value
      - .address_space:  global
        .offset:         104
        .size:           8
        .value_kind:     global_buffer
      - .address_space:  global
        .offset:         112
        .size:           8
        .value_kind:     global_buffer
      - .offset:         120
        .size:           4
        .value_kind:     by_value
      - .offset:         124
        .size:           4
        .value_kind:     by_value
      - .offset:         128
        .size:           4
        .value_kind:     by_value
      - .offset:         132
        .size:           4
        .value_kind:     by_value
      - .offset:         136
        .size:           4
        .value_kind:     by_value
      - .offset:         144
        .size:           4
        .value_kind:     hidden_block_count_x
      - .offset:         148
        .size:           4
        .value_kind:     hidden_block_count_y
      - .offset:         152
        .size:           4
        .value_kind:     hidden_block_count_z
      - .offset:         156
        .size:           2
        .value_kind:     hidden_group_size_x
      - .offset:         158
        .size:           2
        .value_kind:     hidden_group_size_y
      - .offset:         160
        .size:           2
        .value_kind:     hidden_group_size_z
      - .offset:         162
        .size:           2
        .value_kind:     hidden_remainder_x
      - .offset:         164
        .size:           2
        .value_kind:     hidden_remainder_y
      - .offset:         166
        .size:           2
        .value_kind:     hidden_remainder_z
      - .offset:         184
        .size:           8
        .value_kind:     hidden_global_offset_x
      - .offset:         192
        .size:           8
        .value_kind:     hidden_global_offset_y
      - .offset:         200
        .size:           8
        .value_kind:     hidden_global_offset_z
      - .offset:         208
        .size:           2
        .value_kind:     hidden_grid_dims
      - .offset:         264
        .size:           4
        .value_kind:     hidden_dynamic_lds_size
    .group_segment_fixed_size: 80
    .kernarg_segment_align: 8
    .kernarg_segment_size: 400
    .language:       OpenCL C
    .language_version:
      - 2
      - 0
    .max_flat_workgroup_size: 1024
    .name:           _ZN4vllm25paged_attention_v2_kernelI14__hip_bfloat16S1_Li32ELi16ELi128ELNS_18Fp8KVCacheDataTypeE0ELb1ELi512EEEvPfS3_PT_PKS4_PKT0_SA_ifPKiSC_iPKfiiiSE_SE_iiiii
    .private_segment_fixed_size: 0
    .sgpr_count:     58
    .sgpr_spill_count: 0
    .symbol:         _ZN4vllm25paged_attention_v2_kernelI14__hip_bfloat16S1_Li32ELi16ELi128ELNS_18Fp8KVCacheDataTypeE0ELb1ELi512EEEvPfS3_PT_PKS4_PKT0_SA_ifPKiSC_iPKfiiiSE_SE_iiiii.kd
    .uniform_work_group_size: 1
    .uses_dynamic_stack: false
    .vgpr_count:     40
    .vgpr_spill_count: 0
    .wavefront_size: 64
  - .agpr_count:     0
    .args:
      - .actual_access:  write_only
        .address_space:  global
        .offset:         0
        .size:           8
        .value_kind:     global_buffer
      - .actual_access:  write_only
        .address_space:  global
        .offset:         8
        .size:           8
        .value_kind:     global_buffer
      - .actual_access:  write_only
        .address_space:  global
        .offset:         16
        .size:           8
        .value_kind:     global_buffer
      - .actual_access:  read_only
        .address_space:  global
        .offset:         24
        .size:           8
        .value_kind:     global_buffer
      - .actual_access:  read_only
        .address_space:  global
        .offset:         32
        .size:           8
        .value_kind:     global_buffer
      - .actual_access:  read_only
        .address_space:  global
        .offset:         40
        .size:           8
        .value_kind:     global_buffer
      - .offset:         48
        .size:           4
        .value_kind:     by_value
      - .offset:         52
        .size:           4
        .value_kind:     by_value
      - .actual_access:  read_only
        .address_space:  global
        .offset:         56
        .size:           8
        .value_kind:     global_buffer
      - .actual_access:  read_only
        .address_space:  global
        .offset:         64
        .size:           8
        .value_kind:     global_buffer
      - .offset:         72
        .size:           4
        .value_kind:     by_value
      - .actual_access:  read_only
        .address_space:  global
        .offset:         80
        .size:           8
        .value_kind:     global_buffer
      - .offset:         88
        .size:           4
        .value_kind:     by_value
      - .offset:         92
        .size:           4
        .value_kind:     by_value
      - .offset:         96
        .size:           4
        .value_kind:     by_value
      - .address_space:  global
        .offset:         104
        .size:           8
        .value_kind:     global_buffer
      - .address_space:  global
        .offset:         112
        .size:           8
        .value_kind:     global_buffer
      - .offset:         120
        .size:           4
        .value_kind:     by_value
      - .offset:         124
        .size:           4
        .value_kind:     by_value
      - .offset:         128
        .size:           4
        .value_kind:     by_value
      - .offset:         132
        .size:           4
        .value_kind:     by_value
      - .offset:         136
        .size:           4
        .value_kind:     by_value
      - .offset:         144
        .size:           4
        .value_kind:     hidden_block_count_x
      - .offset:         148
        .size:           4
        .value_kind:     hidden_block_count_y
      - .offset:         152
        .size:           4
        .value_kind:     hidden_block_count_z
      - .offset:         156
        .size:           2
        .value_kind:     hidden_group_size_x
      - .offset:         158
        .size:           2
        .value_kind:     hidden_group_size_y
      - .offset:         160
        .size:           2
        .value_kind:     hidden_group_size_z
      - .offset:         162
        .size:           2
        .value_kind:     hidden_remainder_x
      - .offset:         164
        .size:           2
        .value_kind:     hidden_remainder_y
      - .offset:         166
        .size:           2
        .value_kind:     hidden_remainder_z
      - .offset:         184
        .size:           8
        .value_kind:     hidden_global_offset_x
      - .offset:         192
        .size:           8
        .value_kind:     hidden_global_offset_y
      - .offset:         200
        .size:           8
        .value_kind:     hidden_global_offset_z
      - .offset:         208
        .size:           2
        .value_kind:     hidden_grid_dims
      - .offset:         264
        .size:           4
        .value_kind:     hidden_dynamic_lds_size
    .group_segment_fixed_size: 144
    .kernarg_segment_align: 8
    .kernarg_segment_size: 400
    .language:       OpenCL C
    .language_version:
      - 2
      - 0
    .max_flat_workgroup_size: 1024
    .name:           _ZN4vllm25paged_attention_v2_kernelI14__hip_bfloat16S1_Li64ELi16ELi128ELNS_18Fp8KVCacheDataTypeE0ELb1ELi512EEEvPfS3_PT_PKS4_PKT0_SA_ifPKiSC_iPKfiiiSE_SE_iiiii
    .private_segment_fixed_size: 0
    .sgpr_count:     58
    .sgpr_spill_count: 0
    .symbol:         _ZN4vllm25paged_attention_v2_kernelI14__hip_bfloat16S1_Li64ELi16ELi128ELNS_18Fp8KVCacheDataTypeE0ELb1ELi512EEEvPfS3_PT_PKS4_PKT0_SA_ifPKiSC_iPKfiiiSE_SE_iiiii.kd
    .uniform_work_group_size: 1
    .uses_dynamic_stack: false
    .vgpr_count:     56
    .vgpr_spill_count: 0
    .wavefront_size: 64
  - .agpr_count:     0
    .args:
      - .actual_access:  write_only
        .address_space:  global
        .offset:         0
        .size:           8
        .value_kind:     global_buffer
      - .actual_access:  write_only
        .address_space:  global
        .offset:         8
        .size:           8
        .value_kind:     global_buffer
      - .actual_access:  write_only
        .address_space:  global
        .offset:         16
        .size:           8
        .value_kind:     global_buffer
      - .actual_access:  read_only
        .address_space:  global
        .offset:         24
        .size:           8
        .value_kind:     global_buffer
      - .actual_access:  read_only
        .address_space:  global
        .offset:         32
        .size:           8
        .value_kind:     global_buffer
      - .actual_access:  read_only
        .address_space:  global
        .offset:         40
        .size:           8
        .value_kind:     global_buffer
      - .offset:         48
        .size:           4
        .value_kind:     by_value
      - .offset:         52
        .size:           4
        .value_kind:     by_value
      - .actual_access:  read_only
        .address_space:  global
        .offset:         56
        .size:           8
        .value_kind:     global_buffer
      - .actual_access:  read_only
        .address_space:  global
        .offset:         64
        .size:           8
        .value_kind:     global_buffer
      - .offset:         72
        .size:           4
        .value_kind:     by_value
      - .actual_access:  read_only
        .address_space:  global
        .offset:         80
        .size:           8
        .value_kind:     global_buffer
      - .offset:         88
        .size:           4
        .value_kind:     by_value
      - .offset:         92
        .size:           4
        .value_kind:     by_value
      - .offset:         96
        .size:           4
        .value_kind:     by_value
      - .address_space:  global
        .offset:         104
        .size:           8
        .value_kind:     global_buffer
      - .address_space:  global
        .offset:         112
        .size:           8
        .value_kind:     global_buffer
      - .offset:         120
        .size:           4
        .value_kind:     by_value
      - .offset:         124
        .size:           4
        .value_kind:     by_value
      - .offset:         128
        .size:           4
        .value_kind:     by_value
      - .offset:         132
        .size:           4
        .value_kind:     by_value
      - .offset:         136
        .size:           4
        .value_kind:     by_value
      - .offset:         144
        .size:           4
        .value_kind:     hidden_block_count_x
      - .offset:         148
        .size:           4
        .value_kind:     hidden_block_count_y
      - .offset:         152
        .size:           4
        .value_kind:     hidden_block_count_z
      - .offset:         156
        .size:           2
        .value_kind:     hidden_group_size_x
      - .offset:         158
        .size:           2
        .value_kind:     hidden_group_size_y
      - .offset:         160
        .size:           2
        .value_kind:     hidden_group_size_z
      - .offset:         162
        .size:           2
        .value_kind:     hidden_remainder_x
      - .offset:         164
        .size:           2
        .value_kind:     hidden_remainder_y
      - .offset:         166
        .size:           2
        .value_kind:     hidden_remainder_z
      - .offset:         184
        .size:           8
        .value_kind:     hidden_global_offset_x
      - .offset:         192
        .size:           8
        .value_kind:     hidden_global_offset_y
      - .offset:         200
        .size:           8
        .value_kind:     hidden_global_offset_z
      - .offset:         208
        .size:           2
        .value_kind:     hidden_grid_dims
      - .offset:         264
        .size:           4
        .value_kind:     hidden_dynamic_lds_size
    .group_segment_fixed_size: 176
    .kernarg_segment_align: 8
    .kernarg_segment_size: 400
    .language:       OpenCL C
    .language_version:
      - 2
      - 0
    .max_flat_workgroup_size: 1024
    .name:           _ZN4vllm25paged_attention_v2_kernelI14__hip_bfloat16S1_Li80ELi16ELi128ELNS_18Fp8KVCacheDataTypeE0ELb1ELi512EEEvPfS3_PT_PKS4_PKT0_SA_ifPKiSC_iPKfiiiSE_SE_iiiii
    .private_segment_fixed_size: 0
    .sgpr_count:     58
    .sgpr_spill_count: 0
    .symbol:         _ZN4vllm25paged_attention_v2_kernelI14__hip_bfloat16S1_Li80ELi16ELi128ELNS_18Fp8KVCacheDataTypeE0ELb1ELi512EEEvPfS3_PT_PKS4_PKT0_SA_ifPKiSC_iPKfiiiSE_SE_iiiii.kd
    .uniform_work_group_size: 1
    .uses_dynamic_stack: false
    .vgpr_count:     63
    .vgpr_spill_count: 0
    .wavefront_size: 64
  - .agpr_count:     0
    .args:
      - .actual_access:  write_only
        .address_space:  global
        .offset:         0
        .size:           8
        .value_kind:     global_buffer
      - .actual_access:  write_only
        .address_space:  global
        .offset:         8
        .size:           8
        .value_kind:     global_buffer
      - .actual_access:  write_only
        .address_space:  global
        .offset:         16
        .size:           8
        .value_kind:     global_buffer
      - .actual_access:  read_only
        .address_space:  global
        .offset:         24
        .size:           8
        .value_kind:     global_buffer
      - .actual_access:  read_only
        .address_space:  global
        .offset:         32
        .size:           8
        .value_kind:     global_buffer
      - .actual_access:  read_only
        .address_space:  global
        .offset:         40
        .size:           8
        .value_kind:     global_buffer
      - .offset:         48
        .size:           4
        .value_kind:     by_value
      - .offset:         52
        .size:           4
        .value_kind:     by_value
      - .actual_access:  read_only
        .address_space:  global
        .offset:         56
        .size:           8
        .value_kind:     global_buffer
      - .actual_access:  read_only
        .address_space:  global
        .offset:         64
        .size:           8
        .value_kind:     global_buffer
      - .offset:         72
        .size:           4
        .value_kind:     by_value
      - .actual_access:  read_only
        .address_space:  global
        .offset:         80
        .size:           8
        .value_kind:     global_buffer
      - .offset:         88
        .size:           4
        .value_kind:     by_value
      - .offset:         92
        .size:           4
        .value_kind:     by_value
      - .offset:         96
        .size:           4
        .value_kind:     by_value
      - .address_space:  global
        .offset:         104
        .size:           8
        .value_kind:     global_buffer
      - .address_space:  global
        .offset:         112
        .size:           8
        .value_kind:     global_buffer
      - .offset:         120
        .size:           4
        .value_kind:     by_value
      - .offset:         124
        .size:           4
        .value_kind:     by_value
      - .offset:         128
        .size:           4
        .value_kind:     by_value
      - .offset:         132
        .size:           4
        .value_kind:     by_value
      - .offset:         136
        .size:           4
        .value_kind:     by_value
      - .offset:         144
        .size:           4
        .value_kind:     hidden_block_count_x
      - .offset:         148
        .size:           4
        .value_kind:     hidden_block_count_y
      - .offset:         152
        .size:           4
        .value_kind:     hidden_block_count_z
      - .offset:         156
        .size:           2
        .value_kind:     hidden_group_size_x
      - .offset:         158
        .size:           2
        .value_kind:     hidden_group_size_y
      - .offset:         160
        .size:           2
        .value_kind:     hidden_group_size_z
      - .offset:         162
        .size:           2
        .value_kind:     hidden_remainder_x
      - .offset:         164
        .size:           2
        .value_kind:     hidden_remainder_y
      - .offset:         166
        .size:           2
        .value_kind:     hidden_remainder_z
      - .offset:         184
        .size:           8
        .value_kind:     hidden_global_offset_x
      - .offset:         192
        .size:           8
        .value_kind:     hidden_global_offset_y
      - .offset:         200
        .size:           8
        .value_kind:     hidden_global_offset_z
      - .offset:         208
        .size:           2
        .value_kind:     hidden_grid_dims
      - .offset:         264
        .size:           4
        .value_kind:     hidden_dynamic_lds_size
    .group_segment_fixed_size: 208
    .kernarg_segment_align: 8
    .kernarg_segment_size: 400
    .language:       OpenCL C
    .language_version:
      - 2
      - 0
    .max_flat_workgroup_size: 1024
    .name:           _ZN4vllm25paged_attention_v2_kernelI14__hip_bfloat16S1_Li96ELi16ELi128ELNS_18Fp8KVCacheDataTypeE0ELb1ELi512EEEvPfS3_PT_PKS4_PKT0_SA_ifPKiSC_iPKfiiiSE_SE_iiiii
    .private_segment_fixed_size: 0
    .sgpr_count:     58
    .sgpr_spill_count: 0
    .symbol:         _ZN4vllm25paged_attention_v2_kernelI14__hip_bfloat16S1_Li96ELi16ELi128ELNS_18Fp8KVCacheDataTypeE0ELb1ELi512EEEvPfS3_PT_PKS4_PKT0_SA_ifPKiSC_iPKfiiiSE_SE_iiiii.kd
    .uniform_work_group_size: 1
    .uses_dynamic_stack: false
    .vgpr_count:     71
    .vgpr_spill_count: 0
    .wavefront_size: 64
  - .agpr_count:     0
    .args:
      - .actual_access:  write_only
        .address_space:  global
        .offset:         0
        .size:           8
        .value_kind:     global_buffer
      - .actual_access:  write_only
        .address_space:  global
        .offset:         8
        .size:           8
        .value_kind:     global_buffer
      - .actual_access:  write_only
        .address_space:  global
        .offset:         16
        .size:           8
        .value_kind:     global_buffer
      - .actual_access:  read_only
        .address_space:  global
        .offset:         24
        .size:           8
        .value_kind:     global_buffer
      - .actual_access:  read_only
        .address_space:  global
        .offset:         32
        .size:           8
        .value_kind:     global_buffer
      - .actual_access:  read_only
        .address_space:  global
        .offset:         40
        .size:           8
        .value_kind:     global_buffer
      - .offset:         48
        .size:           4
        .value_kind:     by_value
      - .offset:         52
        .size:           4
        .value_kind:     by_value
      - .actual_access:  read_only
        .address_space:  global
        .offset:         56
        .size:           8
        .value_kind:     global_buffer
      - .actual_access:  read_only
        .address_space:  global
        .offset:         64
        .size:           8
        .value_kind:     global_buffer
      - .offset:         72
        .size:           4
        .value_kind:     by_value
      - .actual_access:  read_only
        .address_space:  global
        .offset:         80
        .size:           8
        .value_kind:     global_buffer
      - .offset:         88
        .size:           4
        .value_kind:     by_value
      - .offset:         92
        .size:           4
        .value_kind:     by_value
      - .offset:         96
        .size:           4
        .value_kind:     by_value
      - .address_space:  global
        .offset:         104
        .size:           8
        .value_kind:     global_buffer
      - .address_space:  global
        .offset:         112
        .size:           8
        .value_kind:     global_buffer
      - .offset:         120
        .size:           4
        .value_kind:     by_value
      - .offset:         124
        .size:           4
        .value_kind:     by_value
      - .offset:         128
        .size:           4
        .value_kind:     by_value
      - .offset:         132
        .size:           4
        .value_kind:     by_value
      - .offset:         136
        .size:           4
        .value_kind:     by_value
      - .offset:         144
        .size:           4
        .value_kind:     hidden_block_count_x
      - .offset:         148
        .size:           4
        .value_kind:     hidden_block_count_y
      - .offset:         152
        .size:           4
        .value_kind:     hidden_block_count_z
      - .offset:         156
        .size:           2
        .value_kind:     hidden_group_size_x
      - .offset:         158
        .size:           2
        .value_kind:     hidden_group_size_y
      - .offset:         160
        .size:           2
        .value_kind:     hidden_group_size_z
      - .offset:         162
        .size:           2
        .value_kind:     hidden_remainder_x
      - .offset:         164
        .size:           2
        .value_kind:     hidden_remainder_y
      - .offset:         166
        .size:           2
        .value_kind:     hidden_remainder_z
      - .offset:         184
        .size:           8
        .value_kind:     hidden_global_offset_x
      - .offset:         192
        .size:           8
        .value_kind:     hidden_global_offset_y
      - .offset:         200
        .size:           8
        .value_kind:     hidden_global_offset_z
      - .offset:         208
        .size:           2
        .value_kind:     hidden_grid_dims
      - .offset:         264
        .size:           4
        .value_kind:     hidden_dynamic_lds_size
    .group_segment_fixed_size: 240
    .kernarg_segment_align: 8
    .kernarg_segment_size: 400
    .language:       OpenCL C
    .language_version:
      - 2
      - 0
    .max_flat_workgroup_size: 1024
    .name:           _ZN4vllm25paged_attention_v2_kernelI14__hip_bfloat16S1_Li112ELi16ELi128ELNS_18Fp8KVCacheDataTypeE0ELb1ELi512EEEvPfS3_PT_PKS4_PKT0_SA_ifPKiSC_iPKfiiiSE_SE_iiiii
    .private_segment_fixed_size: 0
    .sgpr_count:     58
    .sgpr_spill_count: 0
    .symbol:         _ZN4vllm25paged_attention_v2_kernelI14__hip_bfloat16S1_Li112ELi16ELi128ELNS_18Fp8KVCacheDataTypeE0ELb1ELi512EEEvPfS3_PT_PKS4_PKT0_SA_ifPKiSC_iPKfiiiSE_SE_iiiii.kd
    .uniform_work_group_size: 1
    .uses_dynamic_stack: false
    .vgpr_count:     79
    .vgpr_spill_count: 0
    .wavefront_size: 64
  - .agpr_count:     0
    .args:
      - .actual_access:  write_only
        .address_space:  global
        .offset:         0
        .size:           8
        .value_kind:     global_buffer
      - .actual_access:  write_only
        .address_space:  global
        .offset:         8
        .size:           8
        .value_kind:     global_buffer
      - .actual_access:  write_only
        .address_space:  global
        .offset:         16
        .size:           8
        .value_kind:     global_buffer
      - .actual_access:  read_only
        .address_space:  global
        .offset:         24
        .size:           8
        .value_kind:     global_buffer
      - .actual_access:  read_only
        .address_space:  global
        .offset:         32
        .size:           8
        .value_kind:     global_buffer
      - .actual_access:  read_only
        .address_space:  global
        .offset:         40
        .size:           8
        .value_kind:     global_buffer
      - .offset:         48
        .size:           4
        .value_kind:     by_value
      - .offset:         52
        .size:           4
        .value_kind:     by_value
      - .actual_access:  read_only
        .address_space:  global
        .offset:         56
        .size:           8
        .value_kind:     global_buffer
      - .actual_access:  read_only
        .address_space:  global
        .offset:         64
        .size:           8
        .value_kind:     global_buffer
      - .offset:         72
        .size:           4
        .value_kind:     by_value
      - .actual_access:  read_only
        .address_space:  global
        .offset:         80
        .size:           8
        .value_kind:     global_buffer
      - .offset:         88
        .size:           4
        .value_kind:     by_value
      - .offset:         92
        .size:           4
        .value_kind:     by_value
      - .offset:         96
        .size:           4
        .value_kind:     by_value
      - .address_space:  global
        .offset:         104
        .size:           8
        .value_kind:     global_buffer
      - .address_space:  global
        .offset:         112
        .size:           8
        .value_kind:     global_buffer
      - .offset:         120
        .size:           4
        .value_kind:     by_value
      - .offset:         124
        .size:           4
        .value_kind:     by_value
      - .offset:         128
        .size:           4
        .value_kind:     by_value
      - .offset:         132
        .size:           4
        .value_kind:     by_value
      - .offset:         136
        .size:           4
        .value_kind:     by_value
      - .offset:         144
        .size:           4
        .value_kind:     hidden_block_count_x
      - .offset:         148
        .size:           4
        .value_kind:     hidden_block_count_y
      - .offset:         152
        .size:           4
        .value_kind:     hidden_block_count_z
      - .offset:         156
        .size:           2
        .value_kind:     hidden_group_size_x
      - .offset:         158
        .size:           2
        .value_kind:     hidden_group_size_y
      - .offset:         160
        .size:           2
        .value_kind:     hidden_group_size_z
      - .offset:         162
        .size:           2
        .value_kind:     hidden_remainder_x
      - .offset:         164
        .size:           2
        .value_kind:     hidden_remainder_y
      - .offset:         166
        .size:           2
        .value_kind:     hidden_remainder_z
      - .offset:         184
        .size:           8
        .value_kind:     hidden_global_offset_x
      - .offset:         192
        .size:           8
        .value_kind:     hidden_global_offset_y
      - .offset:         200
        .size:           8
        .value_kind:     hidden_global_offset_z
      - .offset:         208
        .size:           2
        .value_kind:     hidden_grid_dims
      - .offset:         264
        .size:           4
        .value_kind:     hidden_dynamic_lds_size
    .group_segment_fixed_size: 256
    .kernarg_segment_align: 8
    .kernarg_segment_size: 400
    .language:       OpenCL C
    .language_version:
      - 2
      - 0
    .max_flat_workgroup_size: 1024
    .name:           _ZN4vllm25paged_attention_v2_kernelI14__hip_bfloat16S1_Li120ELi16ELi128ELNS_18Fp8KVCacheDataTypeE0ELb1ELi512EEEvPfS3_PT_PKS4_PKT0_SA_ifPKiSC_iPKfiiiSE_SE_iiiii
    .private_segment_fixed_size: 0
    .sgpr_count:     58
    .sgpr_spill_count: 0
    .symbol:         _ZN4vllm25paged_attention_v2_kernelI14__hip_bfloat16S1_Li120ELi16ELi128ELNS_18Fp8KVCacheDataTypeE0ELb1ELi512EEEvPfS3_PT_PKS4_PKT0_SA_ifPKiSC_iPKfiiiSE_SE_iiiii.kd
    .uniform_work_group_size: 1
    .uses_dynamic_stack: false
    .vgpr_count:     84
    .vgpr_spill_count: 0
    .wavefront_size: 64
  - .agpr_count:     0
    .args:
      - .actual_access:  write_only
        .address_space:  global
        .offset:         0
        .size:           8
        .value_kind:     global_buffer
      - .actual_access:  write_only
        .address_space:  global
        .offset:         8
        .size:           8
        .value_kind:     global_buffer
      - .actual_access:  write_only
        .address_space:  global
        .offset:         16
        .size:           8
        .value_kind:     global_buffer
      - .actual_access:  read_only
        .address_space:  global
        .offset:         24
        .size:           8
        .value_kind:     global_buffer
      - .actual_access:  read_only
        .address_space:  global
        .offset:         32
        .size:           8
        .value_kind:     global_buffer
      - .actual_access:  read_only
        .address_space:  global
        .offset:         40
        .size:           8
        .value_kind:     global_buffer
      - .offset:         48
        .size:           4
        .value_kind:     by_value
      - .offset:         52
        .size:           4
        .value_kind:     by_value
      - .actual_access:  read_only
        .address_space:  global
        .offset:         56
        .size:           8
        .value_kind:     global_buffer
      - .actual_access:  read_only
        .address_space:  global
        .offset:         64
        .size:           8
        .value_kind:     global_buffer
      - .offset:         72
        .size:           4
        .value_kind:     by_value
      - .actual_access:  read_only
        .address_space:  global
        .offset:         80
        .size:           8
        .value_kind:     global_buffer
      - .offset:         88
        .size:           4
        .value_kind:     by_value
      - .offset:         92
        .size:           4
        .value_kind:     by_value
      - .offset:         96
        .size:           4
        .value_kind:     by_value
      - .address_space:  global
        .offset:         104
        .size:           8
        .value_kind:     global_buffer
      - .address_space:  global
        .offset:         112
        .size:           8
        .value_kind:     global_buffer
      - .offset:         120
        .size:           4
        .value_kind:     by_value
      - .offset:         124
        .size:           4
        .value_kind:     by_value
      - .offset:         128
        .size:           4
        .value_kind:     by_value
      - .offset:         132
        .size:           4
        .value_kind:     by_value
      - .offset:         136
        .size:           4
        .value_kind:     by_value
      - .offset:         144
        .size:           4
        .value_kind:     hidden_block_count_x
      - .offset:         148
        .size:           4
        .value_kind:     hidden_block_count_y
      - .offset:         152
        .size:           4
        .value_kind:     hidden_block_count_z
      - .offset:         156
        .size:           2
        .value_kind:     hidden_group_size_x
      - .offset:         158
        .size:           2
        .value_kind:     hidden_group_size_y
      - .offset:         160
        .size:           2
        .value_kind:     hidden_group_size_z
      - .offset:         162
        .size:           2
        .value_kind:     hidden_remainder_x
      - .offset:         164
        .size:           2
        .value_kind:     hidden_remainder_y
      - .offset:         166
        .size:           2
        .value_kind:     hidden_remainder_z
      - .offset:         184
        .size:           8
        .value_kind:     hidden_global_offset_x
      - .offset:         192
        .size:           8
        .value_kind:     hidden_global_offset_y
      - .offset:         200
        .size:           8
        .value_kind:     hidden_global_offset_z
      - .offset:         208
        .size:           2
        .value_kind:     hidden_grid_dims
      - .offset:         264
        .size:           4
        .value_kind:     hidden_dynamic_lds_size
    .group_segment_fixed_size: 272
    .kernarg_segment_align: 8
    .kernarg_segment_size: 400
    .language:       OpenCL C
    .language_version:
      - 2
      - 0
    .max_flat_workgroup_size: 1024
    .name:           _ZN4vllm25paged_attention_v2_kernelI14__hip_bfloat16S1_Li128ELi16ELi128ELNS_18Fp8KVCacheDataTypeE0ELb1ELi512EEEvPfS3_PT_PKS4_PKT0_SA_ifPKiSC_iPKfiiiSE_SE_iiiii
    .private_segment_fixed_size: 0
    .sgpr_count:     60
    .sgpr_spill_count: 0
    .symbol:         _ZN4vllm25paged_attention_v2_kernelI14__hip_bfloat16S1_Li128ELi16ELi128ELNS_18Fp8KVCacheDataTypeE0ELb1ELi512EEEvPfS3_PT_PKS4_PKT0_SA_ifPKiSC_iPKfiiiSE_SE_iiiii.kd
    .uniform_work_group_size: 1
    .uses_dynamic_stack: false
    .vgpr_count:     88
    .vgpr_spill_count: 0
    .wavefront_size: 64
  - .agpr_count:     0
    .args:
      - .actual_access:  write_only
        .address_space:  global
        .offset:         0
        .size:           8
        .value_kind:     global_buffer
      - .actual_access:  write_only
        .address_space:  global
        .offset:         8
        .size:           8
        .value_kind:     global_buffer
      - .actual_access:  write_only
        .address_space:  global
        .offset:         16
        .size:           8
        .value_kind:     global_buffer
      - .actual_access:  read_only
        .address_space:  global
        .offset:         24
        .size:           8
        .value_kind:     global_buffer
      - .actual_access:  read_only
        .address_space:  global
        .offset:         32
        .size:           8
        .value_kind:     global_buffer
      - .actual_access:  read_only
        .address_space:  global
        .offset:         40
        .size:           8
        .value_kind:     global_buffer
      - .offset:         48
        .size:           4
        .value_kind:     by_value
      - .offset:         52
        .size:           4
        .value_kind:     by_value
      - .actual_access:  read_only
        .address_space:  global
        .offset:         56
        .size:           8
        .value_kind:     global_buffer
      - .actual_access:  read_only
        .address_space:  global
        .offset:         64
        .size:           8
        .value_kind:     global_buffer
      - .offset:         72
        .size:           4
        .value_kind:     by_value
      - .actual_access:  read_only
        .address_space:  global
        .offset:         80
        .size:           8
        .value_kind:     global_buffer
      - .offset:         88
        .size:           4
        .value_kind:     by_value
      - .offset:         92
        .size:           4
        .value_kind:     by_value
      - .offset:         96
        .size:           4
        .value_kind:     by_value
      - .address_space:  global
        .offset:         104
        .size:           8
        .value_kind:     global_buffer
      - .address_space:  global
        .offset:         112
        .size:           8
        .value_kind:     global_buffer
      - .offset:         120
        .size:           4
        .value_kind:     by_value
      - .offset:         124
        .size:           4
        .value_kind:     by_value
      - .offset:         128
        .size:           4
        .value_kind:     by_value
      - .offset:         132
        .size:           4
        .value_kind:     by_value
      - .offset:         136
        .size:           4
        .value_kind:     by_value
      - .offset:         144
        .size:           4
        .value_kind:     hidden_block_count_x
      - .offset:         148
        .size:           4
        .value_kind:     hidden_block_count_y
      - .offset:         152
        .size:           4
        .value_kind:     hidden_block_count_z
      - .offset:         156
        .size:           2
        .value_kind:     hidden_group_size_x
      - .offset:         158
        .size:           2
        .value_kind:     hidden_group_size_y
      - .offset:         160
        .size:           2
        .value_kind:     hidden_group_size_z
      - .offset:         162
        .size:           2
        .value_kind:     hidden_remainder_x
      - .offset:         164
        .size:           2
        .value_kind:     hidden_remainder_y
      - .offset:         166
        .size:           2
        .value_kind:     hidden_remainder_z
      - .offset:         184
        .size:           8
        .value_kind:     hidden_global_offset_x
      - .offset:         192
        .size:           8
        .value_kind:     hidden_global_offset_y
      - .offset:         200
        .size:           8
        .value_kind:     hidden_global_offset_z
      - .offset:         208
        .size:           2
        .value_kind:     hidden_grid_dims
      - .offset:         264
        .size:           4
        .value_kind:     hidden_dynamic_lds_size
    .group_segment_fixed_size: 400
    .kernarg_segment_align: 8
    .kernarg_segment_size: 400
    .language:       OpenCL C
    .language_version:
      - 2
      - 0
    .max_flat_workgroup_size: 1024
    .name:           _ZN4vllm25paged_attention_v2_kernelI14__hip_bfloat16S1_Li192ELi16ELi128ELNS_18Fp8KVCacheDataTypeE0ELb1ELi512EEEvPfS3_PT_PKS4_PKT0_SA_ifPKiSC_iPKfiiiSE_SE_iiiii
    .private_segment_fixed_size: 0
    .sgpr_count:     59
    .sgpr_spill_count: 0
    .symbol:         _ZN4vllm25paged_attention_v2_kernelI14__hip_bfloat16S1_Li192ELi16ELi128ELNS_18Fp8KVCacheDataTypeE0ELb1ELi512EEEvPfS3_PT_PKS4_PKT0_SA_ifPKiSC_iPKfiiiSE_SE_iiiii.kd
    .uniform_work_group_size: 1
    .uses_dynamic_stack: false
    .vgpr_count:     106
    .vgpr_spill_count: 0
    .wavefront_size: 64
  - .agpr_count:     0
    .args:
      - .actual_access:  write_only
        .address_space:  global
        .offset:         0
        .size:           8
        .value_kind:     global_buffer
      - .actual_access:  write_only
        .address_space:  global
        .offset:         8
        .size:           8
        .value_kind:     global_buffer
      - .actual_access:  write_only
        .address_space:  global
        .offset:         16
        .size:           8
        .value_kind:     global_buffer
      - .actual_access:  read_only
        .address_space:  global
        .offset:         24
        .size:           8
        .value_kind:     global_buffer
      - .actual_access:  read_only
        .address_space:  global
        .offset:         32
        .size:           8
        .value_kind:     global_buffer
      - .actual_access:  read_only
        .address_space:  global
        .offset:         40
        .size:           8
        .value_kind:     global_buffer
      - .offset:         48
        .size:           4
        .value_kind:     by_value
      - .offset:         52
        .size:           4
        .value_kind:     by_value
      - .actual_access:  read_only
        .address_space:  global
        .offset:         56
        .size:           8
        .value_kind:     global_buffer
      - .actual_access:  read_only
        .address_space:  global
        .offset:         64
        .size:           8
        .value_kind:     global_buffer
      - .offset:         72
        .size:           4
        .value_kind:     by_value
      - .actual_access:  read_only
        .address_space:  global
        .offset:         80
        .size:           8
        .value_kind:     global_buffer
      - .offset:         88
        .size:           4
        .value_kind:     by_value
      - .offset:         92
        .size:           4
        .value_kind:     by_value
      - .offset:         96
        .size:           4
        .value_kind:     by_value
      - .address_space:  global
        .offset:         104
        .size:           8
        .value_kind:     global_buffer
      - .address_space:  global
        .offset:         112
        .size:           8
        .value_kind:     global_buffer
      - .offset:         120
        .size:           4
        .value_kind:     by_value
      - .offset:         124
        .size:           4
        .value_kind:     by_value
      - .offset:         128
        .size:           4
        .value_kind:     by_value
      - .offset:         132
        .size:           4
        .value_kind:     by_value
      - .offset:         136
        .size:           4
        .value_kind:     by_value
      - .offset:         144
        .size:           4
        .value_kind:     hidden_block_count_x
      - .offset:         148
        .size:           4
        .value_kind:     hidden_block_count_y
      - .offset:         152
        .size:           4
        .value_kind:     hidden_block_count_z
      - .offset:         156
        .size:           2
        .value_kind:     hidden_group_size_x
      - .offset:         158
        .size:           2
        .value_kind:     hidden_group_size_y
      - .offset:         160
        .size:           2
        .value_kind:     hidden_group_size_z
      - .offset:         162
        .size:           2
        .value_kind:     hidden_remainder_x
      - .offset:         164
        .size:           2
        .value_kind:     hidden_remainder_y
      - .offset:         166
        .size:           2
        .value_kind:     hidden_remainder_z
      - .offset:         184
        .size:           8
        .value_kind:     hidden_global_offset_x
      - .offset:         192
        .size:           8
        .value_kind:     hidden_global_offset_y
      - .offset:         200
        .size:           8
        .value_kind:     hidden_global_offset_z
      - .offset:         208
        .size:           2
        .value_kind:     hidden_grid_dims
      - .offset:         264
        .size:           4
        .value_kind:     hidden_dynamic_lds_size
    .group_segment_fixed_size: 528
    .kernarg_segment_align: 8
    .kernarg_segment_size: 400
    .language:       OpenCL C
    .language_version:
      - 2
      - 0
    .max_flat_workgroup_size: 1024
    .name:           _ZN4vllm25paged_attention_v2_kernelI14__hip_bfloat16S1_Li256ELi16ELi128ELNS_18Fp8KVCacheDataTypeE0ELb1ELi512EEEvPfS3_PT_PKS4_PKT0_SA_ifPKiSC_iPKfiiiSE_SE_iiiii
    .private_segment_fixed_size: 0
    .sgpr_count:     59
    .sgpr_spill_count: 0
    .symbol:         _ZN4vllm25paged_attention_v2_kernelI14__hip_bfloat16S1_Li256ELi16ELi128ELNS_18Fp8KVCacheDataTypeE0ELb1ELi512EEEvPfS3_PT_PKS4_PKT0_SA_ifPKiSC_iPKfiiiSE_SE_iiiii.kd
    .uniform_work_group_size: 1
    .uses_dynamic_stack: false
    .vgpr_count:     105
    .vgpr_spill_count: 0
    .wavefront_size: 64
  - .agpr_count:     0
    .args:
      - .actual_access:  write_only
        .address_space:  global
        .offset:         0
        .size:           8
        .value_kind:     global_buffer
      - .actual_access:  write_only
        .address_space:  global
        .offset:         8
        .size:           8
        .value_kind:     global_buffer
      - .actual_access:  write_only
        .address_space:  global
        .offset:         16
        .size:           8
        .value_kind:     global_buffer
      - .actual_access:  read_only
        .address_space:  global
        .offset:         24
        .size:           8
        .value_kind:     global_buffer
      - .actual_access:  read_only
        .address_space:  global
        .offset:         32
        .size:           8
        .value_kind:     global_buffer
      - .actual_access:  read_only
        .address_space:  global
        .offset:         40
        .size:           8
        .value_kind:     global_buffer
      - .offset:         48
        .size:           4
        .value_kind:     by_value
      - .offset:         52
        .size:           4
        .value_kind:     by_value
      - .actual_access:  read_only
        .address_space:  global
        .offset:         56
        .size:           8
        .value_kind:     global_buffer
      - .actual_access:  read_only
        .address_space:  global
        .offset:         64
        .size:           8
        .value_kind:     global_buffer
      - .offset:         72
        .size:           4
        .value_kind:     by_value
      - .actual_access:  read_only
        .address_space:  global
        .offset:         80
        .size:           8
        .value_kind:     global_buffer
      - .offset:         88
        .size:           4
        .value_kind:     by_value
      - .offset:         92
        .size:           4
        .value_kind:     by_value
      - .offset:         96
        .size:           4
        .value_kind:     by_value
      - .address_space:  global
        .offset:         104
        .size:           8
        .value_kind:     global_buffer
      - .address_space:  global
        .offset:         112
        .size:           8
        .value_kind:     global_buffer
      - .offset:         120
        .size:           4
        .value_kind:     by_value
      - .offset:         124
        .size:           4
        .value_kind:     by_value
      - .offset:         128
        .size:           4
        .value_kind:     by_value
      - .offset:         132
        .size:           4
        .value_kind:     by_value
      - .offset:         136
        .size:           4
        .value_kind:     by_value
      - .offset:         144
        .size:           4
        .value_kind:     hidden_block_count_x
      - .offset:         148
        .size:           4
        .value_kind:     hidden_block_count_y
      - .offset:         152
        .size:           4
        .value_kind:     hidden_block_count_z
      - .offset:         156
        .size:           2
        .value_kind:     hidden_group_size_x
      - .offset:         158
        .size:           2
        .value_kind:     hidden_group_size_y
      - .offset:         160
        .size:           2
        .value_kind:     hidden_group_size_z
      - .offset:         162
        .size:           2
        .value_kind:     hidden_remainder_x
      - .offset:         164
        .size:           2
        .value_kind:     hidden_remainder_y
      - .offset:         166
        .size:           2
        .value_kind:     hidden_remainder_z
      - .offset:         184
        .size:           8
        .value_kind:     hidden_global_offset_x
      - .offset:         192
        .size:           8
        .value_kind:     hidden_global_offset_y
      - .offset:         200
        .size:           8
        .value_kind:     hidden_global_offset_z
      - .offset:         208
        .size:           2
        .value_kind:     hidden_grid_dims
      - .offset:         264
        .size:           4
        .value_kind:     hidden_dynamic_lds_size
    .group_segment_fixed_size: 80
    .kernarg_segment_align: 8
    .kernarg_segment_size: 400
    .language:       OpenCL C
    .language_version:
      - 2
      - 0
    .max_flat_workgroup_size: 1024
    .name:           _ZN4vllm25paged_attention_v2_kernelI14__hip_bfloat16S1_Li32ELi16ELi128ELNS_18Fp8KVCacheDataTypeE0ELb0ELi512EEEvPfS3_PT_PKS4_PKT0_SA_ifPKiSC_iPKfiiiSE_SE_iiiii
    .private_segment_fixed_size: 0
    .sgpr_count:     48
    .sgpr_spill_count: 0
    .symbol:         _ZN4vllm25paged_attention_v2_kernelI14__hip_bfloat16S1_Li32ELi16ELi128ELNS_18Fp8KVCacheDataTypeE0ELb0ELi512EEEvPfS3_PT_PKS4_PKT0_SA_ifPKiSC_iPKfiiiSE_SE_iiiii.kd
    .uniform_work_group_size: 1
    .uses_dynamic_stack: false
    .vgpr_count:     32
    .vgpr_spill_count: 0
    .wavefront_size: 64
  - .agpr_count:     0
    .args:
      - .actual_access:  write_only
        .address_space:  global
        .offset:         0
        .size:           8
        .value_kind:     global_buffer
      - .actual_access:  write_only
        .address_space:  global
        .offset:         8
        .size:           8
        .value_kind:     global_buffer
      - .actual_access:  write_only
        .address_space:  global
        .offset:         16
        .size:           8
        .value_kind:     global_buffer
      - .actual_access:  read_only
        .address_space:  global
        .offset:         24
        .size:           8
        .value_kind:     global_buffer
      - .actual_access:  read_only
        .address_space:  global
        .offset:         32
        .size:           8
        .value_kind:     global_buffer
      - .actual_access:  read_only
        .address_space:  global
        .offset:         40
        .size:           8
        .value_kind:     global_buffer
      - .offset:         48
        .size:           4
        .value_kind:     by_value
      - .offset:         52
        .size:           4
        .value_kind:     by_value
      - .actual_access:  read_only
        .address_space:  global
        .offset:         56
        .size:           8
        .value_kind:     global_buffer
      - .actual_access:  read_only
        .address_space:  global
        .offset:         64
        .size:           8
        .value_kind:     global_buffer
      - .offset:         72
        .size:           4
        .value_kind:     by_value
      - .actual_access:  read_only
        .address_space:  global
        .offset:         80
        .size:           8
        .value_kind:     global_buffer
      - .offset:         88
        .size:           4
        .value_kind:     by_value
      - .offset:         92
        .size:           4
        .value_kind:     by_value
      - .offset:         96
        .size:           4
        .value_kind:     by_value
      - .address_space:  global
        .offset:         104
        .size:           8
        .value_kind:     global_buffer
      - .address_space:  global
        .offset:         112
        .size:           8
        .value_kind:     global_buffer
      - .offset:         120
        .size:           4
        .value_kind:     by_value
      - .offset:         124
        .size:           4
        .value_kind:     by_value
      - .offset:         128
        .size:           4
        .value_kind:     by_value
      - .offset:         132
        .size:           4
        .value_kind:     by_value
      - .offset:         136
        .size:           4
        .value_kind:     by_value
      - .offset:         144
        .size:           4
        .value_kind:     hidden_block_count_x
      - .offset:         148
        .size:           4
        .value_kind:     hidden_block_count_y
      - .offset:         152
        .size:           4
        .value_kind:     hidden_block_count_z
      - .offset:         156
        .size:           2
        .value_kind:     hidden_group_size_x
      - .offset:         158
        .size:           2
        .value_kind:     hidden_group_size_y
      - .offset:         160
        .size:           2
        .value_kind:     hidden_group_size_z
      - .offset:         162
        .size:           2
        .value_kind:     hidden_remainder_x
      - .offset:         164
        .size:           2
        .value_kind:     hidden_remainder_y
      - .offset:         166
        .size:           2
        .value_kind:     hidden_remainder_z
      - .offset:         184
        .size:           8
        .value_kind:     hidden_global_offset_x
      - .offset:         192
        .size:           8
        .value_kind:     hidden_global_offset_y
      - .offset:         200
        .size:           8
        .value_kind:     hidden_global_offset_z
      - .offset:         208
        .size:           2
        .value_kind:     hidden_grid_dims
      - .offset:         264
        .size:           4
        .value_kind:     hidden_dynamic_lds_size
    .group_segment_fixed_size: 144
    .kernarg_segment_align: 8
    .kernarg_segment_size: 400
    .language:       OpenCL C
    .language_version:
      - 2
      - 0
    .max_flat_workgroup_size: 1024
    .name:           _ZN4vllm25paged_attention_v2_kernelI14__hip_bfloat16S1_Li64ELi16ELi128ELNS_18Fp8KVCacheDataTypeE0ELb0ELi512EEEvPfS3_PT_PKS4_PKT0_SA_ifPKiSC_iPKfiiiSE_SE_iiiii
    .private_segment_fixed_size: 0
    .sgpr_count:     48
    .sgpr_spill_count: 0
    .symbol:         _ZN4vllm25paged_attention_v2_kernelI14__hip_bfloat16S1_Li64ELi16ELi128ELNS_18Fp8KVCacheDataTypeE0ELb0ELi512EEEvPfS3_PT_PKS4_PKT0_SA_ifPKiSC_iPKfiiiSE_SE_iiiii.kd
    .uniform_work_group_size: 1
    .uses_dynamic_stack: false
    .vgpr_count:     48
    .vgpr_spill_count: 0
    .wavefront_size: 64
  - .agpr_count:     0
    .args:
      - .actual_access:  write_only
        .address_space:  global
        .offset:         0
        .size:           8
        .value_kind:     global_buffer
      - .actual_access:  write_only
        .address_space:  global
        .offset:         8
        .size:           8
        .value_kind:     global_buffer
      - .actual_access:  write_only
        .address_space:  global
        .offset:         16
        .size:           8
        .value_kind:     global_buffer
      - .actual_access:  read_only
        .address_space:  global
        .offset:         24
        .size:           8
        .value_kind:     global_buffer
      - .actual_access:  read_only
        .address_space:  global
        .offset:         32
        .size:           8
        .value_kind:     global_buffer
      - .actual_access:  read_only
        .address_space:  global
        .offset:         40
        .size:           8
        .value_kind:     global_buffer
      - .offset:         48
        .size:           4
        .value_kind:     by_value
      - .offset:         52
        .size:           4
        .value_kind:     by_value
      - .actual_access:  read_only
        .address_space:  global
        .offset:         56
        .size:           8
        .value_kind:     global_buffer
      - .actual_access:  read_only
        .address_space:  global
        .offset:         64
        .size:           8
        .value_kind:     global_buffer
      - .offset:         72
        .size:           4
        .value_kind:     by_value
      - .actual_access:  read_only
        .address_space:  global
        .offset:         80
        .size:           8
        .value_kind:     global_buffer
      - .offset:         88
        .size:           4
        .value_kind:     by_value
      - .offset:         92
        .size:           4
        .value_kind:     by_value
      - .offset:         96
        .size:           4
        .value_kind:     by_value
      - .address_space:  global
        .offset:         104
        .size:           8
        .value_kind:     global_buffer
      - .address_space:  global
        .offset:         112
        .size:           8
        .value_kind:     global_buffer
      - .offset:         120
        .size:           4
        .value_kind:     by_value
      - .offset:         124
        .size:           4
        .value_kind:     by_value
      - .offset:         128
        .size:           4
        .value_kind:     by_value
      - .offset:         132
        .size:           4
        .value_kind:     by_value
      - .offset:         136
        .size:           4
        .value_kind:     by_value
      - .offset:         144
        .size:           4
        .value_kind:     hidden_block_count_x
      - .offset:         148
        .size:           4
        .value_kind:     hidden_block_count_y
      - .offset:         152
        .size:           4
        .value_kind:     hidden_block_count_z
      - .offset:         156
        .size:           2
        .value_kind:     hidden_group_size_x
      - .offset:         158
        .size:           2
        .value_kind:     hidden_group_size_y
      - .offset:         160
        .size:           2
        .value_kind:     hidden_group_size_z
      - .offset:         162
        .size:           2
        .value_kind:     hidden_remainder_x
      - .offset:         164
        .size:           2
        .value_kind:     hidden_remainder_y
      - .offset:         166
        .size:           2
        .value_kind:     hidden_remainder_z
      - .offset:         184
        .size:           8
        .value_kind:     hidden_global_offset_x
      - .offset:         192
        .size:           8
        .value_kind:     hidden_global_offset_y
      - .offset:         200
        .size:           8
        .value_kind:     hidden_global_offset_z
      - .offset:         208
        .size:           2
        .value_kind:     hidden_grid_dims
      - .offset:         264
        .size:           4
        .value_kind:     hidden_dynamic_lds_size
    .group_segment_fixed_size: 176
    .kernarg_segment_align: 8
    .kernarg_segment_size: 400
    .language:       OpenCL C
    .language_version:
      - 2
      - 0
    .max_flat_workgroup_size: 1024
    .name:           _ZN4vllm25paged_attention_v2_kernelI14__hip_bfloat16S1_Li80ELi16ELi128ELNS_18Fp8KVCacheDataTypeE0ELb0ELi512EEEvPfS3_PT_PKS4_PKT0_SA_ifPKiSC_iPKfiiiSE_SE_iiiii
    .private_segment_fixed_size: 0
    .sgpr_count:     48
    .sgpr_spill_count: 0
    .symbol:         _ZN4vllm25paged_attention_v2_kernelI14__hip_bfloat16S1_Li80ELi16ELi128ELNS_18Fp8KVCacheDataTypeE0ELb0ELi512EEEvPfS3_PT_PKS4_PKT0_SA_ifPKiSC_iPKfiiiSE_SE_iiiii.kd
    .uniform_work_group_size: 1
    .uses_dynamic_stack: false
    .vgpr_count:     56
    .vgpr_spill_count: 0
    .wavefront_size: 64
  - .agpr_count:     0
    .args:
      - .actual_access:  write_only
        .address_space:  global
        .offset:         0
        .size:           8
        .value_kind:     global_buffer
      - .actual_access:  write_only
        .address_space:  global
        .offset:         8
        .size:           8
        .value_kind:     global_buffer
      - .actual_access:  write_only
        .address_space:  global
        .offset:         16
        .size:           8
        .value_kind:     global_buffer
      - .actual_access:  read_only
        .address_space:  global
        .offset:         24
        .size:           8
        .value_kind:     global_buffer
      - .actual_access:  read_only
        .address_space:  global
        .offset:         32
        .size:           8
        .value_kind:     global_buffer
      - .actual_access:  read_only
        .address_space:  global
        .offset:         40
        .size:           8
        .value_kind:     global_buffer
      - .offset:         48
        .size:           4
        .value_kind:     by_value
      - .offset:         52
        .size:           4
        .value_kind:     by_value
      - .actual_access:  read_only
        .address_space:  global
        .offset:         56
        .size:           8
        .value_kind:     global_buffer
      - .actual_access:  read_only
        .address_space:  global
        .offset:         64
        .size:           8
        .value_kind:     global_buffer
      - .offset:         72
        .size:           4
        .value_kind:     by_value
      - .actual_access:  read_only
        .address_space:  global
        .offset:         80
        .size:           8
        .value_kind:     global_buffer
      - .offset:         88
        .size:           4
        .value_kind:     by_value
      - .offset:         92
        .size:           4
        .value_kind:     by_value
      - .offset:         96
        .size:           4
        .value_kind:     by_value
      - .address_space:  global
        .offset:         104
        .size:           8
        .value_kind:     global_buffer
      - .address_space:  global
        .offset:         112
        .size:           8
        .value_kind:     global_buffer
      - .offset:         120
        .size:           4
        .value_kind:     by_value
      - .offset:         124
        .size:           4
        .value_kind:     by_value
      - .offset:         128
        .size:           4
        .value_kind:     by_value
      - .offset:         132
        .size:           4
        .value_kind:     by_value
      - .offset:         136
        .size:           4
        .value_kind:     by_value
      - .offset:         144
        .size:           4
        .value_kind:     hidden_block_count_x
      - .offset:         148
        .size:           4
        .value_kind:     hidden_block_count_y
      - .offset:         152
        .size:           4
        .value_kind:     hidden_block_count_z
      - .offset:         156
        .size:           2
        .value_kind:     hidden_group_size_x
      - .offset:         158
        .size:           2
        .value_kind:     hidden_group_size_y
      - .offset:         160
        .size:           2
        .value_kind:     hidden_group_size_z
      - .offset:         162
        .size:           2
        .value_kind:     hidden_remainder_x
      - .offset:         164
        .size:           2
        .value_kind:     hidden_remainder_y
      - .offset:         166
        .size:           2
        .value_kind:     hidden_remainder_z
      - .offset:         184
        .size:           8
        .value_kind:     hidden_global_offset_x
      - .offset:         192
        .size:           8
        .value_kind:     hidden_global_offset_y
      - .offset:         200
        .size:           8
        .value_kind:     hidden_global_offset_z
      - .offset:         208
        .size:           2
        .value_kind:     hidden_grid_dims
      - .offset:         264
        .size:           4
        .value_kind:     hidden_dynamic_lds_size
    .group_segment_fixed_size: 208
    .kernarg_segment_align: 8
    .kernarg_segment_size: 400
    .language:       OpenCL C
    .language_version:
      - 2
      - 0
    .max_flat_workgroup_size: 1024
    .name:           _ZN4vllm25paged_attention_v2_kernelI14__hip_bfloat16S1_Li96ELi16ELi128ELNS_18Fp8KVCacheDataTypeE0ELb0ELi512EEEvPfS3_PT_PKS4_PKT0_SA_ifPKiSC_iPKfiiiSE_SE_iiiii
    .private_segment_fixed_size: 0
    .sgpr_count:     48
    .sgpr_spill_count: 0
    .symbol:         _ZN4vllm25paged_attention_v2_kernelI14__hip_bfloat16S1_Li96ELi16ELi128ELNS_18Fp8KVCacheDataTypeE0ELb0ELi512EEEvPfS3_PT_PKS4_PKT0_SA_ifPKiSC_iPKfiiiSE_SE_iiiii.kd
    .uniform_work_group_size: 1
    .uses_dynamic_stack: false
    .vgpr_count:     64
    .vgpr_spill_count: 0
    .wavefront_size: 64
  - .agpr_count:     0
    .args:
      - .actual_access:  write_only
        .address_space:  global
        .offset:         0
        .size:           8
        .value_kind:     global_buffer
      - .actual_access:  write_only
        .address_space:  global
        .offset:         8
        .size:           8
        .value_kind:     global_buffer
      - .actual_access:  write_only
        .address_space:  global
        .offset:         16
        .size:           8
        .value_kind:     global_buffer
      - .actual_access:  read_only
        .address_space:  global
        .offset:         24
        .size:           8
        .value_kind:     global_buffer
      - .actual_access:  read_only
        .address_space:  global
        .offset:         32
        .size:           8
        .value_kind:     global_buffer
      - .actual_access:  read_only
        .address_space:  global
        .offset:         40
        .size:           8
        .value_kind:     global_buffer
      - .offset:         48
        .size:           4
        .value_kind:     by_value
      - .offset:         52
        .size:           4
        .value_kind:     by_value
      - .actual_access:  read_only
        .address_space:  global
        .offset:         56
        .size:           8
        .value_kind:     global_buffer
      - .actual_access:  read_only
        .address_space:  global
        .offset:         64
        .size:           8
        .value_kind:     global_buffer
      - .offset:         72
        .size:           4
        .value_kind:     by_value
      - .actual_access:  read_only
        .address_space:  global
        .offset:         80
        .size:           8
        .value_kind:     global_buffer
      - .offset:         88
        .size:           4
        .value_kind:     by_value
      - .offset:         92
        .size:           4
        .value_kind:     by_value
      - .offset:         96
        .size:           4
        .value_kind:     by_value
      - .address_space:  global
        .offset:         104
        .size:           8
        .value_kind:     global_buffer
      - .address_space:  global
        .offset:         112
        .size:           8
        .value_kind:     global_buffer
      - .offset:         120
        .size:           4
        .value_kind:     by_value
      - .offset:         124
        .size:           4
        .value_kind:     by_value
      - .offset:         128
        .size:           4
        .value_kind:     by_value
      - .offset:         132
        .size:           4
        .value_kind:     by_value
      - .offset:         136
        .size:           4
        .value_kind:     by_value
      - .offset:         144
        .size:           4
        .value_kind:     hidden_block_count_x
      - .offset:         148
        .size:           4
        .value_kind:     hidden_block_count_y
      - .offset:         152
        .size:           4
        .value_kind:     hidden_block_count_z
      - .offset:         156
        .size:           2
        .value_kind:     hidden_group_size_x
      - .offset:         158
        .size:           2
        .value_kind:     hidden_group_size_y
      - .offset:         160
        .size:           2
        .value_kind:     hidden_group_size_z
      - .offset:         162
        .size:           2
        .value_kind:     hidden_remainder_x
      - .offset:         164
        .size:           2
        .value_kind:     hidden_remainder_y
      - .offset:         166
        .size:           2
        .value_kind:     hidden_remainder_z
      - .offset:         184
        .size:           8
        .value_kind:     hidden_global_offset_x
      - .offset:         192
        .size:           8
        .value_kind:     hidden_global_offset_y
      - .offset:         200
        .size:           8
        .value_kind:     hidden_global_offset_z
      - .offset:         208
        .size:           2
        .value_kind:     hidden_grid_dims
      - .offset:         264
        .size:           4
        .value_kind:     hidden_dynamic_lds_size
    .group_segment_fixed_size: 240
    .kernarg_segment_align: 8
    .kernarg_segment_size: 400
    .language:       OpenCL C
    .language_version:
      - 2
      - 0
    .max_flat_workgroup_size: 1024
    .name:           _ZN4vllm25paged_attention_v2_kernelI14__hip_bfloat16S1_Li112ELi16ELi128ELNS_18Fp8KVCacheDataTypeE0ELb0ELi512EEEvPfS3_PT_PKS4_PKT0_SA_ifPKiSC_iPKfiiiSE_SE_iiiii
    .private_segment_fixed_size: 0
    .sgpr_count:     48
    .sgpr_spill_count: 0
    .symbol:         _ZN4vllm25paged_attention_v2_kernelI14__hip_bfloat16S1_Li112ELi16ELi128ELNS_18Fp8KVCacheDataTypeE0ELb0ELi512EEEvPfS3_PT_PKS4_PKT0_SA_ifPKiSC_iPKfiiiSE_SE_iiiii.kd
    .uniform_work_group_size: 1
    .uses_dynamic_stack: false
    .vgpr_count:     63
    .vgpr_spill_count: 0
    .wavefront_size: 64
  - .agpr_count:     0
    .args:
      - .actual_access:  write_only
        .address_space:  global
        .offset:         0
        .size:           8
        .value_kind:     global_buffer
      - .actual_access:  write_only
        .address_space:  global
        .offset:         8
        .size:           8
        .value_kind:     global_buffer
      - .actual_access:  write_only
        .address_space:  global
        .offset:         16
        .size:           8
        .value_kind:     global_buffer
      - .actual_access:  read_only
        .address_space:  global
        .offset:         24
        .size:           8
        .value_kind:     global_buffer
      - .actual_access:  read_only
        .address_space:  global
        .offset:         32
        .size:           8
        .value_kind:     global_buffer
      - .actual_access:  read_only
        .address_space:  global
        .offset:         40
        .size:           8
        .value_kind:     global_buffer
      - .offset:         48
        .size:           4
        .value_kind:     by_value
      - .offset:         52
        .size:           4
        .value_kind:     by_value
      - .actual_access:  read_only
        .address_space:  global
        .offset:         56
        .size:           8
        .value_kind:     global_buffer
      - .actual_access:  read_only
        .address_space:  global
        .offset:         64
        .size:           8
        .value_kind:     global_buffer
      - .offset:         72
        .size:           4
        .value_kind:     by_value
      - .actual_access:  read_only
        .address_space:  global
        .offset:         80
        .size:           8
        .value_kind:     global_buffer
      - .offset:         88
        .size:           4
        .value_kind:     by_value
      - .offset:         92
        .size:           4
        .value_kind:     by_value
      - .offset:         96
        .size:           4
        .value_kind:     by_value
      - .address_space:  global
        .offset:         104
        .size:           8
        .value_kind:     global_buffer
      - .address_space:  global
        .offset:         112
        .size:           8
        .value_kind:     global_buffer
      - .offset:         120
        .size:           4
        .value_kind:     by_value
      - .offset:         124
        .size:           4
        .value_kind:     by_value
      - .offset:         128
        .size:           4
        .value_kind:     by_value
      - .offset:         132
        .size:           4
        .value_kind:     by_value
      - .offset:         136
        .size:           4
        .value_kind:     by_value
      - .offset:         144
        .size:           4
        .value_kind:     hidden_block_count_x
      - .offset:         148
        .size:           4
        .value_kind:     hidden_block_count_y
      - .offset:         152
        .size:           4
        .value_kind:     hidden_block_count_z
      - .offset:         156
        .size:           2
        .value_kind:     hidden_group_size_x
      - .offset:         158
        .size:           2
        .value_kind:     hidden_group_size_y
      - .offset:         160
        .size:           2
        .value_kind:     hidden_group_size_z
      - .offset:         162
        .size:           2
        .value_kind:     hidden_remainder_x
      - .offset:         164
        .size:           2
        .value_kind:     hidden_remainder_y
      - .offset:         166
        .size:           2
        .value_kind:     hidden_remainder_z
      - .offset:         184
        .size:           8
        .value_kind:     hidden_global_offset_x
      - .offset:         192
        .size:           8
        .value_kind:     hidden_global_offset_y
      - .offset:         200
        .size:           8
        .value_kind:     hidden_global_offset_z
      - .offset:         208
        .size:           2
        .value_kind:     hidden_grid_dims
      - .offset:         264
        .size:           4
        .value_kind:     hidden_dynamic_lds_size
    .group_segment_fixed_size: 256
    .kernarg_segment_align: 8
    .kernarg_segment_size: 400
    .language:       OpenCL C
    .language_version:
      - 2
      - 0
    .max_flat_workgroup_size: 1024
    .name:           _ZN4vllm25paged_attention_v2_kernelI14__hip_bfloat16S1_Li120ELi16ELi128ELNS_18Fp8KVCacheDataTypeE0ELb0ELi512EEEvPfS3_PT_PKS4_PKT0_SA_ifPKiSC_iPKfiiiSE_SE_iiiii
    .private_segment_fixed_size: 0
    .sgpr_count:     48
    .sgpr_spill_count: 0
    .symbol:         _ZN4vllm25paged_attention_v2_kernelI14__hip_bfloat16S1_Li120ELi16ELi128ELNS_18Fp8KVCacheDataTypeE0ELb0ELi512EEEvPfS3_PT_PKS4_PKT0_SA_ifPKiSC_iPKfiiiSE_SE_iiiii.kd
    .uniform_work_group_size: 1
    .uses_dynamic_stack: false
    .vgpr_count:     63
    .vgpr_spill_count: 0
    .wavefront_size: 64
  - .agpr_count:     0
    .args:
      - .actual_access:  write_only
        .address_space:  global
        .offset:         0
        .size:           8
        .value_kind:     global_buffer
      - .actual_access:  write_only
        .address_space:  global
        .offset:         8
        .size:           8
        .value_kind:     global_buffer
      - .actual_access:  write_only
        .address_space:  global
        .offset:         16
        .size:           8
        .value_kind:     global_buffer
      - .actual_access:  read_only
        .address_space:  global
        .offset:         24
        .size:           8
        .value_kind:     global_buffer
      - .actual_access:  read_only
        .address_space:  global
        .offset:         32
        .size:           8
        .value_kind:     global_buffer
      - .actual_access:  read_only
        .address_space:  global
        .offset:         40
        .size:           8
        .value_kind:     global_buffer
      - .offset:         48
        .size:           4
        .value_kind:     by_value
      - .offset:         52
        .size:           4
        .value_kind:     by_value
      - .actual_access:  read_only
        .address_space:  global
        .offset:         56
        .size:           8
        .value_kind:     global_buffer
      - .actual_access:  read_only
        .address_space:  global
        .offset:         64
        .size:           8
        .value_kind:     global_buffer
      - .offset:         72
        .size:           4
        .value_kind:     by_value
      - .actual_access:  read_only
        .address_space:  global
        .offset:         80
        .size:           8
        .value_kind:     global_buffer
      - .offset:         88
        .size:           4
        .value_kind:     by_value
      - .offset:         92
        .size:           4
        .value_kind:     by_value
      - .offset:         96
        .size:           4
        .value_kind:     by_value
      - .address_space:  global
        .offset:         104
        .size:           8
        .value_kind:     global_buffer
      - .address_space:  global
        .offset:         112
        .size:           8
        .value_kind:     global_buffer
      - .offset:         120
        .size:           4
        .value_kind:     by_value
      - .offset:         124
        .size:           4
        .value_kind:     by_value
      - .offset:         128
        .size:           4
        .value_kind:     by_value
      - .offset:         132
        .size:           4
        .value_kind:     by_value
      - .offset:         136
        .size:           4
        .value_kind:     by_value
      - .offset:         144
        .size:           4
        .value_kind:     hidden_block_count_x
      - .offset:         148
        .size:           4
        .value_kind:     hidden_block_count_y
      - .offset:         152
        .size:           4
        .value_kind:     hidden_block_count_z
      - .offset:         156
        .size:           2
        .value_kind:     hidden_group_size_x
      - .offset:         158
        .size:           2
        .value_kind:     hidden_group_size_y
      - .offset:         160
        .size:           2
        .value_kind:     hidden_group_size_z
      - .offset:         162
        .size:           2
        .value_kind:     hidden_remainder_x
      - .offset:         164
        .size:           2
        .value_kind:     hidden_remainder_y
      - .offset:         166
        .size:           2
        .value_kind:     hidden_remainder_z
      - .offset:         184
        .size:           8
        .value_kind:     hidden_global_offset_x
      - .offset:         192
        .size:           8
        .value_kind:     hidden_global_offset_y
      - .offset:         200
        .size:           8
        .value_kind:     hidden_global_offset_z
      - .offset:         208
        .size:           2
        .value_kind:     hidden_grid_dims
      - .offset:         264
        .size:           4
        .value_kind:     hidden_dynamic_lds_size
    .group_segment_fixed_size: 272
    .kernarg_segment_align: 8
    .kernarg_segment_size: 400
    .language:       OpenCL C
    .language_version:
      - 2
      - 0
    .max_flat_workgroup_size: 1024
    .name:           _ZN4vllm25paged_attention_v2_kernelI14__hip_bfloat16S1_Li128ELi16ELi128ELNS_18Fp8KVCacheDataTypeE0ELb0ELi512EEEvPfS3_PT_PKS4_PKT0_SA_ifPKiSC_iPKfiiiSE_SE_iiiii
    .private_segment_fixed_size: 0
    .sgpr_count:     50
    .sgpr_spill_count: 0
    .symbol:         _ZN4vllm25paged_attention_v2_kernelI14__hip_bfloat16S1_Li128ELi16ELi128ELNS_18Fp8KVCacheDataTypeE0ELb0ELi512EEEvPfS3_PT_PKS4_PKT0_SA_ifPKiSC_iPKfiiiSE_SE_iiiii.kd
    .uniform_work_group_size: 1
    .uses_dynamic_stack: false
    .vgpr_count:     78
    .vgpr_spill_count: 0
    .wavefront_size: 64
  - .agpr_count:     0
    .args:
      - .actual_access:  write_only
        .address_space:  global
        .offset:         0
        .size:           8
        .value_kind:     global_buffer
      - .actual_access:  write_only
        .address_space:  global
        .offset:         8
        .size:           8
        .value_kind:     global_buffer
      - .actual_access:  write_only
        .address_space:  global
        .offset:         16
        .size:           8
        .value_kind:     global_buffer
      - .actual_access:  read_only
        .address_space:  global
        .offset:         24
        .size:           8
        .value_kind:     global_buffer
      - .actual_access:  read_only
        .address_space:  global
        .offset:         32
        .size:           8
        .value_kind:     global_buffer
      - .actual_access:  read_only
        .address_space:  global
        .offset:         40
        .size:           8
        .value_kind:     global_buffer
      - .offset:         48
        .size:           4
        .value_kind:     by_value
      - .offset:         52
        .size:           4
        .value_kind:     by_value
      - .actual_access:  read_only
        .address_space:  global
        .offset:         56
        .size:           8
        .value_kind:     global_buffer
      - .actual_access:  read_only
        .address_space:  global
        .offset:         64
        .size:           8
        .value_kind:     global_buffer
      - .offset:         72
        .size:           4
        .value_kind:     by_value
      - .actual_access:  read_only
        .address_space:  global
        .offset:         80
        .size:           8
        .value_kind:     global_buffer
      - .offset:         88
        .size:           4
        .value_kind:     by_value
      - .offset:         92
        .size:           4
        .value_kind:     by_value
      - .offset:         96
        .size:           4
        .value_kind:     by_value
      - .address_space:  global
        .offset:         104
        .size:           8
        .value_kind:     global_buffer
      - .address_space:  global
        .offset:         112
        .size:           8
        .value_kind:     global_buffer
      - .offset:         120
        .size:           4
        .value_kind:     by_value
      - .offset:         124
        .size:           4
        .value_kind:     by_value
      - .offset:         128
        .size:           4
        .value_kind:     by_value
      - .offset:         132
        .size:           4
        .value_kind:     by_value
      - .offset:         136
        .size:           4
        .value_kind:     by_value
      - .offset:         144
        .size:           4
        .value_kind:     hidden_block_count_x
      - .offset:         148
        .size:           4
        .value_kind:     hidden_block_count_y
      - .offset:         152
        .size:           4
        .value_kind:     hidden_block_count_z
      - .offset:         156
        .size:           2
        .value_kind:     hidden_group_size_x
      - .offset:         158
        .size:           2
        .value_kind:     hidden_group_size_y
      - .offset:         160
        .size:           2
        .value_kind:     hidden_group_size_z
      - .offset:         162
        .size:           2
        .value_kind:     hidden_remainder_x
      - .offset:         164
        .size:           2
        .value_kind:     hidden_remainder_y
      - .offset:         166
        .size:           2
        .value_kind:     hidden_remainder_z
      - .offset:         184
        .size:           8
        .value_kind:     hidden_global_offset_x
      - .offset:         192
        .size:           8
        .value_kind:     hidden_global_offset_y
      - .offset:         200
        .size:           8
        .value_kind:     hidden_global_offset_z
      - .offset:         208
        .size:           2
        .value_kind:     hidden_grid_dims
      - .offset:         264
        .size:           4
        .value_kind:     hidden_dynamic_lds_size
    .group_segment_fixed_size: 400
    .kernarg_segment_align: 8
    .kernarg_segment_size: 400
    .language:       OpenCL C
    .language_version:
      - 2
      - 0
    .max_flat_workgroup_size: 1024
    .name:           _ZN4vllm25paged_attention_v2_kernelI14__hip_bfloat16S1_Li192ELi16ELi128ELNS_18Fp8KVCacheDataTypeE0ELb0ELi512EEEvPfS3_PT_PKS4_PKT0_SA_ifPKiSC_iPKfiiiSE_SE_iiiii
    .private_segment_fixed_size: 0
    .sgpr_count:     49
    .sgpr_spill_count: 0
    .symbol:         _ZN4vllm25paged_attention_v2_kernelI14__hip_bfloat16S1_Li192ELi16ELi128ELNS_18Fp8KVCacheDataTypeE0ELb0ELi512EEEvPfS3_PT_PKS4_PKT0_SA_ifPKiSC_iPKfiiiSE_SE_iiiii.kd
    .uniform_work_group_size: 1
    .uses_dynamic_stack: false
    .vgpr_count:     102
    .vgpr_spill_count: 0
    .wavefront_size: 64
  - .agpr_count:     0
    .args:
      - .actual_access:  write_only
        .address_space:  global
        .offset:         0
        .size:           8
        .value_kind:     global_buffer
      - .actual_access:  write_only
        .address_space:  global
        .offset:         8
        .size:           8
        .value_kind:     global_buffer
      - .actual_access:  write_only
        .address_space:  global
        .offset:         16
        .size:           8
        .value_kind:     global_buffer
      - .actual_access:  read_only
        .address_space:  global
        .offset:         24
        .size:           8
        .value_kind:     global_buffer
      - .actual_access:  read_only
        .address_space:  global
        .offset:         32
        .size:           8
        .value_kind:     global_buffer
      - .actual_access:  read_only
        .address_space:  global
        .offset:         40
        .size:           8
        .value_kind:     global_buffer
      - .offset:         48
        .size:           4
        .value_kind:     by_value
      - .offset:         52
        .size:           4
        .value_kind:     by_value
      - .actual_access:  read_only
        .address_space:  global
        .offset:         56
        .size:           8
        .value_kind:     global_buffer
      - .actual_access:  read_only
        .address_space:  global
        .offset:         64
        .size:           8
        .value_kind:     global_buffer
      - .offset:         72
        .size:           4
        .value_kind:     by_value
      - .actual_access:  read_only
        .address_space:  global
        .offset:         80
        .size:           8
        .value_kind:     global_buffer
      - .offset:         88
        .size:           4
        .value_kind:     by_value
      - .offset:         92
        .size:           4
        .value_kind:     by_value
      - .offset:         96
        .size:           4
        .value_kind:     by_value
      - .address_space:  global
        .offset:         104
        .size:           8
        .value_kind:     global_buffer
      - .address_space:  global
        .offset:         112
        .size:           8
        .value_kind:     global_buffer
      - .offset:         120
        .size:           4
        .value_kind:     by_value
      - .offset:         124
        .size:           4
        .value_kind:     by_value
      - .offset:         128
        .size:           4
        .value_kind:     by_value
      - .offset:         132
        .size:           4
        .value_kind:     by_value
      - .offset:         136
        .size:           4
        .value_kind:     by_value
      - .offset:         144
        .size:           4
        .value_kind:     hidden_block_count_x
      - .offset:         148
        .size:           4
        .value_kind:     hidden_block_count_y
      - .offset:         152
        .size:           4
        .value_kind:     hidden_block_count_z
      - .offset:         156
        .size:           2
        .value_kind:     hidden_group_size_x
      - .offset:         158
        .size:           2
        .value_kind:     hidden_group_size_y
      - .offset:         160
        .size:           2
        .value_kind:     hidden_group_size_z
      - .offset:         162
        .size:           2
        .value_kind:     hidden_remainder_x
      - .offset:         164
        .size:           2
        .value_kind:     hidden_remainder_y
      - .offset:         166
        .size:           2
        .value_kind:     hidden_remainder_z
      - .offset:         184
        .size:           8
        .value_kind:     hidden_global_offset_x
      - .offset:         192
        .size:           8
        .value_kind:     hidden_global_offset_y
      - .offset:         200
        .size:           8
        .value_kind:     hidden_global_offset_z
      - .offset:         208
        .size:           2
        .value_kind:     hidden_grid_dims
      - .offset:         264
        .size:           4
        .value_kind:     hidden_dynamic_lds_size
    .group_segment_fixed_size: 528
    .kernarg_segment_align: 8
    .kernarg_segment_size: 400
    .language:       OpenCL C
    .language_version:
      - 2
      - 0
    .max_flat_workgroup_size: 1024
    .name:           _ZN4vllm25paged_attention_v2_kernelI14__hip_bfloat16S1_Li256ELi16ELi128ELNS_18Fp8KVCacheDataTypeE0ELb0ELi512EEEvPfS3_PT_PKS4_PKT0_SA_ifPKiSC_iPKfiiiSE_SE_iiiii
    .private_segment_fixed_size: 0
    .sgpr_count:     49
    .sgpr_spill_count: 0
    .symbol:         _ZN4vllm25paged_attention_v2_kernelI14__hip_bfloat16S1_Li256ELi16ELi128ELNS_18Fp8KVCacheDataTypeE0ELb0ELi512EEEvPfS3_PT_PKS4_PKT0_SA_ifPKiSC_iPKfiiiSE_SE_iiiii.kd
    .uniform_work_group_size: 1
    .uses_dynamic_stack: false
    .vgpr_count:     116
    .vgpr_spill_count: 0
    .wavefront_size: 64
  - .agpr_count:     0
    .args:
      - .actual_access:  write_only
        .address_space:  global
        .offset:         0
        .size:           8
        .value_kind:     global_buffer
      - .actual_access:  write_only
        .address_space:  global
        .offset:         8
        .size:           8
        .value_kind:     global_buffer
      - .actual_access:  write_only
        .address_space:  global
        .offset:         16
        .size:           8
        .value_kind:     global_buffer
      - .actual_access:  read_only
        .address_space:  global
        .offset:         24
        .size:           8
        .value_kind:     global_buffer
      - .actual_access:  read_only
        .address_space:  global
        .offset:         32
        .size:           8
        .value_kind:     global_buffer
      - .actual_access:  read_only
        .address_space:  global
        .offset:         40
        .size:           8
        .value_kind:     global_buffer
      - .offset:         48
        .size:           4
        .value_kind:     by_value
      - .offset:         52
        .size:           4
        .value_kind:     by_value
      - .actual_access:  read_only
        .address_space:  global
        .offset:         56
        .size:           8
        .value_kind:     global_buffer
      - .actual_access:  read_only
        .address_space:  global
        .offset:         64
        .size:           8
        .value_kind:     global_buffer
      - .offset:         72
        .size:           4
        .value_kind:     by_value
      - .actual_access:  read_only
        .address_space:  global
        .offset:         80
        .size:           8
        .value_kind:     global_buffer
      - .offset:         88
        .size:           4
        .value_kind:     by_value
      - .offset:         92
        .size:           4
        .value_kind:     by_value
      - .offset:         96
        .size:           4
        .value_kind:     by_value
      - .address_space:  global
        .offset:         104
        .size:           8
        .value_kind:     global_buffer
      - .address_space:  global
        .offset:         112
        .size:           8
        .value_kind:     global_buffer
      - .offset:         120
        .size:           4
        .value_kind:     by_value
      - .offset:         124
        .size:           4
        .value_kind:     by_value
      - .offset:         128
        .size:           4
        .value_kind:     by_value
      - .offset:         132
        .size:           4
        .value_kind:     by_value
      - .offset:         136
        .size:           4
        .value_kind:     by_value
      - .offset:         144
        .size:           4
        .value_kind:     hidden_block_count_x
      - .offset:         148
        .size:           4
        .value_kind:     hidden_block_count_y
      - .offset:         152
        .size:           4
        .value_kind:     hidden_block_count_z
      - .offset:         156
        .size:           2
        .value_kind:     hidden_group_size_x
      - .offset:         158
        .size:           2
        .value_kind:     hidden_group_size_y
      - .offset:         160
        .size:           2
        .value_kind:     hidden_group_size_z
      - .offset:         162
        .size:           2
        .value_kind:     hidden_remainder_x
      - .offset:         164
        .size:           2
        .value_kind:     hidden_remainder_y
      - .offset:         166
        .size:           2
        .value_kind:     hidden_remainder_z
      - .offset:         184
        .size:           8
        .value_kind:     hidden_global_offset_x
      - .offset:         192
        .size:           8
        .value_kind:     hidden_global_offset_y
      - .offset:         200
        .size:           8
        .value_kind:     hidden_global_offset_z
      - .offset:         208
        .size:           2
        .value_kind:     hidden_grid_dims
      - .offset:         264
        .size:           4
        .value_kind:     hidden_dynamic_lds_size
    .group_segment_fixed_size: 80
    .kernarg_segment_align: 8
    .kernarg_segment_size: 400
    .language:       OpenCL C
    .language_version:
      - 2
      - 0
    .max_flat_workgroup_size: 1024
    .name:           _ZN4vllm25paged_attention_v2_kernelI14__hip_bfloat16S1_Li32ELi32ELi128ELNS_18Fp8KVCacheDataTypeE0ELb1ELi512EEEvPfS3_PT_PKS4_PKT0_SA_ifPKiSC_iPKfiiiSE_SE_iiiii
    .private_segment_fixed_size: 0
    .sgpr_count:     58
    .sgpr_spill_count: 0
    .symbol:         _ZN4vllm25paged_attention_v2_kernelI14__hip_bfloat16S1_Li32ELi32ELi128ELNS_18Fp8KVCacheDataTypeE0ELb1ELi512EEEvPfS3_PT_PKS4_PKT0_SA_ifPKiSC_iPKfiiiSE_SE_iiiii.kd
    .uniform_work_group_size: 1
    .uses_dynamic_stack: false
    .vgpr_count:     56
    .vgpr_spill_count: 0
    .wavefront_size: 64
  - .agpr_count:     0
    .args:
      - .actual_access:  write_only
        .address_space:  global
        .offset:         0
        .size:           8
        .value_kind:     global_buffer
      - .actual_access:  write_only
        .address_space:  global
        .offset:         8
        .size:           8
        .value_kind:     global_buffer
      - .actual_access:  write_only
        .address_space:  global
        .offset:         16
        .size:           8
        .value_kind:     global_buffer
      - .actual_access:  read_only
        .address_space:  global
        .offset:         24
        .size:           8
        .value_kind:     global_buffer
      - .actual_access:  read_only
        .address_space:  global
        .offset:         32
        .size:           8
        .value_kind:     global_buffer
      - .actual_access:  read_only
        .address_space:  global
        .offset:         40
        .size:           8
        .value_kind:     global_buffer
      - .offset:         48
        .size:           4
        .value_kind:     by_value
      - .offset:         52
        .size:           4
        .value_kind:     by_value
      - .actual_access:  read_only
        .address_space:  global
        .offset:         56
        .size:           8
        .value_kind:     global_buffer
      - .actual_access:  read_only
        .address_space:  global
        .offset:         64
        .size:           8
        .value_kind:     global_buffer
      - .offset:         72
        .size:           4
        .value_kind:     by_value
      - .actual_access:  read_only
        .address_space:  global
        .offset:         80
        .size:           8
        .value_kind:     global_buffer
      - .offset:         88
        .size:           4
        .value_kind:     by_value
      - .offset:         92
        .size:           4
        .value_kind:     by_value
      - .offset:         96
        .size:           4
        .value_kind:     by_value
      - .address_space:  global
        .offset:         104
        .size:           8
        .value_kind:     global_buffer
      - .address_space:  global
        .offset:         112
        .size:           8
        .value_kind:     global_buffer
      - .offset:         120
        .size:           4
        .value_kind:     by_value
      - .offset:         124
        .size:           4
        .value_kind:     by_value
      - .offset:         128
        .size:           4
        .value_kind:     by_value
      - .offset:         132
        .size:           4
        .value_kind:     by_value
      - .offset:         136
        .size:           4
        .value_kind:     by_value
      - .offset:         144
        .size:           4
        .value_kind:     hidden_block_count_x
      - .offset:         148
        .size:           4
        .value_kind:     hidden_block_count_y
      - .offset:         152
        .size:           4
        .value_kind:     hidden_block_count_z
      - .offset:         156
        .size:           2
        .value_kind:     hidden_group_size_x
      - .offset:         158
        .size:           2
        .value_kind:     hidden_group_size_y
      - .offset:         160
        .size:           2
        .value_kind:     hidden_group_size_z
      - .offset:         162
        .size:           2
        .value_kind:     hidden_remainder_x
      - .offset:         164
        .size:           2
        .value_kind:     hidden_remainder_y
      - .offset:         166
        .size:           2
        .value_kind:     hidden_remainder_z
      - .offset:         184
        .size:           8
        .value_kind:     hidden_global_offset_x
      - .offset:         192
        .size:           8
        .value_kind:     hidden_global_offset_y
      - .offset:         200
        .size:           8
        .value_kind:     hidden_global_offset_z
      - .offset:         208
        .size:           2
        .value_kind:     hidden_grid_dims
      - .offset:         264
        .size:           4
        .value_kind:     hidden_dynamic_lds_size
    .group_segment_fixed_size: 144
    .kernarg_segment_align: 8
    .kernarg_segment_size: 400
    .language:       OpenCL C
    .language_version:
      - 2
      - 0
    .max_flat_workgroup_size: 1024
    .name:           _ZN4vllm25paged_attention_v2_kernelI14__hip_bfloat16S1_Li64ELi32ELi128ELNS_18Fp8KVCacheDataTypeE0ELb1ELi512EEEvPfS3_PT_PKS4_PKT0_SA_ifPKiSC_iPKfiiiSE_SE_iiiii
    .private_segment_fixed_size: 0
    .sgpr_count:     58
    .sgpr_spill_count: 0
    .symbol:         _ZN4vllm25paged_attention_v2_kernelI14__hip_bfloat16S1_Li64ELi32ELi128ELNS_18Fp8KVCacheDataTypeE0ELb1ELi512EEEvPfS3_PT_PKS4_PKT0_SA_ifPKiSC_iPKfiiiSE_SE_iiiii.kd
    .uniform_work_group_size: 1
    .uses_dynamic_stack: false
    .vgpr_count:     88
    .vgpr_spill_count: 0
    .wavefront_size: 64
  - .agpr_count:     0
    .args:
      - .actual_access:  write_only
        .address_space:  global
        .offset:         0
        .size:           8
        .value_kind:     global_buffer
      - .actual_access:  write_only
        .address_space:  global
        .offset:         8
        .size:           8
        .value_kind:     global_buffer
      - .actual_access:  write_only
        .address_space:  global
        .offset:         16
        .size:           8
        .value_kind:     global_buffer
      - .actual_access:  read_only
        .address_space:  global
        .offset:         24
        .size:           8
        .value_kind:     global_buffer
      - .actual_access:  read_only
        .address_space:  global
        .offset:         32
        .size:           8
        .value_kind:     global_buffer
      - .actual_access:  read_only
        .address_space:  global
        .offset:         40
        .size:           8
        .value_kind:     global_buffer
      - .offset:         48
        .size:           4
        .value_kind:     by_value
      - .offset:         52
        .size:           4
        .value_kind:     by_value
      - .actual_access:  read_only
        .address_space:  global
        .offset:         56
        .size:           8
        .value_kind:     global_buffer
      - .actual_access:  read_only
        .address_space:  global
        .offset:         64
        .size:           8
        .value_kind:     global_buffer
      - .offset:         72
        .size:           4
        .value_kind:     by_value
      - .actual_access:  read_only
        .address_space:  global
        .offset:         80
        .size:           8
        .value_kind:     global_buffer
      - .offset:         88
        .size:           4
        .value_kind:     by_value
      - .offset:         92
        .size:           4
        .value_kind:     by_value
      - .offset:         96
        .size:           4
        .value_kind:     by_value
      - .address_space:  global
        .offset:         104
        .size:           8
        .value_kind:     global_buffer
      - .address_space:  global
        .offset:         112
        .size:           8
        .value_kind:     global_buffer
      - .offset:         120
        .size:           4
        .value_kind:     by_value
      - .offset:         124
        .size:           4
        .value_kind:     by_value
      - .offset:         128
        .size:           4
        .value_kind:     by_value
      - .offset:         132
        .size:           4
        .value_kind:     by_value
      - .offset:         136
        .size:           4
        .value_kind:     by_value
      - .offset:         144
        .size:           4
        .value_kind:     hidden_block_count_x
      - .offset:         148
        .size:           4
        .value_kind:     hidden_block_count_y
      - .offset:         152
        .size:           4
        .value_kind:     hidden_block_count_z
      - .offset:         156
        .size:           2
        .value_kind:     hidden_group_size_x
      - .offset:         158
        .size:           2
        .value_kind:     hidden_group_size_y
      - .offset:         160
        .size:           2
        .value_kind:     hidden_group_size_z
      - .offset:         162
        .size:           2
        .value_kind:     hidden_remainder_x
      - .offset:         164
        .size:           2
        .value_kind:     hidden_remainder_y
      - .offset:         166
        .size:           2
        .value_kind:     hidden_remainder_z
      - .offset:         184
        .size:           8
        .value_kind:     hidden_global_offset_x
      - .offset:         192
        .size:           8
        .value_kind:     hidden_global_offset_y
      - .offset:         200
        .size:           8
        .value_kind:     hidden_global_offset_z
      - .offset:         208
        .size:           2
        .value_kind:     hidden_grid_dims
      - .offset:         264
        .size:           4
        .value_kind:     hidden_dynamic_lds_size
    .group_segment_fixed_size: 176
    .kernarg_segment_align: 8
    .kernarg_segment_size: 400
    .language:       OpenCL C
    .language_version:
      - 2
      - 0
    .max_flat_workgroup_size: 1024
    .name:           _ZN4vllm25paged_attention_v2_kernelI14__hip_bfloat16S1_Li80ELi32ELi128ELNS_18Fp8KVCacheDataTypeE0ELb1ELi512EEEvPfS3_PT_PKS4_PKT0_SA_ifPKiSC_iPKfiiiSE_SE_iiiii
    .private_segment_fixed_size: 0
    .sgpr_count:     59
    .sgpr_spill_count: 0
    .symbol:         _ZN4vllm25paged_attention_v2_kernelI14__hip_bfloat16S1_Li80ELi32ELi128ELNS_18Fp8KVCacheDataTypeE0ELb1ELi512EEEvPfS3_PT_PKS4_PKT0_SA_ifPKiSC_iPKfiiiSE_SE_iiiii.kd
    .uniform_work_group_size: 1
    .uses_dynamic_stack: false
    .vgpr_count:     94
    .vgpr_spill_count: 0
    .wavefront_size: 64
  - .agpr_count:     0
    .args:
      - .actual_access:  write_only
        .address_space:  global
        .offset:         0
        .size:           8
        .value_kind:     global_buffer
      - .actual_access:  write_only
        .address_space:  global
        .offset:         8
        .size:           8
        .value_kind:     global_buffer
      - .actual_access:  write_only
        .address_space:  global
        .offset:         16
        .size:           8
        .value_kind:     global_buffer
      - .actual_access:  read_only
        .address_space:  global
        .offset:         24
        .size:           8
        .value_kind:     global_buffer
      - .actual_access:  read_only
        .address_space:  global
        .offset:         32
        .size:           8
        .value_kind:     global_buffer
      - .actual_access:  read_only
        .address_space:  global
        .offset:         40
        .size:           8
        .value_kind:     global_buffer
      - .offset:         48
        .size:           4
        .value_kind:     by_value
      - .offset:         52
        .size:           4
        .value_kind:     by_value
      - .actual_access:  read_only
        .address_space:  global
        .offset:         56
        .size:           8
        .value_kind:     global_buffer
      - .actual_access:  read_only
        .address_space:  global
        .offset:         64
        .size:           8
        .value_kind:     global_buffer
      - .offset:         72
        .size:           4
        .value_kind:     by_value
      - .actual_access:  read_only
        .address_space:  global
        .offset:         80
        .size:           8
        .value_kind:     global_buffer
      - .offset:         88
        .size:           4
        .value_kind:     by_value
      - .offset:         92
        .size:           4
        .value_kind:     by_value
      - .offset:         96
        .size:           4
        .value_kind:     by_value
      - .address_space:  global
        .offset:         104
        .size:           8
        .value_kind:     global_buffer
      - .address_space:  global
        .offset:         112
        .size:           8
        .value_kind:     global_buffer
      - .offset:         120
        .size:           4
        .value_kind:     by_value
      - .offset:         124
        .size:           4
        .value_kind:     by_value
      - .offset:         128
        .size:           4
        .value_kind:     by_value
      - .offset:         132
        .size:           4
        .value_kind:     by_value
      - .offset:         136
        .size:           4
        .value_kind:     by_value
      - .offset:         144
        .size:           4
        .value_kind:     hidden_block_count_x
      - .offset:         148
        .size:           4
        .value_kind:     hidden_block_count_y
      - .offset:         152
        .size:           4
        .value_kind:     hidden_block_count_z
      - .offset:         156
        .size:           2
        .value_kind:     hidden_group_size_x
      - .offset:         158
        .size:           2
        .value_kind:     hidden_group_size_y
      - .offset:         160
        .size:           2
        .value_kind:     hidden_group_size_z
      - .offset:         162
        .size:           2
        .value_kind:     hidden_remainder_x
      - .offset:         164
        .size:           2
        .value_kind:     hidden_remainder_y
      - .offset:         166
        .size:           2
        .value_kind:     hidden_remainder_z
      - .offset:         184
        .size:           8
        .value_kind:     hidden_global_offset_x
      - .offset:         192
        .size:           8
        .value_kind:     hidden_global_offset_y
      - .offset:         200
        .size:           8
        .value_kind:     hidden_global_offset_z
      - .offset:         208
        .size:           2
        .value_kind:     hidden_grid_dims
      - .offset:         264
        .size:           4
        .value_kind:     hidden_dynamic_lds_size
    .group_segment_fixed_size: 208
    .kernarg_segment_align: 8
    .kernarg_segment_size: 400
    .language:       OpenCL C
    .language_version:
      - 2
      - 0
    .max_flat_workgroup_size: 1024
    .name:           _ZN4vllm25paged_attention_v2_kernelI14__hip_bfloat16S1_Li96ELi32ELi128ELNS_18Fp8KVCacheDataTypeE0ELb1ELi512EEEvPfS3_PT_PKS4_PKT0_SA_ifPKiSC_iPKfiiiSE_SE_iiiii
    .private_segment_fixed_size: 0
    .sgpr_count:     59
    .sgpr_spill_count: 0
    .symbol:         _ZN4vllm25paged_attention_v2_kernelI14__hip_bfloat16S1_Li96ELi32ELi128ELNS_18Fp8KVCacheDataTypeE0ELb1ELi512EEEvPfS3_PT_PKS4_PKT0_SA_ifPKiSC_iPKfiiiSE_SE_iiiii.kd
    .uniform_work_group_size: 1
    .uses_dynamic_stack: false
    .vgpr_count:     111
    .vgpr_spill_count: 0
    .wavefront_size: 64
  - .agpr_count:     0
    .args:
      - .actual_access:  write_only
        .address_space:  global
        .offset:         0
        .size:           8
        .value_kind:     global_buffer
      - .actual_access:  write_only
        .address_space:  global
        .offset:         8
        .size:           8
        .value_kind:     global_buffer
      - .actual_access:  write_only
        .address_space:  global
        .offset:         16
        .size:           8
        .value_kind:     global_buffer
      - .actual_access:  read_only
        .address_space:  global
        .offset:         24
        .size:           8
        .value_kind:     global_buffer
      - .actual_access:  read_only
        .address_space:  global
        .offset:         32
        .size:           8
        .value_kind:     global_buffer
      - .actual_access:  read_only
        .address_space:  global
        .offset:         40
        .size:           8
        .value_kind:     global_buffer
      - .offset:         48
        .size:           4
        .value_kind:     by_value
      - .offset:         52
        .size:           4
        .value_kind:     by_value
      - .actual_access:  read_only
        .address_space:  global
        .offset:         56
        .size:           8
        .value_kind:     global_buffer
      - .actual_access:  read_only
        .address_space:  global
        .offset:         64
        .size:           8
        .value_kind:     global_buffer
      - .offset:         72
        .size:           4
        .value_kind:     by_value
      - .actual_access:  read_only
        .address_space:  global
        .offset:         80
        .size:           8
        .value_kind:     global_buffer
      - .offset:         88
        .size:           4
        .value_kind:     by_value
      - .offset:         92
        .size:           4
        .value_kind:     by_value
      - .offset:         96
        .size:           4
        .value_kind:     by_value
      - .address_space:  global
        .offset:         104
        .size:           8
        .value_kind:     global_buffer
      - .address_space:  global
        .offset:         112
        .size:           8
        .value_kind:     global_buffer
      - .offset:         120
        .size:           4
        .value_kind:     by_value
      - .offset:         124
        .size:           4
        .value_kind:     by_value
      - .offset:         128
        .size:           4
        .value_kind:     by_value
      - .offset:         132
        .size:           4
        .value_kind:     by_value
      - .offset:         136
        .size:           4
        .value_kind:     by_value
      - .offset:         144
        .size:           4
        .value_kind:     hidden_block_count_x
      - .offset:         148
        .size:           4
        .value_kind:     hidden_block_count_y
      - .offset:         152
        .size:           4
        .value_kind:     hidden_block_count_z
      - .offset:         156
        .size:           2
        .value_kind:     hidden_group_size_x
      - .offset:         158
        .size:           2
        .value_kind:     hidden_group_size_y
      - .offset:         160
        .size:           2
        .value_kind:     hidden_group_size_z
      - .offset:         162
        .size:           2
        .value_kind:     hidden_remainder_x
      - .offset:         164
        .size:           2
        .value_kind:     hidden_remainder_y
      - .offset:         166
        .size:           2
        .value_kind:     hidden_remainder_z
      - .offset:         184
        .size:           8
        .value_kind:     hidden_global_offset_x
      - .offset:         192
        .size:           8
        .value_kind:     hidden_global_offset_y
      - .offset:         200
        .size:           8
        .value_kind:     hidden_global_offset_z
      - .offset:         208
        .size:           2
        .value_kind:     hidden_grid_dims
      - .offset:         264
        .size:           4
        .value_kind:     hidden_dynamic_lds_size
    .group_segment_fixed_size: 240
    .kernarg_segment_align: 8
    .kernarg_segment_size: 400
    .language:       OpenCL C
    .language_version:
      - 2
      - 0
    .max_flat_workgroup_size: 1024
    .name:           _ZN4vllm25paged_attention_v2_kernelI14__hip_bfloat16S1_Li112ELi32ELi128ELNS_18Fp8KVCacheDataTypeE0ELb1ELi512EEEvPfS3_PT_PKS4_PKT0_SA_ifPKiSC_iPKfiiiSE_SE_iiiii
    .private_segment_fixed_size: 0
    .sgpr_count:     59
    .sgpr_spill_count: 0
    .symbol:         _ZN4vllm25paged_attention_v2_kernelI14__hip_bfloat16S1_Li112ELi32ELi128ELNS_18Fp8KVCacheDataTypeE0ELb1ELi512EEEvPfS3_PT_PKS4_PKT0_SA_ifPKiSC_iPKfiiiSE_SE_iiiii.kd
    .uniform_work_group_size: 1
    .uses_dynamic_stack: false
    .vgpr_count:     109
    .vgpr_spill_count: 0
    .wavefront_size: 64
  - .agpr_count:     0
    .args:
      - .actual_access:  write_only
        .address_space:  global
        .offset:         0
        .size:           8
        .value_kind:     global_buffer
      - .actual_access:  write_only
        .address_space:  global
        .offset:         8
        .size:           8
        .value_kind:     global_buffer
      - .actual_access:  write_only
        .address_space:  global
        .offset:         16
        .size:           8
        .value_kind:     global_buffer
      - .actual_access:  read_only
        .address_space:  global
        .offset:         24
        .size:           8
        .value_kind:     global_buffer
      - .actual_access:  read_only
        .address_space:  global
        .offset:         32
        .size:           8
        .value_kind:     global_buffer
      - .actual_access:  read_only
        .address_space:  global
        .offset:         40
        .size:           8
        .value_kind:     global_buffer
      - .offset:         48
        .size:           4
        .value_kind:     by_value
      - .offset:         52
        .size:           4
        .value_kind:     by_value
      - .actual_access:  read_only
        .address_space:  global
        .offset:         56
        .size:           8
        .value_kind:     global_buffer
      - .actual_access:  read_only
        .address_space:  global
        .offset:         64
        .size:           8
        .value_kind:     global_buffer
      - .offset:         72
        .size:           4
        .value_kind:     by_value
      - .actual_access:  read_only
        .address_space:  global
        .offset:         80
        .size:           8
        .value_kind:     global_buffer
      - .offset:         88
        .size:           4
        .value_kind:     by_value
      - .offset:         92
        .size:           4
        .value_kind:     by_value
      - .offset:         96
        .size:           4
        .value_kind:     by_value
      - .address_space:  global
        .offset:         104
        .size:           8
        .value_kind:     global_buffer
      - .address_space:  global
        .offset:         112
        .size:           8
        .value_kind:     global_buffer
      - .offset:         120
        .size:           4
        .value_kind:     by_value
      - .offset:         124
        .size:           4
        .value_kind:     by_value
      - .offset:         128
        .size:           4
        .value_kind:     by_value
      - .offset:         132
        .size:           4
        .value_kind:     by_value
      - .offset:         136
        .size:           4
        .value_kind:     by_value
      - .offset:         144
        .size:           4
        .value_kind:     hidden_block_count_x
      - .offset:         148
        .size:           4
        .value_kind:     hidden_block_count_y
      - .offset:         152
        .size:           4
        .value_kind:     hidden_block_count_z
      - .offset:         156
        .size:           2
        .value_kind:     hidden_group_size_x
      - .offset:         158
        .size:           2
        .value_kind:     hidden_group_size_y
      - .offset:         160
        .size:           2
        .value_kind:     hidden_group_size_z
      - .offset:         162
        .size:           2
        .value_kind:     hidden_remainder_x
      - .offset:         164
        .size:           2
        .value_kind:     hidden_remainder_y
      - .offset:         166
        .size:           2
        .value_kind:     hidden_remainder_z
      - .offset:         184
        .size:           8
        .value_kind:     hidden_global_offset_x
      - .offset:         192
        .size:           8
        .value_kind:     hidden_global_offset_y
      - .offset:         200
        .size:           8
        .value_kind:     hidden_global_offset_z
      - .offset:         208
        .size:           2
        .value_kind:     hidden_grid_dims
      - .offset:         264
        .size:           4
        .value_kind:     hidden_dynamic_lds_size
    .group_segment_fixed_size: 256
    .kernarg_segment_align: 8
    .kernarg_segment_size: 400
    .language:       OpenCL C
    .language_version:
      - 2
      - 0
    .max_flat_workgroup_size: 1024
    .name:           _ZN4vllm25paged_attention_v2_kernelI14__hip_bfloat16S1_Li120ELi32ELi128ELNS_18Fp8KVCacheDataTypeE0ELb1ELi512EEEvPfS3_PT_PKS4_PKT0_SA_ifPKiSC_iPKfiiiSE_SE_iiiii
    .private_segment_fixed_size: 0
    .sgpr_count:     59
    .sgpr_spill_count: 0
    .symbol:         _ZN4vllm25paged_attention_v2_kernelI14__hip_bfloat16S1_Li120ELi32ELi128ELNS_18Fp8KVCacheDataTypeE0ELb1ELi512EEEvPfS3_PT_PKS4_PKT0_SA_ifPKiSC_iPKfiiiSE_SE_iiiii.kd
    .uniform_work_group_size: 1
    .uses_dynamic_stack: false
    .vgpr_count:     100
    .vgpr_spill_count: 0
    .wavefront_size: 64
  - .agpr_count:     0
    .args:
      - .actual_access:  write_only
        .address_space:  global
        .offset:         0
        .size:           8
        .value_kind:     global_buffer
      - .actual_access:  write_only
        .address_space:  global
        .offset:         8
        .size:           8
        .value_kind:     global_buffer
      - .actual_access:  write_only
        .address_space:  global
        .offset:         16
        .size:           8
        .value_kind:     global_buffer
      - .actual_access:  read_only
        .address_space:  global
        .offset:         24
        .size:           8
        .value_kind:     global_buffer
      - .actual_access:  read_only
        .address_space:  global
        .offset:         32
        .size:           8
        .value_kind:     global_buffer
      - .actual_access:  read_only
        .address_space:  global
        .offset:         40
        .size:           8
        .value_kind:     global_buffer
      - .offset:         48
        .size:           4
        .value_kind:     by_value
      - .offset:         52
        .size:           4
        .value_kind:     by_value
      - .actual_access:  read_only
        .address_space:  global
        .offset:         56
        .size:           8
        .value_kind:     global_buffer
      - .actual_access:  read_only
        .address_space:  global
        .offset:         64
        .size:           8
        .value_kind:     global_buffer
      - .offset:         72
        .size:           4
        .value_kind:     by_value
      - .actual_access:  read_only
        .address_space:  global
        .offset:         80
        .size:           8
        .value_kind:     global_buffer
      - .offset:         88
        .size:           4
        .value_kind:     by_value
      - .offset:         92
        .size:           4
        .value_kind:     by_value
      - .offset:         96
        .size:           4
        .value_kind:     by_value
      - .address_space:  global
        .offset:         104
        .size:           8
        .value_kind:     global_buffer
      - .address_space:  global
        .offset:         112
        .size:           8
        .value_kind:     global_buffer
      - .offset:         120
        .size:           4
        .value_kind:     by_value
      - .offset:         124
        .size:           4
        .value_kind:     by_value
      - .offset:         128
        .size:           4
        .value_kind:     by_value
      - .offset:         132
        .size:           4
        .value_kind:     by_value
      - .offset:         136
        .size:           4
        .value_kind:     by_value
      - .offset:         144
        .size:           4
        .value_kind:     hidden_block_count_x
      - .offset:         148
        .size:           4
        .value_kind:     hidden_block_count_y
      - .offset:         152
        .size:           4
        .value_kind:     hidden_block_count_z
      - .offset:         156
        .size:           2
        .value_kind:     hidden_group_size_x
      - .offset:         158
        .size:           2
        .value_kind:     hidden_group_size_y
      - .offset:         160
        .size:           2
        .value_kind:     hidden_group_size_z
      - .offset:         162
        .size:           2
        .value_kind:     hidden_remainder_x
      - .offset:         164
        .size:           2
        .value_kind:     hidden_remainder_y
      - .offset:         166
        .size:           2
        .value_kind:     hidden_remainder_z
      - .offset:         184
        .size:           8
        .value_kind:     hidden_global_offset_x
      - .offset:         192
        .size:           8
        .value_kind:     hidden_global_offset_y
      - .offset:         200
        .size:           8
        .value_kind:     hidden_global_offset_z
      - .offset:         208
        .size:           2
        .value_kind:     hidden_grid_dims
      - .offset:         264
        .size:           4
        .value_kind:     hidden_dynamic_lds_size
    .group_segment_fixed_size: 272
    .kernarg_segment_align: 8
    .kernarg_segment_size: 400
    .language:       OpenCL C
    .language_version:
      - 2
      - 0
    .max_flat_workgroup_size: 1024
    .name:           _ZN4vllm25paged_attention_v2_kernelI14__hip_bfloat16S1_Li128ELi32ELi128ELNS_18Fp8KVCacheDataTypeE0ELb1ELi512EEEvPfS3_PT_PKS4_PKT0_SA_ifPKiSC_iPKfiiiSE_SE_iiiii
    .private_segment_fixed_size: 0
    .sgpr_count:     59
    .sgpr_spill_count: 0
    .symbol:         _ZN4vllm25paged_attention_v2_kernelI14__hip_bfloat16S1_Li128ELi32ELi128ELNS_18Fp8KVCacheDataTypeE0ELb1ELi512EEEvPfS3_PT_PKS4_PKT0_SA_ifPKiSC_iPKfiiiSE_SE_iiiii.kd
    .uniform_work_group_size: 1
    .uses_dynamic_stack: false
    .vgpr_count:     106
    .vgpr_spill_count: 0
    .wavefront_size: 64
  - .agpr_count:     0
    .args:
      - .actual_access:  write_only
        .address_space:  global
        .offset:         0
        .size:           8
        .value_kind:     global_buffer
      - .actual_access:  write_only
        .address_space:  global
        .offset:         8
        .size:           8
        .value_kind:     global_buffer
      - .actual_access:  write_only
        .address_space:  global
        .offset:         16
        .size:           8
        .value_kind:     global_buffer
      - .actual_access:  read_only
        .address_space:  global
        .offset:         24
        .size:           8
        .value_kind:     global_buffer
      - .actual_access:  read_only
        .address_space:  global
        .offset:         32
        .size:           8
        .value_kind:     global_buffer
      - .actual_access:  read_only
        .address_space:  global
        .offset:         40
        .size:           8
        .value_kind:     global_buffer
      - .offset:         48
        .size:           4
        .value_kind:     by_value
      - .offset:         52
        .size:           4
        .value_kind:     by_value
      - .actual_access:  read_only
        .address_space:  global
        .offset:         56
        .size:           8
        .value_kind:     global_buffer
      - .actual_access:  read_only
        .address_space:  global
        .offset:         64
        .size:           8
        .value_kind:     global_buffer
      - .offset:         72
        .size:           4
        .value_kind:     by_value
      - .actual_access:  read_only
        .address_space:  global
        .offset:         80
        .size:           8
        .value_kind:     global_buffer
      - .offset:         88
        .size:           4
        .value_kind:     by_value
      - .offset:         92
        .size:           4
        .value_kind:     by_value
      - .offset:         96
        .size:           4
        .value_kind:     by_value
      - .address_space:  global
        .offset:         104
        .size:           8
        .value_kind:     global_buffer
      - .address_space:  global
        .offset:         112
        .size:           8
        .value_kind:     global_buffer
      - .offset:         120
        .size:           4
        .value_kind:     by_value
      - .offset:         124
        .size:           4
        .value_kind:     by_value
      - .offset:         128
        .size:           4
        .value_kind:     by_value
      - .offset:         132
        .size:           4
        .value_kind:     by_value
      - .offset:         136
        .size:           4
        .value_kind:     by_value
      - .offset:         144
        .size:           4
        .value_kind:     hidden_block_count_x
      - .offset:         148
        .size:           4
        .value_kind:     hidden_block_count_y
      - .offset:         152
        .size:           4
        .value_kind:     hidden_block_count_z
      - .offset:         156
        .size:           2
        .value_kind:     hidden_group_size_x
      - .offset:         158
        .size:           2
        .value_kind:     hidden_group_size_y
      - .offset:         160
        .size:           2
        .value_kind:     hidden_group_size_z
      - .offset:         162
        .size:           2
        .value_kind:     hidden_remainder_x
      - .offset:         164
        .size:           2
        .value_kind:     hidden_remainder_y
      - .offset:         166
        .size:           2
        .value_kind:     hidden_remainder_z
      - .offset:         184
        .size:           8
        .value_kind:     hidden_global_offset_x
      - .offset:         192
        .size:           8
        .value_kind:     hidden_global_offset_y
      - .offset:         200
        .size:           8
        .value_kind:     hidden_global_offset_z
      - .offset:         208
        .size:           2
        .value_kind:     hidden_grid_dims
      - .offset:         264
        .size:           4
        .value_kind:     hidden_dynamic_lds_size
    .group_segment_fixed_size: 400
    .kernarg_segment_align: 8
    .kernarg_segment_size: 400
    .language:       OpenCL C
    .language_version:
      - 2
      - 0
    .max_flat_workgroup_size: 1024
    .name:           _ZN4vllm25paged_attention_v2_kernelI14__hip_bfloat16S1_Li192ELi32ELi128ELNS_18Fp8KVCacheDataTypeE0ELb1ELi512EEEvPfS3_PT_PKS4_PKT0_SA_ifPKiSC_iPKfiiiSE_SE_iiiii
    .private_segment_fixed_size: 76
    .sgpr_count:     60
    .sgpr_spill_count: 0
    .symbol:         _ZN4vllm25paged_attention_v2_kernelI14__hip_bfloat16S1_Li192ELi32ELi128ELNS_18Fp8KVCacheDataTypeE0ELb1ELi512EEEvPfS3_PT_PKS4_PKT0_SA_ifPKiSC_iPKfiiiSE_SE_iiiii.kd
    .uniform_work_group_size: 1
    .uses_dynamic_stack: false
    .vgpr_count:     128
    .vgpr_spill_count: 29
    .wavefront_size: 64
  - .agpr_count:     64
    .args:
      - .actual_access:  write_only
        .address_space:  global
        .offset:         0
        .size:           8
        .value_kind:     global_buffer
      - .actual_access:  write_only
        .address_space:  global
        .offset:         8
        .size:           8
        .value_kind:     global_buffer
      - .actual_access:  write_only
        .address_space:  global
        .offset:         16
        .size:           8
        .value_kind:     global_buffer
      - .actual_access:  read_only
        .address_space:  global
        .offset:         24
        .size:           8
        .value_kind:     global_buffer
      - .actual_access:  read_only
        .address_space:  global
        .offset:         32
        .size:           8
        .value_kind:     global_buffer
      - .actual_access:  read_only
        .address_space:  global
        .offset:         40
        .size:           8
        .value_kind:     global_buffer
      - .offset:         48
        .size:           4
        .value_kind:     by_value
      - .offset:         52
        .size:           4
        .value_kind:     by_value
      - .actual_access:  read_only
        .address_space:  global
        .offset:         56
        .size:           8
        .value_kind:     global_buffer
      - .actual_access:  read_only
        .address_space:  global
        .offset:         64
        .size:           8
        .value_kind:     global_buffer
      - .offset:         72
        .size:           4
        .value_kind:     by_value
      - .address_space:  global
        .offset:         80
        .size:           8
        .value_kind:     global_buffer
      - .offset:         88
        .size:           4
        .value_kind:     by_value
      - .offset:         92
        .size:           4
        .value_kind:     by_value
      - .offset:         96
        .size:           4
        .value_kind:     by_value
      - .address_space:  global
        .offset:         104
        .size:           8
        .value_kind:     global_buffer
      - .address_space:  global
        .offset:         112
        .size:           8
        .value_kind:     global_buffer
      - .offset:         120
        .size:           4
        .value_kind:     by_value
      - .offset:         124
        .size:           4
        .value_kind:     by_value
      - .offset:         128
        .size:           4
        .value_kind:     by_value
      - .offset:         132
        .size:           4
        .value_kind:     by_value
      - .offset:         136
        .size:           4
        .value_kind:     by_value
      - .offset:         144
        .size:           4
        .value_kind:     hidden_block_count_x
      - .offset:         148
        .size:           4
        .value_kind:     hidden_block_count_y
      - .offset:         152
        .size:           4
        .value_kind:     hidden_block_count_z
      - .offset:         156
        .size:           2
        .value_kind:     hidden_group_size_x
      - .offset:         158
        .size:           2
        .value_kind:     hidden_group_size_y
      - .offset:         160
        .size:           2
        .value_kind:     hidden_group_size_z
      - .offset:         162
        .size:           2
        .value_kind:     hidden_remainder_x
      - .offset:         164
        .size:           2
        .value_kind:     hidden_remainder_y
      - .offset:         166
        .size:           2
        .value_kind:     hidden_remainder_z
      - .offset:         184
        .size:           8
        .value_kind:     hidden_global_offset_x
      - .offset:         192
        .size:           8
        .value_kind:     hidden_global_offset_y
      - .offset:         200
        .size:           8
        .value_kind:     hidden_global_offset_z
      - .offset:         208
        .size:           2
        .value_kind:     hidden_grid_dims
      - .offset:         264
        .size:           4
        .value_kind:     hidden_dynamic_lds_size
    .group_segment_fixed_size: 528
    .kernarg_segment_align: 8
    .kernarg_segment_size: 400
    .language:       OpenCL C
    .language_version:
      - 2
      - 0
    .max_flat_workgroup_size: 1024
    .name:           _ZN4vllm25paged_attention_v2_kernelI14__hip_bfloat16S1_Li256ELi32ELi128ELNS_18Fp8KVCacheDataTypeE0ELb1ELi512EEEvPfS3_PT_PKS4_PKT0_SA_ifPKiSC_iPKfiiiSE_SE_iiiii
    .private_segment_fixed_size: 544
    .sgpr_count:     50
    .sgpr_spill_count: 0
    .symbol:         _ZN4vllm25paged_attention_v2_kernelI14__hip_bfloat16S1_Li256ELi32ELi128ELNS_18Fp8KVCacheDataTypeE0ELb1ELi512EEEvPfS3_PT_PKS4_PKT0_SA_ifPKiSC_iPKfiiiSE_SE_iiiii.kd
    .uniform_work_group_size: 1
    .uses_dynamic_stack: false
    .vgpr_count:     128
    .vgpr_spill_count: 0
    .wavefront_size: 64
  - .agpr_count:     0
    .args:
      - .actual_access:  write_only
        .address_space:  global
        .offset:         0
        .size:           8
        .value_kind:     global_buffer
      - .actual_access:  write_only
        .address_space:  global
        .offset:         8
        .size:           8
        .value_kind:     global_buffer
      - .actual_access:  write_only
        .address_space:  global
        .offset:         16
        .size:           8
        .value_kind:     global_buffer
      - .actual_access:  read_only
        .address_space:  global
        .offset:         24
        .size:           8
        .value_kind:     global_buffer
      - .actual_access:  read_only
        .address_space:  global
        .offset:         32
        .size:           8
        .value_kind:     global_buffer
      - .actual_access:  read_only
        .address_space:  global
        .offset:         40
        .size:           8
        .value_kind:     global_buffer
      - .offset:         48
        .size:           4
        .value_kind:     by_value
      - .offset:         52
        .size:           4
        .value_kind:     by_value
      - .actual_access:  read_only
        .address_space:  global
        .offset:         56
        .size:           8
        .value_kind:     global_buffer
      - .actual_access:  read_only
        .address_space:  global
        .offset:         64
        .size:           8
        .value_kind:     global_buffer
      - .offset:         72
        .size:           4
        .value_kind:     by_value
      - .actual_access:  read_only
        .address_space:  global
        .offset:         80
        .size:           8
        .value_kind:     global_buffer
      - .offset:         88
        .size:           4
        .value_kind:     by_value
      - .offset:         92
        .size:           4
        .value_kind:     by_value
      - .offset:         96
        .size:           4
        .value_kind:     by_value
      - .address_space:  global
        .offset:         104
        .size:           8
        .value_kind:     global_buffer
      - .address_space:  global
        .offset:         112
        .size:           8
        .value_kind:     global_buffer
      - .offset:         120
        .size:           4
        .value_kind:     by_value
      - .offset:         124
        .size:           4
        .value_kind:     by_value
      - .offset:         128
        .size:           4
        .value_kind:     by_value
      - .offset:         132
        .size:           4
        .value_kind:     by_value
      - .offset:         136
        .size:           4
        .value_kind:     by_value
      - .offset:         144
        .size:           4
        .value_kind:     hidden_block_count_x
      - .offset:         148
        .size:           4
        .value_kind:     hidden_block_count_y
      - .offset:         152
        .size:           4
        .value_kind:     hidden_block_count_z
      - .offset:         156
        .size:           2
        .value_kind:     hidden_group_size_x
      - .offset:         158
        .size:           2
        .value_kind:     hidden_group_size_y
      - .offset:         160
        .size:           2
        .value_kind:     hidden_group_size_z
      - .offset:         162
        .size:           2
        .value_kind:     hidden_remainder_x
      - .offset:         164
        .size:           2
        .value_kind:     hidden_remainder_y
      - .offset:         166
        .size:           2
        .value_kind:     hidden_remainder_z
      - .offset:         184
        .size:           8
        .value_kind:     hidden_global_offset_x
      - .offset:         192
        .size:           8
        .value_kind:     hidden_global_offset_y
      - .offset:         200
        .size:           8
        .value_kind:     hidden_global_offset_z
      - .offset:         208
        .size:           2
        .value_kind:     hidden_grid_dims
      - .offset:         264
        .size:           4
        .value_kind:     hidden_dynamic_lds_size
    .group_segment_fixed_size: 80
    .kernarg_segment_align: 8
    .kernarg_segment_size: 400
    .language:       OpenCL C
    .language_version:
      - 2
      - 0
    .max_flat_workgroup_size: 1024
    .name:           _ZN4vllm25paged_attention_v2_kernelI14__hip_bfloat16S1_Li32ELi32ELi128ELNS_18Fp8KVCacheDataTypeE0ELb0ELi512EEEvPfS3_PT_PKS4_PKT0_SA_ifPKiSC_iPKfiiiSE_SE_iiiii
    .private_segment_fixed_size: 0
    .sgpr_count:     48
    .sgpr_spill_count: 0
    .symbol:         _ZN4vllm25paged_attention_v2_kernelI14__hip_bfloat16S1_Li32ELi32ELi128ELNS_18Fp8KVCacheDataTypeE0ELb0ELi512EEEvPfS3_PT_PKS4_PKT0_SA_ifPKiSC_iPKfiiiSE_SE_iiiii.kd
    .uniform_work_group_size: 1
    .uses_dynamic_stack: false
    .vgpr_count:     48
    .vgpr_spill_count: 0
    .wavefront_size: 64
  - .agpr_count:     0
    .args:
      - .actual_access:  write_only
        .address_space:  global
        .offset:         0
        .size:           8
        .value_kind:     global_buffer
      - .actual_access:  write_only
        .address_space:  global
        .offset:         8
        .size:           8
        .value_kind:     global_buffer
      - .actual_access:  write_only
        .address_space:  global
        .offset:         16
        .size:           8
        .value_kind:     global_buffer
      - .actual_access:  read_only
        .address_space:  global
        .offset:         24
        .size:           8
        .value_kind:     global_buffer
      - .actual_access:  read_only
        .address_space:  global
        .offset:         32
        .size:           8
        .value_kind:     global_buffer
      - .actual_access:  read_only
        .address_space:  global
        .offset:         40
        .size:           8
        .value_kind:     global_buffer
      - .offset:         48
        .size:           4
        .value_kind:     by_value
      - .offset:         52
        .size:           4
        .value_kind:     by_value
      - .actual_access:  read_only
        .address_space:  global
        .offset:         56
        .size:           8
        .value_kind:     global_buffer
      - .actual_access:  read_only
        .address_space:  global
        .offset:         64
        .size:           8
        .value_kind:     global_buffer
      - .offset:         72
        .size:           4
        .value_kind:     by_value
      - .actual_access:  read_only
        .address_space:  global
        .offset:         80
        .size:           8
        .value_kind:     global_buffer
      - .offset:         88
        .size:           4
        .value_kind:     by_value
      - .offset:         92
        .size:           4
        .value_kind:     by_value
      - .offset:         96
        .size:           4
        .value_kind:     by_value
      - .address_space:  global
        .offset:         104
        .size:           8
        .value_kind:     global_buffer
      - .address_space:  global
        .offset:         112
        .size:           8
        .value_kind:     global_buffer
      - .offset:         120
        .size:           4
        .value_kind:     by_value
      - .offset:         124
        .size:           4
        .value_kind:     by_value
      - .offset:         128
        .size:           4
        .value_kind:     by_value
      - .offset:         132
        .size:           4
        .value_kind:     by_value
      - .offset:         136
        .size:           4
        .value_kind:     by_value
      - .offset:         144
        .size:           4
        .value_kind:     hidden_block_count_x
      - .offset:         148
        .size:           4
        .value_kind:     hidden_block_count_y
      - .offset:         152
        .size:           4
        .value_kind:     hidden_block_count_z
      - .offset:         156
        .size:           2
        .value_kind:     hidden_group_size_x
      - .offset:         158
        .size:           2
        .value_kind:     hidden_group_size_y
      - .offset:         160
        .size:           2
        .value_kind:     hidden_group_size_z
      - .offset:         162
        .size:           2
        .value_kind:     hidden_remainder_x
      - .offset:         164
        .size:           2
        .value_kind:     hidden_remainder_y
      - .offset:         166
        .size:           2
        .value_kind:     hidden_remainder_z
      - .offset:         184
        .size:           8
        .value_kind:     hidden_global_offset_x
      - .offset:         192
        .size:           8
        .value_kind:     hidden_global_offset_y
      - .offset:         200
        .size:           8
        .value_kind:     hidden_global_offset_z
      - .offset:         208
        .size:           2
        .value_kind:     hidden_grid_dims
      - .offset:         264
        .size:           4
        .value_kind:     hidden_dynamic_lds_size
    .group_segment_fixed_size: 144
    .kernarg_segment_align: 8
    .kernarg_segment_size: 400
    .language:       OpenCL C
    .language_version:
      - 2
      - 0
    .max_flat_workgroup_size: 1024
    .name:           _ZN4vllm25paged_attention_v2_kernelI14__hip_bfloat16S1_Li64ELi32ELi128ELNS_18Fp8KVCacheDataTypeE0ELb0ELi512EEEvPfS3_PT_PKS4_PKT0_SA_ifPKiSC_iPKfiiiSE_SE_iiiii
    .private_segment_fixed_size: 0
    .sgpr_count:     48
    .sgpr_spill_count: 0
    .symbol:         _ZN4vllm25paged_attention_v2_kernelI14__hip_bfloat16S1_Li64ELi32ELi128ELNS_18Fp8KVCacheDataTypeE0ELb0ELi512EEEvPfS3_PT_PKS4_PKT0_SA_ifPKiSC_iPKfiiiSE_SE_iiiii.kd
    .uniform_work_group_size: 1
    .uses_dynamic_stack: false
    .vgpr_count:     80
    .vgpr_spill_count: 0
    .wavefront_size: 64
  - .agpr_count:     0
    .args:
      - .actual_access:  write_only
        .address_space:  global
        .offset:         0
        .size:           8
        .value_kind:     global_buffer
      - .actual_access:  write_only
        .address_space:  global
        .offset:         8
        .size:           8
        .value_kind:     global_buffer
      - .actual_access:  write_only
        .address_space:  global
        .offset:         16
        .size:           8
        .value_kind:     global_buffer
      - .actual_access:  read_only
        .address_space:  global
        .offset:         24
        .size:           8
        .value_kind:     global_buffer
      - .actual_access:  read_only
        .address_space:  global
        .offset:         32
        .size:           8
        .value_kind:     global_buffer
      - .actual_access:  read_only
        .address_space:  global
        .offset:         40
        .size:           8
        .value_kind:     global_buffer
      - .offset:         48
        .size:           4
        .value_kind:     by_value
      - .offset:         52
        .size:           4
        .value_kind:     by_value
      - .actual_access:  read_only
        .address_space:  global
        .offset:         56
        .size:           8
        .value_kind:     global_buffer
      - .actual_access:  read_only
        .address_space:  global
        .offset:         64
        .size:           8
        .value_kind:     global_buffer
      - .offset:         72
        .size:           4
        .value_kind:     by_value
      - .actual_access:  read_only
        .address_space:  global
        .offset:         80
        .size:           8
        .value_kind:     global_buffer
      - .offset:         88
        .size:           4
        .value_kind:     by_value
      - .offset:         92
        .size:           4
        .value_kind:     by_value
      - .offset:         96
        .size:           4
        .value_kind:     by_value
      - .address_space:  global
        .offset:         104
        .size:           8
        .value_kind:     global_buffer
      - .address_space:  global
        .offset:         112
        .size:           8
        .value_kind:     global_buffer
      - .offset:         120
        .size:           4
        .value_kind:     by_value
      - .offset:         124
        .size:           4
        .value_kind:     by_value
      - .offset:         128
        .size:           4
        .value_kind:     by_value
      - .offset:         132
        .size:           4
        .value_kind:     by_value
      - .offset:         136
        .size:           4
        .value_kind:     by_value
      - .offset:         144
        .size:           4
        .value_kind:     hidden_block_count_x
      - .offset:         148
        .size:           4
        .value_kind:     hidden_block_count_y
      - .offset:         152
        .size:           4
        .value_kind:     hidden_block_count_z
      - .offset:         156
        .size:           2
        .value_kind:     hidden_group_size_x
      - .offset:         158
        .size:           2
        .value_kind:     hidden_group_size_y
      - .offset:         160
        .size:           2
        .value_kind:     hidden_group_size_z
      - .offset:         162
        .size:           2
        .value_kind:     hidden_remainder_x
      - .offset:         164
        .size:           2
        .value_kind:     hidden_remainder_y
      - .offset:         166
        .size:           2
        .value_kind:     hidden_remainder_z
      - .offset:         184
        .size:           8
        .value_kind:     hidden_global_offset_x
      - .offset:         192
        .size:           8
        .value_kind:     hidden_global_offset_y
      - .offset:         200
        .size:           8
        .value_kind:     hidden_global_offset_z
      - .offset:         208
        .size:           2
        .value_kind:     hidden_grid_dims
      - .offset:         264
        .size:           4
        .value_kind:     hidden_dynamic_lds_size
    .group_segment_fixed_size: 176
    .kernarg_segment_align: 8
    .kernarg_segment_size: 400
    .language:       OpenCL C
    .language_version:
      - 2
      - 0
    .max_flat_workgroup_size: 1024
    .name:           _ZN4vllm25paged_attention_v2_kernelI14__hip_bfloat16S1_Li80ELi32ELi128ELNS_18Fp8KVCacheDataTypeE0ELb0ELi512EEEvPfS3_PT_PKS4_PKT0_SA_ifPKiSC_iPKfiiiSE_SE_iiiii
    .private_segment_fixed_size: 0
    .sgpr_count:     49
    .sgpr_spill_count: 0
    .symbol:         _ZN4vllm25paged_attention_v2_kernelI14__hip_bfloat16S1_Li80ELi32ELi128ELNS_18Fp8KVCacheDataTypeE0ELb0ELi512EEEvPfS3_PT_PKS4_PKT0_SA_ifPKiSC_iPKfiiiSE_SE_iiiii.kd
    .uniform_work_group_size: 1
    .uses_dynamic_stack: false
    .vgpr_count:     96
    .vgpr_spill_count: 0
    .wavefront_size: 64
  - .agpr_count:     0
    .args:
      - .actual_access:  write_only
        .address_space:  global
        .offset:         0
        .size:           8
        .value_kind:     global_buffer
      - .actual_access:  write_only
        .address_space:  global
        .offset:         8
        .size:           8
        .value_kind:     global_buffer
      - .actual_access:  write_only
        .address_space:  global
        .offset:         16
        .size:           8
        .value_kind:     global_buffer
      - .actual_access:  read_only
        .address_space:  global
        .offset:         24
        .size:           8
        .value_kind:     global_buffer
      - .actual_access:  read_only
        .address_space:  global
        .offset:         32
        .size:           8
        .value_kind:     global_buffer
      - .actual_access:  read_only
        .address_space:  global
        .offset:         40
        .size:           8
        .value_kind:     global_buffer
      - .offset:         48
        .size:           4
        .value_kind:     by_value
      - .offset:         52
        .size:           4
        .value_kind:     by_value
      - .actual_access:  read_only
        .address_space:  global
        .offset:         56
        .size:           8
        .value_kind:     global_buffer
      - .actual_access:  read_only
        .address_space:  global
        .offset:         64
        .size:           8
        .value_kind:     global_buffer
      - .offset:         72
        .size:           4
        .value_kind:     by_value
      - .actual_access:  read_only
        .address_space:  global
        .offset:         80
        .size:           8
        .value_kind:     global_buffer
      - .offset:         88
        .size:           4
        .value_kind:     by_value
      - .offset:         92
        .size:           4
        .value_kind:     by_value
      - .offset:         96
        .size:           4
        .value_kind:     by_value
      - .address_space:  global
        .offset:         104
        .size:           8
        .value_kind:     global_buffer
      - .address_space:  global
        .offset:         112
        .size:           8
        .value_kind:     global_buffer
      - .offset:         120
        .size:           4
        .value_kind:     by_value
      - .offset:         124
        .size:           4
        .value_kind:     by_value
      - .offset:         128
        .size:           4
        .value_kind:     by_value
      - .offset:         132
        .size:           4
        .value_kind:     by_value
      - .offset:         136
        .size:           4
        .value_kind:     by_value
      - .offset:         144
        .size:           4
        .value_kind:     hidden_block_count_x
      - .offset:         148
        .size:           4
        .value_kind:     hidden_block_count_y
      - .offset:         152
        .size:           4
        .value_kind:     hidden_block_count_z
      - .offset:         156
        .size:           2
        .value_kind:     hidden_group_size_x
      - .offset:         158
        .size:           2
        .value_kind:     hidden_group_size_y
      - .offset:         160
        .size:           2
        .value_kind:     hidden_group_size_z
      - .offset:         162
        .size:           2
        .value_kind:     hidden_remainder_x
      - .offset:         164
        .size:           2
        .value_kind:     hidden_remainder_y
      - .offset:         166
        .size:           2
        .value_kind:     hidden_remainder_z
      - .offset:         184
        .size:           8
        .value_kind:     hidden_global_offset_x
      - .offset:         192
        .size:           8
        .value_kind:     hidden_global_offset_y
      - .offset:         200
        .size:           8
        .value_kind:     hidden_global_offset_z
      - .offset:         208
        .size:           2
        .value_kind:     hidden_grid_dims
      - .offset:         264
        .size:           4
        .value_kind:     hidden_dynamic_lds_size
    .group_segment_fixed_size: 208
    .kernarg_segment_align: 8
    .kernarg_segment_size: 400
    .language:       OpenCL C
    .language_version:
      - 2
      - 0
    .max_flat_workgroup_size: 1024
    .name:           _ZN4vllm25paged_attention_v2_kernelI14__hip_bfloat16S1_Li96ELi32ELi128ELNS_18Fp8KVCacheDataTypeE0ELb0ELi512EEEvPfS3_PT_PKS4_PKT0_SA_ifPKiSC_iPKfiiiSE_SE_iiiii
    .private_segment_fixed_size: 0
    .sgpr_count:     49
    .sgpr_spill_count: 0
    .symbol:         _ZN4vllm25paged_attention_v2_kernelI14__hip_bfloat16S1_Li96ELi32ELi128ELNS_18Fp8KVCacheDataTypeE0ELb0ELi512EEEvPfS3_PT_PKS4_PKT0_SA_ifPKiSC_iPKfiiiSE_SE_iiiii.kd
    .uniform_work_group_size: 1
    .uses_dynamic_stack: false
    .vgpr_count:     112
    .vgpr_spill_count: 0
    .wavefront_size: 64
  - .agpr_count:     0
    .args:
      - .actual_access:  write_only
        .address_space:  global
        .offset:         0
        .size:           8
        .value_kind:     global_buffer
      - .actual_access:  write_only
        .address_space:  global
        .offset:         8
        .size:           8
        .value_kind:     global_buffer
      - .actual_access:  write_only
        .address_space:  global
        .offset:         16
        .size:           8
        .value_kind:     global_buffer
      - .actual_access:  read_only
        .address_space:  global
        .offset:         24
        .size:           8
        .value_kind:     global_buffer
      - .actual_access:  read_only
        .address_space:  global
        .offset:         32
        .size:           8
        .value_kind:     global_buffer
      - .actual_access:  read_only
        .address_space:  global
        .offset:         40
        .size:           8
        .value_kind:     global_buffer
      - .offset:         48
        .size:           4
        .value_kind:     by_value
      - .offset:         52
        .size:           4
        .value_kind:     by_value
      - .actual_access:  read_only
        .address_space:  global
        .offset:         56
        .size:           8
        .value_kind:     global_buffer
      - .actual_access:  read_only
        .address_space:  global
        .offset:         64
        .size:           8
        .value_kind:     global_buffer
      - .offset:         72
        .size:           4
        .value_kind:     by_value
      - .actual_access:  read_only
        .address_space:  global
        .offset:         80
        .size:           8
        .value_kind:     global_buffer
      - .offset:         88
        .size:           4
        .value_kind:     by_value
      - .offset:         92
        .size:           4
        .value_kind:     by_value
      - .offset:         96
        .size:           4
        .value_kind:     by_value
      - .address_space:  global
        .offset:         104
        .size:           8
        .value_kind:     global_buffer
      - .address_space:  global
        .offset:         112
        .size:           8
        .value_kind:     global_buffer
      - .offset:         120
        .size:           4
        .value_kind:     by_value
      - .offset:         124
        .size:           4
        .value_kind:     by_value
      - .offset:         128
        .size:           4
        .value_kind:     by_value
      - .offset:         132
        .size:           4
        .value_kind:     by_value
      - .offset:         136
        .size:           4
        .value_kind:     by_value
      - .offset:         144
        .size:           4
        .value_kind:     hidden_block_count_x
      - .offset:         148
        .size:           4
        .value_kind:     hidden_block_count_y
      - .offset:         152
        .size:           4
        .value_kind:     hidden_block_count_z
      - .offset:         156
        .size:           2
        .value_kind:     hidden_group_size_x
      - .offset:         158
        .size:           2
        .value_kind:     hidden_group_size_y
      - .offset:         160
        .size:           2
        .value_kind:     hidden_group_size_z
      - .offset:         162
        .size:           2
        .value_kind:     hidden_remainder_x
      - .offset:         164
        .size:           2
        .value_kind:     hidden_remainder_y
      - .offset:         166
        .size:           2
        .value_kind:     hidden_remainder_z
      - .offset:         184
        .size:           8
        .value_kind:     hidden_global_offset_x
      - .offset:         192
        .size:           8
        .value_kind:     hidden_global_offset_y
      - .offset:         200
        .size:           8
        .value_kind:     hidden_global_offset_z
      - .offset:         208
        .size:           2
        .value_kind:     hidden_grid_dims
      - .offset:         264
        .size:           4
        .value_kind:     hidden_dynamic_lds_size
    .group_segment_fixed_size: 240
    .kernarg_segment_align: 8
    .kernarg_segment_size: 400
    .language:       OpenCL C
    .language_version:
      - 2
      - 0
    .max_flat_workgroup_size: 1024
    .name:           _ZN4vllm25paged_attention_v2_kernelI14__hip_bfloat16S1_Li112ELi32ELi128ELNS_18Fp8KVCacheDataTypeE0ELb0ELi512EEEvPfS3_PT_PKS4_PKT0_SA_ifPKiSC_iPKfiiiSE_SE_iiiii
    .private_segment_fixed_size: 0
    .sgpr_count:     49
    .sgpr_spill_count: 0
    .symbol:         _ZN4vllm25paged_attention_v2_kernelI14__hip_bfloat16S1_Li112ELi32ELi128ELNS_18Fp8KVCacheDataTypeE0ELb0ELi512EEEvPfS3_PT_PKS4_PKT0_SA_ifPKiSC_iPKfiiiSE_SE_iiiii.kd
    .uniform_work_group_size: 1
    .uses_dynamic_stack: false
    .vgpr_count:     124
    .vgpr_spill_count: 0
    .wavefront_size: 64
  - .agpr_count:     0
    .args:
      - .actual_access:  write_only
        .address_space:  global
        .offset:         0
        .size:           8
        .value_kind:     global_buffer
      - .actual_access:  write_only
        .address_space:  global
        .offset:         8
        .size:           8
        .value_kind:     global_buffer
      - .actual_access:  write_only
        .address_space:  global
        .offset:         16
        .size:           8
        .value_kind:     global_buffer
      - .actual_access:  read_only
        .address_space:  global
        .offset:         24
        .size:           8
        .value_kind:     global_buffer
      - .actual_access:  read_only
        .address_space:  global
        .offset:         32
        .size:           8
        .value_kind:     global_buffer
      - .actual_access:  read_only
        .address_space:  global
        .offset:         40
        .size:           8
        .value_kind:     global_buffer
      - .offset:         48
        .size:           4
        .value_kind:     by_value
      - .offset:         52
        .size:           4
        .value_kind:     by_value
      - .actual_access:  read_only
        .address_space:  global
        .offset:         56
        .size:           8
        .value_kind:     global_buffer
      - .actual_access:  read_only
        .address_space:  global
        .offset:         64
        .size:           8
        .value_kind:     global_buffer
      - .offset:         72
        .size:           4
        .value_kind:     by_value
      - .actual_access:  read_only
        .address_space:  global
        .offset:         80
        .size:           8
        .value_kind:     global_buffer
      - .offset:         88
        .size:           4
        .value_kind:     by_value
      - .offset:         92
        .size:           4
        .value_kind:     by_value
      - .offset:         96
        .size:           4
        .value_kind:     by_value
      - .address_space:  global
        .offset:         104
        .size:           8
        .value_kind:     global_buffer
      - .address_space:  global
        .offset:         112
        .size:           8
        .value_kind:     global_buffer
      - .offset:         120
        .size:           4
        .value_kind:     by_value
      - .offset:         124
        .size:           4
        .value_kind:     by_value
      - .offset:         128
        .size:           4
        .value_kind:     by_value
      - .offset:         132
        .size:           4
        .value_kind:     by_value
      - .offset:         136
        .size:           4
        .value_kind:     by_value
      - .offset:         144
        .size:           4
        .value_kind:     hidden_block_count_x
      - .offset:         148
        .size:           4
        .value_kind:     hidden_block_count_y
      - .offset:         152
        .size:           4
        .value_kind:     hidden_block_count_z
      - .offset:         156
        .size:           2
        .value_kind:     hidden_group_size_x
      - .offset:         158
        .size:           2
        .value_kind:     hidden_group_size_y
      - .offset:         160
        .size:           2
        .value_kind:     hidden_group_size_z
      - .offset:         162
        .size:           2
        .value_kind:     hidden_remainder_x
      - .offset:         164
        .size:           2
        .value_kind:     hidden_remainder_y
      - .offset:         166
        .size:           2
        .value_kind:     hidden_remainder_z
      - .offset:         184
        .size:           8
        .value_kind:     hidden_global_offset_x
      - .offset:         192
        .size:           8
        .value_kind:     hidden_global_offset_y
      - .offset:         200
        .size:           8
        .value_kind:     hidden_global_offset_z
      - .offset:         208
        .size:           2
        .value_kind:     hidden_grid_dims
      - .offset:         264
        .size:           4
        .value_kind:     hidden_dynamic_lds_size
    .group_segment_fixed_size: 256
    .kernarg_segment_align: 8
    .kernarg_segment_size: 400
    .language:       OpenCL C
    .language_version:
      - 2
      - 0
    .max_flat_workgroup_size: 1024
    .name:           _ZN4vllm25paged_attention_v2_kernelI14__hip_bfloat16S1_Li120ELi32ELi128ELNS_18Fp8KVCacheDataTypeE0ELb0ELi512EEEvPfS3_PT_PKS4_PKT0_SA_ifPKiSC_iPKfiiiSE_SE_iiiii
    .private_segment_fixed_size: 0
    .sgpr_count:     49
    .sgpr_spill_count: 0
    .symbol:         _ZN4vllm25paged_attention_v2_kernelI14__hip_bfloat16S1_Li120ELi32ELi128ELNS_18Fp8KVCacheDataTypeE0ELb0ELi512EEEvPfS3_PT_PKS4_PKT0_SA_ifPKiSC_iPKfiiiSE_SE_iiiii.kd
    .uniform_work_group_size: 1
    .uses_dynamic_stack: false
    .vgpr_count:     110
    .vgpr_spill_count: 0
    .wavefront_size: 64
  - .agpr_count:     0
    .args:
      - .actual_access:  write_only
        .address_space:  global
        .offset:         0
        .size:           8
        .value_kind:     global_buffer
      - .actual_access:  write_only
        .address_space:  global
        .offset:         8
        .size:           8
        .value_kind:     global_buffer
      - .actual_access:  write_only
        .address_space:  global
        .offset:         16
        .size:           8
        .value_kind:     global_buffer
      - .actual_access:  read_only
        .address_space:  global
        .offset:         24
        .size:           8
        .value_kind:     global_buffer
      - .actual_access:  read_only
        .address_space:  global
        .offset:         32
        .size:           8
        .value_kind:     global_buffer
      - .actual_access:  read_only
        .address_space:  global
        .offset:         40
        .size:           8
        .value_kind:     global_buffer
      - .offset:         48
        .size:           4
        .value_kind:     by_value
      - .offset:         52
        .size:           4
        .value_kind:     by_value
      - .actual_access:  read_only
        .address_space:  global
        .offset:         56
        .size:           8
        .value_kind:     global_buffer
      - .actual_access:  read_only
        .address_space:  global
        .offset:         64
        .size:           8
        .value_kind:     global_buffer
      - .offset:         72
        .size:           4
        .value_kind:     by_value
      - .actual_access:  read_only
        .address_space:  global
        .offset:         80
        .size:           8
        .value_kind:     global_buffer
      - .offset:         88
        .size:           4
        .value_kind:     by_value
      - .offset:         92
        .size:           4
        .value_kind:     by_value
      - .offset:         96
        .size:           4
        .value_kind:     by_value
      - .address_space:  global
        .offset:         104
        .size:           8
        .value_kind:     global_buffer
      - .address_space:  global
        .offset:         112
        .size:           8
        .value_kind:     global_buffer
      - .offset:         120
        .size:           4
        .value_kind:     by_value
      - .offset:         124
        .size:           4
        .value_kind:     by_value
      - .offset:         128
        .size:           4
        .value_kind:     by_value
      - .offset:         132
        .size:           4
        .value_kind:     by_value
      - .offset:         136
        .size:           4
        .value_kind:     by_value
      - .offset:         144
        .size:           4
        .value_kind:     hidden_block_count_x
      - .offset:         148
        .size:           4
        .value_kind:     hidden_block_count_y
      - .offset:         152
        .size:           4
        .value_kind:     hidden_block_count_z
      - .offset:         156
        .size:           2
        .value_kind:     hidden_group_size_x
      - .offset:         158
        .size:           2
        .value_kind:     hidden_group_size_y
      - .offset:         160
        .size:           2
        .value_kind:     hidden_group_size_z
      - .offset:         162
        .size:           2
        .value_kind:     hidden_remainder_x
      - .offset:         164
        .size:           2
        .value_kind:     hidden_remainder_y
      - .offset:         166
        .size:           2
        .value_kind:     hidden_remainder_z
      - .offset:         184
        .size:           8
        .value_kind:     hidden_global_offset_x
      - .offset:         192
        .size:           8
        .value_kind:     hidden_global_offset_y
      - .offset:         200
        .size:           8
        .value_kind:     hidden_global_offset_z
      - .offset:         208
        .size:           2
        .value_kind:     hidden_grid_dims
      - .offset:         264
        .size:           4
        .value_kind:     hidden_dynamic_lds_size
    .group_segment_fixed_size: 272
    .kernarg_segment_align: 8
    .kernarg_segment_size: 400
    .language:       OpenCL C
    .language_version:
      - 2
      - 0
    .max_flat_workgroup_size: 1024
    .name:           _ZN4vllm25paged_attention_v2_kernelI14__hip_bfloat16S1_Li128ELi32ELi128ELNS_18Fp8KVCacheDataTypeE0ELb0ELi512EEEvPfS3_PT_PKS4_PKT0_SA_ifPKiSC_iPKfiiiSE_SE_iiiii
    .private_segment_fixed_size: 0
    .sgpr_count:     49
    .sgpr_spill_count: 0
    .symbol:         _ZN4vllm25paged_attention_v2_kernelI14__hip_bfloat16S1_Li128ELi32ELi128ELNS_18Fp8KVCacheDataTypeE0ELb0ELi512EEEvPfS3_PT_PKS4_PKT0_SA_ifPKiSC_iPKfiiiSE_SE_iiiii.kd
    .uniform_work_group_size: 1
    .uses_dynamic_stack: false
    .vgpr_count:     116
    .vgpr_spill_count: 0
    .wavefront_size: 64
  - .agpr_count:     0
    .args:
      - .actual_access:  write_only
        .address_space:  global
        .offset:         0
        .size:           8
        .value_kind:     global_buffer
      - .actual_access:  write_only
        .address_space:  global
        .offset:         8
        .size:           8
        .value_kind:     global_buffer
      - .actual_access:  write_only
        .address_space:  global
        .offset:         16
        .size:           8
        .value_kind:     global_buffer
      - .actual_access:  read_only
        .address_space:  global
        .offset:         24
        .size:           8
        .value_kind:     global_buffer
      - .actual_access:  read_only
        .address_space:  global
        .offset:         32
        .size:           8
        .value_kind:     global_buffer
      - .actual_access:  read_only
        .address_space:  global
        .offset:         40
        .size:           8
        .value_kind:     global_buffer
      - .offset:         48
        .size:           4
        .value_kind:     by_value
      - .offset:         52
        .size:           4
        .value_kind:     by_value
      - .actual_access:  read_only
        .address_space:  global
        .offset:         56
        .size:           8
        .value_kind:     global_buffer
      - .actual_access:  read_only
        .address_space:  global
        .offset:         64
        .size:           8
        .value_kind:     global_buffer
      - .offset:         72
        .size:           4
        .value_kind:     by_value
      - .actual_access:  read_only
        .address_space:  global
        .offset:         80
        .size:           8
        .value_kind:     global_buffer
      - .offset:         88
        .size:           4
        .value_kind:     by_value
      - .offset:         92
        .size:           4
        .value_kind:     by_value
      - .offset:         96
        .size:           4
        .value_kind:     by_value
      - .address_space:  global
        .offset:         104
        .size:           8
        .value_kind:     global_buffer
      - .address_space:  global
        .offset:         112
        .size:           8
        .value_kind:     global_buffer
      - .offset:         120
        .size:           4
        .value_kind:     by_value
      - .offset:         124
        .size:           4
        .value_kind:     by_value
      - .offset:         128
        .size:           4
        .value_kind:     by_value
      - .offset:         132
        .size:           4
        .value_kind:     by_value
      - .offset:         136
        .size:           4
        .value_kind:     by_value
      - .offset:         144
        .size:           4
        .value_kind:     hidden_block_count_x
      - .offset:         148
        .size:           4
        .value_kind:     hidden_block_count_y
      - .offset:         152
        .size:           4
        .value_kind:     hidden_block_count_z
      - .offset:         156
        .size:           2
        .value_kind:     hidden_group_size_x
      - .offset:         158
        .size:           2
        .value_kind:     hidden_group_size_y
      - .offset:         160
        .size:           2
        .value_kind:     hidden_group_size_z
      - .offset:         162
        .size:           2
        .value_kind:     hidden_remainder_x
      - .offset:         164
        .size:           2
        .value_kind:     hidden_remainder_y
      - .offset:         166
        .size:           2
        .value_kind:     hidden_remainder_z
      - .offset:         184
        .size:           8
        .value_kind:     hidden_global_offset_x
      - .offset:         192
        .size:           8
        .value_kind:     hidden_global_offset_y
      - .offset:         200
        .size:           8
        .value_kind:     hidden_global_offset_z
      - .offset:         208
        .size:           2
        .value_kind:     hidden_grid_dims
      - .offset:         264
        .size:           4
        .value_kind:     hidden_dynamic_lds_size
    .group_segment_fixed_size: 400
    .kernarg_segment_align: 8
    .kernarg_segment_size: 400
    .language:       OpenCL C
    .language_version:
      - 2
      - 0
    .max_flat_workgroup_size: 1024
    .name:           _ZN4vllm25paged_attention_v2_kernelI14__hip_bfloat16S1_Li192ELi32ELi128ELNS_18Fp8KVCacheDataTypeE0ELb0ELi512EEEvPfS3_PT_PKS4_PKT0_SA_ifPKiSC_iPKfiiiSE_SE_iiiii
    .private_segment_fixed_size: 148
    .sgpr_count:     50
    .sgpr_spill_count: 0
    .symbol:         _ZN4vllm25paged_attention_v2_kernelI14__hip_bfloat16S1_Li192ELi32ELi128ELNS_18Fp8KVCacheDataTypeE0ELb0ELi512EEEvPfS3_PT_PKS4_PKT0_SA_ifPKiSC_iPKfiiiSE_SE_iiiii.kd
    .uniform_work_group_size: 1
    .uses_dynamic_stack: false
    .vgpr_count:     128
    .vgpr_spill_count: 60
    .wavefront_size: 64
  - .agpr_count:     64
    .args:
      - .actual_access:  write_only
        .address_space:  global
        .offset:         0
        .size:           8
        .value_kind:     global_buffer
      - .actual_access:  write_only
        .address_space:  global
        .offset:         8
        .size:           8
        .value_kind:     global_buffer
      - .actual_access:  write_only
        .address_space:  global
        .offset:         16
        .size:           8
        .value_kind:     global_buffer
      - .actual_access:  read_only
        .address_space:  global
        .offset:         24
        .size:           8
        .value_kind:     global_buffer
      - .actual_access:  read_only
        .address_space:  global
        .offset:         32
        .size:           8
        .value_kind:     global_buffer
      - .actual_access:  read_only
        .address_space:  global
        .offset:         40
        .size:           8
        .value_kind:     global_buffer
      - .offset:         48
        .size:           4
        .value_kind:     by_value
      - .offset:         52
        .size:           4
        .value_kind:     by_value
      - .actual_access:  read_only
        .address_space:  global
        .offset:         56
        .size:           8
        .value_kind:     global_buffer
      - .actual_access:  read_only
        .address_space:  global
        .offset:         64
        .size:           8
        .value_kind:     global_buffer
      - .offset:         72
        .size:           4
        .value_kind:     by_value
      - .address_space:  global
        .offset:         80
        .size:           8
        .value_kind:     global_buffer
      - .offset:         88
        .size:           4
        .value_kind:     by_value
      - .offset:         92
        .size:           4
        .value_kind:     by_value
      - .offset:         96
        .size:           4
        .value_kind:     by_value
      - .address_space:  global
        .offset:         104
        .size:           8
        .value_kind:     global_buffer
      - .address_space:  global
        .offset:         112
        .size:           8
        .value_kind:     global_buffer
      - .offset:         120
        .size:           4
        .value_kind:     by_value
      - .offset:         124
        .size:           4
        .value_kind:     by_value
      - .offset:         128
        .size:           4
        .value_kind:     by_value
      - .offset:         132
        .size:           4
        .value_kind:     by_value
      - .offset:         136
        .size:           4
        .value_kind:     by_value
      - .offset:         144
        .size:           4
        .value_kind:     hidden_block_count_x
      - .offset:         148
        .size:           4
        .value_kind:     hidden_block_count_y
      - .offset:         152
        .size:           4
        .value_kind:     hidden_block_count_z
      - .offset:         156
        .size:           2
        .value_kind:     hidden_group_size_x
      - .offset:         158
        .size:           2
        .value_kind:     hidden_group_size_y
      - .offset:         160
        .size:           2
        .value_kind:     hidden_group_size_z
      - .offset:         162
        .size:           2
        .value_kind:     hidden_remainder_x
      - .offset:         164
        .size:           2
        .value_kind:     hidden_remainder_y
      - .offset:         166
        .size:           2
        .value_kind:     hidden_remainder_z
      - .offset:         184
        .size:           8
        .value_kind:     hidden_global_offset_x
      - .offset:         192
        .size:           8
        .value_kind:     hidden_global_offset_y
      - .offset:         200
        .size:           8
        .value_kind:     hidden_global_offset_z
      - .offset:         208
        .size:           2
        .value_kind:     hidden_grid_dims
      - .offset:         264
        .size:           4
        .value_kind:     hidden_dynamic_lds_size
    .group_segment_fixed_size: 528
    .kernarg_segment_align: 8
    .kernarg_segment_size: 400
    .language:       OpenCL C
    .language_version:
      - 2
      - 0
    .max_flat_workgroup_size: 1024
    .name:           _ZN4vllm25paged_attention_v2_kernelI14__hip_bfloat16S1_Li256ELi32ELi128ELNS_18Fp8KVCacheDataTypeE0ELb0ELi512EEEvPfS3_PT_PKS4_PKT0_SA_ifPKiSC_iPKfiiiSE_SE_iiiii
    .private_segment_fixed_size: 680
    .sgpr_count:     46
    .sgpr_spill_count: 0
    .symbol:         _ZN4vllm25paged_attention_v2_kernelI14__hip_bfloat16S1_Li256ELi32ELi128ELNS_18Fp8KVCacheDataTypeE0ELb0ELi512EEEvPfS3_PT_PKS4_PKT0_SA_ifPKiSC_iPKfiiiSE_SE_iiiii.kd
    .uniform_work_group_size: 1
    .uses_dynamic_stack: false
    .vgpr_count:     128
    .vgpr_spill_count: 0
    .wavefront_size: 64
  - .agpr_count:     0
    .args:
      - .actual_access:  write_only
        .address_space:  global
        .offset:         0
        .size:           8
        .value_kind:     global_buffer
      - .actual_access:  write_only
        .address_space:  global
        .offset:         8
        .size:           8
        .value_kind:     global_buffer
      - .actual_access:  write_only
        .address_space:  global
        .offset:         16
        .size:           8
        .value_kind:     global_buffer
      - .actual_access:  read_only
        .address_space:  global
        .offset:         24
        .size:           8
        .value_kind:     global_buffer
      - .actual_access:  read_only
        .address_space:  global
        .offset:         32
        .size:           8
        .value_kind:     global_buffer
      - .actual_access:  read_only
        .address_space:  global
        .offset:         40
        .size:           8
        .value_kind:     global_buffer
      - .offset:         48
        .size:           4
        .value_kind:     by_value
      - .offset:         52
        .size:           4
        .value_kind:     by_value
      - .actual_access:  read_only
        .address_space:  global
        .offset:         56
        .size:           8
        .value_kind:     global_buffer
      - .actual_access:  read_only
        .address_space:  global
        .offset:         64
        .size:           8
        .value_kind:     global_buffer
      - .offset:         72
        .size:           4
        .value_kind:     by_value
      - .actual_access:  read_only
        .address_space:  global
        .offset:         80
        .size:           8
        .value_kind:     global_buffer
      - .offset:         88
        .size:           4
        .value_kind:     by_value
      - .offset:         92
        .size:           4
        .value_kind:     by_value
      - .offset:         96
        .size:           4
        .value_kind:     by_value
      - .address_space:  global
        .offset:         104
        .size:           8
        .value_kind:     global_buffer
      - .address_space:  global
        .offset:         112
        .size:           8
        .value_kind:     global_buffer
      - .offset:         120
        .size:           4
        .value_kind:     by_value
      - .offset:         124
        .size:           4
        .value_kind:     by_value
      - .offset:         128
        .size:           4
        .value_kind:     by_value
      - .offset:         132
        .size:           4
        .value_kind:     by_value
      - .offset:         136
        .size:           4
        .value_kind:     by_value
      - .offset:         144
        .size:           4
        .value_kind:     hidden_block_count_x
      - .offset:         148
        .size:           4
        .value_kind:     hidden_block_count_y
      - .offset:         152
        .size:           4
        .value_kind:     hidden_block_count_z
      - .offset:         156
        .size:           2
        .value_kind:     hidden_group_size_x
      - .offset:         158
        .size:           2
        .value_kind:     hidden_group_size_y
      - .offset:         160
        .size:           2
        .value_kind:     hidden_group_size_z
      - .offset:         162
        .size:           2
        .value_kind:     hidden_remainder_x
      - .offset:         164
        .size:           2
        .value_kind:     hidden_remainder_y
      - .offset:         166
        .size:           2
        .value_kind:     hidden_remainder_z
      - .offset:         184
        .size:           8
        .value_kind:     hidden_global_offset_x
      - .offset:         192
        .size:           8
        .value_kind:     hidden_global_offset_y
      - .offset:         200
        .size:           8
        .value_kind:     hidden_global_offset_z
      - .offset:         208
        .size:           2
        .value_kind:     hidden_grid_dims
      - .offset:         264
        .size:           4
        .value_kind:     hidden_dynamic_lds_size
    .group_segment_fixed_size: 144
    .kernarg_segment_align: 8
    .kernarg_segment_size: 400
    .language:       OpenCL C
    .language_version:
      - 2
      - 0
    .max_flat_workgroup_size: 1024
    .name:           _ZN4vllm25paged_attention_v2_kernelIfhLi32ELi8ELi128ELNS_18Fp8KVCacheDataTypeE1ELb1ELi512EEEvPfS2_PT_PKS3_PKT0_S9_ifPKiSB_iPKfiiiSD_SD_iiiii
    .private_segment_fixed_size: 0
    .sgpr_count:     62
    .sgpr_spill_count: 0
    .symbol:         _ZN4vllm25paged_attention_v2_kernelIfhLi32ELi8ELi128ELNS_18Fp8KVCacheDataTypeE1ELb1ELi512EEEvPfS2_PT_PKS3_PKT0_S9_ifPKiSB_iPKfiiiSD_SD_iiiii.kd
    .uniform_work_group_size: 1
    .uses_dynamic_stack: false
    .vgpr_count:     36
    .vgpr_spill_count: 0
    .wavefront_size: 64
  - .agpr_count:     0
    .args:
      - .actual_access:  write_only
        .address_space:  global
        .offset:         0
        .size:           8
        .value_kind:     global_buffer
      - .actual_access:  write_only
        .address_space:  global
        .offset:         8
        .size:           8
        .value_kind:     global_buffer
      - .actual_access:  write_only
        .address_space:  global
        .offset:         16
        .size:           8
        .value_kind:     global_buffer
      - .actual_access:  read_only
        .address_space:  global
        .offset:         24
        .size:           8
        .value_kind:     global_buffer
      - .actual_access:  read_only
        .address_space:  global
        .offset:         32
        .size:           8
        .value_kind:     global_buffer
      - .actual_access:  read_only
        .address_space:  global
        .offset:         40
        .size:           8
        .value_kind:     global_buffer
      - .offset:         48
        .size:           4
        .value_kind:     by_value
      - .offset:         52
        .size:           4
        .value_kind:     by_value
      - .actual_access:  read_only
        .address_space:  global
        .offset:         56
        .size:           8
        .value_kind:     global_buffer
      - .actual_access:  read_only
        .address_space:  global
        .offset:         64
        .size:           8
        .value_kind:     global_buffer
      - .offset:         72
        .size:           4
        .value_kind:     by_value
      - .actual_access:  read_only
        .address_space:  global
        .offset:         80
        .size:           8
        .value_kind:     global_buffer
      - .offset:         88
        .size:           4
        .value_kind:     by_value
      - .offset:         92
        .size:           4
        .value_kind:     by_value
      - .offset:         96
        .size:           4
        .value_kind:     by_value
      - .address_space:  global
        .offset:         104
        .size:           8
        .value_kind:     global_buffer
      - .address_space:  global
        .offset:         112
        .size:           8
        .value_kind:     global_buffer
      - .offset:         120
        .size:           4
        .value_kind:     by_value
      - .offset:         124
        .size:           4
        .value_kind:     by_value
      - .offset:         128
        .size:           4
        .value_kind:     by_value
      - .offset:         132
        .size:           4
        .value_kind:     by_value
      - .offset:         136
        .size:           4
        .value_kind:     by_value
      - .offset:         144
        .size:           4
        .value_kind:     hidden_block_count_x
      - .offset:         148
        .size:           4
        .value_kind:     hidden_block_count_y
      - .offset:         152
        .size:           4
        .value_kind:     hidden_block_count_z
      - .offset:         156
        .size:           2
        .value_kind:     hidden_group_size_x
      - .offset:         158
        .size:           2
        .value_kind:     hidden_group_size_y
      - .offset:         160
        .size:           2
        .value_kind:     hidden_group_size_z
      - .offset:         162
        .size:           2
        .value_kind:     hidden_remainder_x
      - .offset:         164
        .size:           2
        .value_kind:     hidden_remainder_y
      - .offset:         166
        .size:           2
        .value_kind:     hidden_remainder_z
      - .offset:         184
        .size:           8
        .value_kind:     hidden_global_offset_x
      - .offset:         192
        .size:           8
        .value_kind:     hidden_global_offset_y
      - .offset:         200
        .size:           8
        .value_kind:     hidden_global_offset_z
      - .offset:         208
        .size:           2
        .value_kind:     hidden_grid_dims
      - .offset:         264
        .size:           4
        .value_kind:     hidden_dynamic_lds_size
    .group_segment_fixed_size: 272
    .kernarg_segment_align: 8
    .kernarg_segment_size: 400
    .language:       OpenCL C
    .language_version:
      - 2
      - 0
    .max_flat_workgroup_size: 1024
    .name:           _ZN4vllm25paged_attention_v2_kernelIfhLi64ELi8ELi128ELNS_18Fp8KVCacheDataTypeE1ELb1ELi512EEEvPfS2_PT_PKS3_PKT0_S9_ifPKiSB_iPKfiiiSD_SD_iiiii
    .private_segment_fixed_size: 0
    .sgpr_count:     64
    .sgpr_spill_count: 0
    .symbol:         _ZN4vllm25paged_attention_v2_kernelIfhLi64ELi8ELi128ELNS_18Fp8KVCacheDataTypeE1ELb1ELi512EEEvPfS2_PT_PKS3_PKT0_S9_ifPKiSB_iPKfiiiSD_SD_iiiii.kd
    .uniform_work_group_size: 1
    .uses_dynamic_stack: false
    .vgpr_count:     45
    .vgpr_spill_count: 0
    .wavefront_size: 64
  - .agpr_count:     0
    .args:
      - .actual_access:  write_only
        .address_space:  global
        .offset:         0
        .size:           8
        .value_kind:     global_buffer
      - .actual_access:  write_only
        .address_space:  global
        .offset:         8
        .size:           8
        .value_kind:     global_buffer
      - .actual_access:  write_only
        .address_space:  global
        .offset:         16
        .size:           8
        .value_kind:     global_buffer
      - .actual_access:  read_only
        .address_space:  global
        .offset:         24
        .size:           8
        .value_kind:     global_buffer
      - .actual_access:  read_only
        .address_space:  global
        .offset:         32
        .size:           8
        .value_kind:     global_buffer
      - .actual_access:  read_only
        .address_space:  global
        .offset:         40
        .size:           8
        .value_kind:     global_buffer
      - .offset:         48
        .size:           4
        .value_kind:     by_value
      - .offset:         52
        .size:           4
        .value_kind:     by_value
      - .actual_access:  read_only
        .address_space:  global
        .offset:         56
        .size:           8
        .value_kind:     global_buffer
      - .actual_access:  read_only
        .address_space:  global
        .offset:         64
        .size:           8
        .value_kind:     global_buffer
      - .offset:         72
        .size:           4
        .value_kind:     by_value
      - .actual_access:  read_only
        .address_space:  global
        .offset:         80
        .size:           8
        .value_kind:     global_buffer
      - .offset:         88
        .size:           4
        .value_kind:     by_value
      - .offset:         92
        .size:           4
        .value_kind:     by_value
      - .offset:         96
        .size:           4
        .value_kind:     by_value
      - .address_space:  global
        .offset:         104
        .size:           8
        .value_kind:     global_buffer
      - .address_space:  global
        .offset:         112
        .size:           8
        .value_kind:     global_buffer
      - .offset:         120
        .size:           4
        .value_kind:     by_value
      - .offset:         124
        .size:           4
        .value_kind:     by_value
      - .offset:         128
        .size:           4
        .value_kind:     by_value
      - .offset:         132
        .size:           4
        .value_kind:     by_value
      - .offset:         136
        .size:           4
        .value_kind:     by_value
      - .offset:         144
        .size:           4
        .value_kind:     hidden_block_count_x
      - .offset:         148
        .size:           4
        .value_kind:     hidden_block_count_y
      - .offset:         152
        .size:           4
        .value_kind:     hidden_block_count_z
      - .offset:         156
        .size:           2
        .value_kind:     hidden_group_size_x
      - .offset:         158
        .size:           2
        .value_kind:     hidden_group_size_y
      - .offset:         160
        .size:           2
        .value_kind:     hidden_group_size_z
      - .offset:         162
        .size:           2
        .value_kind:     hidden_remainder_x
      - .offset:         164
        .size:           2
        .value_kind:     hidden_remainder_y
      - .offset:         166
        .size:           2
        .value_kind:     hidden_remainder_z
      - .offset:         184
        .size:           8
        .value_kind:     hidden_global_offset_x
      - .offset:         192
        .size:           8
        .value_kind:     hidden_global_offset_y
      - .offset:         200
        .size:           8
        .value_kind:     hidden_global_offset_z
      - .offset:         208
        .size:           2
        .value_kind:     hidden_grid_dims
      - .offset:         264
        .size:           4
        .value_kind:     hidden_dynamic_lds_size
    .group_segment_fixed_size: 336
    .kernarg_segment_align: 8
    .kernarg_segment_size: 400
    .language:       OpenCL C
    .language_version:
      - 2
      - 0
    .max_flat_workgroup_size: 1024
    .name:           _ZN4vllm25paged_attention_v2_kernelIfhLi80ELi8ELi128ELNS_18Fp8KVCacheDataTypeE1ELb1ELi512EEEvPfS2_PT_PKS3_PKT0_S9_ifPKiSB_iPKfiiiSD_SD_iiiii
    .private_segment_fixed_size: 0
    .sgpr_count:     62
    .sgpr_spill_count: 0
    .symbol:         _ZN4vllm25paged_attention_v2_kernelIfhLi80ELi8ELi128ELNS_18Fp8KVCacheDataTypeE1ELb1ELi512EEEvPfS2_PT_PKS3_PKT0_S9_ifPKiSB_iPKfiiiSD_SD_iiiii.kd
    .uniform_work_group_size: 1
    .uses_dynamic_stack: false
    .vgpr_count:     49
    .vgpr_spill_count: 0
    .wavefront_size: 64
  - .agpr_count:     0
    .args:
      - .actual_access:  write_only
        .address_space:  global
        .offset:         0
        .size:           8
        .value_kind:     global_buffer
      - .actual_access:  write_only
        .address_space:  global
        .offset:         8
        .size:           8
        .value_kind:     global_buffer
      - .actual_access:  write_only
        .address_space:  global
        .offset:         16
        .size:           8
        .value_kind:     global_buffer
      - .actual_access:  read_only
        .address_space:  global
        .offset:         24
        .size:           8
        .value_kind:     global_buffer
      - .actual_access:  read_only
        .address_space:  global
        .offset:         32
        .size:           8
        .value_kind:     global_buffer
      - .actual_access:  read_only
        .address_space:  global
        .offset:         40
        .size:           8
        .value_kind:     global_buffer
      - .offset:         48
        .size:           4
        .value_kind:     by_value
      - .offset:         52
        .size:           4
        .value_kind:     by_value
      - .actual_access:  read_only
        .address_space:  global
        .offset:         56
        .size:           8
        .value_kind:     global_buffer
      - .actual_access:  read_only
        .address_space:  global
        .offset:         64
        .size:           8
        .value_kind:     global_buffer
      - .offset:         72
        .size:           4
        .value_kind:     by_value
      - .actual_access:  read_only
        .address_space:  global
        .offset:         80
        .size:           8
        .value_kind:     global_buffer
      - .offset:         88
        .size:           4
        .value_kind:     by_value
      - .offset:         92
        .size:           4
        .value_kind:     by_value
      - .offset:         96
        .size:           4
        .value_kind:     by_value
      - .address_space:  global
        .offset:         104
        .size:           8
        .value_kind:     global_buffer
      - .address_space:  global
        .offset:         112
        .size:           8
        .value_kind:     global_buffer
      - .offset:         120
        .size:           4
        .value_kind:     by_value
      - .offset:         124
        .size:           4
        .value_kind:     by_value
      - .offset:         128
        .size:           4
        .value_kind:     by_value
      - .offset:         132
        .size:           4
        .value_kind:     by_value
      - .offset:         136
        .size:           4
        .value_kind:     by_value
      - .offset:         144
        .size:           4
        .value_kind:     hidden_block_count_x
      - .offset:         148
        .size:           4
        .value_kind:     hidden_block_count_y
      - .offset:         152
        .size:           4
        .value_kind:     hidden_block_count_z
      - .offset:         156
        .size:           2
        .value_kind:     hidden_group_size_x
      - .offset:         158
        .size:           2
        .value_kind:     hidden_group_size_y
      - .offset:         160
        .size:           2
        .value_kind:     hidden_group_size_z
      - .offset:         162
        .size:           2
        .value_kind:     hidden_remainder_x
      - .offset:         164
        .size:           2
        .value_kind:     hidden_remainder_y
      - .offset:         166
        .size:           2
        .value_kind:     hidden_remainder_z
      - .offset:         184
        .size:           8
        .value_kind:     hidden_global_offset_x
      - .offset:         192
        .size:           8
        .value_kind:     hidden_global_offset_y
      - .offset:         200
        .size:           8
        .value_kind:     hidden_global_offset_z
      - .offset:         208
        .size:           2
        .value_kind:     hidden_grid_dims
      - .offset:         264
        .size:           4
        .value_kind:     hidden_dynamic_lds_size
    .group_segment_fixed_size: 400
    .kernarg_segment_align: 8
    .kernarg_segment_size: 400
    .language:       OpenCL C
    .language_version:
      - 2
      - 0
    .max_flat_workgroup_size: 1024
    .name:           _ZN4vllm25paged_attention_v2_kernelIfhLi96ELi8ELi128ELNS_18Fp8KVCacheDataTypeE1ELb1ELi512EEEvPfS2_PT_PKS3_PKT0_S9_ifPKiSB_iPKfiiiSD_SD_iiiii
    .private_segment_fixed_size: 0
    .sgpr_count:     62
    .sgpr_spill_count: 0
    .symbol:         _ZN4vllm25paged_attention_v2_kernelIfhLi96ELi8ELi128ELNS_18Fp8KVCacheDataTypeE1ELb1ELi512EEEvPfS2_PT_PKS3_PKT0_S9_ifPKiSB_iPKfiiiSD_SD_iiiii.kd
    .uniform_work_group_size: 1
    .uses_dynamic_stack: false
    .vgpr_count:     53
    .vgpr_spill_count: 0
    .wavefront_size: 64
  - .agpr_count:     0
    .args:
      - .actual_access:  write_only
        .address_space:  global
        .offset:         0
        .size:           8
        .value_kind:     global_buffer
      - .actual_access:  write_only
        .address_space:  global
        .offset:         8
        .size:           8
        .value_kind:     global_buffer
      - .actual_access:  write_only
        .address_space:  global
        .offset:         16
        .size:           8
        .value_kind:     global_buffer
      - .actual_access:  read_only
        .address_space:  global
        .offset:         24
        .size:           8
        .value_kind:     global_buffer
      - .actual_access:  read_only
        .address_space:  global
        .offset:         32
        .size:           8
        .value_kind:     global_buffer
      - .actual_access:  read_only
        .address_space:  global
        .offset:         40
        .size:           8
        .value_kind:     global_buffer
      - .offset:         48
        .size:           4
        .value_kind:     by_value
      - .offset:         52
        .size:           4
        .value_kind:     by_value
      - .actual_access:  read_only
        .address_space:  global
        .offset:         56
        .size:           8
        .value_kind:     global_buffer
      - .actual_access:  read_only
        .address_space:  global
        .offset:         64
        .size:           8
        .value_kind:     global_buffer
      - .offset:         72
        .size:           4
        .value_kind:     by_value
      - .actual_access:  read_only
        .address_space:  global
        .offset:         80
        .size:           8
        .value_kind:     global_buffer
      - .offset:         88
        .size:           4
        .value_kind:     by_value
      - .offset:         92
        .size:           4
        .value_kind:     by_value
      - .offset:         96
        .size:           4
        .value_kind:     by_value
      - .address_space:  global
        .offset:         104
        .size:           8
        .value_kind:     global_buffer
      - .address_space:  global
        .offset:         112
        .size:           8
        .value_kind:     global_buffer
      - .offset:         120
        .size:           4
        .value_kind:     by_value
      - .offset:         124
        .size:           4
        .value_kind:     by_value
      - .offset:         128
        .size:           4
        .value_kind:     by_value
      - .offset:         132
        .size:           4
        .value_kind:     by_value
      - .offset:         136
        .size:           4
        .value_kind:     by_value
      - .offset:         144
        .size:           4
        .value_kind:     hidden_block_count_x
      - .offset:         148
        .size:           4
        .value_kind:     hidden_block_count_y
      - .offset:         152
        .size:           4
        .value_kind:     hidden_block_count_z
      - .offset:         156
        .size:           2
        .value_kind:     hidden_group_size_x
      - .offset:         158
        .size:           2
        .value_kind:     hidden_group_size_y
      - .offset:         160
        .size:           2
        .value_kind:     hidden_group_size_z
      - .offset:         162
        .size:           2
        .value_kind:     hidden_remainder_x
      - .offset:         164
        .size:           2
        .value_kind:     hidden_remainder_y
      - .offset:         166
        .size:           2
        .value_kind:     hidden_remainder_z
      - .offset:         184
        .size:           8
        .value_kind:     hidden_global_offset_x
      - .offset:         192
        .size:           8
        .value_kind:     hidden_global_offset_y
      - .offset:         200
        .size:           8
        .value_kind:     hidden_global_offset_z
      - .offset:         208
        .size:           2
        .value_kind:     hidden_grid_dims
      - .offset:         264
        .size:           4
        .value_kind:     hidden_dynamic_lds_size
    .group_segment_fixed_size: 464
    .kernarg_segment_align: 8
    .kernarg_segment_size: 400
    .language:       OpenCL C
    .language_version:
      - 2
      - 0
    .max_flat_workgroup_size: 1024
    .name:           _ZN4vllm25paged_attention_v2_kernelIfhLi112ELi8ELi128ELNS_18Fp8KVCacheDataTypeE1ELb1ELi512EEEvPfS2_PT_PKS3_PKT0_S9_ifPKiSB_iPKfiiiSD_SD_iiiii
    .private_segment_fixed_size: 0
    .sgpr_count:     62
    .sgpr_spill_count: 0
    .symbol:         _ZN4vllm25paged_attention_v2_kernelIfhLi112ELi8ELi128ELNS_18Fp8KVCacheDataTypeE1ELb1ELi512EEEvPfS2_PT_PKS3_PKT0_S9_ifPKiSB_iPKfiiiSD_SD_iiiii.kd
    .uniform_work_group_size: 1
    .uses_dynamic_stack: false
    .vgpr_count:     57
    .vgpr_spill_count: 0
    .wavefront_size: 64
  - .agpr_count:     0
    .args:
      - .actual_access:  write_only
        .address_space:  global
        .offset:         0
        .size:           8
        .value_kind:     global_buffer
      - .actual_access:  write_only
        .address_space:  global
        .offset:         8
        .size:           8
        .value_kind:     global_buffer
      - .actual_access:  write_only
        .address_space:  global
        .offset:         16
        .size:           8
        .value_kind:     global_buffer
      - .actual_access:  read_only
        .address_space:  global
        .offset:         24
        .size:           8
        .value_kind:     global_buffer
      - .actual_access:  read_only
        .address_space:  global
        .offset:         32
        .size:           8
        .value_kind:     global_buffer
      - .actual_access:  read_only
        .address_space:  global
        .offset:         40
        .size:           8
        .value_kind:     global_buffer
      - .offset:         48
        .size:           4
        .value_kind:     by_value
      - .offset:         52
        .size:           4
        .value_kind:     by_value
      - .actual_access:  read_only
        .address_space:  global
        .offset:         56
        .size:           8
        .value_kind:     global_buffer
      - .actual_access:  read_only
        .address_space:  global
        .offset:         64
        .size:           8
        .value_kind:     global_buffer
      - .offset:         72
        .size:           4
        .value_kind:     by_value
      - .actual_access:  read_only
        .address_space:  global
        .offset:         80
        .size:           8
        .value_kind:     global_buffer
      - .offset:         88
        .size:           4
        .value_kind:     by_value
      - .offset:         92
        .size:           4
        .value_kind:     by_value
      - .offset:         96
        .size:           4
        .value_kind:     by_value
      - .address_space:  global
        .offset:         104
        .size:           8
        .value_kind:     global_buffer
      - .address_space:  global
        .offset:         112
        .size:           8
        .value_kind:     global_buffer
      - .offset:         120
        .size:           4
        .value_kind:     by_value
      - .offset:         124
        .size:           4
        .value_kind:     by_value
      - .offset:         128
        .size:           4
        .value_kind:     by_value
      - .offset:         132
        .size:           4
        .value_kind:     by_value
      - .offset:         136
        .size:           4
        .value_kind:     by_value
      - .offset:         144
        .size:           4
        .value_kind:     hidden_block_count_x
      - .offset:         148
        .size:           4
        .value_kind:     hidden_block_count_y
      - .offset:         152
        .size:           4
        .value_kind:     hidden_block_count_z
      - .offset:         156
        .size:           2
        .value_kind:     hidden_group_size_x
      - .offset:         158
        .size:           2
        .value_kind:     hidden_group_size_y
      - .offset:         160
        .size:           2
        .value_kind:     hidden_group_size_z
      - .offset:         162
        .size:           2
        .value_kind:     hidden_remainder_x
      - .offset:         164
        .size:           2
        .value_kind:     hidden_remainder_y
      - .offset:         166
        .size:           2
        .value_kind:     hidden_remainder_z
      - .offset:         184
        .size:           8
        .value_kind:     hidden_global_offset_x
      - .offset:         192
        .size:           8
        .value_kind:     hidden_global_offset_y
      - .offset:         200
        .size:           8
        .value_kind:     hidden_global_offset_z
      - .offset:         208
        .size:           2
        .value_kind:     hidden_grid_dims
      - .offset:         264
        .size:           4
        .value_kind:     hidden_dynamic_lds_size
    .group_segment_fixed_size: 496
    .kernarg_segment_align: 8
    .kernarg_segment_size: 400
    .language:       OpenCL C
    .language_version:
      - 2
      - 0
    .max_flat_workgroup_size: 1024
    .name:           _ZN4vllm25paged_attention_v2_kernelIfhLi120ELi8ELi128ELNS_18Fp8KVCacheDataTypeE1ELb1ELi512EEEvPfS2_PT_PKS3_PKT0_S9_ifPKiSB_iPKfiiiSD_SD_iiiii
    .private_segment_fixed_size: 0
    .sgpr_count:     62
    .sgpr_spill_count: 0
    .symbol:         _ZN4vllm25paged_attention_v2_kernelIfhLi120ELi8ELi128ELNS_18Fp8KVCacheDataTypeE1ELb1ELi512EEEvPfS2_PT_PKS3_PKT0_S9_ifPKiSB_iPKfiiiSD_SD_iiiii.kd
    .uniform_work_group_size: 1
    .uses_dynamic_stack: false
    .vgpr_count:     59
    .vgpr_spill_count: 0
    .wavefront_size: 64
  - .agpr_count:     0
    .args:
      - .actual_access:  write_only
        .address_space:  global
        .offset:         0
        .size:           8
        .value_kind:     global_buffer
      - .actual_access:  write_only
        .address_space:  global
        .offset:         8
        .size:           8
        .value_kind:     global_buffer
      - .actual_access:  write_only
        .address_space:  global
        .offset:         16
        .size:           8
        .value_kind:     global_buffer
      - .actual_access:  read_only
        .address_space:  global
        .offset:         24
        .size:           8
        .value_kind:     global_buffer
      - .actual_access:  read_only
        .address_space:  global
        .offset:         32
        .size:           8
        .value_kind:     global_buffer
      - .actual_access:  read_only
        .address_space:  global
        .offset:         40
        .size:           8
        .value_kind:     global_buffer
      - .offset:         48
        .size:           4
        .value_kind:     by_value
      - .offset:         52
        .size:           4
        .value_kind:     by_value
      - .actual_access:  read_only
        .address_space:  global
        .offset:         56
        .size:           8
        .value_kind:     global_buffer
      - .actual_access:  read_only
        .address_space:  global
        .offset:         64
        .size:           8
        .value_kind:     global_buffer
      - .offset:         72
        .size:           4
        .value_kind:     by_value
      - .actual_access:  read_only
        .address_space:  global
        .offset:         80
        .size:           8
        .value_kind:     global_buffer
      - .offset:         88
        .size:           4
        .value_kind:     by_value
      - .offset:         92
        .size:           4
        .value_kind:     by_value
      - .offset:         96
        .size:           4
        .value_kind:     by_value
      - .address_space:  global
        .offset:         104
        .size:           8
        .value_kind:     global_buffer
      - .address_space:  global
        .offset:         112
        .size:           8
        .value_kind:     global_buffer
      - .offset:         120
        .size:           4
        .value_kind:     by_value
      - .offset:         124
        .size:           4
        .value_kind:     by_value
      - .offset:         128
        .size:           4
        .value_kind:     by_value
      - .offset:         132
        .size:           4
        .value_kind:     by_value
      - .offset:         136
        .size:           4
        .value_kind:     by_value
      - .offset:         144
        .size:           4
        .value_kind:     hidden_block_count_x
      - .offset:         148
        .size:           4
        .value_kind:     hidden_block_count_y
      - .offset:         152
        .size:           4
        .value_kind:     hidden_block_count_z
      - .offset:         156
        .size:           2
        .value_kind:     hidden_group_size_x
      - .offset:         158
        .size:           2
        .value_kind:     hidden_group_size_y
      - .offset:         160
        .size:           2
        .value_kind:     hidden_group_size_z
      - .offset:         162
        .size:           2
        .value_kind:     hidden_remainder_x
      - .offset:         164
        .size:           2
        .value_kind:     hidden_remainder_y
      - .offset:         166
        .size:           2
        .value_kind:     hidden_remainder_z
      - .offset:         184
        .size:           8
        .value_kind:     hidden_global_offset_x
      - .offset:         192
        .size:           8
        .value_kind:     hidden_global_offset_y
      - .offset:         200
        .size:           8
        .value_kind:     hidden_global_offset_z
      - .offset:         208
        .size:           2
        .value_kind:     hidden_grid_dims
      - .offset:         264
        .size:           4
        .value_kind:     hidden_dynamic_lds_size
    .group_segment_fixed_size: 528
    .kernarg_segment_align: 8
    .kernarg_segment_size: 400
    .language:       OpenCL C
    .language_version:
      - 2
      - 0
    .max_flat_workgroup_size: 1024
    .name:           _ZN4vllm25paged_attention_v2_kernelIfhLi128ELi8ELi128ELNS_18Fp8KVCacheDataTypeE1ELb1ELi512EEEvPfS2_PT_PKS3_PKT0_S9_ifPKiSB_iPKfiiiSD_SD_iiiii
    .private_segment_fixed_size: 0
    .sgpr_count:     62
    .sgpr_spill_count: 0
    .symbol:         _ZN4vllm25paged_attention_v2_kernelIfhLi128ELi8ELi128ELNS_18Fp8KVCacheDataTypeE1ELb1ELi512EEEvPfS2_PT_PKS3_PKT0_S9_ifPKiSB_iPKfiiiSD_SD_iiiii.kd
    .uniform_work_group_size: 1
    .uses_dynamic_stack: false
    .vgpr_count:     61
    .vgpr_spill_count: 0
    .wavefront_size: 64
  - .agpr_count:     0
    .args:
      - .actual_access:  write_only
        .address_space:  global
        .offset:         0
        .size:           8
        .value_kind:     global_buffer
      - .actual_access:  write_only
        .address_space:  global
        .offset:         8
        .size:           8
        .value_kind:     global_buffer
      - .actual_access:  write_only
        .address_space:  global
        .offset:         16
        .size:           8
        .value_kind:     global_buffer
      - .actual_access:  read_only
        .address_space:  global
        .offset:         24
        .size:           8
        .value_kind:     global_buffer
      - .actual_access:  read_only
        .address_space:  global
        .offset:         32
        .size:           8
        .value_kind:     global_buffer
      - .actual_access:  read_only
        .address_space:  global
        .offset:         40
        .size:           8
        .value_kind:     global_buffer
      - .offset:         48
        .size:           4
        .value_kind:     by_value
      - .offset:         52
        .size:           4
        .value_kind:     by_value
      - .actual_access:  read_only
        .address_space:  global
        .offset:         56
        .size:           8
        .value_kind:     global_buffer
      - .actual_access:  read_only
        .address_space:  global
        .offset:         64
        .size:           8
        .value_kind:     global_buffer
      - .offset:         72
        .size:           4
        .value_kind:     by_value
      - .actual_access:  read_only
        .address_space:  global
        .offset:         80
        .size:           8
        .value_kind:     global_buffer
      - .offset:         88
        .size:           4
        .value_kind:     by_value
      - .offset:         92
        .size:           4
        .value_kind:     by_value
      - .offset:         96
        .size:           4
        .value_kind:     by_value
      - .address_space:  global
        .offset:         104
        .size:           8
        .value_kind:     global_buffer
      - .address_space:  global
        .offset:         112
        .size:           8
        .value_kind:     global_buffer
      - .offset:         120
        .size:           4
        .value_kind:     by_value
      - .offset:         124
        .size:           4
        .value_kind:     by_value
      - .offset:         128
        .size:           4
        .value_kind:     by_value
      - .offset:         132
        .size:           4
        .value_kind:     by_value
      - .offset:         136
        .size:           4
        .value_kind:     by_value
      - .offset:         144
        .size:           4
        .value_kind:     hidden_block_count_x
      - .offset:         148
        .size:           4
        .value_kind:     hidden_block_count_y
      - .offset:         152
        .size:           4
        .value_kind:     hidden_block_count_z
      - .offset:         156
        .size:           2
        .value_kind:     hidden_group_size_x
      - .offset:         158
        .size:           2
        .value_kind:     hidden_group_size_y
      - .offset:         160
        .size:           2
        .value_kind:     hidden_group_size_z
      - .offset:         162
        .size:           2
        .value_kind:     hidden_remainder_x
      - .offset:         164
        .size:           2
        .value_kind:     hidden_remainder_y
      - .offset:         166
        .size:           2
        .value_kind:     hidden_remainder_z
      - .offset:         184
        .size:           8
        .value_kind:     hidden_global_offset_x
      - .offset:         192
        .size:           8
        .value_kind:     hidden_global_offset_y
      - .offset:         200
        .size:           8
        .value_kind:     hidden_global_offset_z
      - .offset:         208
        .size:           2
        .value_kind:     hidden_grid_dims
      - .offset:         264
        .size:           4
        .value_kind:     hidden_dynamic_lds_size
    .group_segment_fixed_size: 784
    .kernarg_segment_align: 8
    .kernarg_segment_size: 400
    .language:       OpenCL C
    .language_version:
      - 2
      - 0
    .max_flat_workgroup_size: 1024
    .name:           _ZN4vllm25paged_attention_v2_kernelIfhLi192ELi8ELi128ELNS_18Fp8KVCacheDataTypeE1ELb1ELi512EEEvPfS2_PT_PKS3_PKT0_S9_ifPKiSB_iPKfiiiSD_SD_iiiii
    .private_segment_fixed_size: 0
    .sgpr_count:     62
    .sgpr_spill_count: 0
    .symbol:         _ZN4vllm25paged_attention_v2_kernelIfhLi192ELi8ELi128ELNS_18Fp8KVCacheDataTypeE1ELb1ELi512EEEvPfS2_PT_PKS3_PKT0_S9_ifPKiSB_iPKfiiiSD_SD_iiiii.kd
    .uniform_work_group_size: 1
    .uses_dynamic_stack: false
    .vgpr_count:     75
    .vgpr_spill_count: 0
    .wavefront_size: 64
  - .agpr_count:     0
    .args:
      - .actual_access:  write_only
        .address_space:  global
        .offset:         0
        .size:           8
        .value_kind:     global_buffer
      - .actual_access:  write_only
        .address_space:  global
        .offset:         8
        .size:           8
        .value_kind:     global_buffer
      - .actual_access:  write_only
        .address_space:  global
        .offset:         16
        .size:           8
        .value_kind:     global_buffer
      - .actual_access:  read_only
        .address_space:  global
        .offset:         24
        .size:           8
        .value_kind:     global_buffer
      - .actual_access:  read_only
        .address_space:  global
        .offset:         32
        .size:           8
        .value_kind:     global_buffer
      - .actual_access:  read_only
        .address_space:  global
        .offset:         40
        .size:           8
        .value_kind:     global_buffer
      - .offset:         48
        .size:           4
        .value_kind:     by_value
      - .offset:         52
        .size:           4
        .value_kind:     by_value
      - .actual_access:  read_only
        .address_space:  global
        .offset:         56
        .size:           8
        .value_kind:     global_buffer
      - .actual_access:  read_only
        .address_space:  global
        .offset:         64
        .size:           8
        .value_kind:     global_buffer
      - .offset:         72
        .size:           4
        .value_kind:     by_value
      - .actual_access:  read_only
        .address_space:  global
        .offset:         80
        .size:           8
        .value_kind:     global_buffer
      - .offset:         88
        .size:           4
        .value_kind:     by_value
      - .offset:         92
        .size:           4
        .value_kind:     by_value
      - .offset:         96
        .size:           4
        .value_kind:     by_value
      - .address_space:  global
        .offset:         104
        .size:           8
        .value_kind:     global_buffer
      - .address_space:  global
        .offset:         112
        .size:           8
        .value_kind:     global_buffer
      - .offset:         120
        .size:           4
        .value_kind:     by_value
      - .offset:         124
        .size:           4
        .value_kind:     by_value
      - .offset:         128
        .size:           4
        .value_kind:     by_value
      - .offset:         132
        .size:           4
        .value_kind:     by_value
      - .offset:         136
        .size:           4
        .value_kind:     by_value
      - .offset:         144
        .size:           4
        .value_kind:     hidden_block_count_x
      - .offset:         148
        .size:           4
        .value_kind:     hidden_block_count_y
      - .offset:         152
        .size:           4
        .value_kind:     hidden_block_count_z
      - .offset:         156
        .size:           2
        .value_kind:     hidden_group_size_x
      - .offset:         158
        .size:           2
        .value_kind:     hidden_group_size_y
      - .offset:         160
        .size:           2
        .value_kind:     hidden_group_size_z
      - .offset:         162
        .size:           2
        .value_kind:     hidden_remainder_x
      - .offset:         164
        .size:           2
        .value_kind:     hidden_remainder_y
      - .offset:         166
        .size:           2
        .value_kind:     hidden_remainder_z
      - .offset:         184
        .size:           8
        .value_kind:     hidden_global_offset_x
      - .offset:         192
        .size:           8
        .value_kind:     hidden_global_offset_y
      - .offset:         200
        .size:           8
        .value_kind:     hidden_global_offset_z
      - .offset:         208
        .size:           2
        .value_kind:     hidden_grid_dims
      - .offset:         264
        .size:           4
        .value_kind:     hidden_dynamic_lds_size
    .group_segment_fixed_size: 1040
    .kernarg_segment_align: 8
    .kernarg_segment_size: 400
    .language:       OpenCL C
    .language_version:
      - 2
      - 0
    .max_flat_workgroup_size: 1024
    .name:           _ZN4vllm25paged_attention_v2_kernelIfhLi256ELi8ELi128ELNS_18Fp8KVCacheDataTypeE1ELb1ELi512EEEvPfS2_PT_PKS3_PKT0_S9_ifPKiSB_iPKfiiiSD_SD_iiiii
    .private_segment_fixed_size: 0
    .sgpr_count:     62
    .sgpr_spill_count: 0
    .symbol:         _ZN4vllm25paged_attention_v2_kernelIfhLi256ELi8ELi128ELNS_18Fp8KVCacheDataTypeE1ELb1ELi512EEEvPfS2_PT_PKS3_PKT0_S9_ifPKiSB_iPKfiiiSD_SD_iiiii.kd
    .uniform_work_group_size: 1
    .uses_dynamic_stack: false
    .vgpr_count:     90
    .vgpr_spill_count: 0
    .wavefront_size: 64
  - .agpr_count:     0
    .args:
      - .actual_access:  write_only
        .address_space:  global
        .offset:         0
        .size:           8
        .value_kind:     global_buffer
      - .actual_access:  write_only
        .address_space:  global
        .offset:         8
        .size:           8
        .value_kind:     global_buffer
      - .actual_access:  write_only
        .address_space:  global
        .offset:         16
        .size:           8
        .value_kind:     global_buffer
      - .actual_access:  read_only
        .address_space:  global
        .offset:         24
        .size:           8
        .value_kind:     global_buffer
      - .actual_access:  read_only
        .address_space:  global
        .offset:         32
        .size:           8
        .value_kind:     global_buffer
      - .actual_access:  read_only
        .address_space:  global
        .offset:         40
        .size:           8
        .value_kind:     global_buffer
      - .offset:         48
        .size:           4
        .value_kind:     by_value
      - .offset:         52
        .size:           4
        .value_kind:     by_value
      - .actual_access:  read_only
        .address_space:  global
        .offset:         56
        .size:           8
        .value_kind:     global_buffer
      - .actual_access:  read_only
        .address_space:  global
        .offset:         64
        .size:           8
        .value_kind:     global_buffer
      - .offset:         72
        .size:           4
        .value_kind:     by_value
      - .actual_access:  read_only
        .address_space:  global
        .offset:         80
        .size:           8
        .value_kind:     global_buffer
      - .offset:         88
        .size:           4
        .value_kind:     by_value
      - .offset:         92
        .size:           4
        .value_kind:     by_value
      - .offset:         96
        .size:           4
        .value_kind:     by_value
      - .address_space:  global
        .offset:         104
        .size:           8
        .value_kind:     global_buffer
      - .address_space:  global
        .offset:         112
        .size:           8
        .value_kind:     global_buffer
      - .offset:         120
        .size:           4
        .value_kind:     by_value
      - .offset:         124
        .size:           4
        .value_kind:     by_value
      - .offset:         128
        .size:           4
        .value_kind:     by_value
      - .offset:         132
        .size:           4
        .value_kind:     by_value
      - .offset:         136
        .size:           4
        .value_kind:     by_value
      - .offset:         144
        .size:           4
        .value_kind:     hidden_block_count_x
      - .offset:         148
        .size:           4
        .value_kind:     hidden_block_count_y
      - .offset:         152
        .size:           4
        .value_kind:     hidden_block_count_z
      - .offset:         156
        .size:           2
        .value_kind:     hidden_group_size_x
      - .offset:         158
        .size:           2
        .value_kind:     hidden_group_size_y
      - .offset:         160
        .size:           2
        .value_kind:     hidden_group_size_z
      - .offset:         162
        .size:           2
        .value_kind:     hidden_remainder_x
      - .offset:         164
        .size:           2
        .value_kind:     hidden_remainder_y
      - .offset:         166
        .size:           2
        .value_kind:     hidden_remainder_z
      - .offset:         184
        .size:           8
        .value_kind:     hidden_global_offset_x
      - .offset:         192
        .size:           8
        .value_kind:     hidden_global_offset_y
      - .offset:         200
        .size:           8
        .value_kind:     hidden_global_offset_z
      - .offset:         208
        .size:           2
        .value_kind:     hidden_grid_dims
      - .offset:         264
        .size:           4
        .value_kind:     hidden_dynamic_lds_size
    .group_segment_fixed_size: 144
    .kernarg_segment_align: 8
    .kernarg_segment_size: 400
    .language:       OpenCL C
    .language_version:
      - 2
      - 0
    .max_flat_workgroup_size: 1024
    .name:           _ZN4vllm25paged_attention_v2_kernelIfhLi32ELi8ELi128ELNS_18Fp8KVCacheDataTypeE1ELb0ELi512EEEvPfS2_PT_PKS3_PKT0_S9_ifPKiSB_iPKfiiiSD_SD_iiiii
    .private_segment_fixed_size: 0
    .sgpr_count:     51
    .sgpr_spill_count: 0
    .symbol:         _ZN4vllm25paged_attention_v2_kernelIfhLi32ELi8ELi128ELNS_18Fp8KVCacheDataTypeE1ELb0ELi512EEEvPfS2_PT_PKS3_PKT0_S9_ifPKiSB_iPKfiiiSD_SD_iiiii.kd
    .uniform_work_group_size: 1
    .uses_dynamic_stack: false
    .vgpr_count:     30
    .vgpr_spill_count: 0
    .wavefront_size: 64
  - .agpr_count:     0
    .args:
      - .actual_access:  write_only
        .address_space:  global
        .offset:         0
        .size:           8
        .value_kind:     global_buffer
      - .actual_access:  write_only
        .address_space:  global
        .offset:         8
        .size:           8
        .value_kind:     global_buffer
      - .actual_access:  write_only
        .address_space:  global
        .offset:         16
        .size:           8
        .value_kind:     global_buffer
      - .actual_access:  read_only
        .address_space:  global
        .offset:         24
        .size:           8
        .value_kind:     global_buffer
      - .actual_access:  read_only
        .address_space:  global
        .offset:         32
        .size:           8
        .value_kind:     global_buffer
      - .actual_access:  read_only
        .address_space:  global
        .offset:         40
        .size:           8
        .value_kind:     global_buffer
      - .offset:         48
        .size:           4
        .value_kind:     by_value
      - .offset:         52
        .size:           4
        .value_kind:     by_value
      - .actual_access:  read_only
        .address_space:  global
        .offset:         56
        .size:           8
        .value_kind:     global_buffer
      - .actual_access:  read_only
        .address_space:  global
        .offset:         64
        .size:           8
        .value_kind:     global_buffer
      - .offset:         72
        .size:           4
        .value_kind:     by_value
      - .actual_access:  read_only
        .address_space:  global
        .offset:         80
        .size:           8
        .value_kind:     global_buffer
      - .offset:         88
        .size:           4
        .value_kind:     by_value
      - .offset:         92
        .size:           4
        .value_kind:     by_value
      - .offset:         96
        .size:           4
        .value_kind:     by_value
      - .address_space:  global
        .offset:         104
        .size:           8
        .value_kind:     global_buffer
      - .address_space:  global
        .offset:         112
        .size:           8
        .value_kind:     global_buffer
      - .offset:         120
        .size:           4
        .value_kind:     by_value
      - .offset:         124
        .size:           4
        .value_kind:     by_value
      - .offset:         128
        .size:           4
        .value_kind:     by_value
      - .offset:         132
        .size:           4
        .value_kind:     by_value
      - .offset:         136
        .size:           4
        .value_kind:     by_value
      - .offset:         144
        .size:           4
        .value_kind:     hidden_block_count_x
      - .offset:         148
        .size:           4
        .value_kind:     hidden_block_count_y
      - .offset:         152
        .size:           4
        .value_kind:     hidden_block_count_z
      - .offset:         156
        .size:           2
        .value_kind:     hidden_group_size_x
      - .offset:         158
        .size:           2
        .value_kind:     hidden_group_size_y
      - .offset:         160
        .size:           2
        .value_kind:     hidden_group_size_z
      - .offset:         162
        .size:           2
        .value_kind:     hidden_remainder_x
      - .offset:         164
        .size:           2
        .value_kind:     hidden_remainder_y
      - .offset:         166
        .size:           2
        .value_kind:     hidden_remainder_z
      - .offset:         184
        .size:           8
        .value_kind:     hidden_global_offset_x
      - .offset:         192
        .size:           8
        .value_kind:     hidden_global_offset_y
      - .offset:         200
        .size:           8
        .value_kind:     hidden_global_offset_z
      - .offset:         208
        .size:           2
        .value_kind:     hidden_grid_dims
      - .offset:         264
        .size:           4
        .value_kind:     hidden_dynamic_lds_size
    .group_segment_fixed_size: 272
    .kernarg_segment_align: 8
    .kernarg_segment_size: 400
    .language:       OpenCL C
    .language_version:
      - 2
      - 0
    .max_flat_workgroup_size: 1024
    .name:           _ZN4vllm25paged_attention_v2_kernelIfhLi64ELi8ELi128ELNS_18Fp8KVCacheDataTypeE1ELb0ELi512EEEvPfS2_PT_PKS3_PKT0_S9_ifPKiSB_iPKfiiiSD_SD_iiiii
    .private_segment_fixed_size: 0
    .sgpr_count:     53
    .sgpr_spill_count: 0
    .symbol:         _ZN4vllm25paged_attention_v2_kernelIfhLi64ELi8ELi128ELNS_18Fp8KVCacheDataTypeE1ELb0ELi512EEEvPfS2_PT_PKS3_PKT0_S9_ifPKiSB_iPKfiiiSD_SD_iiiii.kd
    .uniform_work_group_size: 1
    .uses_dynamic_stack: false
    .vgpr_count:     39
    .vgpr_spill_count: 0
    .wavefront_size: 64
  - .agpr_count:     0
    .args:
      - .actual_access:  write_only
        .address_space:  global
        .offset:         0
        .size:           8
        .value_kind:     global_buffer
      - .actual_access:  write_only
        .address_space:  global
        .offset:         8
        .size:           8
        .value_kind:     global_buffer
      - .actual_access:  write_only
        .address_space:  global
        .offset:         16
        .size:           8
        .value_kind:     global_buffer
      - .actual_access:  read_only
        .address_space:  global
        .offset:         24
        .size:           8
        .value_kind:     global_buffer
      - .actual_access:  read_only
        .address_space:  global
        .offset:         32
        .size:           8
        .value_kind:     global_buffer
      - .actual_access:  read_only
        .address_space:  global
        .offset:         40
        .size:           8
        .value_kind:     global_buffer
      - .offset:         48
        .size:           4
        .value_kind:     by_value
      - .offset:         52
        .size:           4
        .value_kind:     by_value
      - .actual_access:  read_only
        .address_space:  global
        .offset:         56
        .size:           8
        .value_kind:     global_buffer
      - .actual_access:  read_only
        .address_space:  global
        .offset:         64
        .size:           8
        .value_kind:     global_buffer
      - .offset:         72
        .size:           4
        .value_kind:     by_value
      - .actual_access:  read_only
        .address_space:  global
        .offset:         80
        .size:           8
        .value_kind:     global_buffer
      - .offset:         88
        .size:           4
        .value_kind:     by_value
      - .offset:         92
        .size:           4
        .value_kind:     by_value
      - .offset:         96
        .size:           4
        .value_kind:     by_value
      - .address_space:  global
        .offset:         104
        .size:           8
        .value_kind:     global_buffer
      - .address_space:  global
        .offset:         112
        .size:           8
        .value_kind:     global_buffer
      - .offset:         120
        .size:           4
        .value_kind:     by_value
      - .offset:         124
        .size:           4
        .value_kind:     by_value
      - .offset:         128
        .size:           4
        .value_kind:     by_value
      - .offset:         132
        .size:           4
        .value_kind:     by_value
      - .offset:         136
        .size:           4
        .value_kind:     by_value
      - .offset:         144
        .size:           4
        .value_kind:     hidden_block_count_x
      - .offset:         148
        .size:           4
        .value_kind:     hidden_block_count_y
      - .offset:         152
        .size:           4
        .value_kind:     hidden_block_count_z
      - .offset:         156
        .size:           2
        .value_kind:     hidden_group_size_x
      - .offset:         158
        .size:           2
        .value_kind:     hidden_group_size_y
      - .offset:         160
        .size:           2
        .value_kind:     hidden_group_size_z
      - .offset:         162
        .size:           2
        .value_kind:     hidden_remainder_x
      - .offset:         164
        .size:           2
        .value_kind:     hidden_remainder_y
      - .offset:         166
        .size:           2
        .value_kind:     hidden_remainder_z
      - .offset:         184
        .size:           8
        .value_kind:     hidden_global_offset_x
      - .offset:         192
        .size:           8
        .value_kind:     hidden_global_offset_y
      - .offset:         200
        .size:           8
        .value_kind:     hidden_global_offset_z
      - .offset:         208
        .size:           2
        .value_kind:     hidden_grid_dims
      - .offset:         264
        .size:           4
        .value_kind:     hidden_dynamic_lds_size
    .group_segment_fixed_size: 336
    .kernarg_segment_align: 8
    .kernarg_segment_size: 400
    .language:       OpenCL C
    .language_version:
      - 2
      - 0
    .max_flat_workgroup_size: 1024
    .name:           _ZN4vllm25paged_attention_v2_kernelIfhLi80ELi8ELi128ELNS_18Fp8KVCacheDataTypeE1ELb0ELi512EEEvPfS2_PT_PKS3_PKT0_S9_ifPKiSB_iPKfiiiSD_SD_iiiii
    .private_segment_fixed_size: 0
    .sgpr_count:     51
    .sgpr_spill_count: 0
    .symbol:         _ZN4vllm25paged_attention_v2_kernelIfhLi80ELi8ELi128ELNS_18Fp8KVCacheDataTypeE1ELb0ELi512EEEvPfS2_PT_PKS3_PKT0_S9_ifPKiSB_iPKfiiiSD_SD_iiiii.kd
    .uniform_work_group_size: 1
    .uses_dynamic_stack: false
    .vgpr_count:     43
    .vgpr_spill_count: 0
    .wavefront_size: 64
  - .agpr_count:     0
    .args:
      - .actual_access:  write_only
        .address_space:  global
        .offset:         0
        .size:           8
        .value_kind:     global_buffer
      - .actual_access:  write_only
        .address_space:  global
        .offset:         8
        .size:           8
        .value_kind:     global_buffer
      - .actual_access:  write_only
        .address_space:  global
        .offset:         16
        .size:           8
        .value_kind:     global_buffer
      - .actual_access:  read_only
        .address_space:  global
        .offset:         24
        .size:           8
        .value_kind:     global_buffer
      - .actual_access:  read_only
        .address_space:  global
        .offset:         32
        .size:           8
        .value_kind:     global_buffer
      - .actual_access:  read_only
        .address_space:  global
        .offset:         40
        .size:           8
        .value_kind:     global_buffer
      - .offset:         48
        .size:           4
        .value_kind:     by_value
      - .offset:         52
        .size:           4
        .value_kind:     by_value
      - .actual_access:  read_only
        .address_space:  global
        .offset:         56
        .size:           8
        .value_kind:     global_buffer
      - .actual_access:  read_only
        .address_space:  global
        .offset:         64
        .size:           8
        .value_kind:     global_buffer
      - .offset:         72
        .size:           4
        .value_kind:     by_value
      - .actual_access:  read_only
        .address_space:  global
        .offset:         80
        .size:           8
        .value_kind:     global_buffer
      - .offset:         88
        .size:           4
        .value_kind:     by_value
      - .offset:         92
        .size:           4
        .value_kind:     by_value
      - .offset:         96
        .size:           4
        .value_kind:     by_value
      - .address_space:  global
        .offset:         104
        .size:           8
        .value_kind:     global_buffer
      - .address_space:  global
        .offset:         112
        .size:           8
        .value_kind:     global_buffer
      - .offset:         120
        .size:           4
        .value_kind:     by_value
      - .offset:         124
        .size:           4
        .value_kind:     by_value
      - .offset:         128
        .size:           4
        .value_kind:     by_value
      - .offset:         132
        .size:           4
        .value_kind:     by_value
      - .offset:         136
        .size:           4
        .value_kind:     by_value
      - .offset:         144
        .size:           4
        .value_kind:     hidden_block_count_x
      - .offset:         148
        .size:           4
        .value_kind:     hidden_block_count_y
      - .offset:         152
        .size:           4
        .value_kind:     hidden_block_count_z
      - .offset:         156
        .size:           2
        .value_kind:     hidden_group_size_x
      - .offset:         158
        .size:           2
        .value_kind:     hidden_group_size_y
      - .offset:         160
        .size:           2
        .value_kind:     hidden_group_size_z
      - .offset:         162
        .size:           2
        .value_kind:     hidden_remainder_x
      - .offset:         164
        .size:           2
        .value_kind:     hidden_remainder_y
      - .offset:         166
        .size:           2
        .value_kind:     hidden_remainder_z
      - .offset:         184
        .size:           8
        .value_kind:     hidden_global_offset_x
      - .offset:         192
        .size:           8
        .value_kind:     hidden_global_offset_y
      - .offset:         200
        .size:           8
        .value_kind:     hidden_global_offset_z
      - .offset:         208
        .size:           2
        .value_kind:     hidden_grid_dims
      - .offset:         264
        .size:           4
        .value_kind:     hidden_dynamic_lds_size
    .group_segment_fixed_size: 400
    .kernarg_segment_align: 8
    .kernarg_segment_size: 400
    .language:       OpenCL C
    .language_version:
      - 2
      - 0
    .max_flat_workgroup_size: 1024
    .name:           _ZN4vllm25paged_attention_v2_kernelIfhLi96ELi8ELi128ELNS_18Fp8KVCacheDataTypeE1ELb0ELi512EEEvPfS2_PT_PKS3_PKT0_S9_ifPKiSB_iPKfiiiSD_SD_iiiii
    .private_segment_fixed_size: 0
    .sgpr_count:     51
    .sgpr_spill_count: 0
    .symbol:         _ZN4vllm25paged_attention_v2_kernelIfhLi96ELi8ELi128ELNS_18Fp8KVCacheDataTypeE1ELb0ELi512EEEvPfS2_PT_PKS3_PKT0_S9_ifPKiSB_iPKfiiiSD_SD_iiiii.kd
    .uniform_work_group_size: 1
    .uses_dynamic_stack: false
    .vgpr_count:     47
    .vgpr_spill_count: 0
    .wavefront_size: 64
  - .agpr_count:     0
    .args:
      - .actual_access:  write_only
        .address_space:  global
        .offset:         0
        .size:           8
        .value_kind:     global_buffer
      - .actual_access:  write_only
        .address_space:  global
        .offset:         8
        .size:           8
        .value_kind:     global_buffer
      - .actual_access:  write_only
        .address_space:  global
        .offset:         16
        .size:           8
        .value_kind:     global_buffer
      - .actual_access:  read_only
        .address_space:  global
        .offset:         24
        .size:           8
        .value_kind:     global_buffer
      - .actual_access:  read_only
        .address_space:  global
        .offset:         32
        .size:           8
        .value_kind:     global_buffer
      - .actual_access:  read_only
        .address_space:  global
        .offset:         40
        .size:           8
        .value_kind:     global_buffer
      - .offset:         48
        .size:           4
        .value_kind:     by_value
      - .offset:         52
        .size:           4
        .value_kind:     by_value
      - .actual_access:  read_only
        .address_space:  global
        .offset:         56
        .size:           8
        .value_kind:     global_buffer
      - .actual_access:  read_only
        .address_space:  global
        .offset:         64
        .size:           8
        .value_kind:     global_buffer
      - .offset:         72
        .size:           4
        .value_kind:     by_value
      - .actual_access:  read_only
        .address_space:  global
        .offset:         80
        .size:           8
        .value_kind:     global_buffer
      - .offset:         88
        .size:           4
        .value_kind:     by_value
      - .offset:         92
        .size:           4
        .value_kind:     by_value
      - .offset:         96
        .size:           4
        .value_kind:     by_value
      - .address_space:  global
        .offset:         104
        .size:           8
        .value_kind:     global_buffer
      - .address_space:  global
        .offset:         112
        .size:           8
        .value_kind:     global_buffer
      - .offset:         120
        .size:           4
        .value_kind:     by_value
      - .offset:         124
        .size:           4
        .value_kind:     by_value
      - .offset:         128
        .size:           4
        .value_kind:     by_value
      - .offset:         132
        .size:           4
        .value_kind:     by_value
      - .offset:         136
        .size:           4
        .value_kind:     by_value
      - .offset:         144
        .size:           4
        .value_kind:     hidden_block_count_x
      - .offset:         148
        .size:           4
        .value_kind:     hidden_block_count_y
      - .offset:         152
        .size:           4
        .value_kind:     hidden_block_count_z
      - .offset:         156
        .size:           2
        .value_kind:     hidden_group_size_x
      - .offset:         158
        .size:           2
        .value_kind:     hidden_group_size_y
      - .offset:         160
        .size:           2
        .value_kind:     hidden_group_size_z
      - .offset:         162
        .size:           2
        .value_kind:     hidden_remainder_x
      - .offset:         164
        .size:           2
        .value_kind:     hidden_remainder_y
      - .offset:         166
        .size:           2
        .value_kind:     hidden_remainder_z
      - .offset:         184
        .size:           8
        .value_kind:     hidden_global_offset_x
      - .offset:         192
        .size:           8
        .value_kind:     hidden_global_offset_y
      - .offset:         200
        .size:           8
        .value_kind:     hidden_global_offset_z
      - .offset:         208
        .size:           2
        .value_kind:     hidden_grid_dims
      - .offset:         264
        .size:           4
        .value_kind:     hidden_dynamic_lds_size
    .group_segment_fixed_size: 464
    .kernarg_segment_align: 8
    .kernarg_segment_size: 400
    .language:       OpenCL C
    .language_version:
      - 2
      - 0
    .max_flat_workgroup_size: 1024
    .name:           _ZN4vllm25paged_attention_v2_kernelIfhLi112ELi8ELi128ELNS_18Fp8KVCacheDataTypeE1ELb0ELi512EEEvPfS2_PT_PKS3_PKT0_S9_ifPKiSB_iPKfiiiSD_SD_iiiii
    .private_segment_fixed_size: 0
    .sgpr_count:     51
    .sgpr_spill_count: 0
    .symbol:         _ZN4vllm25paged_attention_v2_kernelIfhLi112ELi8ELi128ELNS_18Fp8KVCacheDataTypeE1ELb0ELi512EEEvPfS2_PT_PKS3_PKT0_S9_ifPKiSB_iPKfiiiSD_SD_iiiii.kd
    .uniform_work_group_size: 1
    .uses_dynamic_stack: false
    .vgpr_count:     51
    .vgpr_spill_count: 0
    .wavefront_size: 64
  - .agpr_count:     0
    .args:
      - .actual_access:  write_only
        .address_space:  global
        .offset:         0
        .size:           8
        .value_kind:     global_buffer
      - .actual_access:  write_only
        .address_space:  global
        .offset:         8
        .size:           8
        .value_kind:     global_buffer
      - .actual_access:  write_only
        .address_space:  global
        .offset:         16
        .size:           8
        .value_kind:     global_buffer
      - .actual_access:  read_only
        .address_space:  global
        .offset:         24
        .size:           8
        .value_kind:     global_buffer
      - .actual_access:  read_only
        .address_space:  global
        .offset:         32
        .size:           8
        .value_kind:     global_buffer
      - .actual_access:  read_only
        .address_space:  global
        .offset:         40
        .size:           8
        .value_kind:     global_buffer
      - .offset:         48
        .size:           4
        .value_kind:     by_value
      - .offset:         52
        .size:           4
        .value_kind:     by_value
      - .actual_access:  read_only
        .address_space:  global
        .offset:         56
        .size:           8
        .value_kind:     global_buffer
      - .actual_access:  read_only
        .address_space:  global
        .offset:         64
        .size:           8
        .value_kind:     global_buffer
      - .offset:         72
        .size:           4
        .value_kind:     by_value
      - .actual_access:  read_only
        .address_space:  global
        .offset:         80
        .size:           8
        .value_kind:     global_buffer
      - .offset:         88
        .size:           4
        .value_kind:     by_value
      - .offset:         92
        .size:           4
        .value_kind:     by_value
      - .offset:         96
        .size:           4
        .value_kind:     by_value
      - .address_space:  global
        .offset:         104
        .size:           8
        .value_kind:     global_buffer
      - .address_space:  global
        .offset:         112
        .size:           8
        .value_kind:     global_buffer
      - .offset:         120
        .size:           4
        .value_kind:     by_value
      - .offset:         124
        .size:           4
        .value_kind:     by_value
      - .offset:         128
        .size:           4
        .value_kind:     by_value
      - .offset:         132
        .size:           4
        .value_kind:     by_value
      - .offset:         136
        .size:           4
        .value_kind:     by_value
      - .offset:         144
        .size:           4
        .value_kind:     hidden_block_count_x
      - .offset:         148
        .size:           4
        .value_kind:     hidden_block_count_y
      - .offset:         152
        .size:           4
        .value_kind:     hidden_block_count_z
      - .offset:         156
        .size:           2
        .value_kind:     hidden_group_size_x
      - .offset:         158
        .size:           2
        .value_kind:     hidden_group_size_y
      - .offset:         160
        .size:           2
        .value_kind:     hidden_group_size_z
      - .offset:         162
        .size:           2
        .value_kind:     hidden_remainder_x
      - .offset:         164
        .size:           2
        .value_kind:     hidden_remainder_y
      - .offset:         166
        .size:           2
        .value_kind:     hidden_remainder_z
      - .offset:         184
        .size:           8
        .value_kind:     hidden_global_offset_x
      - .offset:         192
        .size:           8
        .value_kind:     hidden_global_offset_y
      - .offset:         200
        .size:           8
        .value_kind:     hidden_global_offset_z
      - .offset:         208
        .size:           2
        .value_kind:     hidden_grid_dims
      - .offset:         264
        .size:           4
        .value_kind:     hidden_dynamic_lds_size
    .group_segment_fixed_size: 496
    .kernarg_segment_align: 8
    .kernarg_segment_size: 400
    .language:       OpenCL C
    .language_version:
      - 2
      - 0
    .max_flat_workgroup_size: 1024
    .name:           _ZN4vllm25paged_attention_v2_kernelIfhLi120ELi8ELi128ELNS_18Fp8KVCacheDataTypeE1ELb0ELi512EEEvPfS2_PT_PKS3_PKT0_S9_ifPKiSB_iPKfiiiSD_SD_iiiii
    .private_segment_fixed_size: 0
    .sgpr_count:     51
    .sgpr_spill_count: 0
    .symbol:         _ZN4vllm25paged_attention_v2_kernelIfhLi120ELi8ELi128ELNS_18Fp8KVCacheDataTypeE1ELb0ELi512EEEvPfS2_PT_PKS3_PKT0_S9_ifPKiSB_iPKfiiiSD_SD_iiiii.kd
    .uniform_work_group_size: 1
    .uses_dynamic_stack: false
    .vgpr_count:     53
    .vgpr_spill_count: 0
    .wavefront_size: 64
  - .agpr_count:     0
    .args:
      - .actual_access:  write_only
        .address_space:  global
        .offset:         0
        .size:           8
        .value_kind:     global_buffer
      - .actual_access:  write_only
        .address_space:  global
        .offset:         8
        .size:           8
        .value_kind:     global_buffer
      - .actual_access:  write_only
        .address_space:  global
        .offset:         16
        .size:           8
        .value_kind:     global_buffer
      - .actual_access:  read_only
        .address_space:  global
        .offset:         24
        .size:           8
        .value_kind:     global_buffer
      - .actual_access:  read_only
        .address_space:  global
        .offset:         32
        .size:           8
        .value_kind:     global_buffer
      - .actual_access:  read_only
        .address_space:  global
        .offset:         40
        .size:           8
        .value_kind:     global_buffer
      - .offset:         48
        .size:           4
        .value_kind:     by_value
      - .offset:         52
        .size:           4
        .value_kind:     by_value
      - .actual_access:  read_only
        .address_space:  global
        .offset:         56
        .size:           8
        .value_kind:     global_buffer
      - .actual_access:  read_only
        .address_space:  global
        .offset:         64
        .size:           8
        .value_kind:     global_buffer
      - .offset:         72
        .size:           4
        .value_kind:     by_value
      - .actual_access:  read_only
        .address_space:  global
        .offset:         80
        .size:           8
        .value_kind:     global_buffer
      - .offset:         88
        .size:           4
        .value_kind:     by_value
      - .offset:         92
        .size:           4
        .value_kind:     by_value
      - .offset:         96
        .size:           4
        .value_kind:     by_value
      - .address_space:  global
        .offset:         104
        .size:           8
        .value_kind:     global_buffer
      - .address_space:  global
        .offset:         112
        .size:           8
        .value_kind:     global_buffer
      - .offset:         120
        .size:           4
        .value_kind:     by_value
      - .offset:         124
        .size:           4
        .value_kind:     by_value
      - .offset:         128
        .size:           4
        .value_kind:     by_value
      - .offset:         132
        .size:           4
        .value_kind:     by_value
      - .offset:         136
        .size:           4
        .value_kind:     by_value
      - .offset:         144
        .size:           4
        .value_kind:     hidden_block_count_x
      - .offset:         148
        .size:           4
        .value_kind:     hidden_block_count_y
      - .offset:         152
        .size:           4
        .value_kind:     hidden_block_count_z
      - .offset:         156
        .size:           2
        .value_kind:     hidden_group_size_x
      - .offset:         158
        .size:           2
        .value_kind:     hidden_group_size_y
      - .offset:         160
        .size:           2
        .value_kind:     hidden_group_size_z
      - .offset:         162
        .size:           2
        .value_kind:     hidden_remainder_x
      - .offset:         164
        .size:           2
        .value_kind:     hidden_remainder_y
      - .offset:         166
        .size:           2
        .value_kind:     hidden_remainder_z
      - .offset:         184
        .size:           8
        .value_kind:     hidden_global_offset_x
      - .offset:         192
        .size:           8
        .value_kind:     hidden_global_offset_y
      - .offset:         200
        .size:           8
        .value_kind:     hidden_global_offset_z
      - .offset:         208
        .size:           2
        .value_kind:     hidden_grid_dims
      - .offset:         264
        .size:           4
        .value_kind:     hidden_dynamic_lds_size
    .group_segment_fixed_size: 528
    .kernarg_segment_align: 8
    .kernarg_segment_size: 400
    .language:       OpenCL C
    .language_version:
      - 2
      - 0
    .max_flat_workgroup_size: 1024
    .name:           _ZN4vllm25paged_attention_v2_kernelIfhLi128ELi8ELi128ELNS_18Fp8KVCacheDataTypeE1ELb0ELi512EEEvPfS2_PT_PKS3_PKT0_S9_ifPKiSB_iPKfiiiSD_SD_iiiii
    .private_segment_fixed_size: 0
    .sgpr_count:     51
    .sgpr_spill_count: 0
    .symbol:         _ZN4vllm25paged_attention_v2_kernelIfhLi128ELi8ELi128ELNS_18Fp8KVCacheDataTypeE1ELb0ELi512EEEvPfS2_PT_PKS3_PKT0_S9_ifPKiSB_iPKfiiiSD_SD_iiiii.kd
    .uniform_work_group_size: 1
    .uses_dynamic_stack: false
    .vgpr_count:     54
    .vgpr_spill_count: 0
    .wavefront_size: 64
  - .agpr_count:     0
    .args:
      - .actual_access:  write_only
        .address_space:  global
        .offset:         0
        .size:           8
        .value_kind:     global_buffer
      - .actual_access:  write_only
        .address_space:  global
        .offset:         8
        .size:           8
        .value_kind:     global_buffer
      - .actual_access:  write_only
        .address_space:  global
        .offset:         16
        .size:           8
        .value_kind:     global_buffer
      - .actual_access:  read_only
        .address_space:  global
        .offset:         24
        .size:           8
        .value_kind:     global_buffer
      - .actual_access:  read_only
        .address_space:  global
        .offset:         32
        .size:           8
        .value_kind:     global_buffer
      - .actual_access:  read_only
        .address_space:  global
        .offset:         40
        .size:           8
        .value_kind:     global_buffer
      - .offset:         48
        .size:           4
        .value_kind:     by_value
      - .offset:         52
        .size:           4
        .value_kind:     by_value
      - .actual_access:  read_only
        .address_space:  global
        .offset:         56
        .size:           8
        .value_kind:     global_buffer
      - .actual_access:  read_only
        .address_space:  global
        .offset:         64
        .size:           8
        .value_kind:     global_buffer
      - .offset:         72
        .size:           4
        .value_kind:     by_value
      - .actual_access:  read_only
        .address_space:  global
        .offset:         80
        .size:           8
        .value_kind:     global_buffer
      - .offset:         88
        .size:           4
        .value_kind:     by_value
      - .offset:         92
        .size:           4
        .value_kind:     by_value
      - .offset:         96
        .size:           4
        .value_kind:     by_value
      - .address_space:  global
        .offset:         104
        .size:           8
        .value_kind:     global_buffer
      - .address_space:  global
        .offset:         112
        .size:           8
        .value_kind:     global_buffer
      - .offset:         120
        .size:           4
        .value_kind:     by_value
      - .offset:         124
        .size:           4
        .value_kind:     by_value
      - .offset:         128
        .size:           4
        .value_kind:     by_value
      - .offset:         132
        .size:           4
        .value_kind:     by_value
      - .offset:         136
        .size:           4
        .value_kind:     by_value
      - .offset:         144
        .size:           4
        .value_kind:     hidden_block_count_x
      - .offset:         148
        .size:           4
        .value_kind:     hidden_block_count_y
      - .offset:         152
        .size:           4
        .value_kind:     hidden_block_count_z
      - .offset:         156
        .size:           2
        .value_kind:     hidden_group_size_x
      - .offset:         158
        .size:           2
        .value_kind:     hidden_group_size_y
      - .offset:         160
        .size:           2
        .value_kind:     hidden_group_size_z
      - .offset:         162
        .size:           2
        .value_kind:     hidden_remainder_x
      - .offset:         164
        .size:           2
        .value_kind:     hidden_remainder_y
      - .offset:         166
        .size:           2
        .value_kind:     hidden_remainder_z
      - .offset:         184
        .size:           8
        .value_kind:     hidden_global_offset_x
      - .offset:         192
        .size:           8
        .value_kind:     hidden_global_offset_y
      - .offset:         200
        .size:           8
        .value_kind:     hidden_global_offset_z
      - .offset:         208
        .size:           2
        .value_kind:     hidden_grid_dims
      - .offset:         264
        .size:           4
        .value_kind:     hidden_dynamic_lds_size
    .group_segment_fixed_size: 784
    .kernarg_segment_align: 8
    .kernarg_segment_size: 400
    .language:       OpenCL C
    .language_version:
      - 2
      - 0
    .max_flat_workgroup_size: 1024
    .name:           _ZN4vllm25paged_attention_v2_kernelIfhLi192ELi8ELi128ELNS_18Fp8KVCacheDataTypeE1ELb0ELi512EEEvPfS2_PT_PKS3_PKT0_S9_ifPKiSB_iPKfiiiSD_SD_iiiii
    .private_segment_fixed_size: 0
    .sgpr_count:     51
    .sgpr_spill_count: 0
    .symbol:         _ZN4vllm25paged_attention_v2_kernelIfhLi192ELi8ELi128ELNS_18Fp8KVCacheDataTypeE1ELb0ELi512EEEvPfS2_PT_PKS3_PKT0_S9_ifPKiSB_iPKfiiiSD_SD_iiiii.kd
    .uniform_work_group_size: 1
    .uses_dynamic_stack: false
    .vgpr_count:     68
    .vgpr_spill_count: 0
    .wavefront_size: 64
  - .agpr_count:     0
    .args:
      - .actual_access:  write_only
        .address_space:  global
        .offset:         0
        .size:           8
        .value_kind:     global_buffer
      - .actual_access:  write_only
        .address_space:  global
        .offset:         8
        .size:           8
        .value_kind:     global_buffer
      - .actual_access:  write_only
        .address_space:  global
        .offset:         16
        .size:           8
        .value_kind:     global_buffer
      - .actual_access:  read_only
        .address_space:  global
        .offset:         24
        .size:           8
        .value_kind:     global_buffer
      - .actual_access:  read_only
        .address_space:  global
        .offset:         32
        .size:           8
        .value_kind:     global_buffer
      - .actual_access:  read_only
        .address_space:  global
        .offset:         40
        .size:           8
        .value_kind:     global_buffer
      - .offset:         48
        .size:           4
        .value_kind:     by_value
      - .offset:         52
        .size:           4
        .value_kind:     by_value
      - .actual_access:  read_only
        .address_space:  global
        .offset:         56
        .size:           8
        .value_kind:     global_buffer
      - .actual_access:  read_only
        .address_space:  global
        .offset:         64
        .size:           8
        .value_kind:     global_buffer
      - .offset:         72
        .size:           4
        .value_kind:     by_value
      - .actual_access:  read_only
        .address_space:  global
        .offset:         80
        .size:           8
        .value_kind:     global_buffer
      - .offset:         88
        .size:           4
        .value_kind:     by_value
      - .offset:         92
        .size:           4
        .value_kind:     by_value
      - .offset:         96
        .size:           4
        .value_kind:     by_value
      - .address_space:  global
        .offset:         104
        .size:           8
        .value_kind:     global_buffer
      - .address_space:  global
        .offset:         112
        .size:           8
        .value_kind:     global_buffer
      - .offset:         120
        .size:           4
        .value_kind:     by_value
      - .offset:         124
        .size:           4
        .value_kind:     by_value
      - .offset:         128
        .size:           4
        .value_kind:     by_value
      - .offset:         132
        .size:           4
        .value_kind:     by_value
      - .offset:         136
        .size:           4
        .value_kind:     by_value
      - .offset:         144
        .size:           4
        .value_kind:     hidden_block_count_x
      - .offset:         148
        .size:           4
        .value_kind:     hidden_block_count_y
      - .offset:         152
        .size:           4
        .value_kind:     hidden_block_count_z
      - .offset:         156
        .size:           2
        .value_kind:     hidden_group_size_x
      - .offset:         158
        .size:           2
        .value_kind:     hidden_group_size_y
      - .offset:         160
        .size:           2
        .value_kind:     hidden_group_size_z
      - .offset:         162
        .size:           2
        .value_kind:     hidden_remainder_x
      - .offset:         164
        .size:           2
        .value_kind:     hidden_remainder_y
      - .offset:         166
        .size:           2
        .value_kind:     hidden_remainder_z
      - .offset:         184
        .size:           8
        .value_kind:     hidden_global_offset_x
      - .offset:         192
        .size:           8
        .value_kind:     hidden_global_offset_y
      - .offset:         200
        .size:           8
        .value_kind:     hidden_global_offset_z
      - .offset:         208
        .size:           2
        .value_kind:     hidden_grid_dims
      - .offset:         264
        .size:           4
        .value_kind:     hidden_dynamic_lds_size
    .group_segment_fixed_size: 1040
    .kernarg_segment_align: 8
    .kernarg_segment_size: 400
    .language:       OpenCL C
    .language_version:
      - 2
      - 0
    .max_flat_workgroup_size: 1024
    .name:           _ZN4vllm25paged_attention_v2_kernelIfhLi256ELi8ELi128ELNS_18Fp8KVCacheDataTypeE1ELb0ELi512EEEvPfS2_PT_PKS3_PKT0_S9_ifPKiSB_iPKfiiiSD_SD_iiiii
    .private_segment_fixed_size: 0
    .sgpr_count:     51
    .sgpr_spill_count: 0
    .symbol:         _ZN4vllm25paged_attention_v2_kernelIfhLi256ELi8ELi128ELNS_18Fp8KVCacheDataTypeE1ELb0ELi512EEEvPfS2_PT_PKS3_PKT0_S9_ifPKiSB_iPKfiiiSD_SD_iiiii.kd
    .uniform_work_group_size: 1
    .uses_dynamic_stack: false
    .vgpr_count:     84
    .vgpr_spill_count: 0
    .wavefront_size: 64
  - .agpr_count:     0
    .args:
      - .actual_access:  write_only
        .address_space:  global
        .offset:         0
        .size:           8
        .value_kind:     global_buffer
      - .actual_access:  write_only
        .address_space:  global
        .offset:         8
        .size:           8
        .value_kind:     global_buffer
      - .actual_access:  write_only
        .address_space:  global
        .offset:         16
        .size:           8
        .value_kind:     global_buffer
      - .actual_access:  read_only
        .address_space:  global
        .offset:         24
        .size:           8
        .value_kind:     global_buffer
      - .actual_access:  read_only
        .address_space:  global
        .offset:         32
        .size:           8
        .value_kind:     global_buffer
      - .actual_access:  read_only
        .address_space:  global
        .offset:         40
        .size:           8
        .value_kind:     global_buffer
      - .offset:         48
        .size:           4
        .value_kind:     by_value
      - .offset:         52
        .size:           4
        .value_kind:     by_value
      - .actual_access:  read_only
        .address_space:  global
        .offset:         56
        .size:           8
        .value_kind:     global_buffer
      - .actual_access:  read_only
        .address_space:  global
        .offset:         64
        .size:           8
        .value_kind:     global_buffer
      - .offset:         72
        .size:           4
        .value_kind:     by_value
      - .actual_access:  read_only
        .address_space:  global
        .offset:         80
        .size:           8
        .value_kind:     global_buffer
      - .offset:         88
        .size:           4
        .value_kind:     by_value
      - .offset:         92
        .size:           4
        .value_kind:     by_value
      - .offset:         96
        .size:           4
        .value_kind:     by_value
      - .address_space:  global
        .offset:         104
        .size:           8
        .value_kind:     global_buffer
      - .address_space:  global
        .offset:         112
        .size:           8
        .value_kind:     global_buffer
      - .offset:         120
        .size:           4
        .value_kind:     by_value
      - .offset:         124
        .size:           4
        .value_kind:     by_value
      - .offset:         128
        .size:           4
        .value_kind:     by_value
      - .offset:         132
        .size:           4
        .value_kind:     by_value
      - .offset:         136
        .size:           4
        .value_kind:     by_value
      - .offset:         144
        .size:           4
        .value_kind:     hidden_block_count_x
      - .offset:         148
        .size:           4
        .value_kind:     hidden_block_count_y
      - .offset:         152
        .size:           4
        .value_kind:     hidden_block_count_z
      - .offset:         156
        .size:           2
        .value_kind:     hidden_group_size_x
      - .offset:         158
        .size:           2
        .value_kind:     hidden_group_size_y
      - .offset:         160
        .size:           2
        .value_kind:     hidden_group_size_z
      - .offset:         162
        .size:           2
        .value_kind:     hidden_remainder_x
      - .offset:         164
        .size:           2
        .value_kind:     hidden_remainder_y
      - .offset:         166
        .size:           2
        .value_kind:     hidden_remainder_z
      - .offset:         184
        .size:           8
        .value_kind:     hidden_global_offset_x
      - .offset:         192
        .size:           8
        .value_kind:     hidden_global_offset_y
      - .offset:         200
        .size:           8
        .value_kind:     hidden_global_offset_z
      - .offset:         208
        .size:           2
        .value_kind:     hidden_grid_dims
      - .offset:         264
        .size:           4
        .value_kind:     hidden_dynamic_lds_size
    .group_segment_fixed_size: 144
    .kernarg_segment_align: 8
    .kernarg_segment_size: 400
    .language:       OpenCL C
    .language_version:
      - 2
      - 0
    .max_flat_workgroup_size: 1024
    .name:           _ZN4vllm25paged_attention_v2_kernelIfhLi32ELi16ELi128ELNS_18Fp8KVCacheDataTypeE1ELb1ELi512EEEvPfS2_PT_PKS3_PKT0_S9_ifPKiSB_iPKfiiiSD_SD_iiiii
    .private_segment_fixed_size: 0
    .sgpr_count:     62
    .sgpr_spill_count: 0
    .symbol:         _ZN4vllm25paged_attention_v2_kernelIfhLi32ELi16ELi128ELNS_18Fp8KVCacheDataTypeE1ELb1ELi512EEEvPfS2_PT_PKS3_PKT0_S9_ifPKiSB_iPKfiiiSD_SD_iiiii.kd
    .uniform_work_group_size: 1
    .uses_dynamic_stack: false
    .vgpr_count:     45
    .vgpr_spill_count: 0
    .wavefront_size: 64
  - .agpr_count:     0
    .args:
      - .actual_access:  write_only
        .address_space:  global
        .offset:         0
        .size:           8
        .value_kind:     global_buffer
      - .actual_access:  write_only
        .address_space:  global
        .offset:         8
        .size:           8
        .value_kind:     global_buffer
      - .actual_access:  write_only
        .address_space:  global
        .offset:         16
        .size:           8
        .value_kind:     global_buffer
      - .actual_access:  read_only
        .address_space:  global
        .offset:         24
        .size:           8
        .value_kind:     global_buffer
      - .actual_access:  read_only
        .address_space:  global
        .offset:         32
        .size:           8
        .value_kind:     global_buffer
      - .actual_access:  read_only
        .address_space:  global
        .offset:         40
        .size:           8
        .value_kind:     global_buffer
      - .offset:         48
        .size:           4
        .value_kind:     by_value
      - .offset:         52
        .size:           4
        .value_kind:     by_value
      - .actual_access:  read_only
        .address_space:  global
        .offset:         56
        .size:           8
        .value_kind:     global_buffer
      - .actual_access:  read_only
        .address_space:  global
        .offset:         64
        .size:           8
        .value_kind:     global_buffer
      - .offset:         72
        .size:           4
        .value_kind:     by_value
      - .actual_access:  read_only
        .address_space:  global
        .offset:         80
        .size:           8
        .value_kind:     global_buffer
      - .offset:         88
        .size:           4
        .value_kind:     by_value
      - .offset:         92
        .size:           4
        .value_kind:     by_value
      - .offset:         96
        .size:           4
        .value_kind:     by_value
      - .address_space:  global
        .offset:         104
        .size:           8
        .value_kind:     global_buffer
      - .address_space:  global
        .offset:         112
        .size:           8
        .value_kind:     global_buffer
      - .offset:         120
        .size:           4
        .value_kind:     by_value
      - .offset:         124
        .size:           4
        .value_kind:     by_value
      - .offset:         128
        .size:           4
        .value_kind:     by_value
      - .offset:         132
        .size:           4
        .value_kind:     by_value
      - .offset:         136
        .size:           4
        .value_kind:     by_value
      - .offset:         144
        .size:           4
        .value_kind:     hidden_block_count_x
      - .offset:         148
        .size:           4
        .value_kind:     hidden_block_count_y
      - .offset:         152
        .size:           4
        .value_kind:     hidden_block_count_z
      - .offset:         156
        .size:           2
        .value_kind:     hidden_group_size_x
      - .offset:         158
        .size:           2
        .value_kind:     hidden_group_size_y
      - .offset:         160
        .size:           2
        .value_kind:     hidden_group_size_z
      - .offset:         162
        .size:           2
        .value_kind:     hidden_remainder_x
      - .offset:         164
        .size:           2
        .value_kind:     hidden_remainder_y
      - .offset:         166
        .size:           2
        .value_kind:     hidden_remainder_z
      - .offset:         184
        .size:           8
        .value_kind:     hidden_global_offset_x
      - .offset:         192
        .size:           8
        .value_kind:     hidden_global_offset_y
      - .offset:         200
        .size:           8
        .value_kind:     hidden_global_offset_z
      - .offset:         208
        .size:           2
        .value_kind:     hidden_grid_dims
      - .offset:         264
        .size:           4
        .value_kind:     hidden_dynamic_lds_size
    .group_segment_fixed_size: 272
    .kernarg_segment_align: 8
    .kernarg_segment_size: 400
    .language:       OpenCL C
    .language_version:
      - 2
      - 0
    .max_flat_workgroup_size: 1024
    .name:           _ZN4vllm25paged_attention_v2_kernelIfhLi64ELi16ELi128ELNS_18Fp8KVCacheDataTypeE1ELb1ELi512EEEvPfS2_PT_PKS3_PKT0_S9_ifPKiSB_iPKfiiiSD_SD_iiiii
    .private_segment_fixed_size: 0
    .sgpr_count:     64
    .sgpr_spill_count: 0
    .symbol:         _ZN4vllm25paged_attention_v2_kernelIfhLi64ELi16ELi128ELNS_18Fp8KVCacheDataTypeE1ELb1ELi512EEEvPfS2_PT_PKS3_PKT0_S9_ifPKiSB_iPKfiiiSD_SD_iiiii.kd
    .uniform_work_group_size: 1
    .uses_dynamic_stack: false
    .vgpr_count:     61
    .vgpr_spill_count: 0
    .wavefront_size: 64
  - .agpr_count:     0
    .args:
      - .actual_access:  write_only
        .address_space:  global
        .offset:         0
        .size:           8
        .value_kind:     global_buffer
      - .actual_access:  write_only
        .address_space:  global
        .offset:         8
        .size:           8
        .value_kind:     global_buffer
      - .actual_access:  write_only
        .address_space:  global
        .offset:         16
        .size:           8
        .value_kind:     global_buffer
      - .actual_access:  read_only
        .address_space:  global
        .offset:         24
        .size:           8
        .value_kind:     global_buffer
      - .actual_access:  read_only
        .address_space:  global
        .offset:         32
        .size:           8
        .value_kind:     global_buffer
      - .actual_access:  read_only
        .address_space:  global
        .offset:         40
        .size:           8
        .value_kind:     global_buffer
      - .offset:         48
        .size:           4
        .value_kind:     by_value
      - .offset:         52
        .size:           4
        .value_kind:     by_value
      - .actual_access:  read_only
        .address_space:  global
        .offset:         56
        .size:           8
        .value_kind:     global_buffer
      - .actual_access:  read_only
        .address_space:  global
        .offset:         64
        .size:           8
        .value_kind:     global_buffer
      - .offset:         72
        .size:           4
        .value_kind:     by_value
      - .actual_access:  read_only
        .address_space:  global
        .offset:         80
        .size:           8
        .value_kind:     global_buffer
      - .offset:         88
        .size:           4
        .value_kind:     by_value
      - .offset:         92
        .size:           4
        .value_kind:     by_value
      - .offset:         96
        .size:           4
        .value_kind:     by_value
      - .address_space:  global
        .offset:         104
        .size:           8
        .value_kind:     global_buffer
      - .address_space:  global
        .offset:         112
        .size:           8
        .value_kind:     global_buffer
      - .offset:         120
        .size:           4
        .value_kind:     by_value
      - .offset:         124
        .size:           4
        .value_kind:     by_value
      - .offset:         128
        .size:           4
        .value_kind:     by_value
      - .offset:         132
        .size:           4
        .value_kind:     by_value
      - .offset:         136
        .size:           4
        .value_kind:     by_value
      - .offset:         144
        .size:           4
        .value_kind:     hidden_block_count_x
      - .offset:         148
        .size:           4
        .value_kind:     hidden_block_count_y
      - .offset:         152
        .size:           4
        .value_kind:     hidden_block_count_z
      - .offset:         156
        .size:           2
        .value_kind:     hidden_group_size_x
      - .offset:         158
        .size:           2
        .value_kind:     hidden_group_size_y
      - .offset:         160
        .size:           2
        .value_kind:     hidden_group_size_z
      - .offset:         162
        .size:           2
        .value_kind:     hidden_remainder_x
      - .offset:         164
        .size:           2
        .value_kind:     hidden_remainder_y
      - .offset:         166
        .size:           2
        .value_kind:     hidden_remainder_z
      - .offset:         184
        .size:           8
        .value_kind:     hidden_global_offset_x
      - .offset:         192
        .size:           8
        .value_kind:     hidden_global_offset_y
      - .offset:         200
        .size:           8
        .value_kind:     hidden_global_offset_z
      - .offset:         208
        .size:           2
        .value_kind:     hidden_grid_dims
      - .offset:         264
        .size:           4
        .value_kind:     hidden_dynamic_lds_size
    .group_segment_fixed_size: 336
    .kernarg_segment_align: 8
    .kernarg_segment_size: 400
    .language:       OpenCL C
    .language_version:
      - 2
      - 0
    .max_flat_workgroup_size: 1024
    .name:           _ZN4vllm25paged_attention_v2_kernelIfhLi80ELi16ELi128ELNS_18Fp8KVCacheDataTypeE1ELb1ELi512EEEvPfS2_PT_PKS3_PKT0_S9_ifPKiSB_iPKfiiiSD_SD_iiiii
    .private_segment_fixed_size: 0
    .sgpr_count:     62
    .sgpr_spill_count: 0
    .symbol:         _ZN4vllm25paged_attention_v2_kernelIfhLi80ELi16ELi128ELNS_18Fp8KVCacheDataTypeE1ELb1ELi512EEEvPfS2_PT_PKS3_PKT0_S9_ifPKiSB_iPKfiiiSD_SD_iiiii.kd
    .uniform_work_group_size: 1
    .uses_dynamic_stack: false
    .vgpr_count:     69
    .vgpr_spill_count: 0
    .wavefront_size: 64
  - .agpr_count:     0
    .args:
      - .actual_access:  write_only
        .address_space:  global
        .offset:         0
        .size:           8
        .value_kind:     global_buffer
      - .actual_access:  write_only
        .address_space:  global
        .offset:         8
        .size:           8
        .value_kind:     global_buffer
      - .actual_access:  write_only
        .address_space:  global
        .offset:         16
        .size:           8
        .value_kind:     global_buffer
      - .actual_access:  read_only
        .address_space:  global
        .offset:         24
        .size:           8
        .value_kind:     global_buffer
      - .actual_access:  read_only
        .address_space:  global
        .offset:         32
        .size:           8
        .value_kind:     global_buffer
      - .actual_access:  read_only
        .address_space:  global
        .offset:         40
        .size:           8
        .value_kind:     global_buffer
      - .offset:         48
        .size:           4
        .value_kind:     by_value
      - .offset:         52
        .size:           4
        .value_kind:     by_value
      - .actual_access:  read_only
        .address_space:  global
        .offset:         56
        .size:           8
        .value_kind:     global_buffer
      - .actual_access:  read_only
        .address_space:  global
        .offset:         64
        .size:           8
        .value_kind:     global_buffer
      - .offset:         72
        .size:           4
        .value_kind:     by_value
      - .actual_access:  read_only
        .address_space:  global
        .offset:         80
        .size:           8
        .value_kind:     global_buffer
      - .offset:         88
        .size:           4
        .value_kind:     by_value
      - .offset:         92
        .size:           4
        .value_kind:     by_value
      - .offset:         96
        .size:           4
        .value_kind:     by_value
      - .address_space:  global
        .offset:         104
        .size:           8
        .value_kind:     global_buffer
      - .address_space:  global
        .offset:         112
        .size:           8
        .value_kind:     global_buffer
      - .offset:         120
        .size:           4
        .value_kind:     by_value
      - .offset:         124
        .size:           4
        .value_kind:     by_value
      - .offset:         128
        .size:           4
        .value_kind:     by_value
      - .offset:         132
        .size:           4
        .value_kind:     by_value
      - .offset:         136
        .size:           4
        .value_kind:     by_value
      - .offset:         144
        .size:           4
        .value_kind:     hidden_block_count_x
      - .offset:         148
        .size:           4
        .value_kind:     hidden_block_count_y
      - .offset:         152
        .size:           4
        .value_kind:     hidden_block_count_z
      - .offset:         156
        .size:           2
        .value_kind:     hidden_group_size_x
      - .offset:         158
        .size:           2
        .value_kind:     hidden_group_size_y
      - .offset:         160
        .size:           2
        .value_kind:     hidden_group_size_z
      - .offset:         162
        .size:           2
        .value_kind:     hidden_remainder_x
      - .offset:         164
        .size:           2
        .value_kind:     hidden_remainder_y
      - .offset:         166
        .size:           2
        .value_kind:     hidden_remainder_z
      - .offset:         184
        .size:           8
        .value_kind:     hidden_global_offset_x
      - .offset:         192
        .size:           8
        .value_kind:     hidden_global_offset_y
      - .offset:         200
        .size:           8
        .value_kind:     hidden_global_offset_z
      - .offset:         208
        .size:           2
        .value_kind:     hidden_grid_dims
      - .offset:         264
        .size:           4
        .value_kind:     hidden_dynamic_lds_size
    .group_segment_fixed_size: 400
    .kernarg_segment_align: 8
    .kernarg_segment_size: 400
    .language:       OpenCL C
    .language_version:
      - 2
      - 0
    .max_flat_workgroup_size: 1024
    .name:           _ZN4vllm25paged_attention_v2_kernelIfhLi96ELi16ELi128ELNS_18Fp8KVCacheDataTypeE1ELb1ELi512EEEvPfS2_PT_PKS3_PKT0_S9_ifPKiSB_iPKfiiiSD_SD_iiiii
    .private_segment_fixed_size: 0
    .sgpr_count:     62
    .sgpr_spill_count: 0
    .symbol:         _ZN4vllm25paged_attention_v2_kernelIfhLi96ELi16ELi128ELNS_18Fp8KVCacheDataTypeE1ELb1ELi512EEEvPfS2_PT_PKS3_PKT0_S9_ifPKiSB_iPKfiiiSD_SD_iiiii.kd
    .uniform_work_group_size: 1
    .uses_dynamic_stack: false
    .vgpr_count:     77
    .vgpr_spill_count: 0
    .wavefront_size: 64
  - .agpr_count:     0
    .args:
      - .actual_access:  write_only
        .address_space:  global
        .offset:         0
        .size:           8
        .value_kind:     global_buffer
      - .actual_access:  write_only
        .address_space:  global
        .offset:         8
        .size:           8
        .value_kind:     global_buffer
      - .actual_access:  write_only
        .address_space:  global
        .offset:         16
        .size:           8
        .value_kind:     global_buffer
      - .actual_access:  read_only
        .address_space:  global
        .offset:         24
        .size:           8
        .value_kind:     global_buffer
      - .actual_access:  read_only
        .address_space:  global
        .offset:         32
        .size:           8
        .value_kind:     global_buffer
      - .actual_access:  read_only
        .address_space:  global
        .offset:         40
        .size:           8
        .value_kind:     global_buffer
      - .offset:         48
        .size:           4
        .value_kind:     by_value
      - .offset:         52
        .size:           4
        .value_kind:     by_value
      - .actual_access:  read_only
        .address_space:  global
        .offset:         56
        .size:           8
        .value_kind:     global_buffer
      - .actual_access:  read_only
        .address_space:  global
        .offset:         64
        .size:           8
        .value_kind:     global_buffer
      - .offset:         72
        .size:           4
        .value_kind:     by_value
      - .actual_access:  read_only
        .address_space:  global
        .offset:         80
        .size:           8
        .value_kind:     global_buffer
      - .offset:         88
        .size:           4
        .value_kind:     by_value
      - .offset:         92
        .size:           4
        .value_kind:     by_value
      - .offset:         96
        .size:           4
        .value_kind:     by_value
      - .address_space:  global
        .offset:         104
        .size:           8
        .value_kind:     global_buffer
      - .address_space:  global
        .offset:         112
        .size:           8
        .value_kind:     global_buffer
      - .offset:         120
        .size:           4
        .value_kind:     by_value
      - .offset:         124
        .size:           4
        .value_kind:     by_value
      - .offset:         128
        .size:           4
        .value_kind:     by_value
      - .offset:         132
        .size:           4
        .value_kind:     by_value
      - .offset:         136
        .size:           4
        .value_kind:     by_value
      - .offset:         144
        .size:           4
        .value_kind:     hidden_block_count_x
      - .offset:         148
        .size:           4
        .value_kind:     hidden_block_count_y
      - .offset:         152
        .size:           4
        .value_kind:     hidden_block_count_z
      - .offset:         156
        .size:           2
        .value_kind:     hidden_group_size_x
      - .offset:         158
        .size:           2
        .value_kind:     hidden_group_size_y
      - .offset:         160
        .size:           2
        .value_kind:     hidden_group_size_z
      - .offset:         162
        .size:           2
        .value_kind:     hidden_remainder_x
      - .offset:         164
        .size:           2
        .value_kind:     hidden_remainder_y
      - .offset:         166
        .size:           2
        .value_kind:     hidden_remainder_z
      - .offset:         184
        .size:           8
        .value_kind:     hidden_global_offset_x
      - .offset:         192
        .size:           8
        .value_kind:     hidden_global_offset_y
      - .offset:         200
        .size:           8
        .value_kind:     hidden_global_offset_z
      - .offset:         208
        .size:           2
        .value_kind:     hidden_grid_dims
      - .offset:         264
        .size:           4
        .value_kind:     hidden_dynamic_lds_size
    .group_segment_fixed_size: 464
    .kernarg_segment_align: 8
    .kernarg_segment_size: 400
    .language:       OpenCL C
    .language_version:
      - 2
      - 0
    .max_flat_workgroup_size: 1024
    .name:           _ZN4vllm25paged_attention_v2_kernelIfhLi112ELi16ELi128ELNS_18Fp8KVCacheDataTypeE1ELb1ELi512EEEvPfS2_PT_PKS3_PKT0_S9_ifPKiSB_iPKfiiiSD_SD_iiiii
    .private_segment_fixed_size: 0
    .sgpr_count:     62
    .sgpr_spill_count: 0
    .symbol:         _ZN4vllm25paged_attention_v2_kernelIfhLi112ELi16ELi128ELNS_18Fp8KVCacheDataTypeE1ELb1ELi512EEEvPfS2_PT_PKS3_PKT0_S9_ifPKiSB_iPKfiiiSD_SD_iiiii.kd
    .uniform_work_group_size: 1
    .uses_dynamic_stack: false
    .vgpr_count:     85
    .vgpr_spill_count: 0
    .wavefront_size: 64
  - .agpr_count:     0
    .args:
      - .actual_access:  write_only
        .address_space:  global
        .offset:         0
        .size:           8
        .value_kind:     global_buffer
      - .actual_access:  write_only
        .address_space:  global
        .offset:         8
        .size:           8
        .value_kind:     global_buffer
      - .actual_access:  write_only
        .address_space:  global
        .offset:         16
        .size:           8
        .value_kind:     global_buffer
      - .actual_access:  read_only
        .address_space:  global
        .offset:         24
        .size:           8
        .value_kind:     global_buffer
      - .actual_access:  read_only
        .address_space:  global
        .offset:         32
        .size:           8
        .value_kind:     global_buffer
      - .actual_access:  read_only
        .address_space:  global
        .offset:         40
        .size:           8
        .value_kind:     global_buffer
      - .offset:         48
        .size:           4
        .value_kind:     by_value
      - .offset:         52
        .size:           4
        .value_kind:     by_value
      - .actual_access:  read_only
        .address_space:  global
        .offset:         56
        .size:           8
        .value_kind:     global_buffer
      - .actual_access:  read_only
        .address_space:  global
        .offset:         64
        .size:           8
        .value_kind:     global_buffer
      - .offset:         72
        .size:           4
        .value_kind:     by_value
      - .actual_access:  read_only
        .address_space:  global
        .offset:         80
        .size:           8
        .value_kind:     global_buffer
      - .offset:         88
        .size:           4
        .value_kind:     by_value
      - .offset:         92
        .size:           4
        .value_kind:     by_value
      - .offset:         96
        .size:           4
        .value_kind:     by_value
      - .address_space:  global
        .offset:         104
        .size:           8
        .value_kind:     global_buffer
      - .address_space:  global
        .offset:         112
        .size:           8
        .value_kind:     global_buffer
      - .offset:         120
        .size:           4
        .value_kind:     by_value
      - .offset:         124
        .size:           4
        .value_kind:     by_value
      - .offset:         128
        .size:           4
        .value_kind:     by_value
      - .offset:         132
        .size:           4
        .value_kind:     by_value
      - .offset:         136
        .size:           4
        .value_kind:     by_value
      - .offset:         144
        .size:           4
        .value_kind:     hidden_block_count_x
      - .offset:         148
        .size:           4
        .value_kind:     hidden_block_count_y
      - .offset:         152
        .size:           4
        .value_kind:     hidden_block_count_z
      - .offset:         156
        .size:           2
        .value_kind:     hidden_group_size_x
      - .offset:         158
        .size:           2
        .value_kind:     hidden_group_size_y
      - .offset:         160
        .size:           2
        .value_kind:     hidden_group_size_z
      - .offset:         162
        .size:           2
        .value_kind:     hidden_remainder_x
      - .offset:         164
        .size:           2
        .value_kind:     hidden_remainder_y
      - .offset:         166
        .size:           2
        .value_kind:     hidden_remainder_z
      - .offset:         184
        .size:           8
        .value_kind:     hidden_global_offset_x
      - .offset:         192
        .size:           8
        .value_kind:     hidden_global_offset_y
      - .offset:         200
        .size:           8
        .value_kind:     hidden_global_offset_z
      - .offset:         208
        .size:           2
        .value_kind:     hidden_grid_dims
      - .offset:         264
        .size:           4
        .value_kind:     hidden_dynamic_lds_size
    .group_segment_fixed_size: 496
    .kernarg_segment_align: 8
    .kernarg_segment_size: 400
    .language:       OpenCL C
    .language_version:
      - 2
      - 0
    .max_flat_workgroup_size: 1024
    .name:           _ZN4vllm25paged_attention_v2_kernelIfhLi120ELi16ELi128ELNS_18Fp8KVCacheDataTypeE1ELb1ELi512EEEvPfS2_PT_PKS3_PKT0_S9_ifPKiSB_iPKfiiiSD_SD_iiiii
    .private_segment_fixed_size: 0
    .sgpr_count:     62
    .sgpr_spill_count: 0
    .symbol:         _ZN4vllm25paged_attention_v2_kernelIfhLi120ELi16ELi128ELNS_18Fp8KVCacheDataTypeE1ELb1ELi512EEEvPfS2_PT_PKS3_PKT0_S9_ifPKiSB_iPKfiiiSD_SD_iiiii.kd
    .uniform_work_group_size: 1
    .uses_dynamic_stack: false
    .vgpr_count:     89
    .vgpr_spill_count: 0
    .wavefront_size: 64
  - .agpr_count:     0
    .args:
      - .actual_access:  write_only
        .address_space:  global
        .offset:         0
        .size:           8
        .value_kind:     global_buffer
      - .actual_access:  write_only
        .address_space:  global
        .offset:         8
        .size:           8
        .value_kind:     global_buffer
      - .actual_access:  write_only
        .address_space:  global
        .offset:         16
        .size:           8
        .value_kind:     global_buffer
      - .actual_access:  read_only
        .address_space:  global
        .offset:         24
        .size:           8
        .value_kind:     global_buffer
      - .actual_access:  read_only
        .address_space:  global
        .offset:         32
        .size:           8
        .value_kind:     global_buffer
      - .actual_access:  read_only
        .address_space:  global
        .offset:         40
        .size:           8
        .value_kind:     global_buffer
      - .offset:         48
        .size:           4
        .value_kind:     by_value
      - .offset:         52
        .size:           4
        .value_kind:     by_value
      - .actual_access:  read_only
        .address_space:  global
        .offset:         56
        .size:           8
        .value_kind:     global_buffer
      - .actual_access:  read_only
        .address_space:  global
        .offset:         64
        .size:           8
        .value_kind:     global_buffer
      - .offset:         72
        .size:           4
        .value_kind:     by_value
      - .actual_access:  read_only
        .address_space:  global
        .offset:         80
        .size:           8
        .value_kind:     global_buffer
      - .offset:         88
        .size:           4
        .value_kind:     by_value
      - .offset:         92
        .size:           4
        .value_kind:     by_value
      - .offset:         96
        .size:           4
        .value_kind:     by_value
      - .address_space:  global
        .offset:         104
        .size:           8
        .value_kind:     global_buffer
      - .address_space:  global
        .offset:         112
        .size:           8
        .value_kind:     global_buffer
      - .offset:         120
        .size:           4
        .value_kind:     by_value
      - .offset:         124
        .size:           4
        .value_kind:     by_value
      - .offset:         128
        .size:           4
        .value_kind:     by_value
      - .offset:         132
        .size:           4
        .value_kind:     by_value
      - .offset:         136
        .size:           4
        .value_kind:     by_value
      - .offset:         144
        .size:           4
        .value_kind:     hidden_block_count_x
      - .offset:         148
        .size:           4
        .value_kind:     hidden_block_count_y
      - .offset:         152
        .size:           4
        .value_kind:     hidden_block_count_z
      - .offset:         156
        .size:           2
        .value_kind:     hidden_group_size_x
      - .offset:         158
        .size:           2
        .value_kind:     hidden_group_size_y
      - .offset:         160
        .size:           2
        .value_kind:     hidden_group_size_z
      - .offset:         162
        .size:           2
        .value_kind:     hidden_remainder_x
      - .offset:         164
        .size:           2
        .value_kind:     hidden_remainder_y
      - .offset:         166
        .size:           2
        .value_kind:     hidden_remainder_z
      - .offset:         184
        .size:           8
        .value_kind:     hidden_global_offset_x
      - .offset:         192
        .size:           8
        .value_kind:     hidden_global_offset_y
      - .offset:         200
        .size:           8
        .value_kind:     hidden_global_offset_z
      - .offset:         208
        .size:           2
        .value_kind:     hidden_grid_dims
      - .offset:         264
        .size:           4
        .value_kind:     hidden_dynamic_lds_size
    .group_segment_fixed_size: 528
    .kernarg_segment_align: 8
    .kernarg_segment_size: 400
    .language:       OpenCL C
    .language_version:
      - 2
      - 0
    .max_flat_workgroup_size: 1024
    .name:           _ZN4vllm25paged_attention_v2_kernelIfhLi128ELi16ELi128ELNS_18Fp8KVCacheDataTypeE1ELb1ELi512EEEvPfS2_PT_PKS3_PKT0_S9_ifPKiSB_iPKfiiiSD_SD_iiiii
    .private_segment_fixed_size: 0
    .sgpr_count:     62
    .sgpr_spill_count: 0
    .symbol:         _ZN4vllm25paged_attention_v2_kernelIfhLi128ELi16ELi128ELNS_18Fp8KVCacheDataTypeE1ELb1ELi512EEEvPfS2_PT_PKS3_PKT0_S9_ifPKiSB_iPKfiiiSD_SD_iiiii.kd
    .uniform_work_group_size: 1
    .uses_dynamic_stack: false
    .vgpr_count:     93
    .vgpr_spill_count: 0
    .wavefront_size: 64
  - .agpr_count:     0
    .args:
      - .actual_access:  write_only
        .address_space:  global
        .offset:         0
        .size:           8
        .value_kind:     global_buffer
      - .actual_access:  write_only
        .address_space:  global
        .offset:         8
        .size:           8
        .value_kind:     global_buffer
      - .actual_access:  write_only
        .address_space:  global
        .offset:         16
        .size:           8
        .value_kind:     global_buffer
      - .actual_access:  read_only
        .address_space:  global
        .offset:         24
        .size:           8
        .value_kind:     global_buffer
      - .actual_access:  read_only
        .address_space:  global
        .offset:         32
        .size:           8
        .value_kind:     global_buffer
      - .actual_access:  read_only
        .address_space:  global
        .offset:         40
        .size:           8
        .value_kind:     global_buffer
      - .offset:         48
        .size:           4
        .value_kind:     by_value
      - .offset:         52
        .size:           4
        .value_kind:     by_value
      - .actual_access:  read_only
        .address_space:  global
        .offset:         56
        .size:           8
        .value_kind:     global_buffer
      - .actual_access:  read_only
        .address_space:  global
        .offset:         64
        .size:           8
        .value_kind:     global_buffer
      - .offset:         72
        .size:           4
        .value_kind:     by_value
      - .actual_access:  read_only
        .address_space:  global
        .offset:         80
        .size:           8
        .value_kind:     global_buffer
      - .offset:         88
        .size:           4
        .value_kind:     by_value
      - .offset:         92
        .size:           4
        .value_kind:     by_value
      - .offset:         96
        .size:           4
        .value_kind:     by_value
      - .address_space:  global
        .offset:         104
        .size:           8
        .value_kind:     global_buffer
      - .address_space:  global
        .offset:         112
        .size:           8
        .value_kind:     global_buffer
      - .offset:         120
        .size:           4
        .value_kind:     by_value
      - .offset:         124
        .size:           4
        .value_kind:     by_value
      - .offset:         128
        .size:           4
        .value_kind:     by_value
      - .offset:         132
        .size:           4
        .value_kind:     by_value
      - .offset:         136
        .size:           4
        .value_kind:     by_value
      - .offset:         144
        .size:           4
        .value_kind:     hidden_block_count_x
      - .offset:         148
        .size:           4
        .value_kind:     hidden_block_count_y
      - .offset:         152
        .size:           4
        .value_kind:     hidden_block_count_z
      - .offset:         156
        .size:           2
        .value_kind:     hidden_group_size_x
      - .offset:         158
        .size:           2
        .value_kind:     hidden_group_size_y
      - .offset:         160
        .size:           2
        .value_kind:     hidden_group_size_z
      - .offset:         162
        .size:           2
        .value_kind:     hidden_remainder_x
      - .offset:         164
        .size:           2
        .value_kind:     hidden_remainder_y
      - .offset:         166
        .size:           2
        .value_kind:     hidden_remainder_z
      - .offset:         184
        .size:           8
        .value_kind:     hidden_global_offset_x
      - .offset:         192
        .size:           8
        .value_kind:     hidden_global_offset_y
      - .offset:         200
        .size:           8
        .value_kind:     hidden_global_offset_z
      - .offset:         208
        .size:           2
        .value_kind:     hidden_grid_dims
      - .offset:         264
        .size:           4
        .value_kind:     hidden_dynamic_lds_size
    .group_segment_fixed_size: 784
    .kernarg_segment_align: 8
    .kernarg_segment_size: 400
    .language:       OpenCL C
    .language_version:
      - 2
      - 0
    .max_flat_workgroup_size: 1024
    .name:           _ZN4vllm25paged_attention_v2_kernelIfhLi192ELi16ELi128ELNS_18Fp8KVCacheDataTypeE1ELb1ELi512EEEvPfS2_PT_PKS3_PKT0_S9_ifPKiSB_iPKfiiiSD_SD_iiiii
    .private_segment_fixed_size: 0
    .sgpr_count:     62
    .sgpr_spill_count: 0
    .symbol:         _ZN4vllm25paged_attention_v2_kernelIfhLi192ELi16ELi128ELNS_18Fp8KVCacheDataTypeE1ELb1ELi512EEEvPfS2_PT_PKS3_PKT0_S9_ifPKiSB_iPKfiiiSD_SD_iiiii.kd
    .uniform_work_group_size: 1
    .uses_dynamic_stack: false
    .vgpr_count:     108
    .vgpr_spill_count: 0
    .wavefront_size: 64
  - .agpr_count:     0
    .args:
      - .actual_access:  write_only
        .address_space:  global
        .offset:         0
        .size:           8
        .value_kind:     global_buffer
      - .actual_access:  write_only
        .address_space:  global
        .offset:         8
        .size:           8
        .value_kind:     global_buffer
      - .actual_access:  write_only
        .address_space:  global
        .offset:         16
        .size:           8
        .value_kind:     global_buffer
      - .actual_access:  read_only
        .address_space:  global
        .offset:         24
        .size:           8
        .value_kind:     global_buffer
      - .actual_access:  read_only
        .address_space:  global
        .offset:         32
        .size:           8
        .value_kind:     global_buffer
      - .actual_access:  read_only
        .address_space:  global
        .offset:         40
        .size:           8
        .value_kind:     global_buffer
      - .offset:         48
        .size:           4
        .value_kind:     by_value
      - .offset:         52
        .size:           4
        .value_kind:     by_value
      - .actual_access:  read_only
        .address_space:  global
        .offset:         56
        .size:           8
        .value_kind:     global_buffer
      - .actual_access:  read_only
        .address_space:  global
        .offset:         64
        .size:           8
        .value_kind:     global_buffer
      - .offset:         72
        .size:           4
        .value_kind:     by_value
      - .actual_access:  read_only
        .address_space:  global
        .offset:         80
        .size:           8
        .value_kind:     global_buffer
      - .offset:         88
        .size:           4
        .value_kind:     by_value
      - .offset:         92
        .size:           4
        .value_kind:     by_value
      - .offset:         96
        .size:           4
        .value_kind:     by_value
      - .address_space:  global
        .offset:         104
        .size:           8
        .value_kind:     global_buffer
      - .address_space:  global
        .offset:         112
        .size:           8
        .value_kind:     global_buffer
      - .offset:         120
        .size:           4
        .value_kind:     by_value
      - .offset:         124
        .size:           4
        .value_kind:     by_value
      - .offset:         128
        .size:           4
        .value_kind:     by_value
      - .offset:         132
        .size:           4
        .value_kind:     by_value
      - .offset:         136
        .size:           4
        .value_kind:     by_value
      - .offset:         144
        .size:           4
        .value_kind:     hidden_block_count_x
      - .offset:         148
        .size:           4
        .value_kind:     hidden_block_count_y
      - .offset:         152
        .size:           4
        .value_kind:     hidden_block_count_z
      - .offset:         156
        .size:           2
        .value_kind:     hidden_group_size_x
      - .offset:         158
        .size:           2
        .value_kind:     hidden_group_size_y
      - .offset:         160
        .size:           2
        .value_kind:     hidden_group_size_z
      - .offset:         162
        .size:           2
        .value_kind:     hidden_remainder_x
      - .offset:         164
        .size:           2
        .value_kind:     hidden_remainder_y
      - .offset:         166
        .size:           2
        .value_kind:     hidden_remainder_z
      - .offset:         184
        .size:           8
        .value_kind:     hidden_global_offset_x
      - .offset:         192
        .size:           8
        .value_kind:     hidden_global_offset_y
      - .offset:         200
        .size:           8
        .value_kind:     hidden_global_offset_z
      - .offset:         208
        .size:           2
        .value_kind:     hidden_grid_dims
      - .offset:         264
        .size:           4
        .value_kind:     hidden_dynamic_lds_size
    .group_segment_fixed_size: 1040
    .kernarg_segment_align: 8
    .kernarg_segment_size: 400
    .language:       OpenCL C
    .language_version:
      - 2
      - 0
    .max_flat_workgroup_size: 1024
    .name:           _ZN4vllm25paged_attention_v2_kernelIfhLi256ELi16ELi128ELNS_18Fp8KVCacheDataTypeE1ELb1ELi512EEEvPfS2_PT_PKS3_PKT0_S9_ifPKiSB_iPKfiiiSD_SD_iiiii
    .private_segment_fixed_size: 0
    .sgpr_count:     62
    .sgpr_spill_count: 0
    .symbol:         _ZN4vllm25paged_attention_v2_kernelIfhLi256ELi16ELi128ELNS_18Fp8KVCacheDataTypeE1ELb1ELi512EEEvPfS2_PT_PKS3_PKT0_S9_ifPKiSB_iPKfiiiSD_SD_iiiii.kd
    .uniform_work_group_size: 1
    .uses_dynamic_stack: false
    .vgpr_count:     108
    .vgpr_spill_count: 0
    .wavefront_size: 64
  - .agpr_count:     0
    .args:
      - .actual_access:  write_only
        .address_space:  global
        .offset:         0
        .size:           8
        .value_kind:     global_buffer
      - .actual_access:  write_only
        .address_space:  global
        .offset:         8
        .size:           8
        .value_kind:     global_buffer
      - .actual_access:  write_only
        .address_space:  global
        .offset:         16
        .size:           8
        .value_kind:     global_buffer
      - .actual_access:  read_only
        .address_space:  global
        .offset:         24
        .size:           8
        .value_kind:     global_buffer
      - .actual_access:  read_only
        .address_space:  global
        .offset:         32
        .size:           8
        .value_kind:     global_buffer
      - .actual_access:  read_only
        .address_space:  global
        .offset:         40
        .size:           8
        .value_kind:     global_buffer
      - .offset:         48
        .size:           4
        .value_kind:     by_value
      - .offset:         52
        .size:           4
        .value_kind:     by_value
      - .actual_access:  read_only
        .address_space:  global
        .offset:         56
        .size:           8
        .value_kind:     global_buffer
      - .actual_access:  read_only
        .address_space:  global
        .offset:         64
        .size:           8
        .value_kind:     global_buffer
      - .offset:         72
        .size:           4
        .value_kind:     by_value
      - .actual_access:  read_only
        .address_space:  global
        .offset:         80
        .size:           8
        .value_kind:     global_buffer
      - .offset:         88
        .size:           4
        .value_kind:     by_value
      - .offset:         92
        .size:           4
        .value_kind:     by_value
      - .offset:         96
        .size:           4
        .value_kind:     by_value
      - .address_space:  global
        .offset:         104
        .size:           8
        .value_kind:     global_buffer
      - .address_space:  global
        .offset:         112
        .size:           8
        .value_kind:     global_buffer
      - .offset:         120
        .size:           4
        .value_kind:     by_value
      - .offset:         124
        .size:           4
        .value_kind:     by_value
      - .offset:         128
        .size:           4
        .value_kind:     by_value
      - .offset:         132
        .size:           4
        .value_kind:     by_value
      - .offset:         136
        .size:           4
        .value_kind:     by_value
      - .offset:         144
        .size:           4
        .value_kind:     hidden_block_count_x
      - .offset:         148
        .size:           4
        .value_kind:     hidden_block_count_y
      - .offset:         152
        .size:           4
        .value_kind:     hidden_block_count_z
      - .offset:         156
        .size:           2
        .value_kind:     hidden_group_size_x
      - .offset:         158
        .size:           2
        .value_kind:     hidden_group_size_y
      - .offset:         160
        .size:           2
        .value_kind:     hidden_group_size_z
      - .offset:         162
        .size:           2
        .value_kind:     hidden_remainder_x
      - .offset:         164
        .size:           2
        .value_kind:     hidden_remainder_y
      - .offset:         166
        .size:           2
        .value_kind:     hidden_remainder_z
      - .offset:         184
        .size:           8
        .value_kind:     hidden_global_offset_x
      - .offset:         192
        .size:           8
        .value_kind:     hidden_global_offset_y
      - .offset:         200
        .size:           8
        .value_kind:     hidden_global_offset_z
      - .offset:         208
        .size:           2
        .value_kind:     hidden_grid_dims
      - .offset:         264
        .size:           4
        .value_kind:     hidden_dynamic_lds_size
    .group_segment_fixed_size: 144
    .kernarg_segment_align: 8
    .kernarg_segment_size: 400
    .language:       OpenCL C
    .language_version:
      - 2
      - 0
    .max_flat_workgroup_size: 1024
    .name:           _ZN4vllm25paged_attention_v2_kernelIfhLi32ELi16ELi128ELNS_18Fp8KVCacheDataTypeE1ELb0ELi512EEEvPfS2_PT_PKS3_PKT0_S9_ifPKiSB_iPKfiiiSD_SD_iiiii
    .private_segment_fixed_size: 0
    .sgpr_count:     51
    .sgpr_spill_count: 0
    .symbol:         _ZN4vllm25paged_attention_v2_kernelIfhLi32ELi16ELi128ELNS_18Fp8KVCacheDataTypeE1ELb0ELi512EEEvPfS2_PT_PKS3_PKT0_S9_ifPKiSB_iPKfiiiSD_SD_iiiii.kd
    .uniform_work_group_size: 1
    .uses_dynamic_stack: false
    .vgpr_count:     39
    .vgpr_spill_count: 0
    .wavefront_size: 64
  - .agpr_count:     0
    .args:
      - .actual_access:  write_only
        .address_space:  global
        .offset:         0
        .size:           8
        .value_kind:     global_buffer
      - .actual_access:  write_only
        .address_space:  global
        .offset:         8
        .size:           8
        .value_kind:     global_buffer
      - .actual_access:  write_only
        .address_space:  global
        .offset:         16
        .size:           8
        .value_kind:     global_buffer
      - .actual_access:  read_only
        .address_space:  global
        .offset:         24
        .size:           8
        .value_kind:     global_buffer
      - .actual_access:  read_only
        .address_space:  global
        .offset:         32
        .size:           8
        .value_kind:     global_buffer
      - .actual_access:  read_only
        .address_space:  global
        .offset:         40
        .size:           8
        .value_kind:     global_buffer
      - .offset:         48
        .size:           4
        .value_kind:     by_value
      - .offset:         52
        .size:           4
        .value_kind:     by_value
      - .actual_access:  read_only
        .address_space:  global
        .offset:         56
        .size:           8
        .value_kind:     global_buffer
      - .actual_access:  read_only
        .address_space:  global
        .offset:         64
        .size:           8
        .value_kind:     global_buffer
      - .offset:         72
        .size:           4
        .value_kind:     by_value
      - .actual_access:  read_only
        .address_space:  global
        .offset:         80
        .size:           8
        .value_kind:     global_buffer
      - .offset:         88
        .size:           4
        .value_kind:     by_value
      - .offset:         92
        .size:           4
        .value_kind:     by_value
      - .offset:         96
        .size:           4
        .value_kind:     by_value
      - .address_space:  global
        .offset:         104
        .size:           8
        .value_kind:     global_buffer
      - .address_space:  global
        .offset:         112
        .size:           8
        .value_kind:     global_buffer
      - .offset:         120
        .size:           4
        .value_kind:     by_value
      - .offset:         124
        .size:           4
        .value_kind:     by_value
      - .offset:         128
        .size:           4
        .value_kind:     by_value
      - .offset:         132
        .size:           4
        .value_kind:     by_value
      - .offset:         136
        .size:           4
        .value_kind:     by_value
      - .offset:         144
        .size:           4
        .value_kind:     hidden_block_count_x
      - .offset:         148
        .size:           4
        .value_kind:     hidden_block_count_y
      - .offset:         152
        .size:           4
        .value_kind:     hidden_block_count_z
      - .offset:         156
        .size:           2
        .value_kind:     hidden_group_size_x
      - .offset:         158
        .size:           2
        .value_kind:     hidden_group_size_y
      - .offset:         160
        .size:           2
        .value_kind:     hidden_group_size_z
      - .offset:         162
        .size:           2
        .value_kind:     hidden_remainder_x
      - .offset:         164
        .size:           2
        .value_kind:     hidden_remainder_y
      - .offset:         166
        .size:           2
        .value_kind:     hidden_remainder_z
      - .offset:         184
        .size:           8
        .value_kind:     hidden_global_offset_x
      - .offset:         192
        .size:           8
        .value_kind:     hidden_global_offset_y
      - .offset:         200
        .size:           8
        .value_kind:     hidden_global_offset_z
      - .offset:         208
        .size:           2
        .value_kind:     hidden_grid_dims
      - .offset:         264
        .size:           4
        .value_kind:     hidden_dynamic_lds_size
    .group_segment_fixed_size: 272
    .kernarg_segment_align: 8
    .kernarg_segment_size: 400
    .language:       OpenCL C
    .language_version:
      - 2
      - 0
    .max_flat_workgroup_size: 1024
    .name:           _ZN4vllm25paged_attention_v2_kernelIfhLi64ELi16ELi128ELNS_18Fp8KVCacheDataTypeE1ELb0ELi512EEEvPfS2_PT_PKS3_PKT0_S9_ifPKiSB_iPKfiiiSD_SD_iiiii
    .private_segment_fixed_size: 0
    .sgpr_count:     53
    .sgpr_spill_count: 0
    .symbol:         _ZN4vllm25paged_attention_v2_kernelIfhLi64ELi16ELi128ELNS_18Fp8KVCacheDataTypeE1ELb0ELi512EEEvPfS2_PT_PKS3_PKT0_S9_ifPKiSB_iPKfiiiSD_SD_iiiii.kd
    .uniform_work_group_size: 1
    .uses_dynamic_stack: false
    .vgpr_count:     54
    .vgpr_spill_count: 0
    .wavefront_size: 64
  - .agpr_count:     0
    .args:
      - .actual_access:  write_only
        .address_space:  global
        .offset:         0
        .size:           8
        .value_kind:     global_buffer
      - .actual_access:  write_only
        .address_space:  global
        .offset:         8
        .size:           8
        .value_kind:     global_buffer
      - .actual_access:  write_only
        .address_space:  global
        .offset:         16
        .size:           8
        .value_kind:     global_buffer
      - .actual_access:  read_only
        .address_space:  global
        .offset:         24
        .size:           8
        .value_kind:     global_buffer
      - .actual_access:  read_only
        .address_space:  global
        .offset:         32
        .size:           8
        .value_kind:     global_buffer
      - .actual_access:  read_only
        .address_space:  global
        .offset:         40
        .size:           8
        .value_kind:     global_buffer
      - .offset:         48
        .size:           4
        .value_kind:     by_value
      - .offset:         52
        .size:           4
        .value_kind:     by_value
      - .actual_access:  read_only
        .address_space:  global
        .offset:         56
        .size:           8
        .value_kind:     global_buffer
      - .actual_access:  read_only
        .address_space:  global
        .offset:         64
        .size:           8
        .value_kind:     global_buffer
      - .offset:         72
        .size:           4
        .value_kind:     by_value
      - .actual_access:  read_only
        .address_space:  global
        .offset:         80
        .size:           8
        .value_kind:     global_buffer
      - .offset:         88
        .size:           4
        .value_kind:     by_value
      - .offset:         92
        .size:           4
        .value_kind:     by_value
      - .offset:         96
        .size:           4
        .value_kind:     by_value
      - .address_space:  global
        .offset:         104
        .size:           8
        .value_kind:     global_buffer
      - .address_space:  global
        .offset:         112
        .size:           8
        .value_kind:     global_buffer
      - .offset:         120
        .size:           4
        .value_kind:     by_value
      - .offset:         124
        .size:           4
        .value_kind:     by_value
      - .offset:         128
        .size:           4
        .value_kind:     by_value
      - .offset:         132
        .size:           4
        .value_kind:     by_value
      - .offset:         136
        .size:           4
        .value_kind:     by_value
      - .offset:         144
        .size:           4
        .value_kind:     hidden_block_count_x
      - .offset:         148
        .size:           4
        .value_kind:     hidden_block_count_y
      - .offset:         152
        .size:           4
        .value_kind:     hidden_block_count_z
      - .offset:         156
        .size:           2
        .value_kind:     hidden_group_size_x
      - .offset:         158
        .size:           2
        .value_kind:     hidden_group_size_y
      - .offset:         160
        .size:           2
        .value_kind:     hidden_group_size_z
      - .offset:         162
        .size:           2
        .value_kind:     hidden_remainder_x
      - .offset:         164
        .size:           2
        .value_kind:     hidden_remainder_y
      - .offset:         166
        .size:           2
        .value_kind:     hidden_remainder_z
      - .offset:         184
        .size:           8
        .value_kind:     hidden_global_offset_x
      - .offset:         192
        .size:           8
        .value_kind:     hidden_global_offset_y
      - .offset:         200
        .size:           8
        .value_kind:     hidden_global_offset_z
      - .offset:         208
        .size:           2
        .value_kind:     hidden_grid_dims
      - .offset:         264
        .size:           4
        .value_kind:     hidden_dynamic_lds_size
    .group_segment_fixed_size: 336
    .kernarg_segment_align: 8
    .kernarg_segment_size: 400
    .language:       OpenCL C
    .language_version:
      - 2
      - 0
    .max_flat_workgroup_size: 1024
    .name:           _ZN4vllm25paged_attention_v2_kernelIfhLi80ELi16ELi128ELNS_18Fp8KVCacheDataTypeE1ELb0ELi512EEEvPfS2_PT_PKS3_PKT0_S9_ifPKiSB_iPKfiiiSD_SD_iiiii
    .private_segment_fixed_size: 0
    .sgpr_count:     51
    .sgpr_spill_count: 0
    .symbol:         _ZN4vllm25paged_attention_v2_kernelIfhLi80ELi16ELi128ELNS_18Fp8KVCacheDataTypeE1ELb0ELi512EEEvPfS2_PT_PKS3_PKT0_S9_ifPKiSB_iPKfiiiSD_SD_iiiii.kd
    .uniform_work_group_size: 1
    .uses_dynamic_stack: false
    .vgpr_count:     63
    .vgpr_spill_count: 0
    .wavefront_size: 64
  - .agpr_count:     0
    .args:
      - .actual_access:  write_only
        .address_space:  global
        .offset:         0
        .size:           8
        .value_kind:     global_buffer
      - .actual_access:  write_only
        .address_space:  global
        .offset:         8
        .size:           8
        .value_kind:     global_buffer
      - .actual_access:  write_only
        .address_space:  global
        .offset:         16
        .size:           8
        .value_kind:     global_buffer
      - .actual_access:  read_only
        .address_space:  global
        .offset:         24
        .size:           8
        .value_kind:     global_buffer
      - .actual_access:  read_only
        .address_space:  global
        .offset:         32
        .size:           8
        .value_kind:     global_buffer
      - .actual_access:  read_only
        .address_space:  global
        .offset:         40
        .size:           8
        .value_kind:     global_buffer
      - .offset:         48
        .size:           4
        .value_kind:     by_value
      - .offset:         52
        .size:           4
        .value_kind:     by_value
      - .actual_access:  read_only
        .address_space:  global
        .offset:         56
        .size:           8
        .value_kind:     global_buffer
      - .actual_access:  read_only
        .address_space:  global
        .offset:         64
        .size:           8
        .value_kind:     global_buffer
      - .offset:         72
        .size:           4
        .value_kind:     by_value
      - .actual_access:  read_only
        .address_space:  global
        .offset:         80
        .size:           8
        .value_kind:     global_buffer
      - .offset:         88
        .size:           4
        .value_kind:     by_value
      - .offset:         92
        .size:           4
        .value_kind:     by_value
      - .offset:         96
        .size:           4
        .value_kind:     by_value
      - .address_space:  global
        .offset:         104
        .size:           8
        .value_kind:     global_buffer
      - .address_space:  global
        .offset:         112
        .size:           8
        .value_kind:     global_buffer
      - .offset:         120
        .size:           4
        .value_kind:     by_value
      - .offset:         124
        .size:           4
        .value_kind:     by_value
      - .offset:         128
        .size:           4
        .value_kind:     by_value
      - .offset:         132
        .size:           4
        .value_kind:     by_value
      - .offset:         136
        .size:           4
        .value_kind:     by_value
      - .offset:         144
        .size:           4
        .value_kind:     hidden_block_count_x
      - .offset:         148
        .size:           4
        .value_kind:     hidden_block_count_y
      - .offset:         152
        .size:           4
        .value_kind:     hidden_block_count_z
      - .offset:         156
        .size:           2
        .value_kind:     hidden_group_size_x
      - .offset:         158
        .size:           2
        .value_kind:     hidden_group_size_y
      - .offset:         160
        .size:           2
        .value_kind:     hidden_group_size_z
      - .offset:         162
        .size:           2
        .value_kind:     hidden_remainder_x
      - .offset:         164
        .size:           2
        .value_kind:     hidden_remainder_y
      - .offset:         166
        .size:           2
        .value_kind:     hidden_remainder_z
      - .offset:         184
        .size:           8
        .value_kind:     hidden_global_offset_x
      - .offset:         192
        .size:           8
        .value_kind:     hidden_global_offset_y
      - .offset:         200
        .size:           8
        .value_kind:     hidden_global_offset_z
      - .offset:         208
        .size:           2
        .value_kind:     hidden_grid_dims
      - .offset:         264
        .size:           4
        .value_kind:     hidden_dynamic_lds_size
    .group_segment_fixed_size: 400
    .kernarg_segment_align: 8
    .kernarg_segment_size: 400
    .language:       OpenCL C
    .language_version:
      - 2
      - 0
    .max_flat_workgroup_size: 1024
    .name:           _ZN4vllm25paged_attention_v2_kernelIfhLi96ELi16ELi128ELNS_18Fp8KVCacheDataTypeE1ELb0ELi512EEEvPfS2_PT_PKS3_PKT0_S9_ifPKiSB_iPKfiiiSD_SD_iiiii
    .private_segment_fixed_size: 0
    .sgpr_count:     51
    .sgpr_spill_count: 0
    .symbol:         _ZN4vllm25paged_attention_v2_kernelIfhLi96ELi16ELi128ELNS_18Fp8KVCacheDataTypeE1ELb0ELi512EEEvPfS2_PT_PKS3_PKT0_S9_ifPKiSB_iPKfiiiSD_SD_iiiii.kd
    .uniform_work_group_size: 1
    .uses_dynamic_stack: false
    .vgpr_count:     70
    .vgpr_spill_count: 0
    .wavefront_size: 64
  - .agpr_count:     0
    .args:
      - .actual_access:  write_only
        .address_space:  global
        .offset:         0
        .size:           8
        .value_kind:     global_buffer
      - .actual_access:  write_only
        .address_space:  global
        .offset:         8
        .size:           8
        .value_kind:     global_buffer
      - .actual_access:  write_only
        .address_space:  global
        .offset:         16
        .size:           8
        .value_kind:     global_buffer
      - .actual_access:  read_only
        .address_space:  global
        .offset:         24
        .size:           8
        .value_kind:     global_buffer
      - .actual_access:  read_only
        .address_space:  global
        .offset:         32
        .size:           8
        .value_kind:     global_buffer
      - .actual_access:  read_only
        .address_space:  global
        .offset:         40
        .size:           8
        .value_kind:     global_buffer
      - .offset:         48
        .size:           4
        .value_kind:     by_value
      - .offset:         52
        .size:           4
        .value_kind:     by_value
      - .actual_access:  read_only
        .address_space:  global
        .offset:         56
        .size:           8
        .value_kind:     global_buffer
      - .actual_access:  read_only
        .address_space:  global
        .offset:         64
        .size:           8
        .value_kind:     global_buffer
      - .offset:         72
        .size:           4
        .value_kind:     by_value
      - .actual_access:  read_only
        .address_space:  global
        .offset:         80
        .size:           8
        .value_kind:     global_buffer
      - .offset:         88
        .size:           4
        .value_kind:     by_value
      - .offset:         92
        .size:           4
        .value_kind:     by_value
      - .offset:         96
        .size:           4
        .value_kind:     by_value
      - .address_space:  global
        .offset:         104
        .size:           8
        .value_kind:     global_buffer
      - .address_space:  global
        .offset:         112
        .size:           8
        .value_kind:     global_buffer
      - .offset:         120
        .size:           4
        .value_kind:     by_value
      - .offset:         124
        .size:           4
        .value_kind:     by_value
      - .offset:         128
        .size:           4
        .value_kind:     by_value
      - .offset:         132
        .size:           4
        .value_kind:     by_value
      - .offset:         136
        .size:           4
        .value_kind:     by_value
      - .offset:         144
        .size:           4
        .value_kind:     hidden_block_count_x
      - .offset:         148
        .size:           4
        .value_kind:     hidden_block_count_y
      - .offset:         152
        .size:           4
        .value_kind:     hidden_block_count_z
      - .offset:         156
        .size:           2
        .value_kind:     hidden_group_size_x
      - .offset:         158
        .size:           2
        .value_kind:     hidden_group_size_y
      - .offset:         160
        .size:           2
        .value_kind:     hidden_group_size_z
      - .offset:         162
        .size:           2
        .value_kind:     hidden_remainder_x
      - .offset:         164
        .size:           2
        .value_kind:     hidden_remainder_y
      - .offset:         166
        .size:           2
        .value_kind:     hidden_remainder_z
      - .offset:         184
        .size:           8
        .value_kind:     hidden_global_offset_x
      - .offset:         192
        .size:           8
        .value_kind:     hidden_global_offset_y
      - .offset:         200
        .size:           8
        .value_kind:     hidden_global_offset_z
      - .offset:         208
        .size:           2
        .value_kind:     hidden_grid_dims
      - .offset:         264
        .size:           4
        .value_kind:     hidden_dynamic_lds_size
    .group_segment_fixed_size: 464
    .kernarg_segment_align: 8
    .kernarg_segment_size: 400
    .language:       OpenCL C
    .language_version:
      - 2
      - 0
    .max_flat_workgroup_size: 1024
    .name:           _ZN4vllm25paged_attention_v2_kernelIfhLi112ELi16ELi128ELNS_18Fp8KVCacheDataTypeE1ELb0ELi512EEEvPfS2_PT_PKS3_PKT0_S9_ifPKiSB_iPKfiiiSD_SD_iiiii
    .private_segment_fixed_size: 0
    .sgpr_count:     51
    .sgpr_spill_count: 0
    .symbol:         _ZN4vllm25paged_attention_v2_kernelIfhLi112ELi16ELi128ELNS_18Fp8KVCacheDataTypeE1ELb0ELi512EEEvPfS2_PT_PKS3_PKT0_S9_ifPKiSB_iPKfiiiSD_SD_iiiii.kd
    .uniform_work_group_size: 1
    .uses_dynamic_stack: false
    .vgpr_count:     78
    .vgpr_spill_count: 0
    .wavefront_size: 64
  - .agpr_count:     0
    .args:
      - .actual_access:  write_only
        .address_space:  global
        .offset:         0
        .size:           8
        .value_kind:     global_buffer
      - .actual_access:  write_only
        .address_space:  global
        .offset:         8
        .size:           8
        .value_kind:     global_buffer
      - .actual_access:  write_only
        .address_space:  global
        .offset:         16
        .size:           8
        .value_kind:     global_buffer
      - .actual_access:  read_only
        .address_space:  global
        .offset:         24
        .size:           8
        .value_kind:     global_buffer
      - .actual_access:  read_only
        .address_space:  global
        .offset:         32
        .size:           8
        .value_kind:     global_buffer
      - .actual_access:  read_only
        .address_space:  global
        .offset:         40
        .size:           8
        .value_kind:     global_buffer
      - .offset:         48
        .size:           4
        .value_kind:     by_value
      - .offset:         52
        .size:           4
        .value_kind:     by_value
      - .actual_access:  read_only
        .address_space:  global
        .offset:         56
        .size:           8
        .value_kind:     global_buffer
      - .actual_access:  read_only
        .address_space:  global
        .offset:         64
        .size:           8
        .value_kind:     global_buffer
      - .offset:         72
        .size:           4
        .value_kind:     by_value
      - .actual_access:  read_only
        .address_space:  global
        .offset:         80
        .size:           8
        .value_kind:     global_buffer
      - .offset:         88
        .size:           4
        .value_kind:     by_value
      - .offset:         92
        .size:           4
        .value_kind:     by_value
      - .offset:         96
        .size:           4
        .value_kind:     by_value
      - .address_space:  global
        .offset:         104
        .size:           8
        .value_kind:     global_buffer
      - .address_space:  global
        .offset:         112
        .size:           8
        .value_kind:     global_buffer
      - .offset:         120
        .size:           4
        .value_kind:     by_value
      - .offset:         124
        .size:           4
        .value_kind:     by_value
      - .offset:         128
        .size:           4
        .value_kind:     by_value
      - .offset:         132
        .size:           4
        .value_kind:     by_value
      - .offset:         136
        .size:           4
        .value_kind:     by_value
      - .offset:         144
        .size:           4
        .value_kind:     hidden_block_count_x
      - .offset:         148
        .size:           4
        .value_kind:     hidden_block_count_y
      - .offset:         152
        .size:           4
        .value_kind:     hidden_block_count_z
      - .offset:         156
        .size:           2
        .value_kind:     hidden_group_size_x
      - .offset:         158
        .size:           2
        .value_kind:     hidden_group_size_y
      - .offset:         160
        .size:           2
        .value_kind:     hidden_group_size_z
      - .offset:         162
        .size:           2
        .value_kind:     hidden_remainder_x
      - .offset:         164
        .size:           2
        .value_kind:     hidden_remainder_y
      - .offset:         166
        .size:           2
        .value_kind:     hidden_remainder_z
      - .offset:         184
        .size:           8
        .value_kind:     hidden_global_offset_x
      - .offset:         192
        .size:           8
        .value_kind:     hidden_global_offset_y
      - .offset:         200
        .size:           8
        .value_kind:     hidden_global_offset_z
      - .offset:         208
        .size:           2
        .value_kind:     hidden_grid_dims
      - .offset:         264
        .size:           4
        .value_kind:     hidden_dynamic_lds_size
    .group_segment_fixed_size: 496
    .kernarg_segment_align: 8
    .kernarg_segment_size: 400
    .language:       OpenCL C
    .language_version:
      - 2
      - 0
    .max_flat_workgroup_size: 1024
    .name:           _ZN4vllm25paged_attention_v2_kernelIfhLi120ELi16ELi128ELNS_18Fp8KVCacheDataTypeE1ELb0ELi512EEEvPfS2_PT_PKS3_PKT0_S9_ifPKiSB_iPKfiiiSD_SD_iiiii
    .private_segment_fixed_size: 0
    .sgpr_count:     51
    .sgpr_spill_count: 0
    .symbol:         _ZN4vllm25paged_attention_v2_kernelIfhLi120ELi16ELi128ELNS_18Fp8KVCacheDataTypeE1ELb0ELi512EEEvPfS2_PT_PKS3_PKT0_S9_ifPKiSB_iPKfiiiSD_SD_iiiii.kd
    .uniform_work_group_size: 1
    .uses_dynamic_stack: false
    .vgpr_count:     82
    .vgpr_spill_count: 0
    .wavefront_size: 64
  - .agpr_count:     0
    .args:
      - .actual_access:  write_only
        .address_space:  global
        .offset:         0
        .size:           8
        .value_kind:     global_buffer
      - .actual_access:  write_only
        .address_space:  global
        .offset:         8
        .size:           8
        .value_kind:     global_buffer
      - .actual_access:  write_only
        .address_space:  global
        .offset:         16
        .size:           8
        .value_kind:     global_buffer
      - .actual_access:  read_only
        .address_space:  global
        .offset:         24
        .size:           8
        .value_kind:     global_buffer
      - .actual_access:  read_only
        .address_space:  global
        .offset:         32
        .size:           8
        .value_kind:     global_buffer
      - .actual_access:  read_only
        .address_space:  global
        .offset:         40
        .size:           8
        .value_kind:     global_buffer
      - .offset:         48
        .size:           4
        .value_kind:     by_value
      - .offset:         52
        .size:           4
        .value_kind:     by_value
      - .actual_access:  read_only
        .address_space:  global
        .offset:         56
        .size:           8
        .value_kind:     global_buffer
      - .actual_access:  read_only
        .address_space:  global
        .offset:         64
        .size:           8
        .value_kind:     global_buffer
      - .offset:         72
        .size:           4
        .value_kind:     by_value
      - .actual_access:  read_only
        .address_space:  global
        .offset:         80
        .size:           8
        .value_kind:     global_buffer
      - .offset:         88
        .size:           4
        .value_kind:     by_value
      - .offset:         92
        .size:           4
        .value_kind:     by_value
      - .offset:         96
        .size:           4
        .value_kind:     by_value
      - .address_space:  global
        .offset:         104
        .size:           8
        .value_kind:     global_buffer
      - .address_space:  global
        .offset:         112
        .size:           8
        .value_kind:     global_buffer
      - .offset:         120
        .size:           4
        .value_kind:     by_value
      - .offset:         124
        .size:           4
        .value_kind:     by_value
      - .offset:         128
        .size:           4
        .value_kind:     by_value
      - .offset:         132
        .size:           4
        .value_kind:     by_value
      - .offset:         136
        .size:           4
        .value_kind:     by_value
      - .offset:         144
        .size:           4
        .value_kind:     hidden_block_count_x
      - .offset:         148
        .size:           4
        .value_kind:     hidden_block_count_y
      - .offset:         152
        .size:           4
        .value_kind:     hidden_block_count_z
      - .offset:         156
        .size:           2
        .value_kind:     hidden_group_size_x
      - .offset:         158
        .size:           2
        .value_kind:     hidden_group_size_y
      - .offset:         160
        .size:           2
        .value_kind:     hidden_group_size_z
      - .offset:         162
        .size:           2
        .value_kind:     hidden_remainder_x
      - .offset:         164
        .size:           2
        .value_kind:     hidden_remainder_y
      - .offset:         166
        .size:           2
        .value_kind:     hidden_remainder_z
      - .offset:         184
        .size:           8
        .value_kind:     hidden_global_offset_x
      - .offset:         192
        .size:           8
        .value_kind:     hidden_global_offset_y
      - .offset:         200
        .size:           8
        .value_kind:     hidden_global_offset_z
      - .offset:         208
        .size:           2
        .value_kind:     hidden_grid_dims
      - .offset:         264
        .size:           4
        .value_kind:     hidden_dynamic_lds_size
    .group_segment_fixed_size: 528
    .kernarg_segment_align: 8
    .kernarg_segment_size: 400
    .language:       OpenCL C
    .language_version:
      - 2
      - 0
    .max_flat_workgroup_size: 1024
    .name:           _ZN4vllm25paged_attention_v2_kernelIfhLi128ELi16ELi128ELNS_18Fp8KVCacheDataTypeE1ELb0ELi512EEEvPfS2_PT_PKS3_PKT0_S9_ifPKiSB_iPKfiiiSD_SD_iiiii
    .private_segment_fixed_size: 0
    .sgpr_count:     51
    .sgpr_spill_count: 0
    .symbol:         _ZN4vllm25paged_attention_v2_kernelIfhLi128ELi16ELi128ELNS_18Fp8KVCacheDataTypeE1ELb0ELi512EEEvPfS2_PT_PKS3_PKT0_S9_ifPKiSB_iPKfiiiSD_SD_iiiii.kd
    .uniform_work_group_size: 1
    .uses_dynamic_stack: false
    .vgpr_count:     86
    .vgpr_spill_count: 0
    .wavefront_size: 64
  - .agpr_count:     0
    .args:
      - .actual_access:  write_only
        .address_space:  global
        .offset:         0
        .size:           8
        .value_kind:     global_buffer
      - .actual_access:  write_only
        .address_space:  global
        .offset:         8
        .size:           8
        .value_kind:     global_buffer
      - .actual_access:  write_only
        .address_space:  global
        .offset:         16
        .size:           8
        .value_kind:     global_buffer
      - .actual_access:  read_only
        .address_space:  global
        .offset:         24
        .size:           8
        .value_kind:     global_buffer
      - .actual_access:  read_only
        .address_space:  global
        .offset:         32
        .size:           8
        .value_kind:     global_buffer
      - .actual_access:  read_only
        .address_space:  global
        .offset:         40
        .size:           8
        .value_kind:     global_buffer
      - .offset:         48
        .size:           4
        .value_kind:     by_value
      - .offset:         52
        .size:           4
        .value_kind:     by_value
      - .actual_access:  read_only
        .address_space:  global
        .offset:         56
        .size:           8
        .value_kind:     global_buffer
      - .actual_access:  read_only
        .address_space:  global
        .offset:         64
        .size:           8
        .value_kind:     global_buffer
      - .offset:         72
        .size:           4
        .value_kind:     by_value
      - .actual_access:  read_only
        .address_space:  global
        .offset:         80
        .size:           8
        .value_kind:     global_buffer
      - .offset:         88
        .size:           4
        .value_kind:     by_value
      - .offset:         92
        .size:           4
        .value_kind:     by_value
      - .offset:         96
        .size:           4
        .value_kind:     by_value
      - .address_space:  global
        .offset:         104
        .size:           8
        .value_kind:     global_buffer
      - .address_space:  global
        .offset:         112
        .size:           8
        .value_kind:     global_buffer
      - .offset:         120
        .size:           4
        .value_kind:     by_value
      - .offset:         124
        .size:           4
        .value_kind:     by_value
      - .offset:         128
        .size:           4
        .value_kind:     by_value
      - .offset:         132
        .size:           4
        .value_kind:     by_value
      - .offset:         136
        .size:           4
        .value_kind:     by_value
      - .offset:         144
        .size:           4
        .value_kind:     hidden_block_count_x
      - .offset:         148
        .size:           4
        .value_kind:     hidden_block_count_y
      - .offset:         152
        .size:           4
        .value_kind:     hidden_block_count_z
      - .offset:         156
        .size:           2
        .value_kind:     hidden_group_size_x
      - .offset:         158
        .size:           2
        .value_kind:     hidden_group_size_y
      - .offset:         160
        .size:           2
        .value_kind:     hidden_group_size_z
      - .offset:         162
        .size:           2
        .value_kind:     hidden_remainder_x
      - .offset:         164
        .size:           2
        .value_kind:     hidden_remainder_y
      - .offset:         166
        .size:           2
        .value_kind:     hidden_remainder_z
      - .offset:         184
        .size:           8
        .value_kind:     hidden_global_offset_x
      - .offset:         192
        .size:           8
        .value_kind:     hidden_global_offset_y
      - .offset:         200
        .size:           8
        .value_kind:     hidden_global_offset_z
      - .offset:         208
        .size:           2
        .value_kind:     hidden_grid_dims
      - .offset:         264
        .size:           4
        .value_kind:     hidden_dynamic_lds_size
    .group_segment_fixed_size: 784
    .kernarg_segment_align: 8
    .kernarg_segment_size: 400
    .language:       OpenCL C
    .language_version:
      - 2
      - 0
    .max_flat_workgroup_size: 1024
    .name:           _ZN4vllm25paged_attention_v2_kernelIfhLi192ELi16ELi128ELNS_18Fp8KVCacheDataTypeE1ELb0ELi512EEEvPfS2_PT_PKS3_PKT0_S9_ifPKiSB_iPKfiiiSD_SD_iiiii
    .private_segment_fixed_size: 0
    .sgpr_count:     51
    .sgpr_spill_count: 0
    .symbol:         _ZN4vllm25paged_attention_v2_kernelIfhLi192ELi16ELi128ELNS_18Fp8KVCacheDataTypeE1ELb0ELi512EEEvPfS2_PT_PKS3_PKT0_S9_ifPKiSB_iPKfiiiSD_SD_iiiii.kd
    .uniform_work_group_size: 1
    .uses_dynamic_stack: false
    .vgpr_count:     117
    .vgpr_spill_count: 0
    .wavefront_size: 64
  - .agpr_count:     0
    .args:
      - .actual_access:  write_only
        .address_space:  global
        .offset:         0
        .size:           8
        .value_kind:     global_buffer
      - .actual_access:  write_only
        .address_space:  global
        .offset:         8
        .size:           8
        .value_kind:     global_buffer
      - .actual_access:  write_only
        .address_space:  global
        .offset:         16
        .size:           8
        .value_kind:     global_buffer
      - .actual_access:  read_only
        .address_space:  global
        .offset:         24
        .size:           8
        .value_kind:     global_buffer
      - .actual_access:  read_only
        .address_space:  global
        .offset:         32
        .size:           8
        .value_kind:     global_buffer
      - .actual_access:  read_only
        .address_space:  global
        .offset:         40
        .size:           8
        .value_kind:     global_buffer
      - .offset:         48
        .size:           4
        .value_kind:     by_value
      - .offset:         52
        .size:           4
        .value_kind:     by_value
      - .actual_access:  read_only
        .address_space:  global
        .offset:         56
        .size:           8
        .value_kind:     global_buffer
      - .actual_access:  read_only
        .address_space:  global
        .offset:         64
        .size:           8
        .value_kind:     global_buffer
      - .offset:         72
        .size:           4
        .value_kind:     by_value
      - .actual_access:  read_only
        .address_space:  global
        .offset:         80
        .size:           8
        .value_kind:     global_buffer
      - .offset:         88
        .size:           4
        .value_kind:     by_value
      - .offset:         92
        .size:           4
        .value_kind:     by_value
      - .offset:         96
        .size:           4
        .value_kind:     by_value
      - .address_space:  global
        .offset:         104
        .size:           8
        .value_kind:     global_buffer
      - .address_space:  global
        .offset:         112
        .size:           8
        .value_kind:     global_buffer
      - .offset:         120
        .size:           4
        .value_kind:     by_value
      - .offset:         124
        .size:           4
        .value_kind:     by_value
      - .offset:         128
        .size:           4
        .value_kind:     by_value
      - .offset:         132
        .size:           4
        .value_kind:     by_value
      - .offset:         136
        .size:           4
        .value_kind:     by_value
      - .offset:         144
        .size:           4
        .value_kind:     hidden_block_count_x
      - .offset:         148
        .size:           4
        .value_kind:     hidden_block_count_y
      - .offset:         152
        .size:           4
        .value_kind:     hidden_block_count_z
      - .offset:         156
        .size:           2
        .value_kind:     hidden_group_size_x
      - .offset:         158
        .size:           2
        .value_kind:     hidden_group_size_y
      - .offset:         160
        .size:           2
        .value_kind:     hidden_group_size_z
      - .offset:         162
        .size:           2
        .value_kind:     hidden_remainder_x
      - .offset:         164
        .size:           2
        .value_kind:     hidden_remainder_y
      - .offset:         166
        .size:           2
        .value_kind:     hidden_remainder_z
      - .offset:         184
        .size:           8
        .value_kind:     hidden_global_offset_x
      - .offset:         192
        .size:           8
        .value_kind:     hidden_global_offset_y
      - .offset:         200
        .size:           8
        .value_kind:     hidden_global_offset_z
      - .offset:         208
        .size:           2
        .value_kind:     hidden_grid_dims
      - .offset:         264
        .size:           4
        .value_kind:     hidden_dynamic_lds_size
    .group_segment_fixed_size: 1040
    .kernarg_segment_align: 8
    .kernarg_segment_size: 400
    .language:       OpenCL C
    .language_version:
      - 2
      - 0
    .max_flat_workgroup_size: 1024
    .name:           _ZN4vllm25paged_attention_v2_kernelIfhLi256ELi16ELi128ELNS_18Fp8KVCacheDataTypeE1ELb0ELi512EEEvPfS2_PT_PKS3_PKT0_S9_ifPKiSB_iPKfiiiSD_SD_iiiii
    .private_segment_fixed_size: 80
    .sgpr_count:     51
    .sgpr_spill_count: 0
    .symbol:         _ZN4vllm25paged_attention_v2_kernelIfhLi256ELi16ELi128ELNS_18Fp8KVCacheDataTypeE1ELb0ELi512EEEvPfS2_PT_PKS3_PKT0_S9_ifPKiSB_iPKfiiiSD_SD_iiiii.kd
    .uniform_work_group_size: 1
    .uses_dynamic_stack: false
    .vgpr_count:     128
    .vgpr_spill_count: 22
    .wavefront_size: 64
  - .agpr_count:     0
    .args:
      - .actual_access:  write_only
        .address_space:  global
        .offset:         0
        .size:           8
        .value_kind:     global_buffer
      - .actual_access:  write_only
        .address_space:  global
        .offset:         8
        .size:           8
        .value_kind:     global_buffer
      - .actual_access:  write_only
        .address_space:  global
        .offset:         16
        .size:           8
        .value_kind:     global_buffer
      - .actual_access:  read_only
        .address_space:  global
        .offset:         24
        .size:           8
        .value_kind:     global_buffer
      - .actual_access:  read_only
        .address_space:  global
        .offset:         32
        .size:           8
        .value_kind:     global_buffer
      - .actual_access:  read_only
        .address_space:  global
        .offset:         40
        .size:           8
        .value_kind:     global_buffer
      - .offset:         48
        .size:           4
        .value_kind:     by_value
      - .offset:         52
        .size:           4
        .value_kind:     by_value
      - .actual_access:  read_only
        .address_space:  global
        .offset:         56
        .size:           8
        .value_kind:     global_buffer
      - .actual_access:  read_only
        .address_space:  global
        .offset:         64
        .size:           8
        .value_kind:     global_buffer
      - .offset:         72
        .size:           4
        .value_kind:     by_value
      - .actual_access:  read_only
        .address_space:  global
        .offset:         80
        .size:           8
        .value_kind:     global_buffer
      - .offset:         88
        .size:           4
        .value_kind:     by_value
      - .offset:         92
        .size:           4
        .value_kind:     by_value
      - .offset:         96
        .size:           4
        .value_kind:     by_value
      - .address_space:  global
        .offset:         104
        .size:           8
        .value_kind:     global_buffer
      - .address_space:  global
        .offset:         112
        .size:           8
        .value_kind:     global_buffer
      - .offset:         120
        .size:           4
        .value_kind:     by_value
      - .offset:         124
        .size:           4
        .value_kind:     by_value
      - .offset:         128
        .size:           4
        .value_kind:     by_value
      - .offset:         132
        .size:           4
        .value_kind:     by_value
      - .offset:         136
        .size:           4
        .value_kind:     by_value
      - .offset:         144
        .size:           4
        .value_kind:     hidden_block_count_x
      - .offset:         148
        .size:           4
        .value_kind:     hidden_block_count_y
      - .offset:         152
        .size:           4
        .value_kind:     hidden_block_count_z
      - .offset:         156
        .size:           2
        .value_kind:     hidden_group_size_x
      - .offset:         158
        .size:           2
        .value_kind:     hidden_group_size_y
      - .offset:         160
        .size:           2
        .value_kind:     hidden_group_size_z
      - .offset:         162
        .size:           2
        .value_kind:     hidden_remainder_x
      - .offset:         164
        .size:           2
        .value_kind:     hidden_remainder_y
      - .offset:         166
        .size:           2
        .value_kind:     hidden_remainder_z
      - .offset:         184
        .size:           8
        .value_kind:     hidden_global_offset_x
      - .offset:         192
        .size:           8
        .value_kind:     hidden_global_offset_y
      - .offset:         200
        .size:           8
        .value_kind:     hidden_global_offset_z
      - .offset:         208
        .size:           2
        .value_kind:     hidden_grid_dims
      - .offset:         264
        .size:           4
        .value_kind:     hidden_dynamic_lds_size
    .group_segment_fixed_size: 144
    .kernarg_segment_align: 8
    .kernarg_segment_size: 400
    .language:       OpenCL C
    .language_version:
      - 2
      - 0
    .max_flat_workgroup_size: 1024
    .name:           _ZN4vllm25paged_attention_v2_kernelIfhLi32ELi32ELi128ELNS_18Fp8KVCacheDataTypeE1ELb1ELi512EEEvPfS2_PT_PKS3_PKT0_S9_ifPKiSB_iPKfiiiSD_SD_iiiii
    .private_segment_fixed_size: 0
    .sgpr_count:     62
    .sgpr_spill_count: 0
    .symbol:         _ZN4vllm25paged_attention_v2_kernelIfhLi32ELi32ELi128ELNS_18Fp8KVCacheDataTypeE1ELb1ELi512EEEvPfS2_PT_PKS3_PKT0_S9_ifPKiSB_iPKfiiiSD_SD_iiiii.kd
    .uniform_work_group_size: 1
    .uses_dynamic_stack: false
    .vgpr_count:     59
    .vgpr_spill_count: 0
    .wavefront_size: 64
  - .agpr_count:     0
    .args:
      - .actual_access:  write_only
        .address_space:  global
        .offset:         0
        .size:           8
        .value_kind:     global_buffer
      - .actual_access:  write_only
        .address_space:  global
        .offset:         8
        .size:           8
        .value_kind:     global_buffer
      - .actual_access:  write_only
        .address_space:  global
        .offset:         16
        .size:           8
        .value_kind:     global_buffer
      - .actual_access:  read_only
        .address_space:  global
        .offset:         24
        .size:           8
        .value_kind:     global_buffer
      - .actual_access:  read_only
        .address_space:  global
        .offset:         32
        .size:           8
        .value_kind:     global_buffer
      - .actual_access:  read_only
        .address_space:  global
        .offset:         40
        .size:           8
        .value_kind:     global_buffer
      - .offset:         48
        .size:           4
        .value_kind:     by_value
      - .offset:         52
        .size:           4
        .value_kind:     by_value
      - .actual_access:  read_only
        .address_space:  global
        .offset:         56
        .size:           8
        .value_kind:     global_buffer
      - .actual_access:  read_only
        .address_space:  global
        .offset:         64
        .size:           8
        .value_kind:     global_buffer
      - .offset:         72
        .size:           4
        .value_kind:     by_value
      - .actual_access:  read_only
        .address_space:  global
        .offset:         80
        .size:           8
        .value_kind:     global_buffer
      - .offset:         88
        .size:           4
        .value_kind:     by_value
      - .offset:         92
        .size:           4
        .value_kind:     by_value
      - .offset:         96
        .size:           4
        .value_kind:     by_value
      - .address_space:  global
        .offset:         104
        .size:           8
        .value_kind:     global_buffer
      - .address_space:  global
        .offset:         112
        .size:           8
        .value_kind:     global_buffer
      - .offset:         120
        .size:           4
        .value_kind:     by_value
      - .offset:         124
        .size:           4
        .value_kind:     by_value
      - .offset:         128
        .size:           4
        .value_kind:     by_value
      - .offset:         132
        .size:           4
        .value_kind:     by_value
      - .offset:         136
        .size:           4
        .value_kind:     by_value
      - .offset:         144
        .size:           4
        .value_kind:     hidden_block_count_x
      - .offset:         148
        .size:           4
        .value_kind:     hidden_block_count_y
      - .offset:         152
        .size:           4
        .value_kind:     hidden_block_count_z
      - .offset:         156
        .size:           2
        .value_kind:     hidden_group_size_x
      - .offset:         158
        .size:           2
        .value_kind:     hidden_group_size_y
      - .offset:         160
        .size:           2
        .value_kind:     hidden_group_size_z
      - .offset:         162
        .size:           2
        .value_kind:     hidden_remainder_x
      - .offset:         164
        .size:           2
        .value_kind:     hidden_remainder_y
      - .offset:         166
        .size:           2
        .value_kind:     hidden_remainder_z
      - .offset:         184
        .size:           8
        .value_kind:     hidden_global_offset_x
      - .offset:         192
        .size:           8
        .value_kind:     hidden_global_offset_y
      - .offset:         200
        .size:           8
        .value_kind:     hidden_global_offset_z
      - .offset:         208
        .size:           2
        .value_kind:     hidden_grid_dims
      - .offset:         264
        .size:           4
        .value_kind:     hidden_dynamic_lds_size
    .group_segment_fixed_size: 272
    .kernarg_segment_align: 8
    .kernarg_segment_size: 400
    .language:       OpenCL C
    .language_version:
      - 2
      - 0
    .max_flat_workgroup_size: 1024
    .name:           _ZN4vllm25paged_attention_v2_kernelIfhLi64ELi32ELi128ELNS_18Fp8KVCacheDataTypeE1ELb1ELi512EEEvPfS2_PT_PKS3_PKT0_S9_ifPKiSB_iPKfiiiSD_SD_iiiii
    .private_segment_fixed_size: 0
    .sgpr_count:     62
    .sgpr_spill_count: 0
    .symbol:         _ZN4vllm25paged_attention_v2_kernelIfhLi64ELi32ELi128ELNS_18Fp8KVCacheDataTypeE1ELb1ELi512EEEvPfS2_PT_PKS3_PKT0_S9_ifPKiSB_iPKfiiiSD_SD_iiiii.kd
    .uniform_work_group_size: 1
    .uses_dynamic_stack: false
    .vgpr_count:     91
    .vgpr_spill_count: 0
    .wavefront_size: 64
  - .agpr_count:     0
    .args:
      - .actual_access:  write_only
        .address_space:  global
        .offset:         0
        .size:           8
        .value_kind:     global_buffer
      - .actual_access:  write_only
        .address_space:  global
        .offset:         8
        .size:           8
        .value_kind:     global_buffer
      - .actual_access:  write_only
        .address_space:  global
        .offset:         16
        .size:           8
        .value_kind:     global_buffer
      - .actual_access:  read_only
        .address_space:  global
        .offset:         24
        .size:           8
        .value_kind:     global_buffer
      - .actual_access:  read_only
        .address_space:  global
        .offset:         32
        .size:           8
        .value_kind:     global_buffer
      - .actual_access:  read_only
        .address_space:  global
        .offset:         40
        .size:           8
        .value_kind:     global_buffer
      - .offset:         48
        .size:           4
        .value_kind:     by_value
      - .offset:         52
        .size:           4
        .value_kind:     by_value
      - .actual_access:  read_only
        .address_space:  global
        .offset:         56
        .size:           8
        .value_kind:     global_buffer
      - .actual_access:  read_only
        .address_space:  global
        .offset:         64
        .size:           8
        .value_kind:     global_buffer
      - .offset:         72
        .size:           4
        .value_kind:     by_value
      - .actual_access:  read_only
        .address_space:  global
        .offset:         80
        .size:           8
        .value_kind:     global_buffer
      - .offset:         88
        .size:           4
        .value_kind:     by_value
      - .offset:         92
        .size:           4
        .value_kind:     by_value
      - .offset:         96
        .size:           4
        .value_kind:     by_value
      - .address_space:  global
        .offset:         104
        .size:           8
        .value_kind:     global_buffer
      - .address_space:  global
        .offset:         112
        .size:           8
        .value_kind:     global_buffer
      - .offset:         120
        .size:           4
        .value_kind:     by_value
      - .offset:         124
        .size:           4
        .value_kind:     by_value
      - .offset:         128
        .size:           4
        .value_kind:     by_value
      - .offset:         132
        .size:           4
        .value_kind:     by_value
      - .offset:         136
        .size:           4
        .value_kind:     by_value
      - .offset:         144
        .size:           4
        .value_kind:     hidden_block_count_x
      - .offset:         148
        .size:           4
        .value_kind:     hidden_block_count_y
      - .offset:         152
        .size:           4
        .value_kind:     hidden_block_count_z
      - .offset:         156
        .size:           2
        .value_kind:     hidden_group_size_x
      - .offset:         158
        .size:           2
        .value_kind:     hidden_group_size_y
      - .offset:         160
        .size:           2
        .value_kind:     hidden_group_size_z
      - .offset:         162
        .size:           2
        .value_kind:     hidden_remainder_x
      - .offset:         164
        .size:           2
        .value_kind:     hidden_remainder_y
      - .offset:         166
        .size:           2
        .value_kind:     hidden_remainder_z
      - .offset:         184
        .size:           8
        .value_kind:     hidden_global_offset_x
      - .offset:         192
        .size:           8
        .value_kind:     hidden_global_offset_y
      - .offset:         200
        .size:           8
        .value_kind:     hidden_global_offset_z
      - .offset:         208
        .size:           2
        .value_kind:     hidden_grid_dims
      - .offset:         264
        .size:           4
        .value_kind:     hidden_dynamic_lds_size
    .group_segment_fixed_size: 336
    .kernarg_segment_align: 8
    .kernarg_segment_size: 400
    .language:       OpenCL C
    .language_version:
      - 2
      - 0
    .max_flat_workgroup_size: 1024
    .name:           _ZN4vllm25paged_attention_v2_kernelIfhLi80ELi32ELi128ELNS_18Fp8KVCacheDataTypeE1ELb1ELi512EEEvPfS2_PT_PKS3_PKT0_S9_ifPKiSB_iPKfiiiSD_SD_iiiii
    .private_segment_fixed_size: 0
    .sgpr_count:     63
    .sgpr_spill_count: 0
    .symbol:         _ZN4vllm25paged_attention_v2_kernelIfhLi80ELi32ELi128ELNS_18Fp8KVCacheDataTypeE1ELb1ELi512EEEvPfS2_PT_PKS3_PKT0_S9_ifPKiSB_iPKfiiiSD_SD_iiiii.kd
    .uniform_work_group_size: 1
    .uses_dynamic_stack: false
    .vgpr_count:     92
    .vgpr_spill_count: 0
    .wavefront_size: 64
  - .agpr_count:     0
    .args:
      - .actual_access:  write_only
        .address_space:  global
        .offset:         0
        .size:           8
        .value_kind:     global_buffer
      - .actual_access:  write_only
        .address_space:  global
        .offset:         8
        .size:           8
        .value_kind:     global_buffer
      - .actual_access:  write_only
        .address_space:  global
        .offset:         16
        .size:           8
        .value_kind:     global_buffer
      - .actual_access:  read_only
        .address_space:  global
        .offset:         24
        .size:           8
        .value_kind:     global_buffer
      - .actual_access:  read_only
        .address_space:  global
        .offset:         32
        .size:           8
        .value_kind:     global_buffer
      - .actual_access:  read_only
        .address_space:  global
        .offset:         40
        .size:           8
        .value_kind:     global_buffer
      - .offset:         48
        .size:           4
        .value_kind:     by_value
      - .offset:         52
        .size:           4
        .value_kind:     by_value
      - .actual_access:  read_only
        .address_space:  global
        .offset:         56
        .size:           8
        .value_kind:     global_buffer
      - .actual_access:  read_only
        .address_space:  global
        .offset:         64
        .size:           8
        .value_kind:     global_buffer
      - .offset:         72
        .size:           4
        .value_kind:     by_value
      - .actual_access:  read_only
        .address_space:  global
        .offset:         80
        .size:           8
        .value_kind:     global_buffer
      - .offset:         88
        .size:           4
        .value_kind:     by_value
      - .offset:         92
        .size:           4
        .value_kind:     by_value
      - .offset:         96
        .size:           4
        .value_kind:     by_value
      - .address_space:  global
        .offset:         104
        .size:           8
        .value_kind:     global_buffer
      - .address_space:  global
        .offset:         112
        .size:           8
        .value_kind:     global_buffer
      - .offset:         120
        .size:           4
        .value_kind:     by_value
      - .offset:         124
        .size:           4
        .value_kind:     by_value
      - .offset:         128
        .size:           4
        .value_kind:     by_value
      - .offset:         132
        .size:           4
        .value_kind:     by_value
      - .offset:         136
        .size:           4
        .value_kind:     by_value
      - .offset:         144
        .size:           4
        .value_kind:     hidden_block_count_x
      - .offset:         148
        .size:           4
        .value_kind:     hidden_block_count_y
      - .offset:         152
        .size:           4
        .value_kind:     hidden_block_count_z
      - .offset:         156
        .size:           2
        .value_kind:     hidden_group_size_x
      - .offset:         158
        .size:           2
        .value_kind:     hidden_group_size_y
      - .offset:         160
        .size:           2
        .value_kind:     hidden_group_size_z
      - .offset:         162
        .size:           2
        .value_kind:     hidden_remainder_x
      - .offset:         164
        .size:           2
        .value_kind:     hidden_remainder_y
      - .offset:         166
        .size:           2
        .value_kind:     hidden_remainder_z
      - .offset:         184
        .size:           8
        .value_kind:     hidden_global_offset_x
      - .offset:         192
        .size:           8
        .value_kind:     hidden_global_offset_y
      - .offset:         200
        .size:           8
        .value_kind:     hidden_global_offset_z
      - .offset:         208
        .size:           2
        .value_kind:     hidden_grid_dims
      - .offset:         264
        .size:           4
        .value_kind:     hidden_dynamic_lds_size
    .group_segment_fixed_size: 400
    .kernarg_segment_align: 8
    .kernarg_segment_size: 400
    .language:       OpenCL C
    .language_version:
      - 2
      - 0
    .max_flat_workgroup_size: 1024
    .name:           _ZN4vllm25paged_attention_v2_kernelIfhLi96ELi32ELi128ELNS_18Fp8KVCacheDataTypeE1ELb1ELi512EEEvPfS2_PT_PKS3_PKT0_S9_ifPKiSB_iPKfiiiSD_SD_iiiii
    .private_segment_fixed_size: 0
    .sgpr_count:     63
    .sgpr_spill_count: 0
    .symbol:         _ZN4vllm25paged_attention_v2_kernelIfhLi96ELi32ELi128ELNS_18Fp8KVCacheDataTypeE1ELb1ELi512EEEvPfS2_PT_PKS3_PKT0_S9_ifPKiSB_iPKfiiiSD_SD_iiiii.kd
    .uniform_work_group_size: 1
    .uses_dynamic_stack: false
    .vgpr_count:     108
    .vgpr_spill_count: 0
    .wavefront_size: 64
  - .agpr_count:     0
    .args:
      - .actual_access:  write_only
        .address_space:  global
        .offset:         0
        .size:           8
        .value_kind:     global_buffer
      - .actual_access:  write_only
        .address_space:  global
        .offset:         8
        .size:           8
        .value_kind:     global_buffer
      - .actual_access:  write_only
        .address_space:  global
        .offset:         16
        .size:           8
        .value_kind:     global_buffer
      - .actual_access:  read_only
        .address_space:  global
        .offset:         24
        .size:           8
        .value_kind:     global_buffer
      - .actual_access:  read_only
        .address_space:  global
        .offset:         32
        .size:           8
        .value_kind:     global_buffer
      - .actual_access:  read_only
        .address_space:  global
        .offset:         40
        .size:           8
        .value_kind:     global_buffer
      - .offset:         48
        .size:           4
        .value_kind:     by_value
      - .offset:         52
        .size:           4
        .value_kind:     by_value
      - .actual_access:  read_only
        .address_space:  global
        .offset:         56
        .size:           8
        .value_kind:     global_buffer
      - .actual_access:  read_only
        .address_space:  global
        .offset:         64
        .size:           8
        .value_kind:     global_buffer
      - .offset:         72
        .size:           4
        .value_kind:     by_value
      - .actual_access:  read_only
        .address_space:  global
        .offset:         80
        .size:           8
        .value_kind:     global_buffer
      - .offset:         88
        .size:           4
        .value_kind:     by_value
      - .offset:         92
        .size:           4
        .value_kind:     by_value
      - .offset:         96
        .size:           4
        .value_kind:     by_value
      - .address_space:  global
        .offset:         104
        .size:           8
        .value_kind:     global_buffer
      - .address_space:  global
        .offset:         112
        .size:           8
        .value_kind:     global_buffer
      - .offset:         120
        .size:           4
        .value_kind:     by_value
      - .offset:         124
        .size:           4
        .value_kind:     by_value
      - .offset:         128
        .size:           4
        .value_kind:     by_value
      - .offset:         132
        .size:           4
        .value_kind:     by_value
      - .offset:         136
        .size:           4
        .value_kind:     by_value
      - .offset:         144
        .size:           4
        .value_kind:     hidden_block_count_x
      - .offset:         148
        .size:           4
        .value_kind:     hidden_block_count_y
      - .offset:         152
        .size:           4
        .value_kind:     hidden_block_count_z
      - .offset:         156
        .size:           2
        .value_kind:     hidden_group_size_x
      - .offset:         158
        .size:           2
        .value_kind:     hidden_group_size_y
      - .offset:         160
        .size:           2
        .value_kind:     hidden_group_size_z
      - .offset:         162
        .size:           2
        .value_kind:     hidden_remainder_x
      - .offset:         164
        .size:           2
        .value_kind:     hidden_remainder_y
      - .offset:         166
        .size:           2
        .value_kind:     hidden_remainder_z
      - .offset:         184
        .size:           8
        .value_kind:     hidden_global_offset_x
      - .offset:         192
        .size:           8
        .value_kind:     hidden_global_offset_y
      - .offset:         200
        .size:           8
        .value_kind:     hidden_global_offset_z
      - .offset:         208
        .size:           2
        .value_kind:     hidden_grid_dims
      - .offset:         264
        .size:           4
        .value_kind:     hidden_dynamic_lds_size
    .group_segment_fixed_size: 464
    .kernarg_segment_align: 8
    .kernarg_segment_size: 400
    .language:       OpenCL C
    .language_version:
      - 2
      - 0
    .max_flat_workgroup_size: 1024
    .name:           _ZN4vllm25paged_attention_v2_kernelIfhLi112ELi32ELi128ELNS_18Fp8KVCacheDataTypeE1ELb1ELi512EEEvPfS2_PT_PKS3_PKT0_S9_ifPKiSB_iPKfiiiSD_SD_iiiii
    .private_segment_fixed_size: 0
    .sgpr_count:     63
    .sgpr_spill_count: 0
    .symbol:         _ZN4vllm25paged_attention_v2_kernelIfhLi112ELi32ELi128ELNS_18Fp8KVCacheDataTypeE1ELb1ELi512EEEvPfS2_PT_PKS3_PKT0_S9_ifPKiSB_iPKfiiiSD_SD_iiiii.kd
    .uniform_work_group_size: 1
    .uses_dynamic_stack: false
    .vgpr_count:     108
    .vgpr_spill_count: 0
    .wavefront_size: 64
  - .agpr_count:     0
    .args:
      - .actual_access:  write_only
        .address_space:  global
        .offset:         0
        .size:           8
        .value_kind:     global_buffer
      - .actual_access:  write_only
        .address_space:  global
        .offset:         8
        .size:           8
        .value_kind:     global_buffer
      - .actual_access:  write_only
        .address_space:  global
        .offset:         16
        .size:           8
        .value_kind:     global_buffer
      - .actual_access:  read_only
        .address_space:  global
        .offset:         24
        .size:           8
        .value_kind:     global_buffer
      - .actual_access:  read_only
        .address_space:  global
        .offset:         32
        .size:           8
        .value_kind:     global_buffer
      - .actual_access:  read_only
        .address_space:  global
        .offset:         40
        .size:           8
        .value_kind:     global_buffer
      - .offset:         48
        .size:           4
        .value_kind:     by_value
      - .offset:         52
        .size:           4
        .value_kind:     by_value
      - .actual_access:  read_only
        .address_space:  global
        .offset:         56
        .size:           8
        .value_kind:     global_buffer
      - .actual_access:  read_only
        .address_space:  global
        .offset:         64
        .size:           8
        .value_kind:     global_buffer
      - .offset:         72
        .size:           4
        .value_kind:     by_value
      - .actual_access:  read_only
        .address_space:  global
        .offset:         80
        .size:           8
        .value_kind:     global_buffer
      - .offset:         88
        .size:           4
        .value_kind:     by_value
      - .offset:         92
        .size:           4
        .value_kind:     by_value
      - .offset:         96
        .size:           4
        .value_kind:     by_value
      - .address_space:  global
        .offset:         104
        .size:           8
        .value_kind:     global_buffer
      - .address_space:  global
        .offset:         112
        .size:           8
        .value_kind:     global_buffer
      - .offset:         120
        .size:           4
        .value_kind:     by_value
      - .offset:         124
        .size:           4
        .value_kind:     by_value
      - .offset:         128
        .size:           4
        .value_kind:     by_value
      - .offset:         132
        .size:           4
        .value_kind:     by_value
      - .offset:         136
        .size:           4
        .value_kind:     by_value
      - .offset:         144
        .size:           4
        .value_kind:     hidden_block_count_x
      - .offset:         148
        .size:           4
        .value_kind:     hidden_block_count_y
      - .offset:         152
        .size:           4
        .value_kind:     hidden_block_count_z
      - .offset:         156
        .size:           2
        .value_kind:     hidden_group_size_x
      - .offset:         158
        .size:           2
        .value_kind:     hidden_group_size_y
      - .offset:         160
        .size:           2
        .value_kind:     hidden_group_size_z
      - .offset:         162
        .size:           2
        .value_kind:     hidden_remainder_x
      - .offset:         164
        .size:           2
        .value_kind:     hidden_remainder_y
      - .offset:         166
        .size:           2
        .value_kind:     hidden_remainder_z
      - .offset:         184
        .size:           8
        .value_kind:     hidden_global_offset_x
      - .offset:         192
        .size:           8
        .value_kind:     hidden_global_offset_y
      - .offset:         200
        .size:           8
        .value_kind:     hidden_global_offset_z
      - .offset:         208
        .size:           2
        .value_kind:     hidden_grid_dims
      - .offset:         264
        .size:           4
        .value_kind:     hidden_dynamic_lds_size
    .group_segment_fixed_size: 496
    .kernarg_segment_align: 8
    .kernarg_segment_size: 400
    .language:       OpenCL C
    .language_version:
      - 2
      - 0
    .max_flat_workgroup_size: 1024
    .name:           _ZN4vllm25paged_attention_v2_kernelIfhLi120ELi32ELi128ELNS_18Fp8KVCacheDataTypeE1ELb1ELi512EEEvPfS2_PT_PKS3_PKT0_S9_ifPKiSB_iPKfiiiSD_SD_iiiii
    .private_segment_fixed_size: 0
    .sgpr_count:     63
    .sgpr_spill_count: 0
    .symbol:         _ZN4vllm25paged_attention_v2_kernelIfhLi120ELi32ELi128ELNS_18Fp8KVCacheDataTypeE1ELb1ELi512EEEvPfS2_PT_PKS3_PKT0_S9_ifPKiSB_iPKfiiiSD_SD_iiiii.kd
    .uniform_work_group_size: 1
    .uses_dynamic_stack: false
    .vgpr_count:     100
    .vgpr_spill_count: 0
    .wavefront_size: 64
  - .agpr_count:     0
    .args:
      - .actual_access:  write_only
        .address_space:  global
        .offset:         0
        .size:           8
        .value_kind:     global_buffer
      - .actual_access:  write_only
        .address_space:  global
        .offset:         8
        .size:           8
        .value_kind:     global_buffer
      - .actual_access:  write_only
        .address_space:  global
        .offset:         16
        .size:           8
        .value_kind:     global_buffer
      - .actual_access:  read_only
        .address_space:  global
        .offset:         24
        .size:           8
        .value_kind:     global_buffer
      - .actual_access:  read_only
        .address_space:  global
        .offset:         32
        .size:           8
        .value_kind:     global_buffer
      - .actual_access:  read_only
        .address_space:  global
        .offset:         40
        .size:           8
        .value_kind:     global_buffer
      - .offset:         48
        .size:           4
        .value_kind:     by_value
      - .offset:         52
        .size:           4
        .value_kind:     by_value
      - .actual_access:  read_only
        .address_space:  global
        .offset:         56
        .size:           8
        .value_kind:     global_buffer
      - .actual_access:  read_only
        .address_space:  global
        .offset:         64
        .size:           8
        .value_kind:     global_buffer
      - .offset:         72
        .size:           4
        .value_kind:     by_value
      - .actual_access:  read_only
        .address_space:  global
        .offset:         80
        .size:           8
        .value_kind:     global_buffer
      - .offset:         88
        .size:           4
        .value_kind:     by_value
      - .offset:         92
        .size:           4
        .value_kind:     by_value
      - .offset:         96
        .size:           4
        .value_kind:     by_value
      - .address_space:  global
        .offset:         104
        .size:           8
        .value_kind:     global_buffer
      - .address_space:  global
        .offset:         112
        .size:           8
        .value_kind:     global_buffer
      - .offset:         120
        .size:           4
        .value_kind:     by_value
      - .offset:         124
        .size:           4
        .value_kind:     by_value
      - .offset:         128
        .size:           4
        .value_kind:     by_value
      - .offset:         132
        .size:           4
        .value_kind:     by_value
      - .offset:         136
        .size:           4
        .value_kind:     by_value
      - .offset:         144
        .size:           4
        .value_kind:     hidden_block_count_x
      - .offset:         148
        .size:           4
        .value_kind:     hidden_block_count_y
      - .offset:         152
        .size:           4
        .value_kind:     hidden_block_count_z
      - .offset:         156
        .size:           2
        .value_kind:     hidden_group_size_x
      - .offset:         158
        .size:           2
        .value_kind:     hidden_group_size_y
      - .offset:         160
        .size:           2
        .value_kind:     hidden_group_size_z
      - .offset:         162
        .size:           2
        .value_kind:     hidden_remainder_x
      - .offset:         164
        .size:           2
        .value_kind:     hidden_remainder_y
      - .offset:         166
        .size:           2
        .value_kind:     hidden_remainder_z
      - .offset:         184
        .size:           8
        .value_kind:     hidden_global_offset_x
      - .offset:         192
        .size:           8
        .value_kind:     hidden_global_offset_y
      - .offset:         200
        .size:           8
        .value_kind:     hidden_global_offset_z
      - .offset:         208
        .size:           2
        .value_kind:     hidden_grid_dims
      - .offset:         264
        .size:           4
        .value_kind:     hidden_dynamic_lds_size
    .group_segment_fixed_size: 528
    .kernarg_segment_align: 8
    .kernarg_segment_size: 400
    .language:       OpenCL C
    .language_version:
      - 2
      - 0
    .max_flat_workgroup_size: 1024
    .name:           _ZN4vllm25paged_attention_v2_kernelIfhLi128ELi32ELi128ELNS_18Fp8KVCacheDataTypeE1ELb1ELi512EEEvPfS2_PT_PKS3_PKT0_S9_ifPKiSB_iPKfiiiSD_SD_iiiii
    .private_segment_fixed_size: 0
    .sgpr_count:     65
    .sgpr_spill_count: 0
    .symbol:         _ZN4vllm25paged_attention_v2_kernelIfhLi128ELi32ELi128ELNS_18Fp8KVCacheDataTypeE1ELb1ELi512EEEvPfS2_PT_PKS3_PKT0_S9_ifPKiSB_iPKfiiiSD_SD_iiiii.kd
    .uniform_work_group_size: 1
    .uses_dynamic_stack: false
    .vgpr_count:     108
    .vgpr_spill_count: 0
    .wavefront_size: 64
  - .agpr_count:     0
    .args:
      - .actual_access:  write_only
        .address_space:  global
        .offset:         0
        .size:           8
        .value_kind:     global_buffer
      - .actual_access:  write_only
        .address_space:  global
        .offset:         8
        .size:           8
        .value_kind:     global_buffer
      - .actual_access:  write_only
        .address_space:  global
        .offset:         16
        .size:           8
        .value_kind:     global_buffer
      - .actual_access:  read_only
        .address_space:  global
        .offset:         24
        .size:           8
        .value_kind:     global_buffer
      - .actual_access:  read_only
        .address_space:  global
        .offset:         32
        .size:           8
        .value_kind:     global_buffer
      - .actual_access:  read_only
        .address_space:  global
        .offset:         40
        .size:           8
        .value_kind:     global_buffer
      - .offset:         48
        .size:           4
        .value_kind:     by_value
      - .offset:         52
        .size:           4
        .value_kind:     by_value
      - .actual_access:  read_only
        .address_space:  global
        .offset:         56
        .size:           8
        .value_kind:     global_buffer
      - .actual_access:  read_only
        .address_space:  global
        .offset:         64
        .size:           8
        .value_kind:     global_buffer
      - .offset:         72
        .size:           4
        .value_kind:     by_value
      - .actual_access:  read_only
        .address_space:  global
        .offset:         80
        .size:           8
        .value_kind:     global_buffer
      - .offset:         88
        .size:           4
        .value_kind:     by_value
      - .offset:         92
        .size:           4
        .value_kind:     by_value
      - .offset:         96
        .size:           4
        .value_kind:     by_value
      - .address_space:  global
        .offset:         104
        .size:           8
        .value_kind:     global_buffer
      - .address_space:  global
        .offset:         112
        .size:           8
        .value_kind:     global_buffer
      - .offset:         120
        .size:           4
        .value_kind:     by_value
      - .offset:         124
        .size:           4
        .value_kind:     by_value
      - .offset:         128
        .size:           4
        .value_kind:     by_value
      - .offset:         132
        .size:           4
        .value_kind:     by_value
      - .offset:         136
        .size:           4
        .value_kind:     by_value
      - .offset:         144
        .size:           4
        .value_kind:     hidden_block_count_x
      - .offset:         148
        .size:           4
        .value_kind:     hidden_block_count_y
      - .offset:         152
        .size:           4
        .value_kind:     hidden_block_count_z
      - .offset:         156
        .size:           2
        .value_kind:     hidden_group_size_x
      - .offset:         158
        .size:           2
        .value_kind:     hidden_group_size_y
      - .offset:         160
        .size:           2
        .value_kind:     hidden_group_size_z
      - .offset:         162
        .size:           2
        .value_kind:     hidden_remainder_x
      - .offset:         164
        .size:           2
        .value_kind:     hidden_remainder_y
      - .offset:         166
        .size:           2
        .value_kind:     hidden_remainder_z
      - .offset:         184
        .size:           8
        .value_kind:     hidden_global_offset_x
      - .offset:         192
        .size:           8
        .value_kind:     hidden_global_offset_y
      - .offset:         200
        .size:           8
        .value_kind:     hidden_global_offset_z
      - .offset:         208
        .size:           2
        .value_kind:     hidden_grid_dims
      - .offset:         264
        .size:           4
        .value_kind:     hidden_dynamic_lds_size
    .group_segment_fixed_size: 784
    .kernarg_segment_align: 8
    .kernarg_segment_size: 400
    .language:       OpenCL C
    .language_version:
      - 2
      - 0
    .max_flat_workgroup_size: 1024
    .name:           _ZN4vllm25paged_attention_v2_kernelIfhLi192ELi32ELi128ELNS_18Fp8KVCacheDataTypeE1ELb1ELi512EEEvPfS2_PT_PKS3_PKT0_S9_ifPKiSB_iPKfiiiSD_SD_iiiii
    .private_segment_fixed_size: 140
    .sgpr_count:     72
    .sgpr_spill_count: 0
    .symbol:         _ZN4vllm25paged_attention_v2_kernelIfhLi192ELi32ELi128ELNS_18Fp8KVCacheDataTypeE1ELb1ELi512EEEvPfS2_PT_PKS3_PKT0_S9_ifPKiSB_iPKfiiiSD_SD_iiiii.kd
    .uniform_work_group_size: 1
    .uses_dynamic_stack: false
    .vgpr_count:     128
    .vgpr_spill_count: 40
    .wavefront_size: 64
  - .agpr_count:     0
    .args:
      - .actual_access:  write_only
        .address_space:  global
        .offset:         0
        .size:           8
        .value_kind:     global_buffer
      - .actual_access:  write_only
        .address_space:  global
        .offset:         8
        .size:           8
        .value_kind:     global_buffer
      - .actual_access:  write_only
        .address_space:  global
        .offset:         16
        .size:           8
        .value_kind:     global_buffer
      - .actual_access:  read_only
        .address_space:  global
        .offset:         24
        .size:           8
        .value_kind:     global_buffer
      - .actual_access:  read_only
        .address_space:  global
        .offset:         32
        .size:           8
        .value_kind:     global_buffer
      - .actual_access:  read_only
        .address_space:  global
        .offset:         40
        .size:           8
        .value_kind:     global_buffer
      - .offset:         48
        .size:           4
        .value_kind:     by_value
      - .offset:         52
        .size:           4
        .value_kind:     by_value
      - .actual_access:  read_only
        .address_space:  global
        .offset:         56
        .size:           8
        .value_kind:     global_buffer
      - .actual_access:  read_only
        .address_space:  global
        .offset:         64
        .size:           8
        .value_kind:     global_buffer
      - .offset:         72
        .size:           4
        .value_kind:     by_value
      - .actual_access:  read_only
        .address_space:  global
        .offset:         80
        .size:           8
        .value_kind:     global_buffer
      - .offset:         88
        .size:           4
        .value_kind:     by_value
      - .offset:         92
        .size:           4
        .value_kind:     by_value
      - .offset:         96
        .size:           4
        .value_kind:     by_value
      - .address_space:  global
        .offset:         104
        .size:           8
        .value_kind:     global_buffer
      - .address_space:  global
        .offset:         112
        .size:           8
        .value_kind:     global_buffer
      - .offset:         120
        .size:           4
        .value_kind:     by_value
      - .offset:         124
        .size:           4
        .value_kind:     by_value
      - .offset:         128
        .size:           4
        .value_kind:     by_value
      - .offset:         132
        .size:           4
        .value_kind:     by_value
      - .offset:         136
        .size:           4
        .value_kind:     by_value
      - .offset:         144
        .size:           4
        .value_kind:     hidden_block_count_x
      - .offset:         148
        .size:           4
        .value_kind:     hidden_block_count_y
      - .offset:         152
        .size:           4
        .value_kind:     hidden_block_count_z
      - .offset:         156
        .size:           2
        .value_kind:     hidden_group_size_x
      - .offset:         158
        .size:           2
        .value_kind:     hidden_group_size_y
      - .offset:         160
        .size:           2
        .value_kind:     hidden_group_size_z
      - .offset:         162
        .size:           2
        .value_kind:     hidden_remainder_x
      - .offset:         164
        .size:           2
        .value_kind:     hidden_remainder_y
      - .offset:         166
        .size:           2
        .value_kind:     hidden_remainder_z
      - .offset:         184
        .size:           8
        .value_kind:     hidden_global_offset_x
      - .offset:         192
        .size:           8
        .value_kind:     hidden_global_offset_y
      - .offset:         200
        .size:           8
        .value_kind:     hidden_global_offset_z
      - .offset:         208
        .size:           2
        .value_kind:     hidden_grid_dims
      - .offset:         264
        .size:           4
        .value_kind:     hidden_dynamic_lds_size
    .group_segment_fixed_size: 1040
    .kernarg_segment_align: 8
    .kernarg_segment_size: 400
    .language:       OpenCL C
    .language_version:
      - 2
      - 0
    .max_flat_workgroup_size: 1024
    .name:           _ZN4vllm25paged_attention_v2_kernelIfhLi256ELi32ELi128ELNS_18Fp8KVCacheDataTypeE1ELb1ELi512EEEvPfS2_PT_PKS3_PKT0_S9_ifPKiSB_iPKfiiiSD_SD_iiiii
    .private_segment_fixed_size: 364
    .sgpr_count:     80
    .sgpr_spill_count: 0
    .symbol:         _ZN4vllm25paged_attention_v2_kernelIfhLi256ELi32ELi128ELNS_18Fp8KVCacheDataTypeE1ELb1ELi512EEEvPfS2_PT_PKS3_PKT0_S9_ifPKiSB_iPKfiiiSD_SD_iiiii.kd
    .uniform_work_group_size: 1
    .uses_dynamic_stack: false
    .vgpr_count:     128
    .vgpr_spill_count: 134
    .wavefront_size: 64
  - .agpr_count:     0
    .args:
      - .actual_access:  write_only
        .address_space:  global
        .offset:         0
        .size:           8
        .value_kind:     global_buffer
      - .actual_access:  write_only
        .address_space:  global
        .offset:         8
        .size:           8
        .value_kind:     global_buffer
      - .actual_access:  write_only
        .address_space:  global
        .offset:         16
        .size:           8
        .value_kind:     global_buffer
      - .actual_access:  read_only
        .address_space:  global
        .offset:         24
        .size:           8
        .value_kind:     global_buffer
      - .actual_access:  read_only
        .address_space:  global
        .offset:         32
        .size:           8
        .value_kind:     global_buffer
      - .actual_access:  read_only
        .address_space:  global
        .offset:         40
        .size:           8
        .value_kind:     global_buffer
      - .offset:         48
        .size:           4
        .value_kind:     by_value
      - .offset:         52
        .size:           4
        .value_kind:     by_value
      - .actual_access:  read_only
        .address_space:  global
        .offset:         56
        .size:           8
        .value_kind:     global_buffer
      - .actual_access:  read_only
        .address_space:  global
        .offset:         64
        .size:           8
        .value_kind:     global_buffer
      - .offset:         72
        .size:           4
        .value_kind:     by_value
      - .actual_access:  read_only
        .address_space:  global
        .offset:         80
        .size:           8
        .value_kind:     global_buffer
      - .offset:         88
        .size:           4
        .value_kind:     by_value
      - .offset:         92
        .size:           4
        .value_kind:     by_value
      - .offset:         96
        .size:           4
        .value_kind:     by_value
      - .address_space:  global
        .offset:         104
        .size:           8
        .value_kind:     global_buffer
      - .address_space:  global
        .offset:         112
        .size:           8
        .value_kind:     global_buffer
      - .offset:         120
        .size:           4
        .value_kind:     by_value
      - .offset:         124
        .size:           4
        .value_kind:     by_value
      - .offset:         128
        .size:           4
        .value_kind:     by_value
      - .offset:         132
        .size:           4
        .value_kind:     by_value
      - .offset:         136
        .size:           4
        .value_kind:     by_value
      - .offset:         144
        .size:           4
        .value_kind:     hidden_block_count_x
      - .offset:         148
        .size:           4
        .value_kind:     hidden_block_count_y
      - .offset:         152
        .size:           4
        .value_kind:     hidden_block_count_z
      - .offset:         156
        .size:           2
        .value_kind:     hidden_group_size_x
      - .offset:         158
        .size:           2
        .value_kind:     hidden_group_size_y
      - .offset:         160
        .size:           2
        .value_kind:     hidden_group_size_z
      - .offset:         162
        .size:           2
        .value_kind:     hidden_remainder_x
      - .offset:         164
        .size:           2
        .value_kind:     hidden_remainder_y
      - .offset:         166
        .size:           2
        .value_kind:     hidden_remainder_z
      - .offset:         184
        .size:           8
        .value_kind:     hidden_global_offset_x
      - .offset:         192
        .size:           8
        .value_kind:     hidden_global_offset_y
      - .offset:         200
        .size:           8
        .value_kind:     hidden_global_offset_z
      - .offset:         208
        .size:           2
        .value_kind:     hidden_grid_dims
      - .offset:         264
        .size:           4
        .value_kind:     hidden_dynamic_lds_size
    .group_segment_fixed_size: 144
    .kernarg_segment_align: 8
    .kernarg_segment_size: 400
    .language:       OpenCL C
    .language_version:
      - 2
      - 0
    .max_flat_workgroup_size: 1024
    .name:           _ZN4vllm25paged_attention_v2_kernelIfhLi32ELi32ELi128ELNS_18Fp8KVCacheDataTypeE1ELb0ELi512EEEvPfS2_PT_PKS3_PKT0_S9_ifPKiSB_iPKfiiiSD_SD_iiiii
    .private_segment_fixed_size: 0
    .sgpr_count:     52
    .sgpr_spill_count: 0
    .symbol:         _ZN4vllm25paged_attention_v2_kernelIfhLi32ELi32ELi128ELNS_18Fp8KVCacheDataTypeE1ELb0ELi512EEEvPfS2_PT_PKS3_PKT0_S9_ifPKiSB_iPKfiiiSD_SD_iiiii.kd
    .uniform_work_group_size: 1
    .uses_dynamic_stack: false
    .vgpr_count:     50
    .vgpr_spill_count: 0
    .wavefront_size: 64
  - .agpr_count:     0
    .args:
      - .actual_access:  write_only
        .address_space:  global
        .offset:         0
        .size:           8
        .value_kind:     global_buffer
      - .actual_access:  write_only
        .address_space:  global
        .offset:         8
        .size:           8
        .value_kind:     global_buffer
      - .actual_access:  write_only
        .address_space:  global
        .offset:         16
        .size:           8
        .value_kind:     global_buffer
      - .actual_access:  read_only
        .address_space:  global
        .offset:         24
        .size:           8
        .value_kind:     global_buffer
      - .actual_access:  read_only
        .address_space:  global
        .offset:         32
        .size:           8
        .value_kind:     global_buffer
      - .actual_access:  read_only
        .address_space:  global
        .offset:         40
        .size:           8
        .value_kind:     global_buffer
      - .offset:         48
        .size:           4
        .value_kind:     by_value
      - .offset:         52
        .size:           4
        .value_kind:     by_value
      - .actual_access:  read_only
        .address_space:  global
        .offset:         56
        .size:           8
        .value_kind:     global_buffer
      - .actual_access:  read_only
        .address_space:  global
        .offset:         64
        .size:           8
        .value_kind:     global_buffer
      - .offset:         72
        .size:           4
        .value_kind:     by_value
      - .actual_access:  read_only
        .address_space:  global
        .offset:         80
        .size:           8
        .value_kind:     global_buffer
      - .offset:         88
        .size:           4
        .value_kind:     by_value
      - .offset:         92
        .size:           4
        .value_kind:     by_value
      - .offset:         96
        .size:           4
        .value_kind:     by_value
      - .address_space:  global
        .offset:         104
        .size:           8
        .value_kind:     global_buffer
      - .address_space:  global
        .offset:         112
        .size:           8
        .value_kind:     global_buffer
      - .offset:         120
        .size:           4
        .value_kind:     by_value
      - .offset:         124
        .size:           4
        .value_kind:     by_value
      - .offset:         128
        .size:           4
        .value_kind:     by_value
      - .offset:         132
        .size:           4
        .value_kind:     by_value
      - .offset:         136
        .size:           4
        .value_kind:     by_value
      - .offset:         144
        .size:           4
        .value_kind:     hidden_block_count_x
      - .offset:         148
        .size:           4
        .value_kind:     hidden_block_count_y
      - .offset:         152
        .size:           4
        .value_kind:     hidden_block_count_z
      - .offset:         156
        .size:           2
        .value_kind:     hidden_group_size_x
      - .offset:         158
        .size:           2
        .value_kind:     hidden_group_size_y
      - .offset:         160
        .size:           2
        .value_kind:     hidden_group_size_z
      - .offset:         162
        .size:           2
        .value_kind:     hidden_remainder_x
      - .offset:         164
        .size:           2
        .value_kind:     hidden_remainder_y
      - .offset:         166
        .size:           2
        .value_kind:     hidden_remainder_z
      - .offset:         184
        .size:           8
        .value_kind:     hidden_global_offset_x
      - .offset:         192
        .size:           8
        .value_kind:     hidden_global_offset_y
      - .offset:         200
        .size:           8
        .value_kind:     hidden_global_offset_z
      - .offset:         208
        .size:           2
        .value_kind:     hidden_grid_dims
      - .offset:         264
        .size:           4
        .value_kind:     hidden_dynamic_lds_size
    .group_segment_fixed_size: 272
    .kernarg_segment_align: 8
    .kernarg_segment_size: 400
    .language:       OpenCL C
    .language_version:
      - 2
      - 0
    .max_flat_workgroup_size: 1024
    .name:           _ZN4vllm25paged_attention_v2_kernelIfhLi64ELi32ELi128ELNS_18Fp8KVCacheDataTypeE1ELb0ELi512EEEvPfS2_PT_PKS3_PKT0_S9_ifPKiSB_iPKfiiiSD_SD_iiiii
    .private_segment_fixed_size: 0
    .sgpr_count:     52
    .sgpr_spill_count: 0
    .symbol:         _ZN4vllm25paged_attention_v2_kernelIfhLi64ELi32ELi128ELNS_18Fp8KVCacheDataTypeE1ELb0ELi512EEEvPfS2_PT_PKS3_PKT0_S9_ifPKiSB_iPKfiiiSD_SD_iiiii.kd
    .uniform_work_group_size: 1
    .uses_dynamic_stack: false
    .vgpr_count:     82
    .vgpr_spill_count: 0
    .wavefront_size: 64
  - .agpr_count:     0
    .args:
      - .actual_access:  write_only
        .address_space:  global
        .offset:         0
        .size:           8
        .value_kind:     global_buffer
      - .actual_access:  write_only
        .address_space:  global
        .offset:         8
        .size:           8
        .value_kind:     global_buffer
      - .actual_access:  write_only
        .address_space:  global
        .offset:         16
        .size:           8
        .value_kind:     global_buffer
      - .actual_access:  read_only
        .address_space:  global
        .offset:         24
        .size:           8
        .value_kind:     global_buffer
      - .actual_access:  read_only
        .address_space:  global
        .offset:         32
        .size:           8
        .value_kind:     global_buffer
      - .actual_access:  read_only
        .address_space:  global
        .offset:         40
        .size:           8
        .value_kind:     global_buffer
      - .offset:         48
        .size:           4
        .value_kind:     by_value
      - .offset:         52
        .size:           4
        .value_kind:     by_value
      - .actual_access:  read_only
        .address_space:  global
        .offset:         56
        .size:           8
        .value_kind:     global_buffer
      - .actual_access:  read_only
        .address_space:  global
        .offset:         64
        .size:           8
        .value_kind:     global_buffer
      - .offset:         72
        .size:           4
        .value_kind:     by_value
      - .actual_access:  read_only
        .address_space:  global
        .offset:         80
        .size:           8
        .value_kind:     global_buffer
      - .offset:         88
        .size:           4
        .value_kind:     by_value
      - .offset:         92
        .size:           4
        .value_kind:     by_value
      - .offset:         96
        .size:           4
        .value_kind:     by_value
      - .address_space:  global
        .offset:         104
        .size:           8
        .value_kind:     global_buffer
      - .address_space:  global
        .offset:         112
        .size:           8
        .value_kind:     global_buffer
      - .offset:         120
        .size:           4
        .value_kind:     by_value
      - .offset:         124
        .size:           4
        .value_kind:     by_value
      - .offset:         128
        .size:           4
        .value_kind:     by_value
      - .offset:         132
        .size:           4
        .value_kind:     by_value
      - .offset:         136
        .size:           4
        .value_kind:     by_value
      - .offset:         144
        .size:           4
        .value_kind:     hidden_block_count_x
      - .offset:         148
        .size:           4
        .value_kind:     hidden_block_count_y
      - .offset:         152
        .size:           4
        .value_kind:     hidden_block_count_z
      - .offset:         156
        .size:           2
        .value_kind:     hidden_group_size_x
      - .offset:         158
        .size:           2
        .value_kind:     hidden_group_size_y
      - .offset:         160
        .size:           2
        .value_kind:     hidden_group_size_z
      - .offset:         162
        .size:           2
        .value_kind:     hidden_remainder_x
      - .offset:         164
        .size:           2
        .value_kind:     hidden_remainder_y
      - .offset:         166
        .size:           2
        .value_kind:     hidden_remainder_z
      - .offset:         184
        .size:           8
        .value_kind:     hidden_global_offset_x
      - .offset:         192
        .size:           8
        .value_kind:     hidden_global_offset_y
      - .offset:         200
        .size:           8
        .value_kind:     hidden_global_offset_z
      - .offset:         208
        .size:           2
        .value_kind:     hidden_grid_dims
      - .offset:         264
        .size:           4
        .value_kind:     hidden_dynamic_lds_size
    .group_segment_fixed_size: 336
    .kernarg_segment_align: 8
    .kernarg_segment_size: 400
    .language:       OpenCL C
    .language_version:
      - 2
      - 0
    .max_flat_workgroup_size: 1024
    .name:           _ZN4vllm25paged_attention_v2_kernelIfhLi80ELi32ELi128ELNS_18Fp8KVCacheDataTypeE1ELb0ELi512EEEvPfS2_PT_PKS3_PKT0_S9_ifPKiSB_iPKfiiiSD_SD_iiiii
    .private_segment_fixed_size: 0
    .sgpr_count:     52
    .sgpr_spill_count: 0
    .symbol:         _ZN4vllm25paged_attention_v2_kernelIfhLi80ELi32ELi128ELNS_18Fp8KVCacheDataTypeE1ELb0ELi512EEEvPfS2_PT_PKS3_PKT0_S9_ifPKiSB_iPKfiiiSD_SD_iiiii.kd
    .uniform_work_group_size: 1
    .uses_dynamic_stack: false
    .vgpr_count:     88
    .vgpr_spill_count: 0
    .wavefront_size: 64
  - .agpr_count:     0
    .args:
      - .actual_access:  write_only
        .address_space:  global
        .offset:         0
        .size:           8
        .value_kind:     global_buffer
      - .actual_access:  write_only
        .address_space:  global
        .offset:         8
        .size:           8
        .value_kind:     global_buffer
      - .actual_access:  write_only
        .address_space:  global
        .offset:         16
        .size:           8
        .value_kind:     global_buffer
      - .actual_access:  read_only
        .address_space:  global
        .offset:         24
        .size:           8
        .value_kind:     global_buffer
      - .actual_access:  read_only
        .address_space:  global
        .offset:         32
        .size:           8
        .value_kind:     global_buffer
      - .actual_access:  read_only
        .address_space:  global
        .offset:         40
        .size:           8
        .value_kind:     global_buffer
      - .offset:         48
        .size:           4
        .value_kind:     by_value
      - .offset:         52
        .size:           4
        .value_kind:     by_value
      - .actual_access:  read_only
        .address_space:  global
        .offset:         56
        .size:           8
        .value_kind:     global_buffer
      - .actual_access:  read_only
        .address_space:  global
        .offset:         64
        .size:           8
        .value_kind:     global_buffer
      - .offset:         72
        .size:           4
        .value_kind:     by_value
      - .actual_access:  read_only
        .address_space:  global
        .offset:         80
        .size:           8
        .value_kind:     global_buffer
      - .offset:         88
        .size:           4
        .value_kind:     by_value
      - .offset:         92
        .size:           4
        .value_kind:     by_value
      - .offset:         96
        .size:           4
        .value_kind:     by_value
      - .address_space:  global
        .offset:         104
        .size:           8
        .value_kind:     global_buffer
      - .address_space:  global
        .offset:         112
        .size:           8
        .value_kind:     global_buffer
      - .offset:         120
        .size:           4
        .value_kind:     by_value
      - .offset:         124
        .size:           4
        .value_kind:     by_value
      - .offset:         128
        .size:           4
        .value_kind:     by_value
      - .offset:         132
        .size:           4
        .value_kind:     by_value
      - .offset:         136
        .size:           4
        .value_kind:     by_value
      - .offset:         144
        .size:           4
        .value_kind:     hidden_block_count_x
      - .offset:         148
        .size:           4
        .value_kind:     hidden_block_count_y
      - .offset:         152
        .size:           4
        .value_kind:     hidden_block_count_z
      - .offset:         156
        .size:           2
        .value_kind:     hidden_group_size_x
      - .offset:         158
        .size:           2
        .value_kind:     hidden_group_size_y
      - .offset:         160
        .size:           2
        .value_kind:     hidden_group_size_z
      - .offset:         162
        .size:           2
        .value_kind:     hidden_remainder_x
      - .offset:         164
        .size:           2
        .value_kind:     hidden_remainder_y
      - .offset:         166
        .size:           2
        .value_kind:     hidden_remainder_z
      - .offset:         184
        .size:           8
        .value_kind:     hidden_global_offset_x
      - .offset:         192
        .size:           8
        .value_kind:     hidden_global_offset_y
      - .offset:         200
        .size:           8
        .value_kind:     hidden_global_offset_z
      - .offset:         208
        .size:           2
        .value_kind:     hidden_grid_dims
      - .offset:         264
        .size:           4
        .value_kind:     hidden_dynamic_lds_size
    .group_segment_fixed_size: 400
    .kernarg_segment_align: 8
    .kernarg_segment_size: 400
    .language:       OpenCL C
    .language_version:
      - 2
      - 0
    .max_flat_workgroup_size: 1024
    .name:           _ZN4vllm25paged_attention_v2_kernelIfhLi96ELi32ELi128ELNS_18Fp8KVCacheDataTypeE1ELb0ELi512EEEvPfS2_PT_PKS3_PKT0_S9_ifPKiSB_iPKfiiiSD_SD_iiiii
    .private_segment_fixed_size: 0
    .sgpr_count:     52
    .sgpr_spill_count: 0
    .symbol:         _ZN4vllm25paged_attention_v2_kernelIfhLi96ELi32ELi128ELNS_18Fp8KVCacheDataTypeE1ELb0ELi512EEEvPfS2_PT_PKS3_PKT0_S9_ifPKiSB_iPKfiiiSD_SD_iiiii.kd
    .uniform_work_group_size: 1
    .uses_dynamic_stack: false
    .vgpr_count:     104
    .vgpr_spill_count: 0
    .wavefront_size: 64
  - .agpr_count:     0
    .args:
      - .actual_access:  write_only
        .address_space:  global
        .offset:         0
        .size:           8
        .value_kind:     global_buffer
      - .actual_access:  write_only
        .address_space:  global
        .offset:         8
        .size:           8
        .value_kind:     global_buffer
      - .actual_access:  write_only
        .address_space:  global
        .offset:         16
        .size:           8
        .value_kind:     global_buffer
      - .actual_access:  read_only
        .address_space:  global
        .offset:         24
        .size:           8
        .value_kind:     global_buffer
      - .actual_access:  read_only
        .address_space:  global
        .offset:         32
        .size:           8
        .value_kind:     global_buffer
      - .actual_access:  read_only
        .address_space:  global
        .offset:         40
        .size:           8
        .value_kind:     global_buffer
      - .offset:         48
        .size:           4
        .value_kind:     by_value
      - .offset:         52
        .size:           4
        .value_kind:     by_value
      - .actual_access:  read_only
        .address_space:  global
        .offset:         56
        .size:           8
        .value_kind:     global_buffer
      - .actual_access:  read_only
        .address_space:  global
        .offset:         64
        .size:           8
        .value_kind:     global_buffer
      - .offset:         72
        .size:           4
        .value_kind:     by_value
      - .actual_access:  read_only
        .address_space:  global
        .offset:         80
        .size:           8
        .value_kind:     global_buffer
      - .offset:         88
        .size:           4
        .value_kind:     by_value
      - .offset:         92
        .size:           4
        .value_kind:     by_value
      - .offset:         96
        .size:           4
        .value_kind:     by_value
      - .address_space:  global
        .offset:         104
        .size:           8
        .value_kind:     global_buffer
      - .address_space:  global
        .offset:         112
        .size:           8
        .value_kind:     global_buffer
      - .offset:         120
        .size:           4
        .value_kind:     by_value
      - .offset:         124
        .size:           4
        .value_kind:     by_value
      - .offset:         128
        .size:           4
        .value_kind:     by_value
      - .offset:         132
        .size:           4
        .value_kind:     by_value
      - .offset:         136
        .size:           4
        .value_kind:     by_value
      - .offset:         144
        .size:           4
        .value_kind:     hidden_block_count_x
      - .offset:         148
        .size:           4
        .value_kind:     hidden_block_count_y
      - .offset:         152
        .size:           4
        .value_kind:     hidden_block_count_z
      - .offset:         156
        .size:           2
        .value_kind:     hidden_group_size_x
      - .offset:         158
        .size:           2
        .value_kind:     hidden_group_size_y
      - .offset:         160
        .size:           2
        .value_kind:     hidden_group_size_z
      - .offset:         162
        .size:           2
        .value_kind:     hidden_remainder_x
      - .offset:         164
        .size:           2
        .value_kind:     hidden_remainder_y
      - .offset:         166
        .size:           2
        .value_kind:     hidden_remainder_z
      - .offset:         184
        .size:           8
        .value_kind:     hidden_global_offset_x
      - .offset:         192
        .size:           8
        .value_kind:     hidden_global_offset_y
      - .offset:         200
        .size:           8
        .value_kind:     hidden_global_offset_z
      - .offset:         208
        .size:           2
        .value_kind:     hidden_grid_dims
      - .offset:         264
        .size:           4
        .value_kind:     hidden_dynamic_lds_size
    .group_segment_fixed_size: 464
    .kernarg_segment_align: 8
    .kernarg_segment_size: 400
    .language:       OpenCL C
    .language_version:
      - 2
      - 0
    .max_flat_workgroup_size: 1024
    .name:           _ZN4vllm25paged_attention_v2_kernelIfhLi112ELi32ELi128ELNS_18Fp8KVCacheDataTypeE1ELb0ELi512EEEvPfS2_PT_PKS3_PKT0_S9_ifPKiSB_iPKfiiiSD_SD_iiiii
    .private_segment_fixed_size: 0
    .sgpr_count:     52
    .sgpr_spill_count: 0
    .symbol:         _ZN4vllm25paged_attention_v2_kernelIfhLi112ELi32ELi128ELNS_18Fp8KVCacheDataTypeE1ELb0ELi512EEEvPfS2_PT_PKS3_PKT0_S9_ifPKiSB_iPKfiiiSD_SD_iiiii.kd
    .uniform_work_group_size: 1
    .uses_dynamic_stack: false
    .vgpr_count:     108
    .vgpr_spill_count: 0
    .wavefront_size: 64
  - .agpr_count:     0
    .args:
      - .actual_access:  write_only
        .address_space:  global
        .offset:         0
        .size:           8
        .value_kind:     global_buffer
      - .actual_access:  write_only
        .address_space:  global
        .offset:         8
        .size:           8
        .value_kind:     global_buffer
      - .actual_access:  write_only
        .address_space:  global
        .offset:         16
        .size:           8
        .value_kind:     global_buffer
      - .actual_access:  read_only
        .address_space:  global
        .offset:         24
        .size:           8
        .value_kind:     global_buffer
      - .actual_access:  read_only
        .address_space:  global
        .offset:         32
        .size:           8
        .value_kind:     global_buffer
      - .actual_access:  read_only
        .address_space:  global
        .offset:         40
        .size:           8
        .value_kind:     global_buffer
      - .offset:         48
        .size:           4
        .value_kind:     by_value
      - .offset:         52
        .size:           4
        .value_kind:     by_value
      - .actual_access:  read_only
        .address_space:  global
        .offset:         56
        .size:           8
        .value_kind:     global_buffer
      - .actual_access:  read_only
        .address_space:  global
        .offset:         64
        .size:           8
        .value_kind:     global_buffer
      - .offset:         72
        .size:           4
        .value_kind:     by_value
      - .actual_access:  read_only
        .address_space:  global
        .offset:         80
        .size:           8
        .value_kind:     global_buffer
      - .offset:         88
        .size:           4
        .value_kind:     by_value
      - .offset:         92
        .size:           4
        .value_kind:     by_value
      - .offset:         96
        .size:           4
        .value_kind:     by_value
      - .address_space:  global
        .offset:         104
        .size:           8
        .value_kind:     global_buffer
      - .address_space:  global
        .offset:         112
        .size:           8
        .value_kind:     global_buffer
      - .offset:         120
        .size:           4
        .value_kind:     by_value
      - .offset:         124
        .size:           4
        .value_kind:     by_value
      - .offset:         128
        .size:           4
        .value_kind:     by_value
      - .offset:         132
        .size:           4
        .value_kind:     by_value
      - .offset:         136
        .size:           4
        .value_kind:     by_value
      - .offset:         144
        .size:           4
        .value_kind:     hidden_block_count_x
      - .offset:         148
        .size:           4
        .value_kind:     hidden_block_count_y
      - .offset:         152
        .size:           4
        .value_kind:     hidden_block_count_z
      - .offset:         156
        .size:           2
        .value_kind:     hidden_group_size_x
      - .offset:         158
        .size:           2
        .value_kind:     hidden_group_size_y
      - .offset:         160
        .size:           2
        .value_kind:     hidden_group_size_z
      - .offset:         162
        .size:           2
        .value_kind:     hidden_remainder_x
      - .offset:         164
        .size:           2
        .value_kind:     hidden_remainder_y
      - .offset:         166
        .size:           2
        .value_kind:     hidden_remainder_z
      - .offset:         184
        .size:           8
        .value_kind:     hidden_global_offset_x
      - .offset:         192
        .size:           8
        .value_kind:     hidden_global_offset_y
      - .offset:         200
        .size:           8
        .value_kind:     hidden_global_offset_z
      - .offset:         208
        .size:           2
        .value_kind:     hidden_grid_dims
      - .offset:         264
        .size:           4
        .value_kind:     hidden_dynamic_lds_size
    .group_segment_fixed_size: 496
    .kernarg_segment_align: 8
    .kernarg_segment_size: 400
    .language:       OpenCL C
    .language_version:
      - 2
      - 0
    .max_flat_workgroup_size: 1024
    .name:           _ZN4vllm25paged_attention_v2_kernelIfhLi120ELi32ELi128ELNS_18Fp8KVCacheDataTypeE1ELb0ELi512EEEvPfS2_PT_PKS3_PKT0_S9_ifPKiSB_iPKfiiiSD_SD_iiiii
    .private_segment_fixed_size: 0
    .sgpr_count:     52
    .sgpr_spill_count: 0
    .symbol:         _ZN4vllm25paged_attention_v2_kernelIfhLi120ELi32ELi128ELNS_18Fp8KVCacheDataTypeE1ELb0ELi512EEEvPfS2_PT_PKS3_PKT0_S9_ifPKiSB_iPKfiiiSD_SD_iiiii.kd
    .uniform_work_group_size: 1
    .uses_dynamic_stack: false
    .vgpr_count:     98
    .vgpr_spill_count: 0
    .wavefront_size: 64
  - .agpr_count:     0
    .args:
      - .actual_access:  write_only
        .address_space:  global
        .offset:         0
        .size:           8
        .value_kind:     global_buffer
      - .actual_access:  write_only
        .address_space:  global
        .offset:         8
        .size:           8
        .value_kind:     global_buffer
      - .actual_access:  write_only
        .address_space:  global
        .offset:         16
        .size:           8
        .value_kind:     global_buffer
      - .actual_access:  read_only
        .address_space:  global
        .offset:         24
        .size:           8
        .value_kind:     global_buffer
      - .actual_access:  read_only
        .address_space:  global
        .offset:         32
        .size:           8
        .value_kind:     global_buffer
      - .actual_access:  read_only
        .address_space:  global
        .offset:         40
        .size:           8
        .value_kind:     global_buffer
      - .offset:         48
        .size:           4
        .value_kind:     by_value
      - .offset:         52
        .size:           4
        .value_kind:     by_value
      - .actual_access:  read_only
        .address_space:  global
        .offset:         56
        .size:           8
        .value_kind:     global_buffer
      - .actual_access:  read_only
        .address_space:  global
        .offset:         64
        .size:           8
        .value_kind:     global_buffer
      - .offset:         72
        .size:           4
        .value_kind:     by_value
      - .actual_access:  read_only
        .address_space:  global
        .offset:         80
        .size:           8
        .value_kind:     global_buffer
      - .offset:         88
        .size:           4
        .value_kind:     by_value
      - .offset:         92
        .size:           4
        .value_kind:     by_value
      - .offset:         96
        .size:           4
        .value_kind:     by_value
      - .address_space:  global
        .offset:         104
        .size:           8
        .value_kind:     global_buffer
      - .address_space:  global
        .offset:         112
        .size:           8
        .value_kind:     global_buffer
      - .offset:         120
        .size:           4
        .value_kind:     by_value
      - .offset:         124
        .size:           4
        .value_kind:     by_value
      - .offset:         128
        .size:           4
        .value_kind:     by_value
      - .offset:         132
        .size:           4
        .value_kind:     by_value
      - .offset:         136
        .size:           4
        .value_kind:     by_value
      - .offset:         144
        .size:           4
        .value_kind:     hidden_block_count_x
      - .offset:         148
        .size:           4
        .value_kind:     hidden_block_count_y
      - .offset:         152
        .size:           4
        .value_kind:     hidden_block_count_z
      - .offset:         156
        .size:           2
        .value_kind:     hidden_group_size_x
      - .offset:         158
        .size:           2
        .value_kind:     hidden_group_size_y
      - .offset:         160
        .size:           2
        .value_kind:     hidden_group_size_z
      - .offset:         162
        .size:           2
        .value_kind:     hidden_remainder_x
      - .offset:         164
        .size:           2
        .value_kind:     hidden_remainder_y
      - .offset:         166
        .size:           2
        .value_kind:     hidden_remainder_z
      - .offset:         184
        .size:           8
        .value_kind:     hidden_global_offset_x
      - .offset:         192
        .size:           8
        .value_kind:     hidden_global_offset_y
      - .offset:         200
        .size:           8
        .value_kind:     hidden_global_offset_z
      - .offset:         208
        .size:           2
        .value_kind:     hidden_grid_dims
      - .offset:         264
        .size:           4
        .value_kind:     hidden_dynamic_lds_size
    .group_segment_fixed_size: 528
    .kernarg_segment_align: 8
    .kernarg_segment_size: 400
    .language:       OpenCL C
    .language_version:
      - 2
      - 0
    .max_flat_workgroup_size: 1024
    .name:           _ZN4vllm25paged_attention_v2_kernelIfhLi128ELi32ELi128ELNS_18Fp8KVCacheDataTypeE1ELb0ELi512EEEvPfS2_PT_PKS3_PKT0_S9_ifPKiSB_iPKfiiiSD_SD_iiiii
    .private_segment_fixed_size: 0
    .sgpr_count:     54
    .sgpr_spill_count: 0
    .symbol:         _ZN4vllm25paged_attention_v2_kernelIfhLi128ELi32ELi128ELNS_18Fp8KVCacheDataTypeE1ELb0ELi512EEEvPfS2_PT_PKS3_PKT0_S9_ifPKiSB_iPKfiiiSD_SD_iiiii.kd
    .uniform_work_group_size: 1
    .uses_dynamic_stack: false
    .vgpr_count:     110
    .vgpr_spill_count: 0
    .wavefront_size: 64
  - .agpr_count:     0
    .args:
      - .actual_access:  write_only
        .address_space:  global
        .offset:         0
        .size:           8
        .value_kind:     global_buffer
      - .actual_access:  write_only
        .address_space:  global
        .offset:         8
        .size:           8
        .value_kind:     global_buffer
      - .actual_access:  write_only
        .address_space:  global
        .offset:         16
        .size:           8
        .value_kind:     global_buffer
      - .actual_access:  read_only
        .address_space:  global
        .offset:         24
        .size:           8
        .value_kind:     global_buffer
      - .actual_access:  read_only
        .address_space:  global
        .offset:         32
        .size:           8
        .value_kind:     global_buffer
      - .actual_access:  read_only
        .address_space:  global
        .offset:         40
        .size:           8
        .value_kind:     global_buffer
      - .offset:         48
        .size:           4
        .value_kind:     by_value
      - .offset:         52
        .size:           4
        .value_kind:     by_value
      - .actual_access:  read_only
        .address_space:  global
        .offset:         56
        .size:           8
        .value_kind:     global_buffer
      - .actual_access:  read_only
        .address_space:  global
        .offset:         64
        .size:           8
        .value_kind:     global_buffer
      - .offset:         72
        .size:           4
        .value_kind:     by_value
      - .actual_access:  read_only
        .address_space:  global
        .offset:         80
        .size:           8
        .value_kind:     global_buffer
      - .offset:         88
        .size:           4
        .value_kind:     by_value
      - .offset:         92
        .size:           4
        .value_kind:     by_value
      - .offset:         96
        .size:           4
        .value_kind:     by_value
      - .address_space:  global
        .offset:         104
        .size:           8
        .value_kind:     global_buffer
      - .address_space:  global
        .offset:         112
        .size:           8
        .value_kind:     global_buffer
      - .offset:         120
        .size:           4
        .value_kind:     by_value
      - .offset:         124
        .size:           4
        .value_kind:     by_value
      - .offset:         128
        .size:           4
        .value_kind:     by_value
      - .offset:         132
        .size:           4
        .value_kind:     by_value
      - .offset:         136
        .size:           4
        .value_kind:     by_value
      - .offset:         144
        .size:           4
        .value_kind:     hidden_block_count_x
      - .offset:         148
        .size:           4
        .value_kind:     hidden_block_count_y
      - .offset:         152
        .size:           4
        .value_kind:     hidden_block_count_z
      - .offset:         156
        .size:           2
        .value_kind:     hidden_group_size_x
      - .offset:         158
        .size:           2
        .value_kind:     hidden_group_size_y
      - .offset:         160
        .size:           2
        .value_kind:     hidden_group_size_z
      - .offset:         162
        .size:           2
        .value_kind:     hidden_remainder_x
      - .offset:         164
        .size:           2
        .value_kind:     hidden_remainder_y
      - .offset:         166
        .size:           2
        .value_kind:     hidden_remainder_z
      - .offset:         184
        .size:           8
        .value_kind:     hidden_global_offset_x
      - .offset:         192
        .size:           8
        .value_kind:     hidden_global_offset_y
      - .offset:         200
        .size:           8
        .value_kind:     hidden_global_offset_z
      - .offset:         208
        .size:           2
        .value_kind:     hidden_grid_dims
      - .offset:         264
        .size:           4
        .value_kind:     hidden_dynamic_lds_size
    .group_segment_fixed_size: 784
    .kernarg_segment_align: 8
    .kernarg_segment_size: 400
    .language:       OpenCL C
    .language_version:
      - 2
      - 0
    .max_flat_workgroup_size: 1024
    .name:           _ZN4vllm25paged_attention_v2_kernelIfhLi192ELi32ELi128ELNS_18Fp8KVCacheDataTypeE1ELb0ELi512EEEvPfS2_PT_PKS3_PKT0_S9_ifPKiSB_iPKfiiiSD_SD_iiiii
    .private_segment_fixed_size: 140
    .sgpr_count:     61
    .sgpr_spill_count: 0
    .symbol:         _ZN4vllm25paged_attention_v2_kernelIfhLi192ELi32ELi128ELNS_18Fp8KVCacheDataTypeE1ELb0ELi512EEEvPfS2_PT_PKS3_PKT0_S9_ifPKiSB_iPKfiiiSD_SD_iiiii.kd
    .uniform_work_group_size: 1
    .uses_dynamic_stack: false
    .vgpr_count:     128
    .vgpr_spill_count: 41
    .wavefront_size: 64
  - .agpr_count:     0
    .args:
      - .actual_access:  write_only
        .address_space:  global
        .offset:         0
        .size:           8
        .value_kind:     global_buffer
      - .actual_access:  write_only
        .address_space:  global
        .offset:         8
        .size:           8
        .value_kind:     global_buffer
      - .actual_access:  write_only
        .address_space:  global
        .offset:         16
        .size:           8
        .value_kind:     global_buffer
      - .actual_access:  read_only
        .address_space:  global
        .offset:         24
        .size:           8
        .value_kind:     global_buffer
      - .actual_access:  read_only
        .address_space:  global
        .offset:         32
        .size:           8
        .value_kind:     global_buffer
      - .actual_access:  read_only
        .address_space:  global
        .offset:         40
        .size:           8
        .value_kind:     global_buffer
      - .offset:         48
        .size:           4
        .value_kind:     by_value
      - .offset:         52
        .size:           4
        .value_kind:     by_value
      - .actual_access:  read_only
        .address_space:  global
        .offset:         56
        .size:           8
        .value_kind:     global_buffer
      - .actual_access:  read_only
        .address_space:  global
        .offset:         64
        .size:           8
        .value_kind:     global_buffer
      - .offset:         72
        .size:           4
        .value_kind:     by_value
      - .actual_access:  read_only
        .address_space:  global
        .offset:         80
        .size:           8
        .value_kind:     global_buffer
      - .offset:         88
        .size:           4
        .value_kind:     by_value
      - .offset:         92
        .size:           4
        .value_kind:     by_value
      - .offset:         96
        .size:           4
        .value_kind:     by_value
      - .address_space:  global
        .offset:         104
        .size:           8
        .value_kind:     global_buffer
      - .address_space:  global
        .offset:         112
        .size:           8
        .value_kind:     global_buffer
      - .offset:         120
        .size:           4
        .value_kind:     by_value
      - .offset:         124
        .size:           4
        .value_kind:     by_value
      - .offset:         128
        .size:           4
        .value_kind:     by_value
      - .offset:         132
        .size:           4
        .value_kind:     by_value
      - .offset:         136
        .size:           4
        .value_kind:     by_value
      - .offset:         144
        .size:           4
        .value_kind:     hidden_block_count_x
      - .offset:         148
        .size:           4
        .value_kind:     hidden_block_count_y
      - .offset:         152
        .size:           4
        .value_kind:     hidden_block_count_z
      - .offset:         156
        .size:           2
        .value_kind:     hidden_group_size_x
      - .offset:         158
        .size:           2
        .value_kind:     hidden_group_size_y
      - .offset:         160
        .size:           2
        .value_kind:     hidden_group_size_z
      - .offset:         162
        .size:           2
        .value_kind:     hidden_remainder_x
      - .offset:         164
        .size:           2
        .value_kind:     hidden_remainder_y
      - .offset:         166
        .size:           2
        .value_kind:     hidden_remainder_z
      - .offset:         184
        .size:           8
        .value_kind:     hidden_global_offset_x
      - .offset:         192
        .size:           8
        .value_kind:     hidden_global_offset_y
      - .offset:         200
        .size:           8
        .value_kind:     hidden_global_offset_z
      - .offset:         208
        .size:           2
        .value_kind:     hidden_grid_dims
      - .offset:         264
        .size:           4
        .value_kind:     hidden_dynamic_lds_size
    .group_segment_fixed_size: 1040
    .kernarg_segment_align: 8
    .kernarg_segment_size: 400
    .language:       OpenCL C
    .language_version:
      - 2
      - 0
    .max_flat_workgroup_size: 1024
    .name:           _ZN4vllm25paged_attention_v2_kernelIfhLi256ELi32ELi128ELNS_18Fp8KVCacheDataTypeE1ELb0ELi512EEEvPfS2_PT_PKS3_PKT0_S9_ifPKiSB_iPKfiiiSD_SD_iiiii
    .private_segment_fixed_size: 392
    .sgpr_count:     69
    .sgpr_spill_count: 0
    .symbol:         _ZN4vllm25paged_attention_v2_kernelIfhLi256ELi32ELi128ELNS_18Fp8KVCacheDataTypeE1ELb0ELi512EEEvPfS2_PT_PKS3_PKT0_S9_ifPKiSB_iPKfiiiSD_SD_iiiii.kd
    .uniform_work_group_size: 1
    .uses_dynamic_stack: false
    .vgpr_count:     128
    .vgpr_spill_count: 158
    .wavefront_size: 64
  - .agpr_count:     0
    .args:
      - .actual_access:  write_only
        .address_space:  global
        .offset:         0
        .size:           8
        .value_kind:     global_buffer
      - .actual_access:  write_only
        .address_space:  global
        .offset:         8
        .size:           8
        .value_kind:     global_buffer
      - .actual_access:  write_only
        .address_space:  global
        .offset:         16
        .size:           8
        .value_kind:     global_buffer
      - .actual_access:  read_only
        .address_space:  global
        .offset:         24
        .size:           8
        .value_kind:     global_buffer
      - .actual_access:  read_only
        .address_space:  global
        .offset:         32
        .size:           8
        .value_kind:     global_buffer
      - .actual_access:  read_only
        .address_space:  global
        .offset:         40
        .size:           8
        .value_kind:     global_buffer
      - .offset:         48
        .size:           4
        .value_kind:     by_value
      - .offset:         52
        .size:           4
        .value_kind:     by_value
      - .actual_access:  read_only
        .address_space:  global
        .offset:         56
        .size:           8
        .value_kind:     global_buffer
      - .actual_access:  read_only
        .address_space:  global
        .offset:         64
        .size:           8
        .value_kind:     global_buffer
      - .offset:         72
        .size:           4
        .value_kind:     by_value
      - .actual_access:  read_only
        .address_space:  global
        .offset:         80
        .size:           8
        .value_kind:     global_buffer
      - .offset:         88
        .size:           4
        .value_kind:     by_value
      - .offset:         92
        .size:           4
        .value_kind:     by_value
      - .offset:         96
        .size:           4
        .value_kind:     by_value
      - .address_space:  global
        .offset:         104
        .size:           8
        .value_kind:     global_buffer
      - .address_space:  global
        .offset:         112
        .size:           8
        .value_kind:     global_buffer
      - .offset:         120
        .size:           4
        .value_kind:     by_value
      - .offset:         124
        .size:           4
        .value_kind:     by_value
      - .offset:         128
        .size:           4
        .value_kind:     by_value
      - .offset:         132
        .size:           4
        .value_kind:     by_value
      - .offset:         136
        .size:           4
        .value_kind:     by_value
      - .offset:         144
        .size:           4
        .value_kind:     hidden_block_count_x
      - .offset:         148
        .size:           4
        .value_kind:     hidden_block_count_y
      - .offset:         152
        .size:           4
        .value_kind:     hidden_block_count_z
      - .offset:         156
        .size:           2
        .value_kind:     hidden_group_size_x
      - .offset:         158
        .size:           2
        .value_kind:     hidden_group_size_y
      - .offset:         160
        .size:           2
        .value_kind:     hidden_group_size_z
      - .offset:         162
        .size:           2
        .value_kind:     hidden_remainder_x
      - .offset:         164
        .size:           2
        .value_kind:     hidden_remainder_y
      - .offset:         166
        .size:           2
        .value_kind:     hidden_remainder_z
      - .offset:         184
        .size:           8
        .value_kind:     hidden_global_offset_x
      - .offset:         192
        .size:           8
        .value_kind:     hidden_global_offset_y
      - .offset:         200
        .size:           8
        .value_kind:     hidden_global_offset_z
      - .offset:         208
        .size:           2
        .value_kind:     hidden_grid_dims
      - .offset:         264
        .size:           4
        .value_kind:     hidden_dynamic_lds_size
    .group_segment_fixed_size: 80
    .kernarg_segment_align: 8
    .kernarg_segment_size: 400
    .language:       OpenCL C
    .language_version:
      - 2
      - 0
    .max_flat_workgroup_size: 1024
    .name:           _ZN4vllm25paged_attention_v2_kernelIthLi32ELi8ELi128ELNS_18Fp8KVCacheDataTypeE1ELb1ELi512EEEvPfS2_PT_PKS3_PKT0_S9_ifPKiSB_iPKfiiiSD_SD_iiiii
    .private_segment_fixed_size: 0
    .sgpr_count:     62
    .sgpr_spill_count: 0
    .symbol:         _ZN4vllm25paged_attention_v2_kernelIthLi32ELi8ELi128ELNS_18Fp8KVCacheDataTypeE1ELb1ELi512EEEvPfS2_PT_PKS3_PKT0_S9_ifPKiSB_iPKfiiiSD_SD_iiiii.kd
    .uniform_work_group_size: 1
    .uses_dynamic_stack: false
    .vgpr_count:     35
    .vgpr_spill_count: 0
    .wavefront_size: 64
  - .agpr_count:     0
    .args:
      - .actual_access:  write_only
        .address_space:  global
        .offset:         0
        .size:           8
        .value_kind:     global_buffer
      - .actual_access:  write_only
        .address_space:  global
        .offset:         8
        .size:           8
        .value_kind:     global_buffer
      - .actual_access:  write_only
        .address_space:  global
        .offset:         16
        .size:           8
        .value_kind:     global_buffer
      - .actual_access:  read_only
        .address_space:  global
        .offset:         24
        .size:           8
        .value_kind:     global_buffer
      - .actual_access:  read_only
        .address_space:  global
        .offset:         32
        .size:           8
        .value_kind:     global_buffer
      - .actual_access:  read_only
        .address_space:  global
        .offset:         40
        .size:           8
        .value_kind:     global_buffer
      - .offset:         48
        .size:           4
        .value_kind:     by_value
      - .offset:         52
        .size:           4
        .value_kind:     by_value
      - .actual_access:  read_only
        .address_space:  global
        .offset:         56
        .size:           8
        .value_kind:     global_buffer
      - .actual_access:  read_only
        .address_space:  global
        .offset:         64
        .size:           8
        .value_kind:     global_buffer
      - .offset:         72
        .size:           4
        .value_kind:     by_value
      - .actual_access:  read_only
        .address_space:  global
        .offset:         80
        .size:           8
        .value_kind:     global_buffer
      - .offset:         88
        .size:           4
        .value_kind:     by_value
      - .offset:         92
        .size:           4
        .value_kind:     by_value
      - .offset:         96
        .size:           4
        .value_kind:     by_value
      - .address_space:  global
        .offset:         104
        .size:           8
        .value_kind:     global_buffer
      - .address_space:  global
        .offset:         112
        .size:           8
        .value_kind:     global_buffer
      - .offset:         120
        .size:           4
        .value_kind:     by_value
      - .offset:         124
        .size:           4
        .value_kind:     by_value
      - .offset:         128
        .size:           4
        .value_kind:     by_value
      - .offset:         132
        .size:           4
        .value_kind:     by_value
      - .offset:         136
        .size:           4
        .value_kind:     by_value
      - .offset:         144
        .size:           4
        .value_kind:     hidden_block_count_x
      - .offset:         148
        .size:           4
        .value_kind:     hidden_block_count_y
      - .offset:         152
        .size:           4
        .value_kind:     hidden_block_count_z
      - .offset:         156
        .size:           2
        .value_kind:     hidden_group_size_x
      - .offset:         158
        .size:           2
        .value_kind:     hidden_group_size_y
      - .offset:         160
        .size:           2
        .value_kind:     hidden_group_size_z
      - .offset:         162
        .size:           2
        .value_kind:     hidden_remainder_x
      - .offset:         164
        .size:           2
        .value_kind:     hidden_remainder_y
      - .offset:         166
        .size:           2
        .value_kind:     hidden_remainder_z
      - .offset:         184
        .size:           8
        .value_kind:     hidden_global_offset_x
      - .offset:         192
        .size:           8
        .value_kind:     hidden_global_offset_y
      - .offset:         200
        .size:           8
        .value_kind:     hidden_global_offset_z
      - .offset:         208
        .size:           2
        .value_kind:     hidden_grid_dims
      - .offset:         264
        .size:           4
        .value_kind:     hidden_dynamic_lds_size
    .group_segment_fixed_size: 144
    .kernarg_segment_align: 8
    .kernarg_segment_size: 400
    .language:       OpenCL C
    .language_version:
      - 2
      - 0
    .max_flat_workgroup_size: 1024
    .name:           _ZN4vllm25paged_attention_v2_kernelIthLi64ELi8ELi128ELNS_18Fp8KVCacheDataTypeE1ELb1ELi512EEEvPfS2_PT_PKS3_PKT0_S9_ifPKiSB_iPKfiiiSD_SD_iiiii
    .private_segment_fixed_size: 0
    .sgpr_count:     64
    .sgpr_spill_count: 0
    .symbol:         _ZN4vllm25paged_attention_v2_kernelIthLi64ELi8ELi128ELNS_18Fp8KVCacheDataTypeE1ELb1ELi512EEEvPfS2_PT_PKS3_PKT0_S9_ifPKiSB_iPKfiiiSD_SD_iiiii.kd
    .uniform_work_group_size: 1
    .uses_dynamic_stack: false
    .vgpr_count:     42
    .vgpr_spill_count: 0
    .wavefront_size: 64
  - .agpr_count:     0
    .args:
      - .actual_access:  write_only
        .address_space:  global
        .offset:         0
        .size:           8
        .value_kind:     global_buffer
      - .actual_access:  write_only
        .address_space:  global
        .offset:         8
        .size:           8
        .value_kind:     global_buffer
      - .actual_access:  write_only
        .address_space:  global
        .offset:         16
        .size:           8
        .value_kind:     global_buffer
      - .actual_access:  read_only
        .address_space:  global
        .offset:         24
        .size:           8
        .value_kind:     global_buffer
      - .actual_access:  read_only
        .address_space:  global
        .offset:         32
        .size:           8
        .value_kind:     global_buffer
      - .actual_access:  read_only
        .address_space:  global
        .offset:         40
        .size:           8
        .value_kind:     global_buffer
      - .offset:         48
        .size:           4
        .value_kind:     by_value
      - .offset:         52
        .size:           4
        .value_kind:     by_value
      - .actual_access:  read_only
        .address_space:  global
        .offset:         56
        .size:           8
        .value_kind:     global_buffer
      - .actual_access:  read_only
        .address_space:  global
        .offset:         64
        .size:           8
        .value_kind:     global_buffer
      - .offset:         72
        .size:           4
        .value_kind:     by_value
      - .actual_access:  read_only
        .address_space:  global
        .offset:         80
        .size:           8
        .value_kind:     global_buffer
      - .offset:         88
        .size:           4
        .value_kind:     by_value
      - .offset:         92
        .size:           4
        .value_kind:     by_value
      - .offset:         96
        .size:           4
        .value_kind:     by_value
      - .address_space:  global
        .offset:         104
        .size:           8
        .value_kind:     global_buffer
      - .address_space:  global
        .offset:         112
        .size:           8
        .value_kind:     global_buffer
      - .offset:         120
        .size:           4
        .value_kind:     by_value
      - .offset:         124
        .size:           4
        .value_kind:     by_value
      - .offset:         128
        .size:           4
        .value_kind:     by_value
      - .offset:         132
        .size:           4
        .value_kind:     by_value
      - .offset:         136
        .size:           4
        .value_kind:     by_value
      - .offset:         144
        .size:           4
        .value_kind:     hidden_block_count_x
      - .offset:         148
        .size:           4
        .value_kind:     hidden_block_count_y
      - .offset:         152
        .size:           4
        .value_kind:     hidden_block_count_z
      - .offset:         156
        .size:           2
        .value_kind:     hidden_group_size_x
      - .offset:         158
        .size:           2
        .value_kind:     hidden_group_size_y
      - .offset:         160
        .size:           2
        .value_kind:     hidden_group_size_z
      - .offset:         162
        .size:           2
        .value_kind:     hidden_remainder_x
      - .offset:         164
        .size:           2
        .value_kind:     hidden_remainder_y
      - .offset:         166
        .size:           2
        .value_kind:     hidden_remainder_z
      - .offset:         184
        .size:           8
        .value_kind:     hidden_global_offset_x
      - .offset:         192
        .size:           8
        .value_kind:     hidden_global_offset_y
      - .offset:         200
        .size:           8
        .value_kind:     hidden_global_offset_z
      - .offset:         208
        .size:           2
        .value_kind:     hidden_grid_dims
      - .offset:         264
        .size:           4
        .value_kind:     hidden_dynamic_lds_size
    .group_segment_fixed_size: 176
    .kernarg_segment_align: 8
    .kernarg_segment_size: 400
    .language:       OpenCL C
    .language_version:
      - 2
      - 0
    .max_flat_workgroup_size: 1024
    .name:           _ZN4vllm25paged_attention_v2_kernelIthLi80ELi8ELi128ELNS_18Fp8KVCacheDataTypeE1ELb1ELi512EEEvPfS2_PT_PKS3_PKT0_S9_ifPKiSB_iPKfiiiSD_SD_iiiii
    .private_segment_fixed_size: 0
    .sgpr_count:     64
    .sgpr_spill_count: 0
    .symbol:         _ZN4vllm25paged_attention_v2_kernelIthLi80ELi8ELi128ELNS_18Fp8KVCacheDataTypeE1ELb1ELi512EEEvPfS2_PT_PKS3_PKT0_S9_ifPKiSB_iPKfiiiSD_SD_iiiii.kd
    .uniform_work_group_size: 1
    .uses_dynamic_stack: false
    .vgpr_count:     46
    .vgpr_spill_count: 0
    .wavefront_size: 64
  - .agpr_count:     0
    .args:
      - .actual_access:  write_only
        .address_space:  global
        .offset:         0
        .size:           8
        .value_kind:     global_buffer
      - .actual_access:  write_only
        .address_space:  global
        .offset:         8
        .size:           8
        .value_kind:     global_buffer
      - .actual_access:  write_only
        .address_space:  global
        .offset:         16
        .size:           8
        .value_kind:     global_buffer
      - .actual_access:  read_only
        .address_space:  global
        .offset:         24
        .size:           8
        .value_kind:     global_buffer
      - .actual_access:  read_only
        .address_space:  global
        .offset:         32
        .size:           8
        .value_kind:     global_buffer
      - .actual_access:  read_only
        .address_space:  global
        .offset:         40
        .size:           8
        .value_kind:     global_buffer
      - .offset:         48
        .size:           4
        .value_kind:     by_value
      - .offset:         52
        .size:           4
        .value_kind:     by_value
      - .actual_access:  read_only
        .address_space:  global
        .offset:         56
        .size:           8
        .value_kind:     global_buffer
      - .actual_access:  read_only
        .address_space:  global
        .offset:         64
        .size:           8
        .value_kind:     global_buffer
      - .offset:         72
        .size:           4
        .value_kind:     by_value
      - .actual_access:  read_only
        .address_space:  global
        .offset:         80
        .size:           8
        .value_kind:     global_buffer
      - .offset:         88
        .size:           4
        .value_kind:     by_value
      - .offset:         92
        .size:           4
        .value_kind:     by_value
      - .offset:         96
        .size:           4
        .value_kind:     by_value
      - .address_space:  global
        .offset:         104
        .size:           8
        .value_kind:     global_buffer
      - .address_space:  global
        .offset:         112
        .size:           8
        .value_kind:     global_buffer
      - .offset:         120
        .size:           4
        .value_kind:     by_value
      - .offset:         124
        .size:           4
        .value_kind:     by_value
      - .offset:         128
        .size:           4
        .value_kind:     by_value
      - .offset:         132
        .size:           4
        .value_kind:     by_value
      - .offset:         136
        .size:           4
        .value_kind:     by_value
      - .offset:         144
        .size:           4
        .value_kind:     hidden_block_count_x
      - .offset:         148
        .size:           4
        .value_kind:     hidden_block_count_y
      - .offset:         152
        .size:           4
        .value_kind:     hidden_block_count_z
      - .offset:         156
        .size:           2
        .value_kind:     hidden_group_size_x
      - .offset:         158
        .size:           2
        .value_kind:     hidden_group_size_y
      - .offset:         160
        .size:           2
        .value_kind:     hidden_group_size_z
      - .offset:         162
        .size:           2
        .value_kind:     hidden_remainder_x
      - .offset:         164
        .size:           2
        .value_kind:     hidden_remainder_y
      - .offset:         166
        .size:           2
        .value_kind:     hidden_remainder_z
      - .offset:         184
        .size:           8
        .value_kind:     hidden_global_offset_x
      - .offset:         192
        .size:           8
        .value_kind:     hidden_global_offset_y
      - .offset:         200
        .size:           8
        .value_kind:     hidden_global_offset_z
      - .offset:         208
        .size:           2
        .value_kind:     hidden_grid_dims
      - .offset:         264
        .size:           4
        .value_kind:     hidden_dynamic_lds_size
    .group_segment_fixed_size: 208
    .kernarg_segment_align: 8
    .kernarg_segment_size: 400
    .language:       OpenCL C
    .language_version:
      - 2
      - 0
    .max_flat_workgroup_size: 1024
    .name:           _ZN4vllm25paged_attention_v2_kernelIthLi96ELi8ELi128ELNS_18Fp8KVCacheDataTypeE1ELb1ELi512EEEvPfS2_PT_PKS3_PKT0_S9_ifPKiSB_iPKfiiiSD_SD_iiiii
    .private_segment_fixed_size: 0
    .sgpr_count:     64
    .sgpr_spill_count: 0
    .symbol:         _ZN4vllm25paged_attention_v2_kernelIthLi96ELi8ELi128ELNS_18Fp8KVCacheDataTypeE1ELb1ELi512EEEvPfS2_PT_PKS3_PKT0_S9_ifPKiSB_iPKfiiiSD_SD_iiiii.kd
    .uniform_work_group_size: 1
    .uses_dynamic_stack: false
    .vgpr_count:     50
    .vgpr_spill_count: 0
    .wavefront_size: 64
  - .agpr_count:     0
    .args:
      - .actual_access:  write_only
        .address_space:  global
        .offset:         0
        .size:           8
        .value_kind:     global_buffer
      - .actual_access:  write_only
        .address_space:  global
        .offset:         8
        .size:           8
        .value_kind:     global_buffer
      - .actual_access:  write_only
        .address_space:  global
        .offset:         16
        .size:           8
        .value_kind:     global_buffer
      - .actual_access:  read_only
        .address_space:  global
        .offset:         24
        .size:           8
        .value_kind:     global_buffer
      - .actual_access:  read_only
        .address_space:  global
        .offset:         32
        .size:           8
        .value_kind:     global_buffer
      - .actual_access:  read_only
        .address_space:  global
        .offset:         40
        .size:           8
        .value_kind:     global_buffer
      - .offset:         48
        .size:           4
        .value_kind:     by_value
      - .offset:         52
        .size:           4
        .value_kind:     by_value
      - .actual_access:  read_only
        .address_space:  global
        .offset:         56
        .size:           8
        .value_kind:     global_buffer
      - .actual_access:  read_only
        .address_space:  global
        .offset:         64
        .size:           8
        .value_kind:     global_buffer
      - .offset:         72
        .size:           4
        .value_kind:     by_value
      - .actual_access:  read_only
        .address_space:  global
        .offset:         80
        .size:           8
        .value_kind:     global_buffer
      - .offset:         88
        .size:           4
        .value_kind:     by_value
      - .offset:         92
        .size:           4
        .value_kind:     by_value
      - .offset:         96
        .size:           4
        .value_kind:     by_value
      - .address_space:  global
        .offset:         104
        .size:           8
        .value_kind:     global_buffer
      - .address_space:  global
        .offset:         112
        .size:           8
        .value_kind:     global_buffer
      - .offset:         120
        .size:           4
        .value_kind:     by_value
      - .offset:         124
        .size:           4
        .value_kind:     by_value
      - .offset:         128
        .size:           4
        .value_kind:     by_value
      - .offset:         132
        .size:           4
        .value_kind:     by_value
      - .offset:         136
        .size:           4
        .value_kind:     by_value
      - .offset:         144
        .size:           4
        .value_kind:     hidden_block_count_x
      - .offset:         148
        .size:           4
        .value_kind:     hidden_block_count_y
      - .offset:         152
        .size:           4
        .value_kind:     hidden_block_count_z
      - .offset:         156
        .size:           2
        .value_kind:     hidden_group_size_x
      - .offset:         158
        .size:           2
        .value_kind:     hidden_group_size_y
      - .offset:         160
        .size:           2
        .value_kind:     hidden_group_size_z
      - .offset:         162
        .size:           2
        .value_kind:     hidden_remainder_x
      - .offset:         164
        .size:           2
        .value_kind:     hidden_remainder_y
      - .offset:         166
        .size:           2
        .value_kind:     hidden_remainder_z
      - .offset:         184
        .size:           8
        .value_kind:     hidden_global_offset_x
      - .offset:         192
        .size:           8
        .value_kind:     hidden_global_offset_y
      - .offset:         200
        .size:           8
        .value_kind:     hidden_global_offset_z
      - .offset:         208
        .size:           2
        .value_kind:     hidden_grid_dims
      - .offset:         264
        .size:           4
        .value_kind:     hidden_dynamic_lds_size
    .group_segment_fixed_size: 240
    .kernarg_segment_align: 8
    .kernarg_segment_size: 400
    .language:       OpenCL C
    .language_version:
      - 2
      - 0
    .max_flat_workgroup_size: 1024
    .name:           _ZN4vllm25paged_attention_v2_kernelIthLi112ELi8ELi128ELNS_18Fp8KVCacheDataTypeE1ELb1ELi512EEEvPfS2_PT_PKS3_PKT0_S9_ifPKiSB_iPKfiiiSD_SD_iiiii
    .private_segment_fixed_size: 0
    .sgpr_count:     64
    .sgpr_spill_count: 0
    .symbol:         _ZN4vllm25paged_attention_v2_kernelIthLi112ELi8ELi128ELNS_18Fp8KVCacheDataTypeE1ELb1ELi512EEEvPfS2_PT_PKS3_PKT0_S9_ifPKiSB_iPKfiiiSD_SD_iiiii.kd
    .uniform_work_group_size: 1
    .uses_dynamic_stack: false
    .vgpr_count:     53
    .vgpr_spill_count: 0
    .wavefront_size: 64
  - .agpr_count:     0
    .args:
      - .actual_access:  write_only
        .address_space:  global
        .offset:         0
        .size:           8
        .value_kind:     global_buffer
      - .actual_access:  write_only
        .address_space:  global
        .offset:         8
        .size:           8
        .value_kind:     global_buffer
      - .actual_access:  write_only
        .address_space:  global
        .offset:         16
        .size:           8
        .value_kind:     global_buffer
      - .actual_access:  read_only
        .address_space:  global
        .offset:         24
        .size:           8
        .value_kind:     global_buffer
      - .actual_access:  read_only
        .address_space:  global
        .offset:         32
        .size:           8
        .value_kind:     global_buffer
      - .actual_access:  read_only
        .address_space:  global
        .offset:         40
        .size:           8
        .value_kind:     global_buffer
      - .offset:         48
        .size:           4
        .value_kind:     by_value
      - .offset:         52
        .size:           4
        .value_kind:     by_value
      - .actual_access:  read_only
        .address_space:  global
        .offset:         56
        .size:           8
        .value_kind:     global_buffer
      - .actual_access:  read_only
        .address_space:  global
        .offset:         64
        .size:           8
        .value_kind:     global_buffer
      - .offset:         72
        .size:           4
        .value_kind:     by_value
      - .actual_access:  read_only
        .address_space:  global
        .offset:         80
        .size:           8
        .value_kind:     global_buffer
      - .offset:         88
        .size:           4
        .value_kind:     by_value
      - .offset:         92
        .size:           4
        .value_kind:     by_value
      - .offset:         96
        .size:           4
        .value_kind:     by_value
      - .address_space:  global
        .offset:         104
        .size:           8
        .value_kind:     global_buffer
      - .address_space:  global
        .offset:         112
        .size:           8
        .value_kind:     global_buffer
      - .offset:         120
        .size:           4
        .value_kind:     by_value
      - .offset:         124
        .size:           4
        .value_kind:     by_value
      - .offset:         128
        .size:           4
        .value_kind:     by_value
      - .offset:         132
        .size:           4
        .value_kind:     by_value
      - .offset:         136
        .size:           4
        .value_kind:     by_value
      - .offset:         144
        .size:           4
        .value_kind:     hidden_block_count_x
      - .offset:         148
        .size:           4
        .value_kind:     hidden_block_count_y
      - .offset:         152
        .size:           4
        .value_kind:     hidden_block_count_z
      - .offset:         156
        .size:           2
        .value_kind:     hidden_group_size_x
      - .offset:         158
        .size:           2
        .value_kind:     hidden_group_size_y
      - .offset:         160
        .size:           2
        .value_kind:     hidden_group_size_z
      - .offset:         162
        .size:           2
        .value_kind:     hidden_remainder_x
      - .offset:         164
        .size:           2
        .value_kind:     hidden_remainder_y
      - .offset:         166
        .size:           2
        .value_kind:     hidden_remainder_z
      - .offset:         184
        .size:           8
        .value_kind:     hidden_global_offset_x
      - .offset:         192
        .size:           8
        .value_kind:     hidden_global_offset_y
      - .offset:         200
        .size:           8
        .value_kind:     hidden_global_offset_z
      - .offset:         208
        .size:           2
        .value_kind:     hidden_grid_dims
      - .offset:         264
        .size:           4
        .value_kind:     hidden_dynamic_lds_size
    .group_segment_fixed_size: 256
    .kernarg_segment_align: 8
    .kernarg_segment_size: 400
    .language:       OpenCL C
    .language_version:
      - 2
      - 0
    .max_flat_workgroup_size: 1024
    .name:           _ZN4vllm25paged_attention_v2_kernelIthLi120ELi8ELi128ELNS_18Fp8KVCacheDataTypeE1ELb1ELi512EEEvPfS2_PT_PKS3_PKT0_S9_ifPKiSB_iPKfiiiSD_SD_iiiii
    .private_segment_fixed_size: 0
    .sgpr_count:     64
    .sgpr_spill_count: 0
    .symbol:         _ZN4vllm25paged_attention_v2_kernelIthLi120ELi8ELi128ELNS_18Fp8KVCacheDataTypeE1ELb1ELi512EEEvPfS2_PT_PKS3_PKT0_S9_ifPKiSB_iPKfiiiSD_SD_iiiii.kd
    .uniform_work_group_size: 1
    .uses_dynamic_stack: false
    .vgpr_count:     55
    .vgpr_spill_count: 0
    .wavefront_size: 64
  - .agpr_count:     0
    .args:
      - .actual_access:  write_only
        .address_space:  global
        .offset:         0
        .size:           8
        .value_kind:     global_buffer
      - .actual_access:  write_only
        .address_space:  global
        .offset:         8
        .size:           8
        .value_kind:     global_buffer
      - .actual_access:  write_only
        .address_space:  global
        .offset:         16
        .size:           8
        .value_kind:     global_buffer
      - .actual_access:  read_only
        .address_space:  global
        .offset:         24
        .size:           8
        .value_kind:     global_buffer
      - .actual_access:  read_only
        .address_space:  global
        .offset:         32
        .size:           8
        .value_kind:     global_buffer
      - .actual_access:  read_only
        .address_space:  global
        .offset:         40
        .size:           8
        .value_kind:     global_buffer
      - .offset:         48
        .size:           4
        .value_kind:     by_value
      - .offset:         52
        .size:           4
        .value_kind:     by_value
      - .actual_access:  read_only
        .address_space:  global
        .offset:         56
        .size:           8
        .value_kind:     global_buffer
      - .actual_access:  read_only
        .address_space:  global
        .offset:         64
        .size:           8
        .value_kind:     global_buffer
      - .offset:         72
        .size:           4
        .value_kind:     by_value
      - .actual_access:  read_only
        .address_space:  global
        .offset:         80
        .size:           8
        .value_kind:     global_buffer
      - .offset:         88
        .size:           4
        .value_kind:     by_value
      - .offset:         92
        .size:           4
        .value_kind:     by_value
      - .offset:         96
        .size:           4
        .value_kind:     by_value
      - .address_space:  global
        .offset:         104
        .size:           8
        .value_kind:     global_buffer
      - .address_space:  global
        .offset:         112
        .size:           8
        .value_kind:     global_buffer
      - .offset:         120
        .size:           4
        .value_kind:     by_value
      - .offset:         124
        .size:           4
        .value_kind:     by_value
      - .offset:         128
        .size:           4
        .value_kind:     by_value
      - .offset:         132
        .size:           4
        .value_kind:     by_value
      - .offset:         136
        .size:           4
        .value_kind:     by_value
      - .offset:         144
        .size:           4
        .value_kind:     hidden_block_count_x
      - .offset:         148
        .size:           4
        .value_kind:     hidden_block_count_y
      - .offset:         152
        .size:           4
        .value_kind:     hidden_block_count_z
      - .offset:         156
        .size:           2
        .value_kind:     hidden_group_size_x
      - .offset:         158
        .size:           2
        .value_kind:     hidden_group_size_y
      - .offset:         160
        .size:           2
        .value_kind:     hidden_group_size_z
      - .offset:         162
        .size:           2
        .value_kind:     hidden_remainder_x
      - .offset:         164
        .size:           2
        .value_kind:     hidden_remainder_y
      - .offset:         166
        .size:           2
        .value_kind:     hidden_remainder_z
      - .offset:         184
        .size:           8
        .value_kind:     hidden_global_offset_x
      - .offset:         192
        .size:           8
        .value_kind:     hidden_global_offset_y
      - .offset:         200
        .size:           8
        .value_kind:     hidden_global_offset_z
      - .offset:         208
        .size:           2
        .value_kind:     hidden_grid_dims
      - .offset:         264
        .size:           4
        .value_kind:     hidden_dynamic_lds_size
    .group_segment_fixed_size: 272
    .kernarg_segment_align: 8
    .kernarg_segment_size: 400
    .language:       OpenCL C
    .language_version:
      - 2
      - 0
    .max_flat_workgroup_size: 1024
    .name:           _ZN4vllm25paged_attention_v2_kernelIthLi128ELi8ELi128ELNS_18Fp8KVCacheDataTypeE1ELb1ELi512EEEvPfS2_PT_PKS3_PKT0_S9_ifPKiSB_iPKfiiiSD_SD_iiiii
    .private_segment_fixed_size: 0
    .sgpr_count:     62
    .sgpr_spill_count: 0
    .symbol:         _ZN4vllm25paged_attention_v2_kernelIthLi128ELi8ELi128ELNS_18Fp8KVCacheDataTypeE1ELb1ELi512EEEvPfS2_PT_PKS3_PKT0_S9_ifPKiSB_iPKfiiiSD_SD_iiiii.kd
    .uniform_work_group_size: 1
    .uses_dynamic_stack: false
    .vgpr_count:     57
    .vgpr_spill_count: 0
    .wavefront_size: 64
  - .agpr_count:     0
    .args:
      - .actual_access:  write_only
        .address_space:  global
        .offset:         0
        .size:           8
        .value_kind:     global_buffer
      - .actual_access:  write_only
        .address_space:  global
        .offset:         8
        .size:           8
        .value_kind:     global_buffer
      - .actual_access:  write_only
        .address_space:  global
        .offset:         16
        .size:           8
        .value_kind:     global_buffer
      - .actual_access:  read_only
        .address_space:  global
        .offset:         24
        .size:           8
        .value_kind:     global_buffer
      - .actual_access:  read_only
        .address_space:  global
        .offset:         32
        .size:           8
        .value_kind:     global_buffer
      - .actual_access:  read_only
        .address_space:  global
        .offset:         40
        .size:           8
        .value_kind:     global_buffer
      - .offset:         48
        .size:           4
        .value_kind:     by_value
      - .offset:         52
        .size:           4
        .value_kind:     by_value
      - .actual_access:  read_only
        .address_space:  global
        .offset:         56
        .size:           8
        .value_kind:     global_buffer
      - .actual_access:  read_only
        .address_space:  global
        .offset:         64
        .size:           8
        .value_kind:     global_buffer
      - .offset:         72
        .size:           4
        .value_kind:     by_value
      - .actual_access:  read_only
        .address_space:  global
        .offset:         80
        .size:           8
        .value_kind:     global_buffer
      - .offset:         88
        .size:           4
        .value_kind:     by_value
      - .offset:         92
        .size:           4
        .value_kind:     by_value
      - .offset:         96
        .size:           4
        .value_kind:     by_value
      - .address_space:  global
        .offset:         104
        .size:           8
        .value_kind:     global_buffer
      - .address_space:  global
        .offset:         112
        .size:           8
        .value_kind:     global_buffer
      - .offset:         120
        .size:           4
        .value_kind:     by_value
      - .offset:         124
        .size:           4
        .value_kind:     by_value
      - .offset:         128
        .size:           4
        .value_kind:     by_value
      - .offset:         132
        .size:           4
        .value_kind:     by_value
      - .offset:         136
        .size:           4
        .value_kind:     by_value
      - .offset:         144
        .size:           4
        .value_kind:     hidden_block_count_x
      - .offset:         148
        .size:           4
        .value_kind:     hidden_block_count_y
      - .offset:         152
        .size:           4
        .value_kind:     hidden_block_count_z
      - .offset:         156
        .size:           2
        .value_kind:     hidden_group_size_x
      - .offset:         158
        .size:           2
        .value_kind:     hidden_group_size_y
      - .offset:         160
        .size:           2
        .value_kind:     hidden_group_size_z
      - .offset:         162
        .size:           2
        .value_kind:     hidden_remainder_x
      - .offset:         164
        .size:           2
        .value_kind:     hidden_remainder_y
      - .offset:         166
        .size:           2
        .value_kind:     hidden_remainder_z
      - .offset:         184
        .size:           8
        .value_kind:     hidden_global_offset_x
      - .offset:         192
        .size:           8
        .value_kind:     hidden_global_offset_y
      - .offset:         200
        .size:           8
        .value_kind:     hidden_global_offset_z
      - .offset:         208
        .size:           2
        .value_kind:     hidden_grid_dims
      - .offset:         264
        .size:           4
        .value_kind:     hidden_dynamic_lds_size
    .group_segment_fixed_size: 400
    .kernarg_segment_align: 8
    .kernarg_segment_size: 400
    .language:       OpenCL C
    .language_version:
      - 2
      - 0
    .max_flat_workgroup_size: 1024
    .name:           _ZN4vllm25paged_attention_v2_kernelIthLi192ELi8ELi128ELNS_18Fp8KVCacheDataTypeE1ELb1ELi512EEEvPfS2_PT_PKS3_PKT0_S9_ifPKiSB_iPKfiiiSD_SD_iiiii
    .private_segment_fixed_size: 0
    .sgpr_count:     62
    .sgpr_spill_count: 0
    .symbol:         _ZN4vllm25paged_attention_v2_kernelIthLi192ELi8ELi128ELNS_18Fp8KVCacheDataTypeE1ELb1ELi512EEEvPfS2_PT_PKS3_PKT0_S9_ifPKiSB_iPKfiiiSD_SD_iiiii.kd
    .uniform_work_group_size: 1
    .uses_dynamic_stack: false
    .vgpr_count:     70
    .vgpr_spill_count: 0
    .wavefront_size: 64
  - .agpr_count:     0
    .args:
      - .actual_access:  write_only
        .address_space:  global
        .offset:         0
        .size:           8
        .value_kind:     global_buffer
      - .actual_access:  write_only
        .address_space:  global
        .offset:         8
        .size:           8
        .value_kind:     global_buffer
      - .actual_access:  write_only
        .address_space:  global
        .offset:         16
        .size:           8
        .value_kind:     global_buffer
      - .actual_access:  read_only
        .address_space:  global
        .offset:         24
        .size:           8
        .value_kind:     global_buffer
      - .actual_access:  read_only
        .address_space:  global
        .offset:         32
        .size:           8
        .value_kind:     global_buffer
      - .actual_access:  read_only
        .address_space:  global
        .offset:         40
        .size:           8
        .value_kind:     global_buffer
      - .offset:         48
        .size:           4
        .value_kind:     by_value
      - .offset:         52
        .size:           4
        .value_kind:     by_value
      - .actual_access:  read_only
        .address_space:  global
        .offset:         56
        .size:           8
        .value_kind:     global_buffer
      - .actual_access:  read_only
        .address_space:  global
        .offset:         64
        .size:           8
        .value_kind:     global_buffer
      - .offset:         72
        .size:           4
        .value_kind:     by_value
      - .actual_access:  read_only
        .address_space:  global
        .offset:         80
        .size:           8
        .value_kind:     global_buffer
      - .offset:         88
        .size:           4
        .value_kind:     by_value
      - .offset:         92
        .size:           4
        .value_kind:     by_value
      - .offset:         96
        .size:           4
        .value_kind:     by_value
      - .address_space:  global
        .offset:         104
        .size:           8
        .value_kind:     global_buffer
      - .address_space:  global
        .offset:         112
        .size:           8
        .value_kind:     global_buffer
      - .offset:         120
        .size:           4
        .value_kind:     by_value
      - .offset:         124
        .size:           4
        .value_kind:     by_value
      - .offset:         128
        .size:           4
        .value_kind:     by_value
      - .offset:         132
        .size:           4
        .value_kind:     by_value
      - .offset:         136
        .size:           4
        .value_kind:     by_value
      - .offset:         144
        .size:           4
        .value_kind:     hidden_block_count_x
      - .offset:         148
        .size:           4
        .value_kind:     hidden_block_count_y
      - .offset:         152
        .size:           4
        .value_kind:     hidden_block_count_z
      - .offset:         156
        .size:           2
        .value_kind:     hidden_group_size_x
      - .offset:         158
        .size:           2
        .value_kind:     hidden_group_size_y
      - .offset:         160
        .size:           2
        .value_kind:     hidden_group_size_z
      - .offset:         162
        .size:           2
        .value_kind:     hidden_remainder_x
      - .offset:         164
        .size:           2
        .value_kind:     hidden_remainder_y
      - .offset:         166
        .size:           2
        .value_kind:     hidden_remainder_z
      - .offset:         184
        .size:           8
        .value_kind:     hidden_global_offset_x
      - .offset:         192
        .size:           8
        .value_kind:     hidden_global_offset_y
      - .offset:         200
        .size:           8
        .value_kind:     hidden_global_offset_z
      - .offset:         208
        .size:           2
        .value_kind:     hidden_grid_dims
      - .offset:         264
        .size:           4
        .value_kind:     hidden_dynamic_lds_size
    .group_segment_fixed_size: 528
    .kernarg_segment_align: 8
    .kernarg_segment_size: 400
    .language:       OpenCL C
    .language_version:
      - 2
      - 0
    .max_flat_workgroup_size: 1024
    .name:           _ZN4vllm25paged_attention_v2_kernelIthLi256ELi8ELi128ELNS_18Fp8KVCacheDataTypeE1ELb1ELi512EEEvPfS2_PT_PKS3_PKT0_S9_ifPKiSB_iPKfiiiSD_SD_iiiii
    .private_segment_fixed_size: 0
    .sgpr_count:     62
    .sgpr_spill_count: 0
    .symbol:         _ZN4vllm25paged_attention_v2_kernelIthLi256ELi8ELi128ELNS_18Fp8KVCacheDataTypeE1ELb1ELi512EEEvPfS2_PT_PKS3_PKT0_S9_ifPKiSB_iPKfiiiSD_SD_iiiii.kd
    .uniform_work_group_size: 1
    .uses_dynamic_stack: false
    .vgpr_count:     84
    .vgpr_spill_count: 0
    .wavefront_size: 64
  - .agpr_count:     0
    .args:
      - .actual_access:  write_only
        .address_space:  global
        .offset:         0
        .size:           8
        .value_kind:     global_buffer
      - .actual_access:  write_only
        .address_space:  global
        .offset:         8
        .size:           8
        .value_kind:     global_buffer
      - .actual_access:  write_only
        .address_space:  global
        .offset:         16
        .size:           8
        .value_kind:     global_buffer
      - .actual_access:  read_only
        .address_space:  global
        .offset:         24
        .size:           8
        .value_kind:     global_buffer
      - .actual_access:  read_only
        .address_space:  global
        .offset:         32
        .size:           8
        .value_kind:     global_buffer
      - .actual_access:  read_only
        .address_space:  global
        .offset:         40
        .size:           8
        .value_kind:     global_buffer
      - .offset:         48
        .size:           4
        .value_kind:     by_value
      - .offset:         52
        .size:           4
        .value_kind:     by_value
      - .actual_access:  read_only
        .address_space:  global
        .offset:         56
        .size:           8
        .value_kind:     global_buffer
      - .actual_access:  read_only
        .address_space:  global
        .offset:         64
        .size:           8
        .value_kind:     global_buffer
      - .offset:         72
        .size:           4
        .value_kind:     by_value
      - .actual_access:  read_only
        .address_space:  global
        .offset:         80
        .size:           8
        .value_kind:     global_buffer
      - .offset:         88
        .size:           4
        .value_kind:     by_value
      - .offset:         92
        .size:           4
        .value_kind:     by_value
      - .offset:         96
        .size:           4
        .value_kind:     by_value
      - .address_space:  global
        .offset:         104
        .size:           8
        .value_kind:     global_buffer
      - .address_space:  global
        .offset:         112
        .size:           8
        .value_kind:     global_buffer
      - .offset:         120
        .size:           4
        .value_kind:     by_value
      - .offset:         124
        .size:           4
        .value_kind:     by_value
      - .offset:         128
        .size:           4
        .value_kind:     by_value
      - .offset:         132
        .size:           4
        .value_kind:     by_value
      - .offset:         136
        .size:           4
        .value_kind:     by_value
      - .offset:         144
        .size:           4
        .value_kind:     hidden_block_count_x
      - .offset:         148
        .size:           4
        .value_kind:     hidden_block_count_y
      - .offset:         152
        .size:           4
        .value_kind:     hidden_block_count_z
      - .offset:         156
        .size:           2
        .value_kind:     hidden_group_size_x
      - .offset:         158
        .size:           2
        .value_kind:     hidden_group_size_y
      - .offset:         160
        .size:           2
        .value_kind:     hidden_group_size_z
      - .offset:         162
        .size:           2
        .value_kind:     hidden_remainder_x
      - .offset:         164
        .size:           2
        .value_kind:     hidden_remainder_y
      - .offset:         166
        .size:           2
        .value_kind:     hidden_remainder_z
      - .offset:         184
        .size:           8
        .value_kind:     hidden_global_offset_x
      - .offset:         192
        .size:           8
        .value_kind:     hidden_global_offset_y
      - .offset:         200
        .size:           8
        .value_kind:     hidden_global_offset_z
      - .offset:         208
        .size:           2
        .value_kind:     hidden_grid_dims
      - .offset:         264
        .size:           4
        .value_kind:     hidden_dynamic_lds_size
    .group_segment_fixed_size: 80
    .kernarg_segment_align: 8
    .kernarg_segment_size: 400
    .language:       OpenCL C
    .language_version:
      - 2
      - 0
    .max_flat_workgroup_size: 1024
    .name:           _ZN4vllm25paged_attention_v2_kernelIthLi32ELi8ELi128ELNS_18Fp8KVCacheDataTypeE1ELb0ELi512EEEvPfS2_PT_PKS3_PKT0_S9_ifPKiSB_iPKfiiiSD_SD_iiiii
    .private_segment_fixed_size: 0
    .sgpr_count:     52
    .sgpr_spill_count: 0
    .symbol:         _ZN4vllm25paged_attention_v2_kernelIthLi32ELi8ELi128ELNS_18Fp8KVCacheDataTypeE1ELb0ELi512EEEvPfS2_PT_PKS3_PKT0_S9_ifPKiSB_iPKfiiiSD_SD_iiiii.kd
    .uniform_work_group_size: 1
    .uses_dynamic_stack: false
    .vgpr_count:     34
    .vgpr_spill_count: 0
    .wavefront_size: 64
  - .agpr_count:     0
    .args:
      - .actual_access:  write_only
        .address_space:  global
        .offset:         0
        .size:           8
        .value_kind:     global_buffer
      - .actual_access:  write_only
        .address_space:  global
        .offset:         8
        .size:           8
        .value_kind:     global_buffer
      - .actual_access:  write_only
        .address_space:  global
        .offset:         16
        .size:           8
        .value_kind:     global_buffer
      - .actual_access:  read_only
        .address_space:  global
        .offset:         24
        .size:           8
        .value_kind:     global_buffer
      - .actual_access:  read_only
        .address_space:  global
        .offset:         32
        .size:           8
        .value_kind:     global_buffer
      - .actual_access:  read_only
        .address_space:  global
        .offset:         40
        .size:           8
        .value_kind:     global_buffer
      - .offset:         48
        .size:           4
        .value_kind:     by_value
      - .offset:         52
        .size:           4
        .value_kind:     by_value
      - .actual_access:  read_only
        .address_space:  global
        .offset:         56
        .size:           8
        .value_kind:     global_buffer
      - .actual_access:  read_only
        .address_space:  global
        .offset:         64
        .size:           8
        .value_kind:     global_buffer
      - .offset:         72
        .size:           4
        .value_kind:     by_value
      - .actual_access:  read_only
        .address_space:  global
        .offset:         80
        .size:           8
        .value_kind:     global_buffer
      - .offset:         88
        .size:           4
        .value_kind:     by_value
      - .offset:         92
        .size:           4
        .value_kind:     by_value
      - .offset:         96
        .size:           4
        .value_kind:     by_value
      - .address_space:  global
        .offset:         104
        .size:           8
        .value_kind:     global_buffer
      - .address_space:  global
        .offset:         112
        .size:           8
        .value_kind:     global_buffer
      - .offset:         120
        .size:           4
        .value_kind:     by_value
      - .offset:         124
        .size:           4
        .value_kind:     by_value
      - .offset:         128
        .size:           4
        .value_kind:     by_value
      - .offset:         132
        .size:           4
        .value_kind:     by_value
      - .offset:         136
        .size:           4
        .value_kind:     by_value
      - .offset:         144
        .size:           4
        .value_kind:     hidden_block_count_x
      - .offset:         148
        .size:           4
        .value_kind:     hidden_block_count_y
      - .offset:         152
        .size:           4
        .value_kind:     hidden_block_count_z
      - .offset:         156
        .size:           2
        .value_kind:     hidden_group_size_x
      - .offset:         158
        .size:           2
        .value_kind:     hidden_group_size_y
      - .offset:         160
        .size:           2
        .value_kind:     hidden_group_size_z
      - .offset:         162
        .size:           2
        .value_kind:     hidden_remainder_x
      - .offset:         164
        .size:           2
        .value_kind:     hidden_remainder_y
      - .offset:         166
        .size:           2
        .value_kind:     hidden_remainder_z
      - .offset:         184
        .size:           8
        .value_kind:     hidden_global_offset_x
      - .offset:         192
        .size:           8
        .value_kind:     hidden_global_offset_y
      - .offset:         200
        .size:           8
        .value_kind:     hidden_global_offset_z
      - .offset:         208
        .size:           2
        .value_kind:     hidden_grid_dims
      - .offset:         264
        .size:           4
        .value_kind:     hidden_dynamic_lds_size
    .group_segment_fixed_size: 144
    .kernarg_segment_align: 8
    .kernarg_segment_size: 400
    .language:       OpenCL C
    .language_version:
      - 2
      - 0
    .max_flat_workgroup_size: 1024
    .name:           _ZN4vllm25paged_attention_v2_kernelIthLi64ELi8ELi128ELNS_18Fp8KVCacheDataTypeE1ELb0ELi512EEEvPfS2_PT_PKS3_PKT0_S9_ifPKiSB_iPKfiiiSD_SD_iiiii
    .private_segment_fixed_size: 0
    .sgpr_count:     54
    .sgpr_spill_count: 0
    .symbol:         _ZN4vllm25paged_attention_v2_kernelIthLi64ELi8ELi128ELNS_18Fp8KVCacheDataTypeE1ELb0ELi512EEEvPfS2_PT_PKS3_PKT0_S9_ifPKiSB_iPKfiiiSD_SD_iiiii.kd
    .uniform_work_group_size: 1
    .uses_dynamic_stack: false
    .vgpr_count:     36
    .vgpr_spill_count: 0
    .wavefront_size: 64
  - .agpr_count:     0
    .args:
      - .actual_access:  write_only
        .address_space:  global
        .offset:         0
        .size:           8
        .value_kind:     global_buffer
      - .actual_access:  write_only
        .address_space:  global
        .offset:         8
        .size:           8
        .value_kind:     global_buffer
      - .actual_access:  write_only
        .address_space:  global
        .offset:         16
        .size:           8
        .value_kind:     global_buffer
      - .actual_access:  read_only
        .address_space:  global
        .offset:         24
        .size:           8
        .value_kind:     global_buffer
      - .actual_access:  read_only
        .address_space:  global
        .offset:         32
        .size:           8
        .value_kind:     global_buffer
      - .actual_access:  read_only
        .address_space:  global
        .offset:         40
        .size:           8
        .value_kind:     global_buffer
      - .offset:         48
        .size:           4
        .value_kind:     by_value
      - .offset:         52
        .size:           4
        .value_kind:     by_value
      - .actual_access:  read_only
        .address_space:  global
        .offset:         56
        .size:           8
        .value_kind:     global_buffer
      - .actual_access:  read_only
        .address_space:  global
        .offset:         64
        .size:           8
        .value_kind:     global_buffer
      - .offset:         72
        .size:           4
        .value_kind:     by_value
      - .actual_access:  read_only
        .address_space:  global
        .offset:         80
        .size:           8
        .value_kind:     global_buffer
      - .offset:         88
        .size:           4
        .value_kind:     by_value
      - .offset:         92
        .size:           4
        .value_kind:     by_value
      - .offset:         96
        .size:           4
        .value_kind:     by_value
      - .address_space:  global
        .offset:         104
        .size:           8
        .value_kind:     global_buffer
      - .address_space:  global
        .offset:         112
        .size:           8
        .value_kind:     global_buffer
      - .offset:         120
        .size:           4
        .value_kind:     by_value
      - .offset:         124
        .size:           4
        .value_kind:     by_value
      - .offset:         128
        .size:           4
        .value_kind:     by_value
      - .offset:         132
        .size:           4
        .value_kind:     by_value
      - .offset:         136
        .size:           4
        .value_kind:     by_value
      - .offset:         144
        .size:           4
        .value_kind:     hidden_block_count_x
      - .offset:         148
        .size:           4
        .value_kind:     hidden_block_count_y
      - .offset:         152
        .size:           4
        .value_kind:     hidden_block_count_z
      - .offset:         156
        .size:           2
        .value_kind:     hidden_group_size_x
      - .offset:         158
        .size:           2
        .value_kind:     hidden_group_size_y
      - .offset:         160
        .size:           2
        .value_kind:     hidden_group_size_z
      - .offset:         162
        .size:           2
        .value_kind:     hidden_remainder_x
      - .offset:         164
        .size:           2
        .value_kind:     hidden_remainder_y
      - .offset:         166
        .size:           2
        .value_kind:     hidden_remainder_z
      - .offset:         184
        .size:           8
        .value_kind:     hidden_global_offset_x
      - .offset:         192
        .size:           8
        .value_kind:     hidden_global_offset_y
      - .offset:         200
        .size:           8
        .value_kind:     hidden_global_offset_z
      - .offset:         208
        .size:           2
        .value_kind:     hidden_grid_dims
      - .offset:         264
        .size:           4
        .value_kind:     hidden_dynamic_lds_size
    .group_segment_fixed_size: 176
    .kernarg_segment_align: 8
    .kernarg_segment_size: 400
    .language:       OpenCL C
    .language_version:
      - 2
      - 0
    .max_flat_workgroup_size: 1024
    .name:           _ZN4vllm25paged_attention_v2_kernelIthLi80ELi8ELi128ELNS_18Fp8KVCacheDataTypeE1ELb0ELi512EEEvPfS2_PT_PKS3_PKT0_S9_ifPKiSB_iPKfiiiSD_SD_iiiii
    .private_segment_fixed_size: 0
    .sgpr_count:     54
    .sgpr_spill_count: 0
    .symbol:         _ZN4vllm25paged_attention_v2_kernelIthLi80ELi8ELi128ELNS_18Fp8KVCacheDataTypeE1ELb0ELi512EEEvPfS2_PT_PKS3_PKT0_S9_ifPKiSB_iPKfiiiSD_SD_iiiii.kd
    .uniform_work_group_size: 1
    .uses_dynamic_stack: false
    .vgpr_count:     42
    .vgpr_spill_count: 0
    .wavefront_size: 64
  - .agpr_count:     0
    .args:
      - .actual_access:  write_only
        .address_space:  global
        .offset:         0
        .size:           8
        .value_kind:     global_buffer
      - .actual_access:  write_only
        .address_space:  global
        .offset:         8
        .size:           8
        .value_kind:     global_buffer
      - .actual_access:  write_only
        .address_space:  global
        .offset:         16
        .size:           8
        .value_kind:     global_buffer
      - .actual_access:  read_only
        .address_space:  global
        .offset:         24
        .size:           8
        .value_kind:     global_buffer
      - .actual_access:  read_only
        .address_space:  global
        .offset:         32
        .size:           8
        .value_kind:     global_buffer
      - .actual_access:  read_only
        .address_space:  global
        .offset:         40
        .size:           8
        .value_kind:     global_buffer
      - .offset:         48
        .size:           4
        .value_kind:     by_value
      - .offset:         52
        .size:           4
        .value_kind:     by_value
      - .actual_access:  read_only
        .address_space:  global
        .offset:         56
        .size:           8
        .value_kind:     global_buffer
      - .actual_access:  read_only
        .address_space:  global
        .offset:         64
        .size:           8
        .value_kind:     global_buffer
      - .offset:         72
        .size:           4
        .value_kind:     by_value
      - .actual_access:  read_only
        .address_space:  global
        .offset:         80
        .size:           8
        .value_kind:     global_buffer
      - .offset:         88
        .size:           4
        .value_kind:     by_value
      - .offset:         92
        .size:           4
        .value_kind:     by_value
      - .offset:         96
        .size:           4
        .value_kind:     by_value
      - .address_space:  global
        .offset:         104
        .size:           8
        .value_kind:     global_buffer
      - .address_space:  global
        .offset:         112
        .size:           8
        .value_kind:     global_buffer
      - .offset:         120
        .size:           4
        .value_kind:     by_value
      - .offset:         124
        .size:           4
        .value_kind:     by_value
      - .offset:         128
        .size:           4
        .value_kind:     by_value
      - .offset:         132
        .size:           4
        .value_kind:     by_value
      - .offset:         136
        .size:           4
        .value_kind:     by_value
      - .offset:         144
        .size:           4
        .value_kind:     hidden_block_count_x
      - .offset:         148
        .size:           4
        .value_kind:     hidden_block_count_y
      - .offset:         152
        .size:           4
        .value_kind:     hidden_block_count_z
      - .offset:         156
        .size:           2
        .value_kind:     hidden_group_size_x
      - .offset:         158
        .size:           2
        .value_kind:     hidden_group_size_y
      - .offset:         160
        .size:           2
        .value_kind:     hidden_group_size_z
      - .offset:         162
        .size:           2
        .value_kind:     hidden_remainder_x
      - .offset:         164
        .size:           2
        .value_kind:     hidden_remainder_y
      - .offset:         166
        .size:           2
        .value_kind:     hidden_remainder_z
      - .offset:         184
        .size:           8
        .value_kind:     hidden_global_offset_x
      - .offset:         192
        .size:           8
        .value_kind:     hidden_global_offset_y
      - .offset:         200
        .size:           8
        .value_kind:     hidden_global_offset_z
      - .offset:         208
        .size:           2
        .value_kind:     hidden_grid_dims
      - .offset:         264
        .size:           4
        .value_kind:     hidden_dynamic_lds_size
    .group_segment_fixed_size: 208
    .kernarg_segment_align: 8
    .kernarg_segment_size: 400
    .language:       OpenCL C
    .language_version:
      - 2
      - 0
    .max_flat_workgroup_size: 1024
    .name:           _ZN4vllm25paged_attention_v2_kernelIthLi96ELi8ELi128ELNS_18Fp8KVCacheDataTypeE1ELb0ELi512EEEvPfS2_PT_PKS3_PKT0_S9_ifPKiSB_iPKfiiiSD_SD_iiiii
    .private_segment_fixed_size: 0
    .sgpr_count:     54
    .sgpr_spill_count: 0
    .symbol:         _ZN4vllm25paged_attention_v2_kernelIthLi96ELi8ELi128ELNS_18Fp8KVCacheDataTypeE1ELb0ELi512EEEvPfS2_PT_PKS3_PKT0_S9_ifPKiSB_iPKfiiiSD_SD_iiiii.kd
    .uniform_work_group_size: 1
    .uses_dynamic_stack: false
    .vgpr_count:     44
    .vgpr_spill_count: 0
    .wavefront_size: 64
  - .agpr_count:     0
    .args:
      - .actual_access:  write_only
        .address_space:  global
        .offset:         0
        .size:           8
        .value_kind:     global_buffer
      - .actual_access:  write_only
        .address_space:  global
        .offset:         8
        .size:           8
        .value_kind:     global_buffer
      - .actual_access:  write_only
        .address_space:  global
        .offset:         16
        .size:           8
        .value_kind:     global_buffer
      - .actual_access:  read_only
        .address_space:  global
        .offset:         24
        .size:           8
        .value_kind:     global_buffer
      - .actual_access:  read_only
        .address_space:  global
        .offset:         32
        .size:           8
        .value_kind:     global_buffer
      - .actual_access:  read_only
        .address_space:  global
        .offset:         40
        .size:           8
        .value_kind:     global_buffer
      - .offset:         48
        .size:           4
        .value_kind:     by_value
      - .offset:         52
        .size:           4
        .value_kind:     by_value
      - .actual_access:  read_only
        .address_space:  global
        .offset:         56
        .size:           8
        .value_kind:     global_buffer
      - .actual_access:  read_only
        .address_space:  global
        .offset:         64
        .size:           8
        .value_kind:     global_buffer
      - .offset:         72
        .size:           4
        .value_kind:     by_value
      - .actual_access:  read_only
        .address_space:  global
        .offset:         80
        .size:           8
        .value_kind:     global_buffer
      - .offset:         88
        .size:           4
        .value_kind:     by_value
      - .offset:         92
        .size:           4
        .value_kind:     by_value
      - .offset:         96
        .size:           4
        .value_kind:     by_value
      - .address_space:  global
        .offset:         104
        .size:           8
        .value_kind:     global_buffer
      - .address_space:  global
        .offset:         112
        .size:           8
        .value_kind:     global_buffer
      - .offset:         120
        .size:           4
        .value_kind:     by_value
      - .offset:         124
        .size:           4
        .value_kind:     by_value
      - .offset:         128
        .size:           4
        .value_kind:     by_value
      - .offset:         132
        .size:           4
        .value_kind:     by_value
      - .offset:         136
        .size:           4
        .value_kind:     by_value
      - .offset:         144
        .size:           4
        .value_kind:     hidden_block_count_x
      - .offset:         148
        .size:           4
        .value_kind:     hidden_block_count_y
      - .offset:         152
        .size:           4
        .value_kind:     hidden_block_count_z
      - .offset:         156
        .size:           2
        .value_kind:     hidden_group_size_x
      - .offset:         158
        .size:           2
        .value_kind:     hidden_group_size_y
      - .offset:         160
        .size:           2
        .value_kind:     hidden_group_size_z
      - .offset:         162
        .size:           2
        .value_kind:     hidden_remainder_x
      - .offset:         164
        .size:           2
        .value_kind:     hidden_remainder_y
      - .offset:         166
        .size:           2
        .value_kind:     hidden_remainder_z
      - .offset:         184
        .size:           8
        .value_kind:     hidden_global_offset_x
      - .offset:         192
        .size:           8
        .value_kind:     hidden_global_offset_y
      - .offset:         200
        .size:           8
        .value_kind:     hidden_global_offset_z
      - .offset:         208
        .size:           2
        .value_kind:     hidden_grid_dims
      - .offset:         264
        .size:           4
        .value_kind:     hidden_dynamic_lds_size
    .group_segment_fixed_size: 240
    .kernarg_segment_align: 8
    .kernarg_segment_size: 400
    .language:       OpenCL C
    .language_version:
      - 2
      - 0
    .max_flat_workgroup_size: 1024
    .name:           _ZN4vllm25paged_attention_v2_kernelIthLi112ELi8ELi128ELNS_18Fp8KVCacheDataTypeE1ELb0ELi512EEEvPfS2_PT_PKS3_PKT0_S9_ifPKiSB_iPKfiiiSD_SD_iiiii
    .private_segment_fixed_size: 0
    .sgpr_count:     54
    .sgpr_spill_count: 0
    .symbol:         _ZN4vllm25paged_attention_v2_kernelIthLi112ELi8ELi128ELNS_18Fp8KVCacheDataTypeE1ELb0ELi512EEEvPfS2_PT_PKS3_PKT0_S9_ifPKiSB_iPKfiiiSD_SD_iiiii.kd
    .uniform_work_group_size: 1
    .uses_dynamic_stack: false
    .vgpr_count:     47
    .vgpr_spill_count: 0
    .wavefront_size: 64
  - .agpr_count:     0
    .args:
      - .actual_access:  write_only
        .address_space:  global
        .offset:         0
        .size:           8
        .value_kind:     global_buffer
      - .actual_access:  write_only
        .address_space:  global
        .offset:         8
        .size:           8
        .value_kind:     global_buffer
      - .actual_access:  write_only
        .address_space:  global
        .offset:         16
        .size:           8
        .value_kind:     global_buffer
      - .actual_access:  read_only
        .address_space:  global
        .offset:         24
        .size:           8
        .value_kind:     global_buffer
      - .actual_access:  read_only
        .address_space:  global
        .offset:         32
        .size:           8
        .value_kind:     global_buffer
      - .actual_access:  read_only
        .address_space:  global
        .offset:         40
        .size:           8
        .value_kind:     global_buffer
      - .offset:         48
        .size:           4
        .value_kind:     by_value
      - .offset:         52
        .size:           4
        .value_kind:     by_value
      - .actual_access:  read_only
        .address_space:  global
        .offset:         56
        .size:           8
        .value_kind:     global_buffer
      - .actual_access:  read_only
        .address_space:  global
        .offset:         64
        .size:           8
        .value_kind:     global_buffer
      - .offset:         72
        .size:           4
        .value_kind:     by_value
      - .actual_access:  read_only
        .address_space:  global
        .offset:         80
        .size:           8
        .value_kind:     global_buffer
      - .offset:         88
        .size:           4
        .value_kind:     by_value
      - .offset:         92
        .size:           4
        .value_kind:     by_value
      - .offset:         96
        .size:           4
        .value_kind:     by_value
      - .address_space:  global
        .offset:         104
        .size:           8
        .value_kind:     global_buffer
      - .address_space:  global
        .offset:         112
        .size:           8
        .value_kind:     global_buffer
      - .offset:         120
        .size:           4
        .value_kind:     by_value
      - .offset:         124
        .size:           4
        .value_kind:     by_value
      - .offset:         128
        .size:           4
        .value_kind:     by_value
      - .offset:         132
        .size:           4
        .value_kind:     by_value
      - .offset:         136
        .size:           4
        .value_kind:     by_value
      - .offset:         144
        .size:           4
        .value_kind:     hidden_block_count_x
      - .offset:         148
        .size:           4
        .value_kind:     hidden_block_count_y
      - .offset:         152
        .size:           4
        .value_kind:     hidden_block_count_z
      - .offset:         156
        .size:           2
        .value_kind:     hidden_group_size_x
      - .offset:         158
        .size:           2
        .value_kind:     hidden_group_size_y
      - .offset:         160
        .size:           2
        .value_kind:     hidden_group_size_z
      - .offset:         162
        .size:           2
        .value_kind:     hidden_remainder_x
      - .offset:         164
        .size:           2
        .value_kind:     hidden_remainder_y
      - .offset:         166
        .size:           2
        .value_kind:     hidden_remainder_z
      - .offset:         184
        .size:           8
        .value_kind:     hidden_global_offset_x
      - .offset:         192
        .size:           8
        .value_kind:     hidden_global_offset_y
      - .offset:         200
        .size:           8
        .value_kind:     hidden_global_offset_z
      - .offset:         208
        .size:           2
        .value_kind:     hidden_grid_dims
      - .offset:         264
        .size:           4
        .value_kind:     hidden_dynamic_lds_size
    .group_segment_fixed_size: 256
    .kernarg_segment_align: 8
    .kernarg_segment_size: 400
    .language:       OpenCL C
    .language_version:
      - 2
      - 0
    .max_flat_workgroup_size: 1024
    .name:           _ZN4vllm25paged_attention_v2_kernelIthLi120ELi8ELi128ELNS_18Fp8KVCacheDataTypeE1ELb0ELi512EEEvPfS2_PT_PKS3_PKT0_S9_ifPKiSB_iPKfiiiSD_SD_iiiii
    .private_segment_fixed_size: 0
    .sgpr_count:     54
    .sgpr_spill_count: 0
    .symbol:         _ZN4vllm25paged_attention_v2_kernelIthLi120ELi8ELi128ELNS_18Fp8KVCacheDataTypeE1ELb0ELi512EEEvPfS2_PT_PKS3_PKT0_S9_ifPKiSB_iPKfiiiSD_SD_iiiii.kd
    .uniform_work_group_size: 1
    .uses_dynamic_stack: false
    .vgpr_count:     49
    .vgpr_spill_count: 0
    .wavefront_size: 64
  - .agpr_count:     0
    .args:
      - .actual_access:  write_only
        .address_space:  global
        .offset:         0
        .size:           8
        .value_kind:     global_buffer
      - .actual_access:  write_only
        .address_space:  global
        .offset:         8
        .size:           8
        .value_kind:     global_buffer
      - .actual_access:  write_only
        .address_space:  global
        .offset:         16
        .size:           8
        .value_kind:     global_buffer
      - .actual_access:  read_only
        .address_space:  global
        .offset:         24
        .size:           8
        .value_kind:     global_buffer
      - .actual_access:  read_only
        .address_space:  global
        .offset:         32
        .size:           8
        .value_kind:     global_buffer
      - .actual_access:  read_only
        .address_space:  global
        .offset:         40
        .size:           8
        .value_kind:     global_buffer
      - .offset:         48
        .size:           4
        .value_kind:     by_value
      - .offset:         52
        .size:           4
        .value_kind:     by_value
      - .actual_access:  read_only
        .address_space:  global
        .offset:         56
        .size:           8
        .value_kind:     global_buffer
      - .actual_access:  read_only
        .address_space:  global
        .offset:         64
        .size:           8
        .value_kind:     global_buffer
      - .offset:         72
        .size:           4
        .value_kind:     by_value
      - .actual_access:  read_only
        .address_space:  global
        .offset:         80
        .size:           8
        .value_kind:     global_buffer
      - .offset:         88
        .size:           4
        .value_kind:     by_value
      - .offset:         92
        .size:           4
        .value_kind:     by_value
      - .offset:         96
        .size:           4
        .value_kind:     by_value
      - .address_space:  global
        .offset:         104
        .size:           8
        .value_kind:     global_buffer
      - .address_space:  global
        .offset:         112
        .size:           8
        .value_kind:     global_buffer
      - .offset:         120
        .size:           4
        .value_kind:     by_value
      - .offset:         124
        .size:           4
        .value_kind:     by_value
      - .offset:         128
        .size:           4
        .value_kind:     by_value
      - .offset:         132
        .size:           4
        .value_kind:     by_value
      - .offset:         136
        .size:           4
        .value_kind:     by_value
      - .offset:         144
        .size:           4
        .value_kind:     hidden_block_count_x
      - .offset:         148
        .size:           4
        .value_kind:     hidden_block_count_y
      - .offset:         152
        .size:           4
        .value_kind:     hidden_block_count_z
      - .offset:         156
        .size:           2
        .value_kind:     hidden_group_size_x
      - .offset:         158
        .size:           2
        .value_kind:     hidden_group_size_y
      - .offset:         160
        .size:           2
        .value_kind:     hidden_group_size_z
      - .offset:         162
        .size:           2
        .value_kind:     hidden_remainder_x
      - .offset:         164
        .size:           2
        .value_kind:     hidden_remainder_y
      - .offset:         166
        .size:           2
        .value_kind:     hidden_remainder_z
      - .offset:         184
        .size:           8
        .value_kind:     hidden_global_offset_x
      - .offset:         192
        .size:           8
        .value_kind:     hidden_global_offset_y
      - .offset:         200
        .size:           8
        .value_kind:     hidden_global_offset_z
      - .offset:         208
        .size:           2
        .value_kind:     hidden_grid_dims
      - .offset:         264
        .size:           4
        .value_kind:     hidden_dynamic_lds_size
    .group_segment_fixed_size: 272
    .kernarg_segment_align: 8
    .kernarg_segment_size: 400
    .language:       OpenCL C
    .language_version:
      - 2
      - 0
    .max_flat_workgroup_size: 1024
    .name:           _ZN4vllm25paged_attention_v2_kernelIthLi128ELi8ELi128ELNS_18Fp8KVCacheDataTypeE1ELb0ELi512EEEvPfS2_PT_PKS3_PKT0_S9_ifPKiSB_iPKfiiiSD_SD_iiiii
    .private_segment_fixed_size: 0
    .sgpr_count:     52
    .sgpr_spill_count: 0
    .symbol:         _ZN4vllm25paged_attention_v2_kernelIthLi128ELi8ELi128ELNS_18Fp8KVCacheDataTypeE1ELb0ELi512EEEvPfS2_PT_PKS3_PKT0_S9_ifPKiSB_iPKfiiiSD_SD_iiiii.kd
    .uniform_work_group_size: 1
    .uses_dynamic_stack: false
    .vgpr_count:     51
    .vgpr_spill_count: 0
    .wavefront_size: 64
  - .agpr_count:     0
    .args:
      - .actual_access:  write_only
        .address_space:  global
        .offset:         0
        .size:           8
        .value_kind:     global_buffer
      - .actual_access:  write_only
        .address_space:  global
        .offset:         8
        .size:           8
        .value_kind:     global_buffer
      - .actual_access:  write_only
        .address_space:  global
        .offset:         16
        .size:           8
        .value_kind:     global_buffer
      - .actual_access:  read_only
        .address_space:  global
        .offset:         24
        .size:           8
        .value_kind:     global_buffer
      - .actual_access:  read_only
        .address_space:  global
        .offset:         32
        .size:           8
        .value_kind:     global_buffer
      - .actual_access:  read_only
        .address_space:  global
        .offset:         40
        .size:           8
        .value_kind:     global_buffer
      - .offset:         48
        .size:           4
        .value_kind:     by_value
      - .offset:         52
        .size:           4
        .value_kind:     by_value
      - .actual_access:  read_only
        .address_space:  global
        .offset:         56
        .size:           8
        .value_kind:     global_buffer
      - .actual_access:  read_only
        .address_space:  global
        .offset:         64
        .size:           8
        .value_kind:     global_buffer
      - .offset:         72
        .size:           4
        .value_kind:     by_value
      - .actual_access:  read_only
        .address_space:  global
        .offset:         80
        .size:           8
        .value_kind:     global_buffer
      - .offset:         88
        .size:           4
        .value_kind:     by_value
      - .offset:         92
        .size:           4
        .value_kind:     by_value
      - .offset:         96
        .size:           4
        .value_kind:     by_value
      - .address_space:  global
        .offset:         104
        .size:           8
        .value_kind:     global_buffer
      - .address_space:  global
        .offset:         112
        .size:           8
        .value_kind:     global_buffer
      - .offset:         120
        .size:           4
        .value_kind:     by_value
      - .offset:         124
        .size:           4
        .value_kind:     by_value
      - .offset:         128
        .size:           4
        .value_kind:     by_value
      - .offset:         132
        .size:           4
        .value_kind:     by_value
      - .offset:         136
        .size:           4
        .value_kind:     by_value
      - .offset:         144
        .size:           4
        .value_kind:     hidden_block_count_x
      - .offset:         148
        .size:           4
        .value_kind:     hidden_block_count_y
      - .offset:         152
        .size:           4
        .value_kind:     hidden_block_count_z
      - .offset:         156
        .size:           2
        .value_kind:     hidden_group_size_x
      - .offset:         158
        .size:           2
        .value_kind:     hidden_group_size_y
      - .offset:         160
        .size:           2
        .value_kind:     hidden_group_size_z
      - .offset:         162
        .size:           2
        .value_kind:     hidden_remainder_x
      - .offset:         164
        .size:           2
        .value_kind:     hidden_remainder_y
      - .offset:         166
        .size:           2
        .value_kind:     hidden_remainder_z
      - .offset:         184
        .size:           8
        .value_kind:     hidden_global_offset_x
      - .offset:         192
        .size:           8
        .value_kind:     hidden_global_offset_y
      - .offset:         200
        .size:           8
        .value_kind:     hidden_global_offset_z
      - .offset:         208
        .size:           2
        .value_kind:     hidden_grid_dims
      - .offset:         264
        .size:           4
        .value_kind:     hidden_dynamic_lds_size
    .group_segment_fixed_size: 400
    .kernarg_segment_align: 8
    .kernarg_segment_size: 400
    .language:       OpenCL C
    .language_version:
      - 2
      - 0
    .max_flat_workgroup_size: 1024
    .name:           _ZN4vllm25paged_attention_v2_kernelIthLi192ELi8ELi128ELNS_18Fp8KVCacheDataTypeE1ELb0ELi512EEEvPfS2_PT_PKS3_PKT0_S9_ifPKiSB_iPKfiiiSD_SD_iiiii
    .private_segment_fixed_size: 0
    .sgpr_count:     52
    .sgpr_spill_count: 0
    .symbol:         _ZN4vllm25paged_attention_v2_kernelIthLi192ELi8ELi128ELNS_18Fp8KVCacheDataTypeE1ELb0ELi512EEEvPfS2_PT_PKS3_PKT0_S9_ifPKiSB_iPKfiiiSD_SD_iiiii.kd
    .uniform_work_group_size: 1
    .uses_dynamic_stack: false
    .vgpr_count:     64
    .vgpr_spill_count: 0
    .wavefront_size: 64
  - .agpr_count:     0
    .args:
      - .actual_access:  write_only
        .address_space:  global
        .offset:         0
        .size:           8
        .value_kind:     global_buffer
      - .actual_access:  write_only
        .address_space:  global
        .offset:         8
        .size:           8
        .value_kind:     global_buffer
      - .actual_access:  write_only
        .address_space:  global
        .offset:         16
        .size:           8
        .value_kind:     global_buffer
      - .actual_access:  read_only
        .address_space:  global
        .offset:         24
        .size:           8
        .value_kind:     global_buffer
      - .actual_access:  read_only
        .address_space:  global
        .offset:         32
        .size:           8
        .value_kind:     global_buffer
      - .actual_access:  read_only
        .address_space:  global
        .offset:         40
        .size:           8
        .value_kind:     global_buffer
      - .offset:         48
        .size:           4
        .value_kind:     by_value
      - .offset:         52
        .size:           4
        .value_kind:     by_value
      - .actual_access:  read_only
        .address_space:  global
        .offset:         56
        .size:           8
        .value_kind:     global_buffer
      - .actual_access:  read_only
        .address_space:  global
        .offset:         64
        .size:           8
        .value_kind:     global_buffer
      - .offset:         72
        .size:           4
        .value_kind:     by_value
      - .actual_access:  read_only
        .address_space:  global
        .offset:         80
        .size:           8
        .value_kind:     global_buffer
      - .offset:         88
        .size:           4
        .value_kind:     by_value
      - .offset:         92
        .size:           4
        .value_kind:     by_value
      - .offset:         96
        .size:           4
        .value_kind:     by_value
      - .address_space:  global
        .offset:         104
        .size:           8
        .value_kind:     global_buffer
      - .address_space:  global
        .offset:         112
        .size:           8
        .value_kind:     global_buffer
      - .offset:         120
        .size:           4
        .value_kind:     by_value
      - .offset:         124
        .size:           4
        .value_kind:     by_value
      - .offset:         128
        .size:           4
        .value_kind:     by_value
      - .offset:         132
        .size:           4
        .value_kind:     by_value
      - .offset:         136
        .size:           4
        .value_kind:     by_value
      - .offset:         144
        .size:           4
        .value_kind:     hidden_block_count_x
      - .offset:         148
        .size:           4
        .value_kind:     hidden_block_count_y
      - .offset:         152
        .size:           4
        .value_kind:     hidden_block_count_z
      - .offset:         156
        .size:           2
        .value_kind:     hidden_group_size_x
      - .offset:         158
        .size:           2
        .value_kind:     hidden_group_size_y
      - .offset:         160
        .size:           2
        .value_kind:     hidden_group_size_z
      - .offset:         162
        .size:           2
        .value_kind:     hidden_remainder_x
      - .offset:         164
        .size:           2
        .value_kind:     hidden_remainder_y
      - .offset:         166
        .size:           2
        .value_kind:     hidden_remainder_z
      - .offset:         184
        .size:           8
        .value_kind:     hidden_global_offset_x
      - .offset:         192
        .size:           8
        .value_kind:     hidden_global_offset_y
      - .offset:         200
        .size:           8
        .value_kind:     hidden_global_offset_z
      - .offset:         208
        .size:           2
        .value_kind:     hidden_grid_dims
      - .offset:         264
        .size:           4
        .value_kind:     hidden_dynamic_lds_size
    .group_segment_fixed_size: 528
    .kernarg_segment_align: 8
    .kernarg_segment_size: 400
    .language:       OpenCL C
    .language_version:
      - 2
      - 0
    .max_flat_workgroup_size: 1024
    .name:           _ZN4vllm25paged_attention_v2_kernelIthLi256ELi8ELi128ELNS_18Fp8KVCacheDataTypeE1ELb0ELi512EEEvPfS2_PT_PKS3_PKT0_S9_ifPKiSB_iPKfiiiSD_SD_iiiii
    .private_segment_fixed_size: 0
    .sgpr_count:     52
    .sgpr_spill_count: 0
    .symbol:         _ZN4vllm25paged_attention_v2_kernelIthLi256ELi8ELi128ELNS_18Fp8KVCacheDataTypeE1ELb0ELi512EEEvPfS2_PT_PKS3_PKT0_S9_ifPKiSB_iPKfiiiSD_SD_iiiii.kd
    .uniform_work_group_size: 1
    .uses_dynamic_stack: false
    .vgpr_count:     61
    .vgpr_spill_count: 0
    .wavefront_size: 64
  - .agpr_count:     0
    .args:
      - .actual_access:  write_only
        .address_space:  global
        .offset:         0
        .size:           8
        .value_kind:     global_buffer
      - .actual_access:  write_only
        .address_space:  global
        .offset:         8
        .size:           8
        .value_kind:     global_buffer
      - .actual_access:  write_only
        .address_space:  global
        .offset:         16
        .size:           8
        .value_kind:     global_buffer
      - .actual_access:  read_only
        .address_space:  global
        .offset:         24
        .size:           8
        .value_kind:     global_buffer
      - .actual_access:  read_only
        .address_space:  global
        .offset:         32
        .size:           8
        .value_kind:     global_buffer
      - .actual_access:  read_only
        .address_space:  global
        .offset:         40
        .size:           8
        .value_kind:     global_buffer
      - .offset:         48
        .size:           4
        .value_kind:     by_value
      - .offset:         52
        .size:           4
        .value_kind:     by_value
      - .actual_access:  read_only
        .address_space:  global
        .offset:         56
        .size:           8
        .value_kind:     global_buffer
      - .actual_access:  read_only
        .address_space:  global
        .offset:         64
        .size:           8
        .value_kind:     global_buffer
      - .offset:         72
        .size:           4
        .value_kind:     by_value
      - .actual_access:  read_only
        .address_space:  global
        .offset:         80
        .size:           8
        .value_kind:     global_buffer
      - .offset:         88
        .size:           4
        .value_kind:     by_value
      - .offset:         92
        .size:           4
        .value_kind:     by_value
      - .offset:         96
        .size:           4
        .value_kind:     by_value
      - .address_space:  global
        .offset:         104
        .size:           8
        .value_kind:     global_buffer
      - .address_space:  global
        .offset:         112
        .size:           8
        .value_kind:     global_buffer
      - .offset:         120
        .size:           4
        .value_kind:     by_value
      - .offset:         124
        .size:           4
        .value_kind:     by_value
      - .offset:         128
        .size:           4
        .value_kind:     by_value
      - .offset:         132
        .size:           4
        .value_kind:     by_value
      - .offset:         136
        .size:           4
        .value_kind:     by_value
      - .offset:         144
        .size:           4
        .value_kind:     hidden_block_count_x
      - .offset:         148
        .size:           4
        .value_kind:     hidden_block_count_y
      - .offset:         152
        .size:           4
        .value_kind:     hidden_block_count_z
      - .offset:         156
        .size:           2
        .value_kind:     hidden_group_size_x
      - .offset:         158
        .size:           2
        .value_kind:     hidden_group_size_y
      - .offset:         160
        .size:           2
        .value_kind:     hidden_group_size_z
      - .offset:         162
        .size:           2
        .value_kind:     hidden_remainder_x
      - .offset:         164
        .size:           2
        .value_kind:     hidden_remainder_y
      - .offset:         166
        .size:           2
        .value_kind:     hidden_remainder_z
      - .offset:         184
        .size:           8
        .value_kind:     hidden_global_offset_x
      - .offset:         192
        .size:           8
        .value_kind:     hidden_global_offset_y
      - .offset:         200
        .size:           8
        .value_kind:     hidden_global_offset_z
      - .offset:         208
        .size:           2
        .value_kind:     hidden_grid_dims
      - .offset:         264
        .size:           4
        .value_kind:     hidden_dynamic_lds_size
    .group_segment_fixed_size: 80
    .kernarg_segment_align: 8
    .kernarg_segment_size: 400
    .language:       OpenCL C
    .language_version:
      - 2
      - 0
    .max_flat_workgroup_size: 1024
    .name:           _ZN4vllm25paged_attention_v2_kernelIthLi32ELi16ELi128ELNS_18Fp8KVCacheDataTypeE1ELb1ELi512EEEvPfS2_PT_PKS3_PKT0_S9_ifPKiSB_iPKfiiiSD_SD_iiiii
    .private_segment_fixed_size: 0
    .sgpr_count:     72
    .sgpr_spill_count: 0
    .symbol:         _ZN4vllm25paged_attention_v2_kernelIthLi32ELi16ELi128ELNS_18Fp8KVCacheDataTypeE1ELb1ELi512EEEvPfS2_PT_PKS3_PKT0_S9_ifPKiSB_iPKfiiiSD_SD_iiiii.kd
    .uniform_work_group_size: 1
    .uses_dynamic_stack: false
    .vgpr_count:     38
    .vgpr_spill_count: 0
    .wavefront_size: 64
  - .agpr_count:     0
    .args:
      - .actual_access:  write_only
        .address_space:  global
        .offset:         0
        .size:           8
        .value_kind:     global_buffer
      - .actual_access:  write_only
        .address_space:  global
        .offset:         8
        .size:           8
        .value_kind:     global_buffer
      - .actual_access:  write_only
        .address_space:  global
        .offset:         16
        .size:           8
        .value_kind:     global_buffer
      - .actual_access:  read_only
        .address_space:  global
        .offset:         24
        .size:           8
        .value_kind:     global_buffer
      - .actual_access:  read_only
        .address_space:  global
        .offset:         32
        .size:           8
        .value_kind:     global_buffer
      - .actual_access:  read_only
        .address_space:  global
        .offset:         40
        .size:           8
        .value_kind:     global_buffer
      - .offset:         48
        .size:           4
        .value_kind:     by_value
      - .offset:         52
        .size:           4
        .value_kind:     by_value
      - .actual_access:  read_only
        .address_space:  global
        .offset:         56
        .size:           8
        .value_kind:     global_buffer
      - .actual_access:  read_only
        .address_space:  global
        .offset:         64
        .size:           8
        .value_kind:     global_buffer
      - .offset:         72
        .size:           4
        .value_kind:     by_value
      - .actual_access:  read_only
        .address_space:  global
        .offset:         80
        .size:           8
        .value_kind:     global_buffer
      - .offset:         88
        .size:           4
        .value_kind:     by_value
      - .offset:         92
        .size:           4
        .value_kind:     by_value
      - .offset:         96
        .size:           4
        .value_kind:     by_value
      - .address_space:  global
        .offset:         104
        .size:           8
        .value_kind:     global_buffer
      - .address_space:  global
        .offset:         112
        .size:           8
        .value_kind:     global_buffer
      - .offset:         120
        .size:           4
        .value_kind:     by_value
      - .offset:         124
        .size:           4
        .value_kind:     by_value
      - .offset:         128
        .size:           4
        .value_kind:     by_value
      - .offset:         132
        .size:           4
        .value_kind:     by_value
      - .offset:         136
        .size:           4
        .value_kind:     by_value
      - .offset:         144
        .size:           4
        .value_kind:     hidden_block_count_x
      - .offset:         148
        .size:           4
        .value_kind:     hidden_block_count_y
      - .offset:         152
        .size:           4
        .value_kind:     hidden_block_count_z
      - .offset:         156
        .size:           2
        .value_kind:     hidden_group_size_x
      - .offset:         158
        .size:           2
        .value_kind:     hidden_group_size_y
      - .offset:         160
        .size:           2
        .value_kind:     hidden_group_size_z
      - .offset:         162
        .size:           2
        .value_kind:     hidden_remainder_x
      - .offset:         164
        .size:           2
        .value_kind:     hidden_remainder_y
      - .offset:         166
        .size:           2
        .value_kind:     hidden_remainder_z
      - .offset:         184
        .size:           8
        .value_kind:     hidden_global_offset_x
      - .offset:         192
        .size:           8
        .value_kind:     hidden_global_offset_y
      - .offset:         200
        .size:           8
        .value_kind:     hidden_global_offset_z
      - .offset:         208
        .size:           2
        .value_kind:     hidden_grid_dims
      - .offset:         264
        .size:           4
        .value_kind:     hidden_dynamic_lds_size
    .group_segment_fixed_size: 144
    .kernarg_segment_align: 8
    .kernarg_segment_size: 400
    .language:       OpenCL C
    .language_version:
      - 2
      - 0
    .max_flat_workgroup_size: 1024
    .name:           _ZN4vllm25paged_attention_v2_kernelIthLi64ELi16ELi128ELNS_18Fp8KVCacheDataTypeE1ELb1ELi512EEEvPfS2_PT_PKS3_PKT0_S9_ifPKiSB_iPKfiiiSD_SD_iiiii
    .private_segment_fixed_size: 0
    .sgpr_count:     72
    .sgpr_spill_count: 0
    .symbol:         _ZN4vllm25paged_attention_v2_kernelIthLi64ELi16ELi128ELNS_18Fp8KVCacheDataTypeE1ELb1ELi512EEEvPfS2_PT_PKS3_PKT0_S9_ifPKiSB_iPKfiiiSD_SD_iiiii.kd
    .uniform_work_group_size: 1
    .uses_dynamic_stack: false
    .vgpr_count:     50
    .vgpr_spill_count: 0
    .wavefront_size: 64
  - .agpr_count:     0
    .args:
      - .actual_access:  write_only
        .address_space:  global
        .offset:         0
        .size:           8
        .value_kind:     global_buffer
      - .actual_access:  write_only
        .address_space:  global
        .offset:         8
        .size:           8
        .value_kind:     global_buffer
      - .actual_access:  write_only
        .address_space:  global
        .offset:         16
        .size:           8
        .value_kind:     global_buffer
      - .actual_access:  read_only
        .address_space:  global
        .offset:         24
        .size:           8
        .value_kind:     global_buffer
      - .actual_access:  read_only
        .address_space:  global
        .offset:         32
        .size:           8
        .value_kind:     global_buffer
      - .actual_access:  read_only
        .address_space:  global
        .offset:         40
        .size:           8
        .value_kind:     global_buffer
      - .offset:         48
        .size:           4
        .value_kind:     by_value
      - .offset:         52
        .size:           4
        .value_kind:     by_value
      - .actual_access:  read_only
        .address_space:  global
        .offset:         56
        .size:           8
        .value_kind:     global_buffer
      - .actual_access:  read_only
        .address_space:  global
        .offset:         64
        .size:           8
        .value_kind:     global_buffer
      - .offset:         72
        .size:           4
        .value_kind:     by_value
      - .actual_access:  read_only
        .address_space:  global
        .offset:         80
        .size:           8
        .value_kind:     global_buffer
      - .offset:         88
        .size:           4
        .value_kind:     by_value
      - .offset:         92
        .size:           4
        .value_kind:     by_value
      - .offset:         96
        .size:           4
        .value_kind:     by_value
      - .address_space:  global
        .offset:         104
        .size:           8
        .value_kind:     global_buffer
      - .address_space:  global
        .offset:         112
        .size:           8
        .value_kind:     global_buffer
      - .offset:         120
        .size:           4
        .value_kind:     by_value
      - .offset:         124
        .size:           4
        .value_kind:     by_value
      - .offset:         128
        .size:           4
        .value_kind:     by_value
      - .offset:         132
        .size:           4
        .value_kind:     by_value
      - .offset:         136
        .size:           4
        .value_kind:     by_value
      - .offset:         144
        .size:           4
        .value_kind:     hidden_block_count_x
      - .offset:         148
        .size:           4
        .value_kind:     hidden_block_count_y
      - .offset:         152
        .size:           4
        .value_kind:     hidden_block_count_z
      - .offset:         156
        .size:           2
        .value_kind:     hidden_group_size_x
      - .offset:         158
        .size:           2
        .value_kind:     hidden_group_size_y
      - .offset:         160
        .size:           2
        .value_kind:     hidden_group_size_z
      - .offset:         162
        .size:           2
        .value_kind:     hidden_remainder_x
      - .offset:         164
        .size:           2
        .value_kind:     hidden_remainder_y
      - .offset:         166
        .size:           2
        .value_kind:     hidden_remainder_z
      - .offset:         184
        .size:           8
        .value_kind:     hidden_global_offset_x
      - .offset:         192
        .size:           8
        .value_kind:     hidden_global_offset_y
      - .offset:         200
        .size:           8
        .value_kind:     hidden_global_offset_z
      - .offset:         208
        .size:           2
        .value_kind:     hidden_grid_dims
      - .offset:         264
        .size:           4
        .value_kind:     hidden_dynamic_lds_size
    .group_segment_fixed_size: 176
    .kernarg_segment_align: 8
    .kernarg_segment_size: 400
    .language:       OpenCL C
    .language_version:
      - 2
      - 0
    .max_flat_workgroup_size: 1024
    .name:           _ZN4vllm25paged_attention_v2_kernelIthLi80ELi16ELi128ELNS_18Fp8KVCacheDataTypeE1ELb1ELi512EEEvPfS2_PT_PKS3_PKT0_S9_ifPKiSB_iPKfiiiSD_SD_iiiii
    .private_segment_fixed_size: 0
    .sgpr_count:     72
    .sgpr_spill_count: 0
    .symbol:         _ZN4vllm25paged_attention_v2_kernelIthLi80ELi16ELi128ELNS_18Fp8KVCacheDataTypeE1ELb1ELi512EEEvPfS2_PT_PKS3_PKT0_S9_ifPKiSB_iPKfiiiSD_SD_iiiii.kd
    .uniform_work_group_size: 1
    .uses_dynamic_stack: false
    .vgpr_count:     56
    .vgpr_spill_count: 0
    .wavefront_size: 64
  - .agpr_count:     0
    .args:
      - .actual_access:  write_only
        .address_space:  global
        .offset:         0
        .size:           8
        .value_kind:     global_buffer
      - .actual_access:  write_only
        .address_space:  global
        .offset:         8
        .size:           8
        .value_kind:     global_buffer
      - .actual_access:  write_only
        .address_space:  global
        .offset:         16
        .size:           8
        .value_kind:     global_buffer
      - .actual_access:  read_only
        .address_space:  global
        .offset:         24
        .size:           8
        .value_kind:     global_buffer
      - .actual_access:  read_only
        .address_space:  global
        .offset:         32
        .size:           8
        .value_kind:     global_buffer
      - .actual_access:  read_only
        .address_space:  global
        .offset:         40
        .size:           8
        .value_kind:     global_buffer
      - .offset:         48
        .size:           4
        .value_kind:     by_value
      - .offset:         52
        .size:           4
        .value_kind:     by_value
      - .actual_access:  read_only
        .address_space:  global
        .offset:         56
        .size:           8
        .value_kind:     global_buffer
      - .actual_access:  read_only
        .address_space:  global
        .offset:         64
        .size:           8
        .value_kind:     global_buffer
      - .offset:         72
        .size:           4
        .value_kind:     by_value
      - .actual_access:  read_only
        .address_space:  global
        .offset:         80
        .size:           8
        .value_kind:     global_buffer
      - .offset:         88
        .size:           4
        .value_kind:     by_value
      - .offset:         92
        .size:           4
        .value_kind:     by_value
      - .offset:         96
        .size:           4
        .value_kind:     by_value
      - .address_space:  global
        .offset:         104
        .size:           8
        .value_kind:     global_buffer
      - .address_space:  global
        .offset:         112
        .size:           8
        .value_kind:     global_buffer
      - .offset:         120
        .size:           4
        .value_kind:     by_value
      - .offset:         124
        .size:           4
        .value_kind:     by_value
      - .offset:         128
        .size:           4
        .value_kind:     by_value
      - .offset:         132
        .size:           4
        .value_kind:     by_value
      - .offset:         136
        .size:           4
        .value_kind:     by_value
      - .offset:         144
        .size:           4
        .value_kind:     hidden_block_count_x
      - .offset:         148
        .size:           4
        .value_kind:     hidden_block_count_y
      - .offset:         152
        .size:           4
        .value_kind:     hidden_block_count_z
      - .offset:         156
        .size:           2
        .value_kind:     hidden_group_size_x
      - .offset:         158
        .size:           2
        .value_kind:     hidden_group_size_y
      - .offset:         160
        .size:           2
        .value_kind:     hidden_group_size_z
      - .offset:         162
        .size:           2
        .value_kind:     hidden_remainder_x
      - .offset:         164
        .size:           2
        .value_kind:     hidden_remainder_y
      - .offset:         166
        .size:           2
        .value_kind:     hidden_remainder_z
      - .offset:         184
        .size:           8
        .value_kind:     hidden_global_offset_x
      - .offset:         192
        .size:           8
        .value_kind:     hidden_global_offset_y
      - .offset:         200
        .size:           8
        .value_kind:     hidden_global_offset_z
      - .offset:         208
        .size:           2
        .value_kind:     hidden_grid_dims
      - .offset:         264
        .size:           4
        .value_kind:     hidden_dynamic_lds_size
    .group_segment_fixed_size: 208
    .kernarg_segment_align: 8
    .kernarg_segment_size: 400
    .language:       OpenCL C
    .language_version:
      - 2
      - 0
    .max_flat_workgroup_size: 1024
    .name:           _ZN4vllm25paged_attention_v2_kernelIthLi96ELi16ELi128ELNS_18Fp8KVCacheDataTypeE1ELb1ELi512EEEvPfS2_PT_PKS3_PKT0_S9_ifPKiSB_iPKfiiiSD_SD_iiiii
    .private_segment_fixed_size: 0
    .sgpr_count:     72
    .sgpr_spill_count: 0
    .symbol:         _ZN4vllm25paged_attention_v2_kernelIthLi96ELi16ELi128ELNS_18Fp8KVCacheDataTypeE1ELb1ELi512EEEvPfS2_PT_PKS3_PKT0_S9_ifPKiSB_iPKfiiiSD_SD_iiiii.kd
    .uniform_work_group_size: 1
    .uses_dynamic_stack: false
    .vgpr_count:     62
    .vgpr_spill_count: 0
    .wavefront_size: 64
  - .agpr_count:     0
    .args:
      - .actual_access:  write_only
        .address_space:  global
        .offset:         0
        .size:           8
        .value_kind:     global_buffer
      - .actual_access:  write_only
        .address_space:  global
        .offset:         8
        .size:           8
        .value_kind:     global_buffer
      - .actual_access:  write_only
        .address_space:  global
        .offset:         16
        .size:           8
        .value_kind:     global_buffer
      - .actual_access:  read_only
        .address_space:  global
        .offset:         24
        .size:           8
        .value_kind:     global_buffer
      - .actual_access:  read_only
        .address_space:  global
        .offset:         32
        .size:           8
        .value_kind:     global_buffer
      - .actual_access:  read_only
        .address_space:  global
        .offset:         40
        .size:           8
        .value_kind:     global_buffer
      - .offset:         48
        .size:           4
        .value_kind:     by_value
      - .offset:         52
        .size:           4
        .value_kind:     by_value
      - .actual_access:  read_only
        .address_space:  global
        .offset:         56
        .size:           8
        .value_kind:     global_buffer
      - .actual_access:  read_only
        .address_space:  global
        .offset:         64
        .size:           8
        .value_kind:     global_buffer
      - .offset:         72
        .size:           4
        .value_kind:     by_value
      - .actual_access:  read_only
        .address_space:  global
        .offset:         80
        .size:           8
        .value_kind:     global_buffer
      - .offset:         88
        .size:           4
        .value_kind:     by_value
      - .offset:         92
        .size:           4
        .value_kind:     by_value
      - .offset:         96
        .size:           4
        .value_kind:     by_value
      - .address_space:  global
        .offset:         104
        .size:           8
        .value_kind:     global_buffer
      - .address_space:  global
        .offset:         112
        .size:           8
        .value_kind:     global_buffer
      - .offset:         120
        .size:           4
        .value_kind:     by_value
      - .offset:         124
        .size:           4
        .value_kind:     by_value
      - .offset:         128
        .size:           4
        .value_kind:     by_value
      - .offset:         132
        .size:           4
        .value_kind:     by_value
      - .offset:         136
        .size:           4
        .value_kind:     by_value
      - .offset:         144
        .size:           4
        .value_kind:     hidden_block_count_x
      - .offset:         148
        .size:           4
        .value_kind:     hidden_block_count_y
      - .offset:         152
        .size:           4
        .value_kind:     hidden_block_count_z
      - .offset:         156
        .size:           2
        .value_kind:     hidden_group_size_x
      - .offset:         158
        .size:           2
        .value_kind:     hidden_group_size_y
      - .offset:         160
        .size:           2
        .value_kind:     hidden_group_size_z
      - .offset:         162
        .size:           2
        .value_kind:     hidden_remainder_x
      - .offset:         164
        .size:           2
        .value_kind:     hidden_remainder_y
      - .offset:         166
        .size:           2
        .value_kind:     hidden_remainder_z
      - .offset:         184
        .size:           8
        .value_kind:     hidden_global_offset_x
      - .offset:         192
        .size:           8
        .value_kind:     hidden_global_offset_y
      - .offset:         200
        .size:           8
        .value_kind:     hidden_global_offset_z
      - .offset:         208
        .size:           2
        .value_kind:     hidden_grid_dims
      - .offset:         264
        .size:           4
        .value_kind:     hidden_dynamic_lds_size
    .group_segment_fixed_size: 240
    .kernarg_segment_align: 8
    .kernarg_segment_size: 400
    .language:       OpenCL C
    .language_version:
      - 2
      - 0
    .max_flat_workgroup_size: 1024
    .name:           _ZN4vllm25paged_attention_v2_kernelIthLi112ELi16ELi128ELNS_18Fp8KVCacheDataTypeE1ELb1ELi512EEEvPfS2_PT_PKS3_PKT0_S9_ifPKiSB_iPKfiiiSD_SD_iiiii
    .private_segment_fixed_size: 0
    .sgpr_count:     72
    .sgpr_spill_count: 0
    .symbol:         _ZN4vllm25paged_attention_v2_kernelIthLi112ELi16ELi128ELNS_18Fp8KVCacheDataTypeE1ELb1ELi512EEEvPfS2_PT_PKS3_PKT0_S9_ifPKiSB_iPKfiiiSD_SD_iiiii.kd
    .uniform_work_group_size: 1
    .uses_dynamic_stack: false
    .vgpr_count:     68
    .vgpr_spill_count: 0
    .wavefront_size: 64
  - .agpr_count:     0
    .args:
      - .actual_access:  write_only
        .address_space:  global
        .offset:         0
        .size:           8
        .value_kind:     global_buffer
      - .actual_access:  write_only
        .address_space:  global
        .offset:         8
        .size:           8
        .value_kind:     global_buffer
      - .actual_access:  write_only
        .address_space:  global
        .offset:         16
        .size:           8
        .value_kind:     global_buffer
      - .actual_access:  read_only
        .address_space:  global
        .offset:         24
        .size:           8
        .value_kind:     global_buffer
      - .actual_access:  read_only
        .address_space:  global
        .offset:         32
        .size:           8
        .value_kind:     global_buffer
      - .actual_access:  read_only
        .address_space:  global
        .offset:         40
        .size:           8
        .value_kind:     global_buffer
      - .offset:         48
        .size:           4
        .value_kind:     by_value
      - .offset:         52
        .size:           4
        .value_kind:     by_value
      - .actual_access:  read_only
        .address_space:  global
        .offset:         56
        .size:           8
        .value_kind:     global_buffer
      - .actual_access:  read_only
        .address_space:  global
        .offset:         64
        .size:           8
        .value_kind:     global_buffer
      - .offset:         72
        .size:           4
        .value_kind:     by_value
      - .actual_access:  read_only
        .address_space:  global
        .offset:         80
        .size:           8
        .value_kind:     global_buffer
      - .offset:         88
        .size:           4
        .value_kind:     by_value
      - .offset:         92
        .size:           4
        .value_kind:     by_value
      - .offset:         96
        .size:           4
        .value_kind:     by_value
      - .address_space:  global
        .offset:         104
        .size:           8
        .value_kind:     global_buffer
      - .address_space:  global
        .offset:         112
        .size:           8
        .value_kind:     global_buffer
      - .offset:         120
        .size:           4
        .value_kind:     by_value
      - .offset:         124
        .size:           4
        .value_kind:     by_value
      - .offset:         128
        .size:           4
        .value_kind:     by_value
      - .offset:         132
        .size:           4
        .value_kind:     by_value
      - .offset:         136
        .size:           4
        .value_kind:     by_value
      - .offset:         144
        .size:           4
        .value_kind:     hidden_block_count_x
      - .offset:         148
        .size:           4
        .value_kind:     hidden_block_count_y
      - .offset:         152
        .size:           4
        .value_kind:     hidden_block_count_z
      - .offset:         156
        .size:           2
        .value_kind:     hidden_group_size_x
      - .offset:         158
        .size:           2
        .value_kind:     hidden_group_size_y
      - .offset:         160
        .size:           2
        .value_kind:     hidden_group_size_z
      - .offset:         162
        .size:           2
        .value_kind:     hidden_remainder_x
      - .offset:         164
        .size:           2
        .value_kind:     hidden_remainder_y
      - .offset:         166
        .size:           2
        .value_kind:     hidden_remainder_z
      - .offset:         184
        .size:           8
        .value_kind:     hidden_global_offset_x
      - .offset:         192
        .size:           8
        .value_kind:     hidden_global_offset_y
      - .offset:         200
        .size:           8
        .value_kind:     hidden_global_offset_z
      - .offset:         208
        .size:           2
        .value_kind:     hidden_grid_dims
      - .offset:         264
        .size:           4
        .value_kind:     hidden_dynamic_lds_size
    .group_segment_fixed_size: 256
    .kernarg_segment_align: 8
    .kernarg_segment_size: 400
    .language:       OpenCL C
    .language_version:
      - 2
      - 0
    .max_flat_workgroup_size: 1024
    .name:           _ZN4vllm25paged_attention_v2_kernelIthLi120ELi16ELi128ELNS_18Fp8KVCacheDataTypeE1ELb1ELi512EEEvPfS2_PT_PKS3_PKT0_S9_ifPKiSB_iPKfiiiSD_SD_iiiii
    .private_segment_fixed_size: 0
    .sgpr_count:     72
    .sgpr_spill_count: 0
    .symbol:         _ZN4vllm25paged_attention_v2_kernelIthLi120ELi16ELi128ELNS_18Fp8KVCacheDataTypeE1ELb1ELi512EEEvPfS2_PT_PKS3_PKT0_S9_ifPKiSB_iPKfiiiSD_SD_iiiii.kd
    .uniform_work_group_size: 1
    .uses_dynamic_stack: false
    .vgpr_count:     71
    .vgpr_spill_count: 0
    .wavefront_size: 64
  - .agpr_count:     0
    .args:
      - .actual_access:  write_only
        .address_space:  global
        .offset:         0
        .size:           8
        .value_kind:     global_buffer
      - .actual_access:  write_only
        .address_space:  global
        .offset:         8
        .size:           8
        .value_kind:     global_buffer
      - .actual_access:  write_only
        .address_space:  global
        .offset:         16
        .size:           8
        .value_kind:     global_buffer
      - .actual_access:  read_only
        .address_space:  global
        .offset:         24
        .size:           8
        .value_kind:     global_buffer
      - .actual_access:  read_only
        .address_space:  global
        .offset:         32
        .size:           8
        .value_kind:     global_buffer
      - .actual_access:  read_only
        .address_space:  global
        .offset:         40
        .size:           8
        .value_kind:     global_buffer
      - .offset:         48
        .size:           4
        .value_kind:     by_value
      - .offset:         52
        .size:           4
        .value_kind:     by_value
      - .actual_access:  read_only
        .address_space:  global
        .offset:         56
        .size:           8
        .value_kind:     global_buffer
      - .actual_access:  read_only
        .address_space:  global
        .offset:         64
        .size:           8
        .value_kind:     global_buffer
      - .offset:         72
        .size:           4
        .value_kind:     by_value
      - .actual_access:  read_only
        .address_space:  global
        .offset:         80
        .size:           8
        .value_kind:     global_buffer
      - .offset:         88
        .size:           4
        .value_kind:     by_value
      - .offset:         92
        .size:           4
        .value_kind:     by_value
      - .offset:         96
        .size:           4
        .value_kind:     by_value
      - .address_space:  global
        .offset:         104
        .size:           8
        .value_kind:     global_buffer
      - .address_space:  global
        .offset:         112
        .size:           8
        .value_kind:     global_buffer
      - .offset:         120
        .size:           4
        .value_kind:     by_value
      - .offset:         124
        .size:           4
        .value_kind:     by_value
      - .offset:         128
        .size:           4
        .value_kind:     by_value
      - .offset:         132
        .size:           4
        .value_kind:     by_value
      - .offset:         136
        .size:           4
        .value_kind:     by_value
      - .offset:         144
        .size:           4
        .value_kind:     hidden_block_count_x
      - .offset:         148
        .size:           4
        .value_kind:     hidden_block_count_y
      - .offset:         152
        .size:           4
        .value_kind:     hidden_block_count_z
      - .offset:         156
        .size:           2
        .value_kind:     hidden_group_size_x
      - .offset:         158
        .size:           2
        .value_kind:     hidden_group_size_y
      - .offset:         160
        .size:           2
        .value_kind:     hidden_group_size_z
      - .offset:         162
        .size:           2
        .value_kind:     hidden_remainder_x
      - .offset:         164
        .size:           2
        .value_kind:     hidden_remainder_y
      - .offset:         166
        .size:           2
        .value_kind:     hidden_remainder_z
      - .offset:         184
        .size:           8
        .value_kind:     hidden_global_offset_x
      - .offset:         192
        .size:           8
        .value_kind:     hidden_global_offset_y
      - .offset:         200
        .size:           8
        .value_kind:     hidden_global_offset_z
      - .offset:         208
        .size:           2
        .value_kind:     hidden_grid_dims
      - .offset:         264
        .size:           4
        .value_kind:     hidden_dynamic_lds_size
    .group_segment_fixed_size: 272
    .kernarg_segment_align: 8
    .kernarg_segment_size: 400
    .language:       OpenCL C
    .language_version:
      - 2
      - 0
    .max_flat_workgroup_size: 1024
    .name:           _ZN4vllm25paged_attention_v2_kernelIthLi128ELi16ELi128ELNS_18Fp8KVCacheDataTypeE1ELb1ELi512EEEvPfS2_PT_PKS3_PKT0_S9_ifPKiSB_iPKfiiiSD_SD_iiiii
    .private_segment_fixed_size: 0
    .sgpr_count:     74
    .sgpr_spill_count: 0
    .symbol:         _ZN4vllm25paged_attention_v2_kernelIthLi128ELi16ELi128ELNS_18Fp8KVCacheDataTypeE1ELb1ELi512EEEvPfS2_PT_PKS3_PKT0_S9_ifPKiSB_iPKfiiiSD_SD_iiiii.kd
    .uniform_work_group_size: 1
    .uses_dynamic_stack: false
    .vgpr_count:     74
    .vgpr_spill_count: 0
    .wavefront_size: 64
  - .agpr_count:     61
    .args:
      - .actual_access:  write_only
        .address_space:  global
        .offset:         0
        .size:           8
        .value_kind:     global_buffer
      - .actual_access:  write_only
        .address_space:  global
        .offset:         8
        .size:           8
        .value_kind:     global_buffer
      - .actual_access:  write_only
        .address_space:  global
        .offset:         16
        .size:           8
        .value_kind:     global_buffer
      - .actual_access:  read_only
        .address_space:  global
        .offset:         24
        .size:           8
        .value_kind:     global_buffer
      - .actual_access:  read_only
        .address_space:  global
        .offset:         32
        .size:           8
        .value_kind:     global_buffer
      - .actual_access:  read_only
        .address_space:  global
        .offset:         40
        .size:           8
        .value_kind:     global_buffer
      - .offset:         48
        .size:           4
        .value_kind:     by_value
      - .offset:         52
        .size:           4
        .value_kind:     by_value
      - .actual_access:  read_only
        .address_space:  global
        .offset:         56
        .size:           8
        .value_kind:     global_buffer
      - .actual_access:  read_only
        .address_space:  global
        .offset:         64
        .size:           8
        .value_kind:     global_buffer
      - .offset:         72
        .size:           4
        .value_kind:     by_value
      - .address_space:  global
        .offset:         80
        .size:           8
        .value_kind:     global_buffer
      - .offset:         88
        .size:           4
        .value_kind:     by_value
      - .offset:         92
        .size:           4
        .value_kind:     by_value
      - .offset:         96
        .size:           4
        .value_kind:     by_value
      - .address_space:  global
        .offset:         104
        .size:           8
        .value_kind:     global_buffer
      - .address_space:  global
        .offset:         112
        .size:           8
        .value_kind:     global_buffer
      - .offset:         120
        .size:           4
        .value_kind:     by_value
      - .offset:         124
        .size:           4
        .value_kind:     by_value
      - .offset:         128
        .size:           4
        .value_kind:     by_value
      - .offset:         132
        .size:           4
        .value_kind:     by_value
      - .offset:         136
        .size:           4
        .value_kind:     by_value
      - .offset:         144
        .size:           4
        .value_kind:     hidden_block_count_x
      - .offset:         148
        .size:           4
        .value_kind:     hidden_block_count_y
      - .offset:         152
        .size:           4
        .value_kind:     hidden_block_count_z
      - .offset:         156
        .size:           2
        .value_kind:     hidden_group_size_x
      - .offset:         158
        .size:           2
        .value_kind:     hidden_group_size_y
      - .offset:         160
        .size:           2
        .value_kind:     hidden_group_size_z
      - .offset:         162
        .size:           2
        .value_kind:     hidden_remainder_x
      - .offset:         164
        .size:           2
        .value_kind:     hidden_remainder_y
      - .offset:         166
        .size:           2
        .value_kind:     hidden_remainder_z
      - .offset:         184
        .size:           8
        .value_kind:     hidden_global_offset_x
      - .offset:         192
        .size:           8
        .value_kind:     hidden_global_offset_y
      - .offset:         200
        .size:           8
        .value_kind:     hidden_global_offset_z
      - .offset:         208
        .size:           2
        .value_kind:     hidden_grid_dims
      - .offset:         264
        .size:           4
        .value_kind:     hidden_dynamic_lds_size
    .group_segment_fixed_size: 400
    .kernarg_segment_align: 8
    .kernarg_segment_size: 400
    .language:       OpenCL C
    .language_version:
      - 2
      - 0
    .max_flat_workgroup_size: 1024
    .name:           _ZN4vllm25paged_attention_v2_kernelIthLi192ELi16ELi128ELNS_18Fp8KVCacheDataTypeE1ELb1ELi512EEEvPfS2_PT_PKS3_PKT0_S9_ifPKiSB_iPKfiiiSD_SD_iiiii
    .private_segment_fixed_size: 200
    .sgpr_count:     54
    .sgpr_spill_count: 0
    .symbol:         _ZN4vllm25paged_attention_v2_kernelIthLi192ELi16ELi128ELNS_18Fp8KVCacheDataTypeE1ELb1ELi512EEEvPfS2_PT_PKS3_PKT0_S9_ifPKiSB_iPKfiiiSD_SD_iiiii.kd
    .uniform_work_group_size: 1
    .uses_dynamic_stack: false
    .vgpr_count:     125
    .vgpr_spill_count: 0
    .wavefront_size: 64
  - .agpr_count:     64
    .args:
      - .actual_access:  write_only
        .address_space:  global
        .offset:         0
        .size:           8
        .value_kind:     global_buffer
      - .actual_access:  write_only
        .address_space:  global
        .offset:         8
        .size:           8
        .value_kind:     global_buffer
      - .actual_access:  write_only
        .address_space:  global
        .offset:         16
        .size:           8
        .value_kind:     global_buffer
      - .actual_access:  read_only
        .address_space:  global
        .offset:         24
        .size:           8
        .value_kind:     global_buffer
      - .actual_access:  read_only
        .address_space:  global
        .offset:         32
        .size:           8
        .value_kind:     global_buffer
      - .actual_access:  read_only
        .address_space:  global
        .offset:         40
        .size:           8
        .value_kind:     global_buffer
      - .offset:         48
        .size:           4
        .value_kind:     by_value
      - .offset:         52
        .size:           4
        .value_kind:     by_value
      - .actual_access:  read_only
        .address_space:  global
        .offset:         56
        .size:           8
        .value_kind:     global_buffer
      - .actual_access:  read_only
        .address_space:  global
        .offset:         64
        .size:           8
        .value_kind:     global_buffer
      - .offset:         72
        .size:           4
        .value_kind:     by_value
      - .address_space:  global
        .offset:         80
        .size:           8
        .value_kind:     global_buffer
      - .offset:         88
        .size:           4
        .value_kind:     by_value
      - .offset:         92
        .size:           4
        .value_kind:     by_value
      - .offset:         96
        .size:           4
        .value_kind:     by_value
      - .address_space:  global
        .offset:         104
        .size:           8
        .value_kind:     global_buffer
      - .address_space:  global
        .offset:         112
        .size:           8
        .value_kind:     global_buffer
      - .offset:         120
        .size:           4
        .value_kind:     by_value
      - .offset:         124
        .size:           4
        .value_kind:     by_value
      - .offset:         128
        .size:           4
        .value_kind:     by_value
      - .offset:         132
        .size:           4
        .value_kind:     by_value
      - .offset:         136
        .size:           4
        .value_kind:     by_value
      - .offset:         144
        .size:           4
        .value_kind:     hidden_block_count_x
      - .offset:         148
        .size:           4
        .value_kind:     hidden_block_count_y
      - .offset:         152
        .size:           4
        .value_kind:     hidden_block_count_z
      - .offset:         156
        .size:           2
        .value_kind:     hidden_group_size_x
      - .offset:         158
        .size:           2
        .value_kind:     hidden_group_size_y
      - .offset:         160
        .size:           2
        .value_kind:     hidden_group_size_z
      - .offset:         162
        .size:           2
        .value_kind:     hidden_remainder_x
      - .offset:         164
        .size:           2
        .value_kind:     hidden_remainder_y
      - .offset:         166
        .size:           2
        .value_kind:     hidden_remainder_z
      - .offset:         184
        .size:           8
        .value_kind:     hidden_global_offset_x
      - .offset:         192
        .size:           8
        .value_kind:     hidden_global_offset_y
      - .offset:         200
        .size:           8
        .value_kind:     hidden_global_offset_z
      - .offset:         208
        .size:           2
        .value_kind:     hidden_grid_dims
      - .offset:         264
        .size:           4
        .value_kind:     hidden_dynamic_lds_size
    .group_segment_fixed_size: 528
    .kernarg_segment_align: 8
    .kernarg_segment_size: 400
    .language:       OpenCL C
    .language_version:
      - 2
      - 0
    .max_flat_workgroup_size: 1024
    .name:           _ZN4vllm25paged_attention_v2_kernelIthLi256ELi16ELi128ELNS_18Fp8KVCacheDataTypeE1ELb1ELi512EEEvPfS2_PT_PKS3_PKT0_S9_ifPKiSB_iPKfiiiSD_SD_iiiii
    .private_segment_fixed_size: 220
    .sgpr_count:     54
    .sgpr_spill_count: 0
    .symbol:         _ZN4vllm25paged_attention_v2_kernelIthLi256ELi16ELi128ELNS_18Fp8KVCacheDataTypeE1ELb1ELi512EEEvPfS2_PT_PKS3_PKT0_S9_ifPKiSB_iPKfiiiSD_SD_iiiii.kd
    .uniform_work_group_size: 1
    .uses_dynamic_stack: false
    .vgpr_count:     128
    .vgpr_spill_count: 0
    .wavefront_size: 64
  - .agpr_count:     0
    .args:
      - .actual_access:  write_only
        .address_space:  global
        .offset:         0
        .size:           8
        .value_kind:     global_buffer
      - .actual_access:  write_only
        .address_space:  global
        .offset:         8
        .size:           8
        .value_kind:     global_buffer
      - .actual_access:  write_only
        .address_space:  global
        .offset:         16
        .size:           8
        .value_kind:     global_buffer
      - .actual_access:  read_only
        .address_space:  global
        .offset:         24
        .size:           8
        .value_kind:     global_buffer
      - .actual_access:  read_only
        .address_space:  global
        .offset:         32
        .size:           8
        .value_kind:     global_buffer
      - .actual_access:  read_only
        .address_space:  global
        .offset:         40
        .size:           8
        .value_kind:     global_buffer
      - .offset:         48
        .size:           4
        .value_kind:     by_value
      - .offset:         52
        .size:           4
        .value_kind:     by_value
      - .actual_access:  read_only
        .address_space:  global
        .offset:         56
        .size:           8
        .value_kind:     global_buffer
      - .actual_access:  read_only
        .address_space:  global
        .offset:         64
        .size:           8
        .value_kind:     global_buffer
      - .offset:         72
        .size:           4
        .value_kind:     by_value
      - .actual_access:  read_only
        .address_space:  global
        .offset:         80
        .size:           8
        .value_kind:     global_buffer
      - .offset:         88
        .size:           4
        .value_kind:     by_value
      - .offset:         92
        .size:           4
        .value_kind:     by_value
      - .offset:         96
        .size:           4
        .value_kind:     by_value
      - .address_space:  global
        .offset:         104
        .size:           8
        .value_kind:     global_buffer
      - .address_space:  global
        .offset:         112
        .size:           8
        .value_kind:     global_buffer
      - .offset:         120
        .size:           4
        .value_kind:     by_value
      - .offset:         124
        .size:           4
        .value_kind:     by_value
      - .offset:         128
        .size:           4
        .value_kind:     by_value
      - .offset:         132
        .size:           4
        .value_kind:     by_value
      - .offset:         136
        .size:           4
        .value_kind:     by_value
      - .offset:         144
        .size:           4
        .value_kind:     hidden_block_count_x
      - .offset:         148
        .size:           4
        .value_kind:     hidden_block_count_y
      - .offset:         152
        .size:           4
        .value_kind:     hidden_block_count_z
      - .offset:         156
        .size:           2
        .value_kind:     hidden_group_size_x
      - .offset:         158
        .size:           2
        .value_kind:     hidden_group_size_y
      - .offset:         160
        .size:           2
        .value_kind:     hidden_group_size_z
      - .offset:         162
        .size:           2
        .value_kind:     hidden_remainder_x
      - .offset:         164
        .size:           2
        .value_kind:     hidden_remainder_y
      - .offset:         166
        .size:           2
        .value_kind:     hidden_remainder_z
      - .offset:         184
        .size:           8
        .value_kind:     hidden_global_offset_x
      - .offset:         192
        .size:           8
        .value_kind:     hidden_global_offset_y
      - .offset:         200
        .size:           8
        .value_kind:     hidden_global_offset_z
      - .offset:         208
        .size:           2
        .value_kind:     hidden_grid_dims
      - .offset:         264
        .size:           4
        .value_kind:     hidden_dynamic_lds_size
    .group_segment_fixed_size: 80
    .kernarg_segment_align: 8
    .kernarg_segment_size: 400
    .language:       OpenCL C
    .language_version:
      - 2
      - 0
    .max_flat_workgroup_size: 1024
    .name:           _ZN4vllm25paged_attention_v2_kernelIthLi32ELi16ELi128ELNS_18Fp8KVCacheDataTypeE1ELb0ELi512EEEvPfS2_PT_PKS3_PKT0_S9_ifPKiSB_iPKfiiiSD_SD_iiiii
    .private_segment_fixed_size: 0
    .sgpr_count:     62
    .sgpr_spill_count: 0
    .symbol:         _ZN4vllm25paged_attention_v2_kernelIthLi32ELi16ELi128ELNS_18Fp8KVCacheDataTypeE1ELb0ELi512EEEvPfS2_PT_PKS3_PKT0_S9_ifPKiSB_iPKfiiiSD_SD_iiiii.kd
    .uniform_work_group_size: 1
    .uses_dynamic_stack: false
    .vgpr_count:     35
    .vgpr_spill_count: 0
    .wavefront_size: 64
  - .agpr_count:     0
    .args:
      - .actual_access:  write_only
        .address_space:  global
        .offset:         0
        .size:           8
        .value_kind:     global_buffer
      - .actual_access:  write_only
        .address_space:  global
        .offset:         8
        .size:           8
        .value_kind:     global_buffer
      - .actual_access:  write_only
        .address_space:  global
        .offset:         16
        .size:           8
        .value_kind:     global_buffer
      - .actual_access:  read_only
        .address_space:  global
        .offset:         24
        .size:           8
        .value_kind:     global_buffer
      - .actual_access:  read_only
        .address_space:  global
        .offset:         32
        .size:           8
        .value_kind:     global_buffer
      - .actual_access:  read_only
        .address_space:  global
        .offset:         40
        .size:           8
        .value_kind:     global_buffer
      - .offset:         48
        .size:           4
        .value_kind:     by_value
      - .offset:         52
        .size:           4
        .value_kind:     by_value
      - .actual_access:  read_only
        .address_space:  global
        .offset:         56
        .size:           8
        .value_kind:     global_buffer
      - .actual_access:  read_only
        .address_space:  global
        .offset:         64
        .size:           8
        .value_kind:     global_buffer
      - .offset:         72
        .size:           4
        .value_kind:     by_value
      - .actual_access:  read_only
        .address_space:  global
        .offset:         80
        .size:           8
        .value_kind:     global_buffer
      - .offset:         88
        .size:           4
        .value_kind:     by_value
      - .offset:         92
        .size:           4
        .value_kind:     by_value
      - .offset:         96
        .size:           4
        .value_kind:     by_value
      - .address_space:  global
        .offset:         104
        .size:           8
        .value_kind:     global_buffer
      - .address_space:  global
        .offset:         112
        .size:           8
        .value_kind:     global_buffer
      - .offset:         120
        .size:           4
        .value_kind:     by_value
      - .offset:         124
        .size:           4
        .value_kind:     by_value
      - .offset:         128
        .size:           4
        .value_kind:     by_value
      - .offset:         132
        .size:           4
        .value_kind:     by_value
      - .offset:         136
        .size:           4
        .value_kind:     by_value
      - .offset:         144
        .size:           4
        .value_kind:     hidden_block_count_x
      - .offset:         148
        .size:           4
        .value_kind:     hidden_block_count_y
      - .offset:         152
        .size:           4
        .value_kind:     hidden_block_count_z
      - .offset:         156
        .size:           2
        .value_kind:     hidden_group_size_x
      - .offset:         158
        .size:           2
        .value_kind:     hidden_group_size_y
      - .offset:         160
        .size:           2
        .value_kind:     hidden_group_size_z
      - .offset:         162
        .size:           2
        .value_kind:     hidden_remainder_x
      - .offset:         164
        .size:           2
        .value_kind:     hidden_remainder_y
      - .offset:         166
        .size:           2
        .value_kind:     hidden_remainder_z
      - .offset:         184
        .size:           8
        .value_kind:     hidden_global_offset_x
      - .offset:         192
        .size:           8
        .value_kind:     hidden_global_offset_y
      - .offset:         200
        .size:           8
        .value_kind:     hidden_global_offset_z
      - .offset:         208
        .size:           2
        .value_kind:     hidden_grid_dims
      - .offset:         264
        .size:           4
        .value_kind:     hidden_dynamic_lds_size
    .group_segment_fixed_size: 144
    .kernarg_segment_align: 8
    .kernarg_segment_size: 400
    .language:       OpenCL C
    .language_version:
      - 2
      - 0
    .max_flat_workgroup_size: 1024
    .name:           _ZN4vllm25paged_attention_v2_kernelIthLi64ELi16ELi128ELNS_18Fp8KVCacheDataTypeE1ELb0ELi512EEEvPfS2_PT_PKS3_PKT0_S9_ifPKiSB_iPKfiiiSD_SD_iiiii
    .private_segment_fixed_size: 0
    .sgpr_count:     62
    .sgpr_spill_count: 0
    .symbol:         _ZN4vllm25paged_attention_v2_kernelIthLi64ELi16ELi128ELNS_18Fp8KVCacheDataTypeE1ELb0ELi512EEEvPfS2_PT_PKS3_PKT0_S9_ifPKiSB_iPKfiiiSD_SD_iiiii.kd
    .uniform_work_group_size: 1
    .uses_dynamic_stack: false
    .vgpr_count:     45
    .vgpr_spill_count: 0
    .wavefront_size: 64
  - .agpr_count:     0
    .args:
      - .actual_access:  write_only
        .address_space:  global
        .offset:         0
        .size:           8
        .value_kind:     global_buffer
      - .actual_access:  write_only
        .address_space:  global
        .offset:         8
        .size:           8
        .value_kind:     global_buffer
      - .actual_access:  write_only
        .address_space:  global
        .offset:         16
        .size:           8
        .value_kind:     global_buffer
      - .actual_access:  read_only
        .address_space:  global
        .offset:         24
        .size:           8
        .value_kind:     global_buffer
      - .actual_access:  read_only
        .address_space:  global
        .offset:         32
        .size:           8
        .value_kind:     global_buffer
      - .actual_access:  read_only
        .address_space:  global
        .offset:         40
        .size:           8
        .value_kind:     global_buffer
      - .offset:         48
        .size:           4
        .value_kind:     by_value
      - .offset:         52
        .size:           4
        .value_kind:     by_value
      - .actual_access:  read_only
        .address_space:  global
        .offset:         56
        .size:           8
        .value_kind:     global_buffer
      - .actual_access:  read_only
        .address_space:  global
        .offset:         64
        .size:           8
        .value_kind:     global_buffer
      - .offset:         72
        .size:           4
        .value_kind:     by_value
      - .actual_access:  read_only
        .address_space:  global
        .offset:         80
        .size:           8
        .value_kind:     global_buffer
      - .offset:         88
        .size:           4
        .value_kind:     by_value
      - .offset:         92
        .size:           4
        .value_kind:     by_value
      - .offset:         96
        .size:           4
        .value_kind:     by_value
      - .address_space:  global
        .offset:         104
        .size:           8
        .value_kind:     global_buffer
      - .address_space:  global
        .offset:         112
        .size:           8
        .value_kind:     global_buffer
      - .offset:         120
        .size:           4
        .value_kind:     by_value
      - .offset:         124
        .size:           4
        .value_kind:     by_value
      - .offset:         128
        .size:           4
        .value_kind:     by_value
      - .offset:         132
        .size:           4
        .value_kind:     by_value
      - .offset:         136
        .size:           4
        .value_kind:     by_value
      - .offset:         144
        .size:           4
        .value_kind:     hidden_block_count_x
      - .offset:         148
        .size:           4
        .value_kind:     hidden_block_count_y
      - .offset:         152
        .size:           4
        .value_kind:     hidden_block_count_z
      - .offset:         156
        .size:           2
        .value_kind:     hidden_group_size_x
      - .offset:         158
        .size:           2
        .value_kind:     hidden_group_size_y
      - .offset:         160
        .size:           2
        .value_kind:     hidden_group_size_z
      - .offset:         162
        .size:           2
        .value_kind:     hidden_remainder_x
      - .offset:         164
        .size:           2
        .value_kind:     hidden_remainder_y
      - .offset:         166
        .size:           2
        .value_kind:     hidden_remainder_z
      - .offset:         184
        .size:           8
        .value_kind:     hidden_global_offset_x
      - .offset:         192
        .size:           8
        .value_kind:     hidden_global_offset_y
      - .offset:         200
        .size:           8
        .value_kind:     hidden_global_offset_z
      - .offset:         208
        .size:           2
        .value_kind:     hidden_grid_dims
      - .offset:         264
        .size:           4
        .value_kind:     hidden_dynamic_lds_size
    .group_segment_fixed_size: 176
    .kernarg_segment_align: 8
    .kernarg_segment_size: 400
    .language:       OpenCL C
    .language_version:
      - 2
      - 0
    .max_flat_workgroup_size: 1024
    .name:           _ZN4vllm25paged_attention_v2_kernelIthLi80ELi16ELi128ELNS_18Fp8KVCacheDataTypeE1ELb0ELi512EEEvPfS2_PT_PKS3_PKT0_S9_ifPKiSB_iPKfiiiSD_SD_iiiii
    .private_segment_fixed_size: 0
    .sgpr_count:     62
    .sgpr_spill_count: 0
    .symbol:         _ZN4vllm25paged_attention_v2_kernelIthLi80ELi16ELi128ELNS_18Fp8KVCacheDataTypeE1ELb0ELi512EEEvPfS2_PT_PKS3_PKT0_S9_ifPKiSB_iPKfiiiSD_SD_iiiii.kd
    .uniform_work_group_size: 1
    .uses_dynamic_stack: false
    .vgpr_count:     51
    .vgpr_spill_count: 0
    .wavefront_size: 64
  - .agpr_count:     0
    .args:
      - .actual_access:  write_only
        .address_space:  global
        .offset:         0
        .size:           8
        .value_kind:     global_buffer
      - .actual_access:  write_only
        .address_space:  global
        .offset:         8
        .size:           8
        .value_kind:     global_buffer
      - .actual_access:  write_only
        .address_space:  global
        .offset:         16
        .size:           8
        .value_kind:     global_buffer
      - .actual_access:  read_only
        .address_space:  global
        .offset:         24
        .size:           8
        .value_kind:     global_buffer
      - .actual_access:  read_only
        .address_space:  global
        .offset:         32
        .size:           8
        .value_kind:     global_buffer
      - .actual_access:  read_only
        .address_space:  global
        .offset:         40
        .size:           8
        .value_kind:     global_buffer
      - .offset:         48
        .size:           4
        .value_kind:     by_value
      - .offset:         52
        .size:           4
        .value_kind:     by_value
      - .actual_access:  read_only
        .address_space:  global
        .offset:         56
        .size:           8
        .value_kind:     global_buffer
      - .actual_access:  read_only
        .address_space:  global
        .offset:         64
        .size:           8
        .value_kind:     global_buffer
      - .offset:         72
        .size:           4
        .value_kind:     by_value
      - .actual_access:  read_only
        .address_space:  global
        .offset:         80
        .size:           8
        .value_kind:     global_buffer
      - .offset:         88
        .size:           4
        .value_kind:     by_value
      - .offset:         92
        .size:           4
        .value_kind:     by_value
      - .offset:         96
        .size:           4
        .value_kind:     by_value
      - .address_space:  global
        .offset:         104
        .size:           8
        .value_kind:     global_buffer
      - .address_space:  global
        .offset:         112
        .size:           8
        .value_kind:     global_buffer
      - .offset:         120
        .size:           4
        .value_kind:     by_value
      - .offset:         124
        .size:           4
        .value_kind:     by_value
      - .offset:         128
        .size:           4
        .value_kind:     by_value
      - .offset:         132
        .size:           4
        .value_kind:     by_value
      - .offset:         136
        .size:           4
        .value_kind:     by_value
      - .offset:         144
        .size:           4
        .value_kind:     hidden_block_count_x
      - .offset:         148
        .size:           4
        .value_kind:     hidden_block_count_y
      - .offset:         152
        .size:           4
        .value_kind:     hidden_block_count_z
      - .offset:         156
        .size:           2
        .value_kind:     hidden_group_size_x
      - .offset:         158
        .size:           2
        .value_kind:     hidden_group_size_y
      - .offset:         160
        .size:           2
        .value_kind:     hidden_group_size_z
      - .offset:         162
        .size:           2
        .value_kind:     hidden_remainder_x
      - .offset:         164
        .size:           2
        .value_kind:     hidden_remainder_y
      - .offset:         166
        .size:           2
        .value_kind:     hidden_remainder_z
      - .offset:         184
        .size:           8
        .value_kind:     hidden_global_offset_x
      - .offset:         192
        .size:           8
        .value_kind:     hidden_global_offset_y
      - .offset:         200
        .size:           8
        .value_kind:     hidden_global_offset_z
      - .offset:         208
        .size:           2
        .value_kind:     hidden_grid_dims
      - .offset:         264
        .size:           4
        .value_kind:     hidden_dynamic_lds_size
    .group_segment_fixed_size: 208
    .kernarg_segment_align: 8
    .kernarg_segment_size: 400
    .language:       OpenCL C
    .language_version:
      - 2
      - 0
    .max_flat_workgroup_size: 1024
    .name:           _ZN4vllm25paged_attention_v2_kernelIthLi96ELi16ELi128ELNS_18Fp8KVCacheDataTypeE1ELb0ELi512EEEvPfS2_PT_PKS3_PKT0_S9_ifPKiSB_iPKfiiiSD_SD_iiiii
    .private_segment_fixed_size: 0
    .sgpr_count:     62
    .sgpr_spill_count: 0
    .symbol:         _ZN4vllm25paged_attention_v2_kernelIthLi96ELi16ELi128ELNS_18Fp8KVCacheDataTypeE1ELb0ELi512EEEvPfS2_PT_PKS3_PKT0_S9_ifPKiSB_iPKfiiiSD_SD_iiiii.kd
    .uniform_work_group_size: 1
    .uses_dynamic_stack: false
    .vgpr_count:     57
    .vgpr_spill_count: 0
    .wavefront_size: 64
  - .agpr_count:     0
    .args:
      - .actual_access:  write_only
        .address_space:  global
        .offset:         0
        .size:           8
        .value_kind:     global_buffer
      - .actual_access:  write_only
        .address_space:  global
        .offset:         8
        .size:           8
        .value_kind:     global_buffer
      - .actual_access:  write_only
        .address_space:  global
        .offset:         16
        .size:           8
        .value_kind:     global_buffer
      - .actual_access:  read_only
        .address_space:  global
        .offset:         24
        .size:           8
        .value_kind:     global_buffer
      - .actual_access:  read_only
        .address_space:  global
        .offset:         32
        .size:           8
        .value_kind:     global_buffer
      - .actual_access:  read_only
        .address_space:  global
        .offset:         40
        .size:           8
        .value_kind:     global_buffer
      - .offset:         48
        .size:           4
        .value_kind:     by_value
      - .offset:         52
        .size:           4
        .value_kind:     by_value
      - .actual_access:  read_only
        .address_space:  global
        .offset:         56
        .size:           8
        .value_kind:     global_buffer
      - .actual_access:  read_only
        .address_space:  global
        .offset:         64
        .size:           8
        .value_kind:     global_buffer
      - .offset:         72
        .size:           4
        .value_kind:     by_value
      - .actual_access:  read_only
        .address_space:  global
        .offset:         80
        .size:           8
        .value_kind:     global_buffer
      - .offset:         88
        .size:           4
        .value_kind:     by_value
      - .offset:         92
        .size:           4
        .value_kind:     by_value
      - .offset:         96
        .size:           4
        .value_kind:     by_value
      - .address_space:  global
        .offset:         104
        .size:           8
        .value_kind:     global_buffer
      - .address_space:  global
        .offset:         112
        .size:           8
        .value_kind:     global_buffer
      - .offset:         120
        .size:           4
        .value_kind:     by_value
      - .offset:         124
        .size:           4
        .value_kind:     by_value
      - .offset:         128
        .size:           4
        .value_kind:     by_value
      - .offset:         132
        .size:           4
        .value_kind:     by_value
      - .offset:         136
        .size:           4
        .value_kind:     by_value
      - .offset:         144
        .size:           4
        .value_kind:     hidden_block_count_x
      - .offset:         148
        .size:           4
        .value_kind:     hidden_block_count_y
      - .offset:         152
        .size:           4
        .value_kind:     hidden_block_count_z
      - .offset:         156
        .size:           2
        .value_kind:     hidden_group_size_x
      - .offset:         158
        .size:           2
        .value_kind:     hidden_group_size_y
      - .offset:         160
        .size:           2
        .value_kind:     hidden_group_size_z
      - .offset:         162
        .size:           2
        .value_kind:     hidden_remainder_x
      - .offset:         164
        .size:           2
        .value_kind:     hidden_remainder_y
      - .offset:         166
        .size:           2
        .value_kind:     hidden_remainder_z
      - .offset:         184
        .size:           8
        .value_kind:     hidden_global_offset_x
      - .offset:         192
        .size:           8
        .value_kind:     hidden_global_offset_y
      - .offset:         200
        .size:           8
        .value_kind:     hidden_global_offset_z
      - .offset:         208
        .size:           2
        .value_kind:     hidden_grid_dims
      - .offset:         264
        .size:           4
        .value_kind:     hidden_dynamic_lds_size
    .group_segment_fixed_size: 240
    .kernarg_segment_align: 8
    .kernarg_segment_size: 400
    .language:       OpenCL C
    .language_version:
      - 2
      - 0
    .max_flat_workgroup_size: 1024
    .name:           _ZN4vllm25paged_attention_v2_kernelIthLi112ELi16ELi128ELNS_18Fp8KVCacheDataTypeE1ELb0ELi512EEEvPfS2_PT_PKS3_PKT0_S9_ifPKiSB_iPKfiiiSD_SD_iiiii
    .private_segment_fixed_size: 0
    .sgpr_count:     62
    .sgpr_spill_count: 0
    .symbol:         _ZN4vllm25paged_attention_v2_kernelIthLi112ELi16ELi128ELNS_18Fp8KVCacheDataTypeE1ELb0ELi512EEEvPfS2_PT_PKS3_PKT0_S9_ifPKiSB_iPKfiiiSD_SD_iiiii.kd
    .uniform_work_group_size: 1
    .uses_dynamic_stack: false
    .vgpr_count:     63
    .vgpr_spill_count: 0
    .wavefront_size: 64
  - .agpr_count:     0
    .args:
      - .actual_access:  write_only
        .address_space:  global
        .offset:         0
        .size:           8
        .value_kind:     global_buffer
      - .actual_access:  write_only
        .address_space:  global
        .offset:         8
        .size:           8
        .value_kind:     global_buffer
      - .actual_access:  write_only
        .address_space:  global
        .offset:         16
        .size:           8
        .value_kind:     global_buffer
      - .actual_access:  read_only
        .address_space:  global
        .offset:         24
        .size:           8
        .value_kind:     global_buffer
      - .actual_access:  read_only
        .address_space:  global
        .offset:         32
        .size:           8
        .value_kind:     global_buffer
      - .actual_access:  read_only
        .address_space:  global
        .offset:         40
        .size:           8
        .value_kind:     global_buffer
      - .offset:         48
        .size:           4
        .value_kind:     by_value
      - .offset:         52
        .size:           4
        .value_kind:     by_value
      - .actual_access:  read_only
        .address_space:  global
        .offset:         56
        .size:           8
        .value_kind:     global_buffer
      - .actual_access:  read_only
        .address_space:  global
        .offset:         64
        .size:           8
        .value_kind:     global_buffer
      - .offset:         72
        .size:           4
        .value_kind:     by_value
      - .actual_access:  read_only
        .address_space:  global
        .offset:         80
        .size:           8
        .value_kind:     global_buffer
      - .offset:         88
        .size:           4
        .value_kind:     by_value
      - .offset:         92
        .size:           4
        .value_kind:     by_value
      - .offset:         96
        .size:           4
        .value_kind:     by_value
      - .address_space:  global
        .offset:         104
        .size:           8
        .value_kind:     global_buffer
      - .address_space:  global
        .offset:         112
        .size:           8
        .value_kind:     global_buffer
      - .offset:         120
        .size:           4
        .value_kind:     by_value
      - .offset:         124
        .size:           4
        .value_kind:     by_value
      - .offset:         128
        .size:           4
        .value_kind:     by_value
      - .offset:         132
        .size:           4
        .value_kind:     by_value
      - .offset:         136
        .size:           4
        .value_kind:     by_value
      - .offset:         144
        .size:           4
        .value_kind:     hidden_block_count_x
      - .offset:         148
        .size:           4
        .value_kind:     hidden_block_count_y
      - .offset:         152
        .size:           4
        .value_kind:     hidden_block_count_z
      - .offset:         156
        .size:           2
        .value_kind:     hidden_group_size_x
      - .offset:         158
        .size:           2
        .value_kind:     hidden_group_size_y
      - .offset:         160
        .size:           2
        .value_kind:     hidden_group_size_z
      - .offset:         162
        .size:           2
        .value_kind:     hidden_remainder_x
      - .offset:         164
        .size:           2
        .value_kind:     hidden_remainder_y
      - .offset:         166
        .size:           2
        .value_kind:     hidden_remainder_z
      - .offset:         184
        .size:           8
        .value_kind:     hidden_global_offset_x
      - .offset:         192
        .size:           8
        .value_kind:     hidden_global_offset_y
      - .offset:         200
        .size:           8
        .value_kind:     hidden_global_offset_z
      - .offset:         208
        .size:           2
        .value_kind:     hidden_grid_dims
      - .offset:         264
        .size:           4
        .value_kind:     hidden_dynamic_lds_size
    .group_segment_fixed_size: 256
    .kernarg_segment_align: 8
    .kernarg_segment_size: 400
    .language:       OpenCL C
    .language_version:
      - 2
      - 0
    .max_flat_workgroup_size: 1024
    .name:           _ZN4vllm25paged_attention_v2_kernelIthLi120ELi16ELi128ELNS_18Fp8KVCacheDataTypeE1ELb0ELi512EEEvPfS2_PT_PKS3_PKT0_S9_ifPKiSB_iPKfiiiSD_SD_iiiii
    .private_segment_fixed_size: 0
    .sgpr_count:     62
    .sgpr_spill_count: 0
    .symbol:         _ZN4vllm25paged_attention_v2_kernelIthLi120ELi16ELi128ELNS_18Fp8KVCacheDataTypeE1ELb0ELi512EEEvPfS2_PT_PKS3_PKT0_S9_ifPKiSB_iPKfiiiSD_SD_iiiii.kd
    .uniform_work_group_size: 1
    .uses_dynamic_stack: false
    .vgpr_count:     66
    .vgpr_spill_count: 0
    .wavefront_size: 64
  - .agpr_count:     0
    .args:
      - .actual_access:  write_only
        .address_space:  global
        .offset:         0
        .size:           8
        .value_kind:     global_buffer
      - .actual_access:  write_only
        .address_space:  global
        .offset:         8
        .size:           8
        .value_kind:     global_buffer
      - .actual_access:  write_only
        .address_space:  global
        .offset:         16
        .size:           8
        .value_kind:     global_buffer
      - .actual_access:  read_only
        .address_space:  global
        .offset:         24
        .size:           8
        .value_kind:     global_buffer
      - .actual_access:  read_only
        .address_space:  global
        .offset:         32
        .size:           8
        .value_kind:     global_buffer
      - .actual_access:  read_only
        .address_space:  global
        .offset:         40
        .size:           8
        .value_kind:     global_buffer
      - .offset:         48
        .size:           4
        .value_kind:     by_value
      - .offset:         52
        .size:           4
        .value_kind:     by_value
      - .actual_access:  read_only
        .address_space:  global
        .offset:         56
        .size:           8
        .value_kind:     global_buffer
      - .actual_access:  read_only
        .address_space:  global
        .offset:         64
        .size:           8
        .value_kind:     global_buffer
      - .offset:         72
        .size:           4
        .value_kind:     by_value
      - .actual_access:  read_only
        .address_space:  global
        .offset:         80
        .size:           8
        .value_kind:     global_buffer
      - .offset:         88
        .size:           4
        .value_kind:     by_value
      - .offset:         92
        .size:           4
        .value_kind:     by_value
      - .offset:         96
        .size:           4
        .value_kind:     by_value
      - .address_space:  global
        .offset:         104
        .size:           8
        .value_kind:     global_buffer
      - .address_space:  global
        .offset:         112
        .size:           8
        .value_kind:     global_buffer
      - .offset:         120
        .size:           4
        .value_kind:     by_value
      - .offset:         124
        .size:           4
        .value_kind:     by_value
      - .offset:         128
        .size:           4
        .value_kind:     by_value
      - .offset:         132
        .size:           4
        .value_kind:     by_value
      - .offset:         136
        .size:           4
        .value_kind:     by_value
      - .offset:         144
        .size:           4
        .value_kind:     hidden_block_count_x
      - .offset:         148
        .size:           4
        .value_kind:     hidden_block_count_y
      - .offset:         152
        .size:           4
        .value_kind:     hidden_block_count_z
      - .offset:         156
        .size:           2
        .value_kind:     hidden_group_size_x
      - .offset:         158
        .size:           2
        .value_kind:     hidden_group_size_y
      - .offset:         160
        .size:           2
        .value_kind:     hidden_group_size_z
      - .offset:         162
        .size:           2
        .value_kind:     hidden_remainder_x
      - .offset:         164
        .size:           2
        .value_kind:     hidden_remainder_y
      - .offset:         166
        .size:           2
        .value_kind:     hidden_remainder_z
      - .offset:         184
        .size:           8
        .value_kind:     hidden_global_offset_x
      - .offset:         192
        .size:           8
        .value_kind:     hidden_global_offset_y
      - .offset:         200
        .size:           8
        .value_kind:     hidden_global_offset_z
      - .offset:         208
        .size:           2
        .value_kind:     hidden_grid_dims
      - .offset:         264
        .size:           4
        .value_kind:     hidden_dynamic_lds_size
    .group_segment_fixed_size: 272
    .kernarg_segment_align: 8
    .kernarg_segment_size: 400
    .language:       OpenCL C
    .language_version:
      - 2
      - 0
    .max_flat_workgroup_size: 1024
    .name:           _ZN4vllm25paged_attention_v2_kernelIthLi128ELi16ELi128ELNS_18Fp8KVCacheDataTypeE1ELb0ELi512EEEvPfS2_PT_PKS3_PKT0_S9_ifPKiSB_iPKfiiiSD_SD_iiiii
    .private_segment_fixed_size: 0
    .sgpr_count:     64
    .sgpr_spill_count: 0
    .symbol:         _ZN4vllm25paged_attention_v2_kernelIthLi128ELi16ELi128ELNS_18Fp8KVCacheDataTypeE1ELb0ELi512EEEvPfS2_PT_PKS3_PKT0_S9_ifPKiSB_iPKfiiiSD_SD_iiiii.kd
    .uniform_work_group_size: 1
    .uses_dynamic_stack: false
    .vgpr_count:     69
    .vgpr_spill_count: 0
    .wavefront_size: 64
  - .agpr_count:     46
    .args:
      - .actual_access:  write_only
        .address_space:  global
        .offset:         0
        .size:           8
        .value_kind:     global_buffer
      - .actual_access:  write_only
        .address_space:  global
        .offset:         8
        .size:           8
        .value_kind:     global_buffer
      - .actual_access:  write_only
        .address_space:  global
        .offset:         16
        .size:           8
        .value_kind:     global_buffer
      - .actual_access:  read_only
        .address_space:  global
        .offset:         24
        .size:           8
        .value_kind:     global_buffer
      - .actual_access:  read_only
        .address_space:  global
        .offset:         32
        .size:           8
        .value_kind:     global_buffer
      - .actual_access:  read_only
        .address_space:  global
        .offset:         40
        .size:           8
        .value_kind:     global_buffer
      - .offset:         48
        .size:           4
        .value_kind:     by_value
      - .offset:         52
        .size:           4
        .value_kind:     by_value
      - .actual_access:  read_only
        .address_space:  global
        .offset:         56
        .size:           8
        .value_kind:     global_buffer
      - .actual_access:  read_only
        .address_space:  global
        .offset:         64
        .size:           8
        .value_kind:     global_buffer
      - .offset:         72
        .size:           4
        .value_kind:     by_value
      - .address_space:  global
        .offset:         80
        .size:           8
        .value_kind:     global_buffer
      - .offset:         88
        .size:           4
        .value_kind:     by_value
      - .offset:         92
        .size:           4
        .value_kind:     by_value
      - .offset:         96
        .size:           4
        .value_kind:     by_value
      - .address_space:  global
        .offset:         104
        .size:           8
        .value_kind:     global_buffer
      - .address_space:  global
        .offset:         112
        .size:           8
        .value_kind:     global_buffer
      - .offset:         120
        .size:           4
        .value_kind:     by_value
      - .offset:         124
        .size:           4
        .value_kind:     by_value
      - .offset:         128
        .size:           4
        .value_kind:     by_value
      - .offset:         132
        .size:           4
        .value_kind:     by_value
      - .offset:         136
        .size:           4
        .value_kind:     by_value
      - .offset:         144
        .size:           4
        .value_kind:     hidden_block_count_x
      - .offset:         148
        .size:           4
        .value_kind:     hidden_block_count_y
      - .offset:         152
        .size:           4
        .value_kind:     hidden_block_count_z
      - .offset:         156
        .size:           2
        .value_kind:     hidden_group_size_x
      - .offset:         158
        .size:           2
        .value_kind:     hidden_group_size_y
      - .offset:         160
        .size:           2
        .value_kind:     hidden_group_size_z
      - .offset:         162
        .size:           2
        .value_kind:     hidden_remainder_x
      - .offset:         164
        .size:           2
        .value_kind:     hidden_remainder_y
      - .offset:         166
        .size:           2
        .value_kind:     hidden_remainder_z
      - .offset:         184
        .size:           8
        .value_kind:     hidden_global_offset_x
      - .offset:         192
        .size:           8
        .value_kind:     hidden_global_offset_y
      - .offset:         200
        .size:           8
        .value_kind:     hidden_global_offset_z
      - .offset:         208
        .size:           2
        .value_kind:     hidden_grid_dims
      - .offset:         264
        .size:           4
        .value_kind:     hidden_dynamic_lds_size
    .group_segment_fixed_size: 400
    .kernarg_segment_align: 8
    .kernarg_segment_size: 400
    .language:       OpenCL C
    .language_version:
      - 2
      - 0
    .max_flat_workgroup_size: 1024
    .name:           _ZN4vllm25paged_attention_v2_kernelIthLi192ELi16ELi128ELNS_18Fp8KVCacheDataTypeE1ELb0ELi512EEEvPfS2_PT_PKS3_PKT0_S9_ifPKiSB_iPKfiiiSD_SD_iiiii
    .private_segment_fixed_size: 132
    .sgpr_count:     50
    .sgpr_spill_count: 0
    .symbol:         _ZN4vllm25paged_attention_v2_kernelIthLi192ELi16ELi128ELNS_18Fp8KVCacheDataTypeE1ELb0ELi512EEEvPfS2_PT_PKS3_PKT0_S9_ifPKiSB_iPKfiiiSD_SD_iiiii.kd
    .uniform_work_group_size: 1
    .uses_dynamic_stack: false
    .vgpr_count:     110
    .vgpr_spill_count: 0
    .wavefront_size: 64
  - .agpr_count:     54
    .args:
      - .actual_access:  write_only
        .address_space:  global
        .offset:         0
        .size:           8
        .value_kind:     global_buffer
      - .actual_access:  write_only
        .address_space:  global
        .offset:         8
        .size:           8
        .value_kind:     global_buffer
      - .actual_access:  write_only
        .address_space:  global
        .offset:         16
        .size:           8
        .value_kind:     global_buffer
      - .actual_access:  read_only
        .address_space:  global
        .offset:         24
        .size:           8
        .value_kind:     global_buffer
      - .actual_access:  read_only
        .address_space:  global
        .offset:         32
        .size:           8
        .value_kind:     global_buffer
      - .actual_access:  read_only
        .address_space:  global
        .offset:         40
        .size:           8
        .value_kind:     global_buffer
      - .offset:         48
        .size:           4
        .value_kind:     by_value
      - .offset:         52
        .size:           4
        .value_kind:     by_value
      - .actual_access:  read_only
        .address_space:  global
        .offset:         56
        .size:           8
        .value_kind:     global_buffer
      - .actual_access:  read_only
        .address_space:  global
        .offset:         64
        .size:           8
        .value_kind:     global_buffer
      - .offset:         72
        .size:           4
        .value_kind:     by_value
      - .address_space:  global
        .offset:         80
        .size:           8
        .value_kind:     global_buffer
      - .offset:         88
        .size:           4
        .value_kind:     by_value
      - .offset:         92
        .size:           4
        .value_kind:     by_value
      - .offset:         96
        .size:           4
        .value_kind:     by_value
      - .address_space:  global
        .offset:         104
        .size:           8
        .value_kind:     global_buffer
      - .address_space:  global
        .offset:         112
        .size:           8
        .value_kind:     global_buffer
      - .offset:         120
        .size:           4
        .value_kind:     by_value
      - .offset:         124
        .size:           4
        .value_kind:     by_value
      - .offset:         128
        .size:           4
        .value_kind:     by_value
      - .offset:         132
        .size:           4
        .value_kind:     by_value
      - .offset:         136
        .size:           4
        .value_kind:     by_value
      - .offset:         144
        .size:           4
        .value_kind:     hidden_block_count_x
      - .offset:         148
        .size:           4
        .value_kind:     hidden_block_count_y
      - .offset:         152
        .size:           4
        .value_kind:     hidden_block_count_z
      - .offset:         156
        .size:           2
        .value_kind:     hidden_group_size_x
      - .offset:         158
        .size:           2
        .value_kind:     hidden_group_size_y
      - .offset:         160
        .size:           2
        .value_kind:     hidden_group_size_z
      - .offset:         162
        .size:           2
        .value_kind:     hidden_remainder_x
      - .offset:         164
        .size:           2
        .value_kind:     hidden_remainder_y
      - .offset:         166
        .size:           2
        .value_kind:     hidden_remainder_z
      - .offset:         184
        .size:           8
        .value_kind:     hidden_global_offset_x
      - .offset:         192
        .size:           8
        .value_kind:     hidden_global_offset_y
      - .offset:         200
        .size:           8
        .value_kind:     hidden_global_offset_z
      - .offset:         208
        .size:           2
        .value_kind:     hidden_grid_dims
      - .offset:         264
        .size:           4
        .value_kind:     hidden_dynamic_lds_size
    .group_segment_fixed_size: 528
    .kernarg_segment_align: 8
    .kernarg_segment_size: 400
    .language:       OpenCL C
    .language_version:
      - 2
      - 0
    .max_flat_workgroup_size: 1024
    .name:           _ZN4vllm25paged_attention_v2_kernelIthLi256ELi16ELi128ELNS_18Fp8KVCacheDataTypeE1ELb0ELi512EEEvPfS2_PT_PKS3_PKT0_S9_ifPKiSB_iPKfiiiSD_SD_iiiii
    .private_segment_fixed_size: 168
    .sgpr_count:     50
    .sgpr_spill_count: 0
    .symbol:         _ZN4vllm25paged_attention_v2_kernelIthLi256ELi16ELi128ELNS_18Fp8KVCacheDataTypeE1ELb0ELi512EEEvPfS2_PT_PKS3_PKT0_S9_ifPKiSB_iPKfiiiSD_SD_iiiii.kd
    .uniform_work_group_size: 1
    .uses_dynamic_stack: false
    .vgpr_count:     118
    .vgpr_spill_count: 0
    .wavefront_size: 64
  - .agpr_count:     0
    .args:
      - .actual_access:  write_only
        .address_space:  global
        .offset:         0
        .size:           8
        .value_kind:     global_buffer
      - .actual_access:  write_only
        .address_space:  global
        .offset:         8
        .size:           8
        .value_kind:     global_buffer
      - .actual_access:  write_only
        .address_space:  global
        .offset:         16
        .size:           8
        .value_kind:     global_buffer
      - .actual_access:  read_only
        .address_space:  global
        .offset:         24
        .size:           8
        .value_kind:     global_buffer
      - .actual_access:  read_only
        .address_space:  global
        .offset:         32
        .size:           8
        .value_kind:     global_buffer
      - .actual_access:  read_only
        .address_space:  global
        .offset:         40
        .size:           8
        .value_kind:     global_buffer
      - .offset:         48
        .size:           4
        .value_kind:     by_value
      - .offset:         52
        .size:           4
        .value_kind:     by_value
      - .actual_access:  read_only
        .address_space:  global
        .offset:         56
        .size:           8
        .value_kind:     global_buffer
      - .actual_access:  read_only
        .address_space:  global
        .offset:         64
        .size:           8
        .value_kind:     global_buffer
      - .offset:         72
        .size:           4
        .value_kind:     by_value
      - .actual_access:  read_only
        .address_space:  global
        .offset:         80
        .size:           8
        .value_kind:     global_buffer
      - .offset:         88
        .size:           4
        .value_kind:     by_value
      - .offset:         92
        .size:           4
        .value_kind:     by_value
      - .offset:         96
        .size:           4
        .value_kind:     by_value
      - .address_space:  global
        .offset:         104
        .size:           8
        .value_kind:     global_buffer
      - .address_space:  global
        .offset:         112
        .size:           8
        .value_kind:     global_buffer
      - .offset:         120
        .size:           4
        .value_kind:     by_value
      - .offset:         124
        .size:           4
        .value_kind:     by_value
      - .offset:         128
        .size:           4
        .value_kind:     by_value
      - .offset:         132
        .size:           4
        .value_kind:     by_value
      - .offset:         136
        .size:           4
        .value_kind:     by_value
      - .offset:         144
        .size:           4
        .value_kind:     hidden_block_count_x
      - .offset:         148
        .size:           4
        .value_kind:     hidden_block_count_y
      - .offset:         152
        .size:           4
        .value_kind:     hidden_block_count_z
      - .offset:         156
        .size:           2
        .value_kind:     hidden_group_size_x
      - .offset:         158
        .size:           2
        .value_kind:     hidden_group_size_y
      - .offset:         160
        .size:           2
        .value_kind:     hidden_group_size_z
      - .offset:         162
        .size:           2
        .value_kind:     hidden_remainder_x
      - .offset:         164
        .size:           2
        .value_kind:     hidden_remainder_y
      - .offset:         166
        .size:           2
        .value_kind:     hidden_remainder_z
      - .offset:         184
        .size:           8
        .value_kind:     hidden_global_offset_x
      - .offset:         192
        .size:           8
        .value_kind:     hidden_global_offset_y
      - .offset:         200
        .size:           8
        .value_kind:     hidden_global_offset_z
      - .offset:         208
        .size:           2
        .value_kind:     hidden_grid_dims
      - .offset:         264
        .size:           4
        .value_kind:     hidden_dynamic_lds_size
    .group_segment_fixed_size: 80
    .kernarg_segment_align: 8
    .kernarg_segment_size: 400
    .language:       OpenCL C
    .language_version:
      - 2
      - 0
    .max_flat_workgroup_size: 1024
    .name:           _ZN4vllm25paged_attention_v2_kernelIthLi32ELi32ELi128ELNS_18Fp8KVCacheDataTypeE1ELb1ELi512EEEvPfS2_PT_PKS3_PKT0_S9_ifPKiSB_iPKfiiiSD_SD_iiiii
    .private_segment_fixed_size: 0
    .sgpr_count:     72
    .sgpr_spill_count: 0
    .symbol:         _ZN4vllm25paged_attention_v2_kernelIthLi32ELi32ELi128ELNS_18Fp8KVCacheDataTypeE1ELb1ELi512EEEvPfS2_PT_PKS3_PKT0_S9_ifPKiSB_iPKfiiiSD_SD_iiiii.kd
    .uniform_work_group_size: 1
    .uses_dynamic_stack: false
    .vgpr_count:     49
    .vgpr_spill_count: 0
    .wavefront_size: 64
  - .agpr_count:     0
    .args:
      - .actual_access:  write_only
        .address_space:  global
        .offset:         0
        .size:           8
        .value_kind:     global_buffer
      - .actual_access:  write_only
        .address_space:  global
        .offset:         8
        .size:           8
        .value_kind:     global_buffer
      - .actual_access:  write_only
        .address_space:  global
        .offset:         16
        .size:           8
        .value_kind:     global_buffer
      - .actual_access:  read_only
        .address_space:  global
        .offset:         24
        .size:           8
        .value_kind:     global_buffer
      - .actual_access:  read_only
        .address_space:  global
        .offset:         32
        .size:           8
        .value_kind:     global_buffer
      - .actual_access:  read_only
        .address_space:  global
        .offset:         40
        .size:           8
        .value_kind:     global_buffer
      - .offset:         48
        .size:           4
        .value_kind:     by_value
      - .offset:         52
        .size:           4
        .value_kind:     by_value
      - .actual_access:  read_only
        .address_space:  global
        .offset:         56
        .size:           8
        .value_kind:     global_buffer
      - .actual_access:  read_only
        .address_space:  global
        .offset:         64
        .size:           8
        .value_kind:     global_buffer
      - .offset:         72
        .size:           4
        .value_kind:     by_value
      - .actual_access:  read_only
        .address_space:  global
        .offset:         80
        .size:           8
        .value_kind:     global_buffer
      - .offset:         88
        .size:           4
        .value_kind:     by_value
      - .offset:         92
        .size:           4
        .value_kind:     by_value
      - .offset:         96
        .size:           4
        .value_kind:     by_value
      - .address_space:  global
        .offset:         104
        .size:           8
        .value_kind:     global_buffer
      - .address_space:  global
        .offset:         112
        .size:           8
        .value_kind:     global_buffer
      - .offset:         120
        .size:           4
        .value_kind:     by_value
      - .offset:         124
        .size:           4
        .value_kind:     by_value
      - .offset:         128
        .size:           4
        .value_kind:     by_value
      - .offset:         132
        .size:           4
        .value_kind:     by_value
      - .offset:         136
        .size:           4
        .value_kind:     by_value
      - .offset:         144
        .size:           4
        .value_kind:     hidden_block_count_x
      - .offset:         148
        .size:           4
        .value_kind:     hidden_block_count_y
      - .offset:         152
        .size:           4
        .value_kind:     hidden_block_count_z
      - .offset:         156
        .size:           2
        .value_kind:     hidden_group_size_x
      - .offset:         158
        .size:           2
        .value_kind:     hidden_group_size_y
      - .offset:         160
        .size:           2
        .value_kind:     hidden_group_size_z
      - .offset:         162
        .size:           2
        .value_kind:     hidden_remainder_x
      - .offset:         164
        .size:           2
        .value_kind:     hidden_remainder_y
      - .offset:         166
        .size:           2
        .value_kind:     hidden_remainder_z
      - .offset:         184
        .size:           8
        .value_kind:     hidden_global_offset_x
      - .offset:         192
        .size:           8
        .value_kind:     hidden_global_offset_y
      - .offset:         200
        .size:           8
        .value_kind:     hidden_global_offset_z
      - .offset:         208
        .size:           2
        .value_kind:     hidden_grid_dims
      - .offset:         264
        .size:           4
        .value_kind:     hidden_dynamic_lds_size
    .group_segment_fixed_size: 144
    .kernarg_segment_align: 8
    .kernarg_segment_size: 400
    .language:       OpenCL C
    .language_version:
      - 2
      - 0
    .max_flat_workgroup_size: 1024
    .name:           _ZN4vllm25paged_attention_v2_kernelIthLi64ELi32ELi128ELNS_18Fp8KVCacheDataTypeE1ELb1ELi512EEEvPfS2_PT_PKS3_PKT0_S9_ifPKiSB_iPKfiiiSD_SD_iiiii
    .private_segment_fixed_size: 0
    .sgpr_count:     72
    .sgpr_spill_count: 0
    .symbol:         _ZN4vllm25paged_attention_v2_kernelIthLi64ELi32ELi128ELNS_18Fp8KVCacheDataTypeE1ELb1ELi512EEEvPfS2_PT_PKS3_PKT0_S9_ifPKiSB_iPKfiiiSD_SD_iiiii.kd
    .uniform_work_group_size: 1
    .uses_dynamic_stack: false
    .vgpr_count:     64
    .vgpr_spill_count: 0
    .wavefront_size: 64
  - .agpr_count:     0
    .args:
      - .actual_access:  write_only
        .address_space:  global
        .offset:         0
        .size:           8
        .value_kind:     global_buffer
      - .actual_access:  write_only
        .address_space:  global
        .offset:         8
        .size:           8
        .value_kind:     global_buffer
      - .actual_access:  write_only
        .address_space:  global
        .offset:         16
        .size:           8
        .value_kind:     global_buffer
      - .actual_access:  read_only
        .address_space:  global
        .offset:         24
        .size:           8
        .value_kind:     global_buffer
      - .actual_access:  read_only
        .address_space:  global
        .offset:         32
        .size:           8
        .value_kind:     global_buffer
      - .actual_access:  read_only
        .address_space:  global
        .offset:         40
        .size:           8
        .value_kind:     global_buffer
      - .offset:         48
        .size:           4
        .value_kind:     by_value
      - .offset:         52
        .size:           4
        .value_kind:     by_value
      - .actual_access:  read_only
        .address_space:  global
        .offset:         56
        .size:           8
        .value_kind:     global_buffer
      - .actual_access:  read_only
        .address_space:  global
        .offset:         64
        .size:           8
        .value_kind:     global_buffer
      - .offset:         72
        .size:           4
        .value_kind:     by_value
      - .actual_access:  read_only
        .address_space:  global
        .offset:         80
        .size:           8
        .value_kind:     global_buffer
      - .offset:         88
        .size:           4
        .value_kind:     by_value
      - .offset:         92
        .size:           4
        .value_kind:     by_value
      - .offset:         96
        .size:           4
        .value_kind:     by_value
      - .address_space:  global
        .offset:         104
        .size:           8
        .value_kind:     global_buffer
      - .address_space:  global
        .offset:         112
        .size:           8
        .value_kind:     global_buffer
      - .offset:         120
        .size:           4
        .value_kind:     by_value
      - .offset:         124
        .size:           4
        .value_kind:     by_value
      - .offset:         128
        .size:           4
        .value_kind:     by_value
      - .offset:         132
        .size:           4
        .value_kind:     by_value
      - .offset:         136
        .size:           4
        .value_kind:     by_value
      - .offset:         144
        .size:           4
        .value_kind:     hidden_block_count_x
      - .offset:         148
        .size:           4
        .value_kind:     hidden_block_count_y
      - .offset:         152
        .size:           4
        .value_kind:     hidden_block_count_z
      - .offset:         156
        .size:           2
        .value_kind:     hidden_group_size_x
      - .offset:         158
        .size:           2
        .value_kind:     hidden_group_size_y
      - .offset:         160
        .size:           2
        .value_kind:     hidden_group_size_z
      - .offset:         162
        .size:           2
        .value_kind:     hidden_remainder_x
      - .offset:         164
        .size:           2
        .value_kind:     hidden_remainder_y
      - .offset:         166
        .size:           2
        .value_kind:     hidden_remainder_z
      - .offset:         184
        .size:           8
        .value_kind:     hidden_global_offset_x
      - .offset:         192
        .size:           8
        .value_kind:     hidden_global_offset_y
      - .offset:         200
        .size:           8
        .value_kind:     hidden_global_offset_z
      - .offset:         208
        .size:           2
        .value_kind:     hidden_grid_dims
      - .offset:         264
        .size:           4
        .value_kind:     hidden_dynamic_lds_size
    .group_segment_fixed_size: 176
    .kernarg_segment_align: 8
    .kernarg_segment_size: 400
    .language:       OpenCL C
    .language_version:
      - 2
      - 0
    .max_flat_workgroup_size: 1024
    .name:           _ZN4vllm25paged_attention_v2_kernelIthLi80ELi32ELi128ELNS_18Fp8KVCacheDataTypeE1ELb1ELi512EEEvPfS2_PT_PKS3_PKT0_S9_ifPKiSB_iPKfiiiSD_SD_iiiii
    .private_segment_fixed_size: 0
    .sgpr_count:     72
    .sgpr_spill_count: 0
    .symbol:         _ZN4vllm25paged_attention_v2_kernelIthLi80ELi32ELi128ELNS_18Fp8KVCacheDataTypeE1ELb1ELi512EEEvPfS2_PT_PKS3_PKT0_S9_ifPKiSB_iPKfiiiSD_SD_iiiii.kd
    .uniform_work_group_size: 1
    .uses_dynamic_stack: false
    .vgpr_count:     72
    .vgpr_spill_count: 0
    .wavefront_size: 64
  - .agpr_count:     50
    .args:
      - .actual_access:  write_only
        .address_space:  global
        .offset:         0
        .size:           8
        .value_kind:     global_buffer
      - .actual_access:  write_only
        .address_space:  global
        .offset:         8
        .size:           8
        .value_kind:     global_buffer
      - .actual_access:  write_only
        .address_space:  global
        .offset:         16
        .size:           8
        .value_kind:     global_buffer
      - .actual_access:  read_only
        .address_space:  global
        .offset:         24
        .size:           8
        .value_kind:     global_buffer
      - .actual_access:  read_only
        .address_space:  global
        .offset:         32
        .size:           8
        .value_kind:     global_buffer
      - .actual_access:  read_only
        .address_space:  global
        .offset:         40
        .size:           8
        .value_kind:     global_buffer
      - .offset:         48
        .size:           4
        .value_kind:     by_value
      - .offset:         52
        .size:           4
        .value_kind:     by_value
      - .actual_access:  read_only
        .address_space:  global
        .offset:         56
        .size:           8
        .value_kind:     global_buffer
      - .actual_access:  read_only
        .address_space:  global
        .offset:         64
        .size:           8
        .value_kind:     global_buffer
      - .offset:         72
        .size:           4
        .value_kind:     by_value
      - .address_space:  global
        .offset:         80
        .size:           8
        .value_kind:     global_buffer
      - .offset:         88
        .size:           4
        .value_kind:     by_value
      - .offset:         92
        .size:           4
        .value_kind:     by_value
      - .offset:         96
        .size:           4
        .value_kind:     by_value
      - .address_space:  global
        .offset:         104
        .size:           8
        .value_kind:     global_buffer
      - .address_space:  global
        .offset:         112
        .size:           8
        .value_kind:     global_buffer
      - .offset:         120
        .size:           4
        .value_kind:     by_value
      - .offset:         124
        .size:           4
        .value_kind:     by_value
      - .offset:         128
        .size:           4
        .value_kind:     by_value
      - .offset:         132
        .size:           4
        .value_kind:     by_value
      - .offset:         136
        .size:           4
        .value_kind:     by_value
      - .offset:         144
        .size:           4
        .value_kind:     hidden_block_count_x
      - .offset:         148
        .size:           4
        .value_kind:     hidden_block_count_y
      - .offset:         152
        .size:           4
        .value_kind:     hidden_block_count_z
      - .offset:         156
        .size:           2
        .value_kind:     hidden_group_size_x
      - .offset:         158
        .size:           2
        .value_kind:     hidden_group_size_y
      - .offset:         160
        .size:           2
        .value_kind:     hidden_group_size_z
      - .offset:         162
        .size:           2
        .value_kind:     hidden_remainder_x
      - .offset:         164
        .size:           2
        .value_kind:     hidden_remainder_y
      - .offset:         166
        .size:           2
        .value_kind:     hidden_remainder_z
      - .offset:         184
        .size:           8
        .value_kind:     hidden_global_offset_x
      - .offset:         192
        .size:           8
        .value_kind:     hidden_global_offset_y
      - .offset:         200
        .size:           8
        .value_kind:     hidden_global_offset_z
      - .offset:         208
        .size:           2
        .value_kind:     hidden_grid_dims
      - .offset:         264
        .size:           4
        .value_kind:     hidden_dynamic_lds_size
    .group_segment_fixed_size: 208
    .kernarg_segment_align: 8
    .kernarg_segment_size: 400
    .language:       OpenCL C
    .language_version:
      - 2
      - 0
    .max_flat_workgroup_size: 1024
    .name:           _ZN4vllm25paged_attention_v2_kernelIthLi96ELi32ELi128ELNS_18Fp8KVCacheDataTypeE1ELb1ELi512EEEvPfS2_PT_PKS3_PKT0_S9_ifPKiSB_iPKfiiiSD_SD_iiiii
    .private_segment_fixed_size: 156
    .sgpr_count:     54
    .sgpr_spill_count: 0
    .symbol:         _ZN4vllm25paged_attention_v2_kernelIthLi96ELi32ELi128ELNS_18Fp8KVCacheDataTypeE1ELb1ELi512EEEvPfS2_PT_PKS3_PKT0_S9_ifPKiSB_iPKfiiiSD_SD_iiiii.kd
    .uniform_work_group_size: 1
    .uses_dynamic_stack: false
    .vgpr_count:     114
    .vgpr_spill_count: 0
    .wavefront_size: 64
  - .agpr_count:     60
    .args:
      - .actual_access:  write_only
        .address_space:  global
        .offset:         0
        .size:           8
        .value_kind:     global_buffer
      - .actual_access:  write_only
        .address_space:  global
        .offset:         8
        .size:           8
        .value_kind:     global_buffer
      - .actual_access:  write_only
        .address_space:  global
        .offset:         16
        .size:           8
        .value_kind:     global_buffer
      - .actual_access:  read_only
        .address_space:  global
        .offset:         24
        .size:           8
        .value_kind:     global_buffer
      - .actual_access:  read_only
        .address_space:  global
        .offset:         32
        .size:           8
        .value_kind:     global_buffer
      - .actual_access:  read_only
        .address_space:  global
        .offset:         40
        .size:           8
        .value_kind:     global_buffer
      - .offset:         48
        .size:           4
        .value_kind:     by_value
      - .offset:         52
        .size:           4
        .value_kind:     by_value
      - .actual_access:  read_only
        .address_space:  global
        .offset:         56
        .size:           8
        .value_kind:     global_buffer
      - .actual_access:  read_only
        .address_space:  global
        .offset:         64
        .size:           8
        .value_kind:     global_buffer
      - .offset:         72
        .size:           4
        .value_kind:     by_value
      - .address_space:  global
        .offset:         80
        .size:           8
        .value_kind:     global_buffer
      - .offset:         88
        .size:           4
        .value_kind:     by_value
      - .offset:         92
        .size:           4
        .value_kind:     by_value
      - .offset:         96
        .size:           4
        .value_kind:     by_value
      - .address_space:  global
        .offset:         104
        .size:           8
        .value_kind:     global_buffer
      - .address_space:  global
        .offset:         112
        .size:           8
        .value_kind:     global_buffer
      - .offset:         120
        .size:           4
        .value_kind:     by_value
      - .offset:         124
        .size:           4
        .value_kind:     by_value
      - .offset:         128
        .size:           4
        .value_kind:     by_value
      - .offset:         132
        .size:           4
        .value_kind:     by_value
      - .offset:         136
        .size:           4
        .value_kind:     by_value
      - .offset:         144
        .size:           4
        .value_kind:     hidden_block_count_x
      - .offset:         148
        .size:           4
        .value_kind:     hidden_block_count_y
      - .offset:         152
        .size:           4
        .value_kind:     hidden_block_count_z
      - .offset:         156
        .size:           2
        .value_kind:     hidden_group_size_x
      - .offset:         158
        .size:           2
        .value_kind:     hidden_group_size_y
      - .offset:         160
        .size:           2
        .value_kind:     hidden_group_size_z
      - .offset:         162
        .size:           2
        .value_kind:     hidden_remainder_x
      - .offset:         164
        .size:           2
        .value_kind:     hidden_remainder_y
      - .offset:         166
        .size:           2
        .value_kind:     hidden_remainder_z
      - .offset:         184
        .size:           8
        .value_kind:     hidden_global_offset_x
      - .offset:         192
        .size:           8
        .value_kind:     hidden_global_offset_y
      - .offset:         200
        .size:           8
        .value_kind:     hidden_global_offset_z
      - .offset:         208
        .size:           2
        .value_kind:     hidden_grid_dims
      - .offset:         264
        .size:           4
        .value_kind:     hidden_dynamic_lds_size
    .group_segment_fixed_size: 240
    .kernarg_segment_align: 8
    .kernarg_segment_size: 400
    .language:       OpenCL C
    .language_version:
      - 2
      - 0
    .max_flat_workgroup_size: 1024
    .name:           _ZN4vllm25paged_attention_v2_kernelIthLi112ELi32ELi128ELNS_18Fp8KVCacheDataTypeE1ELb1ELi512EEEvPfS2_PT_PKS3_PKT0_S9_ifPKiSB_iPKfiiiSD_SD_iiiii
    .private_segment_fixed_size: 196
    .sgpr_count:     54
    .sgpr_spill_count: 0
    .symbol:         _ZN4vllm25paged_attention_v2_kernelIthLi112ELi32ELi128ELNS_18Fp8KVCacheDataTypeE1ELb1ELi512EEEvPfS2_PT_PKS3_PKT0_S9_ifPKiSB_iPKfiiiSD_SD_iiiii.kd
    .uniform_work_group_size: 1
    .uses_dynamic_stack: false
    .vgpr_count:     124
    .vgpr_spill_count: 0
    .wavefront_size: 64
  - .agpr_count:     59
    .args:
      - .actual_access:  write_only
        .address_space:  global
        .offset:         0
        .size:           8
        .value_kind:     global_buffer
      - .actual_access:  write_only
        .address_space:  global
        .offset:         8
        .size:           8
        .value_kind:     global_buffer
      - .actual_access:  write_only
        .address_space:  global
        .offset:         16
        .size:           8
        .value_kind:     global_buffer
      - .actual_access:  read_only
        .address_space:  global
        .offset:         24
        .size:           8
        .value_kind:     global_buffer
      - .actual_access:  read_only
        .address_space:  global
        .offset:         32
        .size:           8
        .value_kind:     global_buffer
      - .actual_access:  read_only
        .address_space:  global
        .offset:         40
        .size:           8
        .value_kind:     global_buffer
      - .offset:         48
        .size:           4
        .value_kind:     by_value
      - .offset:         52
        .size:           4
        .value_kind:     by_value
      - .actual_access:  read_only
        .address_space:  global
        .offset:         56
        .size:           8
        .value_kind:     global_buffer
      - .actual_access:  read_only
        .address_space:  global
        .offset:         64
        .size:           8
        .value_kind:     global_buffer
      - .offset:         72
        .size:           4
        .value_kind:     by_value
      - .address_space:  global
        .offset:         80
        .size:           8
        .value_kind:     global_buffer
      - .offset:         88
        .size:           4
        .value_kind:     by_value
      - .offset:         92
        .size:           4
        .value_kind:     by_value
      - .offset:         96
        .size:           4
        .value_kind:     by_value
      - .address_space:  global
        .offset:         104
        .size:           8
        .value_kind:     global_buffer
      - .address_space:  global
        .offset:         112
        .size:           8
        .value_kind:     global_buffer
      - .offset:         120
        .size:           4
        .value_kind:     by_value
      - .offset:         124
        .size:           4
        .value_kind:     by_value
      - .offset:         128
        .size:           4
        .value_kind:     by_value
      - .offset:         132
        .size:           4
        .value_kind:     by_value
      - .offset:         136
        .size:           4
        .value_kind:     by_value
      - .offset:         144
        .size:           4
        .value_kind:     hidden_block_count_x
      - .offset:         148
        .size:           4
        .value_kind:     hidden_block_count_y
      - .offset:         152
        .size:           4
        .value_kind:     hidden_block_count_z
      - .offset:         156
        .size:           2
        .value_kind:     hidden_group_size_x
      - .offset:         158
        .size:           2
        .value_kind:     hidden_group_size_y
      - .offset:         160
        .size:           2
        .value_kind:     hidden_group_size_z
      - .offset:         162
        .size:           2
        .value_kind:     hidden_remainder_x
      - .offset:         164
        .size:           2
        .value_kind:     hidden_remainder_y
      - .offset:         166
        .size:           2
        .value_kind:     hidden_remainder_z
      - .offset:         184
        .size:           8
        .value_kind:     hidden_global_offset_x
      - .offset:         192
        .size:           8
        .value_kind:     hidden_global_offset_y
      - .offset:         200
        .size:           8
        .value_kind:     hidden_global_offset_z
      - .offset:         208
        .size:           2
        .value_kind:     hidden_grid_dims
      - .offset:         264
        .size:           4
        .value_kind:     hidden_dynamic_lds_size
    .group_segment_fixed_size: 256
    .kernarg_segment_align: 8
    .kernarg_segment_size: 400
    .language:       OpenCL C
    .language_version:
      - 2
      - 0
    .max_flat_workgroup_size: 1024
    .name:           _ZN4vllm25paged_attention_v2_kernelIthLi120ELi32ELi128ELNS_18Fp8KVCacheDataTypeE1ELb1ELi512EEEvPfS2_PT_PKS3_PKT0_S9_ifPKiSB_iPKfiiiSD_SD_iiiii
    .private_segment_fixed_size: 208
    .sgpr_count:     54
    .sgpr_spill_count: 0
    .symbol:         _ZN4vllm25paged_attention_v2_kernelIthLi120ELi32ELi128ELNS_18Fp8KVCacheDataTypeE1ELb1ELi512EEEvPfS2_PT_PKS3_PKT0_S9_ifPKiSB_iPKfiiiSD_SD_iiiii.kd
    .uniform_work_group_size: 1
    .uses_dynamic_stack: false
    .vgpr_count:     123
    .vgpr_spill_count: 0
    .wavefront_size: 64
  - .agpr_count:     64
    .args:
      - .actual_access:  write_only
        .address_space:  global
        .offset:         0
        .size:           8
        .value_kind:     global_buffer
      - .actual_access:  write_only
        .address_space:  global
        .offset:         8
        .size:           8
        .value_kind:     global_buffer
      - .actual_access:  write_only
        .address_space:  global
        .offset:         16
        .size:           8
        .value_kind:     global_buffer
      - .actual_access:  read_only
        .address_space:  global
        .offset:         24
        .size:           8
        .value_kind:     global_buffer
      - .actual_access:  read_only
        .address_space:  global
        .offset:         32
        .size:           8
        .value_kind:     global_buffer
      - .actual_access:  read_only
        .address_space:  global
        .offset:         40
        .size:           8
        .value_kind:     global_buffer
      - .offset:         48
        .size:           4
        .value_kind:     by_value
      - .offset:         52
        .size:           4
        .value_kind:     by_value
      - .actual_access:  read_only
        .address_space:  global
        .offset:         56
        .size:           8
        .value_kind:     global_buffer
      - .actual_access:  read_only
        .address_space:  global
        .offset:         64
        .size:           8
        .value_kind:     global_buffer
      - .offset:         72
        .size:           4
        .value_kind:     by_value
      - .address_space:  global
        .offset:         80
        .size:           8
        .value_kind:     global_buffer
      - .offset:         88
        .size:           4
        .value_kind:     by_value
      - .offset:         92
        .size:           4
        .value_kind:     by_value
      - .offset:         96
        .size:           4
        .value_kind:     by_value
      - .address_space:  global
        .offset:         104
        .size:           8
        .value_kind:     global_buffer
      - .address_space:  global
        .offset:         112
        .size:           8
        .value_kind:     global_buffer
      - .offset:         120
        .size:           4
        .value_kind:     by_value
      - .offset:         124
        .size:           4
        .value_kind:     by_value
      - .offset:         128
        .size:           4
        .value_kind:     by_value
      - .offset:         132
        .size:           4
        .value_kind:     by_value
      - .offset:         136
        .size:           4
        .value_kind:     by_value
      - .offset:         144
        .size:           4
        .value_kind:     hidden_block_count_x
      - .offset:         148
        .size:           4
        .value_kind:     hidden_block_count_y
      - .offset:         152
        .size:           4
        .value_kind:     hidden_block_count_z
      - .offset:         156
        .size:           2
        .value_kind:     hidden_group_size_x
      - .offset:         158
        .size:           2
        .value_kind:     hidden_group_size_y
      - .offset:         160
        .size:           2
        .value_kind:     hidden_group_size_z
      - .offset:         162
        .size:           2
        .value_kind:     hidden_remainder_x
      - .offset:         164
        .size:           2
        .value_kind:     hidden_remainder_y
      - .offset:         166
        .size:           2
        .value_kind:     hidden_remainder_z
      - .offset:         184
        .size:           8
        .value_kind:     hidden_global_offset_x
      - .offset:         192
        .size:           8
        .value_kind:     hidden_global_offset_y
      - .offset:         200
        .size:           8
        .value_kind:     hidden_global_offset_z
      - .offset:         208
        .size:           2
        .value_kind:     hidden_grid_dims
      - .offset:         264
        .size:           4
        .value_kind:     hidden_dynamic_lds_size
    .group_segment_fixed_size: 272
    .kernarg_segment_align: 8
    .kernarg_segment_size: 400
    .language:       OpenCL C
    .language_version:
      - 2
      - 0
    .max_flat_workgroup_size: 1024
    .name:           _ZN4vllm25paged_attention_v2_kernelIthLi128ELi32ELi128ELNS_18Fp8KVCacheDataTypeE1ELb1ELi512EEEvPfS2_PT_PKS3_PKT0_S9_ifPKiSB_iPKfiiiSD_SD_iiiii
    .private_segment_fixed_size: 256
    .sgpr_count:     54
    .sgpr_spill_count: 0
    .symbol:         _ZN4vllm25paged_attention_v2_kernelIthLi128ELi32ELi128ELNS_18Fp8KVCacheDataTypeE1ELb1ELi512EEEvPfS2_PT_PKS3_PKT0_S9_ifPKiSB_iPKfiiiSD_SD_iiiii.kd
    .uniform_work_group_size: 1
    .uses_dynamic_stack: false
    .vgpr_count:     128
    .vgpr_spill_count: 0
    .wavefront_size: 64
  - .agpr_count:     64
    .args:
      - .actual_access:  write_only
        .address_space:  global
        .offset:         0
        .size:           8
        .value_kind:     global_buffer
      - .actual_access:  write_only
        .address_space:  global
        .offset:         8
        .size:           8
        .value_kind:     global_buffer
      - .actual_access:  write_only
        .address_space:  global
        .offset:         16
        .size:           8
        .value_kind:     global_buffer
      - .actual_access:  read_only
        .address_space:  global
        .offset:         24
        .size:           8
        .value_kind:     global_buffer
      - .actual_access:  read_only
        .address_space:  global
        .offset:         32
        .size:           8
        .value_kind:     global_buffer
      - .actual_access:  read_only
        .address_space:  global
        .offset:         40
        .size:           8
        .value_kind:     global_buffer
      - .offset:         48
        .size:           4
        .value_kind:     by_value
      - .offset:         52
        .size:           4
        .value_kind:     by_value
      - .actual_access:  read_only
        .address_space:  global
        .offset:         56
        .size:           8
        .value_kind:     global_buffer
      - .actual_access:  read_only
        .address_space:  global
        .offset:         64
        .size:           8
        .value_kind:     global_buffer
      - .offset:         72
        .size:           4
        .value_kind:     by_value
      - .address_space:  global
        .offset:         80
        .size:           8
        .value_kind:     global_buffer
      - .offset:         88
        .size:           4
        .value_kind:     by_value
      - .offset:         92
        .size:           4
        .value_kind:     by_value
      - .offset:         96
        .size:           4
        .value_kind:     by_value
      - .address_space:  global
        .offset:         104
        .size:           8
        .value_kind:     global_buffer
      - .address_space:  global
        .offset:         112
        .size:           8
        .value_kind:     global_buffer
      - .offset:         120
        .size:           4
        .value_kind:     by_value
      - .offset:         124
        .size:           4
        .value_kind:     by_value
      - .offset:         128
        .size:           4
        .value_kind:     by_value
      - .offset:         132
        .size:           4
        .value_kind:     by_value
      - .offset:         136
        .size:           4
        .value_kind:     by_value
      - .offset:         144
        .size:           4
        .value_kind:     hidden_block_count_x
      - .offset:         148
        .size:           4
        .value_kind:     hidden_block_count_y
      - .offset:         152
        .size:           4
        .value_kind:     hidden_block_count_z
      - .offset:         156
        .size:           2
        .value_kind:     hidden_group_size_x
      - .offset:         158
        .size:           2
        .value_kind:     hidden_group_size_y
      - .offset:         160
        .size:           2
        .value_kind:     hidden_group_size_z
      - .offset:         162
        .size:           2
        .value_kind:     hidden_remainder_x
      - .offset:         164
        .size:           2
        .value_kind:     hidden_remainder_y
      - .offset:         166
        .size:           2
        .value_kind:     hidden_remainder_z
      - .offset:         184
        .size:           8
        .value_kind:     hidden_global_offset_x
      - .offset:         192
        .size:           8
        .value_kind:     hidden_global_offset_y
      - .offset:         200
        .size:           8
        .value_kind:     hidden_global_offset_z
      - .offset:         208
        .size:           2
        .value_kind:     hidden_grid_dims
      - .offset:         264
        .size:           4
        .value_kind:     hidden_dynamic_lds_size
    .group_segment_fixed_size: 400
    .kernarg_segment_align: 8
    .kernarg_segment_size: 400
    .language:       OpenCL C
    .language_version:
      - 2
      - 0
    .max_flat_workgroup_size: 1024
    .name:           _ZN4vllm25paged_attention_v2_kernelIthLi192ELi32ELi128ELNS_18Fp8KVCacheDataTypeE1ELb1ELi512EEEvPfS2_PT_PKS3_PKT0_S9_ifPKiSB_iPKfiiiSD_SD_iiiii
    .private_segment_fixed_size: 520
    .sgpr_count:     54
    .sgpr_spill_count: 0
    .symbol:         _ZN4vllm25paged_attention_v2_kernelIthLi192ELi32ELi128ELNS_18Fp8KVCacheDataTypeE1ELb1ELi512EEEvPfS2_PT_PKS3_PKT0_S9_ifPKiSB_iPKfiiiSD_SD_iiiii.kd
    .uniform_work_group_size: 1
    .uses_dynamic_stack: false
    .vgpr_count:     128
    .vgpr_spill_count: 0
    .wavefront_size: 64
  - .agpr_count:     64
    .args:
      - .actual_access:  write_only
        .address_space:  global
        .offset:         0
        .size:           8
        .value_kind:     global_buffer
      - .actual_access:  write_only
        .address_space:  global
        .offset:         8
        .size:           8
        .value_kind:     global_buffer
      - .actual_access:  write_only
        .address_space:  global
        .offset:         16
        .size:           8
        .value_kind:     global_buffer
      - .actual_access:  read_only
        .address_space:  global
        .offset:         24
        .size:           8
        .value_kind:     global_buffer
      - .actual_access:  read_only
        .address_space:  global
        .offset:         32
        .size:           8
        .value_kind:     global_buffer
      - .actual_access:  read_only
        .address_space:  global
        .offset:         40
        .size:           8
        .value_kind:     global_buffer
      - .offset:         48
        .size:           4
        .value_kind:     by_value
      - .offset:         52
        .size:           4
        .value_kind:     by_value
      - .actual_access:  read_only
        .address_space:  global
        .offset:         56
        .size:           8
        .value_kind:     global_buffer
      - .actual_access:  read_only
        .address_space:  global
        .offset:         64
        .size:           8
        .value_kind:     global_buffer
      - .offset:         72
        .size:           4
        .value_kind:     by_value
      - .address_space:  global
        .offset:         80
        .size:           8
        .value_kind:     global_buffer
      - .offset:         88
        .size:           4
        .value_kind:     by_value
      - .offset:         92
        .size:           4
        .value_kind:     by_value
      - .offset:         96
        .size:           4
        .value_kind:     by_value
      - .address_space:  global
        .offset:         104
        .size:           8
        .value_kind:     global_buffer
      - .address_space:  global
        .offset:         112
        .size:           8
        .value_kind:     global_buffer
      - .offset:         120
        .size:           4
        .value_kind:     by_value
      - .offset:         124
        .size:           4
        .value_kind:     by_value
      - .offset:         128
        .size:           4
        .value_kind:     by_value
      - .offset:         132
        .size:           4
        .value_kind:     by_value
      - .offset:         136
        .size:           4
        .value_kind:     by_value
      - .offset:         144
        .size:           4
        .value_kind:     hidden_block_count_x
      - .offset:         148
        .size:           4
        .value_kind:     hidden_block_count_y
      - .offset:         152
        .size:           4
        .value_kind:     hidden_block_count_z
      - .offset:         156
        .size:           2
        .value_kind:     hidden_group_size_x
      - .offset:         158
        .size:           2
        .value_kind:     hidden_group_size_y
      - .offset:         160
        .size:           2
        .value_kind:     hidden_group_size_z
      - .offset:         162
        .size:           2
        .value_kind:     hidden_remainder_x
      - .offset:         164
        .size:           2
        .value_kind:     hidden_remainder_y
      - .offset:         166
        .size:           2
        .value_kind:     hidden_remainder_z
      - .offset:         184
        .size:           8
        .value_kind:     hidden_global_offset_x
      - .offset:         192
        .size:           8
        .value_kind:     hidden_global_offset_y
      - .offset:         200
        .size:           8
        .value_kind:     hidden_global_offset_z
      - .offset:         208
        .size:           2
        .value_kind:     hidden_grid_dims
      - .offset:         264
        .size:           4
        .value_kind:     hidden_dynamic_lds_size
    .group_segment_fixed_size: 528
    .kernarg_segment_align: 8
    .kernarg_segment_size: 400
    .language:       OpenCL C
    .language_version:
      - 2
      - 0
    .max_flat_workgroup_size: 1024
    .name:           _ZN4vllm25paged_attention_v2_kernelIthLi256ELi32ELi128ELNS_18Fp8KVCacheDataTypeE1ELb1ELi512EEEvPfS2_PT_PKS3_PKT0_S9_ifPKiSB_iPKfiiiSD_SD_iiiii
    .private_segment_fixed_size: 744
    .sgpr_count:     64
    .sgpr_spill_count: 0
    .symbol:         _ZN4vllm25paged_attention_v2_kernelIthLi256ELi32ELi128ELNS_18Fp8KVCacheDataTypeE1ELb1ELi512EEEvPfS2_PT_PKS3_PKT0_S9_ifPKiSB_iPKfiiiSD_SD_iiiii.kd
    .uniform_work_group_size: 1
    .uses_dynamic_stack: false
    .vgpr_count:     128
    .vgpr_spill_count: 0
    .wavefront_size: 64
  - .agpr_count:     0
    .args:
      - .actual_access:  write_only
        .address_space:  global
        .offset:         0
        .size:           8
        .value_kind:     global_buffer
      - .actual_access:  write_only
        .address_space:  global
        .offset:         8
        .size:           8
        .value_kind:     global_buffer
      - .actual_access:  write_only
        .address_space:  global
        .offset:         16
        .size:           8
        .value_kind:     global_buffer
      - .actual_access:  read_only
        .address_space:  global
        .offset:         24
        .size:           8
        .value_kind:     global_buffer
      - .actual_access:  read_only
        .address_space:  global
        .offset:         32
        .size:           8
        .value_kind:     global_buffer
      - .actual_access:  read_only
        .address_space:  global
        .offset:         40
        .size:           8
        .value_kind:     global_buffer
      - .offset:         48
        .size:           4
        .value_kind:     by_value
      - .offset:         52
        .size:           4
        .value_kind:     by_value
      - .actual_access:  read_only
        .address_space:  global
        .offset:         56
        .size:           8
        .value_kind:     global_buffer
      - .actual_access:  read_only
        .address_space:  global
        .offset:         64
        .size:           8
        .value_kind:     global_buffer
      - .offset:         72
        .size:           4
        .value_kind:     by_value
      - .actual_access:  read_only
        .address_space:  global
        .offset:         80
        .size:           8
        .value_kind:     global_buffer
      - .offset:         88
        .size:           4
        .value_kind:     by_value
      - .offset:         92
        .size:           4
        .value_kind:     by_value
      - .offset:         96
        .size:           4
        .value_kind:     by_value
      - .address_space:  global
        .offset:         104
        .size:           8
        .value_kind:     global_buffer
      - .address_space:  global
        .offset:         112
        .size:           8
        .value_kind:     global_buffer
      - .offset:         120
        .size:           4
        .value_kind:     by_value
      - .offset:         124
        .size:           4
        .value_kind:     by_value
      - .offset:         128
        .size:           4
        .value_kind:     by_value
      - .offset:         132
        .size:           4
        .value_kind:     by_value
      - .offset:         136
        .size:           4
        .value_kind:     by_value
      - .offset:         144
        .size:           4
        .value_kind:     hidden_block_count_x
      - .offset:         148
        .size:           4
        .value_kind:     hidden_block_count_y
      - .offset:         152
        .size:           4
        .value_kind:     hidden_block_count_z
      - .offset:         156
        .size:           2
        .value_kind:     hidden_group_size_x
      - .offset:         158
        .size:           2
        .value_kind:     hidden_group_size_y
      - .offset:         160
        .size:           2
        .value_kind:     hidden_group_size_z
      - .offset:         162
        .size:           2
        .value_kind:     hidden_remainder_x
      - .offset:         164
        .size:           2
        .value_kind:     hidden_remainder_y
      - .offset:         166
        .size:           2
        .value_kind:     hidden_remainder_z
      - .offset:         184
        .size:           8
        .value_kind:     hidden_global_offset_x
      - .offset:         192
        .size:           8
        .value_kind:     hidden_global_offset_y
      - .offset:         200
        .size:           8
        .value_kind:     hidden_global_offset_z
      - .offset:         208
        .size:           2
        .value_kind:     hidden_grid_dims
      - .offset:         264
        .size:           4
        .value_kind:     hidden_dynamic_lds_size
    .group_segment_fixed_size: 80
    .kernarg_segment_align: 8
    .kernarg_segment_size: 400
    .language:       OpenCL C
    .language_version:
      - 2
      - 0
    .max_flat_workgroup_size: 1024
    .name:           _ZN4vllm25paged_attention_v2_kernelIthLi32ELi32ELi128ELNS_18Fp8KVCacheDataTypeE1ELb0ELi512EEEvPfS2_PT_PKS3_PKT0_S9_ifPKiSB_iPKfiiiSD_SD_iiiii
    .private_segment_fixed_size: 0
    .sgpr_count:     62
    .sgpr_spill_count: 0
    .symbol:         _ZN4vllm25paged_attention_v2_kernelIthLi32ELi32ELi128ELNS_18Fp8KVCacheDataTypeE1ELb0ELi512EEEvPfS2_PT_PKS3_PKT0_S9_ifPKiSB_iPKfiiiSD_SD_iiiii.kd
    .uniform_work_group_size: 1
    .uses_dynamic_stack: false
    .vgpr_count:     44
    .vgpr_spill_count: 0
    .wavefront_size: 64
  - .agpr_count:     0
    .args:
      - .actual_access:  write_only
        .address_space:  global
        .offset:         0
        .size:           8
        .value_kind:     global_buffer
      - .actual_access:  write_only
        .address_space:  global
        .offset:         8
        .size:           8
        .value_kind:     global_buffer
      - .actual_access:  write_only
        .address_space:  global
        .offset:         16
        .size:           8
        .value_kind:     global_buffer
      - .actual_access:  read_only
        .address_space:  global
        .offset:         24
        .size:           8
        .value_kind:     global_buffer
      - .actual_access:  read_only
        .address_space:  global
        .offset:         32
        .size:           8
        .value_kind:     global_buffer
      - .actual_access:  read_only
        .address_space:  global
        .offset:         40
        .size:           8
        .value_kind:     global_buffer
      - .offset:         48
        .size:           4
        .value_kind:     by_value
      - .offset:         52
        .size:           4
        .value_kind:     by_value
      - .actual_access:  read_only
        .address_space:  global
        .offset:         56
        .size:           8
        .value_kind:     global_buffer
      - .actual_access:  read_only
        .address_space:  global
        .offset:         64
        .size:           8
        .value_kind:     global_buffer
      - .offset:         72
        .size:           4
        .value_kind:     by_value
      - .actual_access:  read_only
        .address_space:  global
        .offset:         80
        .size:           8
        .value_kind:     global_buffer
      - .offset:         88
        .size:           4
        .value_kind:     by_value
      - .offset:         92
        .size:           4
        .value_kind:     by_value
      - .offset:         96
        .size:           4
        .value_kind:     by_value
      - .address_space:  global
        .offset:         104
        .size:           8
        .value_kind:     global_buffer
      - .address_space:  global
        .offset:         112
        .size:           8
        .value_kind:     global_buffer
      - .offset:         120
        .size:           4
        .value_kind:     by_value
      - .offset:         124
        .size:           4
        .value_kind:     by_value
      - .offset:         128
        .size:           4
        .value_kind:     by_value
      - .offset:         132
        .size:           4
        .value_kind:     by_value
      - .offset:         136
        .size:           4
        .value_kind:     by_value
      - .offset:         144
        .size:           4
        .value_kind:     hidden_block_count_x
      - .offset:         148
        .size:           4
        .value_kind:     hidden_block_count_y
      - .offset:         152
        .size:           4
        .value_kind:     hidden_block_count_z
      - .offset:         156
        .size:           2
        .value_kind:     hidden_group_size_x
      - .offset:         158
        .size:           2
        .value_kind:     hidden_group_size_y
      - .offset:         160
        .size:           2
        .value_kind:     hidden_group_size_z
      - .offset:         162
        .size:           2
        .value_kind:     hidden_remainder_x
      - .offset:         164
        .size:           2
        .value_kind:     hidden_remainder_y
      - .offset:         166
        .size:           2
        .value_kind:     hidden_remainder_z
      - .offset:         184
        .size:           8
        .value_kind:     hidden_global_offset_x
      - .offset:         192
        .size:           8
        .value_kind:     hidden_global_offset_y
      - .offset:         200
        .size:           8
        .value_kind:     hidden_global_offset_z
      - .offset:         208
        .size:           2
        .value_kind:     hidden_grid_dims
      - .offset:         264
        .size:           4
        .value_kind:     hidden_dynamic_lds_size
    .group_segment_fixed_size: 144
    .kernarg_segment_align: 8
    .kernarg_segment_size: 400
    .language:       OpenCL C
    .language_version:
      - 2
      - 0
    .max_flat_workgroup_size: 1024
    .name:           _ZN4vllm25paged_attention_v2_kernelIthLi64ELi32ELi128ELNS_18Fp8KVCacheDataTypeE1ELb0ELi512EEEvPfS2_PT_PKS3_PKT0_S9_ifPKiSB_iPKfiiiSD_SD_iiiii
    .private_segment_fixed_size: 0
    .sgpr_count:     62
    .sgpr_spill_count: 0
    .symbol:         _ZN4vllm25paged_attention_v2_kernelIthLi64ELi32ELi128ELNS_18Fp8KVCacheDataTypeE1ELb0ELi512EEEvPfS2_PT_PKS3_PKT0_S9_ifPKiSB_iPKfiiiSD_SD_iiiii.kd
    .uniform_work_group_size: 1
    .uses_dynamic_stack: false
    .vgpr_count:     60
    .vgpr_spill_count: 0
    .wavefront_size: 64
  - .agpr_count:     0
    .args:
      - .actual_access:  write_only
        .address_space:  global
        .offset:         0
        .size:           8
        .value_kind:     global_buffer
      - .actual_access:  write_only
        .address_space:  global
        .offset:         8
        .size:           8
        .value_kind:     global_buffer
      - .actual_access:  write_only
        .address_space:  global
        .offset:         16
        .size:           8
        .value_kind:     global_buffer
      - .actual_access:  read_only
        .address_space:  global
        .offset:         24
        .size:           8
        .value_kind:     global_buffer
      - .actual_access:  read_only
        .address_space:  global
        .offset:         32
        .size:           8
        .value_kind:     global_buffer
      - .actual_access:  read_only
        .address_space:  global
        .offset:         40
        .size:           8
        .value_kind:     global_buffer
      - .offset:         48
        .size:           4
        .value_kind:     by_value
      - .offset:         52
        .size:           4
        .value_kind:     by_value
      - .actual_access:  read_only
        .address_space:  global
        .offset:         56
        .size:           8
        .value_kind:     global_buffer
      - .actual_access:  read_only
        .address_space:  global
        .offset:         64
        .size:           8
        .value_kind:     global_buffer
      - .offset:         72
        .size:           4
        .value_kind:     by_value
      - .actual_access:  read_only
        .address_space:  global
        .offset:         80
        .size:           8
        .value_kind:     global_buffer
      - .offset:         88
        .size:           4
        .value_kind:     by_value
      - .offset:         92
        .size:           4
        .value_kind:     by_value
      - .offset:         96
        .size:           4
        .value_kind:     by_value
      - .address_space:  global
        .offset:         104
        .size:           8
        .value_kind:     global_buffer
      - .address_space:  global
        .offset:         112
        .size:           8
        .value_kind:     global_buffer
      - .offset:         120
        .size:           4
        .value_kind:     by_value
      - .offset:         124
        .size:           4
        .value_kind:     by_value
      - .offset:         128
        .size:           4
        .value_kind:     by_value
      - .offset:         132
        .size:           4
        .value_kind:     by_value
      - .offset:         136
        .size:           4
        .value_kind:     by_value
      - .offset:         144
        .size:           4
        .value_kind:     hidden_block_count_x
      - .offset:         148
        .size:           4
        .value_kind:     hidden_block_count_y
      - .offset:         152
        .size:           4
        .value_kind:     hidden_block_count_z
      - .offset:         156
        .size:           2
        .value_kind:     hidden_group_size_x
      - .offset:         158
        .size:           2
        .value_kind:     hidden_group_size_y
      - .offset:         160
        .size:           2
        .value_kind:     hidden_group_size_z
      - .offset:         162
        .size:           2
        .value_kind:     hidden_remainder_x
      - .offset:         164
        .size:           2
        .value_kind:     hidden_remainder_y
      - .offset:         166
        .size:           2
        .value_kind:     hidden_remainder_z
      - .offset:         184
        .size:           8
        .value_kind:     hidden_global_offset_x
      - .offset:         192
        .size:           8
        .value_kind:     hidden_global_offset_y
      - .offset:         200
        .size:           8
        .value_kind:     hidden_global_offset_z
      - .offset:         208
        .size:           2
        .value_kind:     hidden_grid_dims
      - .offset:         264
        .size:           4
        .value_kind:     hidden_dynamic_lds_size
    .group_segment_fixed_size: 176
    .kernarg_segment_align: 8
    .kernarg_segment_size: 400
    .language:       OpenCL C
    .language_version:
      - 2
      - 0
    .max_flat_workgroup_size: 1024
    .name:           _ZN4vllm25paged_attention_v2_kernelIthLi80ELi32ELi128ELNS_18Fp8KVCacheDataTypeE1ELb0ELi512EEEvPfS2_PT_PKS3_PKT0_S9_ifPKiSB_iPKfiiiSD_SD_iiiii
    .private_segment_fixed_size: 0
    .sgpr_count:     62
    .sgpr_spill_count: 0
    .symbol:         _ZN4vllm25paged_attention_v2_kernelIthLi80ELi32ELi128ELNS_18Fp8KVCacheDataTypeE1ELb0ELi512EEEvPfS2_PT_PKS3_PKT0_S9_ifPKiSB_iPKfiiiSD_SD_iiiii.kd
    .uniform_work_group_size: 1
    .uses_dynamic_stack: false
    .vgpr_count:     68
    .vgpr_spill_count: 0
    .wavefront_size: 64
  - .agpr_count:     40
    .args:
      - .actual_access:  write_only
        .address_space:  global
        .offset:         0
        .size:           8
        .value_kind:     global_buffer
      - .actual_access:  write_only
        .address_space:  global
        .offset:         8
        .size:           8
        .value_kind:     global_buffer
      - .actual_access:  write_only
        .address_space:  global
        .offset:         16
        .size:           8
        .value_kind:     global_buffer
      - .actual_access:  read_only
        .address_space:  global
        .offset:         24
        .size:           8
        .value_kind:     global_buffer
      - .actual_access:  read_only
        .address_space:  global
        .offset:         32
        .size:           8
        .value_kind:     global_buffer
      - .actual_access:  read_only
        .address_space:  global
        .offset:         40
        .size:           8
        .value_kind:     global_buffer
      - .offset:         48
        .size:           4
        .value_kind:     by_value
      - .offset:         52
        .size:           4
        .value_kind:     by_value
      - .actual_access:  read_only
        .address_space:  global
        .offset:         56
        .size:           8
        .value_kind:     global_buffer
      - .actual_access:  read_only
        .address_space:  global
        .offset:         64
        .size:           8
        .value_kind:     global_buffer
      - .offset:         72
        .size:           4
        .value_kind:     by_value
      - .address_space:  global
        .offset:         80
        .size:           8
        .value_kind:     global_buffer
      - .offset:         88
        .size:           4
        .value_kind:     by_value
      - .offset:         92
        .size:           4
        .value_kind:     by_value
      - .offset:         96
        .size:           4
        .value_kind:     by_value
      - .address_space:  global
        .offset:         104
        .size:           8
        .value_kind:     global_buffer
      - .address_space:  global
        .offset:         112
        .size:           8
        .value_kind:     global_buffer
      - .offset:         120
        .size:           4
        .value_kind:     by_value
      - .offset:         124
        .size:           4
        .value_kind:     by_value
      - .offset:         128
        .size:           4
        .value_kind:     by_value
      - .offset:         132
        .size:           4
        .value_kind:     by_value
      - .offset:         136
        .size:           4
        .value_kind:     by_value
      - .offset:         144
        .size:           4
        .value_kind:     hidden_block_count_x
      - .offset:         148
        .size:           4
        .value_kind:     hidden_block_count_y
      - .offset:         152
        .size:           4
        .value_kind:     hidden_block_count_z
      - .offset:         156
        .size:           2
        .value_kind:     hidden_group_size_x
      - .offset:         158
        .size:           2
        .value_kind:     hidden_group_size_y
      - .offset:         160
        .size:           2
        .value_kind:     hidden_group_size_z
      - .offset:         162
        .size:           2
        .value_kind:     hidden_remainder_x
      - .offset:         164
        .size:           2
        .value_kind:     hidden_remainder_y
      - .offset:         166
        .size:           2
        .value_kind:     hidden_remainder_z
      - .offset:         184
        .size:           8
        .value_kind:     hidden_global_offset_x
      - .offset:         192
        .size:           8
        .value_kind:     hidden_global_offset_y
      - .offset:         200
        .size:           8
        .value_kind:     hidden_global_offset_z
      - .offset:         208
        .size:           2
        .value_kind:     hidden_grid_dims
      - .offset:         264
        .size:           4
        .value_kind:     hidden_dynamic_lds_size
    .group_segment_fixed_size: 208
    .kernarg_segment_align: 8
    .kernarg_segment_size: 400
    .language:       OpenCL C
    .language_version:
      - 2
      - 0
    .max_flat_workgroup_size: 1024
    .name:           _ZN4vllm25paged_attention_v2_kernelIthLi96ELi32ELi128ELNS_18Fp8KVCacheDataTypeE1ELb0ELi512EEEvPfS2_PT_PKS3_PKT0_S9_ifPKiSB_iPKfiiiSD_SD_iiiii
    .private_segment_fixed_size: 108
    .sgpr_count:     50
    .sgpr_spill_count: 0
    .symbol:         _ZN4vllm25paged_attention_v2_kernelIthLi96ELi32ELi128ELNS_18Fp8KVCacheDataTypeE1ELb0ELi512EEEvPfS2_PT_PKS3_PKT0_S9_ifPKiSB_iPKfiiiSD_SD_iiiii.kd
    .uniform_work_group_size: 1
    .uses_dynamic_stack: false
    .vgpr_count:     104
    .vgpr_spill_count: 0
    .wavefront_size: 64
  - .agpr_count:     49
    .args:
      - .actual_access:  write_only
        .address_space:  global
        .offset:         0
        .size:           8
        .value_kind:     global_buffer
      - .actual_access:  write_only
        .address_space:  global
        .offset:         8
        .size:           8
        .value_kind:     global_buffer
      - .actual_access:  write_only
        .address_space:  global
        .offset:         16
        .size:           8
        .value_kind:     global_buffer
      - .actual_access:  read_only
        .address_space:  global
        .offset:         24
        .size:           8
        .value_kind:     global_buffer
      - .actual_access:  read_only
        .address_space:  global
        .offset:         32
        .size:           8
        .value_kind:     global_buffer
      - .actual_access:  read_only
        .address_space:  global
        .offset:         40
        .size:           8
        .value_kind:     global_buffer
      - .offset:         48
        .size:           4
        .value_kind:     by_value
      - .offset:         52
        .size:           4
        .value_kind:     by_value
      - .actual_access:  read_only
        .address_space:  global
        .offset:         56
        .size:           8
        .value_kind:     global_buffer
      - .actual_access:  read_only
        .address_space:  global
        .offset:         64
        .size:           8
        .value_kind:     global_buffer
      - .offset:         72
        .size:           4
        .value_kind:     by_value
      - .address_space:  global
        .offset:         80
        .size:           8
        .value_kind:     global_buffer
      - .offset:         88
        .size:           4
        .value_kind:     by_value
      - .offset:         92
        .size:           4
        .value_kind:     by_value
      - .offset:         96
        .size:           4
        .value_kind:     by_value
      - .address_space:  global
        .offset:         104
        .size:           8
        .value_kind:     global_buffer
      - .address_space:  global
        .offset:         112
        .size:           8
        .value_kind:     global_buffer
      - .offset:         120
        .size:           4
        .value_kind:     by_value
      - .offset:         124
        .size:           4
        .value_kind:     by_value
      - .offset:         128
        .size:           4
        .value_kind:     by_value
      - .offset:         132
        .size:           4
        .value_kind:     by_value
      - .offset:         136
        .size:           4
        .value_kind:     by_value
      - .offset:         144
        .size:           4
        .value_kind:     hidden_block_count_x
      - .offset:         148
        .size:           4
        .value_kind:     hidden_block_count_y
      - .offset:         152
        .size:           4
        .value_kind:     hidden_block_count_z
      - .offset:         156
        .size:           2
        .value_kind:     hidden_group_size_x
      - .offset:         158
        .size:           2
        .value_kind:     hidden_group_size_y
      - .offset:         160
        .size:           2
        .value_kind:     hidden_group_size_z
      - .offset:         162
        .size:           2
        .value_kind:     hidden_remainder_x
      - .offset:         164
        .size:           2
        .value_kind:     hidden_remainder_y
      - .offset:         166
        .size:           2
        .value_kind:     hidden_remainder_z
      - .offset:         184
        .size:           8
        .value_kind:     hidden_global_offset_x
      - .offset:         192
        .size:           8
        .value_kind:     hidden_global_offset_y
      - .offset:         200
        .size:           8
        .value_kind:     hidden_global_offset_z
      - .offset:         208
        .size:           2
        .value_kind:     hidden_grid_dims
      - .offset:         264
        .size:           4
        .value_kind:     hidden_dynamic_lds_size
    .group_segment_fixed_size: 240
    .kernarg_segment_align: 8
    .kernarg_segment_size: 400
    .language:       OpenCL C
    .language_version:
      - 2
      - 0
    .max_flat_workgroup_size: 1024
    .name:           _ZN4vllm25paged_attention_v2_kernelIthLi112ELi32ELi128ELNS_18Fp8KVCacheDataTypeE1ELb0ELi512EEEvPfS2_PT_PKS3_PKT0_S9_ifPKiSB_iPKfiiiSD_SD_iiiii
    .private_segment_fixed_size: 144
    .sgpr_count:     50
    .sgpr_spill_count: 0
    .symbol:         _ZN4vllm25paged_attention_v2_kernelIthLi112ELi32ELi128ELNS_18Fp8KVCacheDataTypeE1ELb0ELi512EEEvPfS2_PT_PKS3_PKT0_S9_ifPKiSB_iPKfiiiSD_SD_iiiii.kd
    .uniform_work_group_size: 1
    .uses_dynamic_stack: false
    .vgpr_count:     113
    .vgpr_spill_count: 0
    .wavefront_size: 64
  - .agpr_count:     50
    .args:
      - .actual_access:  write_only
        .address_space:  global
        .offset:         0
        .size:           8
        .value_kind:     global_buffer
      - .actual_access:  write_only
        .address_space:  global
        .offset:         8
        .size:           8
        .value_kind:     global_buffer
      - .actual_access:  write_only
        .address_space:  global
        .offset:         16
        .size:           8
        .value_kind:     global_buffer
      - .actual_access:  read_only
        .address_space:  global
        .offset:         24
        .size:           8
        .value_kind:     global_buffer
      - .actual_access:  read_only
        .address_space:  global
        .offset:         32
        .size:           8
        .value_kind:     global_buffer
      - .actual_access:  read_only
        .address_space:  global
        .offset:         40
        .size:           8
        .value_kind:     global_buffer
      - .offset:         48
        .size:           4
        .value_kind:     by_value
      - .offset:         52
        .size:           4
        .value_kind:     by_value
      - .actual_access:  read_only
        .address_space:  global
        .offset:         56
        .size:           8
        .value_kind:     global_buffer
      - .actual_access:  read_only
        .address_space:  global
        .offset:         64
        .size:           8
        .value_kind:     global_buffer
      - .offset:         72
        .size:           4
        .value_kind:     by_value
      - .address_space:  global
        .offset:         80
        .size:           8
        .value_kind:     global_buffer
      - .offset:         88
        .size:           4
        .value_kind:     by_value
      - .offset:         92
        .size:           4
        .value_kind:     by_value
      - .offset:         96
        .size:           4
        .value_kind:     by_value
      - .address_space:  global
        .offset:         104
        .size:           8
        .value_kind:     global_buffer
      - .address_space:  global
        .offset:         112
        .size:           8
        .value_kind:     global_buffer
      - .offset:         120
        .size:           4
        .value_kind:     by_value
      - .offset:         124
        .size:           4
        .value_kind:     by_value
      - .offset:         128
        .size:           4
        .value_kind:     by_value
      - .offset:         132
        .size:           4
        .value_kind:     by_value
      - .offset:         136
        .size:           4
        .value_kind:     by_value
      - .offset:         144
        .size:           4
        .value_kind:     hidden_block_count_x
      - .offset:         148
        .size:           4
        .value_kind:     hidden_block_count_y
      - .offset:         152
        .size:           4
        .value_kind:     hidden_block_count_z
      - .offset:         156
        .size:           2
        .value_kind:     hidden_group_size_x
      - .offset:         158
        .size:           2
        .value_kind:     hidden_group_size_y
      - .offset:         160
        .size:           2
        .value_kind:     hidden_group_size_z
      - .offset:         162
        .size:           2
        .value_kind:     hidden_remainder_x
      - .offset:         164
        .size:           2
        .value_kind:     hidden_remainder_y
      - .offset:         166
        .size:           2
        .value_kind:     hidden_remainder_z
      - .offset:         184
        .size:           8
        .value_kind:     hidden_global_offset_x
      - .offset:         192
        .size:           8
        .value_kind:     hidden_global_offset_y
      - .offset:         200
        .size:           8
        .value_kind:     hidden_global_offset_z
      - .offset:         208
        .size:           2
        .value_kind:     hidden_grid_dims
      - .offset:         264
        .size:           4
        .value_kind:     hidden_dynamic_lds_size
    .group_segment_fixed_size: 256
    .kernarg_segment_align: 8
    .kernarg_segment_size: 400
    .language:       OpenCL C
    .language_version:
      - 2
      - 0
    .max_flat_workgroup_size: 1024
    .name:           _ZN4vllm25paged_attention_v2_kernelIthLi120ELi32ELi128ELNS_18Fp8KVCacheDataTypeE1ELb0ELi512EEEvPfS2_PT_PKS3_PKT0_S9_ifPKiSB_iPKfiiiSD_SD_iiiii
    .private_segment_fixed_size: 156
    .sgpr_count:     50
    .sgpr_spill_count: 0
    .symbol:         _ZN4vllm25paged_attention_v2_kernelIthLi120ELi32ELi128ELNS_18Fp8KVCacheDataTypeE1ELb0ELi512EEEvPfS2_PT_PKS3_PKT0_S9_ifPKiSB_iPKfiiiSD_SD_iiiii.kd
    .uniform_work_group_size: 1
    .uses_dynamic_stack: false
    .vgpr_count:     114
    .vgpr_spill_count: 0
    .wavefront_size: 64
  - .agpr_count:     52
    .args:
      - .actual_access:  write_only
        .address_space:  global
        .offset:         0
        .size:           8
        .value_kind:     global_buffer
      - .actual_access:  write_only
        .address_space:  global
        .offset:         8
        .size:           8
        .value_kind:     global_buffer
      - .actual_access:  write_only
        .address_space:  global
        .offset:         16
        .size:           8
        .value_kind:     global_buffer
      - .actual_access:  read_only
        .address_space:  global
        .offset:         24
        .size:           8
        .value_kind:     global_buffer
      - .actual_access:  read_only
        .address_space:  global
        .offset:         32
        .size:           8
        .value_kind:     global_buffer
      - .actual_access:  read_only
        .address_space:  global
        .offset:         40
        .size:           8
        .value_kind:     global_buffer
      - .offset:         48
        .size:           4
        .value_kind:     by_value
      - .offset:         52
        .size:           4
        .value_kind:     by_value
      - .actual_access:  read_only
        .address_space:  global
        .offset:         56
        .size:           8
        .value_kind:     global_buffer
      - .actual_access:  read_only
        .address_space:  global
        .offset:         64
        .size:           8
        .value_kind:     global_buffer
      - .offset:         72
        .size:           4
        .value_kind:     by_value
      - .address_space:  global
        .offset:         80
        .size:           8
        .value_kind:     global_buffer
      - .offset:         88
        .size:           4
        .value_kind:     by_value
      - .offset:         92
        .size:           4
        .value_kind:     by_value
      - .offset:         96
        .size:           4
        .value_kind:     by_value
      - .address_space:  global
        .offset:         104
        .size:           8
        .value_kind:     global_buffer
      - .address_space:  global
        .offset:         112
        .size:           8
        .value_kind:     global_buffer
      - .offset:         120
        .size:           4
        .value_kind:     by_value
      - .offset:         124
        .size:           4
        .value_kind:     by_value
      - .offset:         128
        .size:           4
        .value_kind:     by_value
      - .offset:         132
        .size:           4
        .value_kind:     by_value
      - .offset:         136
        .size:           4
        .value_kind:     by_value
      - .offset:         144
        .size:           4
        .value_kind:     hidden_block_count_x
      - .offset:         148
        .size:           4
        .value_kind:     hidden_block_count_y
      - .offset:         152
        .size:           4
        .value_kind:     hidden_block_count_z
      - .offset:         156
        .size:           2
        .value_kind:     hidden_group_size_x
      - .offset:         158
        .size:           2
        .value_kind:     hidden_group_size_y
      - .offset:         160
        .size:           2
        .value_kind:     hidden_group_size_z
      - .offset:         162
        .size:           2
        .value_kind:     hidden_remainder_x
      - .offset:         164
        .size:           2
        .value_kind:     hidden_remainder_y
      - .offset:         166
        .size:           2
        .value_kind:     hidden_remainder_z
      - .offset:         184
        .size:           8
        .value_kind:     hidden_global_offset_x
      - .offset:         192
        .size:           8
        .value_kind:     hidden_global_offset_y
      - .offset:         200
        .size:           8
        .value_kind:     hidden_global_offset_z
      - .offset:         208
        .size:           2
        .value_kind:     hidden_grid_dims
      - .offset:         264
        .size:           4
        .value_kind:     hidden_dynamic_lds_size
    .group_segment_fixed_size: 272
    .kernarg_segment_align: 8
    .kernarg_segment_size: 400
    .language:       OpenCL C
    .language_version:
      - 2
      - 0
    .max_flat_workgroup_size: 1024
    .name:           _ZN4vllm25paged_attention_v2_kernelIthLi128ELi32ELi128ELNS_18Fp8KVCacheDataTypeE1ELb0ELi512EEEvPfS2_PT_PKS3_PKT0_S9_ifPKiSB_iPKfiiiSD_SD_iiiii
    .private_segment_fixed_size: 176
    .sgpr_count:     50
    .sgpr_spill_count: 0
    .symbol:         _ZN4vllm25paged_attention_v2_kernelIthLi128ELi32ELi128ELNS_18Fp8KVCacheDataTypeE1ELb0ELi512EEEvPfS2_PT_PKS3_PKT0_S9_ifPKiSB_iPKfiiiSD_SD_iiiii.kd
    .uniform_work_group_size: 1
    .uses_dynamic_stack: false
    .vgpr_count:     116
    .vgpr_spill_count: 0
    .wavefront_size: 64
  - .agpr_count:     64
    .args:
      - .actual_access:  write_only
        .address_space:  global
        .offset:         0
        .size:           8
        .value_kind:     global_buffer
      - .actual_access:  write_only
        .address_space:  global
        .offset:         8
        .size:           8
        .value_kind:     global_buffer
      - .actual_access:  write_only
        .address_space:  global
        .offset:         16
        .size:           8
        .value_kind:     global_buffer
      - .actual_access:  read_only
        .address_space:  global
        .offset:         24
        .size:           8
        .value_kind:     global_buffer
      - .actual_access:  read_only
        .address_space:  global
        .offset:         32
        .size:           8
        .value_kind:     global_buffer
      - .actual_access:  read_only
        .address_space:  global
        .offset:         40
        .size:           8
        .value_kind:     global_buffer
      - .offset:         48
        .size:           4
        .value_kind:     by_value
      - .offset:         52
        .size:           4
        .value_kind:     by_value
      - .actual_access:  read_only
        .address_space:  global
        .offset:         56
        .size:           8
        .value_kind:     global_buffer
      - .actual_access:  read_only
        .address_space:  global
        .offset:         64
        .size:           8
        .value_kind:     global_buffer
      - .offset:         72
        .size:           4
        .value_kind:     by_value
      - .address_space:  global
        .offset:         80
        .size:           8
        .value_kind:     global_buffer
      - .offset:         88
        .size:           4
        .value_kind:     by_value
      - .offset:         92
        .size:           4
        .value_kind:     by_value
      - .offset:         96
        .size:           4
        .value_kind:     by_value
      - .address_space:  global
        .offset:         104
        .size:           8
        .value_kind:     global_buffer
      - .address_space:  global
        .offset:         112
        .size:           8
        .value_kind:     global_buffer
      - .offset:         120
        .size:           4
        .value_kind:     by_value
      - .offset:         124
        .size:           4
        .value_kind:     by_value
      - .offset:         128
        .size:           4
        .value_kind:     by_value
      - .offset:         132
        .size:           4
        .value_kind:     by_value
      - .offset:         136
        .size:           4
        .value_kind:     by_value
      - .offset:         144
        .size:           4
        .value_kind:     hidden_block_count_x
      - .offset:         148
        .size:           4
        .value_kind:     hidden_block_count_y
      - .offset:         152
        .size:           4
        .value_kind:     hidden_block_count_z
      - .offset:         156
        .size:           2
        .value_kind:     hidden_group_size_x
      - .offset:         158
        .size:           2
        .value_kind:     hidden_group_size_y
      - .offset:         160
        .size:           2
        .value_kind:     hidden_group_size_z
      - .offset:         162
        .size:           2
        .value_kind:     hidden_remainder_x
      - .offset:         164
        .size:           2
        .value_kind:     hidden_remainder_y
      - .offset:         166
        .size:           2
        .value_kind:     hidden_remainder_z
      - .offset:         184
        .size:           8
        .value_kind:     hidden_global_offset_x
      - .offset:         192
        .size:           8
        .value_kind:     hidden_global_offset_y
      - .offset:         200
        .size:           8
        .value_kind:     hidden_global_offset_z
      - .offset:         208
        .size:           2
        .value_kind:     hidden_grid_dims
      - .offset:         264
        .size:           4
        .value_kind:     hidden_dynamic_lds_size
    .group_segment_fixed_size: 400
    .kernarg_segment_align: 8
    .kernarg_segment_size: 400
    .language:       OpenCL C
    .language_version:
      - 2
      - 0
    .max_flat_workgroup_size: 1024
    .name:           _ZN4vllm25paged_attention_v2_kernelIthLi192ELi32ELi128ELNS_18Fp8KVCacheDataTypeE1ELb0ELi512EEEvPfS2_PT_PKS3_PKT0_S9_ifPKiSB_iPKfiiiSD_SD_iiiii
    .private_segment_fixed_size: 448
    .sgpr_count:     52
    .sgpr_spill_count: 0
    .symbol:         _ZN4vllm25paged_attention_v2_kernelIthLi192ELi32ELi128ELNS_18Fp8KVCacheDataTypeE1ELb0ELi512EEEvPfS2_PT_PKS3_PKT0_S9_ifPKiSB_iPKfiiiSD_SD_iiiii.kd
    .uniform_work_group_size: 1
    .uses_dynamic_stack: false
    .vgpr_count:     128
    .vgpr_spill_count: 0
    .wavefront_size: 64
  - .agpr_count:     64
    .args:
      - .actual_access:  write_only
        .address_space:  global
        .offset:         0
        .size:           8
        .value_kind:     global_buffer
      - .actual_access:  write_only
        .address_space:  global
        .offset:         8
        .size:           8
        .value_kind:     global_buffer
      - .actual_access:  write_only
        .address_space:  global
        .offset:         16
        .size:           8
        .value_kind:     global_buffer
      - .actual_access:  read_only
        .address_space:  global
        .offset:         24
        .size:           8
        .value_kind:     global_buffer
      - .actual_access:  read_only
        .address_space:  global
        .offset:         32
        .size:           8
        .value_kind:     global_buffer
      - .actual_access:  read_only
        .address_space:  global
        .offset:         40
        .size:           8
        .value_kind:     global_buffer
      - .offset:         48
        .size:           4
        .value_kind:     by_value
      - .offset:         52
        .size:           4
        .value_kind:     by_value
      - .actual_access:  read_only
        .address_space:  global
        .offset:         56
        .size:           8
        .value_kind:     global_buffer
      - .actual_access:  read_only
        .address_space:  global
        .offset:         64
        .size:           8
        .value_kind:     global_buffer
      - .offset:         72
        .size:           4
        .value_kind:     by_value
      - .address_space:  global
        .offset:         80
        .size:           8
        .value_kind:     global_buffer
      - .offset:         88
        .size:           4
        .value_kind:     by_value
      - .offset:         92
        .size:           4
        .value_kind:     by_value
      - .offset:         96
        .size:           4
        .value_kind:     by_value
      - .address_space:  global
        .offset:         104
        .size:           8
        .value_kind:     global_buffer
      - .address_space:  global
        .offset:         112
        .size:           8
        .value_kind:     global_buffer
      - .offset:         120
        .size:           4
        .value_kind:     by_value
      - .offset:         124
        .size:           4
        .value_kind:     by_value
      - .offset:         128
        .size:           4
        .value_kind:     by_value
      - .offset:         132
        .size:           4
        .value_kind:     by_value
      - .offset:         136
        .size:           4
        .value_kind:     by_value
      - .offset:         144
        .size:           4
        .value_kind:     hidden_block_count_x
      - .offset:         148
        .size:           4
        .value_kind:     hidden_block_count_y
      - .offset:         152
        .size:           4
        .value_kind:     hidden_block_count_z
      - .offset:         156
        .size:           2
        .value_kind:     hidden_group_size_x
      - .offset:         158
        .size:           2
        .value_kind:     hidden_group_size_y
      - .offset:         160
        .size:           2
        .value_kind:     hidden_group_size_z
      - .offset:         162
        .size:           2
        .value_kind:     hidden_remainder_x
      - .offset:         164
        .size:           2
        .value_kind:     hidden_remainder_y
      - .offset:         166
        .size:           2
        .value_kind:     hidden_remainder_z
      - .offset:         184
        .size:           8
        .value_kind:     hidden_global_offset_x
      - .offset:         192
        .size:           8
        .value_kind:     hidden_global_offset_y
      - .offset:         200
        .size:           8
        .value_kind:     hidden_global_offset_z
      - .offset:         208
        .size:           2
        .value_kind:     hidden_grid_dims
      - .offset:         264
        .size:           4
        .value_kind:     hidden_dynamic_lds_size
    .group_segment_fixed_size: 528
    .kernarg_segment_align: 8
    .kernarg_segment_size: 400
    .language:       OpenCL C
    .language_version:
      - 2
      - 0
    .max_flat_workgroup_size: 1024
    .name:           _ZN4vllm25paged_attention_v2_kernelIthLi256ELi32ELi128ELNS_18Fp8KVCacheDataTypeE1ELb0ELi512EEEvPfS2_PT_PKS3_PKT0_S9_ifPKiSB_iPKfiiiSD_SD_iiiii
    .private_segment_fixed_size: 688
    .sgpr_count:     62
    .sgpr_spill_count: 0
    .symbol:         _ZN4vllm25paged_attention_v2_kernelIthLi256ELi32ELi128ELNS_18Fp8KVCacheDataTypeE1ELb0ELi512EEEvPfS2_PT_PKS3_PKT0_S9_ifPKiSB_iPKfiiiSD_SD_iiiii.kd
    .uniform_work_group_size: 1
    .uses_dynamic_stack: false
    .vgpr_count:     128
    .vgpr_spill_count: 0
    .wavefront_size: 64
  - .agpr_count:     0
    .args:
      - .actual_access:  write_only
        .address_space:  global
        .offset:         0
        .size:           8
        .value_kind:     global_buffer
      - .actual_access:  write_only
        .address_space:  global
        .offset:         8
        .size:           8
        .value_kind:     global_buffer
      - .actual_access:  write_only
        .address_space:  global
        .offset:         16
        .size:           8
        .value_kind:     global_buffer
      - .actual_access:  read_only
        .address_space:  global
        .offset:         24
        .size:           8
        .value_kind:     global_buffer
      - .actual_access:  read_only
        .address_space:  global
        .offset:         32
        .size:           8
        .value_kind:     global_buffer
      - .actual_access:  read_only
        .address_space:  global
        .offset:         40
        .size:           8
        .value_kind:     global_buffer
      - .offset:         48
        .size:           4
        .value_kind:     by_value
      - .offset:         52
        .size:           4
        .value_kind:     by_value
      - .actual_access:  read_only
        .address_space:  global
        .offset:         56
        .size:           8
        .value_kind:     global_buffer
      - .actual_access:  read_only
        .address_space:  global
        .offset:         64
        .size:           8
        .value_kind:     global_buffer
      - .offset:         72
        .size:           4
        .value_kind:     by_value
      - .actual_access:  read_only
        .address_space:  global
        .offset:         80
        .size:           8
        .value_kind:     global_buffer
      - .offset:         88
        .size:           4
        .value_kind:     by_value
      - .offset:         92
        .size:           4
        .value_kind:     by_value
      - .offset:         96
        .size:           4
        .value_kind:     by_value
      - .address_space:  global
        .offset:         104
        .size:           8
        .value_kind:     global_buffer
      - .address_space:  global
        .offset:         112
        .size:           8
        .value_kind:     global_buffer
      - .offset:         120
        .size:           4
        .value_kind:     by_value
      - .offset:         124
        .size:           4
        .value_kind:     by_value
      - .offset:         128
        .size:           4
        .value_kind:     by_value
      - .offset:         132
        .size:           4
        .value_kind:     by_value
      - .offset:         136
        .size:           4
        .value_kind:     by_value
      - .offset:         144
        .size:           4
        .value_kind:     hidden_block_count_x
      - .offset:         148
        .size:           4
        .value_kind:     hidden_block_count_y
      - .offset:         152
        .size:           4
        .value_kind:     hidden_block_count_z
      - .offset:         156
        .size:           2
        .value_kind:     hidden_group_size_x
      - .offset:         158
        .size:           2
        .value_kind:     hidden_group_size_y
      - .offset:         160
        .size:           2
        .value_kind:     hidden_group_size_z
      - .offset:         162
        .size:           2
        .value_kind:     hidden_remainder_x
      - .offset:         164
        .size:           2
        .value_kind:     hidden_remainder_y
      - .offset:         166
        .size:           2
        .value_kind:     hidden_remainder_z
      - .offset:         184
        .size:           8
        .value_kind:     hidden_global_offset_x
      - .offset:         192
        .size:           8
        .value_kind:     hidden_global_offset_y
      - .offset:         200
        .size:           8
        .value_kind:     hidden_global_offset_z
      - .offset:         208
        .size:           2
        .value_kind:     hidden_grid_dims
      - .offset:         264
        .size:           4
        .value_kind:     hidden_dynamic_lds_size
    .group_segment_fixed_size: 80
    .kernarg_segment_align: 8
    .kernarg_segment_size: 400
    .language:       OpenCL C
    .language_version:
      - 2
      - 0
    .max_flat_workgroup_size: 1024
    .name:           _ZN4vllm25paged_attention_v2_kernelI14__hip_bfloat16hLi32ELi8ELi128ELNS_18Fp8KVCacheDataTypeE1ELb1ELi512EEEvPfS3_PT_PKS4_PKT0_SA_ifPKiSC_iPKfiiiSE_SE_iiiii
    .private_segment_fixed_size: 0
    .sgpr_count:     65
    .sgpr_spill_count: 0
    .symbol:         _ZN4vllm25paged_attention_v2_kernelI14__hip_bfloat16hLi32ELi8ELi128ELNS_18Fp8KVCacheDataTypeE1ELb1ELi512EEEvPfS3_PT_PKS4_PKT0_SA_ifPKiSC_iPKfiiiSE_SE_iiiii.kd
    .uniform_work_group_size: 1
    .uses_dynamic_stack: false
    .vgpr_count:     32
    .vgpr_spill_count: 0
    .wavefront_size: 64
  - .agpr_count:     0
    .args:
      - .actual_access:  write_only
        .address_space:  global
        .offset:         0
        .size:           8
        .value_kind:     global_buffer
      - .actual_access:  write_only
        .address_space:  global
        .offset:         8
        .size:           8
        .value_kind:     global_buffer
      - .actual_access:  write_only
        .address_space:  global
        .offset:         16
        .size:           8
        .value_kind:     global_buffer
      - .actual_access:  read_only
        .address_space:  global
        .offset:         24
        .size:           8
        .value_kind:     global_buffer
      - .actual_access:  read_only
        .address_space:  global
        .offset:         32
        .size:           8
        .value_kind:     global_buffer
      - .actual_access:  read_only
        .address_space:  global
        .offset:         40
        .size:           8
        .value_kind:     global_buffer
      - .offset:         48
        .size:           4
        .value_kind:     by_value
      - .offset:         52
        .size:           4
        .value_kind:     by_value
      - .actual_access:  read_only
        .address_space:  global
        .offset:         56
        .size:           8
        .value_kind:     global_buffer
      - .actual_access:  read_only
        .address_space:  global
        .offset:         64
        .size:           8
        .value_kind:     global_buffer
      - .offset:         72
        .size:           4
        .value_kind:     by_value
      - .actual_access:  read_only
        .address_space:  global
        .offset:         80
        .size:           8
        .value_kind:     global_buffer
      - .offset:         88
        .size:           4
        .value_kind:     by_value
      - .offset:         92
        .size:           4
        .value_kind:     by_value
      - .offset:         96
        .size:           4
        .value_kind:     by_value
      - .address_space:  global
        .offset:         104
        .size:           8
        .value_kind:     global_buffer
      - .address_space:  global
        .offset:         112
        .size:           8
        .value_kind:     global_buffer
      - .offset:         120
        .size:           4
        .value_kind:     by_value
      - .offset:         124
        .size:           4
        .value_kind:     by_value
      - .offset:         128
        .size:           4
        .value_kind:     by_value
      - .offset:         132
        .size:           4
        .value_kind:     by_value
      - .offset:         136
        .size:           4
        .value_kind:     by_value
      - .offset:         144
        .size:           4
        .value_kind:     hidden_block_count_x
      - .offset:         148
        .size:           4
        .value_kind:     hidden_block_count_y
      - .offset:         152
        .size:           4
        .value_kind:     hidden_block_count_z
      - .offset:         156
        .size:           2
        .value_kind:     hidden_group_size_x
      - .offset:         158
        .size:           2
        .value_kind:     hidden_group_size_y
      - .offset:         160
        .size:           2
        .value_kind:     hidden_group_size_z
      - .offset:         162
        .size:           2
        .value_kind:     hidden_remainder_x
      - .offset:         164
        .size:           2
        .value_kind:     hidden_remainder_y
      - .offset:         166
        .size:           2
        .value_kind:     hidden_remainder_z
      - .offset:         184
        .size:           8
        .value_kind:     hidden_global_offset_x
      - .offset:         192
        .size:           8
        .value_kind:     hidden_global_offset_y
      - .offset:         200
        .size:           8
        .value_kind:     hidden_global_offset_z
      - .offset:         208
        .size:           2
        .value_kind:     hidden_grid_dims
      - .offset:         264
        .size:           4
        .value_kind:     hidden_dynamic_lds_size
    .group_segment_fixed_size: 144
    .kernarg_segment_align: 8
    .kernarg_segment_size: 400
    .language:       OpenCL C
    .language_version:
      - 2
      - 0
    .max_flat_workgroup_size: 1024
    .name:           _ZN4vllm25paged_attention_v2_kernelI14__hip_bfloat16hLi64ELi8ELi128ELNS_18Fp8KVCacheDataTypeE1ELb1ELi512EEEvPfS3_PT_PKS4_PKT0_SA_ifPKiSC_iPKfiiiSE_SE_iiiii
    .private_segment_fixed_size: 0
    .sgpr_count:     67
    .sgpr_spill_count: 0
    .symbol:         _ZN4vllm25paged_attention_v2_kernelI14__hip_bfloat16hLi64ELi8ELi128ELNS_18Fp8KVCacheDataTypeE1ELb1ELi512EEEvPfS3_PT_PKS4_PKT0_SA_ifPKiSC_iPKfiiiSE_SE_iiiii.kd
    .uniform_work_group_size: 1
    .uses_dynamic_stack: false
    .vgpr_count:     40
    .vgpr_spill_count: 0
    .wavefront_size: 64
  - .agpr_count:     0
    .args:
      - .actual_access:  write_only
        .address_space:  global
        .offset:         0
        .size:           8
        .value_kind:     global_buffer
      - .actual_access:  write_only
        .address_space:  global
        .offset:         8
        .size:           8
        .value_kind:     global_buffer
      - .actual_access:  write_only
        .address_space:  global
        .offset:         16
        .size:           8
        .value_kind:     global_buffer
      - .actual_access:  read_only
        .address_space:  global
        .offset:         24
        .size:           8
        .value_kind:     global_buffer
      - .actual_access:  read_only
        .address_space:  global
        .offset:         32
        .size:           8
        .value_kind:     global_buffer
      - .actual_access:  read_only
        .address_space:  global
        .offset:         40
        .size:           8
        .value_kind:     global_buffer
      - .offset:         48
        .size:           4
        .value_kind:     by_value
      - .offset:         52
        .size:           4
        .value_kind:     by_value
      - .actual_access:  read_only
        .address_space:  global
        .offset:         56
        .size:           8
        .value_kind:     global_buffer
      - .actual_access:  read_only
        .address_space:  global
        .offset:         64
        .size:           8
        .value_kind:     global_buffer
      - .offset:         72
        .size:           4
        .value_kind:     by_value
      - .actual_access:  read_only
        .address_space:  global
        .offset:         80
        .size:           8
        .value_kind:     global_buffer
      - .offset:         88
        .size:           4
        .value_kind:     by_value
      - .offset:         92
        .size:           4
        .value_kind:     by_value
      - .offset:         96
        .size:           4
        .value_kind:     by_value
      - .address_space:  global
        .offset:         104
        .size:           8
        .value_kind:     global_buffer
      - .address_space:  global
        .offset:         112
        .size:           8
        .value_kind:     global_buffer
      - .offset:         120
        .size:           4
        .value_kind:     by_value
      - .offset:         124
        .size:           4
        .value_kind:     by_value
      - .offset:         128
        .size:           4
        .value_kind:     by_value
      - .offset:         132
        .size:           4
        .value_kind:     by_value
      - .offset:         136
        .size:           4
        .value_kind:     by_value
      - .offset:         144
        .size:           4
        .value_kind:     hidden_block_count_x
      - .offset:         148
        .size:           4
        .value_kind:     hidden_block_count_y
      - .offset:         152
        .size:           4
        .value_kind:     hidden_block_count_z
      - .offset:         156
        .size:           2
        .value_kind:     hidden_group_size_x
      - .offset:         158
        .size:           2
        .value_kind:     hidden_group_size_y
      - .offset:         160
        .size:           2
        .value_kind:     hidden_group_size_z
      - .offset:         162
        .size:           2
        .value_kind:     hidden_remainder_x
      - .offset:         164
        .size:           2
        .value_kind:     hidden_remainder_y
      - .offset:         166
        .size:           2
        .value_kind:     hidden_remainder_z
      - .offset:         184
        .size:           8
        .value_kind:     hidden_global_offset_x
      - .offset:         192
        .size:           8
        .value_kind:     hidden_global_offset_y
      - .offset:         200
        .size:           8
        .value_kind:     hidden_global_offset_z
      - .offset:         208
        .size:           2
        .value_kind:     hidden_grid_dims
      - .offset:         264
        .size:           4
        .value_kind:     hidden_dynamic_lds_size
    .group_segment_fixed_size: 176
    .kernarg_segment_align: 8
    .kernarg_segment_size: 400
    .language:       OpenCL C
    .language_version:
      - 2
      - 0
    .max_flat_workgroup_size: 1024
    .name:           _ZN4vllm25paged_attention_v2_kernelI14__hip_bfloat16hLi80ELi8ELi128ELNS_18Fp8KVCacheDataTypeE1ELb1ELi512EEEvPfS3_PT_PKS4_PKT0_SA_ifPKiSC_iPKfiiiSE_SE_iiiii
    .private_segment_fixed_size: 0
    .sgpr_count:     67
    .sgpr_spill_count: 0
    .symbol:         _ZN4vllm25paged_attention_v2_kernelI14__hip_bfloat16hLi80ELi8ELi128ELNS_18Fp8KVCacheDataTypeE1ELb1ELi512EEEvPfS3_PT_PKS4_PKT0_SA_ifPKiSC_iPKfiiiSE_SE_iiiii.kd
    .uniform_work_group_size: 1
    .uses_dynamic_stack: false
    .vgpr_count:     45
    .vgpr_spill_count: 0
    .wavefront_size: 64
  - .agpr_count:     0
    .args:
      - .actual_access:  write_only
        .address_space:  global
        .offset:         0
        .size:           8
        .value_kind:     global_buffer
      - .actual_access:  write_only
        .address_space:  global
        .offset:         8
        .size:           8
        .value_kind:     global_buffer
      - .actual_access:  write_only
        .address_space:  global
        .offset:         16
        .size:           8
        .value_kind:     global_buffer
      - .actual_access:  read_only
        .address_space:  global
        .offset:         24
        .size:           8
        .value_kind:     global_buffer
      - .actual_access:  read_only
        .address_space:  global
        .offset:         32
        .size:           8
        .value_kind:     global_buffer
      - .actual_access:  read_only
        .address_space:  global
        .offset:         40
        .size:           8
        .value_kind:     global_buffer
      - .offset:         48
        .size:           4
        .value_kind:     by_value
      - .offset:         52
        .size:           4
        .value_kind:     by_value
      - .actual_access:  read_only
        .address_space:  global
        .offset:         56
        .size:           8
        .value_kind:     global_buffer
      - .actual_access:  read_only
        .address_space:  global
        .offset:         64
        .size:           8
        .value_kind:     global_buffer
      - .offset:         72
        .size:           4
        .value_kind:     by_value
      - .actual_access:  read_only
        .address_space:  global
        .offset:         80
        .size:           8
        .value_kind:     global_buffer
      - .offset:         88
        .size:           4
        .value_kind:     by_value
      - .offset:         92
        .size:           4
        .value_kind:     by_value
      - .offset:         96
        .size:           4
        .value_kind:     by_value
      - .address_space:  global
        .offset:         104
        .size:           8
        .value_kind:     global_buffer
      - .address_space:  global
        .offset:         112
        .size:           8
        .value_kind:     global_buffer
      - .offset:         120
        .size:           4
        .value_kind:     by_value
      - .offset:         124
        .size:           4
        .value_kind:     by_value
      - .offset:         128
        .size:           4
        .value_kind:     by_value
      - .offset:         132
        .size:           4
        .value_kind:     by_value
      - .offset:         136
        .size:           4
        .value_kind:     by_value
      - .offset:         144
        .size:           4
        .value_kind:     hidden_block_count_x
      - .offset:         148
        .size:           4
        .value_kind:     hidden_block_count_y
      - .offset:         152
        .size:           4
        .value_kind:     hidden_block_count_z
      - .offset:         156
        .size:           2
        .value_kind:     hidden_group_size_x
      - .offset:         158
        .size:           2
        .value_kind:     hidden_group_size_y
      - .offset:         160
        .size:           2
        .value_kind:     hidden_group_size_z
      - .offset:         162
        .size:           2
        .value_kind:     hidden_remainder_x
      - .offset:         164
        .size:           2
        .value_kind:     hidden_remainder_y
      - .offset:         166
        .size:           2
        .value_kind:     hidden_remainder_z
      - .offset:         184
        .size:           8
        .value_kind:     hidden_global_offset_x
      - .offset:         192
        .size:           8
        .value_kind:     hidden_global_offset_y
      - .offset:         200
        .size:           8
        .value_kind:     hidden_global_offset_z
      - .offset:         208
        .size:           2
        .value_kind:     hidden_grid_dims
      - .offset:         264
        .size:           4
        .value_kind:     hidden_dynamic_lds_size
    .group_segment_fixed_size: 208
    .kernarg_segment_align: 8
    .kernarg_segment_size: 400
    .language:       OpenCL C
    .language_version:
      - 2
      - 0
    .max_flat_workgroup_size: 1024
    .name:           _ZN4vllm25paged_attention_v2_kernelI14__hip_bfloat16hLi96ELi8ELi128ELNS_18Fp8KVCacheDataTypeE1ELb1ELi512EEEvPfS3_PT_PKS4_PKT0_SA_ifPKiSC_iPKfiiiSE_SE_iiiii
    .private_segment_fixed_size: 0
    .sgpr_count:     67
    .sgpr_spill_count: 0
    .symbol:         _ZN4vllm25paged_attention_v2_kernelI14__hip_bfloat16hLi96ELi8ELi128ELNS_18Fp8KVCacheDataTypeE1ELb1ELi512EEEvPfS3_PT_PKS4_PKT0_SA_ifPKiSC_iPKfiiiSE_SE_iiiii.kd
    .uniform_work_group_size: 1
    .uses_dynamic_stack: false
    .vgpr_count:     49
    .vgpr_spill_count: 0
    .wavefront_size: 64
  - .agpr_count:     0
    .args:
      - .actual_access:  write_only
        .address_space:  global
        .offset:         0
        .size:           8
        .value_kind:     global_buffer
      - .actual_access:  write_only
        .address_space:  global
        .offset:         8
        .size:           8
        .value_kind:     global_buffer
      - .actual_access:  write_only
        .address_space:  global
        .offset:         16
        .size:           8
        .value_kind:     global_buffer
      - .actual_access:  read_only
        .address_space:  global
        .offset:         24
        .size:           8
        .value_kind:     global_buffer
      - .actual_access:  read_only
        .address_space:  global
        .offset:         32
        .size:           8
        .value_kind:     global_buffer
      - .actual_access:  read_only
        .address_space:  global
        .offset:         40
        .size:           8
        .value_kind:     global_buffer
      - .offset:         48
        .size:           4
        .value_kind:     by_value
      - .offset:         52
        .size:           4
        .value_kind:     by_value
      - .actual_access:  read_only
        .address_space:  global
        .offset:         56
        .size:           8
        .value_kind:     global_buffer
      - .actual_access:  read_only
        .address_space:  global
        .offset:         64
        .size:           8
        .value_kind:     global_buffer
      - .offset:         72
        .size:           4
        .value_kind:     by_value
      - .actual_access:  read_only
        .address_space:  global
        .offset:         80
        .size:           8
        .value_kind:     global_buffer
      - .offset:         88
        .size:           4
        .value_kind:     by_value
      - .offset:         92
        .size:           4
        .value_kind:     by_value
      - .offset:         96
        .size:           4
        .value_kind:     by_value
      - .address_space:  global
        .offset:         104
        .size:           8
        .value_kind:     global_buffer
      - .address_space:  global
        .offset:         112
        .size:           8
        .value_kind:     global_buffer
      - .offset:         120
        .size:           4
        .value_kind:     by_value
      - .offset:         124
        .size:           4
        .value_kind:     by_value
      - .offset:         128
        .size:           4
        .value_kind:     by_value
      - .offset:         132
        .size:           4
        .value_kind:     by_value
      - .offset:         136
        .size:           4
        .value_kind:     by_value
      - .offset:         144
        .size:           4
        .value_kind:     hidden_block_count_x
      - .offset:         148
        .size:           4
        .value_kind:     hidden_block_count_y
      - .offset:         152
        .size:           4
        .value_kind:     hidden_block_count_z
      - .offset:         156
        .size:           2
        .value_kind:     hidden_group_size_x
      - .offset:         158
        .size:           2
        .value_kind:     hidden_group_size_y
      - .offset:         160
        .size:           2
        .value_kind:     hidden_group_size_z
      - .offset:         162
        .size:           2
        .value_kind:     hidden_remainder_x
      - .offset:         164
        .size:           2
        .value_kind:     hidden_remainder_y
      - .offset:         166
        .size:           2
        .value_kind:     hidden_remainder_z
      - .offset:         184
        .size:           8
        .value_kind:     hidden_global_offset_x
      - .offset:         192
        .size:           8
        .value_kind:     hidden_global_offset_y
      - .offset:         200
        .size:           8
        .value_kind:     hidden_global_offset_z
      - .offset:         208
        .size:           2
        .value_kind:     hidden_grid_dims
      - .offset:         264
        .size:           4
        .value_kind:     hidden_dynamic_lds_size
    .group_segment_fixed_size: 240
    .kernarg_segment_align: 8
    .kernarg_segment_size: 400
    .language:       OpenCL C
    .language_version:
      - 2
      - 0
    .max_flat_workgroup_size: 1024
    .name:           _ZN4vllm25paged_attention_v2_kernelI14__hip_bfloat16hLi112ELi8ELi128ELNS_18Fp8KVCacheDataTypeE1ELb1ELi512EEEvPfS3_PT_PKS4_PKT0_SA_ifPKiSC_iPKfiiiSE_SE_iiiii
    .private_segment_fixed_size: 0
    .sgpr_count:     67
    .sgpr_spill_count: 0
    .symbol:         _ZN4vllm25paged_attention_v2_kernelI14__hip_bfloat16hLi112ELi8ELi128ELNS_18Fp8KVCacheDataTypeE1ELb1ELi512EEEvPfS3_PT_PKS4_PKT0_SA_ifPKiSC_iPKfiiiSE_SE_iiiii.kd
    .uniform_work_group_size: 1
    .uses_dynamic_stack: false
    .vgpr_count:     53
    .vgpr_spill_count: 0
    .wavefront_size: 64
  - .agpr_count:     0
    .args:
      - .actual_access:  write_only
        .address_space:  global
        .offset:         0
        .size:           8
        .value_kind:     global_buffer
      - .actual_access:  write_only
        .address_space:  global
        .offset:         8
        .size:           8
        .value_kind:     global_buffer
      - .actual_access:  write_only
        .address_space:  global
        .offset:         16
        .size:           8
        .value_kind:     global_buffer
      - .actual_access:  read_only
        .address_space:  global
        .offset:         24
        .size:           8
        .value_kind:     global_buffer
      - .actual_access:  read_only
        .address_space:  global
        .offset:         32
        .size:           8
        .value_kind:     global_buffer
      - .actual_access:  read_only
        .address_space:  global
        .offset:         40
        .size:           8
        .value_kind:     global_buffer
      - .offset:         48
        .size:           4
        .value_kind:     by_value
      - .offset:         52
        .size:           4
        .value_kind:     by_value
      - .actual_access:  read_only
        .address_space:  global
        .offset:         56
        .size:           8
        .value_kind:     global_buffer
      - .actual_access:  read_only
        .address_space:  global
        .offset:         64
        .size:           8
        .value_kind:     global_buffer
      - .offset:         72
        .size:           4
        .value_kind:     by_value
      - .actual_access:  read_only
        .address_space:  global
        .offset:         80
        .size:           8
        .value_kind:     global_buffer
      - .offset:         88
        .size:           4
        .value_kind:     by_value
      - .offset:         92
        .size:           4
        .value_kind:     by_value
      - .offset:         96
        .size:           4
        .value_kind:     by_value
      - .address_space:  global
        .offset:         104
        .size:           8
        .value_kind:     global_buffer
      - .address_space:  global
        .offset:         112
        .size:           8
        .value_kind:     global_buffer
      - .offset:         120
        .size:           4
        .value_kind:     by_value
      - .offset:         124
        .size:           4
        .value_kind:     by_value
      - .offset:         128
        .size:           4
        .value_kind:     by_value
      - .offset:         132
        .size:           4
        .value_kind:     by_value
      - .offset:         136
        .size:           4
        .value_kind:     by_value
      - .offset:         144
        .size:           4
        .value_kind:     hidden_block_count_x
      - .offset:         148
        .size:           4
        .value_kind:     hidden_block_count_y
      - .offset:         152
        .size:           4
        .value_kind:     hidden_block_count_z
      - .offset:         156
        .size:           2
        .value_kind:     hidden_group_size_x
      - .offset:         158
        .size:           2
        .value_kind:     hidden_group_size_y
      - .offset:         160
        .size:           2
        .value_kind:     hidden_group_size_z
      - .offset:         162
        .size:           2
        .value_kind:     hidden_remainder_x
      - .offset:         164
        .size:           2
        .value_kind:     hidden_remainder_y
      - .offset:         166
        .size:           2
        .value_kind:     hidden_remainder_z
      - .offset:         184
        .size:           8
        .value_kind:     hidden_global_offset_x
      - .offset:         192
        .size:           8
        .value_kind:     hidden_global_offset_y
      - .offset:         200
        .size:           8
        .value_kind:     hidden_global_offset_z
      - .offset:         208
        .size:           2
        .value_kind:     hidden_grid_dims
      - .offset:         264
        .size:           4
        .value_kind:     hidden_dynamic_lds_size
    .group_segment_fixed_size: 256
    .kernarg_segment_align: 8
    .kernarg_segment_size: 400
    .language:       OpenCL C
    .language_version:
      - 2
      - 0
    .max_flat_workgroup_size: 1024
    .name:           _ZN4vllm25paged_attention_v2_kernelI14__hip_bfloat16hLi120ELi8ELi128ELNS_18Fp8KVCacheDataTypeE1ELb1ELi512EEEvPfS3_PT_PKS4_PKT0_SA_ifPKiSC_iPKfiiiSE_SE_iiiii
    .private_segment_fixed_size: 0
    .sgpr_count:     67
    .sgpr_spill_count: 0
    .symbol:         _ZN4vllm25paged_attention_v2_kernelI14__hip_bfloat16hLi120ELi8ELi128ELNS_18Fp8KVCacheDataTypeE1ELb1ELi512EEEvPfS3_PT_PKS4_PKT0_SA_ifPKiSC_iPKfiiiSE_SE_iiiii.kd
    .uniform_work_group_size: 1
    .uses_dynamic_stack: false
    .vgpr_count:     55
    .vgpr_spill_count: 0
    .wavefront_size: 64
  - .agpr_count:     0
    .args:
      - .actual_access:  write_only
        .address_space:  global
        .offset:         0
        .size:           8
        .value_kind:     global_buffer
      - .actual_access:  write_only
        .address_space:  global
        .offset:         8
        .size:           8
        .value_kind:     global_buffer
      - .actual_access:  write_only
        .address_space:  global
        .offset:         16
        .size:           8
        .value_kind:     global_buffer
      - .actual_access:  read_only
        .address_space:  global
        .offset:         24
        .size:           8
        .value_kind:     global_buffer
      - .actual_access:  read_only
        .address_space:  global
        .offset:         32
        .size:           8
        .value_kind:     global_buffer
      - .actual_access:  read_only
        .address_space:  global
        .offset:         40
        .size:           8
        .value_kind:     global_buffer
      - .offset:         48
        .size:           4
        .value_kind:     by_value
      - .offset:         52
        .size:           4
        .value_kind:     by_value
      - .actual_access:  read_only
        .address_space:  global
        .offset:         56
        .size:           8
        .value_kind:     global_buffer
      - .actual_access:  read_only
        .address_space:  global
        .offset:         64
        .size:           8
        .value_kind:     global_buffer
      - .offset:         72
        .size:           4
        .value_kind:     by_value
      - .actual_access:  read_only
        .address_space:  global
        .offset:         80
        .size:           8
        .value_kind:     global_buffer
      - .offset:         88
        .size:           4
        .value_kind:     by_value
      - .offset:         92
        .size:           4
        .value_kind:     by_value
      - .offset:         96
        .size:           4
        .value_kind:     by_value
      - .address_space:  global
        .offset:         104
        .size:           8
        .value_kind:     global_buffer
      - .address_space:  global
        .offset:         112
        .size:           8
        .value_kind:     global_buffer
      - .offset:         120
        .size:           4
        .value_kind:     by_value
      - .offset:         124
        .size:           4
        .value_kind:     by_value
      - .offset:         128
        .size:           4
        .value_kind:     by_value
      - .offset:         132
        .size:           4
        .value_kind:     by_value
      - .offset:         136
        .size:           4
        .value_kind:     by_value
      - .offset:         144
        .size:           4
        .value_kind:     hidden_block_count_x
      - .offset:         148
        .size:           4
        .value_kind:     hidden_block_count_y
      - .offset:         152
        .size:           4
        .value_kind:     hidden_block_count_z
      - .offset:         156
        .size:           2
        .value_kind:     hidden_group_size_x
      - .offset:         158
        .size:           2
        .value_kind:     hidden_group_size_y
      - .offset:         160
        .size:           2
        .value_kind:     hidden_group_size_z
      - .offset:         162
        .size:           2
        .value_kind:     hidden_remainder_x
      - .offset:         164
        .size:           2
        .value_kind:     hidden_remainder_y
      - .offset:         166
        .size:           2
        .value_kind:     hidden_remainder_z
      - .offset:         184
        .size:           8
        .value_kind:     hidden_global_offset_x
      - .offset:         192
        .size:           8
        .value_kind:     hidden_global_offset_y
      - .offset:         200
        .size:           8
        .value_kind:     hidden_global_offset_z
      - .offset:         208
        .size:           2
        .value_kind:     hidden_grid_dims
      - .offset:         264
        .size:           4
        .value_kind:     hidden_dynamic_lds_size
    .group_segment_fixed_size: 272
    .kernarg_segment_align: 8
    .kernarg_segment_size: 400
    .language:       OpenCL C
    .language_version:
      - 2
      - 0
    .max_flat_workgroup_size: 1024
    .name:           _ZN4vllm25paged_attention_v2_kernelI14__hip_bfloat16hLi128ELi8ELi128ELNS_18Fp8KVCacheDataTypeE1ELb1ELi512EEEvPfS3_PT_PKS4_PKT0_SA_ifPKiSC_iPKfiiiSE_SE_iiiii
    .private_segment_fixed_size: 0
    .sgpr_count:     65
    .sgpr_spill_count: 0
    .symbol:         _ZN4vllm25paged_attention_v2_kernelI14__hip_bfloat16hLi128ELi8ELi128ELNS_18Fp8KVCacheDataTypeE1ELb1ELi512EEEvPfS3_PT_PKS4_PKT0_SA_ifPKiSC_iPKfiiiSE_SE_iiiii.kd
    .uniform_work_group_size: 1
    .uses_dynamic_stack: false
    .vgpr_count:     57
    .vgpr_spill_count: 0
    .wavefront_size: 64
  - .agpr_count:     0
    .args:
      - .actual_access:  write_only
        .address_space:  global
        .offset:         0
        .size:           8
        .value_kind:     global_buffer
      - .actual_access:  write_only
        .address_space:  global
        .offset:         8
        .size:           8
        .value_kind:     global_buffer
      - .actual_access:  write_only
        .address_space:  global
        .offset:         16
        .size:           8
        .value_kind:     global_buffer
      - .actual_access:  read_only
        .address_space:  global
        .offset:         24
        .size:           8
        .value_kind:     global_buffer
      - .actual_access:  read_only
        .address_space:  global
        .offset:         32
        .size:           8
        .value_kind:     global_buffer
      - .actual_access:  read_only
        .address_space:  global
        .offset:         40
        .size:           8
        .value_kind:     global_buffer
      - .offset:         48
        .size:           4
        .value_kind:     by_value
      - .offset:         52
        .size:           4
        .value_kind:     by_value
      - .actual_access:  read_only
        .address_space:  global
        .offset:         56
        .size:           8
        .value_kind:     global_buffer
      - .actual_access:  read_only
        .address_space:  global
        .offset:         64
        .size:           8
        .value_kind:     global_buffer
      - .offset:         72
        .size:           4
        .value_kind:     by_value
      - .actual_access:  read_only
        .address_space:  global
        .offset:         80
        .size:           8
        .value_kind:     global_buffer
      - .offset:         88
        .size:           4
        .value_kind:     by_value
      - .offset:         92
        .size:           4
        .value_kind:     by_value
      - .offset:         96
        .size:           4
        .value_kind:     by_value
      - .address_space:  global
        .offset:         104
        .size:           8
        .value_kind:     global_buffer
      - .address_space:  global
        .offset:         112
        .size:           8
        .value_kind:     global_buffer
      - .offset:         120
        .size:           4
        .value_kind:     by_value
      - .offset:         124
        .size:           4
        .value_kind:     by_value
      - .offset:         128
        .size:           4
        .value_kind:     by_value
      - .offset:         132
        .size:           4
        .value_kind:     by_value
      - .offset:         136
        .size:           4
        .value_kind:     by_value
      - .offset:         144
        .size:           4
        .value_kind:     hidden_block_count_x
      - .offset:         148
        .size:           4
        .value_kind:     hidden_block_count_y
      - .offset:         152
        .size:           4
        .value_kind:     hidden_block_count_z
      - .offset:         156
        .size:           2
        .value_kind:     hidden_group_size_x
      - .offset:         158
        .size:           2
        .value_kind:     hidden_group_size_y
      - .offset:         160
        .size:           2
        .value_kind:     hidden_group_size_z
      - .offset:         162
        .size:           2
        .value_kind:     hidden_remainder_x
      - .offset:         164
        .size:           2
        .value_kind:     hidden_remainder_y
      - .offset:         166
        .size:           2
        .value_kind:     hidden_remainder_z
      - .offset:         184
        .size:           8
        .value_kind:     hidden_global_offset_x
      - .offset:         192
        .size:           8
        .value_kind:     hidden_global_offset_y
      - .offset:         200
        .size:           8
        .value_kind:     hidden_global_offset_z
      - .offset:         208
        .size:           2
        .value_kind:     hidden_grid_dims
      - .offset:         264
        .size:           4
        .value_kind:     hidden_dynamic_lds_size
    .group_segment_fixed_size: 400
    .kernarg_segment_align: 8
    .kernarg_segment_size: 400
    .language:       OpenCL C
    .language_version:
      - 2
      - 0
    .max_flat_workgroup_size: 1024
    .name:           _ZN4vllm25paged_attention_v2_kernelI14__hip_bfloat16hLi192ELi8ELi128ELNS_18Fp8KVCacheDataTypeE1ELb1ELi512EEEvPfS3_PT_PKS4_PKT0_SA_ifPKiSC_iPKfiiiSE_SE_iiiii
    .private_segment_fixed_size: 0
    .sgpr_count:     65
    .sgpr_spill_count: 0
    .symbol:         _ZN4vllm25paged_attention_v2_kernelI14__hip_bfloat16hLi192ELi8ELi128ELNS_18Fp8KVCacheDataTypeE1ELb1ELi512EEEvPfS3_PT_PKS4_PKT0_SA_ifPKiSC_iPKfiiiSE_SE_iiiii.kd
    .uniform_work_group_size: 1
    .uses_dynamic_stack: false
    .vgpr_count:     71
    .vgpr_spill_count: 0
    .wavefront_size: 64
  - .agpr_count:     0
    .args:
      - .actual_access:  write_only
        .address_space:  global
        .offset:         0
        .size:           8
        .value_kind:     global_buffer
      - .actual_access:  write_only
        .address_space:  global
        .offset:         8
        .size:           8
        .value_kind:     global_buffer
      - .actual_access:  write_only
        .address_space:  global
        .offset:         16
        .size:           8
        .value_kind:     global_buffer
      - .actual_access:  read_only
        .address_space:  global
        .offset:         24
        .size:           8
        .value_kind:     global_buffer
      - .actual_access:  read_only
        .address_space:  global
        .offset:         32
        .size:           8
        .value_kind:     global_buffer
      - .actual_access:  read_only
        .address_space:  global
        .offset:         40
        .size:           8
        .value_kind:     global_buffer
      - .offset:         48
        .size:           4
        .value_kind:     by_value
      - .offset:         52
        .size:           4
        .value_kind:     by_value
      - .actual_access:  read_only
        .address_space:  global
        .offset:         56
        .size:           8
        .value_kind:     global_buffer
      - .actual_access:  read_only
        .address_space:  global
        .offset:         64
        .size:           8
        .value_kind:     global_buffer
      - .offset:         72
        .size:           4
        .value_kind:     by_value
      - .actual_access:  read_only
        .address_space:  global
        .offset:         80
        .size:           8
        .value_kind:     global_buffer
      - .offset:         88
        .size:           4
        .value_kind:     by_value
      - .offset:         92
        .size:           4
        .value_kind:     by_value
      - .offset:         96
        .size:           4
        .value_kind:     by_value
      - .address_space:  global
        .offset:         104
        .size:           8
        .value_kind:     global_buffer
      - .address_space:  global
        .offset:         112
        .size:           8
        .value_kind:     global_buffer
      - .offset:         120
        .size:           4
        .value_kind:     by_value
      - .offset:         124
        .size:           4
        .value_kind:     by_value
      - .offset:         128
        .size:           4
        .value_kind:     by_value
      - .offset:         132
        .size:           4
        .value_kind:     by_value
      - .offset:         136
        .size:           4
        .value_kind:     by_value
      - .offset:         144
        .size:           4
        .value_kind:     hidden_block_count_x
      - .offset:         148
        .size:           4
        .value_kind:     hidden_block_count_y
      - .offset:         152
        .size:           4
        .value_kind:     hidden_block_count_z
      - .offset:         156
        .size:           2
        .value_kind:     hidden_group_size_x
      - .offset:         158
        .size:           2
        .value_kind:     hidden_group_size_y
      - .offset:         160
        .size:           2
        .value_kind:     hidden_group_size_z
      - .offset:         162
        .size:           2
        .value_kind:     hidden_remainder_x
      - .offset:         164
        .size:           2
        .value_kind:     hidden_remainder_y
      - .offset:         166
        .size:           2
        .value_kind:     hidden_remainder_z
      - .offset:         184
        .size:           8
        .value_kind:     hidden_global_offset_x
      - .offset:         192
        .size:           8
        .value_kind:     hidden_global_offset_y
      - .offset:         200
        .size:           8
        .value_kind:     hidden_global_offset_z
      - .offset:         208
        .size:           2
        .value_kind:     hidden_grid_dims
      - .offset:         264
        .size:           4
        .value_kind:     hidden_dynamic_lds_size
    .group_segment_fixed_size: 528
    .kernarg_segment_align: 8
    .kernarg_segment_size: 400
    .language:       OpenCL C
    .language_version:
      - 2
      - 0
    .max_flat_workgroup_size: 1024
    .name:           _ZN4vllm25paged_attention_v2_kernelI14__hip_bfloat16hLi256ELi8ELi128ELNS_18Fp8KVCacheDataTypeE1ELb1ELi512EEEvPfS3_PT_PKS4_PKT0_SA_ifPKiSC_iPKfiiiSE_SE_iiiii
    .private_segment_fixed_size: 0
    .sgpr_count:     65
    .sgpr_spill_count: 0
    .symbol:         _ZN4vllm25paged_attention_v2_kernelI14__hip_bfloat16hLi256ELi8ELi128ELNS_18Fp8KVCacheDataTypeE1ELb1ELi512EEEvPfS3_PT_PKS4_PKT0_SA_ifPKiSC_iPKfiiiSE_SE_iiiii.kd
    .uniform_work_group_size: 1
    .uses_dynamic_stack: false
    .vgpr_count:     88
    .vgpr_spill_count: 0
    .wavefront_size: 64
  - .agpr_count:     0
    .args:
      - .actual_access:  write_only
        .address_space:  global
        .offset:         0
        .size:           8
        .value_kind:     global_buffer
      - .actual_access:  write_only
        .address_space:  global
        .offset:         8
        .size:           8
        .value_kind:     global_buffer
      - .actual_access:  write_only
        .address_space:  global
        .offset:         16
        .size:           8
        .value_kind:     global_buffer
      - .actual_access:  read_only
        .address_space:  global
        .offset:         24
        .size:           8
        .value_kind:     global_buffer
      - .actual_access:  read_only
        .address_space:  global
        .offset:         32
        .size:           8
        .value_kind:     global_buffer
      - .actual_access:  read_only
        .address_space:  global
        .offset:         40
        .size:           8
        .value_kind:     global_buffer
      - .offset:         48
        .size:           4
        .value_kind:     by_value
      - .offset:         52
        .size:           4
        .value_kind:     by_value
      - .actual_access:  read_only
        .address_space:  global
        .offset:         56
        .size:           8
        .value_kind:     global_buffer
      - .actual_access:  read_only
        .address_space:  global
        .offset:         64
        .size:           8
        .value_kind:     global_buffer
      - .offset:         72
        .size:           4
        .value_kind:     by_value
      - .actual_access:  read_only
        .address_space:  global
        .offset:         80
        .size:           8
        .value_kind:     global_buffer
      - .offset:         88
        .size:           4
        .value_kind:     by_value
      - .offset:         92
        .size:           4
        .value_kind:     by_value
      - .offset:         96
        .size:           4
        .value_kind:     by_value
      - .address_space:  global
        .offset:         104
        .size:           8
        .value_kind:     global_buffer
      - .address_space:  global
        .offset:         112
        .size:           8
        .value_kind:     global_buffer
      - .offset:         120
        .size:           4
        .value_kind:     by_value
      - .offset:         124
        .size:           4
        .value_kind:     by_value
      - .offset:         128
        .size:           4
        .value_kind:     by_value
      - .offset:         132
        .size:           4
        .value_kind:     by_value
      - .offset:         136
        .size:           4
        .value_kind:     by_value
      - .offset:         144
        .size:           4
        .value_kind:     hidden_block_count_x
      - .offset:         148
        .size:           4
        .value_kind:     hidden_block_count_y
      - .offset:         152
        .size:           4
        .value_kind:     hidden_block_count_z
      - .offset:         156
        .size:           2
        .value_kind:     hidden_group_size_x
      - .offset:         158
        .size:           2
        .value_kind:     hidden_group_size_y
      - .offset:         160
        .size:           2
        .value_kind:     hidden_group_size_z
      - .offset:         162
        .size:           2
        .value_kind:     hidden_remainder_x
      - .offset:         164
        .size:           2
        .value_kind:     hidden_remainder_y
      - .offset:         166
        .size:           2
        .value_kind:     hidden_remainder_z
      - .offset:         184
        .size:           8
        .value_kind:     hidden_global_offset_x
      - .offset:         192
        .size:           8
        .value_kind:     hidden_global_offset_y
      - .offset:         200
        .size:           8
        .value_kind:     hidden_global_offset_z
      - .offset:         208
        .size:           2
        .value_kind:     hidden_grid_dims
      - .offset:         264
        .size:           4
        .value_kind:     hidden_dynamic_lds_size
    .group_segment_fixed_size: 80
    .kernarg_segment_align: 8
    .kernarg_segment_size: 400
    .language:       OpenCL C
    .language_version:
      - 2
      - 0
    .max_flat_workgroup_size: 1024
    .name:           _ZN4vllm25paged_attention_v2_kernelI14__hip_bfloat16hLi32ELi8ELi128ELNS_18Fp8KVCacheDataTypeE1ELb0ELi512EEEvPfS3_PT_PKS4_PKT0_SA_ifPKiSC_iPKfiiiSE_SE_iiiii
    .private_segment_fixed_size: 0
    .sgpr_count:     53
    .sgpr_spill_count: 0
    .symbol:         _ZN4vllm25paged_attention_v2_kernelI14__hip_bfloat16hLi32ELi8ELi128ELNS_18Fp8KVCacheDataTypeE1ELb0ELi512EEEvPfS3_PT_PKS4_PKT0_SA_ifPKiSC_iPKfiiiSE_SE_iiiii.kd
    .uniform_work_group_size: 1
    .uses_dynamic_stack: false
    .vgpr_count:     30
    .vgpr_spill_count: 0
    .wavefront_size: 64
  - .agpr_count:     0
    .args:
      - .actual_access:  write_only
        .address_space:  global
        .offset:         0
        .size:           8
        .value_kind:     global_buffer
      - .actual_access:  write_only
        .address_space:  global
        .offset:         8
        .size:           8
        .value_kind:     global_buffer
      - .actual_access:  write_only
        .address_space:  global
        .offset:         16
        .size:           8
        .value_kind:     global_buffer
      - .actual_access:  read_only
        .address_space:  global
        .offset:         24
        .size:           8
        .value_kind:     global_buffer
      - .actual_access:  read_only
        .address_space:  global
        .offset:         32
        .size:           8
        .value_kind:     global_buffer
      - .actual_access:  read_only
        .address_space:  global
        .offset:         40
        .size:           8
        .value_kind:     global_buffer
      - .offset:         48
        .size:           4
        .value_kind:     by_value
      - .offset:         52
        .size:           4
        .value_kind:     by_value
      - .actual_access:  read_only
        .address_space:  global
        .offset:         56
        .size:           8
        .value_kind:     global_buffer
      - .actual_access:  read_only
        .address_space:  global
        .offset:         64
        .size:           8
        .value_kind:     global_buffer
      - .offset:         72
        .size:           4
        .value_kind:     by_value
      - .actual_access:  read_only
        .address_space:  global
        .offset:         80
        .size:           8
        .value_kind:     global_buffer
      - .offset:         88
        .size:           4
        .value_kind:     by_value
      - .offset:         92
        .size:           4
        .value_kind:     by_value
      - .offset:         96
        .size:           4
        .value_kind:     by_value
      - .address_space:  global
        .offset:         104
        .size:           8
        .value_kind:     global_buffer
      - .address_space:  global
        .offset:         112
        .size:           8
        .value_kind:     global_buffer
      - .offset:         120
        .size:           4
        .value_kind:     by_value
      - .offset:         124
        .size:           4
        .value_kind:     by_value
      - .offset:         128
        .size:           4
        .value_kind:     by_value
      - .offset:         132
        .size:           4
        .value_kind:     by_value
      - .offset:         136
        .size:           4
        .value_kind:     by_value
      - .offset:         144
        .size:           4
        .value_kind:     hidden_block_count_x
      - .offset:         148
        .size:           4
        .value_kind:     hidden_block_count_y
      - .offset:         152
        .size:           4
        .value_kind:     hidden_block_count_z
      - .offset:         156
        .size:           2
        .value_kind:     hidden_group_size_x
      - .offset:         158
        .size:           2
        .value_kind:     hidden_group_size_y
      - .offset:         160
        .size:           2
        .value_kind:     hidden_group_size_z
      - .offset:         162
        .size:           2
        .value_kind:     hidden_remainder_x
      - .offset:         164
        .size:           2
        .value_kind:     hidden_remainder_y
      - .offset:         166
        .size:           2
        .value_kind:     hidden_remainder_z
      - .offset:         184
        .size:           8
        .value_kind:     hidden_global_offset_x
      - .offset:         192
        .size:           8
        .value_kind:     hidden_global_offset_y
      - .offset:         200
        .size:           8
        .value_kind:     hidden_global_offset_z
      - .offset:         208
        .size:           2
        .value_kind:     hidden_grid_dims
      - .offset:         264
        .size:           4
        .value_kind:     hidden_dynamic_lds_size
    .group_segment_fixed_size: 144
    .kernarg_segment_align: 8
    .kernarg_segment_size: 400
    .language:       OpenCL C
    .language_version:
      - 2
      - 0
    .max_flat_workgroup_size: 1024
    .name:           _ZN4vllm25paged_attention_v2_kernelI14__hip_bfloat16hLi64ELi8ELi128ELNS_18Fp8KVCacheDataTypeE1ELb0ELi512EEEvPfS3_PT_PKS4_PKT0_SA_ifPKiSC_iPKfiiiSE_SE_iiiii
    .private_segment_fixed_size: 0
    .sgpr_count:     55
    .sgpr_spill_count: 0
    .symbol:         _ZN4vllm25paged_attention_v2_kernelI14__hip_bfloat16hLi64ELi8ELi128ELNS_18Fp8KVCacheDataTypeE1ELb0ELi512EEEvPfS3_PT_PKS4_PKT0_SA_ifPKiSC_iPKfiiiSE_SE_iiiii.kd
    .uniform_work_group_size: 1
    .uses_dynamic_stack: false
    .vgpr_count:     38
    .vgpr_spill_count: 0
    .wavefront_size: 64
  - .agpr_count:     0
    .args:
      - .actual_access:  write_only
        .address_space:  global
        .offset:         0
        .size:           8
        .value_kind:     global_buffer
      - .actual_access:  write_only
        .address_space:  global
        .offset:         8
        .size:           8
        .value_kind:     global_buffer
      - .actual_access:  write_only
        .address_space:  global
        .offset:         16
        .size:           8
        .value_kind:     global_buffer
      - .actual_access:  read_only
        .address_space:  global
        .offset:         24
        .size:           8
        .value_kind:     global_buffer
      - .actual_access:  read_only
        .address_space:  global
        .offset:         32
        .size:           8
        .value_kind:     global_buffer
      - .actual_access:  read_only
        .address_space:  global
        .offset:         40
        .size:           8
        .value_kind:     global_buffer
      - .offset:         48
        .size:           4
        .value_kind:     by_value
      - .offset:         52
        .size:           4
        .value_kind:     by_value
      - .actual_access:  read_only
        .address_space:  global
        .offset:         56
        .size:           8
        .value_kind:     global_buffer
      - .actual_access:  read_only
        .address_space:  global
        .offset:         64
        .size:           8
        .value_kind:     global_buffer
      - .offset:         72
        .size:           4
        .value_kind:     by_value
      - .actual_access:  read_only
        .address_space:  global
        .offset:         80
        .size:           8
        .value_kind:     global_buffer
      - .offset:         88
        .size:           4
        .value_kind:     by_value
      - .offset:         92
        .size:           4
        .value_kind:     by_value
      - .offset:         96
        .size:           4
        .value_kind:     by_value
      - .address_space:  global
        .offset:         104
        .size:           8
        .value_kind:     global_buffer
      - .address_space:  global
        .offset:         112
        .size:           8
        .value_kind:     global_buffer
      - .offset:         120
        .size:           4
        .value_kind:     by_value
      - .offset:         124
        .size:           4
        .value_kind:     by_value
      - .offset:         128
        .size:           4
        .value_kind:     by_value
      - .offset:         132
        .size:           4
        .value_kind:     by_value
      - .offset:         136
        .size:           4
        .value_kind:     by_value
      - .offset:         144
        .size:           4
        .value_kind:     hidden_block_count_x
      - .offset:         148
        .size:           4
        .value_kind:     hidden_block_count_y
      - .offset:         152
        .size:           4
        .value_kind:     hidden_block_count_z
      - .offset:         156
        .size:           2
        .value_kind:     hidden_group_size_x
      - .offset:         158
        .size:           2
        .value_kind:     hidden_group_size_y
      - .offset:         160
        .size:           2
        .value_kind:     hidden_group_size_z
      - .offset:         162
        .size:           2
        .value_kind:     hidden_remainder_x
      - .offset:         164
        .size:           2
        .value_kind:     hidden_remainder_y
      - .offset:         166
        .size:           2
        .value_kind:     hidden_remainder_z
      - .offset:         184
        .size:           8
        .value_kind:     hidden_global_offset_x
      - .offset:         192
        .size:           8
        .value_kind:     hidden_global_offset_y
      - .offset:         200
        .size:           8
        .value_kind:     hidden_global_offset_z
      - .offset:         208
        .size:           2
        .value_kind:     hidden_grid_dims
      - .offset:         264
        .size:           4
        .value_kind:     hidden_dynamic_lds_size
    .group_segment_fixed_size: 176
    .kernarg_segment_align: 8
    .kernarg_segment_size: 400
    .language:       OpenCL C
    .language_version:
      - 2
      - 0
    .max_flat_workgroup_size: 1024
    .name:           _ZN4vllm25paged_attention_v2_kernelI14__hip_bfloat16hLi80ELi8ELi128ELNS_18Fp8KVCacheDataTypeE1ELb0ELi512EEEvPfS3_PT_PKS4_PKT0_SA_ifPKiSC_iPKfiiiSE_SE_iiiii
    .private_segment_fixed_size: 0
    .sgpr_count:     55
    .sgpr_spill_count: 0
    .symbol:         _ZN4vllm25paged_attention_v2_kernelI14__hip_bfloat16hLi80ELi8ELi128ELNS_18Fp8KVCacheDataTypeE1ELb0ELi512EEEvPfS3_PT_PKS4_PKT0_SA_ifPKiSC_iPKfiiiSE_SE_iiiii.kd
    .uniform_work_group_size: 1
    .uses_dynamic_stack: false
    .vgpr_count:     43
    .vgpr_spill_count: 0
    .wavefront_size: 64
  - .agpr_count:     0
    .args:
      - .actual_access:  write_only
        .address_space:  global
        .offset:         0
        .size:           8
        .value_kind:     global_buffer
      - .actual_access:  write_only
        .address_space:  global
        .offset:         8
        .size:           8
        .value_kind:     global_buffer
      - .actual_access:  write_only
        .address_space:  global
        .offset:         16
        .size:           8
        .value_kind:     global_buffer
      - .actual_access:  read_only
        .address_space:  global
        .offset:         24
        .size:           8
        .value_kind:     global_buffer
      - .actual_access:  read_only
        .address_space:  global
        .offset:         32
        .size:           8
        .value_kind:     global_buffer
      - .actual_access:  read_only
        .address_space:  global
        .offset:         40
        .size:           8
        .value_kind:     global_buffer
      - .offset:         48
        .size:           4
        .value_kind:     by_value
      - .offset:         52
        .size:           4
        .value_kind:     by_value
      - .actual_access:  read_only
        .address_space:  global
        .offset:         56
        .size:           8
        .value_kind:     global_buffer
      - .actual_access:  read_only
        .address_space:  global
        .offset:         64
        .size:           8
        .value_kind:     global_buffer
      - .offset:         72
        .size:           4
        .value_kind:     by_value
      - .actual_access:  read_only
        .address_space:  global
        .offset:         80
        .size:           8
        .value_kind:     global_buffer
      - .offset:         88
        .size:           4
        .value_kind:     by_value
      - .offset:         92
        .size:           4
        .value_kind:     by_value
      - .offset:         96
        .size:           4
        .value_kind:     by_value
      - .address_space:  global
        .offset:         104
        .size:           8
        .value_kind:     global_buffer
      - .address_space:  global
        .offset:         112
        .size:           8
        .value_kind:     global_buffer
      - .offset:         120
        .size:           4
        .value_kind:     by_value
      - .offset:         124
        .size:           4
        .value_kind:     by_value
      - .offset:         128
        .size:           4
        .value_kind:     by_value
      - .offset:         132
        .size:           4
        .value_kind:     by_value
      - .offset:         136
        .size:           4
        .value_kind:     by_value
      - .offset:         144
        .size:           4
        .value_kind:     hidden_block_count_x
      - .offset:         148
        .size:           4
        .value_kind:     hidden_block_count_y
      - .offset:         152
        .size:           4
        .value_kind:     hidden_block_count_z
      - .offset:         156
        .size:           2
        .value_kind:     hidden_group_size_x
      - .offset:         158
        .size:           2
        .value_kind:     hidden_group_size_y
      - .offset:         160
        .size:           2
        .value_kind:     hidden_group_size_z
      - .offset:         162
        .size:           2
        .value_kind:     hidden_remainder_x
      - .offset:         164
        .size:           2
        .value_kind:     hidden_remainder_y
      - .offset:         166
        .size:           2
        .value_kind:     hidden_remainder_z
      - .offset:         184
        .size:           8
        .value_kind:     hidden_global_offset_x
      - .offset:         192
        .size:           8
        .value_kind:     hidden_global_offset_y
      - .offset:         200
        .size:           8
        .value_kind:     hidden_global_offset_z
      - .offset:         208
        .size:           2
        .value_kind:     hidden_grid_dims
      - .offset:         264
        .size:           4
        .value_kind:     hidden_dynamic_lds_size
    .group_segment_fixed_size: 208
    .kernarg_segment_align: 8
    .kernarg_segment_size: 400
    .language:       OpenCL C
    .language_version:
      - 2
      - 0
    .max_flat_workgroup_size: 1024
    .name:           _ZN4vllm25paged_attention_v2_kernelI14__hip_bfloat16hLi96ELi8ELi128ELNS_18Fp8KVCacheDataTypeE1ELb0ELi512EEEvPfS3_PT_PKS4_PKT0_SA_ifPKiSC_iPKfiiiSE_SE_iiiii
    .private_segment_fixed_size: 0
    .sgpr_count:     55
    .sgpr_spill_count: 0
    .symbol:         _ZN4vllm25paged_attention_v2_kernelI14__hip_bfloat16hLi96ELi8ELi128ELNS_18Fp8KVCacheDataTypeE1ELb0ELi512EEEvPfS3_PT_PKS4_PKT0_SA_ifPKiSC_iPKfiiiSE_SE_iiiii.kd
    .uniform_work_group_size: 1
    .uses_dynamic_stack: false
    .vgpr_count:     47
    .vgpr_spill_count: 0
    .wavefront_size: 64
  - .agpr_count:     0
    .args:
      - .actual_access:  write_only
        .address_space:  global
        .offset:         0
        .size:           8
        .value_kind:     global_buffer
      - .actual_access:  write_only
        .address_space:  global
        .offset:         8
        .size:           8
        .value_kind:     global_buffer
      - .actual_access:  write_only
        .address_space:  global
        .offset:         16
        .size:           8
        .value_kind:     global_buffer
      - .actual_access:  read_only
        .address_space:  global
        .offset:         24
        .size:           8
        .value_kind:     global_buffer
      - .actual_access:  read_only
        .address_space:  global
        .offset:         32
        .size:           8
        .value_kind:     global_buffer
      - .actual_access:  read_only
        .address_space:  global
        .offset:         40
        .size:           8
        .value_kind:     global_buffer
      - .offset:         48
        .size:           4
        .value_kind:     by_value
      - .offset:         52
        .size:           4
        .value_kind:     by_value
      - .actual_access:  read_only
        .address_space:  global
        .offset:         56
        .size:           8
        .value_kind:     global_buffer
      - .actual_access:  read_only
        .address_space:  global
        .offset:         64
        .size:           8
        .value_kind:     global_buffer
      - .offset:         72
        .size:           4
        .value_kind:     by_value
      - .actual_access:  read_only
        .address_space:  global
        .offset:         80
        .size:           8
        .value_kind:     global_buffer
      - .offset:         88
        .size:           4
        .value_kind:     by_value
      - .offset:         92
        .size:           4
        .value_kind:     by_value
      - .offset:         96
        .size:           4
        .value_kind:     by_value
      - .address_space:  global
        .offset:         104
        .size:           8
        .value_kind:     global_buffer
      - .address_space:  global
        .offset:         112
        .size:           8
        .value_kind:     global_buffer
      - .offset:         120
        .size:           4
        .value_kind:     by_value
      - .offset:         124
        .size:           4
        .value_kind:     by_value
      - .offset:         128
        .size:           4
        .value_kind:     by_value
      - .offset:         132
        .size:           4
        .value_kind:     by_value
      - .offset:         136
        .size:           4
        .value_kind:     by_value
      - .offset:         144
        .size:           4
        .value_kind:     hidden_block_count_x
      - .offset:         148
        .size:           4
        .value_kind:     hidden_block_count_y
      - .offset:         152
        .size:           4
        .value_kind:     hidden_block_count_z
      - .offset:         156
        .size:           2
        .value_kind:     hidden_group_size_x
      - .offset:         158
        .size:           2
        .value_kind:     hidden_group_size_y
      - .offset:         160
        .size:           2
        .value_kind:     hidden_group_size_z
      - .offset:         162
        .size:           2
        .value_kind:     hidden_remainder_x
      - .offset:         164
        .size:           2
        .value_kind:     hidden_remainder_y
      - .offset:         166
        .size:           2
        .value_kind:     hidden_remainder_z
      - .offset:         184
        .size:           8
        .value_kind:     hidden_global_offset_x
      - .offset:         192
        .size:           8
        .value_kind:     hidden_global_offset_y
      - .offset:         200
        .size:           8
        .value_kind:     hidden_global_offset_z
      - .offset:         208
        .size:           2
        .value_kind:     hidden_grid_dims
      - .offset:         264
        .size:           4
        .value_kind:     hidden_dynamic_lds_size
    .group_segment_fixed_size: 240
    .kernarg_segment_align: 8
    .kernarg_segment_size: 400
    .language:       OpenCL C
    .language_version:
      - 2
      - 0
    .max_flat_workgroup_size: 1024
    .name:           _ZN4vllm25paged_attention_v2_kernelI14__hip_bfloat16hLi112ELi8ELi128ELNS_18Fp8KVCacheDataTypeE1ELb0ELi512EEEvPfS3_PT_PKS4_PKT0_SA_ifPKiSC_iPKfiiiSE_SE_iiiii
    .private_segment_fixed_size: 0
    .sgpr_count:     55
    .sgpr_spill_count: 0
    .symbol:         _ZN4vllm25paged_attention_v2_kernelI14__hip_bfloat16hLi112ELi8ELi128ELNS_18Fp8KVCacheDataTypeE1ELb0ELi512EEEvPfS3_PT_PKS4_PKT0_SA_ifPKiSC_iPKfiiiSE_SE_iiiii.kd
    .uniform_work_group_size: 1
    .uses_dynamic_stack: false
    .vgpr_count:     51
    .vgpr_spill_count: 0
    .wavefront_size: 64
  - .agpr_count:     0
    .args:
      - .actual_access:  write_only
        .address_space:  global
        .offset:         0
        .size:           8
        .value_kind:     global_buffer
      - .actual_access:  write_only
        .address_space:  global
        .offset:         8
        .size:           8
        .value_kind:     global_buffer
      - .actual_access:  write_only
        .address_space:  global
        .offset:         16
        .size:           8
        .value_kind:     global_buffer
      - .actual_access:  read_only
        .address_space:  global
        .offset:         24
        .size:           8
        .value_kind:     global_buffer
      - .actual_access:  read_only
        .address_space:  global
        .offset:         32
        .size:           8
        .value_kind:     global_buffer
      - .actual_access:  read_only
        .address_space:  global
        .offset:         40
        .size:           8
        .value_kind:     global_buffer
      - .offset:         48
        .size:           4
        .value_kind:     by_value
      - .offset:         52
        .size:           4
        .value_kind:     by_value
      - .actual_access:  read_only
        .address_space:  global
        .offset:         56
        .size:           8
        .value_kind:     global_buffer
      - .actual_access:  read_only
        .address_space:  global
        .offset:         64
        .size:           8
        .value_kind:     global_buffer
      - .offset:         72
        .size:           4
        .value_kind:     by_value
      - .actual_access:  read_only
        .address_space:  global
        .offset:         80
        .size:           8
        .value_kind:     global_buffer
      - .offset:         88
        .size:           4
        .value_kind:     by_value
      - .offset:         92
        .size:           4
        .value_kind:     by_value
      - .offset:         96
        .size:           4
        .value_kind:     by_value
      - .address_space:  global
        .offset:         104
        .size:           8
        .value_kind:     global_buffer
      - .address_space:  global
        .offset:         112
        .size:           8
        .value_kind:     global_buffer
      - .offset:         120
        .size:           4
        .value_kind:     by_value
      - .offset:         124
        .size:           4
        .value_kind:     by_value
      - .offset:         128
        .size:           4
        .value_kind:     by_value
      - .offset:         132
        .size:           4
        .value_kind:     by_value
      - .offset:         136
        .size:           4
        .value_kind:     by_value
      - .offset:         144
        .size:           4
        .value_kind:     hidden_block_count_x
      - .offset:         148
        .size:           4
        .value_kind:     hidden_block_count_y
      - .offset:         152
        .size:           4
        .value_kind:     hidden_block_count_z
      - .offset:         156
        .size:           2
        .value_kind:     hidden_group_size_x
      - .offset:         158
        .size:           2
        .value_kind:     hidden_group_size_y
      - .offset:         160
        .size:           2
        .value_kind:     hidden_group_size_z
      - .offset:         162
        .size:           2
        .value_kind:     hidden_remainder_x
      - .offset:         164
        .size:           2
        .value_kind:     hidden_remainder_y
      - .offset:         166
        .size:           2
        .value_kind:     hidden_remainder_z
      - .offset:         184
        .size:           8
        .value_kind:     hidden_global_offset_x
      - .offset:         192
        .size:           8
        .value_kind:     hidden_global_offset_y
      - .offset:         200
        .size:           8
        .value_kind:     hidden_global_offset_z
      - .offset:         208
        .size:           2
        .value_kind:     hidden_grid_dims
      - .offset:         264
        .size:           4
        .value_kind:     hidden_dynamic_lds_size
    .group_segment_fixed_size: 256
    .kernarg_segment_align: 8
    .kernarg_segment_size: 400
    .language:       OpenCL C
    .language_version:
      - 2
      - 0
    .max_flat_workgroup_size: 1024
    .name:           _ZN4vllm25paged_attention_v2_kernelI14__hip_bfloat16hLi120ELi8ELi128ELNS_18Fp8KVCacheDataTypeE1ELb0ELi512EEEvPfS3_PT_PKS4_PKT0_SA_ifPKiSC_iPKfiiiSE_SE_iiiii
    .private_segment_fixed_size: 0
    .sgpr_count:     55
    .sgpr_spill_count: 0
    .symbol:         _ZN4vllm25paged_attention_v2_kernelI14__hip_bfloat16hLi120ELi8ELi128ELNS_18Fp8KVCacheDataTypeE1ELb0ELi512EEEvPfS3_PT_PKS4_PKT0_SA_ifPKiSC_iPKfiiiSE_SE_iiiii.kd
    .uniform_work_group_size: 1
    .uses_dynamic_stack: false
    .vgpr_count:     53
    .vgpr_spill_count: 0
    .wavefront_size: 64
  - .agpr_count:     0
    .args:
      - .actual_access:  write_only
        .address_space:  global
        .offset:         0
        .size:           8
        .value_kind:     global_buffer
      - .actual_access:  write_only
        .address_space:  global
        .offset:         8
        .size:           8
        .value_kind:     global_buffer
      - .actual_access:  write_only
        .address_space:  global
        .offset:         16
        .size:           8
        .value_kind:     global_buffer
      - .actual_access:  read_only
        .address_space:  global
        .offset:         24
        .size:           8
        .value_kind:     global_buffer
      - .actual_access:  read_only
        .address_space:  global
        .offset:         32
        .size:           8
        .value_kind:     global_buffer
      - .actual_access:  read_only
        .address_space:  global
        .offset:         40
        .size:           8
        .value_kind:     global_buffer
      - .offset:         48
        .size:           4
        .value_kind:     by_value
      - .offset:         52
        .size:           4
        .value_kind:     by_value
      - .actual_access:  read_only
        .address_space:  global
        .offset:         56
        .size:           8
        .value_kind:     global_buffer
      - .actual_access:  read_only
        .address_space:  global
        .offset:         64
        .size:           8
        .value_kind:     global_buffer
      - .offset:         72
        .size:           4
        .value_kind:     by_value
      - .actual_access:  read_only
        .address_space:  global
        .offset:         80
        .size:           8
        .value_kind:     global_buffer
      - .offset:         88
        .size:           4
        .value_kind:     by_value
      - .offset:         92
        .size:           4
        .value_kind:     by_value
      - .offset:         96
        .size:           4
        .value_kind:     by_value
      - .address_space:  global
        .offset:         104
        .size:           8
        .value_kind:     global_buffer
      - .address_space:  global
        .offset:         112
        .size:           8
        .value_kind:     global_buffer
      - .offset:         120
        .size:           4
        .value_kind:     by_value
      - .offset:         124
        .size:           4
        .value_kind:     by_value
      - .offset:         128
        .size:           4
        .value_kind:     by_value
      - .offset:         132
        .size:           4
        .value_kind:     by_value
      - .offset:         136
        .size:           4
        .value_kind:     by_value
      - .offset:         144
        .size:           4
        .value_kind:     hidden_block_count_x
      - .offset:         148
        .size:           4
        .value_kind:     hidden_block_count_y
      - .offset:         152
        .size:           4
        .value_kind:     hidden_block_count_z
      - .offset:         156
        .size:           2
        .value_kind:     hidden_group_size_x
      - .offset:         158
        .size:           2
        .value_kind:     hidden_group_size_y
      - .offset:         160
        .size:           2
        .value_kind:     hidden_group_size_z
      - .offset:         162
        .size:           2
        .value_kind:     hidden_remainder_x
      - .offset:         164
        .size:           2
        .value_kind:     hidden_remainder_y
      - .offset:         166
        .size:           2
        .value_kind:     hidden_remainder_z
      - .offset:         184
        .size:           8
        .value_kind:     hidden_global_offset_x
      - .offset:         192
        .size:           8
        .value_kind:     hidden_global_offset_y
      - .offset:         200
        .size:           8
        .value_kind:     hidden_global_offset_z
      - .offset:         208
        .size:           2
        .value_kind:     hidden_grid_dims
      - .offset:         264
        .size:           4
        .value_kind:     hidden_dynamic_lds_size
    .group_segment_fixed_size: 272
    .kernarg_segment_align: 8
    .kernarg_segment_size: 400
    .language:       OpenCL C
    .language_version:
      - 2
      - 0
    .max_flat_workgroup_size: 1024
    .name:           _ZN4vllm25paged_attention_v2_kernelI14__hip_bfloat16hLi128ELi8ELi128ELNS_18Fp8KVCacheDataTypeE1ELb0ELi512EEEvPfS3_PT_PKS4_PKT0_SA_ifPKiSC_iPKfiiiSE_SE_iiiii
    .private_segment_fixed_size: 0
    .sgpr_count:     53
    .sgpr_spill_count: 0
    .symbol:         _ZN4vllm25paged_attention_v2_kernelI14__hip_bfloat16hLi128ELi8ELi128ELNS_18Fp8KVCacheDataTypeE1ELb0ELi512EEEvPfS3_PT_PKS4_PKT0_SA_ifPKiSC_iPKfiiiSE_SE_iiiii.kd
    .uniform_work_group_size: 1
    .uses_dynamic_stack: false
    .vgpr_count:     55
    .vgpr_spill_count: 0
    .wavefront_size: 64
  - .agpr_count:     0
    .args:
      - .actual_access:  write_only
        .address_space:  global
        .offset:         0
        .size:           8
        .value_kind:     global_buffer
      - .actual_access:  write_only
        .address_space:  global
        .offset:         8
        .size:           8
        .value_kind:     global_buffer
      - .actual_access:  write_only
        .address_space:  global
        .offset:         16
        .size:           8
        .value_kind:     global_buffer
      - .actual_access:  read_only
        .address_space:  global
        .offset:         24
        .size:           8
        .value_kind:     global_buffer
      - .actual_access:  read_only
        .address_space:  global
        .offset:         32
        .size:           8
        .value_kind:     global_buffer
      - .actual_access:  read_only
        .address_space:  global
        .offset:         40
        .size:           8
        .value_kind:     global_buffer
      - .offset:         48
        .size:           4
        .value_kind:     by_value
      - .offset:         52
        .size:           4
        .value_kind:     by_value
      - .actual_access:  read_only
        .address_space:  global
        .offset:         56
        .size:           8
        .value_kind:     global_buffer
      - .actual_access:  read_only
        .address_space:  global
        .offset:         64
        .size:           8
        .value_kind:     global_buffer
      - .offset:         72
        .size:           4
        .value_kind:     by_value
      - .actual_access:  read_only
        .address_space:  global
        .offset:         80
        .size:           8
        .value_kind:     global_buffer
      - .offset:         88
        .size:           4
        .value_kind:     by_value
      - .offset:         92
        .size:           4
        .value_kind:     by_value
      - .offset:         96
        .size:           4
        .value_kind:     by_value
      - .address_space:  global
        .offset:         104
        .size:           8
        .value_kind:     global_buffer
      - .address_space:  global
        .offset:         112
        .size:           8
        .value_kind:     global_buffer
      - .offset:         120
        .size:           4
        .value_kind:     by_value
      - .offset:         124
        .size:           4
        .value_kind:     by_value
      - .offset:         128
        .size:           4
        .value_kind:     by_value
      - .offset:         132
        .size:           4
        .value_kind:     by_value
      - .offset:         136
        .size:           4
        .value_kind:     by_value
      - .offset:         144
        .size:           4
        .value_kind:     hidden_block_count_x
      - .offset:         148
        .size:           4
        .value_kind:     hidden_block_count_y
      - .offset:         152
        .size:           4
        .value_kind:     hidden_block_count_z
      - .offset:         156
        .size:           2
        .value_kind:     hidden_group_size_x
      - .offset:         158
        .size:           2
        .value_kind:     hidden_group_size_y
      - .offset:         160
        .size:           2
        .value_kind:     hidden_group_size_z
      - .offset:         162
        .size:           2
        .value_kind:     hidden_remainder_x
      - .offset:         164
        .size:           2
        .value_kind:     hidden_remainder_y
      - .offset:         166
        .size:           2
        .value_kind:     hidden_remainder_z
      - .offset:         184
        .size:           8
        .value_kind:     hidden_global_offset_x
      - .offset:         192
        .size:           8
        .value_kind:     hidden_global_offset_y
      - .offset:         200
        .size:           8
        .value_kind:     hidden_global_offset_z
      - .offset:         208
        .size:           2
        .value_kind:     hidden_grid_dims
      - .offset:         264
        .size:           4
        .value_kind:     hidden_dynamic_lds_size
    .group_segment_fixed_size: 400
    .kernarg_segment_align: 8
    .kernarg_segment_size: 400
    .language:       OpenCL C
    .language_version:
      - 2
      - 0
    .max_flat_workgroup_size: 1024
    .name:           _ZN4vllm25paged_attention_v2_kernelI14__hip_bfloat16hLi192ELi8ELi128ELNS_18Fp8KVCacheDataTypeE1ELb0ELi512EEEvPfS3_PT_PKS4_PKT0_SA_ifPKiSC_iPKfiiiSE_SE_iiiii
    .private_segment_fixed_size: 0
    .sgpr_count:     53
    .sgpr_spill_count: 0
    .symbol:         _ZN4vllm25paged_attention_v2_kernelI14__hip_bfloat16hLi192ELi8ELi128ELNS_18Fp8KVCacheDataTypeE1ELb0ELi512EEEvPfS3_PT_PKS4_PKT0_SA_ifPKiSC_iPKfiiiSE_SE_iiiii.kd
    .uniform_work_group_size: 1
    .uses_dynamic_stack: false
    .vgpr_count:     70
    .vgpr_spill_count: 0
    .wavefront_size: 64
  - .agpr_count:     0
    .args:
      - .actual_access:  write_only
        .address_space:  global
        .offset:         0
        .size:           8
        .value_kind:     global_buffer
      - .actual_access:  write_only
        .address_space:  global
        .offset:         8
        .size:           8
        .value_kind:     global_buffer
      - .actual_access:  write_only
        .address_space:  global
        .offset:         16
        .size:           8
        .value_kind:     global_buffer
      - .actual_access:  read_only
        .address_space:  global
        .offset:         24
        .size:           8
        .value_kind:     global_buffer
      - .actual_access:  read_only
        .address_space:  global
        .offset:         32
        .size:           8
        .value_kind:     global_buffer
      - .actual_access:  read_only
        .address_space:  global
        .offset:         40
        .size:           8
        .value_kind:     global_buffer
      - .offset:         48
        .size:           4
        .value_kind:     by_value
      - .offset:         52
        .size:           4
        .value_kind:     by_value
      - .actual_access:  read_only
        .address_space:  global
        .offset:         56
        .size:           8
        .value_kind:     global_buffer
      - .actual_access:  read_only
        .address_space:  global
        .offset:         64
        .size:           8
        .value_kind:     global_buffer
      - .offset:         72
        .size:           4
        .value_kind:     by_value
      - .actual_access:  read_only
        .address_space:  global
        .offset:         80
        .size:           8
        .value_kind:     global_buffer
      - .offset:         88
        .size:           4
        .value_kind:     by_value
      - .offset:         92
        .size:           4
        .value_kind:     by_value
      - .offset:         96
        .size:           4
        .value_kind:     by_value
      - .address_space:  global
        .offset:         104
        .size:           8
        .value_kind:     global_buffer
      - .address_space:  global
        .offset:         112
        .size:           8
        .value_kind:     global_buffer
      - .offset:         120
        .size:           4
        .value_kind:     by_value
      - .offset:         124
        .size:           4
        .value_kind:     by_value
      - .offset:         128
        .size:           4
        .value_kind:     by_value
      - .offset:         132
        .size:           4
        .value_kind:     by_value
      - .offset:         136
        .size:           4
        .value_kind:     by_value
      - .offset:         144
        .size:           4
        .value_kind:     hidden_block_count_x
      - .offset:         148
        .size:           4
        .value_kind:     hidden_block_count_y
      - .offset:         152
        .size:           4
        .value_kind:     hidden_block_count_z
      - .offset:         156
        .size:           2
        .value_kind:     hidden_group_size_x
      - .offset:         158
        .size:           2
        .value_kind:     hidden_group_size_y
      - .offset:         160
        .size:           2
        .value_kind:     hidden_group_size_z
      - .offset:         162
        .size:           2
        .value_kind:     hidden_remainder_x
      - .offset:         164
        .size:           2
        .value_kind:     hidden_remainder_y
      - .offset:         166
        .size:           2
        .value_kind:     hidden_remainder_z
      - .offset:         184
        .size:           8
        .value_kind:     hidden_global_offset_x
      - .offset:         192
        .size:           8
        .value_kind:     hidden_global_offset_y
      - .offset:         200
        .size:           8
        .value_kind:     hidden_global_offset_z
      - .offset:         208
        .size:           2
        .value_kind:     hidden_grid_dims
      - .offset:         264
        .size:           4
        .value_kind:     hidden_dynamic_lds_size
    .group_segment_fixed_size: 528
    .kernarg_segment_align: 8
    .kernarg_segment_size: 400
    .language:       OpenCL C
    .language_version:
      - 2
      - 0
    .max_flat_workgroup_size: 1024
    .name:           _ZN4vllm25paged_attention_v2_kernelI14__hip_bfloat16hLi256ELi8ELi128ELNS_18Fp8KVCacheDataTypeE1ELb0ELi512EEEvPfS3_PT_PKS4_PKT0_SA_ifPKiSC_iPKfiiiSE_SE_iiiii
    .private_segment_fixed_size: 0
    .sgpr_count:     53
    .sgpr_spill_count: 0
    .symbol:         _ZN4vllm25paged_attention_v2_kernelI14__hip_bfloat16hLi256ELi8ELi128ELNS_18Fp8KVCacheDataTypeE1ELb0ELi512EEEvPfS3_PT_PKS4_PKT0_SA_ifPKiSC_iPKfiiiSE_SE_iiiii.kd
    .uniform_work_group_size: 1
    .uses_dynamic_stack: false
    .vgpr_count:     86
    .vgpr_spill_count: 0
    .wavefront_size: 64
  - .agpr_count:     0
    .args:
      - .actual_access:  write_only
        .address_space:  global
        .offset:         0
        .size:           8
        .value_kind:     global_buffer
      - .actual_access:  write_only
        .address_space:  global
        .offset:         8
        .size:           8
        .value_kind:     global_buffer
      - .actual_access:  write_only
        .address_space:  global
        .offset:         16
        .size:           8
        .value_kind:     global_buffer
      - .actual_access:  read_only
        .address_space:  global
        .offset:         24
        .size:           8
        .value_kind:     global_buffer
      - .actual_access:  read_only
        .address_space:  global
        .offset:         32
        .size:           8
        .value_kind:     global_buffer
      - .actual_access:  read_only
        .address_space:  global
        .offset:         40
        .size:           8
        .value_kind:     global_buffer
      - .offset:         48
        .size:           4
        .value_kind:     by_value
      - .offset:         52
        .size:           4
        .value_kind:     by_value
      - .actual_access:  read_only
        .address_space:  global
        .offset:         56
        .size:           8
        .value_kind:     global_buffer
      - .actual_access:  read_only
        .address_space:  global
        .offset:         64
        .size:           8
        .value_kind:     global_buffer
      - .offset:         72
        .size:           4
        .value_kind:     by_value
      - .actual_access:  read_only
        .address_space:  global
        .offset:         80
        .size:           8
        .value_kind:     global_buffer
      - .offset:         88
        .size:           4
        .value_kind:     by_value
      - .offset:         92
        .size:           4
        .value_kind:     by_value
      - .offset:         96
        .size:           4
        .value_kind:     by_value
      - .address_space:  global
        .offset:         104
        .size:           8
        .value_kind:     global_buffer
      - .address_space:  global
        .offset:         112
        .size:           8
        .value_kind:     global_buffer
      - .offset:         120
        .size:           4
        .value_kind:     by_value
      - .offset:         124
        .size:           4
        .value_kind:     by_value
      - .offset:         128
        .size:           4
        .value_kind:     by_value
      - .offset:         132
        .size:           4
        .value_kind:     by_value
      - .offset:         136
        .size:           4
        .value_kind:     by_value
      - .offset:         144
        .size:           4
        .value_kind:     hidden_block_count_x
      - .offset:         148
        .size:           4
        .value_kind:     hidden_block_count_y
      - .offset:         152
        .size:           4
        .value_kind:     hidden_block_count_z
      - .offset:         156
        .size:           2
        .value_kind:     hidden_group_size_x
      - .offset:         158
        .size:           2
        .value_kind:     hidden_group_size_y
      - .offset:         160
        .size:           2
        .value_kind:     hidden_group_size_z
      - .offset:         162
        .size:           2
        .value_kind:     hidden_remainder_x
      - .offset:         164
        .size:           2
        .value_kind:     hidden_remainder_y
      - .offset:         166
        .size:           2
        .value_kind:     hidden_remainder_z
      - .offset:         184
        .size:           8
        .value_kind:     hidden_global_offset_x
      - .offset:         192
        .size:           8
        .value_kind:     hidden_global_offset_y
      - .offset:         200
        .size:           8
        .value_kind:     hidden_global_offset_z
      - .offset:         208
        .size:           2
        .value_kind:     hidden_grid_dims
      - .offset:         264
        .size:           4
        .value_kind:     hidden_dynamic_lds_size
    .group_segment_fixed_size: 80
    .kernarg_segment_align: 8
    .kernarg_segment_size: 400
    .language:       OpenCL C
    .language_version:
      - 2
      - 0
    .max_flat_workgroup_size: 1024
    .name:           _ZN4vllm25paged_attention_v2_kernelI14__hip_bfloat16hLi32ELi16ELi128ELNS_18Fp8KVCacheDataTypeE1ELb1ELi512EEEvPfS3_PT_PKS4_PKT0_SA_ifPKiSC_iPKfiiiSE_SE_iiiii
    .private_segment_fixed_size: 0
    .sgpr_count:     66
    .sgpr_spill_count: 0
    .symbol:         _ZN4vllm25paged_attention_v2_kernelI14__hip_bfloat16hLi32ELi16ELi128ELNS_18Fp8KVCacheDataTypeE1ELb1ELi512EEEvPfS3_PT_PKS4_PKT0_SA_ifPKiSC_iPKfiiiSE_SE_iiiii.kd
    .uniform_work_group_size: 1
    .uses_dynamic_stack: false
    .vgpr_count:     40
    .vgpr_spill_count: 0
    .wavefront_size: 64
  - .agpr_count:     0
    .args:
      - .actual_access:  write_only
        .address_space:  global
        .offset:         0
        .size:           8
        .value_kind:     global_buffer
      - .actual_access:  write_only
        .address_space:  global
        .offset:         8
        .size:           8
        .value_kind:     global_buffer
      - .actual_access:  write_only
        .address_space:  global
        .offset:         16
        .size:           8
        .value_kind:     global_buffer
      - .actual_access:  read_only
        .address_space:  global
        .offset:         24
        .size:           8
        .value_kind:     global_buffer
      - .actual_access:  read_only
        .address_space:  global
        .offset:         32
        .size:           8
        .value_kind:     global_buffer
      - .actual_access:  read_only
        .address_space:  global
        .offset:         40
        .size:           8
        .value_kind:     global_buffer
      - .offset:         48
        .size:           4
        .value_kind:     by_value
      - .offset:         52
        .size:           4
        .value_kind:     by_value
      - .actual_access:  read_only
        .address_space:  global
        .offset:         56
        .size:           8
        .value_kind:     global_buffer
      - .actual_access:  read_only
        .address_space:  global
        .offset:         64
        .size:           8
        .value_kind:     global_buffer
      - .offset:         72
        .size:           4
        .value_kind:     by_value
      - .actual_access:  read_only
        .address_space:  global
        .offset:         80
        .size:           8
        .value_kind:     global_buffer
      - .offset:         88
        .size:           4
        .value_kind:     by_value
      - .offset:         92
        .size:           4
        .value_kind:     by_value
      - .offset:         96
        .size:           4
        .value_kind:     by_value
      - .address_space:  global
        .offset:         104
        .size:           8
        .value_kind:     global_buffer
      - .address_space:  global
        .offset:         112
        .size:           8
        .value_kind:     global_buffer
      - .offset:         120
        .size:           4
        .value_kind:     by_value
      - .offset:         124
        .size:           4
        .value_kind:     by_value
      - .offset:         128
        .size:           4
        .value_kind:     by_value
      - .offset:         132
        .size:           4
        .value_kind:     by_value
      - .offset:         136
        .size:           4
        .value_kind:     by_value
      - .offset:         144
        .size:           4
        .value_kind:     hidden_block_count_x
      - .offset:         148
        .size:           4
        .value_kind:     hidden_block_count_y
      - .offset:         152
        .size:           4
        .value_kind:     hidden_block_count_z
      - .offset:         156
        .size:           2
        .value_kind:     hidden_group_size_x
      - .offset:         158
        .size:           2
        .value_kind:     hidden_group_size_y
      - .offset:         160
        .size:           2
        .value_kind:     hidden_group_size_z
      - .offset:         162
        .size:           2
        .value_kind:     hidden_remainder_x
      - .offset:         164
        .size:           2
        .value_kind:     hidden_remainder_y
      - .offset:         166
        .size:           2
        .value_kind:     hidden_remainder_z
      - .offset:         184
        .size:           8
        .value_kind:     hidden_global_offset_x
      - .offset:         192
        .size:           8
        .value_kind:     hidden_global_offset_y
      - .offset:         200
        .size:           8
        .value_kind:     hidden_global_offset_z
      - .offset:         208
        .size:           2
        .value_kind:     hidden_grid_dims
      - .offset:         264
        .size:           4
        .value_kind:     hidden_dynamic_lds_size
    .group_segment_fixed_size: 144
    .kernarg_segment_align: 8
    .kernarg_segment_size: 400
    .language:       OpenCL C
    .language_version:
      - 2
      - 0
    .max_flat_workgroup_size: 1024
    .name:           _ZN4vllm25paged_attention_v2_kernelI14__hip_bfloat16hLi64ELi16ELi128ELNS_18Fp8KVCacheDataTypeE1ELb1ELi512EEEvPfS3_PT_PKS4_PKT0_SA_ifPKiSC_iPKfiiiSE_SE_iiiii
    .private_segment_fixed_size: 0
    .sgpr_count:     66
    .sgpr_spill_count: 0
    .symbol:         _ZN4vllm25paged_attention_v2_kernelI14__hip_bfloat16hLi64ELi16ELi128ELNS_18Fp8KVCacheDataTypeE1ELb1ELi512EEEvPfS3_PT_PKS4_PKT0_SA_ifPKiSC_iPKfiiiSE_SE_iiiii.kd
    .uniform_work_group_size: 1
    .uses_dynamic_stack: false
    .vgpr_count:     56
    .vgpr_spill_count: 0
    .wavefront_size: 64
  - .agpr_count:     0
    .args:
      - .actual_access:  write_only
        .address_space:  global
        .offset:         0
        .size:           8
        .value_kind:     global_buffer
      - .actual_access:  write_only
        .address_space:  global
        .offset:         8
        .size:           8
        .value_kind:     global_buffer
      - .actual_access:  write_only
        .address_space:  global
        .offset:         16
        .size:           8
        .value_kind:     global_buffer
      - .actual_access:  read_only
        .address_space:  global
        .offset:         24
        .size:           8
        .value_kind:     global_buffer
      - .actual_access:  read_only
        .address_space:  global
        .offset:         32
        .size:           8
        .value_kind:     global_buffer
      - .actual_access:  read_only
        .address_space:  global
        .offset:         40
        .size:           8
        .value_kind:     global_buffer
      - .offset:         48
        .size:           4
        .value_kind:     by_value
      - .offset:         52
        .size:           4
        .value_kind:     by_value
      - .actual_access:  read_only
        .address_space:  global
        .offset:         56
        .size:           8
        .value_kind:     global_buffer
      - .actual_access:  read_only
        .address_space:  global
        .offset:         64
        .size:           8
        .value_kind:     global_buffer
      - .offset:         72
        .size:           4
        .value_kind:     by_value
      - .actual_access:  read_only
        .address_space:  global
        .offset:         80
        .size:           8
        .value_kind:     global_buffer
      - .offset:         88
        .size:           4
        .value_kind:     by_value
      - .offset:         92
        .size:           4
        .value_kind:     by_value
      - .offset:         96
        .size:           4
        .value_kind:     by_value
      - .address_space:  global
        .offset:         104
        .size:           8
        .value_kind:     global_buffer
      - .address_space:  global
        .offset:         112
        .size:           8
        .value_kind:     global_buffer
      - .offset:         120
        .size:           4
        .value_kind:     by_value
      - .offset:         124
        .size:           4
        .value_kind:     by_value
      - .offset:         128
        .size:           4
        .value_kind:     by_value
      - .offset:         132
        .size:           4
        .value_kind:     by_value
      - .offset:         136
        .size:           4
        .value_kind:     by_value
      - .offset:         144
        .size:           4
        .value_kind:     hidden_block_count_x
      - .offset:         148
        .size:           4
        .value_kind:     hidden_block_count_y
      - .offset:         152
        .size:           4
        .value_kind:     hidden_block_count_z
      - .offset:         156
        .size:           2
        .value_kind:     hidden_group_size_x
      - .offset:         158
        .size:           2
        .value_kind:     hidden_group_size_y
      - .offset:         160
        .size:           2
        .value_kind:     hidden_group_size_z
      - .offset:         162
        .size:           2
        .value_kind:     hidden_remainder_x
      - .offset:         164
        .size:           2
        .value_kind:     hidden_remainder_y
      - .offset:         166
        .size:           2
        .value_kind:     hidden_remainder_z
      - .offset:         184
        .size:           8
        .value_kind:     hidden_global_offset_x
      - .offset:         192
        .size:           8
        .value_kind:     hidden_global_offset_y
      - .offset:         200
        .size:           8
        .value_kind:     hidden_global_offset_z
      - .offset:         208
        .size:           2
        .value_kind:     hidden_grid_dims
      - .offset:         264
        .size:           4
        .value_kind:     hidden_dynamic_lds_size
    .group_segment_fixed_size: 176
    .kernarg_segment_align: 8
    .kernarg_segment_size: 400
    .language:       OpenCL C
    .language_version:
      - 2
      - 0
    .max_flat_workgroup_size: 1024
    .name:           _ZN4vllm25paged_attention_v2_kernelI14__hip_bfloat16hLi80ELi16ELi128ELNS_18Fp8KVCacheDataTypeE1ELb1ELi512EEEvPfS3_PT_PKS4_PKT0_SA_ifPKiSC_iPKfiiiSE_SE_iiiii
    .private_segment_fixed_size: 0
    .sgpr_count:     66
    .sgpr_spill_count: 0
    .symbol:         _ZN4vllm25paged_attention_v2_kernelI14__hip_bfloat16hLi80ELi16ELi128ELNS_18Fp8KVCacheDataTypeE1ELb1ELi512EEEvPfS3_PT_PKS4_PKT0_SA_ifPKiSC_iPKfiiiSE_SE_iiiii.kd
    .uniform_work_group_size: 1
    .uses_dynamic_stack: false
    .vgpr_count:     63
    .vgpr_spill_count: 0
    .wavefront_size: 64
  - .agpr_count:     0
    .args:
      - .actual_access:  write_only
        .address_space:  global
        .offset:         0
        .size:           8
        .value_kind:     global_buffer
      - .actual_access:  write_only
        .address_space:  global
        .offset:         8
        .size:           8
        .value_kind:     global_buffer
      - .actual_access:  write_only
        .address_space:  global
        .offset:         16
        .size:           8
        .value_kind:     global_buffer
      - .actual_access:  read_only
        .address_space:  global
        .offset:         24
        .size:           8
        .value_kind:     global_buffer
      - .actual_access:  read_only
        .address_space:  global
        .offset:         32
        .size:           8
        .value_kind:     global_buffer
      - .actual_access:  read_only
        .address_space:  global
        .offset:         40
        .size:           8
        .value_kind:     global_buffer
      - .offset:         48
        .size:           4
        .value_kind:     by_value
      - .offset:         52
        .size:           4
        .value_kind:     by_value
      - .actual_access:  read_only
        .address_space:  global
        .offset:         56
        .size:           8
        .value_kind:     global_buffer
      - .actual_access:  read_only
        .address_space:  global
        .offset:         64
        .size:           8
        .value_kind:     global_buffer
      - .offset:         72
        .size:           4
        .value_kind:     by_value
      - .actual_access:  read_only
        .address_space:  global
        .offset:         80
        .size:           8
        .value_kind:     global_buffer
      - .offset:         88
        .size:           4
        .value_kind:     by_value
      - .offset:         92
        .size:           4
        .value_kind:     by_value
      - .offset:         96
        .size:           4
        .value_kind:     by_value
      - .address_space:  global
        .offset:         104
        .size:           8
        .value_kind:     global_buffer
      - .address_space:  global
        .offset:         112
        .size:           8
        .value_kind:     global_buffer
      - .offset:         120
        .size:           4
        .value_kind:     by_value
      - .offset:         124
        .size:           4
        .value_kind:     by_value
      - .offset:         128
        .size:           4
        .value_kind:     by_value
      - .offset:         132
        .size:           4
        .value_kind:     by_value
      - .offset:         136
        .size:           4
        .value_kind:     by_value
      - .offset:         144
        .size:           4
        .value_kind:     hidden_block_count_x
      - .offset:         148
        .size:           4
        .value_kind:     hidden_block_count_y
      - .offset:         152
        .size:           4
        .value_kind:     hidden_block_count_z
      - .offset:         156
        .size:           2
        .value_kind:     hidden_group_size_x
      - .offset:         158
        .size:           2
        .value_kind:     hidden_group_size_y
      - .offset:         160
        .size:           2
        .value_kind:     hidden_group_size_z
      - .offset:         162
        .size:           2
        .value_kind:     hidden_remainder_x
      - .offset:         164
        .size:           2
        .value_kind:     hidden_remainder_y
      - .offset:         166
        .size:           2
        .value_kind:     hidden_remainder_z
      - .offset:         184
        .size:           8
        .value_kind:     hidden_global_offset_x
      - .offset:         192
        .size:           8
        .value_kind:     hidden_global_offset_y
      - .offset:         200
        .size:           8
        .value_kind:     hidden_global_offset_z
      - .offset:         208
        .size:           2
        .value_kind:     hidden_grid_dims
      - .offset:         264
        .size:           4
        .value_kind:     hidden_dynamic_lds_size
    .group_segment_fixed_size: 208
    .kernarg_segment_align: 8
    .kernarg_segment_size: 400
    .language:       OpenCL C
    .language_version:
      - 2
      - 0
    .max_flat_workgroup_size: 1024
    .name:           _ZN4vllm25paged_attention_v2_kernelI14__hip_bfloat16hLi96ELi16ELi128ELNS_18Fp8KVCacheDataTypeE1ELb1ELi512EEEvPfS3_PT_PKS4_PKT0_SA_ifPKiSC_iPKfiiiSE_SE_iiiii
    .private_segment_fixed_size: 0
    .sgpr_count:     66
    .sgpr_spill_count: 0
    .symbol:         _ZN4vllm25paged_attention_v2_kernelI14__hip_bfloat16hLi96ELi16ELi128ELNS_18Fp8KVCacheDataTypeE1ELb1ELi512EEEvPfS3_PT_PKS4_PKT0_SA_ifPKiSC_iPKfiiiSE_SE_iiiii.kd
    .uniform_work_group_size: 1
    .uses_dynamic_stack: false
    .vgpr_count:     71
    .vgpr_spill_count: 0
    .wavefront_size: 64
  - .agpr_count:     0
    .args:
      - .actual_access:  write_only
        .address_space:  global
        .offset:         0
        .size:           8
        .value_kind:     global_buffer
      - .actual_access:  write_only
        .address_space:  global
        .offset:         8
        .size:           8
        .value_kind:     global_buffer
      - .actual_access:  write_only
        .address_space:  global
        .offset:         16
        .size:           8
        .value_kind:     global_buffer
      - .actual_access:  read_only
        .address_space:  global
        .offset:         24
        .size:           8
        .value_kind:     global_buffer
      - .actual_access:  read_only
        .address_space:  global
        .offset:         32
        .size:           8
        .value_kind:     global_buffer
      - .actual_access:  read_only
        .address_space:  global
        .offset:         40
        .size:           8
        .value_kind:     global_buffer
      - .offset:         48
        .size:           4
        .value_kind:     by_value
      - .offset:         52
        .size:           4
        .value_kind:     by_value
      - .actual_access:  read_only
        .address_space:  global
        .offset:         56
        .size:           8
        .value_kind:     global_buffer
      - .actual_access:  read_only
        .address_space:  global
        .offset:         64
        .size:           8
        .value_kind:     global_buffer
      - .offset:         72
        .size:           4
        .value_kind:     by_value
      - .actual_access:  read_only
        .address_space:  global
        .offset:         80
        .size:           8
        .value_kind:     global_buffer
      - .offset:         88
        .size:           4
        .value_kind:     by_value
      - .offset:         92
        .size:           4
        .value_kind:     by_value
      - .offset:         96
        .size:           4
        .value_kind:     by_value
      - .address_space:  global
        .offset:         104
        .size:           8
        .value_kind:     global_buffer
      - .address_space:  global
        .offset:         112
        .size:           8
        .value_kind:     global_buffer
      - .offset:         120
        .size:           4
        .value_kind:     by_value
      - .offset:         124
        .size:           4
        .value_kind:     by_value
      - .offset:         128
        .size:           4
        .value_kind:     by_value
      - .offset:         132
        .size:           4
        .value_kind:     by_value
      - .offset:         136
        .size:           4
        .value_kind:     by_value
      - .offset:         144
        .size:           4
        .value_kind:     hidden_block_count_x
      - .offset:         148
        .size:           4
        .value_kind:     hidden_block_count_y
      - .offset:         152
        .size:           4
        .value_kind:     hidden_block_count_z
      - .offset:         156
        .size:           2
        .value_kind:     hidden_group_size_x
      - .offset:         158
        .size:           2
        .value_kind:     hidden_group_size_y
      - .offset:         160
        .size:           2
        .value_kind:     hidden_group_size_z
      - .offset:         162
        .size:           2
        .value_kind:     hidden_remainder_x
      - .offset:         164
        .size:           2
        .value_kind:     hidden_remainder_y
      - .offset:         166
        .size:           2
        .value_kind:     hidden_remainder_z
      - .offset:         184
        .size:           8
        .value_kind:     hidden_global_offset_x
      - .offset:         192
        .size:           8
        .value_kind:     hidden_global_offset_y
      - .offset:         200
        .size:           8
        .value_kind:     hidden_global_offset_z
      - .offset:         208
        .size:           2
        .value_kind:     hidden_grid_dims
      - .offset:         264
        .size:           4
        .value_kind:     hidden_dynamic_lds_size
    .group_segment_fixed_size: 240
    .kernarg_segment_align: 8
    .kernarg_segment_size: 400
    .language:       OpenCL C
    .language_version:
      - 2
      - 0
    .max_flat_workgroup_size: 1024
    .name:           _ZN4vllm25paged_attention_v2_kernelI14__hip_bfloat16hLi112ELi16ELi128ELNS_18Fp8KVCacheDataTypeE1ELb1ELi512EEEvPfS3_PT_PKS4_PKT0_SA_ifPKiSC_iPKfiiiSE_SE_iiiii
    .private_segment_fixed_size: 0
    .sgpr_count:     66
    .sgpr_spill_count: 0
    .symbol:         _ZN4vllm25paged_attention_v2_kernelI14__hip_bfloat16hLi112ELi16ELi128ELNS_18Fp8KVCacheDataTypeE1ELb1ELi512EEEvPfS3_PT_PKS4_PKT0_SA_ifPKiSC_iPKfiiiSE_SE_iiiii.kd
    .uniform_work_group_size: 1
    .uses_dynamic_stack: false
    .vgpr_count:     79
    .vgpr_spill_count: 0
    .wavefront_size: 64
  - .agpr_count:     0
    .args:
      - .actual_access:  write_only
        .address_space:  global
        .offset:         0
        .size:           8
        .value_kind:     global_buffer
      - .actual_access:  write_only
        .address_space:  global
        .offset:         8
        .size:           8
        .value_kind:     global_buffer
      - .actual_access:  write_only
        .address_space:  global
        .offset:         16
        .size:           8
        .value_kind:     global_buffer
      - .actual_access:  read_only
        .address_space:  global
        .offset:         24
        .size:           8
        .value_kind:     global_buffer
      - .actual_access:  read_only
        .address_space:  global
        .offset:         32
        .size:           8
        .value_kind:     global_buffer
      - .actual_access:  read_only
        .address_space:  global
        .offset:         40
        .size:           8
        .value_kind:     global_buffer
      - .offset:         48
        .size:           4
        .value_kind:     by_value
      - .offset:         52
        .size:           4
        .value_kind:     by_value
      - .actual_access:  read_only
        .address_space:  global
        .offset:         56
        .size:           8
        .value_kind:     global_buffer
      - .actual_access:  read_only
        .address_space:  global
        .offset:         64
        .size:           8
        .value_kind:     global_buffer
      - .offset:         72
        .size:           4
        .value_kind:     by_value
      - .actual_access:  read_only
        .address_space:  global
        .offset:         80
        .size:           8
        .value_kind:     global_buffer
      - .offset:         88
        .size:           4
        .value_kind:     by_value
      - .offset:         92
        .size:           4
        .value_kind:     by_value
      - .offset:         96
        .size:           4
        .value_kind:     by_value
      - .address_space:  global
        .offset:         104
        .size:           8
        .value_kind:     global_buffer
      - .address_space:  global
        .offset:         112
        .size:           8
        .value_kind:     global_buffer
      - .offset:         120
        .size:           4
        .value_kind:     by_value
      - .offset:         124
        .size:           4
        .value_kind:     by_value
      - .offset:         128
        .size:           4
        .value_kind:     by_value
      - .offset:         132
        .size:           4
        .value_kind:     by_value
      - .offset:         136
        .size:           4
        .value_kind:     by_value
      - .offset:         144
        .size:           4
        .value_kind:     hidden_block_count_x
      - .offset:         148
        .size:           4
        .value_kind:     hidden_block_count_y
      - .offset:         152
        .size:           4
        .value_kind:     hidden_block_count_z
      - .offset:         156
        .size:           2
        .value_kind:     hidden_group_size_x
      - .offset:         158
        .size:           2
        .value_kind:     hidden_group_size_y
      - .offset:         160
        .size:           2
        .value_kind:     hidden_group_size_z
      - .offset:         162
        .size:           2
        .value_kind:     hidden_remainder_x
      - .offset:         164
        .size:           2
        .value_kind:     hidden_remainder_y
      - .offset:         166
        .size:           2
        .value_kind:     hidden_remainder_z
      - .offset:         184
        .size:           8
        .value_kind:     hidden_global_offset_x
      - .offset:         192
        .size:           8
        .value_kind:     hidden_global_offset_y
      - .offset:         200
        .size:           8
        .value_kind:     hidden_global_offset_z
      - .offset:         208
        .size:           2
        .value_kind:     hidden_grid_dims
      - .offset:         264
        .size:           4
        .value_kind:     hidden_dynamic_lds_size
    .group_segment_fixed_size: 256
    .kernarg_segment_align: 8
    .kernarg_segment_size: 400
    .language:       OpenCL C
    .language_version:
      - 2
      - 0
    .max_flat_workgroup_size: 1024
    .name:           _ZN4vllm25paged_attention_v2_kernelI14__hip_bfloat16hLi120ELi16ELi128ELNS_18Fp8KVCacheDataTypeE1ELb1ELi512EEEvPfS3_PT_PKS4_PKT0_SA_ifPKiSC_iPKfiiiSE_SE_iiiii
    .private_segment_fixed_size: 0
    .sgpr_count:     66
    .sgpr_spill_count: 0
    .symbol:         _ZN4vllm25paged_attention_v2_kernelI14__hip_bfloat16hLi120ELi16ELi128ELNS_18Fp8KVCacheDataTypeE1ELb1ELi512EEEvPfS3_PT_PKS4_PKT0_SA_ifPKiSC_iPKfiiiSE_SE_iiiii.kd
    .uniform_work_group_size: 1
    .uses_dynamic_stack: false
    .vgpr_count:     84
    .vgpr_spill_count: 0
    .wavefront_size: 64
  - .agpr_count:     0
    .args:
      - .actual_access:  write_only
        .address_space:  global
        .offset:         0
        .size:           8
        .value_kind:     global_buffer
      - .actual_access:  write_only
        .address_space:  global
        .offset:         8
        .size:           8
        .value_kind:     global_buffer
      - .actual_access:  write_only
        .address_space:  global
        .offset:         16
        .size:           8
        .value_kind:     global_buffer
      - .actual_access:  read_only
        .address_space:  global
        .offset:         24
        .size:           8
        .value_kind:     global_buffer
      - .actual_access:  read_only
        .address_space:  global
        .offset:         32
        .size:           8
        .value_kind:     global_buffer
      - .actual_access:  read_only
        .address_space:  global
        .offset:         40
        .size:           8
        .value_kind:     global_buffer
      - .offset:         48
        .size:           4
        .value_kind:     by_value
      - .offset:         52
        .size:           4
        .value_kind:     by_value
      - .actual_access:  read_only
        .address_space:  global
        .offset:         56
        .size:           8
        .value_kind:     global_buffer
      - .actual_access:  read_only
        .address_space:  global
        .offset:         64
        .size:           8
        .value_kind:     global_buffer
      - .offset:         72
        .size:           4
        .value_kind:     by_value
      - .actual_access:  read_only
        .address_space:  global
        .offset:         80
        .size:           8
        .value_kind:     global_buffer
      - .offset:         88
        .size:           4
        .value_kind:     by_value
      - .offset:         92
        .size:           4
        .value_kind:     by_value
      - .offset:         96
        .size:           4
        .value_kind:     by_value
      - .address_space:  global
        .offset:         104
        .size:           8
        .value_kind:     global_buffer
      - .address_space:  global
        .offset:         112
        .size:           8
        .value_kind:     global_buffer
      - .offset:         120
        .size:           4
        .value_kind:     by_value
      - .offset:         124
        .size:           4
        .value_kind:     by_value
      - .offset:         128
        .size:           4
        .value_kind:     by_value
      - .offset:         132
        .size:           4
        .value_kind:     by_value
      - .offset:         136
        .size:           4
        .value_kind:     by_value
      - .offset:         144
        .size:           4
        .value_kind:     hidden_block_count_x
      - .offset:         148
        .size:           4
        .value_kind:     hidden_block_count_y
      - .offset:         152
        .size:           4
        .value_kind:     hidden_block_count_z
      - .offset:         156
        .size:           2
        .value_kind:     hidden_group_size_x
      - .offset:         158
        .size:           2
        .value_kind:     hidden_group_size_y
      - .offset:         160
        .size:           2
        .value_kind:     hidden_group_size_z
      - .offset:         162
        .size:           2
        .value_kind:     hidden_remainder_x
      - .offset:         164
        .size:           2
        .value_kind:     hidden_remainder_y
      - .offset:         166
        .size:           2
        .value_kind:     hidden_remainder_z
      - .offset:         184
        .size:           8
        .value_kind:     hidden_global_offset_x
      - .offset:         192
        .size:           8
        .value_kind:     hidden_global_offset_y
      - .offset:         200
        .size:           8
        .value_kind:     hidden_global_offset_z
      - .offset:         208
        .size:           2
        .value_kind:     hidden_grid_dims
      - .offset:         264
        .size:           4
        .value_kind:     hidden_dynamic_lds_size
    .group_segment_fixed_size: 272
    .kernarg_segment_align: 8
    .kernarg_segment_size: 400
    .language:       OpenCL C
    .language_version:
      - 2
      - 0
    .max_flat_workgroup_size: 1024
    .name:           _ZN4vllm25paged_attention_v2_kernelI14__hip_bfloat16hLi128ELi16ELi128ELNS_18Fp8KVCacheDataTypeE1ELb1ELi512EEEvPfS3_PT_PKS4_PKT0_SA_ifPKiSC_iPKfiiiSE_SE_iiiii
    .private_segment_fixed_size: 0
    .sgpr_count:     68
    .sgpr_spill_count: 0
    .symbol:         _ZN4vllm25paged_attention_v2_kernelI14__hip_bfloat16hLi128ELi16ELi128ELNS_18Fp8KVCacheDataTypeE1ELb1ELi512EEEvPfS3_PT_PKS4_PKT0_SA_ifPKiSC_iPKfiiiSE_SE_iiiii.kd
    .uniform_work_group_size: 1
    .uses_dynamic_stack: false
    .vgpr_count:     88
    .vgpr_spill_count: 0
    .wavefront_size: 64
  - .agpr_count:     0
    .args:
      - .actual_access:  write_only
        .address_space:  global
        .offset:         0
        .size:           8
        .value_kind:     global_buffer
      - .actual_access:  write_only
        .address_space:  global
        .offset:         8
        .size:           8
        .value_kind:     global_buffer
      - .actual_access:  write_only
        .address_space:  global
        .offset:         16
        .size:           8
        .value_kind:     global_buffer
      - .actual_access:  read_only
        .address_space:  global
        .offset:         24
        .size:           8
        .value_kind:     global_buffer
      - .actual_access:  read_only
        .address_space:  global
        .offset:         32
        .size:           8
        .value_kind:     global_buffer
      - .actual_access:  read_only
        .address_space:  global
        .offset:         40
        .size:           8
        .value_kind:     global_buffer
      - .offset:         48
        .size:           4
        .value_kind:     by_value
      - .offset:         52
        .size:           4
        .value_kind:     by_value
      - .actual_access:  read_only
        .address_space:  global
        .offset:         56
        .size:           8
        .value_kind:     global_buffer
      - .actual_access:  read_only
        .address_space:  global
        .offset:         64
        .size:           8
        .value_kind:     global_buffer
      - .offset:         72
        .size:           4
        .value_kind:     by_value
      - .actual_access:  read_only
        .address_space:  global
        .offset:         80
        .size:           8
        .value_kind:     global_buffer
      - .offset:         88
        .size:           4
        .value_kind:     by_value
      - .offset:         92
        .size:           4
        .value_kind:     by_value
      - .offset:         96
        .size:           4
        .value_kind:     by_value
      - .address_space:  global
        .offset:         104
        .size:           8
        .value_kind:     global_buffer
      - .address_space:  global
        .offset:         112
        .size:           8
        .value_kind:     global_buffer
      - .offset:         120
        .size:           4
        .value_kind:     by_value
      - .offset:         124
        .size:           4
        .value_kind:     by_value
      - .offset:         128
        .size:           4
        .value_kind:     by_value
      - .offset:         132
        .size:           4
        .value_kind:     by_value
      - .offset:         136
        .size:           4
        .value_kind:     by_value
      - .offset:         144
        .size:           4
        .value_kind:     hidden_block_count_x
      - .offset:         148
        .size:           4
        .value_kind:     hidden_block_count_y
      - .offset:         152
        .size:           4
        .value_kind:     hidden_block_count_z
      - .offset:         156
        .size:           2
        .value_kind:     hidden_group_size_x
      - .offset:         158
        .size:           2
        .value_kind:     hidden_group_size_y
      - .offset:         160
        .size:           2
        .value_kind:     hidden_group_size_z
      - .offset:         162
        .size:           2
        .value_kind:     hidden_remainder_x
      - .offset:         164
        .size:           2
        .value_kind:     hidden_remainder_y
      - .offset:         166
        .size:           2
        .value_kind:     hidden_remainder_z
      - .offset:         184
        .size:           8
        .value_kind:     hidden_global_offset_x
      - .offset:         192
        .size:           8
        .value_kind:     hidden_global_offset_y
      - .offset:         200
        .size:           8
        .value_kind:     hidden_global_offset_z
      - .offset:         208
        .size:           2
        .value_kind:     hidden_grid_dims
      - .offset:         264
        .size:           4
        .value_kind:     hidden_dynamic_lds_size
    .group_segment_fixed_size: 400
    .kernarg_segment_align: 8
    .kernarg_segment_size: 400
    .language:       OpenCL C
    .language_version:
      - 2
      - 0
    .max_flat_workgroup_size: 1024
    .name:           _ZN4vllm25paged_attention_v2_kernelI14__hip_bfloat16hLi192ELi16ELi128ELNS_18Fp8KVCacheDataTypeE1ELb1ELi512EEEvPfS3_PT_PKS4_PKT0_SA_ifPKiSC_iPKfiiiSE_SE_iiiii
    .private_segment_fixed_size: 0
    .sgpr_count:     66
    .sgpr_spill_count: 0
    .symbol:         _ZN4vllm25paged_attention_v2_kernelI14__hip_bfloat16hLi192ELi16ELi128ELNS_18Fp8KVCacheDataTypeE1ELb1ELi512EEEvPfS3_PT_PKS4_PKT0_SA_ifPKiSC_iPKfiiiSE_SE_iiiii.kd
    .uniform_work_group_size: 1
    .uses_dynamic_stack: false
    .vgpr_count:     118
    .vgpr_spill_count: 0
    .wavefront_size: 64
  - .agpr_count:     64
    .args:
      - .actual_access:  write_only
        .address_space:  global
        .offset:         0
        .size:           8
        .value_kind:     global_buffer
      - .actual_access:  write_only
        .address_space:  global
        .offset:         8
        .size:           8
        .value_kind:     global_buffer
      - .actual_access:  write_only
        .address_space:  global
        .offset:         16
        .size:           8
        .value_kind:     global_buffer
      - .actual_access:  read_only
        .address_space:  global
        .offset:         24
        .size:           8
        .value_kind:     global_buffer
      - .actual_access:  read_only
        .address_space:  global
        .offset:         32
        .size:           8
        .value_kind:     global_buffer
      - .actual_access:  read_only
        .address_space:  global
        .offset:         40
        .size:           8
        .value_kind:     global_buffer
      - .offset:         48
        .size:           4
        .value_kind:     by_value
      - .offset:         52
        .size:           4
        .value_kind:     by_value
      - .actual_access:  read_only
        .address_space:  global
        .offset:         56
        .size:           8
        .value_kind:     global_buffer
      - .actual_access:  read_only
        .address_space:  global
        .offset:         64
        .size:           8
        .value_kind:     global_buffer
      - .offset:         72
        .size:           4
        .value_kind:     by_value
      - .address_space:  global
        .offset:         80
        .size:           8
        .value_kind:     global_buffer
      - .offset:         88
        .size:           4
        .value_kind:     by_value
      - .offset:         92
        .size:           4
        .value_kind:     by_value
      - .offset:         96
        .size:           4
        .value_kind:     by_value
      - .address_space:  global
        .offset:         104
        .size:           8
        .value_kind:     global_buffer
      - .address_space:  global
        .offset:         112
        .size:           8
        .value_kind:     global_buffer
      - .offset:         120
        .size:           4
        .value_kind:     by_value
      - .offset:         124
        .size:           4
        .value_kind:     by_value
      - .offset:         128
        .size:           4
        .value_kind:     by_value
      - .offset:         132
        .size:           4
        .value_kind:     by_value
      - .offset:         136
        .size:           4
        .value_kind:     by_value
      - .offset:         144
        .size:           4
        .value_kind:     hidden_block_count_x
      - .offset:         148
        .size:           4
        .value_kind:     hidden_block_count_y
      - .offset:         152
        .size:           4
        .value_kind:     hidden_block_count_z
      - .offset:         156
        .size:           2
        .value_kind:     hidden_group_size_x
      - .offset:         158
        .size:           2
        .value_kind:     hidden_group_size_y
      - .offset:         160
        .size:           2
        .value_kind:     hidden_group_size_z
      - .offset:         162
        .size:           2
        .value_kind:     hidden_remainder_x
      - .offset:         164
        .size:           2
        .value_kind:     hidden_remainder_y
      - .offset:         166
        .size:           2
        .value_kind:     hidden_remainder_z
      - .offset:         184
        .size:           8
        .value_kind:     hidden_global_offset_x
      - .offset:         192
        .size:           8
        .value_kind:     hidden_global_offset_y
      - .offset:         200
        .size:           8
        .value_kind:     hidden_global_offset_z
      - .offset:         208
        .size:           2
        .value_kind:     hidden_grid_dims
      - .offset:         264
        .size:           4
        .value_kind:     hidden_dynamic_lds_size
    .group_segment_fixed_size: 528
    .kernarg_segment_align: 8
    .kernarg_segment_size: 400
    .language:       OpenCL C
    .language_version:
      - 2
      - 0
    .max_flat_workgroup_size: 1024
    .name:           _ZN4vllm25paged_attention_v2_kernelI14__hip_bfloat16hLi256ELi16ELi128ELNS_18Fp8KVCacheDataTypeE1ELb1ELi512EEEvPfS3_PT_PKS4_PKT0_SA_ifPKiSC_iPKfiiiSE_SE_iiiii
    .private_segment_fixed_size: 424
    .sgpr_count:     54
    .sgpr_spill_count: 0
    .symbol:         _ZN4vllm25paged_attention_v2_kernelI14__hip_bfloat16hLi256ELi16ELi128ELNS_18Fp8KVCacheDataTypeE1ELb1ELi512EEEvPfS3_PT_PKS4_PKT0_SA_ifPKiSC_iPKfiiiSE_SE_iiiii.kd
    .uniform_work_group_size: 1
    .uses_dynamic_stack: false
    .vgpr_count:     128
    .vgpr_spill_count: 0
    .wavefront_size: 64
  - .agpr_count:     0
    .args:
      - .actual_access:  write_only
        .address_space:  global
        .offset:         0
        .size:           8
        .value_kind:     global_buffer
      - .actual_access:  write_only
        .address_space:  global
        .offset:         8
        .size:           8
        .value_kind:     global_buffer
      - .actual_access:  write_only
        .address_space:  global
        .offset:         16
        .size:           8
        .value_kind:     global_buffer
      - .actual_access:  read_only
        .address_space:  global
        .offset:         24
        .size:           8
        .value_kind:     global_buffer
      - .actual_access:  read_only
        .address_space:  global
        .offset:         32
        .size:           8
        .value_kind:     global_buffer
      - .actual_access:  read_only
        .address_space:  global
        .offset:         40
        .size:           8
        .value_kind:     global_buffer
      - .offset:         48
        .size:           4
        .value_kind:     by_value
      - .offset:         52
        .size:           4
        .value_kind:     by_value
      - .actual_access:  read_only
        .address_space:  global
        .offset:         56
        .size:           8
        .value_kind:     global_buffer
      - .actual_access:  read_only
        .address_space:  global
        .offset:         64
        .size:           8
        .value_kind:     global_buffer
      - .offset:         72
        .size:           4
        .value_kind:     by_value
      - .actual_access:  read_only
        .address_space:  global
        .offset:         80
        .size:           8
        .value_kind:     global_buffer
      - .offset:         88
        .size:           4
        .value_kind:     by_value
      - .offset:         92
        .size:           4
        .value_kind:     by_value
      - .offset:         96
        .size:           4
        .value_kind:     by_value
      - .address_space:  global
        .offset:         104
        .size:           8
        .value_kind:     global_buffer
      - .address_space:  global
        .offset:         112
        .size:           8
        .value_kind:     global_buffer
      - .offset:         120
        .size:           4
        .value_kind:     by_value
      - .offset:         124
        .size:           4
        .value_kind:     by_value
      - .offset:         128
        .size:           4
        .value_kind:     by_value
      - .offset:         132
        .size:           4
        .value_kind:     by_value
      - .offset:         136
        .size:           4
        .value_kind:     by_value
      - .offset:         144
        .size:           4
        .value_kind:     hidden_block_count_x
      - .offset:         148
        .size:           4
        .value_kind:     hidden_block_count_y
      - .offset:         152
        .size:           4
        .value_kind:     hidden_block_count_z
      - .offset:         156
        .size:           2
        .value_kind:     hidden_group_size_x
      - .offset:         158
        .size:           2
        .value_kind:     hidden_group_size_y
      - .offset:         160
        .size:           2
        .value_kind:     hidden_group_size_z
      - .offset:         162
        .size:           2
        .value_kind:     hidden_remainder_x
      - .offset:         164
        .size:           2
        .value_kind:     hidden_remainder_y
      - .offset:         166
        .size:           2
        .value_kind:     hidden_remainder_z
      - .offset:         184
        .size:           8
        .value_kind:     hidden_global_offset_x
      - .offset:         192
        .size:           8
        .value_kind:     hidden_global_offset_y
      - .offset:         200
        .size:           8
        .value_kind:     hidden_global_offset_z
      - .offset:         208
        .size:           2
        .value_kind:     hidden_grid_dims
      - .offset:         264
        .size:           4
        .value_kind:     hidden_dynamic_lds_size
    .group_segment_fixed_size: 80
    .kernarg_segment_align: 8
    .kernarg_segment_size: 400
    .language:       OpenCL C
    .language_version:
      - 2
      - 0
    .max_flat_workgroup_size: 1024
    .name:           _ZN4vllm25paged_attention_v2_kernelI14__hip_bfloat16hLi32ELi16ELi128ELNS_18Fp8KVCacheDataTypeE1ELb0ELi512EEEvPfS3_PT_PKS4_PKT0_SA_ifPKiSC_iPKfiiiSE_SE_iiiii
    .private_segment_fixed_size: 0
    .sgpr_count:     54
    .sgpr_spill_count: 0
    .symbol:         _ZN4vllm25paged_attention_v2_kernelI14__hip_bfloat16hLi32ELi16ELi128ELNS_18Fp8KVCacheDataTypeE1ELb0ELi512EEEvPfS3_PT_PKS4_PKT0_SA_ifPKiSC_iPKfiiiSE_SE_iiiii.kd
    .uniform_work_group_size: 1
    .uses_dynamic_stack: false
    .vgpr_count:     35
    .vgpr_spill_count: 0
    .wavefront_size: 64
  - .agpr_count:     0
    .args:
      - .actual_access:  write_only
        .address_space:  global
        .offset:         0
        .size:           8
        .value_kind:     global_buffer
      - .actual_access:  write_only
        .address_space:  global
        .offset:         8
        .size:           8
        .value_kind:     global_buffer
      - .actual_access:  write_only
        .address_space:  global
        .offset:         16
        .size:           8
        .value_kind:     global_buffer
      - .actual_access:  read_only
        .address_space:  global
        .offset:         24
        .size:           8
        .value_kind:     global_buffer
      - .actual_access:  read_only
        .address_space:  global
        .offset:         32
        .size:           8
        .value_kind:     global_buffer
      - .actual_access:  read_only
        .address_space:  global
        .offset:         40
        .size:           8
        .value_kind:     global_buffer
      - .offset:         48
        .size:           4
        .value_kind:     by_value
      - .offset:         52
        .size:           4
        .value_kind:     by_value
      - .actual_access:  read_only
        .address_space:  global
        .offset:         56
        .size:           8
        .value_kind:     global_buffer
      - .actual_access:  read_only
        .address_space:  global
        .offset:         64
        .size:           8
        .value_kind:     global_buffer
      - .offset:         72
        .size:           4
        .value_kind:     by_value
      - .actual_access:  read_only
        .address_space:  global
        .offset:         80
        .size:           8
        .value_kind:     global_buffer
      - .offset:         88
        .size:           4
        .value_kind:     by_value
      - .offset:         92
        .size:           4
        .value_kind:     by_value
      - .offset:         96
        .size:           4
        .value_kind:     by_value
      - .address_space:  global
        .offset:         104
        .size:           8
        .value_kind:     global_buffer
      - .address_space:  global
        .offset:         112
        .size:           8
        .value_kind:     global_buffer
      - .offset:         120
        .size:           4
        .value_kind:     by_value
      - .offset:         124
        .size:           4
        .value_kind:     by_value
      - .offset:         128
        .size:           4
        .value_kind:     by_value
      - .offset:         132
        .size:           4
        .value_kind:     by_value
      - .offset:         136
        .size:           4
        .value_kind:     by_value
      - .offset:         144
        .size:           4
        .value_kind:     hidden_block_count_x
      - .offset:         148
        .size:           4
        .value_kind:     hidden_block_count_y
      - .offset:         152
        .size:           4
        .value_kind:     hidden_block_count_z
      - .offset:         156
        .size:           2
        .value_kind:     hidden_group_size_x
      - .offset:         158
        .size:           2
        .value_kind:     hidden_group_size_y
      - .offset:         160
        .size:           2
        .value_kind:     hidden_group_size_z
      - .offset:         162
        .size:           2
        .value_kind:     hidden_remainder_x
      - .offset:         164
        .size:           2
        .value_kind:     hidden_remainder_y
      - .offset:         166
        .size:           2
        .value_kind:     hidden_remainder_z
      - .offset:         184
        .size:           8
        .value_kind:     hidden_global_offset_x
      - .offset:         192
        .size:           8
        .value_kind:     hidden_global_offset_y
      - .offset:         200
        .size:           8
        .value_kind:     hidden_global_offset_z
      - .offset:         208
        .size:           2
        .value_kind:     hidden_grid_dims
      - .offset:         264
        .size:           4
        .value_kind:     hidden_dynamic_lds_size
    .group_segment_fixed_size: 144
    .kernarg_segment_align: 8
    .kernarg_segment_size: 400
    .language:       OpenCL C
    .language_version:
      - 2
      - 0
    .max_flat_workgroup_size: 1024
    .name:           _ZN4vllm25paged_attention_v2_kernelI14__hip_bfloat16hLi64ELi16ELi128ELNS_18Fp8KVCacheDataTypeE1ELb0ELi512EEEvPfS3_PT_PKS4_PKT0_SA_ifPKiSC_iPKfiiiSE_SE_iiiii
    .private_segment_fixed_size: 0
    .sgpr_count:     54
    .sgpr_spill_count: 0
    .symbol:         _ZN4vllm25paged_attention_v2_kernelI14__hip_bfloat16hLi64ELi16ELi128ELNS_18Fp8KVCacheDataTypeE1ELb0ELi512EEEvPfS3_PT_PKS4_PKT0_SA_ifPKiSC_iPKfiiiSE_SE_iiiii.kd
    .uniform_work_group_size: 1
    .uses_dynamic_stack: false
    .vgpr_count:     51
    .vgpr_spill_count: 0
    .wavefront_size: 64
  - .agpr_count:     0
    .args:
      - .actual_access:  write_only
        .address_space:  global
        .offset:         0
        .size:           8
        .value_kind:     global_buffer
      - .actual_access:  write_only
        .address_space:  global
        .offset:         8
        .size:           8
        .value_kind:     global_buffer
      - .actual_access:  write_only
        .address_space:  global
        .offset:         16
        .size:           8
        .value_kind:     global_buffer
      - .actual_access:  read_only
        .address_space:  global
        .offset:         24
        .size:           8
        .value_kind:     global_buffer
      - .actual_access:  read_only
        .address_space:  global
        .offset:         32
        .size:           8
        .value_kind:     global_buffer
      - .actual_access:  read_only
        .address_space:  global
        .offset:         40
        .size:           8
        .value_kind:     global_buffer
      - .offset:         48
        .size:           4
        .value_kind:     by_value
      - .offset:         52
        .size:           4
        .value_kind:     by_value
      - .actual_access:  read_only
        .address_space:  global
        .offset:         56
        .size:           8
        .value_kind:     global_buffer
      - .actual_access:  read_only
        .address_space:  global
        .offset:         64
        .size:           8
        .value_kind:     global_buffer
      - .offset:         72
        .size:           4
        .value_kind:     by_value
      - .actual_access:  read_only
        .address_space:  global
        .offset:         80
        .size:           8
        .value_kind:     global_buffer
      - .offset:         88
        .size:           4
        .value_kind:     by_value
      - .offset:         92
        .size:           4
        .value_kind:     by_value
      - .offset:         96
        .size:           4
        .value_kind:     by_value
      - .address_space:  global
        .offset:         104
        .size:           8
        .value_kind:     global_buffer
      - .address_space:  global
        .offset:         112
        .size:           8
        .value_kind:     global_buffer
      - .offset:         120
        .size:           4
        .value_kind:     by_value
      - .offset:         124
        .size:           4
        .value_kind:     by_value
      - .offset:         128
        .size:           4
        .value_kind:     by_value
      - .offset:         132
        .size:           4
        .value_kind:     by_value
      - .offset:         136
        .size:           4
        .value_kind:     by_value
      - .offset:         144
        .size:           4
        .value_kind:     hidden_block_count_x
      - .offset:         148
        .size:           4
        .value_kind:     hidden_block_count_y
      - .offset:         152
        .size:           4
        .value_kind:     hidden_block_count_z
      - .offset:         156
        .size:           2
        .value_kind:     hidden_group_size_x
      - .offset:         158
        .size:           2
        .value_kind:     hidden_group_size_y
      - .offset:         160
        .size:           2
        .value_kind:     hidden_group_size_z
      - .offset:         162
        .size:           2
        .value_kind:     hidden_remainder_x
      - .offset:         164
        .size:           2
        .value_kind:     hidden_remainder_y
      - .offset:         166
        .size:           2
        .value_kind:     hidden_remainder_z
      - .offset:         184
        .size:           8
        .value_kind:     hidden_global_offset_x
      - .offset:         192
        .size:           8
        .value_kind:     hidden_global_offset_y
      - .offset:         200
        .size:           8
        .value_kind:     hidden_global_offset_z
      - .offset:         208
        .size:           2
        .value_kind:     hidden_grid_dims
      - .offset:         264
        .size:           4
        .value_kind:     hidden_dynamic_lds_size
    .group_segment_fixed_size: 176
    .kernarg_segment_align: 8
    .kernarg_segment_size: 400
    .language:       OpenCL C
    .language_version:
      - 2
      - 0
    .max_flat_workgroup_size: 1024
    .name:           _ZN4vllm25paged_attention_v2_kernelI14__hip_bfloat16hLi80ELi16ELi128ELNS_18Fp8KVCacheDataTypeE1ELb0ELi512EEEvPfS3_PT_PKS4_PKT0_SA_ifPKiSC_iPKfiiiSE_SE_iiiii
    .private_segment_fixed_size: 0
    .sgpr_count:     54
    .sgpr_spill_count: 0
    .symbol:         _ZN4vllm25paged_attention_v2_kernelI14__hip_bfloat16hLi80ELi16ELi128ELNS_18Fp8KVCacheDataTypeE1ELb0ELi512EEEvPfS3_PT_PKS4_PKT0_SA_ifPKiSC_iPKfiiiSE_SE_iiiii.kd
    .uniform_work_group_size: 1
    .uses_dynamic_stack: false
    .vgpr_count:     59
    .vgpr_spill_count: 0
    .wavefront_size: 64
  - .agpr_count:     0
    .args:
      - .actual_access:  write_only
        .address_space:  global
        .offset:         0
        .size:           8
        .value_kind:     global_buffer
      - .actual_access:  write_only
        .address_space:  global
        .offset:         8
        .size:           8
        .value_kind:     global_buffer
      - .actual_access:  write_only
        .address_space:  global
        .offset:         16
        .size:           8
        .value_kind:     global_buffer
      - .actual_access:  read_only
        .address_space:  global
        .offset:         24
        .size:           8
        .value_kind:     global_buffer
      - .actual_access:  read_only
        .address_space:  global
        .offset:         32
        .size:           8
        .value_kind:     global_buffer
      - .actual_access:  read_only
        .address_space:  global
        .offset:         40
        .size:           8
        .value_kind:     global_buffer
      - .offset:         48
        .size:           4
        .value_kind:     by_value
      - .offset:         52
        .size:           4
        .value_kind:     by_value
      - .actual_access:  read_only
        .address_space:  global
        .offset:         56
        .size:           8
        .value_kind:     global_buffer
      - .actual_access:  read_only
        .address_space:  global
        .offset:         64
        .size:           8
        .value_kind:     global_buffer
      - .offset:         72
        .size:           4
        .value_kind:     by_value
      - .actual_access:  read_only
        .address_space:  global
        .offset:         80
        .size:           8
        .value_kind:     global_buffer
      - .offset:         88
        .size:           4
        .value_kind:     by_value
      - .offset:         92
        .size:           4
        .value_kind:     by_value
      - .offset:         96
        .size:           4
        .value_kind:     by_value
      - .address_space:  global
        .offset:         104
        .size:           8
        .value_kind:     global_buffer
      - .address_space:  global
        .offset:         112
        .size:           8
        .value_kind:     global_buffer
      - .offset:         120
        .size:           4
        .value_kind:     by_value
      - .offset:         124
        .size:           4
        .value_kind:     by_value
      - .offset:         128
        .size:           4
        .value_kind:     by_value
      - .offset:         132
        .size:           4
        .value_kind:     by_value
      - .offset:         136
        .size:           4
        .value_kind:     by_value
      - .offset:         144
        .size:           4
        .value_kind:     hidden_block_count_x
      - .offset:         148
        .size:           4
        .value_kind:     hidden_block_count_y
      - .offset:         152
        .size:           4
        .value_kind:     hidden_block_count_z
      - .offset:         156
        .size:           2
        .value_kind:     hidden_group_size_x
      - .offset:         158
        .size:           2
        .value_kind:     hidden_group_size_y
      - .offset:         160
        .size:           2
        .value_kind:     hidden_group_size_z
      - .offset:         162
        .size:           2
        .value_kind:     hidden_remainder_x
      - .offset:         164
        .size:           2
        .value_kind:     hidden_remainder_y
      - .offset:         166
        .size:           2
        .value_kind:     hidden_remainder_z
      - .offset:         184
        .size:           8
        .value_kind:     hidden_global_offset_x
      - .offset:         192
        .size:           8
        .value_kind:     hidden_global_offset_y
      - .offset:         200
        .size:           8
        .value_kind:     hidden_global_offset_z
      - .offset:         208
        .size:           2
        .value_kind:     hidden_grid_dims
      - .offset:         264
        .size:           4
        .value_kind:     hidden_dynamic_lds_size
    .group_segment_fixed_size: 208
    .kernarg_segment_align: 8
    .kernarg_segment_size: 400
    .language:       OpenCL C
    .language_version:
      - 2
      - 0
    .max_flat_workgroup_size: 1024
    .name:           _ZN4vllm25paged_attention_v2_kernelI14__hip_bfloat16hLi96ELi16ELi128ELNS_18Fp8KVCacheDataTypeE1ELb0ELi512EEEvPfS3_PT_PKS4_PKT0_SA_ifPKiSC_iPKfiiiSE_SE_iiiii
    .private_segment_fixed_size: 0
    .sgpr_count:     54
    .sgpr_spill_count: 0
    .symbol:         _ZN4vllm25paged_attention_v2_kernelI14__hip_bfloat16hLi96ELi16ELi128ELNS_18Fp8KVCacheDataTypeE1ELb0ELi512EEEvPfS3_PT_PKS4_PKT0_SA_ifPKiSC_iPKfiiiSE_SE_iiiii.kd
    .uniform_work_group_size: 1
    .uses_dynamic_stack: false
    .vgpr_count:     67
    .vgpr_spill_count: 0
    .wavefront_size: 64
  - .agpr_count:     0
    .args:
      - .actual_access:  write_only
        .address_space:  global
        .offset:         0
        .size:           8
        .value_kind:     global_buffer
      - .actual_access:  write_only
        .address_space:  global
        .offset:         8
        .size:           8
        .value_kind:     global_buffer
      - .actual_access:  write_only
        .address_space:  global
        .offset:         16
        .size:           8
        .value_kind:     global_buffer
      - .actual_access:  read_only
        .address_space:  global
        .offset:         24
        .size:           8
        .value_kind:     global_buffer
      - .actual_access:  read_only
        .address_space:  global
        .offset:         32
        .size:           8
        .value_kind:     global_buffer
      - .actual_access:  read_only
        .address_space:  global
        .offset:         40
        .size:           8
        .value_kind:     global_buffer
      - .offset:         48
        .size:           4
        .value_kind:     by_value
      - .offset:         52
        .size:           4
        .value_kind:     by_value
      - .actual_access:  read_only
        .address_space:  global
        .offset:         56
        .size:           8
        .value_kind:     global_buffer
      - .actual_access:  read_only
        .address_space:  global
        .offset:         64
        .size:           8
        .value_kind:     global_buffer
      - .offset:         72
        .size:           4
        .value_kind:     by_value
      - .actual_access:  read_only
        .address_space:  global
        .offset:         80
        .size:           8
        .value_kind:     global_buffer
      - .offset:         88
        .size:           4
        .value_kind:     by_value
      - .offset:         92
        .size:           4
        .value_kind:     by_value
      - .offset:         96
        .size:           4
        .value_kind:     by_value
      - .address_space:  global
        .offset:         104
        .size:           8
        .value_kind:     global_buffer
      - .address_space:  global
        .offset:         112
        .size:           8
        .value_kind:     global_buffer
      - .offset:         120
        .size:           4
        .value_kind:     by_value
      - .offset:         124
        .size:           4
        .value_kind:     by_value
      - .offset:         128
        .size:           4
        .value_kind:     by_value
      - .offset:         132
        .size:           4
        .value_kind:     by_value
      - .offset:         136
        .size:           4
        .value_kind:     by_value
      - .offset:         144
        .size:           4
        .value_kind:     hidden_block_count_x
      - .offset:         148
        .size:           4
        .value_kind:     hidden_block_count_y
      - .offset:         152
        .size:           4
        .value_kind:     hidden_block_count_z
      - .offset:         156
        .size:           2
        .value_kind:     hidden_group_size_x
      - .offset:         158
        .size:           2
        .value_kind:     hidden_group_size_y
      - .offset:         160
        .size:           2
        .value_kind:     hidden_group_size_z
      - .offset:         162
        .size:           2
        .value_kind:     hidden_remainder_x
      - .offset:         164
        .size:           2
        .value_kind:     hidden_remainder_y
      - .offset:         166
        .size:           2
        .value_kind:     hidden_remainder_z
      - .offset:         184
        .size:           8
        .value_kind:     hidden_global_offset_x
      - .offset:         192
        .size:           8
        .value_kind:     hidden_global_offset_y
      - .offset:         200
        .size:           8
        .value_kind:     hidden_global_offset_z
      - .offset:         208
        .size:           2
        .value_kind:     hidden_grid_dims
      - .offset:         264
        .size:           4
        .value_kind:     hidden_dynamic_lds_size
    .group_segment_fixed_size: 240
    .kernarg_segment_align: 8
    .kernarg_segment_size: 400
    .language:       OpenCL C
    .language_version:
      - 2
      - 0
    .max_flat_workgroup_size: 1024
    .name:           _ZN4vllm25paged_attention_v2_kernelI14__hip_bfloat16hLi112ELi16ELi128ELNS_18Fp8KVCacheDataTypeE1ELb0ELi512EEEvPfS3_PT_PKS4_PKT0_SA_ifPKiSC_iPKfiiiSE_SE_iiiii
    .private_segment_fixed_size: 0
    .sgpr_count:     54
    .sgpr_spill_count: 0
    .symbol:         _ZN4vllm25paged_attention_v2_kernelI14__hip_bfloat16hLi112ELi16ELi128ELNS_18Fp8KVCacheDataTypeE1ELb0ELi512EEEvPfS3_PT_PKS4_PKT0_SA_ifPKiSC_iPKfiiiSE_SE_iiiii.kd
    .uniform_work_group_size: 1
    .uses_dynamic_stack: false
    .vgpr_count:     75
    .vgpr_spill_count: 0
    .wavefront_size: 64
  - .agpr_count:     0
    .args:
      - .actual_access:  write_only
        .address_space:  global
        .offset:         0
        .size:           8
        .value_kind:     global_buffer
      - .actual_access:  write_only
        .address_space:  global
        .offset:         8
        .size:           8
        .value_kind:     global_buffer
      - .actual_access:  write_only
        .address_space:  global
        .offset:         16
        .size:           8
        .value_kind:     global_buffer
      - .actual_access:  read_only
        .address_space:  global
        .offset:         24
        .size:           8
        .value_kind:     global_buffer
      - .actual_access:  read_only
        .address_space:  global
        .offset:         32
        .size:           8
        .value_kind:     global_buffer
      - .actual_access:  read_only
        .address_space:  global
        .offset:         40
        .size:           8
        .value_kind:     global_buffer
      - .offset:         48
        .size:           4
        .value_kind:     by_value
      - .offset:         52
        .size:           4
        .value_kind:     by_value
      - .actual_access:  read_only
        .address_space:  global
        .offset:         56
        .size:           8
        .value_kind:     global_buffer
      - .actual_access:  read_only
        .address_space:  global
        .offset:         64
        .size:           8
        .value_kind:     global_buffer
      - .offset:         72
        .size:           4
        .value_kind:     by_value
      - .actual_access:  read_only
        .address_space:  global
        .offset:         80
        .size:           8
        .value_kind:     global_buffer
      - .offset:         88
        .size:           4
        .value_kind:     by_value
      - .offset:         92
        .size:           4
        .value_kind:     by_value
      - .offset:         96
        .size:           4
        .value_kind:     by_value
      - .address_space:  global
        .offset:         104
        .size:           8
        .value_kind:     global_buffer
      - .address_space:  global
        .offset:         112
        .size:           8
        .value_kind:     global_buffer
      - .offset:         120
        .size:           4
        .value_kind:     by_value
      - .offset:         124
        .size:           4
        .value_kind:     by_value
      - .offset:         128
        .size:           4
        .value_kind:     by_value
      - .offset:         132
        .size:           4
        .value_kind:     by_value
      - .offset:         136
        .size:           4
        .value_kind:     by_value
      - .offset:         144
        .size:           4
        .value_kind:     hidden_block_count_x
      - .offset:         148
        .size:           4
        .value_kind:     hidden_block_count_y
      - .offset:         152
        .size:           4
        .value_kind:     hidden_block_count_z
      - .offset:         156
        .size:           2
        .value_kind:     hidden_group_size_x
      - .offset:         158
        .size:           2
        .value_kind:     hidden_group_size_y
      - .offset:         160
        .size:           2
        .value_kind:     hidden_group_size_z
      - .offset:         162
        .size:           2
        .value_kind:     hidden_remainder_x
      - .offset:         164
        .size:           2
        .value_kind:     hidden_remainder_y
      - .offset:         166
        .size:           2
        .value_kind:     hidden_remainder_z
      - .offset:         184
        .size:           8
        .value_kind:     hidden_global_offset_x
      - .offset:         192
        .size:           8
        .value_kind:     hidden_global_offset_y
      - .offset:         200
        .size:           8
        .value_kind:     hidden_global_offset_z
      - .offset:         208
        .size:           2
        .value_kind:     hidden_grid_dims
      - .offset:         264
        .size:           4
        .value_kind:     hidden_dynamic_lds_size
    .group_segment_fixed_size: 256
    .kernarg_segment_align: 8
    .kernarg_segment_size: 400
    .language:       OpenCL C
    .language_version:
      - 2
      - 0
    .max_flat_workgroup_size: 1024
    .name:           _ZN4vllm25paged_attention_v2_kernelI14__hip_bfloat16hLi120ELi16ELi128ELNS_18Fp8KVCacheDataTypeE1ELb0ELi512EEEvPfS3_PT_PKS4_PKT0_SA_ifPKiSC_iPKfiiiSE_SE_iiiii
    .private_segment_fixed_size: 0
    .sgpr_count:     54
    .sgpr_spill_count: 0
    .symbol:         _ZN4vllm25paged_attention_v2_kernelI14__hip_bfloat16hLi120ELi16ELi128ELNS_18Fp8KVCacheDataTypeE1ELb0ELi512EEEvPfS3_PT_PKS4_PKT0_SA_ifPKiSC_iPKfiiiSE_SE_iiiii.kd
    .uniform_work_group_size: 1
    .uses_dynamic_stack: false
    .vgpr_count:     79
    .vgpr_spill_count: 0
    .wavefront_size: 64
  - .agpr_count:     0
    .args:
      - .actual_access:  write_only
        .address_space:  global
        .offset:         0
        .size:           8
        .value_kind:     global_buffer
      - .actual_access:  write_only
        .address_space:  global
        .offset:         8
        .size:           8
        .value_kind:     global_buffer
      - .actual_access:  write_only
        .address_space:  global
        .offset:         16
        .size:           8
        .value_kind:     global_buffer
      - .actual_access:  read_only
        .address_space:  global
        .offset:         24
        .size:           8
        .value_kind:     global_buffer
      - .actual_access:  read_only
        .address_space:  global
        .offset:         32
        .size:           8
        .value_kind:     global_buffer
      - .actual_access:  read_only
        .address_space:  global
        .offset:         40
        .size:           8
        .value_kind:     global_buffer
      - .offset:         48
        .size:           4
        .value_kind:     by_value
      - .offset:         52
        .size:           4
        .value_kind:     by_value
      - .actual_access:  read_only
        .address_space:  global
        .offset:         56
        .size:           8
        .value_kind:     global_buffer
      - .actual_access:  read_only
        .address_space:  global
        .offset:         64
        .size:           8
        .value_kind:     global_buffer
      - .offset:         72
        .size:           4
        .value_kind:     by_value
      - .actual_access:  read_only
        .address_space:  global
        .offset:         80
        .size:           8
        .value_kind:     global_buffer
      - .offset:         88
        .size:           4
        .value_kind:     by_value
      - .offset:         92
        .size:           4
        .value_kind:     by_value
      - .offset:         96
        .size:           4
        .value_kind:     by_value
      - .address_space:  global
        .offset:         104
        .size:           8
        .value_kind:     global_buffer
      - .address_space:  global
        .offset:         112
        .size:           8
        .value_kind:     global_buffer
      - .offset:         120
        .size:           4
        .value_kind:     by_value
      - .offset:         124
        .size:           4
        .value_kind:     by_value
      - .offset:         128
        .size:           4
        .value_kind:     by_value
      - .offset:         132
        .size:           4
        .value_kind:     by_value
      - .offset:         136
        .size:           4
        .value_kind:     by_value
      - .offset:         144
        .size:           4
        .value_kind:     hidden_block_count_x
      - .offset:         148
        .size:           4
        .value_kind:     hidden_block_count_y
      - .offset:         152
        .size:           4
        .value_kind:     hidden_block_count_z
      - .offset:         156
        .size:           2
        .value_kind:     hidden_group_size_x
      - .offset:         158
        .size:           2
        .value_kind:     hidden_group_size_y
      - .offset:         160
        .size:           2
        .value_kind:     hidden_group_size_z
      - .offset:         162
        .size:           2
        .value_kind:     hidden_remainder_x
      - .offset:         164
        .size:           2
        .value_kind:     hidden_remainder_y
      - .offset:         166
        .size:           2
        .value_kind:     hidden_remainder_z
      - .offset:         184
        .size:           8
        .value_kind:     hidden_global_offset_x
      - .offset:         192
        .size:           8
        .value_kind:     hidden_global_offset_y
      - .offset:         200
        .size:           8
        .value_kind:     hidden_global_offset_z
      - .offset:         208
        .size:           2
        .value_kind:     hidden_grid_dims
      - .offset:         264
        .size:           4
        .value_kind:     hidden_dynamic_lds_size
    .group_segment_fixed_size: 272
    .kernarg_segment_align: 8
    .kernarg_segment_size: 400
    .language:       OpenCL C
    .language_version:
      - 2
      - 0
    .max_flat_workgroup_size: 1024
    .name:           _ZN4vllm25paged_attention_v2_kernelI14__hip_bfloat16hLi128ELi16ELi128ELNS_18Fp8KVCacheDataTypeE1ELb0ELi512EEEvPfS3_PT_PKS4_PKT0_SA_ifPKiSC_iPKfiiiSE_SE_iiiii
    .private_segment_fixed_size: 0
    .sgpr_count:     56
    .sgpr_spill_count: 0
    .symbol:         _ZN4vllm25paged_attention_v2_kernelI14__hip_bfloat16hLi128ELi16ELi128ELNS_18Fp8KVCacheDataTypeE1ELb0ELi512EEEvPfS3_PT_PKS4_PKT0_SA_ifPKiSC_iPKfiiiSE_SE_iiiii.kd
    .uniform_work_group_size: 1
    .uses_dynamic_stack: false
    .vgpr_count:     83
    .vgpr_spill_count: 0
    .wavefront_size: 64
  - .agpr_count:     0
    .args:
      - .actual_access:  write_only
        .address_space:  global
        .offset:         0
        .size:           8
        .value_kind:     global_buffer
      - .actual_access:  write_only
        .address_space:  global
        .offset:         8
        .size:           8
        .value_kind:     global_buffer
      - .actual_access:  write_only
        .address_space:  global
        .offset:         16
        .size:           8
        .value_kind:     global_buffer
      - .actual_access:  read_only
        .address_space:  global
        .offset:         24
        .size:           8
        .value_kind:     global_buffer
      - .actual_access:  read_only
        .address_space:  global
        .offset:         32
        .size:           8
        .value_kind:     global_buffer
      - .actual_access:  read_only
        .address_space:  global
        .offset:         40
        .size:           8
        .value_kind:     global_buffer
      - .offset:         48
        .size:           4
        .value_kind:     by_value
      - .offset:         52
        .size:           4
        .value_kind:     by_value
      - .actual_access:  read_only
        .address_space:  global
        .offset:         56
        .size:           8
        .value_kind:     global_buffer
      - .actual_access:  read_only
        .address_space:  global
        .offset:         64
        .size:           8
        .value_kind:     global_buffer
      - .offset:         72
        .size:           4
        .value_kind:     by_value
      - .actual_access:  read_only
        .address_space:  global
        .offset:         80
        .size:           8
        .value_kind:     global_buffer
      - .offset:         88
        .size:           4
        .value_kind:     by_value
      - .offset:         92
        .size:           4
        .value_kind:     by_value
      - .offset:         96
        .size:           4
        .value_kind:     by_value
      - .address_space:  global
        .offset:         104
        .size:           8
        .value_kind:     global_buffer
      - .address_space:  global
        .offset:         112
        .size:           8
        .value_kind:     global_buffer
      - .offset:         120
        .size:           4
        .value_kind:     by_value
      - .offset:         124
        .size:           4
        .value_kind:     by_value
      - .offset:         128
        .size:           4
        .value_kind:     by_value
      - .offset:         132
        .size:           4
        .value_kind:     by_value
      - .offset:         136
        .size:           4
        .value_kind:     by_value
      - .offset:         144
        .size:           4
        .value_kind:     hidden_block_count_x
      - .offset:         148
        .size:           4
        .value_kind:     hidden_block_count_y
      - .offset:         152
        .size:           4
        .value_kind:     hidden_block_count_z
      - .offset:         156
        .size:           2
        .value_kind:     hidden_group_size_x
      - .offset:         158
        .size:           2
        .value_kind:     hidden_group_size_y
      - .offset:         160
        .size:           2
        .value_kind:     hidden_group_size_z
      - .offset:         162
        .size:           2
        .value_kind:     hidden_remainder_x
      - .offset:         164
        .size:           2
        .value_kind:     hidden_remainder_y
      - .offset:         166
        .size:           2
        .value_kind:     hidden_remainder_z
      - .offset:         184
        .size:           8
        .value_kind:     hidden_global_offset_x
      - .offset:         192
        .size:           8
        .value_kind:     hidden_global_offset_y
      - .offset:         200
        .size:           8
        .value_kind:     hidden_global_offset_z
      - .offset:         208
        .size:           2
        .value_kind:     hidden_grid_dims
      - .offset:         264
        .size:           4
        .value_kind:     hidden_dynamic_lds_size
    .group_segment_fixed_size: 400
    .kernarg_segment_align: 8
    .kernarg_segment_size: 400
    .language:       OpenCL C
    .language_version:
      - 2
      - 0
    .max_flat_workgroup_size: 1024
    .name:           _ZN4vllm25paged_attention_v2_kernelI14__hip_bfloat16hLi192ELi16ELi128ELNS_18Fp8KVCacheDataTypeE1ELb0ELi512EEEvPfS3_PT_PKS4_PKT0_SA_ifPKiSC_iPKfiiiSE_SE_iiiii
    .private_segment_fixed_size: 0
    .sgpr_count:     54
    .sgpr_spill_count: 0
    .symbol:         _ZN4vllm25paged_attention_v2_kernelI14__hip_bfloat16hLi192ELi16ELi128ELNS_18Fp8KVCacheDataTypeE1ELb0ELi512EEEvPfS3_PT_PKS4_PKT0_SA_ifPKiSC_iPKfiiiSE_SE_iiiii.kd
    .uniform_work_group_size: 1
    .uses_dynamic_stack: false
    .vgpr_count:     115
    .vgpr_spill_count: 0
    .wavefront_size: 64
  - .agpr_count:     64
    .args:
      - .actual_access:  write_only
        .address_space:  global
        .offset:         0
        .size:           8
        .value_kind:     global_buffer
      - .actual_access:  write_only
        .address_space:  global
        .offset:         8
        .size:           8
        .value_kind:     global_buffer
      - .actual_access:  write_only
        .address_space:  global
        .offset:         16
        .size:           8
        .value_kind:     global_buffer
      - .actual_access:  read_only
        .address_space:  global
        .offset:         24
        .size:           8
        .value_kind:     global_buffer
      - .actual_access:  read_only
        .address_space:  global
        .offset:         32
        .size:           8
        .value_kind:     global_buffer
      - .actual_access:  read_only
        .address_space:  global
        .offset:         40
        .size:           8
        .value_kind:     global_buffer
      - .offset:         48
        .size:           4
        .value_kind:     by_value
      - .offset:         52
        .size:           4
        .value_kind:     by_value
      - .actual_access:  read_only
        .address_space:  global
        .offset:         56
        .size:           8
        .value_kind:     global_buffer
      - .actual_access:  read_only
        .address_space:  global
        .offset:         64
        .size:           8
        .value_kind:     global_buffer
      - .offset:         72
        .size:           4
        .value_kind:     by_value
      - .address_space:  global
        .offset:         80
        .size:           8
        .value_kind:     global_buffer
      - .offset:         88
        .size:           4
        .value_kind:     by_value
      - .offset:         92
        .size:           4
        .value_kind:     by_value
      - .offset:         96
        .size:           4
        .value_kind:     by_value
      - .address_space:  global
        .offset:         104
        .size:           8
        .value_kind:     global_buffer
      - .address_space:  global
        .offset:         112
        .size:           8
        .value_kind:     global_buffer
      - .offset:         120
        .size:           4
        .value_kind:     by_value
      - .offset:         124
        .size:           4
        .value_kind:     by_value
      - .offset:         128
        .size:           4
        .value_kind:     by_value
      - .offset:         132
        .size:           4
        .value_kind:     by_value
      - .offset:         136
        .size:           4
        .value_kind:     by_value
      - .offset:         144
        .size:           4
        .value_kind:     hidden_block_count_x
      - .offset:         148
        .size:           4
        .value_kind:     hidden_block_count_y
      - .offset:         152
        .size:           4
        .value_kind:     hidden_block_count_z
      - .offset:         156
        .size:           2
        .value_kind:     hidden_group_size_x
      - .offset:         158
        .size:           2
        .value_kind:     hidden_group_size_y
      - .offset:         160
        .size:           2
        .value_kind:     hidden_group_size_z
      - .offset:         162
        .size:           2
        .value_kind:     hidden_remainder_x
      - .offset:         164
        .size:           2
        .value_kind:     hidden_remainder_y
      - .offset:         166
        .size:           2
        .value_kind:     hidden_remainder_z
      - .offset:         184
        .size:           8
        .value_kind:     hidden_global_offset_x
      - .offset:         192
        .size:           8
        .value_kind:     hidden_global_offset_y
      - .offset:         200
        .size:           8
        .value_kind:     hidden_global_offset_z
      - .offset:         208
        .size:           2
        .value_kind:     hidden_grid_dims
      - .offset:         264
        .size:           4
        .value_kind:     hidden_dynamic_lds_size
    .group_segment_fixed_size: 528
    .kernarg_segment_align: 8
    .kernarg_segment_size: 400
    .language:       OpenCL C
    .language_version:
      - 2
      - 0
    .max_flat_workgroup_size: 1024
    .name:           _ZN4vllm25paged_attention_v2_kernelI14__hip_bfloat16hLi256ELi16ELi128ELNS_18Fp8KVCacheDataTypeE1ELb0ELi512EEEvPfS3_PT_PKS4_PKT0_SA_ifPKiSC_iPKfiiiSE_SE_iiiii
    .private_segment_fixed_size: 376
    .sgpr_count:     50
    .sgpr_spill_count: 0
    .symbol:         _ZN4vllm25paged_attention_v2_kernelI14__hip_bfloat16hLi256ELi16ELi128ELNS_18Fp8KVCacheDataTypeE1ELb0ELi512EEEvPfS3_PT_PKS4_PKT0_SA_ifPKiSC_iPKfiiiSE_SE_iiiii.kd
    .uniform_work_group_size: 1
    .uses_dynamic_stack: false
    .vgpr_count:     128
    .vgpr_spill_count: 0
    .wavefront_size: 64
  - .agpr_count:     0
    .args:
      - .actual_access:  write_only
        .address_space:  global
        .offset:         0
        .size:           8
        .value_kind:     global_buffer
      - .actual_access:  write_only
        .address_space:  global
        .offset:         8
        .size:           8
        .value_kind:     global_buffer
      - .actual_access:  write_only
        .address_space:  global
        .offset:         16
        .size:           8
        .value_kind:     global_buffer
      - .actual_access:  read_only
        .address_space:  global
        .offset:         24
        .size:           8
        .value_kind:     global_buffer
      - .actual_access:  read_only
        .address_space:  global
        .offset:         32
        .size:           8
        .value_kind:     global_buffer
      - .actual_access:  read_only
        .address_space:  global
        .offset:         40
        .size:           8
        .value_kind:     global_buffer
      - .offset:         48
        .size:           4
        .value_kind:     by_value
      - .offset:         52
        .size:           4
        .value_kind:     by_value
      - .actual_access:  read_only
        .address_space:  global
        .offset:         56
        .size:           8
        .value_kind:     global_buffer
      - .actual_access:  read_only
        .address_space:  global
        .offset:         64
        .size:           8
        .value_kind:     global_buffer
      - .offset:         72
        .size:           4
        .value_kind:     by_value
      - .actual_access:  read_only
        .address_space:  global
        .offset:         80
        .size:           8
        .value_kind:     global_buffer
      - .offset:         88
        .size:           4
        .value_kind:     by_value
      - .offset:         92
        .size:           4
        .value_kind:     by_value
      - .offset:         96
        .size:           4
        .value_kind:     by_value
      - .address_space:  global
        .offset:         104
        .size:           8
        .value_kind:     global_buffer
      - .address_space:  global
        .offset:         112
        .size:           8
        .value_kind:     global_buffer
      - .offset:         120
        .size:           4
        .value_kind:     by_value
      - .offset:         124
        .size:           4
        .value_kind:     by_value
      - .offset:         128
        .size:           4
        .value_kind:     by_value
      - .offset:         132
        .size:           4
        .value_kind:     by_value
      - .offset:         136
        .size:           4
        .value_kind:     by_value
      - .offset:         144
        .size:           4
        .value_kind:     hidden_block_count_x
      - .offset:         148
        .size:           4
        .value_kind:     hidden_block_count_y
      - .offset:         152
        .size:           4
        .value_kind:     hidden_block_count_z
      - .offset:         156
        .size:           2
        .value_kind:     hidden_group_size_x
      - .offset:         158
        .size:           2
        .value_kind:     hidden_group_size_y
      - .offset:         160
        .size:           2
        .value_kind:     hidden_group_size_z
      - .offset:         162
        .size:           2
        .value_kind:     hidden_remainder_x
      - .offset:         164
        .size:           2
        .value_kind:     hidden_remainder_y
      - .offset:         166
        .size:           2
        .value_kind:     hidden_remainder_z
      - .offset:         184
        .size:           8
        .value_kind:     hidden_global_offset_x
      - .offset:         192
        .size:           8
        .value_kind:     hidden_global_offset_y
      - .offset:         200
        .size:           8
        .value_kind:     hidden_global_offset_z
      - .offset:         208
        .size:           2
        .value_kind:     hidden_grid_dims
      - .offset:         264
        .size:           4
        .value_kind:     hidden_dynamic_lds_size
    .group_segment_fixed_size: 80
    .kernarg_segment_align: 8
    .kernarg_segment_size: 400
    .language:       OpenCL C
    .language_version:
      - 2
      - 0
    .max_flat_workgroup_size: 1024
    .name:           _ZN4vllm25paged_attention_v2_kernelI14__hip_bfloat16hLi32ELi32ELi128ELNS_18Fp8KVCacheDataTypeE1ELb1ELi512EEEvPfS3_PT_PKS4_PKT0_SA_ifPKiSC_iPKfiiiSE_SE_iiiii
    .private_segment_fixed_size: 0
    .sgpr_count:     65
    .sgpr_spill_count: 0
    .symbol:         _ZN4vllm25paged_attention_v2_kernelI14__hip_bfloat16hLi32ELi32ELi128ELNS_18Fp8KVCacheDataTypeE1ELb1ELi512EEEvPfS3_PT_PKS4_PKT0_SA_ifPKiSC_iPKfiiiSE_SE_iiiii.kd
    .uniform_work_group_size: 1
    .uses_dynamic_stack: false
    .vgpr_count:     57
    .vgpr_spill_count: 0
    .wavefront_size: 64
  - .agpr_count:     0
    .args:
      - .actual_access:  write_only
        .address_space:  global
        .offset:         0
        .size:           8
        .value_kind:     global_buffer
      - .actual_access:  write_only
        .address_space:  global
        .offset:         8
        .size:           8
        .value_kind:     global_buffer
      - .actual_access:  write_only
        .address_space:  global
        .offset:         16
        .size:           8
        .value_kind:     global_buffer
      - .actual_access:  read_only
        .address_space:  global
        .offset:         24
        .size:           8
        .value_kind:     global_buffer
      - .actual_access:  read_only
        .address_space:  global
        .offset:         32
        .size:           8
        .value_kind:     global_buffer
      - .actual_access:  read_only
        .address_space:  global
        .offset:         40
        .size:           8
        .value_kind:     global_buffer
      - .offset:         48
        .size:           4
        .value_kind:     by_value
      - .offset:         52
        .size:           4
        .value_kind:     by_value
      - .actual_access:  read_only
        .address_space:  global
        .offset:         56
        .size:           8
        .value_kind:     global_buffer
      - .actual_access:  read_only
        .address_space:  global
        .offset:         64
        .size:           8
        .value_kind:     global_buffer
      - .offset:         72
        .size:           4
        .value_kind:     by_value
      - .actual_access:  read_only
        .address_space:  global
        .offset:         80
        .size:           8
        .value_kind:     global_buffer
      - .offset:         88
        .size:           4
        .value_kind:     by_value
      - .offset:         92
        .size:           4
        .value_kind:     by_value
      - .offset:         96
        .size:           4
        .value_kind:     by_value
      - .address_space:  global
        .offset:         104
        .size:           8
        .value_kind:     global_buffer
      - .address_space:  global
        .offset:         112
        .size:           8
        .value_kind:     global_buffer
      - .offset:         120
        .size:           4
        .value_kind:     by_value
      - .offset:         124
        .size:           4
        .value_kind:     by_value
      - .offset:         128
        .size:           4
        .value_kind:     by_value
      - .offset:         132
        .size:           4
        .value_kind:     by_value
      - .offset:         136
        .size:           4
        .value_kind:     by_value
      - .offset:         144
        .size:           4
        .value_kind:     hidden_block_count_x
      - .offset:         148
        .size:           4
        .value_kind:     hidden_block_count_y
      - .offset:         152
        .size:           4
        .value_kind:     hidden_block_count_z
      - .offset:         156
        .size:           2
        .value_kind:     hidden_group_size_x
      - .offset:         158
        .size:           2
        .value_kind:     hidden_group_size_y
      - .offset:         160
        .size:           2
        .value_kind:     hidden_group_size_z
      - .offset:         162
        .size:           2
        .value_kind:     hidden_remainder_x
      - .offset:         164
        .size:           2
        .value_kind:     hidden_remainder_y
      - .offset:         166
        .size:           2
        .value_kind:     hidden_remainder_z
      - .offset:         184
        .size:           8
        .value_kind:     hidden_global_offset_x
      - .offset:         192
        .size:           8
        .value_kind:     hidden_global_offset_y
      - .offset:         200
        .size:           8
        .value_kind:     hidden_global_offset_z
      - .offset:         208
        .size:           2
        .value_kind:     hidden_grid_dims
      - .offset:         264
        .size:           4
        .value_kind:     hidden_dynamic_lds_size
    .group_segment_fixed_size: 144
    .kernarg_segment_align: 8
    .kernarg_segment_size: 400
    .language:       OpenCL C
    .language_version:
      - 2
      - 0
    .max_flat_workgroup_size: 1024
    .name:           _ZN4vllm25paged_attention_v2_kernelI14__hip_bfloat16hLi64ELi32ELi128ELNS_18Fp8KVCacheDataTypeE1ELb1ELi512EEEvPfS3_PT_PKS4_PKT0_SA_ifPKiSC_iPKfiiiSE_SE_iiiii
    .private_segment_fixed_size: 0
    .sgpr_count:     65
    .sgpr_spill_count: 0
    .symbol:         _ZN4vllm25paged_attention_v2_kernelI14__hip_bfloat16hLi64ELi32ELi128ELNS_18Fp8KVCacheDataTypeE1ELb1ELi512EEEvPfS3_PT_PKS4_PKT0_SA_ifPKiSC_iPKfiiiSE_SE_iiiii.kd
    .uniform_work_group_size: 1
    .uses_dynamic_stack: false
    .vgpr_count:     89
    .vgpr_spill_count: 0
    .wavefront_size: 64
  - .agpr_count:     0
    .args:
      - .actual_access:  write_only
        .address_space:  global
        .offset:         0
        .size:           8
        .value_kind:     global_buffer
      - .actual_access:  write_only
        .address_space:  global
        .offset:         8
        .size:           8
        .value_kind:     global_buffer
      - .actual_access:  write_only
        .address_space:  global
        .offset:         16
        .size:           8
        .value_kind:     global_buffer
      - .actual_access:  read_only
        .address_space:  global
        .offset:         24
        .size:           8
        .value_kind:     global_buffer
      - .actual_access:  read_only
        .address_space:  global
        .offset:         32
        .size:           8
        .value_kind:     global_buffer
      - .actual_access:  read_only
        .address_space:  global
        .offset:         40
        .size:           8
        .value_kind:     global_buffer
      - .offset:         48
        .size:           4
        .value_kind:     by_value
      - .offset:         52
        .size:           4
        .value_kind:     by_value
      - .actual_access:  read_only
        .address_space:  global
        .offset:         56
        .size:           8
        .value_kind:     global_buffer
      - .actual_access:  read_only
        .address_space:  global
        .offset:         64
        .size:           8
        .value_kind:     global_buffer
      - .offset:         72
        .size:           4
        .value_kind:     by_value
      - .actual_access:  read_only
        .address_space:  global
        .offset:         80
        .size:           8
        .value_kind:     global_buffer
      - .offset:         88
        .size:           4
        .value_kind:     by_value
      - .offset:         92
        .size:           4
        .value_kind:     by_value
      - .offset:         96
        .size:           4
        .value_kind:     by_value
      - .address_space:  global
        .offset:         104
        .size:           8
        .value_kind:     global_buffer
      - .address_space:  global
        .offset:         112
        .size:           8
        .value_kind:     global_buffer
      - .offset:         120
        .size:           4
        .value_kind:     by_value
      - .offset:         124
        .size:           4
        .value_kind:     by_value
      - .offset:         128
        .size:           4
        .value_kind:     by_value
      - .offset:         132
        .size:           4
        .value_kind:     by_value
      - .offset:         136
        .size:           4
        .value_kind:     by_value
      - .offset:         144
        .size:           4
        .value_kind:     hidden_block_count_x
      - .offset:         148
        .size:           4
        .value_kind:     hidden_block_count_y
      - .offset:         152
        .size:           4
        .value_kind:     hidden_block_count_z
      - .offset:         156
        .size:           2
        .value_kind:     hidden_group_size_x
      - .offset:         158
        .size:           2
        .value_kind:     hidden_group_size_y
      - .offset:         160
        .size:           2
        .value_kind:     hidden_group_size_z
      - .offset:         162
        .size:           2
        .value_kind:     hidden_remainder_x
      - .offset:         164
        .size:           2
        .value_kind:     hidden_remainder_y
      - .offset:         166
        .size:           2
        .value_kind:     hidden_remainder_z
      - .offset:         184
        .size:           8
        .value_kind:     hidden_global_offset_x
      - .offset:         192
        .size:           8
        .value_kind:     hidden_global_offset_y
      - .offset:         200
        .size:           8
        .value_kind:     hidden_global_offset_z
      - .offset:         208
        .size:           2
        .value_kind:     hidden_grid_dims
      - .offset:         264
        .size:           4
        .value_kind:     hidden_dynamic_lds_size
    .group_segment_fixed_size: 176
    .kernarg_segment_align: 8
    .kernarg_segment_size: 400
    .language:       OpenCL C
    .language_version:
      - 2
      - 0
    .max_flat_workgroup_size: 1024
    .name:           _ZN4vllm25paged_attention_v2_kernelI14__hip_bfloat16hLi80ELi32ELi128ELNS_18Fp8KVCacheDataTypeE1ELb1ELi512EEEvPfS3_PT_PKS4_PKT0_SA_ifPKiSC_iPKfiiiSE_SE_iiiii
    .private_segment_fixed_size: 0
    .sgpr_count:     65
    .sgpr_spill_count: 0
    .symbol:         _ZN4vllm25paged_attention_v2_kernelI14__hip_bfloat16hLi80ELi32ELi128ELNS_18Fp8KVCacheDataTypeE1ELb1ELi512EEEvPfS3_PT_PKS4_PKT0_SA_ifPKiSC_iPKfiiiSE_SE_iiiii.kd
    .uniform_work_group_size: 1
    .uses_dynamic_stack: false
    .vgpr_count:     105
    .vgpr_spill_count: 0
    .wavefront_size: 64
  - .agpr_count:     0
    .args:
      - .actual_access:  write_only
        .address_space:  global
        .offset:         0
        .size:           8
        .value_kind:     global_buffer
      - .actual_access:  write_only
        .address_space:  global
        .offset:         8
        .size:           8
        .value_kind:     global_buffer
      - .actual_access:  write_only
        .address_space:  global
        .offset:         16
        .size:           8
        .value_kind:     global_buffer
      - .actual_access:  read_only
        .address_space:  global
        .offset:         24
        .size:           8
        .value_kind:     global_buffer
      - .actual_access:  read_only
        .address_space:  global
        .offset:         32
        .size:           8
        .value_kind:     global_buffer
      - .actual_access:  read_only
        .address_space:  global
        .offset:         40
        .size:           8
        .value_kind:     global_buffer
      - .offset:         48
        .size:           4
        .value_kind:     by_value
      - .offset:         52
        .size:           4
        .value_kind:     by_value
      - .actual_access:  read_only
        .address_space:  global
        .offset:         56
        .size:           8
        .value_kind:     global_buffer
      - .actual_access:  read_only
        .address_space:  global
        .offset:         64
        .size:           8
        .value_kind:     global_buffer
      - .offset:         72
        .size:           4
        .value_kind:     by_value
      - .actual_access:  read_only
        .address_space:  global
        .offset:         80
        .size:           8
        .value_kind:     global_buffer
      - .offset:         88
        .size:           4
        .value_kind:     by_value
      - .offset:         92
        .size:           4
        .value_kind:     by_value
      - .offset:         96
        .size:           4
        .value_kind:     by_value
      - .address_space:  global
        .offset:         104
        .size:           8
        .value_kind:     global_buffer
      - .address_space:  global
        .offset:         112
        .size:           8
        .value_kind:     global_buffer
      - .offset:         120
        .size:           4
        .value_kind:     by_value
      - .offset:         124
        .size:           4
        .value_kind:     by_value
      - .offset:         128
        .size:           4
        .value_kind:     by_value
      - .offset:         132
        .size:           4
        .value_kind:     by_value
      - .offset:         136
        .size:           4
        .value_kind:     by_value
      - .offset:         144
        .size:           4
        .value_kind:     hidden_block_count_x
      - .offset:         148
        .size:           4
        .value_kind:     hidden_block_count_y
      - .offset:         152
        .size:           4
        .value_kind:     hidden_block_count_z
      - .offset:         156
        .size:           2
        .value_kind:     hidden_group_size_x
      - .offset:         158
        .size:           2
        .value_kind:     hidden_group_size_y
      - .offset:         160
        .size:           2
        .value_kind:     hidden_group_size_z
      - .offset:         162
        .size:           2
        .value_kind:     hidden_remainder_x
      - .offset:         164
        .size:           2
        .value_kind:     hidden_remainder_y
      - .offset:         166
        .size:           2
        .value_kind:     hidden_remainder_z
      - .offset:         184
        .size:           8
        .value_kind:     hidden_global_offset_x
      - .offset:         192
        .size:           8
        .value_kind:     hidden_global_offset_y
      - .offset:         200
        .size:           8
        .value_kind:     hidden_global_offset_z
      - .offset:         208
        .size:           2
        .value_kind:     hidden_grid_dims
      - .offset:         264
        .size:           4
        .value_kind:     hidden_dynamic_lds_size
    .group_segment_fixed_size: 208
    .kernarg_segment_align: 8
    .kernarg_segment_size: 400
    .language:       OpenCL C
    .language_version:
      - 2
      - 0
    .max_flat_workgroup_size: 1024
    .name:           _ZN4vllm25paged_attention_v2_kernelI14__hip_bfloat16hLi96ELi32ELi128ELNS_18Fp8KVCacheDataTypeE1ELb1ELi512EEEvPfS3_PT_PKS4_PKT0_SA_ifPKiSC_iPKfiiiSE_SE_iiiii
    .private_segment_fixed_size: 0
    .sgpr_count:     65
    .sgpr_spill_count: 0
    .symbol:         _ZN4vllm25paged_attention_v2_kernelI14__hip_bfloat16hLi96ELi32ELi128ELNS_18Fp8KVCacheDataTypeE1ELb1ELi512EEEvPfS3_PT_PKS4_PKT0_SA_ifPKiSC_iPKfiiiSE_SE_iiiii.kd
    .uniform_work_group_size: 1
    .uses_dynamic_stack: false
    .vgpr_count:     121
    .vgpr_spill_count: 0
    .wavefront_size: 64
  - .agpr_count:     64
    .args:
      - .actual_access:  write_only
        .address_space:  global
        .offset:         0
        .size:           8
        .value_kind:     global_buffer
      - .actual_access:  write_only
        .address_space:  global
        .offset:         8
        .size:           8
        .value_kind:     global_buffer
      - .actual_access:  write_only
        .address_space:  global
        .offset:         16
        .size:           8
        .value_kind:     global_buffer
      - .actual_access:  read_only
        .address_space:  global
        .offset:         24
        .size:           8
        .value_kind:     global_buffer
      - .actual_access:  read_only
        .address_space:  global
        .offset:         32
        .size:           8
        .value_kind:     global_buffer
      - .actual_access:  read_only
        .address_space:  global
        .offset:         40
        .size:           8
        .value_kind:     global_buffer
      - .offset:         48
        .size:           4
        .value_kind:     by_value
      - .offset:         52
        .size:           4
        .value_kind:     by_value
      - .actual_access:  read_only
        .address_space:  global
        .offset:         56
        .size:           8
        .value_kind:     global_buffer
      - .actual_access:  read_only
        .address_space:  global
        .offset:         64
        .size:           8
        .value_kind:     global_buffer
      - .offset:         72
        .size:           4
        .value_kind:     by_value
      - .address_space:  global
        .offset:         80
        .size:           8
        .value_kind:     global_buffer
      - .offset:         88
        .size:           4
        .value_kind:     by_value
      - .offset:         92
        .size:           4
        .value_kind:     by_value
      - .offset:         96
        .size:           4
        .value_kind:     by_value
      - .address_space:  global
        .offset:         104
        .size:           8
        .value_kind:     global_buffer
      - .address_space:  global
        .offset:         112
        .size:           8
        .value_kind:     global_buffer
      - .offset:         120
        .size:           4
        .value_kind:     by_value
      - .offset:         124
        .size:           4
        .value_kind:     by_value
      - .offset:         128
        .size:           4
        .value_kind:     by_value
      - .offset:         132
        .size:           4
        .value_kind:     by_value
      - .offset:         136
        .size:           4
        .value_kind:     by_value
      - .offset:         144
        .size:           4
        .value_kind:     hidden_block_count_x
      - .offset:         148
        .size:           4
        .value_kind:     hidden_block_count_y
      - .offset:         152
        .size:           4
        .value_kind:     hidden_block_count_z
      - .offset:         156
        .size:           2
        .value_kind:     hidden_group_size_x
      - .offset:         158
        .size:           2
        .value_kind:     hidden_group_size_y
      - .offset:         160
        .size:           2
        .value_kind:     hidden_group_size_z
      - .offset:         162
        .size:           2
        .value_kind:     hidden_remainder_x
      - .offset:         164
        .size:           2
        .value_kind:     hidden_remainder_y
      - .offset:         166
        .size:           2
        .value_kind:     hidden_remainder_z
      - .offset:         184
        .size:           8
        .value_kind:     hidden_global_offset_x
      - .offset:         192
        .size:           8
        .value_kind:     hidden_global_offset_y
      - .offset:         200
        .size:           8
        .value_kind:     hidden_global_offset_z
      - .offset:         208
        .size:           2
        .value_kind:     hidden_grid_dims
      - .offset:         264
        .size:           4
        .value_kind:     hidden_dynamic_lds_size
    .group_segment_fixed_size: 240
    .kernarg_segment_align: 8
    .kernarg_segment_size: 400
    .language:       OpenCL C
    .language_version:
      - 2
      - 0
    .max_flat_workgroup_size: 1024
    .name:           _ZN4vllm25paged_attention_v2_kernelI14__hip_bfloat16hLi112ELi32ELi128ELNS_18Fp8KVCacheDataTypeE1ELb1ELi512EEEvPfS3_PT_PKS4_PKT0_SA_ifPKiSC_iPKfiiiSE_SE_iiiii
    .private_segment_fixed_size: 360
    .sgpr_count:     54
    .sgpr_spill_count: 0
    .symbol:         _ZN4vllm25paged_attention_v2_kernelI14__hip_bfloat16hLi112ELi32ELi128ELNS_18Fp8KVCacheDataTypeE1ELb1ELi512EEEvPfS3_PT_PKS4_PKT0_SA_ifPKiSC_iPKfiiiSE_SE_iiiii.kd
    .uniform_work_group_size: 1
    .uses_dynamic_stack: false
    .vgpr_count:     128
    .vgpr_spill_count: 0
    .wavefront_size: 64
  - .agpr_count:     64
    .args:
      - .actual_access:  write_only
        .address_space:  global
        .offset:         0
        .size:           8
        .value_kind:     global_buffer
      - .actual_access:  write_only
        .address_space:  global
        .offset:         8
        .size:           8
        .value_kind:     global_buffer
      - .actual_access:  write_only
        .address_space:  global
        .offset:         16
        .size:           8
        .value_kind:     global_buffer
      - .actual_access:  read_only
        .address_space:  global
        .offset:         24
        .size:           8
        .value_kind:     global_buffer
      - .actual_access:  read_only
        .address_space:  global
        .offset:         32
        .size:           8
        .value_kind:     global_buffer
      - .actual_access:  read_only
        .address_space:  global
        .offset:         40
        .size:           8
        .value_kind:     global_buffer
      - .offset:         48
        .size:           4
        .value_kind:     by_value
      - .offset:         52
        .size:           4
        .value_kind:     by_value
      - .actual_access:  read_only
        .address_space:  global
        .offset:         56
        .size:           8
        .value_kind:     global_buffer
      - .actual_access:  read_only
        .address_space:  global
        .offset:         64
        .size:           8
        .value_kind:     global_buffer
      - .offset:         72
        .size:           4
        .value_kind:     by_value
      - .address_space:  global
        .offset:         80
        .size:           8
        .value_kind:     global_buffer
      - .offset:         88
        .size:           4
        .value_kind:     by_value
      - .offset:         92
        .size:           4
        .value_kind:     by_value
      - .offset:         96
        .size:           4
        .value_kind:     by_value
      - .address_space:  global
        .offset:         104
        .size:           8
        .value_kind:     global_buffer
      - .address_space:  global
        .offset:         112
        .size:           8
        .value_kind:     global_buffer
      - .offset:         120
        .size:           4
        .value_kind:     by_value
      - .offset:         124
        .size:           4
        .value_kind:     by_value
      - .offset:         128
        .size:           4
        .value_kind:     by_value
      - .offset:         132
        .size:           4
        .value_kind:     by_value
      - .offset:         136
        .size:           4
        .value_kind:     by_value
      - .offset:         144
        .size:           4
        .value_kind:     hidden_block_count_x
      - .offset:         148
        .size:           4
        .value_kind:     hidden_block_count_y
      - .offset:         152
        .size:           4
        .value_kind:     hidden_block_count_z
      - .offset:         156
        .size:           2
        .value_kind:     hidden_group_size_x
      - .offset:         158
        .size:           2
        .value_kind:     hidden_group_size_y
      - .offset:         160
        .size:           2
        .value_kind:     hidden_group_size_z
      - .offset:         162
        .size:           2
        .value_kind:     hidden_remainder_x
      - .offset:         164
        .size:           2
        .value_kind:     hidden_remainder_y
      - .offset:         166
        .size:           2
        .value_kind:     hidden_remainder_z
      - .offset:         184
        .size:           8
        .value_kind:     hidden_global_offset_x
      - .offset:         192
        .size:           8
        .value_kind:     hidden_global_offset_y
      - .offset:         200
        .size:           8
        .value_kind:     hidden_global_offset_z
      - .offset:         208
        .size:           2
        .value_kind:     hidden_grid_dims
      - .offset:         264
        .size:           4
        .value_kind:     hidden_dynamic_lds_size
    .group_segment_fixed_size: 256
    .kernarg_segment_align: 8
    .kernarg_segment_size: 400
    .language:       OpenCL C
    .language_version:
      - 2
      - 0
    .max_flat_workgroup_size: 1024
    .name:           _ZN4vllm25paged_attention_v2_kernelI14__hip_bfloat16hLi120ELi32ELi128ELNS_18Fp8KVCacheDataTypeE1ELb1ELi512EEEvPfS3_PT_PKS4_PKT0_SA_ifPKiSC_iPKfiiiSE_SE_iiiii
    .private_segment_fixed_size: 380
    .sgpr_count:     54
    .sgpr_spill_count: 0
    .symbol:         _ZN4vllm25paged_attention_v2_kernelI14__hip_bfloat16hLi120ELi32ELi128ELNS_18Fp8KVCacheDataTypeE1ELb1ELi512EEEvPfS3_PT_PKS4_PKT0_SA_ifPKiSC_iPKfiiiSE_SE_iiiii.kd
    .uniform_work_group_size: 1
    .uses_dynamic_stack: false
    .vgpr_count:     128
    .vgpr_spill_count: 0
    .wavefront_size: 64
  - .agpr_count:     64
    .args:
      - .actual_access:  write_only
        .address_space:  global
        .offset:         0
        .size:           8
        .value_kind:     global_buffer
      - .actual_access:  write_only
        .address_space:  global
        .offset:         8
        .size:           8
        .value_kind:     global_buffer
      - .actual_access:  write_only
        .address_space:  global
        .offset:         16
        .size:           8
        .value_kind:     global_buffer
      - .actual_access:  read_only
        .address_space:  global
        .offset:         24
        .size:           8
        .value_kind:     global_buffer
      - .actual_access:  read_only
        .address_space:  global
        .offset:         32
        .size:           8
        .value_kind:     global_buffer
      - .actual_access:  read_only
        .address_space:  global
        .offset:         40
        .size:           8
        .value_kind:     global_buffer
      - .offset:         48
        .size:           4
        .value_kind:     by_value
      - .offset:         52
        .size:           4
        .value_kind:     by_value
      - .actual_access:  read_only
        .address_space:  global
        .offset:         56
        .size:           8
        .value_kind:     global_buffer
      - .actual_access:  read_only
        .address_space:  global
        .offset:         64
        .size:           8
        .value_kind:     global_buffer
      - .offset:         72
        .size:           4
        .value_kind:     by_value
      - .address_space:  global
        .offset:         80
        .size:           8
        .value_kind:     global_buffer
      - .offset:         88
        .size:           4
        .value_kind:     by_value
      - .offset:         92
        .size:           4
        .value_kind:     by_value
      - .offset:         96
        .size:           4
        .value_kind:     by_value
      - .address_space:  global
        .offset:         104
        .size:           8
        .value_kind:     global_buffer
      - .address_space:  global
        .offset:         112
        .size:           8
        .value_kind:     global_buffer
      - .offset:         120
        .size:           4
        .value_kind:     by_value
      - .offset:         124
        .size:           4
        .value_kind:     by_value
      - .offset:         128
        .size:           4
        .value_kind:     by_value
      - .offset:         132
        .size:           4
        .value_kind:     by_value
      - .offset:         136
        .size:           4
        .value_kind:     by_value
      - .offset:         144
        .size:           4
        .value_kind:     hidden_block_count_x
      - .offset:         148
        .size:           4
        .value_kind:     hidden_block_count_y
      - .offset:         152
        .size:           4
        .value_kind:     hidden_block_count_z
      - .offset:         156
        .size:           2
        .value_kind:     hidden_group_size_x
      - .offset:         158
        .size:           2
        .value_kind:     hidden_group_size_y
      - .offset:         160
        .size:           2
        .value_kind:     hidden_group_size_z
      - .offset:         162
        .size:           2
        .value_kind:     hidden_remainder_x
      - .offset:         164
        .size:           2
        .value_kind:     hidden_remainder_y
      - .offset:         166
        .size:           2
        .value_kind:     hidden_remainder_z
      - .offset:         184
        .size:           8
        .value_kind:     hidden_global_offset_x
      - .offset:         192
        .size:           8
        .value_kind:     hidden_global_offset_y
      - .offset:         200
        .size:           8
        .value_kind:     hidden_global_offset_z
      - .offset:         208
        .size:           2
        .value_kind:     hidden_grid_dims
      - .offset:         264
        .size:           4
        .value_kind:     hidden_dynamic_lds_size
    .group_segment_fixed_size: 272
    .kernarg_segment_align: 8
    .kernarg_segment_size: 400
    .language:       OpenCL C
    .language_version:
      - 2
      - 0
    .max_flat_workgroup_size: 1024
    .name:           _ZN4vllm25paged_attention_v2_kernelI14__hip_bfloat16hLi128ELi32ELi128ELNS_18Fp8KVCacheDataTypeE1ELb1ELi512EEEvPfS3_PT_PKS4_PKT0_SA_ifPKiSC_iPKfiiiSE_SE_iiiii
    .private_segment_fixed_size: 396
    .sgpr_count:     54
    .sgpr_spill_count: 0
    .symbol:         _ZN4vllm25paged_attention_v2_kernelI14__hip_bfloat16hLi128ELi32ELi128ELNS_18Fp8KVCacheDataTypeE1ELb1ELi512EEEvPfS3_PT_PKS4_PKT0_SA_ifPKiSC_iPKfiiiSE_SE_iiiii.kd
    .uniform_work_group_size: 1
    .uses_dynamic_stack: false
    .vgpr_count:     128
    .vgpr_spill_count: 0
    .wavefront_size: 64
  - .agpr_count:     64
    .args:
      - .actual_access:  write_only
        .address_space:  global
        .offset:         0
        .size:           8
        .value_kind:     global_buffer
      - .actual_access:  write_only
        .address_space:  global
        .offset:         8
        .size:           8
        .value_kind:     global_buffer
      - .actual_access:  write_only
        .address_space:  global
        .offset:         16
        .size:           8
        .value_kind:     global_buffer
      - .actual_access:  read_only
        .address_space:  global
        .offset:         24
        .size:           8
        .value_kind:     global_buffer
      - .actual_access:  read_only
        .address_space:  global
        .offset:         32
        .size:           8
        .value_kind:     global_buffer
      - .actual_access:  read_only
        .address_space:  global
        .offset:         40
        .size:           8
        .value_kind:     global_buffer
      - .offset:         48
        .size:           4
        .value_kind:     by_value
      - .offset:         52
        .size:           4
        .value_kind:     by_value
      - .actual_access:  read_only
        .address_space:  global
        .offset:         56
        .size:           8
        .value_kind:     global_buffer
      - .actual_access:  read_only
        .address_space:  global
        .offset:         64
        .size:           8
        .value_kind:     global_buffer
      - .offset:         72
        .size:           4
        .value_kind:     by_value
      - .address_space:  global
        .offset:         80
        .size:           8
        .value_kind:     global_buffer
      - .offset:         88
        .size:           4
        .value_kind:     by_value
      - .offset:         92
        .size:           4
        .value_kind:     by_value
      - .offset:         96
        .size:           4
        .value_kind:     by_value
      - .address_space:  global
        .offset:         104
        .size:           8
        .value_kind:     global_buffer
      - .address_space:  global
        .offset:         112
        .size:           8
        .value_kind:     global_buffer
      - .offset:         120
        .size:           4
        .value_kind:     by_value
      - .offset:         124
        .size:           4
        .value_kind:     by_value
      - .offset:         128
        .size:           4
        .value_kind:     by_value
      - .offset:         132
        .size:           4
        .value_kind:     by_value
      - .offset:         136
        .size:           4
        .value_kind:     by_value
      - .offset:         144
        .size:           4
        .value_kind:     hidden_block_count_x
      - .offset:         148
        .size:           4
        .value_kind:     hidden_block_count_y
      - .offset:         152
        .size:           4
        .value_kind:     hidden_block_count_z
      - .offset:         156
        .size:           2
        .value_kind:     hidden_group_size_x
      - .offset:         158
        .size:           2
        .value_kind:     hidden_group_size_y
      - .offset:         160
        .size:           2
        .value_kind:     hidden_group_size_z
      - .offset:         162
        .size:           2
        .value_kind:     hidden_remainder_x
      - .offset:         164
        .size:           2
        .value_kind:     hidden_remainder_y
      - .offset:         166
        .size:           2
        .value_kind:     hidden_remainder_z
      - .offset:         184
        .size:           8
        .value_kind:     hidden_global_offset_x
      - .offset:         192
        .size:           8
        .value_kind:     hidden_global_offset_y
      - .offset:         200
        .size:           8
        .value_kind:     hidden_global_offset_z
      - .offset:         208
        .size:           2
        .value_kind:     hidden_grid_dims
      - .offset:         264
        .size:           4
        .value_kind:     hidden_dynamic_lds_size
    .group_segment_fixed_size: 400
    .kernarg_segment_align: 8
    .kernarg_segment_size: 400
    .language:       OpenCL C
    .language_version:
      - 2
      - 0
    .max_flat_workgroup_size: 1024
    .name:           _ZN4vllm25paged_attention_v2_kernelI14__hip_bfloat16hLi192ELi32ELi128ELNS_18Fp8KVCacheDataTypeE1ELb1ELi512EEEvPfS3_PT_PKS4_PKT0_SA_ifPKiSC_iPKfiiiSE_SE_iiiii
    .private_segment_fixed_size: 600
    .sgpr_count:     54
    .sgpr_spill_count: 0
    .symbol:         _ZN4vllm25paged_attention_v2_kernelI14__hip_bfloat16hLi192ELi32ELi128ELNS_18Fp8KVCacheDataTypeE1ELb1ELi512EEEvPfS3_PT_PKS4_PKT0_SA_ifPKiSC_iPKfiiiSE_SE_iiiii.kd
    .uniform_work_group_size: 1
    .uses_dynamic_stack: false
    .vgpr_count:     128
    .vgpr_spill_count: 0
    .wavefront_size: 64
  - .agpr_count:     64
    .args:
      - .actual_access:  write_only
        .address_space:  global
        .offset:         0
        .size:           8
        .value_kind:     global_buffer
      - .actual_access:  write_only
        .address_space:  global
        .offset:         8
        .size:           8
        .value_kind:     global_buffer
      - .actual_access:  write_only
        .address_space:  global
        .offset:         16
        .size:           8
        .value_kind:     global_buffer
      - .actual_access:  read_only
        .address_space:  global
        .offset:         24
        .size:           8
        .value_kind:     global_buffer
      - .actual_access:  read_only
        .address_space:  global
        .offset:         32
        .size:           8
        .value_kind:     global_buffer
      - .actual_access:  read_only
        .address_space:  global
        .offset:         40
        .size:           8
        .value_kind:     global_buffer
      - .offset:         48
        .size:           4
        .value_kind:     by_value
      - .offset:         52
        .size:           4
        .value_kind:     by_value
      - .actual_access:  read_only
        .address_space:  global
        .offset:         56
        .size:           8
        .value_kind:     global_buffer
      - .actual_access:  read_only
        .address_space:  global
        .offset:         64
        .size:           8
        .value_kind:     global_buffer
      - .offset:         72
        .size:           4
        .value_kind:     by_value
      - .address_space:  global
        .offset:         80
        .size:           8
        .value_kind:     global_buffer
      - .offset:         88
        .size:           4
        .value_kind:     by_value
      - .offset:         92
        .size:           4
        .value_kind:     by_value
      - .offset:         96
        .size:           4
        .value_kind:     by_value
      - .address_space:  global
        .offset:         104
        .size:           8
        .value_kind:     global_buffer
      - .address_space:  global
        .offset:         112
        .size:           8
        .value_kind:     global_buffer
      - .offset:         120
        .size:           4
        .value_kind:     by_value
      - .offset:         124
        .size:           4
        .value_kind:     by_value
      - .offset:         128
        .size:           4
        .value_kind:     by_value
      - .offset:         132
        .size:           4
        .value_kind:     by_value
      - .offset:         136
        .size:           4
        .value_kind:     by_value
      - .offset:         144
        .size:           4
        .value_kind:     hidden_block_count_x
      - .offset:         148
        .size:           4
        .value_kind:     hidden_block_count_y
      - .offset:         152
        .size:           4
        .value_kind:     hidden_block_count_z
      - .offset:         156
        .size:           2
        .value_kind:     hidden_group_size_x
      - .offset:         158
        .size:           2
        .value_kind:     hidden_group_size_y
      - .offset:         160
        .size:           2
        .value_kind:     hidden_group_size_z
      - .offset:         162
        .size:           2
        .value_kind:     hidden_remainder_x
      - .offset:         164
        .size:           2
        .value_kind:     hidden_remainder_y
      - .offset:         166
        .size:           2
        .value_kind:     hidden_remainder_z
      - .offset:         184
        .size:           8
        .value_kind:     hidden_global_offset_x
      - .offset:         192
        .size:           8
        .value_kind:     hidden_global_offset_y
      - .offset:         200
        .size:           8
        .value_kind:     hidden_global_offset_z
      - .offset:         208
        .size:           2
        .value_kind:     hidden_grid_dims
      - .offset:         264
        .size:           4
        .value_kind:     hidden_dynamic_lds_size
    .group_segment_fixed_size: 528
    .kernarg_segment_align: 8
    .kernarg_segment_size: 400
    .language:       OpenCL C
    .language_version:
      - 2
      - 0
    .max_flat_workgroup_size: 1024
    .name:           _ZN4vllm25paged_attention_v2_kernelI14__hip_bfloat16hLi256ELi32ELi128ELNS_18Fp8KVCacheDataTypeE1ELb1ELi512EEEvPfS3_PT_PKS4_PKT0_SA_ifPKiSC_iPKfiiiSE_SE_iiiii
    .private_segment_fixed_size: 984
    .sgpr_count:     62
    .sgpr_spill_count: 0
    .symbol:         _ZN4vllm25paged_attention_v2_kernelI14__hip_bfloat16hLi256ELi32ELi128ELNS_18Fp8KVCacheDataTypeE1ELb1ELi512EEEvPfS3_PT_PKS4_PKT0_SA_ifPKiSC_iPKfiiiSE_SE_iiiii.kd
    .uniform_work_group_size: 1
    .uses_dynamic_stack: false
    .vgpr_count:     128
    .vgpr_spill_count: 0
    .wavefront_size: 64
  - .agpr_count:     0
    .args:
      - .actual_access:  write_only
        .address_space:  global
        .offset:         0
        .size:           8
        .value_kind:     global_buffer
      - .actual_access:  write_only
        .address_space:  global
        .offset:         8
        .size:           8
        .value_kind:     global_buffer
      - .actual_access:  write_only
        .address_space:  global
        .offset:         16
        .size:           8
        .value_kind:     global_buffer
      - .actual_access:  read_only
        .address_space:  global
        .offset:         24
        .size:           8
        .value_kind:     global_buffer
      - .actual_access:  read_only
        .address_space:  global
        .offset:         32
        .size:           8
        .value_kind:     global_buffer
      - .actual_access:  read_only
        .address_space:  global
        .offset:         40
        .size:           8
        .value_kind:     global_buffer
      - .offset:         48
        .size:           4
        .value_kind:     by_value
      - .offset:         52
        .size:           4
        .value_kind:     by_value
      - .actual_access:  read_only
        .address_space:  global
        .offset:         56
        .size:           8
        .value_kind:     global_buffer
      - .actual_access:  read_only
        .address_space:  global
        .offset:         64
        .size:           8
        .value_kind:     global_buffer
      - .offset:         72
        .size:           4
        .value_kind:     by_value
      - .actual_access:  read_only
        .address_space:  global
        .offset:         80
        .size:           8
        .value_kind:     global_buffer
      - .offset:         88
        .size:           4
        .value_kind:     by_value
      - .offset:         92
        .size:           4
        .value_kind:     by_value
      - .offset:         96
        .size:           4
        .value_kind:     by_value
      - .address_space:  global
        .offset:         104
        .size:           8
        .value_kind:     global_buffer
      - .address_space:  global
        .offset:         112
        .size:           8
        .value_kind:     global_buffer
      - .offset:         120
        .size:           4
        .value_kind:     by_value
      - .offset:         124
        .size:           4
        .value_kind:     by_value
      - .offset:         128
        .size:           4
        .value_kind:     by_value
      - .offset:         132
        .size:           4
        .value_kind:     by_value
      - .offset:         136
        .size:           4
        .value_kind:     by_value
      - .offset:         144
        .size:           4
        .value_kind:     hidden_block_count_x
      - .offset:         148
        .size:           4
        .value_kind:     hidden_block_count_y
      - .offset:         152
        .size:           4
        .value_kind:     hidden_block_count_z
      - .offset:         156
        .size:           2
        .value_kind:     hidden_group_size_x
      - .offset:         158
        .size:           2
        .value_kind:     hidden_group_size_y
      - .offset:         160
        .size:           2
        .value_kind:     hidden_group_size_z
      - .offset:         162
        .size:           2
        .value_kind:     hidden_remainder_x
      - .offset:         164
        .size:           2
        .value_kind:     hidden_remainder_y
      - .offset:         166
        .size:           2
        .value_kind:     hidden_remainder_z
      - .offset:         184
        .size:           8
        .value_kind:     hidden_global_offset_x
      - .offset:         192
        .size:           8
        .value_kind:     hidden_global_offset_y
      - .offset:         200
        .size:           8
        .value_kind:     hidden_global_offset_z
      - .offset:         208
        .size:           2
        .value_kind:     hidden_grid_dims
      - .offset:         264
        .size:           4
        .value_kind:     hidden_dynamic_lds_size
    .group_segment_fixed_size: 80
    .kernarg_segment_align: 8
    .kernarg_segment_size: 400
    .language:       OpenCL C
    .language_version:
      - 2
      - 0
    .max_flat_workgroup_size: 1024
    .name:           _ZN4vllm25paged_attention_v2_kernelI14__hip_bfloat16hLi32ELi32ELi128ELNS_18Fp8KVCacheDataTypeE1ELb0ELi512EEEvPfS3_PT_PKS4_PKT0_SA_ifPKiSC_iPKfiiiSE_SE_iiiii
    .private_segment_fixed_size: 0
    .sgpr_count:     53
    .sgpr_spill_count: 0
    .symbol:         _ZN4vllm25paged_attention_v2_kernelI14__hip_bfloat16hLi32ELi32ELi128ELNS_18Fp8KVCacheDataTypeE1ELb0ELi512EEEvPfS3_PT_PKS4_PKT0_SA_ifPKiSC_iPKfiiiSE_SE_iiiii.kd
    .uniform_work_group_size: 1
    .uses_dynamic_stack: false
    .vgpr_count:     51
    .vgpr_spill_count: 0
    .wavefront_size: 64
  - .agpr_count:     0
    .args:
      - .actual_access:  write_only
        .address_space:  global
        .offset:         0
        .size:           8
        .value_kind:     global_buffer
      - .actual_access:  write_only
        .address_space:  global
        .offset:         8
        .size:           8
        .value_kind:     global_buffer
      - .actual_access:  write_only
        .address_space:  global
        .offset:         16
        .size:           8
        .value_kind:     global_buffer
      - .actual_access:  read_only
        .address_space:  global
        .offset:         24
        .size:           8
        .value_kind:     global_buffer
      - .actual_access:  read_only
        .address_space:  global
        .offset:         32
        .size:           8
        .value_kind:     global_buffer
      - .actual_access:  read_only
        .address_space:  global
        .offset:         40
        .size:           8
        .value_kind:     global_buffer
      - .offset:         48
        .size:           4
        .value_kind:     by_value
      - .offset:         52
        .size:           4
        .value_kind:     by_value
      - .actual_access:  read_only
        .address_space:  global
        .offset:         56
        .size:           8
        .value_kind:     global_buffer
      - .actual_access:  read_only
        .address_space:  global
        .offset:         64
        .size:           8
        .value_kind:     global_buffer
      - .offset:         72
        .size:           4
        .value_kind:     by_value
      - .actual_access:  read_only
        .address_space:  global
        .offset:         80
        .size:           8
        .value_kind:     global_buffer
      - .offset:         88
        .size:           4
        .value_kind:     by_value
      - .offset:         92
        .size:           4
        .value_kind:     by_value
      - .offset:         96
        .size:           4
        .value_kind:     by_value
      - .address_space:  global
        .offset:         104
        .size:           8
        .value_kind:     global_buffer
      - .address_space:  global
        .offset:         112
        .size:           8
        .value_kind:     global_buffer
      - .offset:         120
        .size:           4
        .value_kind:     by_value
      - .offset:         124
        .size:           4
        .value_kind:     by_value
      - .offset:         128
        .size:           4
        .value_kind:     by_value
      - .offset:         132
        .size:           4
        .value_kind:     by_value
      - .offset:         136
        .size:           4
        .value_kind:     by_value
      - .offset:         144
        .size:           4
        .value_kind:     hidden_block_count_x
      - .offset:         148
        .size:           4
        .value_kind:     hidden_block_count_y
      - .offset:         152
        .size:           4
        .value_kind:     hidden_block_count_z
      - .offset:         156
        .size:           2
        .value_kind:     hidden_group_size_x
      - .offset:         158
        .size:           2
        .value_kind:     hidden_group_size_y
      - .offset:         160
        .size:           2
        .value_kind:     hidden_group_size_z
      - .offset:         162
        .size:           2
        .value_kind:     hidden_remainder_x
      - .offset:         164
        .size:           2
        .value_kind:     hidden_remainder_y
      - .offset:         166
        .size:           2
        .value_kind:     hidden_remainder_z
      - .offset:         184
        .size:           8
        .value_kind:     hidden_global_offset_x
      - .offset:         192
        .size:           8
        .value_kind:     hidden_global_offset_y
      - .offset:         200
        .size:           8
        .value_kind:     hidden_global_offset_z
      - .offset:         208
        .size:           2
        .value_kind:     hidden_grid_dims
      - .offset:         264
        .size:           4
        .value_kind:     hidden_dynamic_lds_size
    .group_segment_fixed_size: 144
    .kernarg_segment_align: 8
    .kernarg_segment_size: 400
    .language:       OpenCL C
    .language_version:
      - 2
      - 0
    .max_flat_workgroup_size: 1024
    .name:           _ZN4vllm25paged_attention_v2_kernelI14__hip_bfloat16hLi64ELi32ELi128ELNS_18Fp8KVCacheDataTypeE1ELb0ELi512EEEvPfS3_PT_PKS4_PKT0_SA_ifPKiSC_iPKfiiiSE_SE_iiiii
    .private_segment_fixed_size: 0
    .sgpr_count:     53
    .sgpr_spill_count: 0
    .symbol:         _ZN4vllm25paged_attention_v2_kernelI14__hip_bfloat16hLi64ELi32ELi128ELNS_18Fp8KVCacheDataTypeE1ELb0ELi512EEEvPfS3_PT_PKS4_PKT0_SA_ifPKiSC_iPKfiiiSE_SE_iiiii.kd
    .uniform_work_group_size: 1
    .uses_dynamic_stack: false
    .vgpr_count:     83
    .vgpr_spill_count: 0
    .wavefront_size: 64
  - .agpr_count:     0
    .args:
      - .actual_access:  write_only
        .address_space:  global
        .offset:         0
        .size:           8
        .value_kind:     global_buffer
      - .actual_access:  write_only
        .address_space:  global
        .offset:         8
        .size:           8
        .value_kind:     global_buffer
      - .actual_access:  write_only
        .address_space:  global
        .offset:         16
        .size:           8
        .value_kind:     global_buffer
      - .actual_access:  read_only
        .address_space:  global
        .offset:         24
        .size:           8
        .value_kind:     global_buffer
      - .actual_access:  read_only
        .address_space:  global
        .offset:         32
        .size:           8
        .value_kind:     global_buffer
      - .actual_access:  read_only
        .address_space:  global
        .offset:         40
        .size:           8
        .value_kind:     global_buffer
      - .offset:         48
        .size:           4
        .value_kind:     by_value
      - .offset:         52
        .size:           4
        .value_kind:     by_value
      - .actual_access:  read_only
        .address_space:  global
        .offset:         56
        .size:           8
        .value_kind:     global_buffer
      - .actual_access:  read_only
        .address_space:  global
        .offset:         64
        .size:           8
        .value_kind:     global_buffer
      - .offset:         72
        .size:           4
        .value_kind:     by_value
      - .actual_access:  read_only
        .address_space:  global
        .offset:         80
        .size:           8
        .value_kind:     global_buffer
      - .offset:         88
        .size:           4
        .value_kind:     by_value
      - .offset:         92
        .size:           4
        .value_kind:     by_value
      - .offset:         96
        .size:           4
        .value_kind:     by_value
      - .address_space:  global
        .offset:         104
        .size:           8
        .value_kind:     global_buffer
      - .address_space:  global
        .offset:         112
        .size:           8
        .value_kind:     global_buffer
      - .offset:         120
        .size:           4
        .value_kind:     by_value
      - .offset:         124
        .size:           4
        .value_kind:     by_value
      - .offset:         128
        .size:           4
        .value_kind:     by_value
      - .offset:         132
        .size:           4
        .value_kind:     by_value
      - .offset:         136
        .size:           4
        .value_kind:     by_value
      - .offset:         144
        .size:           4
        .value_kind:     hidden_block_count_x
      - .offset:         148
        .size:           4
        .value_kind:     hidden_block_count_y
      - .offset:         152
        .size:           4
        .value_kind:     hidden_block_count_z
      - .offset:         156
        .size:           2
        .value_kind:     hidden_group_size_x
      - .offset:         158
        .size:           2
        .value_kind:     hidden_group_size_y
      - .offset:         160
        .size:           2
        .value_kind:     hidden_group_size_z
      - .offset:         162
        .size:           2
        .value_kind:     hidden_remainder_x
      - .offset:         164
        .size:           2
        .value_kind:     hidden_remainder_y
      - .offset:         166
        .size:           2
        .value_kind:     hidden_remainder_z
      - .offset:         184
        .size:           8
        .value_kind:     hidden_global_offset_x
      - .offset:         192
        .size:           8
        .value_kind:     hidden_global_offset_y
      - .offset:         200
        .size:           8
        .value_kind:     hidden_global_offset_z
      - .offset:         208
        .size:           2
        .value_kind:     hidden_grid_dims
      - .offset:         264
        .size:           4
        .value_kind:     hidden_dynamic_lds_size
    .group_segment_fixed_size: 176
    .kernarg_segment_align: 8
    .kernarg_segment_size: 400
    .language:       OpenCL C
    .language_version:
      - 2
      - 0
    .max_flat_workgroup_size: 1024
    .name:           _ZN4vllm25paged_attention_v2_kernelI14__hip_bfloat16hLi80ELi32ELi128ELNS_18Fp8KVCacheDataTypeE1ELb0ELi512EEEvPfS3_PT_PKS4_PKT0_SA_ifPKiSC_iPKfiiiSE_SE_iiiii
    .private_segment_fixed_size: 0
    .sgpr_count:     53
    .sgpr_spill_count: 0
    .symbol:         _ZN4vllm25paged_attention_v2_kernelI14__hip_bfloat16hLi80ELi32ELi128ELNS_18Fp8KVCacheDataTypeE1ELb0ELi512EEEvPfS3_PT_PKS4_PKT0_SA_ifPKiSC_iPKfiiiSE_SE_iiiii.kd
    .uniform_work_group_size: 1
    .uses_dynamic_stack: false
    .vgpr_count:     99
    .vgpr_spill_count: 0
    .wavefront_size: 64
  - .agpr_count:     0
    .args:
      - .actual_access:  write_only
        .address_space:  global
        .offset:         0
        .size:           8
        .value_kind:     global_buffer
      - .actual_access:  write_only
        .address_space:  global
        .offset:         8
        .size:           8
        .value_kind:     global_buffer
      - .actual_access:  write_only
        .address_space:  global
        .offset:         16
        .size:           8
        .value_kind:     global_buffer
      - .actual_access:  read_only
        .address_space:  global
        .offset:         24
        .size:           8
        .value_kind:     global_buffer
      - .actual_access:  read_only
        .address_space:  global
        .offset:         32
        .size:           8
        .value_kind:     global_buffer
      - .actual_access:  read_only
        .address_space:  global
        .offset:         40
        .size:           8
        .value_kind:     global_buffer
      - .offset:         48
        .size:           4
        .value_kind:     by_value
      - .offset:         52
        .size:           4
        .value_kind:     by_value
      - .actual_access:  read_only
        .address_space:  global
        .offset:         56
        .size:           8
        .value_kind:     global_buffer
      - .actual_access:  read_only
        .address_space:  global
        .offset:         64
        .size:           8
        .value_kind:     global_buffer
      - .offset:         72
        .size:           4
        .value_kind:     by_value
      - .actual_access:  read_only
        .address_space:  global
        .offset:         80
        .size:           8
        .value_kind:     global_buffer
      - .offset:         88
        .size:           4
        .value_kind:     by_value
      - .offset:         92
        .size:           4
        .value_kind:     by_value
      - .offset:         96
        .size:           4
        .value_kind:     by_value
      - .address_space:  global
        .offset:         104
        .size:           8
        .value_kind:     global_buffer
      - .address_space:  global
        .offset:         112
        .size:           8
        .value_kind:     global_buffer
      - .offset:         120
        .size:           4
        .value_kind:     by_value
      - .offset:         124
        .size:           4
        .value_kind:     by_value
      - .offset:         128
        .size:           4
        .value_kind:     by_value
      - .offset:         132
        .size:           4
        .value_kind:     by_value
      - .offset:         136
        .size:           4
        .value_kind:     by_value
      - .offset:         144
        .size:           4
        .value_kind:     hidden_block_count_x
      - .offset:         148
        .size:           4
        .value_kind:     hidden_block_count_y
      - .offset:         152
        .size:           4
        .value_kind:     hidden_block_count_z
      - .offset:         156
        .size:           2
        .value_kind:     hidden_group_size_x
      - .offset:         158
        .size:           2
        .value_kind:     hidden_group_size_y
      - .offset:         160
        .size:           2
        .value_kind:     hidden_group_size_z
      - .offset:         162
        .size:           2
        .value_kind:     hidden_remainder_x
      - .offset:         164
        .size:           2
        .value_kind:     hidden_remainder_y
      - .offset:         166
        .size:           2
        .value_kind:     hidden_remainder_z
      - .offset:         184
        .size:           8
        .value_kind:     hidden_global_offset_x
      - .offset:         192
        .size:           8
        .value_kind:     hidden_global_offset_y
      - .offset:         200
        .size:           8
        .value_kind:     hidden_global_offset_z
      - .offset:         208
        .size:           2
        .value_kind:     hidden_grid_dims
      - .offset:         264
        .size:           4
        .value_kind:     hidden_dynamic_lds_size
    .group_segment_fixed_size: 208
    .kernarg_segment_align: 8
    .kernarg_segment_size: 400
    .language:       OpenCL C
    .language_version:
      - 2
      - 0
    .max_flat_workgroup_size: 1024
    .name:           _ZN4vllm25paged_attention_v2_kernelI14__hip_bfloat16hLi96ELi32ELi128ELNS_18Fp8KVCacheDataTypeE1ELb0ELi512EEEvPfS3_PT_PKS4_PKT0_SA_ifPKiSC_iPKfiiiSE_SE_iiiii
    .private_segment_fixed_size: 0
    .sgpr_count:     53
    .sgpr_spill_count: 0
    .symbol:         _ZN4vllm25paged_attention_v2_kernelI14__hip_bfloat16hLi96ELi32ELi128ELNS_18Fp8KVCacheDataTypeE1ELb0ELi512EEEvPfS3_PT_PKS4_PKT0_SA_ifPKiSC_iPKfiiiSE_SE_iiiii.kd
    .uniform_work_group_size: 1
    .uses_dynamic_stack: false
    .vgpr_count:     115
    .vgpr_spill_count: 0
    .wavefront_size: 64
  - .agpr_count:     64
    .args:
      - .actual_access:  write_only
        .address_space:  global
        .offset:         0
        .size:           8
        .value_kind:     global_buffer
      - .actual_access:  write_only
        .address_space:  global
        .offset:         8
        .size:           8
        .value_kind:     global_buffer
      - .actual_access:  write_only
        .address_space:  global
        .offset:         16
        .size:           8
        .value_kind:     global_buffer
      - .actual_access:  read_only
        .address_space:  global
        .offset:         24
        .size:           8
        .value_kind:     global_buffer
      - .actual_access:  read_only
        .address_space:  global
        .offset:         32
        .size:           8
        .value_kind:     global_buffer
      - .actual_access:  read_only
        .address_space:  global
        .offset:         40
        .size:           8
        .value_kind:     global_buffer
      - .offset:         48
        .size:           4
        .value_kind:     by_value
      - .offset:         52
        .size:           4
        .value_kind:     by_value
      - .actual_access:  read_only
        .address_space:  global
        .offset:         56
        .size:           8
        .value_kind:     global_buffer
      - .actual_access:  read_only
        .address_space:  global
        .offset:         64
        .size:           8
        .value_kind:     global_buffer
      - .offset:         72
        .size:           4
        .value_kind:     by_value
      - .address_space:  global
        .offset:         80
        .size:           8
        .value_kind:     global_buffer
      - .offset:         88
        .size:           4
        .value_kind:     by_value
      - .offset:         92
        .size:           4
        .value_kind:     by_value
      - .offset:         96
        .size:           4
        .value_kind:     by_value
      - .address_space:  global
        .offset:         104
        .size:           8
        .value_kind:     global_buffer
      - .address_space:  global
        .offset:         112
        .size:           8
        .value_kind:     global_buffer
      - .offset:         120
        .size:           4
        .value_kind:     by_value
      - .offset:         124
        .size:           4
        .value_kind:     by_value
      - .offset:         128
        .size:           4
        .value_kind:     by_value
      - .offset:         132
        .size:           4
        .value_kind:     by_value
      - .offset:         136
        .size:           4
        .value_kind:     by_value
      - .offset:         144
        .size:           4
        .value_kind:     hidden_block_count_x
      - .offset:         148
        .size:           4
        .value_kind:     hidden_block_count_y
      - .offset:         152
        .size:           4
        .value_kind:     hidden_block_count_z
      - .offset:         156
        .size:           2
        .value_kind:     hidden_group_size_x
      - .offset:         158
        .size:           2
        .value_kind:     hidden_group_size_y
      - .offset:         160
        .size:           2
        .value_kind:     hidden_group_size_z
      - .offset:         162
        .size:           2
        .value_kind:     hidden_remainder_x
      - .offset:         164
        .size:           2
        .value_kind:     hidden_remainder_y
      - .offset:         166
        .size:           2
        .value_kind:     hidden_remainder_z
      - .offset:         184
        .size:           8
        .value_kind:     hidden_global_offset_x
      - .offset:         192
        .size:           8
        .value_kind:     hidden_global_offset_y
      - .offset:         200
        .size:           8
        .value_kind:     hidden_global_offset_z
      - .offset:         208
        .size:           2
        .value_kind:     hidden_grid_dims
      - .offset:         264
        .size:           4
        .value_kind:     hidden_dynamic_lds_size
    .group_segment_fixed_size: 240
    .kernarg_segment_align: 8
    .kernarg_segment_size: 400
    .language:       OpenCL C
    .language_version:
      - 2
      - 0
    .max_flat_workgroup_size: 1024
    .name:           _ZN4vllm25paged_attention_v2_kernelI14__hip_bfloat16hLi112ELi32ELi128ELNS_18Fp8KVCacheDataTypeE1ELb0ELi512EEEvPfS3_PT_PKS4_PKT0_SA_ifPKiSC_iPKfiiiSE_SE_iiiii
    .private_segment_fixed_size: 312
    .sgpr_count:     50
    .sgpr_spill_count: 0
    .symbol:         _ZN4vllm25paged_attention_v2_kernelI14__hip_bfloat16hLi112ELi32ELi128ELNS_18Fp8KVCacheDataTypeE1ELb0ELi512EEEvPfS3_PT_PKS4_PKT0_SA_ifPKiSC_iPKfiiiSE_SE_iiiii.kd
    .uniform_work_group_size: 1
    .uses_dynamic_stack: false
    .vgpr_count:     128
    .vgpr_spill_count: 0
    .wavefront_size: 64
  - .agpr_count:     64
    .args:
      - .actual_access:  write_only
        .address_space:  global
        .offset:         0
        .size:           8
        .value_kind:     global_buffer
      - .actual_access:  write_only
        .address_space:  global
        .offset:         8
        .size:           8
        .value_kind:     global_buffer
      - .actual_access:  write_only
        .address_space:  global
        .offset:         16
        .size:           8
        .value_kind:     global_buffer
      - .actual_access:  read_only
        .address_space:  global
        .offset:         24
        .size:           8
        .value_kind:     global_buffer
      - .actual_access:  read_only
        .address_space:  global
        .offset:         32
        .size:           8
        .value_kind:     global_buffer
      - .actual_access:  read_only
        .address_space:  global
        .offset:         40
        .size:           8
        .value_kind:     global_buffer
      - .offset:         48
        .size:           4
        .value_kind:     by_value
      - .offset:         52
        .size:           4
        .value_kind:     by_value
      - .actual_access:  read_only
        .address_space:  global
        .offset:         56
        .size:           8
        .value_kind:     global_buffer
      - .actual_access:  read_only
        .address_space:  global
        .offset:         64
        .size:           8
        .value_kind:     global_buffer
      - .offset:         72
        .size:           4
        .value_kind:     by_value
      - .address_space:  global
        .offset:         80
        .size:           8
        .value_kind:     global_buffer
      - .offset:         88
        .size:           4
        .value_kind:     by_value
      - .offset:         92
        .size:           4
        .value_kind:     by_value
      - .offset:         96
        .size:           4
        .value_kind:     by_value
      - .address_space:  global
        .offset:         104
        .size:           8
        .value_kind:     global_buffer
      - .address_space:  global
        .offset:         112
        .size:           8
        .value_kind:     global_buffer
      - .offset:         120
        .size:           4
        .value_kind:     by_value
      - .offset:         124
        .size:           4
        .value_kind:     by_value
      - .offset:         128
        .size:           4
        .value_kind:     by_value
      - .offset:         132
        .size:           4
        .value_kind:     by_value
      - .offset:         136
        .size:           4
        .value_kind:     by_value
      - .offset:         144
        .size:           4
        .value_kind:     hidden_block_count_x
      - .offset:         148
        .size:           4
        .value_kind:     hidden_block_count_y
      - .offset:         152
        .size:           4
        .value_kind:     hidden_block_count_z
      - .offset:         156
        .size:           2
        .value_kind:     hidden_group_size_x
      - .offset:         158
        .size:           2
        .value_kind:     hidden_group_size_y
      - .offset:         160
        .size:           2
        .value_kind:     hidden_group_size_z
      - .offset:         162
        .size:           2
        .value_kind:     hidden_remainder_x
      - .offset:         164
        .size:           2
        .value_kind:     hidden_remainder_y
      - .offset:         166
        .size:           2
        .value_kind:     hidden_remainder_z
      - .offset:         184
        .size:           8
        .value_kind:     hidden_global_offset_x
      - .offset:         192
        .size:           8
        .value_kind:     hidden_global_offset_y
      - .offset:         200
        .size:           8
        .value_kind:     hidden_global_offset_z
      - .offset:         208
        .size:           2
        .value_kind:     hidden_grid_dims
      - .offset:         264
        .size:           4
        .value_kind:     hidden_dynamic_lds_size
    .group_segment_fixed_size: 256
    .kernarg_segment_align: 8
    .kernarg_segment_size: 400
    .language:       OpenCL C
    .language_version:
      - 2
      - 0
    .max_flat_workgroup_size: 1024
    .name:           _ZN4vllm25paged_attention_v2_kernelI14__hip_bfloat16hLi120ELi32ELi128ELNS_18Fp8KVCacheDataTypeE1ELb0ELi512EEEvPfS3_PT_PKS4_PKT0_SA_ifPKiSC_iPKfiiiSE_SE_iiiii
    .private_segment_fixed_size: 344
    .sgpr_count:     50
    .sgpr_spill_count: 0
    .symbol:         _ZN4vllm25paged_attention_v2_kernelI14__hip_bfloat16hLi120ELi32ELi128ELNS_18Fp8KVCacheDataTypeE1ELb0ELi512EEEvPfS3_PT_PKS4_PKT0_SA_ifPKiSC_iPKfiiiSE_SE_iiiii.kd
    .uniform_work_group_size: 1
    .uses_dynamic_stack: false
    .vgpr_count:     128
    .vgpr_spill_count: 0
    .wavefront_size: 64
  - .agpr_count:     64
    .args:
      - .actual_access:  write_only
        .address_space:  global
        .offset:         0
        .size:           8
        .value_kind:     global_buffer
      - .actual_access:  write_only
        .address_space:  global
        .offset:         8
        .size:           8
        .value_kind:     global_buffer
      - .actual_access:  write_only
        .address_space:  global
        .offset:         16
        .size:           8
        .value_kind:     global_buffer
      - .actual_access:  read_only
        .address_space:  global
        .offset:         24
        .size:           8
        .value_kind:     global_buffer
      - .actual_access:  read_only
        .address_space:  global
        .offset:         32
        .size:           8
        .value_kind:     global_buffer
      - .actual_access:  read_only
        .address_space:  global
        .offset:         40
        .size:           8
        .value_kind:     global_buffer
      - .offset:         48
        .size:           4
        .value_kind:     by_value
      - .offset:         52
        .size:           4
        .value_kind:     by_value
      - .actual_access:  read_only
        .address_space:  global
        .offset:         56
        .size:           8
        .value_kind:     global_buffer
      - .actual_access:  read_only
        .address_space:  global
        .offset:         64
        .size:           8
        .value_kind:     global_buffer
      - .offset:         72
        .size:           4
        .value_kind:     by_value
      - .address_space:  global
        .offset:         80
        .size:           8
        .value_kind:     global_buffer
      - .offset:         88
        .size:           4
        .value_kind:     by_value
      - .offset:         92
        .size:           4
        .value_kind:     by_value
      - .offset:         96
        .size:           4
        .value_kind:     by_value
      - .address_space:  global
        .offset:         104
        .size:           8
        .value_kind:     global_buffer
      - .address_space:  global
        .offset:         112
        .size:           8
        .value_kind:     global_buffer
      - .offset:         120
        .size:           4
        .value_kind:     by_value
      - .offset:         124
        .size:           4
        .value_kind:     by_value
      - .offset:         128
        .size:           4
        .value_kind:     by_value
      - .offset:         132
        .size:           4
        .value_kind:     by_value
      - .offset:         136
        .size:           4
        .value_kind:     by_value
      - .offset:         144
        .size:           4
        .value_kind:     hidden_block_count_x
      - .offset:         148
        .size:           4
        .value_kind:     hidden_block_count_y
      - .offset:         152
        .size:           4
        .value_kind:     hidden_block_count_z
      - .offset:         156
        .size:           2
        .value_kind:     hidden_group_size_x
      - .offset:         158
        .size:           2
        .value_kind:     hidden_group_size_y
      - .offset:         160
        .size:           2
        .value_kind:     hidden_group_size_z
      - .offset:         162
        .size:           2
        .value_kind:     hidden_remainder_x
      - .offset:         164
        .size:           2
        .value_kind:     hidden_remainder_y
      - .offset:         166
        .size:           2
        .value_kind:     hidden_remainder_z
      - .offset:         184
        .size:           8
        .value_kind:     hidden_global_offset_x
      - .offset:         192
        .size:           8
        .value_kind:     hidden_global_offset_y
      - .offset:         200
        .size:           8
        .value_kind:     hidden_global_offset_z
      - .offset:         208
        .size:           2
        .value_kind:     hidden_grid_dims
      - .offset:         264
        .size:           4
        .value_kind:     hidden_dynamic_lds_size
    .group_segment_fixed_size: 272
    .kernarg_segment_align: 8
    .kernarg_segment_size: 400
    .language:       OpenCL C
    .language_version:
      - 2
      - 0
    .max_flat_workgroup_size: 1024
    .name:           _ZN4vllm25paged_attention_v2_kernelI14__hip_bfloat16hLi128ELi32ELi128ELNS_18Fp8KVCacheDataTypeE1ELb0ELi512EEEvPfS3_PT_PKS4_PKT0_SA_ifPKiSC_iPKfiiiSE_SE_iiiii
    .private_segment_fixed_size: 380
    .sgpr_count:     50
    .sgpr_spill_count: 0
    .symbol:         _ZN4vllm25paged_attention_v2_kernelI14__hip_bfloat16hLi128ELi32ELi128ELNS_18Fp8KVCacheDataTypeE1ELb0ELi512EEEvPfS3_PT_PKS4_PKT0_SA_ifPKiSC_iPKfiiiSE_SE_iiiii.kd
    .uniform_work_group_size: 1
    .uses_dynamic_stack: false
    .vgpr_count:     128
    .vgpr_spill_count: 0
    .wavefront_size: 64
  - .agpr_count:     64
    .args:
      - .actual_access:  write_only
        .address_space:  global
        .offset:         0
        .size:           8
        .value_kind:     global_buffer
      - .actual_access:  write_only
        .address_space:  global
        .offset:         8
        .size:           8
        .value_kind:     global_buffer
      - .actual_access:  write_only
        .address_space:  global
        .offset:         16
        .size:           8
        .value_kind:     global_buffer
      - .actual_access:  read_only
        .address_space:  global
        .offset:         24
        .size:           8
        .value_kind:     global_buffer
      - .actual_access:  read_only
        .address_space:  global
        .offset:         32
        .size:           8
        .value_kind:     global_buffer
      - .actual_access:  read_only
        .address_space:  global
        .offset:         40
        .size:           8
        .value_kind:     global_buffer
      - .offset:         48
        .size:           4
        .value_kind:     by_value
      - .offset:         52
        .size:           4
        .value_kind:     by_value
      - .actual_access:  read_only
        .address_space:  global
        .offset:         56
        .size:           8
        .value_kind:     global_buffer
      - .actual_access:  read_only
        .address_space:  global
        .offset:         64
        .size:           8
        .value_kind:     global_buffer
      - .offset:         72
        .size:           4
        .value_kind:     by_value
      - .address_space:  global
        .offset:         80
        .size:           8
        .value_kind:     global_buffer
      - .offset:         88
        .size:           4
        .value_kind:     by_value
      - .offset:         92
        .size:           4
        .value_kind:     by_value
      - .offset:         96
        .size:           4
        .value_kind:     by_value
      - .address_space:  global
        .offset:         104
        .size:           8
        .value_kind:     global_buffer
      - .address_space:  global
        .offset:         112
        .size:           8
        .value_kind:     global_buffer
      - .offset:         120
        .size:           4
        .value_kind:     by_value
      - .offset:         124
        .size:           4
        .value_kind:     by_value
      - .offset:         128
        .size:           4
        .value_kind:     by_value
      - .offset:         132
        .size:           4
        .value_kind:     by_value
      - .offset:         136
        .size:           4
        .value_kind:     by_value
      - .offset:         144
        .size:           4
        .value_kind:     hidden_block_count_x
      - .offset:         148
        .size:           4
        .value_kind:     hidden_block_count_y
      - .offset:         152
        .size:           4
        .value_kind:     hidden_block_count_z
      - .offset:         156
        .size:           2
        .value_kind:     hidden_group_size_x
      - .offset:         158
        .size:           2
        .value_kind:     hidden_group_size_y
      - .offset:         160
        .size:           2
        .value_kind:     hidden_group_size_z
      - .offset:         162
        .size:           2
        .value_kind:     hidden_remainder_x
      - .offset:         164
        .size:           2
        .value_kind:     hidden_remainder_y
      - .offset:         166
        .size:           2
        .value_kind:     hidden_remainder_z
      - .offset:         184
        .size:           8
        .value_kind:     hidden_global_offset_x
      - .offset:         192
        .size:           8
        .value_kind:     hidden_global_offset_y
      - .offset:         200
        .size:           8
        .value_kind:     hidden_global_offset_z
      - .offset:         208
        .size:           2
        .value_kind:     hidden_grid_dims
      - .offset:         264
        .size:           4
        .value_kind:     hidden_dynamic_lds_size
    .group_segment_fixed_size: 400
    .kernarg_segment_align: 8
    .kernarg_segment_size: 400
    .language:       OpenCL C
    .language_version:
      - 2
      - 0
    .max_flat_workgroup_size: 1024
    .name:           _ZN4vllm25paged_attention_v2_kernelI14__hip_bfloat16hLi192ELi32ELi128ELNS_18Fp8KVCacheDataTypeE1ELb0ELi512EEEvPfS3_PT_PKS4_PKT0_SA_ifPKiSC_iPKfiiiSE_SE_iiiii
    .private_segment_fixed_size: 664
    .sgpr_count:     50
    .sgpr_spill_count: 0
    .symbol:         _ZN4vllm25paged_attention_v2_kernelI14__hip_bfloat16hLi192ELi32ELi128ELNS_18Fp8KVCacheDataTypeE1ELb0ELi512EEEvPfS3_PT_PKS4_PKT0_SA_ifPKiSC_iPKfiiiSE_SE_iiiii.kd
    .uniform_work_group_size: 1
    .uses_dynamic_stack: false
    .vgpr_count:     128
    .vgpr_spill_count: 0
    .wavefront_size: 64
  - .agpr_count:     64
    .args:
      - .actual_access:  write_only
        .address_space:  global
        .offset:         0
        .size:           8
        .value_kind:     global_buffer
      - .actual_access:  write_only
        .address_space:  global
        .offset:         8
        .size:           8
        .value_kind:     global_buffer
      - .actual_access:  write_only
        .address_space:  global
        .offset:         16
        .size:           8
        .value_kind:     global_buffer
      - .actual_access:  read_only
        .address_space:  global
        .offset:         24
        .size:           8
        .value_kind:     global_buffer
      - .actual_access:  read_only
        .address_space:  global
        .offset:         32
        .size:           8
        .value_kind:     global_buffer
      - .actual_access:  read_only
        .address_space:  global
        .offset:         40
        .size:           8
        .value_kind:     global_buffer
      - .offset:         48
        .size:           4
        .value_kind:     by_value
      - .offset:         52
        .size:           4
        .value_kind:     by_value
      - .actual_access:  read_only
        .address_space:  global
        .offset:         56
        .size:           8
        .value_kind:     global_buffer
      - .actual_access:  read_only
        .address_space:  global
        .offset:         64
        .size:           8
        .value_kind:     global_buffer
      - .offset:         72
        .size:           4
        .value_kind:     by_value
      - .address_space:  global
        .offset:         80
        .size:           8
        .value_kind:     global_buffer
      - .offset:         88
        .size:           4
        .value_kind:     by_value
      - .offset:         92
        .size:           4
        .value_kind:     by_value
      - .offset:         96
        .size:           4
        .value_kind:     by_value
      - .address_space:  global
        .offset:         104
        .size:           8
        .value_kind:     global_buffer
      - .address_space:  global
        .offset:         112
        .size:           8
        .value_kind:     global_buffer
      - .offset:         120
        .size:           4
        .value_kind:     by_value
      - .offset:         124
        .size:           4
        .value_kind:     by_value
      - .offset:         128
        .size:           4
        .value_kind:     by_value
      - .offset:         132
        .size:           4
        .value_kind:     by_value
      - .offset:         136
        .size:           4
        .value_kind:     by_value
      - .offset:         144
        .size:           4
        .value_kind:     hidden_block_count_x
      - .offset:         148
        .size:           4
        .value_kind:     hidden_block_count_y
      - .offset:         152
        .size:           4
        .value_kind:     hidden_block_count_z
      - .offset:         156
        .size:           2
        .value_kind:     hidden_group_size_x
      - .offset:         158
        .size:           2
        .value_kind:     hidden_group_size_y
      - .offset:         160
        .size:           2
        .value_kind:     hidden_group_size_z
      - .offset:         162
        .size:           2
        .value_kind:     hidden_remainder_x
      - .offset:         164
        .size:           2
        .value_kind:     hidden_remainder_y
      - .offset:         166
        .size:           2
        .value_kind:     hidden_remainder_z
      - .offset:         184
        .size:           8
        .value_kind:     hidden_global_offset_x
      - .offset:         192
        .size:           8
        .value_kind:     hidden_global_offset_y
      - .offset:         200
        .size:           8
        .value_kind:     hidden_global_offset_z
      - .offset:         208
        .size:           2
        .value_kind:     hidden_grid_dims
      - .offset:         264
        .size:           4
        .value_kind:     hidden_dynamic_lds_size
    .group_segment_fixed_size: 528
    .kernarg_segment_align: 8
    .kernarg_segment_size: 400
    .language:       OpenCL C
    .language_version:
      - 2
      - 0
    .max_flat_workgroup_size: 1024
    .name:           _ZN4vllm25paged_attention_v2_kernelI14__hip_bfloat16hLi256ELi32ELi128ELNS_18Fp8KVCacheDataTypeE1ELb0ELi512EEEvPfS3_PT_PKS4_PKT0_SA_ifPKiSC_iPKfiiiSE_SE_iiiii
    .private_segment_fixed_size: 936
    .sgpr_count:     58
    .sgpr_spill_count: 0
    .symbol:         _ZN4vllm25paged_attention_v2_kernelI14__hip_bfloat16hLi256ELi32ELi128ELNS_18Fp8KVCacheDataTypeE1ELb0ELi512EEEvPfS3_PT_PKS4_PKT0_SA_ifPKiSC_iPKfiiiSE_SE_iiiii.kd
    .uniform_work_group_size: 1
    .uses_dynamic_stack: false
    .vgpr_count:     128
    .vgpr_spill_count: 0
    .wavefront_size: 64
amdhsa.target:   amdgcn-amd-amdhsa--gfx942
amdhsa.version:
  - 1
  - 2
...

	.end_amdgpu_metadata
